;; amdgpu-corpus repo=pytorch/pytorch kind=compiled arch=gfx1250 opt=O3
	.amdgcn_target "amdgcn-amd-amdhsa--gfx1250"
	.amdhsa_code_object_version 6
	.section	.text._ZN2at6native29vectorized_elementwise_kernelILi16EZNS0_12_GLOBAL__N_116addr_kernel_cudaERNS_14TensorIteratorERKN3c106ScalarES8_EUlbbbE_St5arrayIPcLm4EEEEviT0_T1_,"axG",@progbits,_ZN2at6native29vectorized_elementwise_kernelILi16EZNS0_12_GLOBAL__N_116addr_kernel_cudaERNS_14TensorIteratorERKN3c106ScalarES8_EUlbbbE_St5arrayIPcLm4EEEEviT0_T1_,comdat
	.globl	_ZN2at6native29vectorized_elementwise_kernelILi16EZNS0_12_GLOBAL__N_116addr_kernel_cudaERNS_14TensorIteratorERKN3c106ScalarES8_EUlbbbE_St5arrayIPcLm4EEEEviT0_T1_ ; -- Begin function _ZN2at6native29vectorized_elementwise_kernelILi16EZNS0_12_GLOBAL__N_116addr_kernel_cudaERNS_14TensorIteratorERKN3c106ScalarES8_EUlbbbE_St5arrayIPcLm4EEEEviT0_T1_
	.p2align	8
	.type	_ZN2at6native29vectorized_elementwise_kernelILi16EZNS0_12_GLOBAL__N_116addr_kernel_cudaERNS_14TensorIteratorERKN3c106ScalarES8_EUlbbbE_St5arrayIPcLm4EEEEviT0_T1_,@function
_ZN2at6native29vectorized_elementwise_kernelILi16EZNS0_12_GLOBAL__N_116addr_kernel_cudaERNS_14TensorIteratorERKN3c106ScalarES8_EUlbbbE_St5arrayIPcLm4EEEEviT0_T1_: ; @_ZN2at6native29vectorized_elementwise_kernelILi16EZNS0_12_GLOBAL__N_116addr_kernel_cudaERNS_14TensorIteratorERKN3c106ScalarES8_EUlbbbE_St5arrayIPcLm4EEEEviT0_T1_
; %bb.0:
	s_load_b64 s[4:5], s[0:1], 0x4
	s_load_b128 s[28:31], s[2:3], 0x0
	v_and_b32_e32 v1, 0x3ff, v0
	v_bfe_u32 v3, v0, 10, 10
	v_bfe_u32 v0, v0, 20, 10
	s_load_b128 s[36:39], s[2:3], 0x18
	s_wait_xcnt 0x0
	s_and_b32 s1, ttmp6, 15
	s_getreg_b32 s2, hwreg(HW_REG_IB_STS2, 6, 4)
	s_wait_kmcnt 0x0
	s_lshr_b32 s0, s4, 16
	v_mul_u32_u24_e32 v3, s5, v3
	s_mul_i32 s0, s0, s5
	s_delay_alu instid0(SALU_CYCLE_1) | instskip(SKIP_1) | instid1(SALU_CYCLE_1)
	v_mul_lo_u32 v2, s0, v1
	s_and_b32 s0, s29, 1
	v_mov_b32_e32 v4, s0
	s_bfe_u32 s0, ttmp6, 0x4000c
	s_delay_alu instid0(SALU_CYCLE_1) | instskip(NEXT) | instid1(SALU_CYCLE_1)
	s_add_co_i32 s0, s0, 1
	s_mul_i32 s0, ttmp9, s0
	s_delay_alu instid0(SALU_CYCLE_1) | instskip(NEXT) | instid1(VALU_DEP_2)
	s_add_co_i32 s1, s1, s0
	v_add3_u32 v0, v2, v3, v0
	s_cmp_eq_u32 s2, 0
	s_cselect_b32 s0, ttmp9, s1
	s_delay_alu instid0(SALU_CYCLE_1)
	s_lshl_b32 s34, s0, 12
	ds_store_b8 v0, v4
	ds_load_u8 v2, v0
	s_sub_co_i32 s28, s28, s34
	s_mov_b32 s0, -1
	s_cmp_gt_i32 s28, 0xfff
	s_wait_dscnt 0x0
	v_and_b32_e32 v2, 1, v2
	s_delay_alu instid0(VALU_DEP_1)
	v_cmp_eq_u32_e32 vcc_lo, 1, v2
	ds_store_b8 v0, v2 offset:256
	v_cndmask_b32_e64 v6, 0, 1, vcc_lo
	s_cbranch_scc0 .LBB0_2
; %bb.1:
	s_ashr_i32 s35, s34, 31
	ds_store_b8 v0, v6 offset:512
	s_add_nc_u64 s[0:1], s[36:37], s[34:35]
	ds_load_u8 v7, v0 offset:512
	global_load_b128 v[2:5], v1, s[0:1] scale_offset
	s_wait_xcnt 0x0
	s_add_nc_u64 s[0:1], s[38:39], s[34:35]
	global_load_b128 v[8:11], v1, s[0:1] scale_offset
	s_wait_dscnt 0x0
	v_cmp_ne_u16_e32 vcc_lo, 0, v7
	s_wait_loadcnt 0x1
	v_and_b32_e32 v12, 0xff, v3
	v_lshrrev_b32_e32 v13, 24, v3
	v_lshrrev_b16 v7, 8, v3
	s_wait_loadcnt 0x0
	v_and_b32_e32 v24, 0xff, v9
	v_dual_lshrrev_b32 v25, 24, v9 :: v_dual_lshrrev_b32 v3, 16, v3
	v_lshrrev_b16 v14, 8, v2
	v_lshrrev_b16 v26, 8, v8
	v_cmp_ne_u16_e64 s4, 0, v12
	v_cmp_ne_u16_e64 s10, 0, v24
	v_and_b32_e32 v15, 0xff, v2
	v_dual_lshrrev_b32 v16, 24, v2 :: v_dual_lshrrev_b32 v2, 16, v2
	v_lshrrev_b16 v20, 8, v4
	v_and_b32_e32 v21, 0xff, v4
	v_dual_lshrrev_b32 v22, 24, v4 :: v_dual_lshrrev_b32 v4, 16, v4
	v_and_b32_e32 v27, 0xff, v8
	v_dual_lshrrev_b32 v28, 24, v8 :: v_dual_lshrrev_b32 v8, 16, v8
	v_lshrrev_b16 v23, 8, v9
	v_lshrrev_b32_e32 v9, 16, v9
	v_cmp_ne_u16_e64 s3, 0, v13
	v_cmp_ne_u16_e64 s9, 0, v25
	v_lshrrev_b16 v17, 8, v5
	v_and_b32_e32 v18, 0xff, v5
	v_dual_lshrrev_b32 v19, 24, v5 :: v_dual_lshrrev_b32 v5, 16, v5
	v_and_b32_e32 v3, 0xff, v3
	v_cmp_ne_u16_e64 s2, 0, v14
	v_cmp_ne_u16_e64 s8, 0, v26
	v_lshrrev_b16 v29, 8, v11
	s_and_b32 s4, s4, s10
	v_and_b32_e32 v4, 0xff, v4
	v_cmp_ne_u16_e64 s0, 0, v16
	v_cmp_ne_u16_e64 s1, 0, v15
	;; [unrolled: 1-line block ×4, first 2 shown]
	v_and_b32_e32 v30, 0xff, v11
	s_and_b32 s9, s3, s9
	s_and_b32 s4, s4, vcc_lo
	v_and_b32_e32 v5, 0xff, v5
	v_dual_lshrrev_b32 v31, 24, v11 :: v_dual_lshrrev_b32 v11, 16, v11
	v_cmp_ne_u16_e64 s25, 0, v3
	s_and_b32 s8, s2, s8
	v_cndmask_b32_e64 v3, 0, 1, s4
	s_and_b32 s4, s9, vcc_lo
	v_cmp_ne_u16_e64 s5, 0, v7
	v_and_b32_e32 v7, 0xff, v9
	v_cmp_ne_u16_e64 s17, 0, v17
	v_cmp_ne_u16_e64 s23, 0, v29
	v_lshrrev_b16 v32, 8, v10
	v_and_b32_e32 v33, 0xff, v10
	v_dual_lshrrev_b32 v34, 24, v10 :: v_dual_lshrrev_b32 v10, 16, v10
	s_and_b32 s7, s1, s7
	s_and_b32 s6, s0, s6
	v_cmp_ne_u16_e64 s0, 0, v4
	v_cndmask_b32_e64 v4, 0, 1, s4
	s_and_b32 s4, s8, vcc_lo
	v_and_b32_e32 v8, 0xff, v8
	v_cmp_ne_u16_e64 s11, 0, v23
	v_cmp_ne_u16_e64 s16, 0, v18
	v_cmp_ne_u16_e64 s22, 0, v30
	v_cmp_ne_u16_e64 s1, 0, v5
	v_cndmask_b32_e64 v5, 0, 1, s4
	s_and_b32 s4, s7, vcc_lo
	v_and_b32_e32 v9, 0xff, v11
	v_cmp_ne_u16_e64 s15, 0, v19
	v_cmp_ne_u16_e64 s21, 0, v31
	;; [unrolled: 1-line block ×3, first 2 shown]
	s_and_b32 s10, s17, s23
	v_cndmask_b32_e64 v7, 0, 1, s4
	s_and_b32 s4, s6, vcc_lo
	v_and_b32_e32 v10, 0xff, v10
	v_cmp_ne_u16_e64 s14, 0, v20
	v_cmp_ne_u16_e64 s20, 0, v32
	;; [unrolled: 1-line block ×3, first 2 shown]
	s_and_b32 s5, s5, s11
	s_and_b32 s11, s16, s22
	v_cndmask_b32_e64 v8, 0, 1, s4
	s_and_b32 s4, s10, vcc_lo
	v_cmp_ne_u16_e64 s13, 0, v21
	v_cmp_ne_u16_e64 s19, 0, v33
	;; [unrolled: 1-line block ×3, first 2 shown]
	s_and_b32 s15, s15, s21
	v_cndmask_b32_e64 v9, 0, 1, s4
	s_and_b32 s4, s11, vcc_lo
	v_cmp_ne_u16_e64 s12, 0, v22
	v_cmp_ne_u16_e64 s18, 0, v34
	v_and_b32_e32 v2, 0xff, v2
	v_cmp_ne_u16_e64 s2, 0, v10
	s_and_b32 s14, s14, s20
	v_cndmask_b32_e64 v10, 0, 1, s4
	s_and_b32 s4, s15, vcc_lo
	s_and_b32 s13, s13, s19
	v_cndmask_b32_e64 v11, 0, 1, s4
	s_and_b32 s4, s14, vcc_lo
	;; [unrolled: 3-line block ×3, first 2 shown]
	v_cmp_ne_u16_e64 s24, 0, v2
	v_cndmask_b32_e64 v13, 0, 1, s4
	s_and_b32 s4, s12, vcc_lo
	s_and_b32 s5, s5, vcc_lo
	v_cndmask_b32_e64 v14, 0, 1, s4
	s_and_b32 s4, s25, s27
	v_cndmask_b32_e64 v2, 0, 1, s5
	s_and_b32 s5, s24, s26
	s_and_b32 s1, s1, s3
	;; [unrolled: 1-line block ×3, first 2 shown]
	s_and_b32 s2, s4, vcc_lo
	s_and_b32 s1, s1, vcc_lo
	v_cndmask_b32_e64 v15, 0, 1, s2
	s_and_b32 s2, s5, vcc_lo
	s_and_b32 s0, s0, vcc_lo
	v_lshlrev_b16 v2, 8, v2
	v_lshlrev_b16 v4, 8, v4
	;; [unrolled: 1-line block ×4, first 2 shown]
	v_cndmask_b32_e64 v16, 0, 1, s2
	v_lshlrev_b16 v9, 8, v9
	v_lshlrev_b16 v11, 8, v11
	v_cndmask_b32_e64 v17, 0, 1, s1
	v_lshlrev_b16 v12, 8, v12
	v_lshlrev_b16 v14, 8, v14
	v_cndmask_b32_e64 v18, 0, 1, s0
	v_or_b32_e32 v2, v3, v2
	v_or_b32_e32 v3, v15, v4
	v_or_b32_e32 v4, v7, v5
	v_or_b32_e32 v7, v10, v9
	v_or_b32_e32 v9, v13, v12
	v_or_b32_e32 v10, v18, v14
	v_or_b32_e32 v5, v16, v8
	v_or_b32_e32 v8, v17, v11
	v_and_b32_e32 v7, 0xffff, v7
	v_and_b32_e32 v9, 0xffff, v9
	s_delay_alu instid0(VALU_DEP_4)
	v_dual_lshlrev_b32 v10, 16, v10 :: v_dual_lshlrev_b32 v5, 16, v5
	v_lshlrev_b32_e32 v3, 16, v3
	v_and_b32_e32 v2, 0xffff, v2
	v_lshlrev_b32_e32 v8, 16, v8
	v_and_b32_e32 v4, 0xffff, v4
	s_add_nc_u64 s[2:3], s[30:31], s[34:35]
	s_mov_b32 s0, 0
	v_or_b32_e32 v3, v2, v3
	s_delay_alu instid0(VALU_DEP_2)
	v_or_b32_e32 v2, v4, v5
	v_or_b32_e32 v5, v7, v8
	;; [unrolled: 1-line block ×3, first 2 shown]
	global_store_b128 v1, v[2:5], s[2:3] scale_offset
.LBB0_2:
	s_and_not1_b32 vcc_lo, exec_lo, s0
	s_cbranch_vccnz .LBB0_50
; %bb.3:
	v_cmp_gt_i32_e32 vcc_lo, s28, v1
	s_wait_xcnt 0x0
	v_dual_mov_b32 v2, 0 :: v_dual_bitop2_b32 v3, s34, v1 bitop3:0x54
	v_dual_mov_b32 v5, 0 :: v_dual_add_nc_u32 v4, 0x100, v1
	v_mov_b32_e32 v7, v1
	s_mov_b32 s2, 0
	s_mov_b32 s3, 0
	ds_store_b8 v0, v6 offset:768
	s_and_saveexec_b32 s4, vcc_lo
	s_cbranch_execz .LBB0_5
; %bb.4:
	s_clause 0x1
	global_load_u8 v5, v3, s[38:39]
	global_load_u8 v6, v3, s[36:37]
	v_add_nc_u32_e32 v7, 0x100, v1
	s_wait_loadcnt 0x1
	v_cmp_ne_u16_e64 s0, 0, v5
	s_wait_loadcnt 0x0
	v_cmp_ne_u16_e64 s1, 0, v6
	s_and_b32 s3, s0, exec_lo
	v_cndmask_b32_e64 v5, 0, 1, s1
.LBB0_5:
	s_wait_xcnt 0x0
	s_or_b32 exec_lo, exec_lo, s4
	s_delay_alu instid0(SALU_CYCLE_1)
	s_mov_b32 s4, exec_lo
	v_cmpx_gt_i32_e64 s28, v7
	s_cbranch_execz .LBB0_7
; %bb.6:
	v_add_nc_u32_e32 v2, s34, v7
	v_add_nc_u32_e32 v7, 0x100, v7
	s_clause 0x1
	global_load_u8 v6, v2, s[38:39]
	global_load_u8 v8, v2, s[36:37]
	s_wait_loadcnt 0x1
	v_cmp_ne_u16_e64 s0, 0, v6
	s_wait_loadcnt 0x0
	v_cmp_ne_u16_e64 s1, 0, v8
	s_and_b32 s2, s0, exec_lo
	s_wait_xcnt 0x0
	v_cndmask_b32_e64 v2, 0, 1, s1
.LBB0_7:
	s_or_b32 exec_lo, exec_lo, s4
	v_dual_mov_b32 v6, 0 :: v_dual_mov_b32 v8, 0
	s_mov_b32 s4, 0
	s_mov_b32 s5, 0
	s_mov_b32 s6, exec_lo
	v_cmpx_gt_i32_e64 s28, v7
	s_cbranch_execz .LBB0_9
; %bb.8:
	v_add_nc_u32_e32 v8, s34, v7
	v_add_nc_u32_e32 v7, 0x100, v7
	s_clause 0x1
	global_load_u8 v9, v8, s[38:39]
	global_load_u8 v10, v8, s[36:37]
	s_wait_loadcnt 0x1
	v_cmp_ne_u16_e64 s0, 0, v9
	s_wait_loadcnt 0x0
	v_cmp_ne_u16_e64 s1, 0, v10
	s_and_b32 s5, s0, exec_lo
	s_wait_xcnt 0x0
	v_cndmask_b32_e64 v8, 0, 1, s1
.LBB0_9:
	s_or_b32 exec_lo, exec_lo, s6
	s_delay_alu instid0(SALU_CYCLE_1)
	s_mov_b32 s6, exec_lo
	v_cmpx_gt_i32_e64 s28, v7
	s_cbranch_execz .LBB0_11
; %bb.10:
	v_add_nc_u32_e32 v6, s34, v7
	v_add_nc_u32_e32 v7, 0x100, v7
	s_clause 0x1
	global_load_u8 v9, v6, s[38:39]
	global_load_u8 v10, v6, s[36:37]
	s_wait_loadcnt 0x1
	v_cmp_ne_u16_e64 s0, 0, v9
	s_wait_loadcnt 0x0
	v_cmp_ne_u16_e64 s1, 0, v10
	s_and_b32 s4, s0, exec_lo
	s_wait_xcnt 0x0
	v_cndmask_b32_e64 v6, 0, 1, s1
.LBB0_11:
	s_or_b32 exec_lo, exec_lo, s6
	v_dual_mov_b32 v9, 0 :: v_dual_mov_b32 v10, 0
	s_mov_b32 s6, 0
	s_mov_b32 s7, 0
	s_mov_b32 s8, exec_lo
	v_cmpx_gt_i32_e64 s28, v7
	s_cbranch_execz .LBB0_13
; %bb.12:
	v_add_nc_u32_e32 v10, s34, v7
	v_add_nc_u32_e32 v7, 0x100, v7
	s_clause 0x1
	global_load_u8 v11, v10, s[38:39]
	global_load_u8 v12, v10, s[36:37]
	s_wait_loadcnt 0x1
	v_cmp_ne_u16_e64 s0, 0, v11
	s_wait_loadcnt 0x0
	v_cmp_ne_u16_e64 s1, 0, v12
	s_and_b32 s7, s0, exec_lo
	s_wait_xcnt 0x0
	v_cndmask_b32_e64 v10, 0, 1, s1
.LBB0_13:
	;; [unrolled: 40-line block ×6, first 2 shown]
	s_or_b32 exec_lo, exec_lo, s16
	s_delay_alu instid0(SALU_CYCLE_1)
	s_mov_b32 s16, exec_lo
	v_cmpx_gt_i32_e64 s28, v7
	s_cbranch_execz .LBB0_31
; %bb.30:
	v_add_nc_u32_e32 v17, s34, v7
	v_add_nc_u32_e32 v7, 0x100, v7
	s_clause 0x1
	global_load_u8 v19, v17, s[38:39]
	global_load_u8 v20, v17, s[36:37]
	s_wait_loadcnt 0x1
	v_cmp_ne_u16_e64 s0, 0, v19
	s_wait_loadcnt 0x0
	v_cmp_ne_u16_e64 s1, 0, v20
	s_and_b32 s14, s0, exec_lo
	s_wait_xcnt 0x0
	v_cndmask_b32_e64 v17, 0, 1, s1
.LBB0_31:
	s_or_b32 exec_lo, exec_lo, s16
	v_dual_mov_b32 v19, 0 :: v_dual_mov_b32 v20, 0
	s_mov_b32 s16, 0
	s_mov_b32 s17, 0
	s_mov_b32 s18, exec_lo
	v_cmpx_gt_i32_e64 s28, v7
	s_cbranch_execnz .LBB0_51
; %bb.32:
	s_or_b32 exec_lo, exec_lo, s18
	s_delay_alu instid0(SALU_CYCLE_1)
	s_mov_b32 s18, exec_lo
	v_cmpx_gt_i32_e64 s28, v7
	s_cbranch_execnz .LBB0_52
.LBB0_33:
	s_or_b32 exec_lo, exec_lo, s18
	ds_load_u8 v0, v0 offset:768
	s_and_saveexec_b32 s0, vcc_lo
	s_cbranch_execnz .LBB0_53
.LBB0_34:
	s_or_b32 exec_lo, exec_lo, s0
	s_delay_alu instid0(SALU_CYCLE_1)
	s_mov_b32 s0, exec_lo
	v_cmpx_gt_i32_e64 s28, v1
	s_cbranch_execnz .LBB0_54
.LBB0_35:
	s_or_b32 exec_lo, exec_lo, s0
	s_delay_alu instid0(SALU_CYCLE_1)
	s_mov_b32 s0, exec_lo
	v_cmpx_gt_i32_e64 s28, v1
	s_cbranch_execnz .LBB0_55
.LBB0_36:
	s_or_b32 exec_lo, exec_lo, s0
	s_delay_alu instid0(SALU_CYCLE_1)
	s_mov_b32 s0, exec_lo
	v_cmpx_gt_i32_e64 s28, v1
	s_cbranch_execnz .LBB0_56
.LBB0_37:
	s_or_b32 exec_lo, exec_lo, s0
	s_delay_alu instid0(SALU_CYCLE_1)
	s_mov_b32 s0, exec_lo
	v_cmpx_gt_i32_e64 s28, v1
	s_cbranch_execnz .LBB0_57
.LBB0_38:
	s_or_b32 exec_lo, exec_lo, s0
	s_delay_alu instid0(SALU_CYCLE_1)
	s_mov_b32 s0, exec_lo
	v_cmpx_gt_i32_e64 s28, v1
	s_cbranch_execnz .LBB0_58
.LBB0_39:
	s_or_b32 exec_lo, exec_lo, s0
	s_delay_alu instid0(SALU_CYCLE_1)
	s_mov_b32 s0, exec_lo
	v_cmpx_gt_i32_e64 s28, v1
	s_cbranch_execnz .LBB0_59
.LBB0_40:
	s_or_b32 exec_lo, exec_lo, s0
	s_delay_alu instid0(SALU_CYCLE_1)
	s_mov_b32 s0, exec_lo
	v_cmpx_gt_i32_e64 s28, v1
	s_cbranch_execnz .LBB0_60
.LBB0_41:
	s_or_b32 exec_lo, exec_lo, s0
	s_delay_alu instid0(SALU_CYCLE_1)
	s_mov_b32 s0, exec_lo
	v_cmpx_gt_i32_e64 s28, v1
	s_cbranch_execnz .LBB0_61
.LBB0_42:
	s_or_b32 exec_lo, exec_lo, s0
	s_delay_alu instid0(SALU_CYCLE_1)
	s_mov_b32 s0, exec_lo
	v_cmpx_gt_i32_e64 s28, v1
	s_cbranch_execnz .LBB0_62
.LBB0_43:
	s_or_b32 exec_lo, exec_lo, s0
	s_delay_alu instid0(SALU_CYCLE_1)
	s_mov_b32 s0, exec_lo
	v_cmpx_gt_i32_e64 s28, v1
	s_cbranch_execnz .LBB0_63
.LBB0_44:
	s_or_b32 exec_lo, exec_lo, s0
	s_delay_alu instid0(SALU_CYCLE_1)
	s_mov_b32 s0, exec_lo
	v_cmpx_gt_i32_e64 s28, v1
	s_cbranch_execnz .LBB0_64
.LBB0_45:
	s_or_b32 exec_lo, exec_lo, s0
	s_delay_alu instid0(SALU_CYCLE_1)
	s_mov_b32 s0, exec_lo
	v_cmpx_gt_i32_e64 s28, v1
	s_cbranch_execnz .LBB0_65
.LBB0_46:
	s_or_b32 exec_lo, exec_lo, s0
	s_delay_alu instid0(SALU_CYCLE_1)
	s_mov_b32 s0, exec_lo
	v_cmpx_gt_i32_e64 s28, v1
	s_cbranch_execnz .LBB0_66
.LBB0_47:
	s_or_b32 exec_lo, exec_lo, s0
	s_delay_alu instid0(SALU_CYCLE_1)
	s_mov_b32 s0, exec_lo
	v_cmpx_gt_i32_e64 s28, v1
	s_cbranch_execnz .LBB0_67
.LBB0_48:
	s_or_b32 exec_lo, exec_lo, s0
	s_delay_alu instid0(SALU_CYCLE_1)
	s_mov_b32 s0, exec_lo
	v_cmpx_gt_i32_e64 s28, v1
	s_cbranch_execz .LBB0_50
.LBB0_49:
	s_wait_dscnt 0x0
	v_dual_add_nc_u32 v1, s34, v1 :: v_dual_bitop2_b32 v0, v0, v19 bitop3:0x40
	s_delay_alu instid0(VALU_DEP_1) | instskip(NEXT) | instid1(VALU_DEP_1)
	v_and_b32_e32 v0, 1, v0
	v_cmp_eq_u32_e32 vcc_lo, 1, v0
	s_and_b32 s0, s16, vcc_lo
	s_delay_alu instid0(SALU_CYCLE_1)
	v_cndmask_b32_e64 v0, 0, 1, s0
	global_store_b8 v1, v0, s[30:31]
.LBB0_50:
	s_endpgm
.LBB0_51:
	v_add_nc_u32_e32 v20, s34, v7
	v_add_nc_u32_e32 v7, 0x100, v7
	s_clause 0x1
	global_load_u8 v21, v20, s[38:39]
	global_load_u8 v22, v20, s[36:37]
	s_wait_loadcnt 0x1
	v_cmp_ne_u16_e64 s0, 0, v21
	s_wait_loadcnt 0x0
	v_cmp_ne_u16_e64 s1, 0, v22
	s_and_b32 s17, s0, exec_lo
	s_wait_xcnt 0x0
	v_cndmask_b32_e64 v20, 0, 1, s1
	s_or_b32 exec_lo, exec_lo, s18
	s_delay_alu instid0(SALU_CYCLE_1)
	s_mov_b32 s18, exec_lo
	v_cmpx_gt_i32_e64 s28, v7
	s_cbranch_execz .LBB0_33
.LBB0_52:
	v_add_nc_u32_e32 v7, s34, v7
	s_clause 0x1
	global_load_u8 v19, v7, s[38:39]
	global_load_u8 v21, v7, s[36:37]
	s_wait_loadcnt 0x1
	v_cmp_ne_u16_e64 s0, 0, v19
	s_wait_loadcnt 0x0
	v_cmp_ne_u16_e64 s1, 0, v21
	s_and_b32 s16, s0, exec_lo
	v_cndmask_b32_e64 v19, 0, 1, s1
	s_wait_xcnt 0x0
	s_or_b32 exec_lo, exec_lo, s18
	ds_load_u8 v0, v0 offset:768
	s_and_saveexec_b32 s0, vcc_lo
	s_cbranch_execz .LBB0_34
.LBB0_53:
	s_wait_dscnt 0x0
	v_and_b32_e32 v1, v0, v5
	s_delay_alu instid0(VALU_DEP_1) | instskip(NEXT) | instid1(VALU_DEP_1)
	v_and_b32_e32 v1, 1, v1
	v_cmp_eq_u32_e32 vcc_lo, 1, v1
	v_mov_b32_e32 v1, v4
	s_and_b32 s1, s3, vcc_lo
	s_delay_alu instid0(SALU_CYCLE_1) | instskip(SKIP_3) | instid1(SALU_CYCLE_1)
	v_cndmask_b32_e64 v5, 0, 1, s1
	global_store_b8 v3, v5, s[30:31]
	s_wait_xcnt 0x0
	s_or_b32 exec_lo, exec_lo, s0
	s_mov_b32 s0, exec_lo
	v_cmpx_gt_i32_e64 s28, v1
	s_cbranch_execz .LBB0_35
.LBB0_54:
	s_wait_dscnt 0x0
	v_dual_add_nc_u32 v3, s34, v1 :: v_dual_bitop2_b32 v2, v0, v2 bitop3:0x40
	v_add_nc_u32_e32 v1, 0x100, v1
	s_delay_alu instid0(VALU_DEP_2) | instskip(NEXT) | instid1(VALU_DEP_1)
	v_and_b32_e32 v2, 1, v2
	v_cmp_eq_u32_e32 vcc_lo, 1, v2
	s_and_b32 s1, s2, vcc_lo
	s_delay_alu instid0(SALU_CYCLE_1) | instskip(SKIP_3) | instid1(SALU_CYCLE_1)
	v_cndmask_b32_e64 v2, 0, 1, s1
	global_store_b8 v3, v2, s[30:31]
	s_wait_xcnt 0x0
	s_or_b32 exec_lo, exec_lo, s0
	s_mov_b32 s0, exec_lo
	v_cmpx_gt_i32_e64 s28, v1
	s_cbranch_execz .LBB0_36
.LBB0_55:
	s_wait_dscnt 0x0
	v_dual_add_nc_u32 v3, s34, v1 :: v_dual_bitop2_b32 v2, v0, v8 bitop3:0x40
	v_add_nc_u32_e32 v1, 0x100, v1
	s_delay_alu instid0(VALU_DEP_2) | instskip(NEXT) | instid1(VALU_DEP_1)
	v_and_b32_e32 v2, 1, v2
	v_cmp_eq_u32_e32 vcc_lo, 1, v2
	s_and_b32 s1, s5, vcc_lo
	s_delay_alu instid0(SALU_CYCLE_1) | instskip(SKIP_3) | instid1(SALU_CYCLE_1)
	v_cndmask_b32_e64 v2, 0, 1, s1
	global_store_b8 v3, v2, s[30:31]
	s_wait_xcnt 0x0
	s_or_b32 exec_lo, exec_lo, s0
	s_mov_b32 s0, exec_lo
	v_cmpx_gt_i32_e64 s28, v1
	s_cbranch_execz .LBB0_37
.LBB0_56:
	s_wait_dscnt 0x0
	v_dual_add_nc_u32 v3, s34, v1 :: v_dual_bitop2_b32 v2, v0, v6 bitop3:0x40
	v_add_nc_u32_e32 v1, 0x100, v1
	s_delay_alu instid0(VALU_DEP_2) | instskip(NEXT) | instid1(VALU_DEP_1)
	v_and_b32_e32 v2, 1, v2
	v_cmp_eq_u32_e32 vcc_lo, 1, v2
	s_and_b32 s1, s4, vcc_lo
	s_delay_alu instid0(SALU_CYCLE_1) | instskip(SKIP_3) | instid1(SALU_CYCLE_1)
	v_cndmask_b32_e64 v2, 0, 1, s1
	global_store_b8 v3, v2, s[30:31]
	s_wait_xcnt 0x0
	s_or_b32 exec_lo, exec_lo, s0
	s_mov_b32 s0, exec_lo
	v_cmpx_gt_i32_e64 s28, v1
	s_cbranch_execz .LBB0_38
.LBB0_57:
	s_wait_dscnt 0x0
	v_dual_add_nc_u32 v3, s34, v1 :: v_dual_bitop2_b32 v2, v0, v10 bitop3:0x40
	v_add_nc_u32_e32 v1, 0x100, v1
	s_delay_alu instid0(VALU_DEP_2) | instskip(NEXT) | instid1(VALU_DEP_1)
	v_and_b32_e32 v2, 1, v2
	v_cmp_eq_u32_e32 vcc_lo, 1, v2
	s_and_b32 s1, s7, vcc_lo
	s_delay_alu instid0(SALU_CYCLE_1) | instskip(SKIP_3) | instid1(SALU_CYCLE_1)
	v_cndmask_b32_e64 v2, 0, 1, s1
	global_store_b8 v3, v2, s[30:31]
	s_wait_xcnt 0x0
	s_or_b32 exec_lo, exec_lo, s0
	s_mov_b32 s0, exec_lo
	v_cmpx_gt_i32_e64 s28, v1
	s_cbranch_execz .LBB0_39
.LBB0_58:
	s_wait_dscnt 0x0
	v_and_b32_e32 v2, v0, v9
	v_add_nc_u32_e32 v3, s34, v1
	v_add_nc_u32_e32 v1, 0x100, v1
	s_delay_alu instid0(VALU_DEP_3) | instskip(NEXT) | instid1(VALU_DEP_1)
	v_and_b32_e32 v2, 1, v2
	v_cmp_eq_u32_e32 vcc_lo, 1, v2
	s_and_b32 s1, s6, vcc_lo
	s_delay_alu instid0(SALU_CYCLE_1) | instskip(SKIP_3) | instid1(SALU_CYCLE_1)
	v_cndmask_b32_e64 v2, 0, 1, s1
	global_store_b8 v3, v2, s[30:31]
	s_wait_xcnt 0x0
	s_or_b32 exec_lo, exec_lo, s0
	s_mov_b32 s0, exec_lo
	v_cmpx_gt_i32_e64 s28, v1
	s_cbranch_execz .LBB0_40
.LBB0_59:
	s_wait_dscnt 0x0
	v_dual_add_nc_u32 v3, s34, v1 :: v_dual_bitop2_b32 v2, v0, v12 bitop3:0x40
	v_add_nc_u32_e32 v1, 0x100, v1
	s_delay_alu instid0(VALU_DEP_2) | instskip(NEXT) | instid1(VALU_DEP_1)
	v_and_b32_e32 v2, 1, v2
	v_cmp_eq_u32_e32 vcc_lo, 1, v2
	s_and_b32 s1, s9, vcc_lo
	s_delay_alu instid0(SALU_CYCLE_1) | instskip(SKIP_3) | instid1(SALU_CYCLE_1)
	v_cndmask_b32_e64 v2, 0, 1, s1
	global_store_b8 v3, v2, s[30:31]
	s_wait_xcnt 0x0
	s_or_b32 exec_lo, exec_lo, s0
	s_mov_b32 s0, exec_lo
	v_cmpx_gt_i32_e64 s28, v1
	s_cbranch_execz .LBB0_41
.LBB0_60:
	s_wait_dscnt 0x0
	v_dual_add_nc_u32 v3, s34, v1 :: v_dual_bitop2_b32 v2, v0, v11 bitop3:0x40
	v_add_nc_u32_e32 v1, 0x100, v1
	s_delay_alu instid0(VALU_DEP_2) | instskip(NEXT) | instid1(VALU_DEP_1)
	v_and_b32_e32 v2, 1, v2
	v_cmp_eq_u32_e32 vcc_lo, 1, v2
	s_and_b32 s1, s8, vcc_lo
	s_delay_alu instid0(SALU_CYCLE_1) | instskip(SKIP_3) | instid1(SALU_CYCLE_1)
	v_cndmask_b32_e64 v2, 0, 1, s1
	global_store_b8 v3, v2, s[30:31]
	s_wait_xcnt 0x0
	s_or_b32 exec_lo, exec_lo, s0
	s_mov_b32 s0, exec_lo
	v_cmpx_gt_i32_e64 s28, v1
	s_cbranch_execz .LBB0_42
.LBB0_61:
	s_wait_dscnt 0x0
	v_dual_add_nc_u32 v3, s34, v1 :: v_dual_bitop2_b32 v2, v0, v14 bitop3:0x40
	v_add_nc_u32_e32 v1, 0x100, v1
	s_delay_alu instid0(VALU_DEP_2) | instskip(NEXT) | instid1(VALU_DEP_1)
	v_and_b32_e32 v2, 1, v2
	v_cmp_eq_u32_e32 vcc_lo, 1, v2
	s_and_b32 s1, s11, vcc_lo
	s_delay_alu instid0(SALU_CYCLE_1) | instskip(SKIP_3) | instid1(SALU_CYCLE_1)
	v_cndmask_b32_e64 v2, 0, 1, s1
	global_store_b8 v3, v2, s[30:31]
	s_wait_xcnt 0x0
	s_or_b32 exec_lo, exec_lo, s0
	s_mov_b32 s0, exec_lo
	v_cmpx_gt_i32_e64 s28, v1
	s_cbranch_execz .LBB0_43
.LBB0_62:
	s_wait_dscnt 0x0
	v_and_b32_e32 v2, v0, v13
	v_add_nc_u32_e32 v3, s34, v1
	v_add_nc_u32_e32 v1, 0x100, v1
	s_delay_alu instid0(VALU_DEP_3) | instskip(NEXT) | instid1(VALU_DEP_1)
	v_and_b32_e32 v2, 1, v2
	v_cmp_eq_u32_e32 vcc_lo, 1, v2
	s_and_b32 s1, s10, vcc_lo
	s_delay_alu instid0(SALU_CYCLE_1) | instskip(SKIP_3) | instid1(SALU_CYCLE_1)
	v_cndmask_b32_e64 v2, 0, 1, s1
	global_store_b8 v3, v2, s[30:31]
	s_wait_xcnt 0x0
	s_or_b32 exec_lo, exec_lo, s0
	s_mov_b32 s0, exec_lo
	v_cmpx_gt_i32_e64 s28, v1
	s_cbranch_execz .LBB0_44
.LBB0_63:
	s_wait_dscnt 0x0
	v_dual_add_nc_u32 v3, s34, v1 :: v_dual_bitop2_b32 v2, v0, v16 bitop3:0x40
	v_add_nc_u32_e32 v1, 0x100, v1
	s_delay_alu instid0(VALU_DEP_2) | instskip(NEXT) | instid1(VALU_DEP_1)
	v_and_b32_e32 v2, 1, v2
	v_cmp_eq_u32_e32 vcc_lo, 1, v2
	s_and_b32 s1, s13, vcc_lo
	s_delay_alu instid0(SALU_CYCLE_1) | instskip(SKIP_3) | instid1(SALU_CYCLE_1)
	v_cndmask_b32_e64 v2, 0, 1, s1
	global_store_b8 v3, v2, s[30:31]
	s_wait_xcnt 0x0
	s_or_b32 exec_lo, exec_lo, s0
	s_mov_b32 s0, exec_lo
	v_cmpx_gt_i32_e64 s28, v1
	s_cbranch_execz .LBB0_45
.LBB0_64:
	s_wait_dscnt 0x0
	v_dual_add_nc_u32 v3, s34, v1 :: v_dual_bitop2_b32 v2, v0, v15 bitop3:0x40
	v_add_nc_u32_e32 v1, 0x100, v1
	s_delay_alu instid0(VALU_DEP_2) | instskip(NEXT) | instid1(VALU_DEP_1)
	v_and_b32_e32 v2, 1, v2
	v_cmp_eq_u32_e32 vcc_lo, 1, v2
	s_and_b32 s1, s12, vcc_lo
	s_delay_alu instid0(SALU_CYCLE_1) | instskip(SKIP_3) | instid1(SALU_CYCLE_1)
	v_cndmask_b32_e64 v2, 0, 1, s1
	global_store_b8 v3, v2, s[30:31]
	s_wait_xcnt 0x0
	s_or_b32 exec_lo, exec_lo, s0
	s_mov_b32 s0, exec_lo
	v_cmpx_gt_i32_e64 s28, v1
	s_cbranch_execz .LBB0_46
.LBB0_65:
	s_wait_dscnt 0x0
	v_dual_add_nc_u32 v3, s34, v1 :: v_dual_bitop2_b32 v2, v0, v18 bitop3:0x40
	v_add_nc_u32_e32 v1, 0x100, v1
	s_delay_alu instid0(VALU_DEP_2) | instskip(NEXT) | instid1(VALU_DEP_1)
	v_and_b32_e32 v2, 1, v2
	v_cmp_eq_u32_e32 vcc_lo, 1, v2
	s_and_b32 s1, s15, vcc_lo
	s_delay_alu instid0(SALU_CYCLE_1) | instskip(SKIP_3) | instid1(SALU_CYCLE_1)
	v_cndmask_b32_e64 v2, 0, 1, s1
	global_store_b8 v3, v2, s[30:31]
	s_wait_xcnt 0x0
	s_or_b32 exec_lo, exec_lo, s0
	s_mov_b32 s0, exec_lo
	v_cmpx_gt_i32_e64 s28, v1
	s_cbranch_execz .LBB0_47
.LBB0_66:
	s_wait_dscnt 0x0
	v_and_b32_e32 v2, v0, v17
	v_add_nc_u32_e32 v3, s34, v1
	v_add_nc_u32_e32 v1, 0x100, v1
	s_delay_alu instid0(VALU_DEP_3) | instskip(NEXT) | instid1(VALU_DEP_1)
	v_and_b32_e32 v2, 1, v2
	v_cmp_eq_u32_e32 vcc_lo, 1, v2
	s_and_b32 s1, s14, vcc_lo
	s_delay_alu instid0(SALU_CYCLE_1) | instskip(SKIP_3) | instid1(SALU_CYCLE_1)
	v_cndmask_b32_e64 v2, 0, 1, s1
	global_store_b8 v3, v2, s[30:31]
	s_wait_xcnt 0x0
	s_or_b32 exec_lo, exec_lo, s0
	s_mov_b32 s0, exec_lo
	v_cmpx_gt_i32_e64 s28, v1
	s_cbranch_execz .LBB0_48
.LBB0_67:
	s_wait_dscnt 0x0
	v_dual_add_nc_u32 v3, s34, v1 :: v_dual_bitop2_b32 v2, v0, v20 bitop3:0x40
	v_add_nc_u32_e32 v1, 0x100, v1
	s_delay_alu instid0(VALU_DEP_2) | instskip(NEXT) | instid1(VALU_DEP_1)
	v_and_b32_e32 v2, 1, v2
	v_cmp_eq_u32_e32 vcc_lo, 1, v2
	s_and_b32 s1, s17, vcc_lo
	s_delay_alu instid0(SALU_CYCLE_1) | instskip(SKIP_3) | instid1(SALU_CYCLE_1)
	v_cndmask_b32_e64 v2, 0, 1, s1
	global_store_b8 v3, v2, s[30:31]
	s_wait_xcnt 0x0
	s_or_b32 exec_lo, exec_lo, s0
	s_mov_b32 s0, exec_lo
	v_cmpx_gt_i32_e64 s28, v1
	s_cbranch_execnz .LBB0_49
	s_branch .LBB0_50
	.section	.rodata,"a",@progbits
	.p2align	6, 0x0
	.amdhsa_kernel _ZN2at6native29vectorized_elementwise_kernelILi16EZNS0_12_GLOBAL__N_116addr_kernel_cudaERNS_14TensorIteratorERKN3c106ScalarES8_EUlbbbE_St5arrayIPcLm4EEEEviT0_T1_
		.amdhsa_group_segment_fixed_size 1024
		.amdhsa_private_segment_fixed_size 0
		.amdhsa_kernarg_size 40
		.amdhsa_user_sgpr_count 4
		.amdhsa_user_sgpr_dispatch_ptr 1
		.amdhsa_user_sgpr_queue_ptr 0
		.amdhsa_user_sgpr_kernarg_segment_ptr 1
		.amdhsa_user_sgpr_dispatch_id 0
		.amdhsa_user_sgpr_kernarg_preload_length 0
		.amdhsa_user_sgpr_kernarg_preload_offset 0
		.amdhsa_user_sgpr_private_segment_size 0
		.amdhsa_wavefront_size32 1
		.amdhsa_uses_dynamic_stack 0
		.amdhsa_enable_private_segment 0
		.amdhsa_system_sgpr_workgroup_id_x 1
		.amdhsa_system_sgpr_workgroup_id_y 0
		.amdhsa_system_sgpr_workgroup_id_z 0
		.amdhsa_system_sgpr_workgroup_info 0
		.amdhsa_system_vgpr_workitem_id 2
		.amdhsa_next_free_vgpr 35
		.amdhsa_next_free_sgpr 40
		.amdhsa_named_barrier_count 0
		.amdhsa_reserve_vcc 1
		.amdhsa_float_round_mode_32 0
		.amdhsa_float_round_mode_16_64 0
		.amdhsa_float_denorm_mode_32 3
		.amdhsa_float_denorm_mode_16_64 3
		.amdhsa_fp16_overflow 0
		.amdhsa_memory_ordered 1
		.amdhsa_forward_progress 1
		.amdhsa_inst_pref_size 38
		.amdhsa_round_robin_scheduling 0
		.amdhsa_exception_fp_ieee_invalid_op 0
		.amdhsa_exception_fp_denorm_src 0
		.amdhsa_exception_fp_ieee_div_zero 0
		.amdhsa_exception_fp_ieee_overflow 0
		.amdhsa_exception_fp_ieee_underflow 0
		.amdhsa_exception_fp_ieee_inexact 0
		.amdhsa_exception_int_div_zero 0
	.end_amdhsa_kernel
	.section	.text._ZN2at6native29vectorized_elementwise_kernelILi16EZNS0_12_GLOBAL__N_116addr_kernel_cudaERNS_14TensorIteratorERKN3c106ScalarES8_EUlbbbE_St5arrayIPcLm4EEEEviT0_T1_,"axG",@progbits,_ZN2at6native29vectorized_elementwise_kernelILi16EZNS0_12_GLOBAL__N_116addr_kernel_cudaERNS_14TensorIteratorERKN3c106ScalarES8_EUlbbbE_St5arrayIPcLm4EEEEviT0_T1_,comdat
.Lfunc_end0:
	.size	_ZN2at6native29vectorized_elementwise_kernelILi16EZNS0_12_GLOBAL__N_116addr_kernel_cudaERNS_14TensorIteratorERKN3c106ScalarES8_EUlbbbE_St5arrayIPcLm4EEEEviT0_T1_, .Lfunc_end0-_ZN2at6native29vectorized_elementwise_kernelILi16EZNS0_12_GLOBAL__N_116addr_kernel_cudaERNS_14TensorIteratorERKN3c106ScalarES8_EUlbbbE_St5arrayIPcLm4EEEEviT0_T1_
                                        ; -- End function
	.set _ZN2at6native29vectorized_elementwise_kernelILi16EZNS0_12_GLOBAL__N_116addr_kernel_cudaERNS_14TensorIteratorERKN3c106ScalarES8_EUlbbbE_St5arrayIPcLm4EEEEviT0_T1_.num_vgpr, 35
	.set _ZN2at6native29vectorized_elementwise_kernelILi16EZNS0_12_GLOBAL__N_116addr_kernel_cudaERNS_14TensorIteratorERKN3c106ScalarES8_EUlbbbE_St5arrayIPcLm4EEEEviT0_T1_.num_agpr, 0
	.set _ZN2at6native29vectorized_elementwise_kernelILi16EZNS0_12_GLOBAL__N_116addr_kernel_cudaERNS_14TensorIteratorERKN3c106ScalarES8_EUlbbbE_St5arrayIPcLm4EEEEviT0_T1_.numbered_sgpr, 40
	.set _ZN2at6native29vectorized_elementwise_kernelILi16EZNS0_12_GLOBAL__N_116addr_kernel_cudaERNS_14TensorIteratorERKN3c106ScalarES8_EUlbbbE_St5arrayIPcLm4EEEEviT0_T1_.num_named_barrier, 0
	.set _ZN2at6native29vectorized_elementwise_kernelILi16EZNS0_12_GLOBAL__N_116addr_kernel_cudaERNS_14TensorIteratorERKN3c106ScalarES8_EUlbbbE_St5arrayIPcLm4EEEEviT0_T1_.private_seg_size, 0
	.set _ZN2at6native29vectorized_elementwise_kernelILi16EZNS0_12_GLOBAL__N_116addr_kernel_cudaERNS_14TensorIteratorERKN3c106ScalarES8_EUlbbbE_St5arrayIPcLm4EEEEviT0_T1_.uses_vcc, 1
	.set _ZN2at6native29vectorized_elementwise_kernelILi16EZNS0_12_GLOBAL__N_116addr_kernel_cudaERNS_14TensorIteratorERKN3c106ScalarES8_EUlbbbE_St5arrayIPcLm4EEEEviT0_T1_.uses_flat_scratch, 0
	.set _ZN2at6native29vectorized_elementwise_kernelILi16EZNS0_12_GLOBAL__N_116addr_kernel_cudaERNS_14TensorIteratorERKN3c106ScalarES8_EUlbbbE_St5arrayIPcLm4EEEEviT0_T1_.has_dyn_sized_stack, 0
	.set _ZN2at6native29vectorized_elementwise_kernelILi16EZNS0_12_GLOBAL__N_116addr_kernel_cudaERNS_14TensorIteratorERKN3c106ScalarES8_EUlbbbE_St5arrayIPcLm4EEEEviT0_T1_.has_recursion, 0
	.set _ZN2at6native29vectorized_elementwise_kernelILi16EZNS0_12_GLOBAL__N_116addr_kernel_cudaERNS_14TensorIteratorERKN3c106ScalarES8_EUlbbbE_St5arrayIPcLm4EEEEviT0_T1_.has_indirect_call, 0
	.section	.AMDGPU.csdata,"",@progbits
; Kernel info:
; codeLenInByte = 4844
; TotalNumSgprs: 42
; NumVgprs: 35
; ScratchSize: 0
; MemoryBound: 0
; FloatMode: 240
; IeeeMode: 1
; LDSByteSize: 1024 bytes/workgroup (compile time only)
; SGPRBlocks: 0
; VGPRBlocks: 2
; NumSGPRsForWavesPerEU: 42
; NumVGPRsForWavesPerEU: 35
; NamedBarCnt: 0
; Occupancy: 16
; WaveLimiterHint : 0
; COMPUTE_PGM_RSRC2:SCRATCH_EN: 0
; COMPUTE_PGM_RSRC2:USER_SGPR: 4
; COMPUTE_PGM_RSRC2:TRAP_HANDLER: 0
; COMPUTE_PGM_RSRC2:TGID_X_EN: 1
; COMPUTE_PGM_RSRC2:TGID_Y_EN: 0
; COMPUTE_PGM_RSRC2:TGID_Z_EN: 0
; COMPUTE_PGM_RSRC2:TIDIG_COMP_CNT: 2
	.section	.text._ZN2at6native29vectorized_elementwise_kernelILi8EZNS0_12_GLOBAL__N_116addr_kernel_cudaERNS_14TensorIteratorERKN3c106ScalarES8_EUlbbbE_St5arrayIPcLm4EEEEviT0_T1_,"axG",@progbits,_ZN2at6native29vectorized_elementwise_kernelILi8EZNS0_12_GLOBAL__N_116addr_kernel_cudaERNS_14TensorIteratorERKN3c106ScalarES8_EUlbbbE_St5arrayIPcLm4EEEEviT0_T1_,comdat
	.globl	_ZN2at6native29vectorized_elementwise_kernelILi8EZNS0_12_GLOBAL__N_116addr_kernel_cudaERNS_14TensorIteratorERKN3c106ScalarES8_EUlbbbE_St5arrayIPcLm4EEEEviT0_T1_ ; -- Begin function _ZN2at6native29vectorized_elementwise_kernelILi8EZNS0_12_GLOBAL__N_116addr_kernel_cudaERNS_14TensorIteratorERKN3c106ScalarES8_EUlbbbE_St5arrayIPcLm4EEEEviT0_T1_
	.p2align	8
	.type	_ZN2at6native29vectorized_elementwise_kernelILi8EZNS0_12_GLOBAL__N_116addr_kernel_cudaERNS_14TensorIteratorERKN3c106ScalarES8_EUlbbbE_St5arrayIPcLm4EEEEviT0_T1_,@function
_ZN2at6native29vectorized_elementwise_kernelILi8EZNS0_12_GLOBAL__N_116addr_kernel_cudaERNS_14TensorIteratorERKN3c106ScalarES8_EUlbbbE_St5arrayIPcLm4EEEEviT0_T1_: ; @_ZN2at6native29vectorized_elementwise_kernelILi8EZNS0_12_GLOBAL__N_116addr_kernel_cudaERNS_14TensorIteratorERKN3c106ScalarES8_EUlbbbE_St5arrayIPcLm4EEEEviT0_T1_
; %bb.0:
	s_load_b64 s[4:5], s[0:1], 0x4
	s_load_b128 s[28:31], s[2:3], 0x0
	v_and_b32_e32 v1, 0x3ff, v0
	v_bfe_u32 v3, v0, 10, 10
	v_bfe_u32 v0, v0, 20, 10
	s_load_b128 s[36:39], s[2:3], 0x18
	s_wait_xcnt 0x0
	s_and_b32 s1, ttmp6, 15
	s_getreg_b32 s2, hwreg(HW_REG_IB_STS2, 6, 4)
	s_wait_kmcnt 0x0
	s_lshr_b32 s0, s4, 16
	v_mul_u32_u24_e32 v3, s5, v3
	s_mul_i32 s0, s0, s5
	s_delay_alu instid0(SALU_CYCLE_1) | instskip(SKIP_1) | instid1(SALU_CYCLE_1)
	v_mul_lo_u32 v2, s0, v1
	s_and_b32 s0, s29, 1
	v_mov_b32_e32 v4, s0
	s_bfe_u32 s0, ttmp6, 0x4000c
	s_delay_alu instid0(SALU_CYCLE_1) | instskip(NEXT) | instid1(SALU_CYCLE_1)
	s_add_co_i32 s0, s0, 1
	s_mul_i32 s0, ttmp9, s0
	s_delay_alu instid0(SALU_CYCLE_1) | instskip(NEXT) | instid1(VALU_DEP_2)
	s_add_co_i32 s1, s1, s0
	v_add3_u32 v0, v2, v3, v0
	s_cmp_eq_u32 s2, 0
	s_cselect_b32 s0, ttmp9, s1
	s_delay_alu instid0(SALU_CYCLE_1)
	s_lshl_b32 s34, s0, 12
	ds_store_b8 v0, v4
	ds_load_u8 v2, v0
	s_sub_co_i32 s28, s28, s34
	s_mov_b32 s0, -1
	s_cmp_gt_i32 s28, 0xfff
	s_wait_dscnt 0x0
	v_and_b32_e32 v2, 1, v2
	s_delay_alu instid0(VALU_DEP_1)
	v_cmp_eq_u32_e32 vcc_lo, 1, v2
	ds_store_b8 v0, v2 offset:256
	v_cndmask_b32_e64 v6, 0, 1, vcc_lo
	s_cbranch_scc0 .LBB1_2
; %bb.1:
	s_ashr_i32 s35, s34, 31
	v_or3_b32 v12, 0, 0, 0
	s_add_nc_u64 s[0:1], s[36:37], s[34:35]
	s_clause 0x1
	global_load_b64 v[2:3], v1, s[0:1] scale_offset
	global_load_b64 v[4:5], v1, s[0:1] offset:2048 scale_offset
	s_wait_xcnt 0x0
	s_add_nc_u64 s[0:1], s[38:39], s[34:35]
	s_clause 0x1
	global_load_b64 v[8:9], v1, s[0:1] scale_offset
	global_load_b64 v[10:11], v1, s[0:1] offset:2048 scale_offset
	ds_store_b8 v0, v6 offset:512
	ds_load_u8 v7, v0 offset:512
	s_wait_dscnt 0x0
	v_cmp_ne_u16_e32 vcc_lo, 0, v7
	s_wait_loadcnt 0x3
	v_and_b32_e32 v7, 0xff, v2
	v_and_b32_e32 v13, 0xff00, v2
	;; [unrolled: 1-line block ×3, first 2 shown]
	s_wait_loadcnt 0x1
	v_and_b32_e32 v24, 0xff, v8
	v_and_b32_e32 v25, 0xff00, v8
	;; [unrolled: 1-line block ×3, first 2 shown]
	s_wait_xcnt 0x0
	v_cmp_ne_u32_e64 s0, 0, v7
	v_and_b32_e32 v15, 0xff, v3
	v_cmp_ne_u32_e64 s12, 0, v24
	v_and_b32_e32 v27, 0xff, v9
	v_cmp_ne_u32_e64 s1, 0, v13
	v_cmp_ne_u32_e64 s13, 0, v25
	v_and_b32_e32 v16, 0xff00, v3
	v_and_b32_e32 v28, 0xff00, v9
	v_cmp_ne_u32_e64 s2, 0, v14
	v_cmp_ne_u32_e64 s14, 0, v26
	v_and_b32_e32 v18, 0xff, v4
	s_wait_loadcnt 0x0
	v_and_b32_e32 v30, 0xff, v10
	s_and_b32 s0, s0, s12
	v_cmp_ne_u32_e64 s3, 0, v15
	v_cmp_ne_u32_e64 s15, 0, v27
	v_and_b32_e32 v19, 0xff00, v4
	v_and_b32_e32 v31, 0xff00, v10
	s_and_b32 s1, s1, s13
	s_and_b32 s0, s0, vcc_lo
	v_cmp_ne_u32_e64 s4, 0, v16
	v_cmp_ne_u32_e64 s16, 0, v28
	s_and_b32 s2, s2, s14
	v_cndmask_b32_e64 v7, 0, 1, s0
	s_and_b32 s0, s1, vcc_lo
	v_and_b32_e32 v17, 0xff0000, v3
	v_and_b32_e32 v29, 0xff0000, v9
	v_min_u32_e32 v2, v2, v8
	v_cmp_ne_u32_e64 s6, 0, v18
	v_cmp_ne_u32_e64 s18, 0, v30
	s_and_b32 s3, s3, s15
	v_cndmask_b32_e64 v8, 0, 0x100, s0
	s_and_b32 s0, s2, vcc_lo
	v_and_b32_e32 v20, 0xff0000, v4
	v_and_b32_e32 v32, 0xff0000, v10
	v_min_u32_e32 v3, v3, v9
	v_cmp_ne_u32_e64 s7, 0, v19
	v_cmp_ne_u32_e64 s19, 0, v31
	s_and_b32 s4, s4, s16
	v_cndmask_b32_e64 v9, 0, 0x10000, s0
	s_and_b32 s0, s3, vcc_lo
	v_min_u32_e32 v4, v4, v10
	v_cmp_ne_u32_e64 s5, 0, v17
	v_cmp_ne_u32_e64 s17, 0, v29
	v_cmp_lt_u32_e64 s24, 0xffffff, v2
	s_and_b32 s6, s6, s18
	v_cndmask_b32_e64 v10, 0, 1, s0
	s_and_b32 s0, s4, vcc_lo
	v_and_b32_e32 v21, 0xff, v5
	v_and_b32_e32 v22, 0xff00, v5
	;; [unrolled: 1-line block ×6, first 2 shown]
	v_min_u32_e32 v5, v5, v11
	v_cmp_ne_u32_e64 s8, 0, v20
	v_cmp_ne_u32_e64 s20, 0, v32
	v_cmp_lt_u32_e64 s25, 0xffffff, v3
	s_and_b32 s7, s7, s19
	v_cndmask_b32_e64 v11, 0, 0x100, s0
	s_and_b32 s0, s6, vcc_lo
	v_cmp_lt_u32_e64 s26, 0xffffff, v4
	v_cndmask_b32_e64 v13, 0, 1, s0
	s_and_b32 s0, s7, vcc_lo
	s_and_b32 s12, s24, vcc_lo
	s_and_b32 s5, s5, s17
	v_cndmask_b32_e64 v14, 0, 0x100, s0
	v_cmp_ne_u32_e64 s9, 0, v21
	v_cmp_ne_u32_e64 s21, 0, v33
	v_cndmask_b32_e64 v2, 0, 0x1000000, s12
	s_and_b32 s12, s25, vcc_lo
	s_and_b32 s8, s8, s20
	s_and_b32 s0, s5, vcc_lo
	v_cmp_lt_u32_e64 s27, 0xffffff, v5
	v_cndmask_b32_e64 v3, 0, 0x1000000, s12
	s_and_b32 s12, s26, vcc_lo
	v_cndmask_b32_e64 v15, 0, 0x10000, s0
	s_and_b32 s0, s8, vcc_lo
	v_cmp_ne_u32_e64 s10, 0, v22
	v_cmp_ne_u32_e64 s22, 0, v34
	v_or_b32_e32 v7, v8, v7
	v_cndmask_b32_e64 v4, 0, 0x1000000, s12
	v_cndmask_b32_e64 v16, 0, 0x10000, s0
	v_or_b32_e32 v8, v14, v13
	v_cmp_ne_u32_e64 s11, 0, v23
	v_cmp_ne_u32_e64 s23, 0, v35
	s_and_b32 s9, s9, s21
	s_and_b32 s12, s27, vcc_lo
	s_and_b32 s0, vcc_lo, s9
	s_and_b32 s10, s10, s22
	v_or3_b32 v2, v7, v9, v2
	v_cndmask_b32_e64 v5, 0, 0x1000000, s12
	v_cndmask_b32_e64 v13, 0, 1, s0
	v_or3_b32 v4, v8, v16, v4
	s_and_b32 s11, s11, s23
	s_and_b32 s0, vcc_lo, s10
	v_or3_b32 v8, v12, v10, v11
	v_cndmask_b32_e64 v14, 0, 0x100, s0
	s_and_b32 s0, vcc_lo, s11
	v_or3_b32 v2, v2, 0, 0
	v_cndmask_b32_e64 v7, 0, 0x10000, s0
	v_or3_b32 v5, v12, v5, v13
	v_or3_b32 v4, v4, 0, 0
	;; [unrolled: 1-line block ×4, first 2 shown]
	s_add_nc_u64 s[2:3], s[30:31], s[34:35]
	v_or3_b32 v5, v5, v14, v7
	v_or3_b32 v4, v4, 0, 0
	s_mov_b32 s0, 0
	s_clause 0x1
	global_store_b64 v1, v[2:3], s[2:3] scale_offset
	global_store_b64 v1, v[4:5], s[2:3] offset:2048 scale_offset
.LBB1_2:
	s_and_not1_b32 vcc_lo, exec_lo, s0
	s_cbranch_vccnz .LBB1_50
; %bb.3:
	v_cmp_gt_i32_e32 vcc_lo, s28, v1
	s_wait_xcnt 0x1
	v_dual_mov_b32 v2, 0 :: v_dual_bitop2_b32 v3, s34, v1 bitop3:0x54
	s_wait_xcnt 0x0
	v_dual_mov_b32 v5, 0 :: v_dual_add_nc_u32 v4, 0x100, v1
	v_mov_b32_e32 v7, v1
	s_mov_b32 s2, 0
	s_mov_b32 s3, 0
	ds_store_b8 v0, v6 offset:768
	s_and_saveexec_b32 s4, vcc_lo
	s_cbranch_execz .LBB1_5
; %bb.4:
	s_clause 0x1
	global_load_u8 v5, v3, s[38:39]
	global_load_u8 v6, v3, s[36:37]
	v_add_nc_u32_e32 v7, 0x100, v1
	s_wait_loadcnt 0x1
	v_cmp_ne_u16_e64 s0, 0, v5
	s_wait_loadcnt 0x0
	v_cmp_ne_u16_e64 s1, 0, v6
	s_and_b32 s3, s0, exec_lo
	v_cndmask_b32_e64 v5, 0, 1, s1
.LBB1_5:
	s_wait_xcnt 0x0
	s_or_b32 exec_lo, exec_lo, s4
	s_delay_alu instid0(SALU_CYCLE_1)
	s_mov_b32 s4, exec_lo
	v_cmpx_gt_i32_e64 s28, v7
	s_cbranch_execz .LBB1_7
; %bb.6:
	v_add_nc_u32_e32 v2, s34, v7
	v_add_nc_u32_e32 v7, 0x100, v7
	s_clause 0x1
	global_load_u8 v6, v2, s[38:39]
	global_load_u8 v8, v2, s[36:37]
	s_wait_loadcnt 0x1
	v_cmp_ne_u16_e64 s0, 0, v6
	s_wait_loadcnt 0x0
	v_cmp_ne_u16_e64 s1, 0, v8
	s_and_b32 s2, s0, exec_lo
	s_wait_xcnt 0x0
	v_cndmask_b32_e64 v2, 0, 1, s1
.LBB1_7:
	s_or_b32 exec_lo, exec_lo, s4
	v_dual_mov_b32 v6, 0 :: v_dual_mov_b32 v8, 0
	s_mov_b32 s4, 0
	s_mov_b32 s5, 0
	s_mov_b32 s6, exec_lo
	v_cmpx_gt_i32_e64 s28, v7
	s_cbranch_execz .LBB1_9
; %bb.8:
	v_add_nc_u32_e32 v8, s34, v7
	v_add_nc_u32_e32 v7, 0x100, v7
	s_clause 0x1
	global_load_u8 v9, v8, s[38:39]
	global_load_u8 v10, v8, s[36:37]
	s_wait_loadcnt 0x1
	v_cmp_ne_u16_e64 s0, 0, v9
	s_wait_loadcnt 0x0
	v_cmp_ne_u16_e64 s1, 0, v10
	s_and_b32 s5, s0, exec_lo
	s_wait_xcnt 0x0
	v_cndmask_b32_e64 v8, 0, 1, s1
.LBB1_9:
	s_or_b32 exec_lo, exec_lo, s6
	s_delay_alu instid0(SALU_CYCLE_1)
	s_mov_b32 s6, exec_lo
	v_cmpx_gt_i32_e64 s28, v7
	s_cbranch_execz .LBB1_11
; %bb.10:
	v_add_nc_u32_e32 v6, s34, v7
	v_add_nc_u32_e32 v7, 0x100, v7
	s_clause 0x1
	global_load_u8 v9, v6, s[38:39]
	global_load_u8 v10, v6, s[36:37]
	s_wait_loadcnt 0x1
	v_cmp_ne_u16_e64 s0, 0, v9
	s_wait_loadcnt 0x0
	v_cmp_ne_u16_e64 s1, 0, v10
	s_and_b32 s4, s0, exec_lo
	s_wait_xcnt 0x0
	v_cndmask_b32_e64 v6, 0, 1, s1
.LBB1_11:
	s_or_b32 exec_lo, exec_lo, s6
	v_dual_mov_b32 v9, 0 :: v_dual_mov_b32 v10, 0
	s_mov_b32 s6, 0
	s_mov_b32 s7, 0
	s_mov_b32 s8, exec_lo
	v_cmpx_gt_i32_e64 s28, v7
	s_cbranch_execz .LBB1_13
; %bb.12:
	v_add_nc_u32_e32 v10, s34, v7
	v_add_nc_u32_e32 v7, 0x100, v7
	s_clause 0x1
	global_load_u8 v11, v10, s[38:39]
	global_load_u8 v12, v10, s[36:37]
	s_wait_loadcnt 0x1
	v_cmp_ne_u16_e64 s0, 0, v11
	s_wait_loadcnt 0x0
	v_cmp_ne_u16_e64 s1, 0, v12
	s_and_b32 s7, s0, exec_lo
	s_wait_xcnt 0x0
	v_cndmask_b32_e64 v10, 0, 1, s1
.LBB1_13:
	;; [unrolled: 40-line block ×6, first 2 shown]
	s_or_b32 exec_lo, exec_lo, s16
	s_delay_alu instid0(SALU_CYCLE_1)
	s_mov_b32 s16, exec_lo
	v_cmpx_gt_i32_e64 s28, v7
	s_cbranch_execz .LBB1_31
; %bb.30:
	v_add_nc_u32_e32 v17, s34, v7
	v_add_nc_u32_e32 v7, 0x100, v7
	s_clause 0x1
	global_load_u8 v19, v17, s[38:39]
	global_load_u8 v20, v17, s[36:37]
	s_wait_loadcnt 0x1
	v_cmp_ne_u16_e64 s0, 0, v19
	s_wait_loadcnt 0x0
	v_cmp_ne_u16_e64 s1, 0, v20
	s_and_b32 s14, s0, exec_lo
	s_wait_xcnt 0x0
	v_cndmask_b32_e64 v17, 0, 1, s1
.LBB1_31:
	s_or_b32 exec_lo, exec_lo, s16
	v_dual_mov_b32 v19, 0 :: v_dual_mov_b32 v20, 0
	s_mov_b32 s16, 0
	s_mov_b32 s17, 0
	s_mov_b32 s18, exec_lo
	v_cmpx_gt_i32_e64 s28, v7
	s_cbranch_execnz .LBB1_51
; %bb.32:
	s_or_b32 exec_lo, exec_lo, s18
	s_delay_alu instid0(SALU_CYCLE_1)
	s_mov_b32 s18, exec_lo
	v_cmpx_gt_i32_e64 s28, v7
	s_cbranch_execnz .LBB1_52
.LBB1_33:
	s_or_b32 exec_lo, exec_lo, s18
	ds_load_u8 v0, v0 offset:768
	s_and_saveexec_b32 s0, vcc_lo
	s_cbranch_execnz .LBB1_53
.LBB1_34:
	s_or_b32 exec_lo, exec_lo, s0
	s_delay_alu instid0(SALU_CYCLE_1)
	s_mov_b32 s0, exec_lo
	v_cmpx_gt_i32_e64 s28, v1
	s_cbranch_execnz .LBB1_54
.LBB1_35:
	s_or_b32 exec_lo, exec_lo, s0
	s_delay_alu instid0(SALU_CYCLE_1)
	s_mov_b32 s0, exec_lo
	v_cmpx_gt_i32_e64 s28, v1
	s_cbranch_execnz .LBB1_55
.LBB1_36:
	s_or_b32 exec_lo, exec_lo, s0
	s_delay_alu instid0(SALU_CYCLE_1)
	s_mov_b32 s0, exec_lo
	v_cmpx_gt_i32_e64 s28, v1
	s_cbranch_execnz .LBB1_56
.LBB1_37:
	s_or_b32 exec_lo, exec_lo, s0
	s_delay_alu instid0(SALU_CYCLE_1)
	s_mov_b32 s0, exec_lo
	v_cmpx_gt_i32_e64 s28, v1
	s_cbranch_execnz .LBB1_57
.LBB1_38:
	s_or_b32 exec_lo, exec_lo, s0
	s_delay_alu instid0(SALU_CYCLE_1)
	s_mov_b32 s0, exec_lo
	v_cmpx_gt_i32_e64 s28, v1
	s_cbranch_execnz .LBB1_58
.LBB1_39:
	s_or_b32 exec_lo, exec_lo, s0
	s_delay_alu instid0(SALU_CYCLE_1)
	s_mov_b32 s0, exec_lo
	v_cmpx_gt_i32_e64 s28, v1
	s_cbranch_execnz .LBB1_59
.LBB1_40:
	s_or_b32 exec_lo, exec_lo, s0
	s_delay_alu instid0(SALU_CYCLE_1)
	s_mov_b32 s0, exec_lo
	v_cmpx_gt_i32_e64 s28, v1
	s_cbranch_execnz .LBB1_60
.LBB1_41:
	s_or_b32 exec_lo, exec_lo, s0
	s_delay_alu instid0(SALU_CYCLE_1)
	s_mov_b32 s0, exec_lo
	v_cmpx_gt_i32_e64 s28, v1
	s_cbranch_execnz .LBB1_61
.LBB1_42:
	s_or_b32 exec_lo, exec_lo, s0
	s_delay_alu instid0(SALU_CYCLE_1)
	s_mov_b32 s0, exec_lo
	v_cmpx_gt_i32_e64 s28, v1
	s_cbranch_execnz .LBB1_62
.LBB1_43:
	s_or_b32 exec_lo, exec_lo, s0
	s_delay_alu instid0(SALU_CYCLE_1)
	s_mov_b32 s0, exec_lo
	v_cmpx_gt_i32_e64 s28, v1
	s_cbranch_execnz .LBB1_63
.LBB1_44:
	s_or_b32 exec_lo, exec_lo, s0
	s_delay_alu instid0(SALU_CYCLE_1)
	s_mov_b32 s0, exec_lo
	v_cmpx_gt_i32_e64 s28, v1
	s_cbranch_execnz .LBB1_64
.LBB1_45:
	s_or_b32 exec_lo, exec_lo, s0
	s_delay_alu instid0(SALU_CYCLE_1)
	s_mov_b32 s0, exec_lo
	v_cmpx_gt_i32_e64 s28, v1
	s_cbranch_execnz .LBB1_65
.LBB1_46:
	s_or_b32 exec_lo, exec_lo, s0
	s_delay_alu instid0(SALU_CYCLE_1)
	s_mov_b32 s0, exec_lo
	v_cmpx_gt_i32_e64 s28, v1
	s_cbranch_execnz .LBB1_66
.LBB1_47:
	s_or_b32 exec_lo, exec_lo, s0
	s_delay_alu instid0(SALU_CYCLE_1)
	s_mov_b32 s0, exec_lo
	v_cmpx_gt_i32_e64 s28, v1
	s_cbranch_execnz .LBB1_67
.LBB1_48:
	s_or_b32 exec_lo, exec_lo, s0
	s_delay_alu instid0(SALU_CYCLE_1)
	s_mov_b32 s0, exec_lo
	v_cmpx_gt_i32_e64 s28, v1
	s_cbranch_execz .LBB1_50
.LBB1_49:
	s_wait_dscnt 0x0
	v_dual_add_nc_u32 v1, s34, v1 :: v_dual_bitop2_b32 v0, v0, v19 bitop3:0x40
	s_delay_alu instid0(VALU_DEP_1) | instskip(NEXT) | instid1(VALU_DEP_1)
	v_and_b32_e32 v0, 1, v0
	v_cmp_eq_u32_e32 vcc_lo, 1, v0
	s_and_b32 s0, s16, vcc_lo
	s_delay_alu instid0(SALU_CYCLE_1)
	v_cndmask_b32_e64 v0, 0, 1, s0
	global_store_b8 v1, v0, s[30:31]
.LBB1_50:
	s_endpgm
.LBB1_51:
	v_add_nc_u32_e32 v20, s34, v7
	v_add_nc_u32_e32 v7, 0x100, v7
	s_clause 0x1
	global_load_u8 v21, v20, s[38:39]
	global_load_u8 v22, v20, s[36:37]
	s_wait_loadcnt 0x1
	v_cmp_ne_u16_e64 s0, 0, v21
	s_wait_loadcnt 0x0
	v_cmp_ne_u16_e64 s1, 0, v22
	s_and_b32 s17, s0, exec_lo
	s_wait_xcnt 0x0
	v_cndmask_b32_e64 v20, 0, 1, s1
	s_or_b32 exec_lo, exec_lo, s18
	s_delay_alu instid0(SALU_CYCLE_1)
	s_mov_b32 s18, exec_lo
	v_cmpx_gt_i32_e64 s28, v7
	s_cbranch_execz .LBB1_33
.LBB1_52:
	v_add_nc_u32_e32 v7, s34, v7
	s_clause 0x1
	global_load_u8 v19, v7, s[38:39]
	global_load_u8 v21, v7, s[36:37]
	s_wait_loadcnt 0x1
	v_cmp_ne_u16_e64 s0, 0, v19
	s_wait_loadcnt 0x0
	v_cmp_ne_u16_e64 s1, 0, v21
	s_and_b32 s16, s0, exec_lo
	v_cndmask_b32_e64 v19, 0, 1, s1
	s_wait_xcnt 0x0
	s_or_b32 exec_lo, exec_lo, s18
	ds_load_u8 v0, v0 offset:768
	s_and_saveexec_b32 s0, vcc_lo
	s_cbranch_execz .LBB1_34
.LBB1_53:
	s_wait_dscnt 0x0
	v_and_b32_e32 v1, v0, v5
	s_delay_alu instid0(VALU_DEP_1) | instskip(NEXT) | instid1(VALU_DEP_1)
	v_and_b32_e32 v1, 1, v1
	v_cmp_eq_u32_e32 vcc_lo, 1, v1
	v_mov_b32_e32 v1, v4
	s_and_b32 s1, s3, vcc_lo
	s_delay_alu instid0(SALU_CYCLE_1) | instskip(SKIP_3) | instid1(SALU_CYCLE_1)
	v_cndmask_b32_e64 v5, 0, 1, s1
	global_store_b8 v3, v5, s[30:31]
	s_wait_xcnt 0x0
	s_or_b32 exec_lo, exec_lo, s0
	s_mov_b32 s0, exec_lo
	v_cmpx_gt_i32_e64 s28, v1
	s_cbranch_execz .LBB1_35
.LBB1_54:
	s_wait_dscnt 0x0
	v_dual_add_nc_u32 v3, s34, v1 :: v_dual_bitop2_b32 v2, v0, v2 bitop3:0x40
	v_add_nc_u32_e32 v1, 0x100, v1
	s_delay_alu instid0(VALU_DEP_2) | instskip(NEXT) | instid1(VALU_DEP_1)
	v_and_b32_e32 v2, 1, v2
	v_cmp_eq_u32_e32 vcc_lo, 1, v2
	s_and_b32 s1, s2, vcc_lo
	s_delay_alu instid0(SALU_CYCLE_1) | instskip(SKIP_3) | instid1(SALU_CYCLE_1)
	v_cndmask_b32_e64 v2, 0, 1, s1
	global_store_b8 v3, v2, s[30:31]
	s_wait_xcnt 0x0
	s_or_b32 exec_lo, exec_lo, s0
	s_mov_b32 s0, exec_lo
	v_cmpx_gt_i32_e64 s28, v1
	s_cbranch_execz .LBB1_36
.LBB1_55:
	s_wait_dscnt 0x0
	v_dual_add_nc_u32 v3, s34, v1 :: v_dual_bitop2_b32 v2, v0, v8 bitop3:0x40
	v_add_nc_u32_e32 v1, 0x100, v1
	s_delay_alu instid0(VALU_DEP_2) | instskip(NEXT) | instid1(VALU_DEP_1)
	v_and_b32_e32 v2, 1, v2
	v_cmp_eq_u32_e32 vcc_lo, 1, v2
	s_and_b32 s1, s5, vcc_lo
	s_delay_alu instid0(SALU_CYCLE_1) | instskip(SKIP_3) | instid1(SALU_CYCLE_1)
	v_cndmask_b32_e64 v2, 0, 1, s1
	global_store_b8 v3, v2, s[30:31]
	s_wait_xcnt 0x0
	s_or_b32 exec_lo, exec_lo, s0
	s_mov_b32 s0, exec_lo
	v_cmpx_gt_i32_e64 s28, v1
	s_cbranch_execz .LBB1_37
.LBB1_56:
	s_wait_dscnt 0x0
	v_dual_add_nc_u32 v3, s34, v1 :: v_dual_bitop2_b32 v2, v0, v6 bitop3:0x40
	v_add_nc_u32_e32 v1, 0x100, v1
	s_delay_alu instid0(VALU_DEP_2) | instskip(NEXT) | instid1(VALU_DEP_1)
	v_and_b32_e32 v2, 1, v2
	v_cmp_eq_u32_e32 vcc_lo, 1, v2
	s_and_b32 s1, s4, vcc_lo
	s_delay_alu instid0(SALU_CYCLE_1) | instskip(SKIP_3) | instid1(SALU_CYCLE_1)
	v_cndmask_b32_e64 v2, 0, 1, s1
	global_store_b8 v3, v2, s[30:31]
	s_wait_xcnt 0x0
	s_or_b32 exec_lo, exec_lo, s0
	s_mov_b32 s0, exec_lo
	v_cmpx_gt_i32_e64 s28, v1
	s_cbranch_execz .LBB1_38
.LBB1_57:
	s_wait_dscnt 0x0
	v_dual_add_nc_u32 v3, s34, v1 :: v_dual_bitop2_b32 v2, v0, v10 bitop3:0x40
	v_add_nc_u32_e32 v1, 0x100, v1
	s_delay_alu instid0(VALU_DEP_2) | instskip(NEXT) | instid1(VALU_DEP_1)
	v_and_b32_e32 v2, 1, v2
	v_cmp_eq_u32_e32 vcc_lo, 1, v2
	s_and_b32 s1, s7, vcc_lo
	s_delay_alu instid0(SALU_CYCLE_1) | instskip(SKIP_3) | instid1(SALU_CYCLE_1)
	v_cndmask_b32_e64 v2, 0, 1, s1
	global_store_b8 v3, v2, s[30:31]
	s_wait_xcnt 0x0
	s_or_b32 exec_lo, exec_lo, s0
	s_mov_b32 s0, exec_lo
	v_cmpx_gt_i32_e64 s28, v1
	s_cbranch_execz .LBB1_39
.LBB1_58:
	s_wait_dscnt 0x0
	v_and_b32_e32 v2, v0, v9
	v_add_nc_u32_e32 v3, s34, v1
	v_add_nc_u32_e32 v1, 0x100, v1
	s_delay_alu instid0(VALU_DEP_3) | instskip(NEXT) | instid1(VALU_DEP_1)
	v_and_b32_e32 v2, 1, v2
	v_cmp_eq_u32_e32 vcc_lo, 1, v2
	s_and_b32 s1, s6, vcc_lo
	s_delay_alu instid0(SALU_CYCLE_1) | instskip(SKIP_3) | instid1(SALU_CYCLE_1)
	v_cndmask_b32_e64 v2, 0, 1, s1
	global_store_b8 v3, v2, s[30:31]
	s_wait_xcnt 0x0
	s_or_b32 exec_lo, exec_lo, s0
	s_mov_b32 s0, exec_lo
	v_cmpx_gt_i32_e64 s28, v1
	s_cbranch_execz .LBB1_40
.LBB1_59:
	s_wait_dscnt 0x0
	v_dual_add_nc_u32 v3, s34, v1 :: v_dual_bitop2_b32 v2, v0, v12 bitop3:0x40
	v_add_nc_u32_e32 v1, 0x100, v1
	s_delay_alu instid0(VALU_DEP_2) | instskip(NEXT) | instid1(VALU_DEP_1)
	v_and_b32_e32 v2, 1, v2
	v_cmp_eq_u32_e32 vcc_lo, 1, v2
	s_and_b32 s1, s9, vcc_lo
	s_delay_alu instid0(SALU_CYCLE_1) | instskip(SKIP_3) | instid1(SALU_CYCLE_1)
	v_cndmask_b32_e64 v2, 0, 1, s1
	global_store_b8 v3, v2, s[30:31]
	s_wait_xcnt 0x0
	s_or_b32 exec_lo, exec_lo, s0
	s_mov_b32 s0, exec_lo
	v_cmpx_gt_i32_e64 s28, v1
	s_cbranch_execz .LBB1_41
.LBB1_60:
	s_wait_dscnt 0x0
	v_dual_add_nc_u32 v3, s34, v1 :: v_dual_bitop2_b32 v2, v0, v11 bitop3:0x40
	v_add_nc_u32_e32 v1, 0x100, v1
	s_delay_alu instid0(VALU_DEP_2) | instskip(NEXT) | instid1(VALU_DEP_1)
	v_and_b32_e32 v2, 1, v2
	v_cmp_eq_u32_e32 vcc_lo, 1, v2
	s_and_b32 s1, s8, vcc_lo
	s_delay_alu instid0(SALU_CYCLE_1) | instskip(SKIP_3) | instid1(SALU_CYCLE_1)
	v_cndmask_b32_e64 v2, 0, 1, s1
	global_store_b8 v3, v2, s[30:31]
	s_wait_xcnt 0x0
	s_or_b32 exec_lo, exec_lo, s0
	s_mov_b32 s0, exec_lo
	v_cmpx_gt_i32_e64 s28, v1
	s_cbranch_execz .LBB1_42
.LBB1_61:
	s_wait_dscnt 0x0
	v_dual_add_nc_u32 v3, s34, v1 :: v_dual_bitop2_b32 v2, v0, v14 bitop3:0x40
	v_add_nc_u32_e32 v1, 0x100, v1
	s_delay_alu instid0(VALU_DEP_2) | instskip(NEXT) | instid1(VALU_DEP_1)
	v_and_b32_e32 v2, 1, v2
	v_cmp_eq_u32_e32 vcc_lo, 1, v2
	s_and_b32 s1, s11, vcc_lo
	s_delay_alu instid0(SALU_CYCLE_1) | instskip(SKIP_3) | instid1(SALU_CYCLE_1)
	v_cndmask_b32_e64 v2, 0, 1, s1
	global_store_b8 v3, v2, s[30:31]
	s_wait_xcnt 0x0
	s_or_b32 exec_lo, exec_lo, s0
	s_mov_b32 s0, exec_lo
	v_cmpx_gt_i32_e64 s28, v1
	s_cbranch_execz .LBB1_43
.LBB1_62:
	s_wait_dscnt 0x0
	v_and_b32_e32 v2, v0, v13
	v_add_nc_u32_e32 v3, s34, v1
	v_add_nc_u32_e32 v1, 0x100, v1
	s_delay_alu instid0(VALU_DEP_3) | instskip(NEXT) | instid1(VALU_DEP_1)
	v_and_b32_e32 v2, 1, v2
	v_cmp_eq_u32_e32 vcc_lo, 1, v2
	s_and_b32 s1, s10, vcc_lo
	s_delay_alu instid0(SALU_CYCLE_1) | instskip(SKIP_3) | instid1(SALU_CYCLE_1)
	v_cndmask_b32_e64 v2, 0, 1, s1
	global_store_b8 v3, v2, s[30:31]
	s_wait_xcnt 0x0
	s_or_b32 exec_lo, exec_lo, s0
	s_mov_b32 s0, exec_lo
	v_cmpx_gt_i32_e64 s28, v1
	s_cbranch_execz .LBB1_44
.LBB1_63:
	s_wait_dscnt 0x0
	v_dual_add_nc_u32 v3, s34, v1 :: v_dual_bitop2_b32 v2, v0, v16 bitop3:0x40
	v_add_nc_u32_e32 v1, 0x100, v1
	s_delay_alu instid0(VALU_DEP_2) | instskip(NEXT) | instid1(VALU_DEP_1)
	v_and_b32_e32 v2, 1, v2
	v_cmp_eq_u32_e32 vcc_lo, 1, v2
	s_and_b32 s1, s13, vcc_lo
	s_delay_alu instid0(SALU_CYCLE_1) | instskip(SKIP_3) | instid1(SALU_CYCLE_1)
	v_cndmask_b32_e64 v2, 0, 1, s1
	global_store_b8 v3, v2, s[30:31]
	s_wait_xcnt 0x0
	s_or_b32 exec_lo, exec_lo, s0
	s_mov_b32 s0, exec_lo
	v_cmpx_gt_i32_e64 s28, v1
	s_cbranch_execz .LBB1_45
.LBB1_64:
	s_wait_dscnt 0x0
	v_dual_add_nc_u32 v3, s34, v1 :: v_dual_bitop2_b32 v2, v0, v15 bitop3:0x40
	v_add_nc_u32_e32 v1, 0x100, v1
	s_delay_alu instid0(VALU_DEP_2) | instskip(NEXT) | instid1(VALU_DEP_1)
	v_and_b32_e32 v2, 1, v2
	v_cmp_eq_u32_e32 vcc_lo, 1, v2
	s_and_b32 s1, s12, vcc_lo
	s_delay_alu instid0(SALU_CYCLE_1) | instskip(SKIP_3) | instid1(SALU_CYCLE_1)
	v_cndmask_b32_e64 v2, 0, 1, s1
	global_store_b8 v3, v2, s[30:31]
	s_wait_xcnt 0x0
	s_or_b32 exec_lo, exec_lo, s0
	s_mov_b32 s0, exec_lo
	v_cmpx_gt_i32_e64 s28, v1
	s_cbranch_execz .LBB1_46
.LBB1_65:
	s_wait_dscnt 0x0
	v_dual_add_nc_u32 v3, s34, v1 :: v_dual_bitop2_b32 v2, v0, v18 bitop3:0x40
	v_add_nc_u32_e32 v1, 0x100, v1
	s_delay_alu instid0(VALU_DEP_2) | instskip(NEXT) | instid1(VALU_DEP_1)
	v_and_b32_e32 v2, 1, v2
	v_cmp_eq_u32_e32 vcc_lo, 1, v2
	s_and_b32 s1, s15, vcc_lo
	s_delay_alu instid0(SALU_CYCLE_1) | instskip(SKIP_3) | instid1(SALU_CYCLE_1)
	v_cndmask_b32_e64 v2, 0, 1, s1
	global_store_b8 v3, v2, s[30:31]
	s_wait_xcnt 0x0
	s_or_b32 exec_lo, exec_lo, s0
	s_mov_b32 s0, exec_lo
	v_cmpx_gt_i32_e64 s28, v1
	s_cbranch_execz .LBB1_47
.LBB1_66:
	s_wait_dscnt 0x0
	v_and_b32_e32 v2, v0, v17
	v_add_nc_u32_e32 v3, s34, v1
	v_add_nc_u32_e32 v1, 0x100, v1
	s_delay_alu instid0(VALU_DEP_3) | instskip(NEXT) | instid1(VALU_DEP_1)
	v_and_b32_e32 v2, 1, v2
	v_cmp_eq_u32_e32 vcc_lo, 1, v2
	s_and_b32 s1, s14, vcc_lo
	s_delay_alu instid0(SALU_CYCLE_1) | instskip(SKIP_3) | instid1(SALU_CYCLE_1)
	v_cndmask_b32_e64 v2, 0, 1, s1
	global_store_b8 v3, v2, s[30:31]
	s_wait_xcnt 0x0
	s_or_b32 exec_lo, exec_lo, s0
	s_mov_b32 s0, exec_lo
	v_cmpx_gt_i32_e64 s28, v1
	s_cbranch_execz .LBB1_48
.LBB1_67:
	s_wait_dscnt 0x0
	v_dual_add_nc_u32 v3, s34, v1 :: v_dual_bitop2_b32 v2, v0, v20 bitop3:0x40
	v_add_nc_u32_e32 v1, 0x100, v1
	s_delay_alu instid0(VALU_DEP_2) | instskip(NEXT) | instid1(VALU_DEP_1)
	v_and_b32_e32 v2, 1, v2
	v_cmp_eq_u32_e32 vcc_lo, 1, v2
	s_and_b32 s1, s17, vcc_lo
	s_delay_alu instid0(SALU_CYCLE_1) | instskip(SKIP_3) | instid1(SALU_CYCLE_1)
	v_cndmask_b32_e64 v2, 0, 1, s1
	global_store_b8 v3, v2, s[30:31]
	s_wait_xcnt 0x0
	s_or_b32 exec_lo, exec_lo, s0
	s_mov_b32 s0, exec_lo
	v_cmpx_gt_i32_e64 s28, v1
	s_cbranch_execnz .LBB1_49
	s_branch .LBB1_50
	.section	.rodata,"a",@progbits
	.p2align	6, 0x0
	.amdhsa_kernel _ZN2at6native29vectorized_elementwise_kernelILi8EZNS0_12_GLOBAL__N_116addr_kernel_cudaERNS_14TensorIteratorERKN3c106ScalarES8_EUlbbbE_St5arrayIPcLm4EEEEviT0_T1_
		.amdhsa_group_segment_fixed_size 1024
		.amdhsa_private_segment_fixed_size 0
		.amdhsa_kernarg_size 40
		.amdhsa_user_sgpr_count 4
		.amdhsa_user_sgpr_dispatch_ptr 1
		.amdhsa_user_sgpr_queue_ptr 0
		.amdhsa_user_sgpr_kernarg_segment_ptr 1
		.amdhsa_user_sgpr_dispatch_id 0
		.amdhsa_user_sgpr_kernarg_preload_length 0
		.amdhsa_user_sgpr_kernarg_preload_offset 0
		.amdhsa_user_sgpr_private_segment_size 0
		.amdhsa_wavefront_size32 1
		.amdhsa_uses_dynamic_stack 0
		.amdhsa_enable_private_segment 0
		.amdhsa_system_sgpr_workgroup_id_x 1
		.amdhsa_system_sgpr_workgroup_id_y 0
		.amdhsa_system_sgpr_workgroup_id_z 0
		.amdhsa_system_sgpr_workgroup_info 0
		.amdhsa_system_vgpr_workitem_id 2
		.amdhsa_next_free_vgpr 36
		.amdhsa_next_free_sgpr 40
		.amdhsa_named_barrier_count 0
		.amdhsa_reserve_vcc 1
		.amdhsa_float_round_mode_32 0
		.amdhsa_float_round_mode_16_64 0
		.amdhsa_float_denorm_mode_32 3
		.amdhsa_float_denorm_mode_16_64 3
		.amdhsa_fp16_overflow 0
		.amdhsa_memory_ordered 1
		.amdhsa_forward_progress 1
		.amdhsa_inst_pref_size 38
		.amdhsa_round_robin_scheduling 0
		.amdhsa_exception_fp_ieee_invalid_op 0
		.amdhsa_exception_fp_denorm_src 0
		.amdhsa_exception_fp_ieee_div_zero 0
		.amdhsa_exception_fp_ieee_overflow 0
		.amdhsa_exception_fp_ieee_underflow 0
		.amdhsa_exception_fp_ieee_inexact 0
		.amdhsa_exception_int_div_zero 0
	.end_amdhsa_kernel
	.section	.text._ZN2at6native29vectorized_elementwise_kernelILi8EZNS0_12_GLOBAL__N_116addr_kernel_cudaERNS_14TensorIteratorERKN3c106ScalarES8_EUlbbbE_St5arrayIPcLm4EEEEviT0_T1_,"axG",@progbits,_ZN2at6native29vectorized_elementwise_kernelILi8EZNS0_12_GLOBAL__N_116addr_kernel_cudaERNS_14TensorIteratorERKN3c106ScalarES8_EUlbbbE_St5arrayIPcLm4EEEEviT0_T1_,comdat
.Lfunc_end1:
	.size	_ZN2at6native29vectorized_elementwise_kernelILi8EZNS0_12_GLOBAL__N_116addr_kernel_cudaERNS_14TensorIteratorERKN3c106ScalarES8_EUlbbbE_St5arrayIPcLm4EEEEviT0_T1_, .Lfunc_end1-_ZN2at6native29vectorized_elementwise_kernelILi8EZNS0_12_GLOBAL__N_116addr_kernel_cudaERNS_14TensorIteratorERKN3c106ScalarES8_EUlbbbE_St5arrayIPcLm4EEEEviT0_T1_
                                        ; -- End function
	.set _ZN2at6native29vectorized_elementwise_kernelILi8EZNS0_12_GLOBAL__N_116addr_kernel_cudaERNS_14TensorIteratorERKN3c106ScalarES8_EUlbbbE_St5arrayIPcLm4EEEEviT0_T1_.num_vgpr, 36
	.set _ZN2at6native29vectorized_elementwise_kernelILi8EZNS0_12_GLOBAL__N_116addr_kernel_cudaERNS_14TensorIteratorERKN3c106ScalarES8_EUlbbbE_St5arrayIPcLm4EEEEviT0_T1_.num_agpr, 0
	.set _ZN2at6native29vectorized_elementwise_kernelILi8EZNS0_12_GLOBAL__N_116addr_kernel_cudaERNS_14TensorIteratorERKN3c106ScalarES8_EUlbbbE_St5arrayIPcLm4EEEEviT0_T1_.numbered_sgpr, 40
	.set _ZN2at6native29vectorized_elementwise_kernelILi8EZNS0_12_GLOBAL__N_116addr_kernel_cudaERNS_14TensorIteratorERKN3c106ScalarES8_EUlbbbE_St5arrayIPcLm4EEEEviT0_T1_.num_named_barrier, 0
	.set _ZN2at6native29vectorized_elementwise_kernelILi8EZNS0_12_GLOBAL__N_116addr_kernel_cudaERNS_14TensorIteratorERKN3c106ScalarES8_EUlbbbE_St5arrayIPcLm4EEEEviT0_T1_.private_seg_size, 0
	.set _ZN2at6native29vectorized_elementwise_kernelILi8EZNS0_12_GLOBAL__N_116addr_kernel_cudaERNS_14TensorIteratorERKN3c106ScalarES8_EUlbbbE_St5arrayIPcLm4EEEEviT0_T1_.uses_vcc, 1
	.set _ZN2at6native29vectorized_elementwise_kernelILi8EZNS0_12_GLOBAL__N_116addr_kernel_cudaERNS_14TensorIteratorERKN3c106ScalarES8_EUlbbbE_St5arrayIPcLm4EEEEviT0_T1_.uses_flat_scratch, 0
	.set _ZN2at6native29vectorized_elementwise_kernelILi8EZNS0_12_GLOBAL__N_116addr_kernel_cudaERNS_14TensorIteratorERKN3c106ScalarES8_EUlbbbE_St5arrayIPcLm4EEEEviT0_T1_.has_dyn_sized_stack, 0
	.set _ZN2at6native29vectorized_elementwise_kernelILi8EZNS0_12_GLOBAL__N_116addr_kernel_cudaERNS_14TensorIteratorERKN3c106ScalarES8_EUlbbbE_St5arrayIPcLm4EEEEviT0_T1_.has_recursion, 0
	.set _ZN2at6native29vectorized_elementwise_kernelILi8EZNS0_12_GLOBAL__N_116addr_kernel_cudaERNS_14TensorIteratorERKN3c106ScalarES8_EUlbbbE_St5arrayIPcLm4EEEEviT0_T1_.has_indirect_call, 0
	.section	.AMDGPU.csdata,"",@progbits
; Kernel info:
; codeLenInByte = 4768
; TotalNumSgprs: 42
; NumVgprs: 36
; ScratchSize: 0
; MemoryBound: 0
; FloatMode: 240
; IeeeMode: 1
; LDSByteSize: 1024 bytes/workgroup (compile time only)
; SGPRBlocks: 0
; VGPRBlocks: 2
; NumSGPRsForWavesPerEU: 42
; NumVGPRsForWavesPerEU: 36
; NamedBarCnt: 0
; Occupancy: 16
; WaveLimiterHint : 1
; COMPUTE_PGM_RSRC2:SCRATCH_EN: 0
; COMPUTE_PGM_RSRC2:USER_SGPR: 4
; COMPUTE_PGM_RSRC2:TRAP_HANDLER: 0
; COMPUTE_PGM_RSRC2:TGID_X_EN: 1
; COMPUTE_PGM_RSRC2:TGID_Y_EN: 0
; COMPUTE_PGM_RSRC2:TGID_Z_EN: 0
; COMPUTE_PGM_RSRC2:TIDIG_COMP_CNT: 2
	.section	.text._ZN2at6native29vectorized_elementwise_kernelILi4EZNS0_12_GLOBAL__N_116addr_kernel_cudaERNS_14TensorIteratorERKN3c106ScalarES8_EUlbbbE_St5arrayIPcLm4EEEEviT0_T1_,"axG",@progbits,_ZN2at6native29vectorized_elementwise_kernelILi4EZNS0_12_GLOBAL__N_116addr_kernel_cudaERNS_14TensorIteratorERKN3c106ScalarES8_EUlbbbE_St5arrayIPcLm4EEEEviT0_T1_,comdat
	.globl	_ZN2at6native29vectorized_elementwise_kernelILi4EZNS0_12_GLOBAL__N_116addr_kernel_cudaERNS_14TensorIteratorERKN3c106ScalarES8_EUlbbbE_St5arrayIPcLm4EEEEviT0_T1_ ; -- Begin function _ZN2at6native29vectorized_elementwise_kernelILi4EZNS0_12_GLOBAL__N_116addr_kernel_cudaERNS_14TensorIteratorERKN3c106ScalarES8_EUlbbbE_St5arrayIPcLm4EEEEviT0_T1_
	.p2align	8
	.type	_ZN2at6native29vectorized_elementwise_kernelILi4EZNS0_12_GLOBAL__N_116addr_kernel_cudaERNS_14TensorIteratorERKN3c106ScalarES8_EUlbbbE_St5arrayIPcLm4EEEEviT0_T1_,@function
_ZN2at6native29vectorized_elementwise_kernelILi4EZNS0_12_GLOBAL__N_116addr_kernel_cudaERNS_14TensorIteratorERKN3c106ScalarES8_EUlbbbE_St5arrayIPcLm4EEEEviT0_T1_: ; @_ZN2at6native29vectorized_elementwise_kernelILi4EZNS0_12_GLOBAL__N_116addr_kernel_cudaERNS_14TensorIteratorERKN3c106ScalarES8_EUlbbbE_St5arrayIPcLm4EEEEviT0_T1_
; %bb.0:
	s_load_b64 s[4:5], s[0:1], 0x4
	s_load_b128 s[28:31], s[2:3], 0x0
	v_and_b32_e32 v1, 0x3ff, v0
	v_bfe_u32 v3, v0, 10, 10
	v_bfe_u32 v0, v0, 20, 10
	s_load_b128 s[36:39], s[2:3], 0x18
	s_wait_xcnt 0x0
	s_and_b32 s1, ttmp6, 15
	s_getreg_b32 s2, hwreg(HW_REG_IB_STS2, 6, 4)
	s_wait_kmcnt 0x0
	s_lshr_b32 s0, s4, 16
	v_mul_u32_u24_e32 v3, s5, v3
	s_mul_i32 s0, s0, s5
	s_delay_alu instid0(SALU_CYCLE_1) | instskip(SKIP_1) | instid1(SALU_CYCLE_1)
	v_mul_lo_u32 v2, s0, v1
	s_and_b32 s0, s29, 1
	v_mov_b32_e32 v4, s0
	s_bfe_u32 s0, ttmp6, 0x4000c
	s_delay_alu instid0(SALU_CYCLE_1) | instskip(NEXT) | instid1(SALU_CYCLE_1)
	s_add_co_i32 s0, s0, 1
	s_mul_i32 s0, ttmp9, s0
	s_delay_alu instid0(SALU_CYCLE_1) | instskip(NEXT) | instid1(VALU_DEP_2)
	s_add_co_i32 s1, s1, s0
	v_add3_u32 v0, v2, v3, v0
	s_cmp_eq_u32 s2, 0
	s_cselect_b32 s0, ttmp9, s1
	s_delay_alu instid0(SALU_CYCLE_1)
	s_lshl_b32 s34, s0, 12
	ds_store_b8 v0, v4
	ds_load_u8 v2, v0
	s_sub_co_i32 s28, s28, s34
	s_mov_b32 s0, -1
	s_cmp_gt_i32 s28, 0xfff
	s_wait_dscnt 0x0
	v_and_b32_e32 v2, 1, v2
	s_delay_alu instid0(VALU_DEP_1)
	v_cmp_eq_u32_e32 vcc_lo, 1, v2
	ds_store_b8 v0, v2 offset:256
	v_cndmask_b32_e64 v6, 0, 1, vcc_lo
	s_cbranch_scc0 .LBB2_2
; %bb.1:
	s_ashr_i32 s35, s34, 31
	s_delay_alu instid0(SALU_CYCLE_1)
	s_add_nc_u64 s[0:1], s[36:37], s[34:35]
	s_clause 0x3
	global_load_b32 v2, v1, s[0:1] scale_offset
	global_load_b32 v3, v1, s[0:1] offset:1024 scale_offset
	global_load_b32 v4, v1, s[0:1] offset:2048 scale_offset
	;; [unrolled: 1-line block ×3, first 2 shown]
	s_wait_xcnt 0x0
	s_add_nc_u64 s[0:1], s[38:39], s[34:35]
	s_clause 0x3
	global_load_b32 v7, v1, s[0:1] scale_offset
	global_load_b32 v8, v1, s[0:1] offset:1024 scale_offset
	global_load_b32 v9, v1, s[0:1] offset:2048 scale_offset
	;; [unrolled: 1-line block ×3, first 2 shown]
	ds_store_b8 v0, v6 offset:512
	ds_load_u8 v11, v0 offset:512
	s_wait_dscnt 0x0
	v_cmp_ne_u16_e32 vcc_lo, 0, v11
	s_wait_loadcnt 0x7
	v_and_b32_e32 v11, 0xff, v2
	v_and_b32_e32 v12, 0xff00, v2
	v_and_b32_e32 v13, 0xff0000, v2
	s_wait_loadcnt 0x3
	v_and_b32_e32 v23, 0xff, v7
	v_and_b32_e32 v24, 0xff00, v7
	;; [unrolled: 1-line block ×3, first 2 shown]
	s_wait_xcnt 0x0
	v_cmp_ne_u32_e64 s0, 0, v11
	v_and_b32_e32 v14, 0xff, v3
	v_cmp_ne_u32_e64 s12, 0, v23
	s_wait_loadcnt 0x2
	v_and_b32_e32 v26, 0xff, v8
	v_cmp_ne_u32_e64 s1, 0, v12
	v_cmp_ne_u32_e64 s13, 0, v24
	v_and_b32_e32 v15, 0xff00, v3
	v_and_b32_e32 v27, 0xff00, v8
	v_cmp_ne_u32_e64 s2, 0, v13
	v_cmp_ne_u32_e64 s14, 0, v25
	v_and_b32_e32 v16, 0xff0000, v3
	v_and_b32_e32 v28, 0xff0000, v8
	s_and_b32 s0, s0, s12
	v_cmp_ne_u32_e64 s3, 0, v14
	v_cmp_ne_u32_e64 s15, 0, v26
	v_and_b32_e32 v17, 0xff, v4
	s_wait_loadcnt 0x1
	v_and_b32_e32 v29, 0xff, v9
	s_and_b32 s1, s1, s13
	s_and_b32 s0, s0, vcc_lo
	v_cmp_ne_u32_e64 s4, 0, v15
	v_cmp_ne_u32_e64 s16, 0, v27
	v_and_b32_e32 v18, 0xff00, v4
	v_and_b32_e32 v30, 0xff00, v9
	v_min_u32_e32 v2, v2, v7
	s_and_b32 s2, s2, s14
	v_cndmask_b32_e64 v7, 0, 1, s0
	s_and_b32 s0, s1, vcc_lo
	v_cmp_ne_u32_e64 s5, 0, v16
	v_cmp_ne_u32_e64 s17, 0, v28
	v_and_b32_e32 v19, 0xff0000, v4
	v_and_b32_e32 v31, 0xff0000, v9
	v_min_u32_e32 v3, v3, v8
	s_and_b32 s3, s3, s15
	v_cndmask_b32_e64 v8, 0, 0x100, s0
	s_and_b32 s0, s2, vcc_lo
	v_cmp_ne_u32_e64 s6, 0, v17
	v_cmp_ne_u32_e64 s18, 0, v29
	v_and_b32_e32 v20, 0xff, v5
	s_wait_loadcnt 0x0
	v_and_b32_e32 v32, 0xff, v10
	v_min_u32_e32 v4, v4, v9
	s_and_b32 s4, s4, s16
	v_cndmask_b32_e64 v9, 0, 0x10000, s0
	s_and_b32 s0, s3, vcc_lo
	v_cmp_ne_u32_e64 s7, 0, v18
	v_cmp_ne_u32_e64 s19, 0, v30
	v_cmp_lt_u32_e64 s24, 0xffffff, v2
	v_and_b32_e32 v21, 0xff00, v5
	v_and_b32_e32 v22, 0xff0000, v5
	;; [unrolled: 1-line block ×4, first 2 shown]
	v_min_u32_e32 v5, v5, v10
	s_and_b32 s5, s5, s17
	v_cndmask_b32_e64 v10, 0, 1, s0
	s_and_b32 s0, s4, vcc_lo
	v_cmp_ne_u32_e64 s8, 0, v19
	v_cmp_ne_u32_e64 s20, 0, v31
	v_cmp_lt_u32_e64 s25, 0xffffff, v3
	s_and_b32 s6, s6, s18
	v_cndmask_b32_e64 v11, 0, 0x100, s0
	s_and_b32 s0, s5, vcc_lo
	v_cmp_ne_u32_e64 s9, 0, v20
	v_cmp_ne_u32_e64 s21, 0, v32
	v_cmp_lt_u32_e64 s26, 0xffffff, v4
	s_and_b32 s12, s24, vcc_lo
	s_and_b32 s7, s7, s19
	v_cndmask_b32_e64 v12, 0, 0x10000, s0
	s_and_b32 s0, s6, vcc_lo
	v_cmp_lt_u32_e64 s27, 0xffffff, v5
	v_cmp_ne_u32_e64 s10, 0, v21
	v_cmp_ne_u32_e64 s22, 0, v33
	v_cndmask_b32_e64 v2, 0, 0x1000000, s12
	s_and_b32 s12, s25, vcc_lo
	s_and_b32 s8, s8, s20
	v_cndmask_b32_e64 v13, 0, 1, s0
	s_and_b32 s0, s7, vcc_lo
	v_cmp_ne_u32_e64 s11, 0, v22
	v_cmp_ne_u32_e64 s23, 0, v34
	v_cndmask_b32_e64 v3, 0, 0x1000000, s12
	s_and_b32 s12, s26, vcc_lo
	s_and_b32 s9, s9, s21
	v_cndmask_b32_e64 v14, 0, 0x100, s0
	s_and_b32 s0, s8, vcc_lo
	v_cndmask_b32_e64 v4, 0, 0x1000000, s12
	s_and_b32 s12, s27, vcc_lo
	v_cndmask_b32_e64 v15, 0, 0x10000, s0
	s_and_b32 s0, vcc_lo, s9
	s_and_b32 s10, s10, s22
	v_cndmask_b32_e64 v5, 0, 0x1000000, s12
	v_cndmask_b32_e64 v16, 0, 1, s0
	s_and_b32 s11, s11, s23
	s_and_b32 s0, vcc_lo, s10
	v_or_b32_e32 v7, v8, v7
	v_cndmask_b32_e64 v17, 0, 0x100, s0
	s_and_b32 s0, vcc_lo, s11
	v_or_b32_e32 v8, v11, v10
	v_or_b32_e32 v10, v14, v13
	v_cndmask_b32_e64 v18, 0, 0x10000, s0
	v_or_b32_e32 v5, v5, v16
	v_or3_b32 v2, v7, v9, v2
	v_or3_b32 v3, v8, v12, v3
	v_or3_b32 v4, v10, v15, v4
	s_add_nc_u64 s[2:3], s[30:31], s[34:35]
	v_or3_b32 v5, v5, v17, v18
	s_mov_b32 s0, 0
	s_clause 0x3
	global_store_b32 v1, v2, s[2:3] scale_offset
	global_store_b32 v1, v3, s[2:3] offset:1024 scale_offset
	global_store_b32 v1, v4, s[2:3] offset:2048 scale_offset
	;; [unrolled: 1-line block ×3, first 2 shown]
.LBB2_2:
	s_and_not1_b32 vcc_lo, exec_lo, s0
	s_cbranch_vccnz .LBB2_50
; %bb.3:
	v_cmp_gt_i32_e32 vcc_lo, s28, v1
	s_wait_xcnt 0x2
	v_dual_mov_b32 v2, 0 :: v_dual_bitop2_b32 v3, s34, v1 bitop3:0x54
	s_wait_xcnt 0x0
	v_dual_mov_b32 v5, 0 :: v_dual_add_nc_u32 v4, 0x100, v1
	v_mov_b32_e32 v7, v1
	s_mov_b32 s2, 0
	s_mov_b32 s3, 0
	ds_store_b8 v0, v6 offset:768
	s_and_saveexec_b32 s4, vcc_lo
	s_cbranch_execz .LBB2_5
; %bb.4:
	s_clause 0x1
	global_load_u8 v5, v3, s[38:39]
	global_load_u8 v6, v3, s[36:37]
	v_add_nc_u32_e32 v7, 0x100, v1
	s_wait_loadcnt 0x1
	v_cmp_ne_u16_e64 s0, 0, v5
	s_wait_loadcnt 0x0
	v_cmp_ne_u16_e64 s1, 0, v6
	s_and_b32 s3, s0, exec_lo
	v_cndmask_b32_e64 v5, 0, 1, s1
.LBB2_5:
	s_wait_xcnt 0x0
	s_or_b32 exec_lo, exec_lo, s4
	s_delay_alu instid0(SALU_CYCLE_1)
	s_mov_b32 s4, exec_lo
	v_cmpx_gt_i32_e64 s28, v7
	s_cbranch_execz .LBB2_7
; %bb.6:
	v_add_nc_u32_e32 v2, s34, v7
	v_add_nc_u32_e32 v7, 0x100, v7
	s_clause 0x1
	global_load_u8 v6, v2, s[38:39]
	global_load_u8 v8, v2, s[36:37]
	s_wait_loadcnt 0x1
	v_cmp_ne_u16_e64 s0, 0, v6
	s_wait_loadcnt 0x0
	v_cmp_ne_u16_e64 s1, 0, v8
	s_and_b32 s2, s0, exec_lo
	s_wait_xcnt 0x0
	v_cndmask_b32_e64 v2, 0, 1, s1
.LBB2_7:
	s_or_b32 exec_lo, exec_lo, s4
	v_dual_mov_b32 v6, 0 :: v_dual_mov_b32 v8, 0
	s_mov_b32 s4, 0
	s_mov_b32 s5, 0
	s_mov_b32 s6, exec_lo
	v_cmpx_gt_i32_e64 s28, v7
	s_cbranch_execz .LBB2_9
; %bb.8:
	v_add_nc_u32_e32 v8, s34, v7
	v_add_nc_u32_e32 v7, 0x100, v7
	s_clause 0x1
	global_load_u8 v9, v8, s[38:39]
	global_load_u8 v10, v8, s[36:37]
	s_wait_loadcnt 0x1
	v_cmp_ne_u16_e64 s0, 0, v9
	s_wait_loadcnt 0x0
	v_cmp_ne_u16_e64 s1, 0, v10
	s_and_b32 s5, s0, exec_lo
	s_wait_xcnt 0x0
	v_cndmask_b32_e64 v8, 0, 1, s1
.LBB2_9:
	s_or_b32 exec_lo, exec_lo, s6
	s_delay_alu instid0(SALU_CYCLE_1)
	s_mov_b32 s6, exec_lo
	v_cmpx_gt_i32_e64 s28, v7
	s_cbranch_execz .LBB2_11
; %bb.10:
	v_add_nc_u32_e32 v6, s34, v7
	v_add_nc_u32_e32 v7, 0x100, v7
	s_clause 0x1
	global_load_u8 v9, v6, s[38:39]
	global_load_u8 v10, v6, s[36:37]
	s_wait_loadcnt 0x1
	v_cmp_ne_u16_e64 s0, 0, v9
	s_wait_loadcnt 0x0
	v_cmp_ne_u16_e64 s1, 0, v10
	s_and_b32 s4, s0, exec_lo
	s_wait_xcnt 0x0
	v_cndmask_b32_e64 v6, 0, 1, s1
.LBB2_11:
	s_or_b32 exec_lo, exec_lo, s6
	v_dual_mov_b32 v9, 0 :: v_dual_mov_b32 v10, 0
	s_mov_b32 s6, 0
	s_mov_b32 s7, 0
	s_mov_b32 s8, exec_lo
	v_cmpx_gt_i32_e64 s28, v7
	s_cbranch_execz .LBB2_13
; %bb.12:
	v_add_nc_u32_e32 v10, s34, v7
	v_add_nc_u32_e32 v7, 0x100, v7
	s_clause 0x1
	global_load_u8 v11, v10, s[38:39]
	global_load_u8 v12, v10, s[36:37]
	s_wait_loadcnt 0x1
	v_cmp_ne_u16_e64 s0, 0, v11
	s_wait_loadcnt 0x0
	v_cmp_ne_u16_e64 s1, 0, v12
	s_and_b32 s7, s0, exec_lo
	s_wait_xcnt 0x0
	v_cndmask_b32_e64 v10, 0, 1, s1
.LBB2_13:
	;; [unrolled: 40-line block ×6, first 2 shown]
	s_or_b32 exec_lo, exec_lo, s16
	s_delay_alu instid0(SALU_CYCLE_1)
	s_mov_b32 s16, exec_lo
	v_cmpx_gt_i32_e64 s28, v7
	s_cbranch_execz .LBB2_31
; %bb.30:
	v_add_nc_u32_e32 v17, s34, v7
	v_add_nc_u32_e32 v7, 0x100, v7
	s_clause 0x1
	global_load_u8 v19, v17, s[38:39]
	global_load_u8 v20, v17, s[36:37]
	s_wait_loadcnt 0x1
	v_cmp_ne_u16_e64 s0, 0, v19
	s_wait_loadcnt 0x0
	v_cmp_ne_u16_e64 s1, 0, v20
	s_and_b32 s14, s0, exec_lo
	s_wait_xcnt 0x0
	v_cndmask_b32_e64 v17, 0, 1, s1
.LBB2_31:
	s_or_b32 exec_lo, exec_lo, s16
	v_dual_mov_b32 v19, 0 :: v_dual_mov_b32 v20, 0
	s_mov_b32 s16, 0
	s_mov_b32 s17, 0
	s_mov_b32 s18, exec_lo
	v_cmpx_gt_i32_e64 s28, v7
	s_cbranch_execnz .LBB2_51
; %bb.32:
	s_or_b32 exec_lo, exec_lo, s18
	s_delay_alu instid0(SALU_CYCLE_1)
	s_mov_b32 s18, exec_lo
	v_cmpx_gt_i32_e64 s28, v7
	s_cbranch_execnz .LBB2_52
.LBB2_33:
	s_or_b32 exec_lo, exec_lo, s18
	ds_load_u8 v0, v0 offset:768
	s_and_saveexec_b32 s0, vcc_lo
	s_cbranch_execnz .LBB2_53
.LBB2_34:
	s_or_b32 exec_lo, exec_lo, s0
	s_delay_alu instid0(SALU_CYCLE_1)
	s_mov_b32 s0, exec_lo
	v_cmpx_gt_i32_e64 s28, v1
	s_cbranch_execnz .LBB2_54
.LBB2_35:
	s_or_b32 exec_lo, exec_lo, s0
	s_delay_alu instid0(SALU_CYCLE_1)
	s_mov_b32 s0, exec_lo
	v_cmpx_gt_i32_e64 s28, v1
	s_cbranch_execnz .LBB2_55
.LBB2_36:
	s_or_b32 exec_lo, exec_lo, s0
	s_delay_alu instid0(SALU_CYCLE_1)
	s_mov_b32 s0, exec_lo
	v_cmpx_gt_i32_e64 s28, v1
	s_cbranch_execnz .LBB2_56
.LBB2_37:
	s_or_b32 exec_lo, exec_lo, s0
	s_delay_alu instid0(SALU_CYCLE_1)
	s_mov_b32 s0, exec_lo
	v_cmpx_gt_i32_e64 s28, v1
	s_cbranch_execnz .LBB2_57
.LBB2_38:
	s_or_b32 exec_lo, exec_lo, s0
	s_delay_alu instid0(SALU_CYCLE_1)
	s_mov_b32 s0, exec_lo
	v_cmpx_gt_i32_e64 s28, v1
	s_cbranch_execnz .LBB2_58
.LBB2_39:
	s_or_b32 exec_lo, exec_lo, s0
	s_delay_alu instid0(SALU_CYCLE_1)
	s_mov_b32 s0, exec_lo
	v_cmpx_gt_i32_e64 s28, v1
	s_cbranch_execnz .LBB2_59
.LBB2_40:
	s_or_b32 exec_lo, exec_lo, s0
	s_delay_alu instid0(SALU_CYCLE_1)
	s_mov_b32 s0, exec_lo
	v_cmpx_gt_i32_e64 s28, v1
	s_cbranch_execnz .LBB2_60
.LBB2_41:
	s_or_b32 exec_lo, exec_lo, s0
	s_delay_alu instid0(SALU_CYCLE_1)
	s_mov_b32 s0, exec_lo
	v_cmpx_gt_i32_e64 s28, v1
	s_cbranch_execnz .LBB2_61
.LBB2_42:
	s_or_b32 exec_lo, exec_lo, s0
	s_delay_alu instid0(SALU_CYCLE_1)
	s_mov_b32 s0, exec_lo
	v_cmpx_gt_i32_e64 s28, v1
	s_cbranch_execnz .LBB2_62
.LBB2_43:
	s_or_b32 exec_lo, exec_lo, s0
	s_delay_alu instid0(SALU_CYCLE_1)
	s_mov_b32 s0, exec_lo
	v_cmpx_gt_i32_e64 s28, v1
	s_cbranch_execnz .LBB2_63
.LBB2_44:
	s_or_b32 exec_lo, exec_lo, s0
	s_delay_alu instid0(SALU_CYCLE_1)
	s_mov_b32 s0, exec_lo
	v_cmpx_gt_i32_e64 s28, v1
	s_cbranch_execnz .LBB2_64
.LBB2_45:
	s_or_b32 exec_lo, exec_lo, s0
	s_delay_alu instid0(SALU_CYCLE_1)
	s_mov_b32 s0, exec_lo
	v_cmpx_gt_i32_e64 s28, v1
	s_cbranch_execnz .LBB2_65
.LBB2_46:
	s_or_b32 exec_lo, exec_lo, s0
	s_delay_alu instid0(SALU_CYCLE_1)
	s_mov_b32 s0, exec_lo
	v_cmpx_gt_i32_e64 s28, v1
	s_cbranch_execnz .LBB2_66
.LBB2_47:
	s_or_b32 exec_lo, exec_lo, s0
	s_delay_alu instid0(SALU_CYCLE_1)
	s_mov_b32 s0, exec_lo
	v_cmpx_gt_i32_e64 s28, v1
	s_cbranch_execnz .LBB2_67
.LBB2_48:
	s_or_b32 exec_lo, exec_lo, s0
	s_delay_alu instid0(SALU_CYCLE_1)
	s_mov_b32 s0, exec_lo
	v_cmpx_gt_i32_e64 s28, v1
	s_cbranch_execz .LBB2_50
.LBB2_49:
	s_wait_dscnt 0x0
	v_dual_add_nc_u32 v1, s34, v1 :: v_dual_bitop2_b32 v0, v0, v19 bitop3:0x40
	s_delay_alu instid0(VALU_DEP_1) | instskip(NEXT) | instid1(VALU_DEP_1)
	v_and_b32_e32 v0, 1, v0
	v_cmp_eq_u32_e32 vcc_lo, 1, v0
	s_and_b32 s0, s16, vcc_lo
	s_delay_alu instid0(SALU_CYCLE_1)
	v_cndmask_b32_e64 v0, 0, 1, s0
	global_store_b8 v1, v0, s[30:31]
.LBB2_50:
	s_endpgm
.LBB2_51:
	v_add_nc_u32_e32 v20, s34, v7
	v_add_nc_u32_e32 v7, 0x100, v7
	s_clause 0x1
	global_load_u8 v21, v20, s[38:39]
	global_load_u8 v22, v20, s[36:37]
	s_wait_loadcnt 0x1
	v_cmp_ne_u16_e64 s0, 0, v21
	s_wait_loadcnt 0x0
	v_cmp_ne_u16_e64 s1, 0, v22
	s_and_b32 s17, s0, exec_lo
	s_wait_xcnt 0x0
	v_cndmask_b32_e64 v20, 0, 1, s1
	s_or_b32 exec_lo, exec_lo, s18
	s_delay_alu instid0(SALU_CYCLE_1)
	s_mov_b32 s18, exec_lo
	v_cmpx_gt_i32_e64 s28, v7
	s_cbranch_execz .LBB2_33
.LBB2_52:
	v_add_nc_u32_e32 v7, s34, v7
	s_clause 0x1
	global_load_u8 v19, v7, s[38:39]
	global_load_u8 v21, v7, s[36:37]
	s_wait_loadcnt 0x1
	v_cmp_ne_u16_e64 s0, 0, v19
	s_wait_loadcnt 0x0
	v_cmp_ne_u16_e64 s1, 0, v21
	s_and_b32 s16, s0, exec_lo
	v_cndmask_b32_e64 v19, 0, 1, s1
	s_wait_xcnt 0x0
	s_or_b32 exec_lo, exec_lo, s18
	ds_load_u8 v0, v0 offset:768
	s_and_saveexec_b32 s0, vcc_lo
	s_cbranch_execz .LBB2_34
.LBB2_53:
	s_wait_dscnt 0x0
	v_and_b32_e32 v1, v0, v5
	s_delay_alu instid0(VALU_DEP_1) | instskip(NEXT) | instid1(VALU_DEP_1)
	v_and_b32_e32 v1, 1, v1
	v_cmp_eq_u32_e32 vcc_lo, 1, v1
	v_mov_b32_e32 v1, v4
	s_and_b32 s1, s3, vcc_lo
	s_delay_alu instid0(SALU_CYCLE_1) | instskip(SKIP_3) | instid1(SALU_CYCLE_1)
	v_cndmask_b32_e64 v5, 0, 1, s1
	global_store_b8 v3, v5, s[30:31]
	s_wait_xcnt 0x0
	s_or_b32 exec_lo, exec_lo, s0
	s_mov_b32 s0, exec_lo
	v_cmpx_gt_i32_e64 s28, v1
	s_cbranch_execz .LBB2_35
.LBB2_54:
	s_wait_dscnt 0x0
	v_dual_add_nc_u32 v3, s34, v1 :: v_dual_bitop2_b32 v2, v0, v2 bitop3:0x40
	v_add_nc_u32_e32 v1, 0x100, v1
	s_delay_alu instid0(VALU_DEP_2) | instskip(NEXT) | instid1(VALU_DEP_1)
	v_and_b32_e32 v2, 1, v2
	v_cmp_eq_u32_e32 vcc_lo, 1, v2
	s_and_b32 s1, s2, vcc_lo
	s_delay_alu instid0(SALU_CYCLE_1) | instskip(SKIP_3) | instid1(SALU_CYCLE_1)
	v_cndmask_b32_e64 v2, 0, 1, s1
	global_store_b8 v3, v2, s[30:31]
	s_wait_xcnt 0x0
	s_or_b32 exec_lo, exec_lo, s0
	s_mov_b32 s0, exec_lo
	v_cmpx_gt_i32_e64 s28, v1
	s_cbranch_execz .LBB2_36
.LBB2_55:
	s_wait_dscnt 0x0
	v_dual_add_nc_u32 v3, s34, v1 :: v_dual_bitop2_b32 v2, v0, v8 bitop3:0x40
	v_add_nc_u32_e32 v1, 0x100, v1
	s_delay_alu instid0(VALU_DEP_2) | instskip(NEXT) | instid1(VALU_DEP_1)
	v_and_b32_e32 v2, 1, v2
	v_cmp_eq_u32_e32 vcc_lo, 1, v2
	s_and_b32 s1, s5, vcc_lo
	s_delay_alu instid0(SALU_CYCLE_1) | instskip(SKIP_3) | instid1(SALU_CYCLE_1)
	v_cndmask_b32_e64 v2, 0, 1, s1
	global_store_b8 v3, v2, s[30:31]
	s_wait_xcnt 0x0
	s_or_b32 exec_lo, exec_lo, s0
	s_mov_b32 s0, exec_lo
	v_cmpx_gt_i32_e64 s28, v1
	s_cbranch_execz .LBB2_37
.LBB2_56:
	s_wait_dscnt 0x0
	v_dual_add_nc_u32 v3, s34, v1 :: v_dual_bitop2_b32 v2, v0, v6 bitop3:0x40
	v_add_nc_u32_e32 v1, 0x100, v1
	s_delay_alu instid0(VALU_DEP_2) | instskip(NEXT) | instid1(VALU_DEP_1)
	v_and_b32_e32 v2, 1, v2
	v_cmp_eq_u32_e32 vcc_lo, 1, v2
	s_and_b32 s1, s4, vcc_lo
	s_delay_alu instid0(SALU_CYCLE_1) | instskip(SKIP_3) | instid1(SALU_CYCLE_1)
	v_cndmask_b32_e64 v2, 0, 1, s1
	global_store_b8 v3, v2, s[30:31]
	s_wait_xcnt 0x0
	s_or_b32 exec_lo, exec_lo, s0
	s_mov_b32 s0, exec_lo
	v_cmpx_gt_i32_e64 s28, v1
	s_cbranch_execz .LBB2_38
.LBB2_57:
	s_wait_dscnt 0x0
	v_dual_add_nc_u32 v3, s34, v1 :: v_dual_bitop2_b32 v2, v0, v10 bitop3:0x40
	v_add_nc_u32_e32 v1, 0x100, v1
	s_delay_alu instid0(VALU_DEP_2) | instskip(NEXT) | instid1(VALU_DEP_1)
	v_and_b32_e32 v2, 1, v2
	v_cmp_eq_u32_e32 vcc_lo, 1, v2
	s_and_b32 s1, s7, vcc_lo
	s_delay_alu instid0(SALU_CYCLE_1) | instskip(SKIP_3) | instid1(SALU_CYCLE_1)
	v_cndmask_b32_e64 v2, 0, 1, s1
	global_store_b8 v3, v2, s[30:31]
	s_wait_xcnt 0x0
	s_or_b32 exec_lo, exec_lo, s0
	s_mov_b32 s0, exec_lo
	v_cmpx_gt_i32_e64 s28, v1
	s_cbranch_execz .LBB2_39
.LBB2_58:
	s_wait_dscnt 0x0
	v_and_b32_e32 v2, v0, v9
	v_add_nc_u32_e32 v3, s34, v1
	v_add_nc_u32_e32 v1, 0x100, v1
	s_delay_alu instid0(VALU_DEP_3) | instskip(NEXT) | instid1(VALU_DEP_1)
	v_and_b32_e32 v2, 1, v2
	v_cmp_eq_u32_e32 vcc_lo, 1, v2
	s_and_b32 s1, s6, vcc_lo
	s_delay_alu instid0(SALU_CYCLE_1) | instskip(SKIP_3) | instid1(SALU_CYCLE_1)
	v_cndmask_b32_e64 v2, 0, 1, s1
	global_store_b8 v3, v2, s[30:31]
	s_wait_xcnt 0x0
	s_or_b32 exec_lo, exec_lo, s0
	s_mov_b32 s0, exec_lo
	v_cmpx_gt_i32_e64 s28, v1
	s_cbranch_execz .LBB2_40
.LBB2_59:
	s_wait_dscnt 0x0
	v_dual_add_nc_u32 v3, s34, v1 :: v_dual_bitop2_b32 v2, v0, v12 bitop3:0x40
	v_add_nc_u32_e32 v1, 0x100, v1
	s_delay_alu instid0(VALU_DEP_2) | instskip(NEXT) | instid1(VALU_DEP_1)
	v_and_b32_e32 v2, 1, v2
	v_cmp_eq_u32_e32 vcc_lo, 1, v2
	s_and_b32 s1, s9, vcc_lo
	s_delay_alu instid0(SALU_CYCLE_1) | instskip(SKIP_3) | instid1(SALU_CYCLE_1)
	v_cndmask_b32_e64 v2, 0, 1, s1
	global_store_b8 v3, v2, s[30:31]
	s_wait_xcnt 0x0
	s_or_b32 exec_lo, exec_lo, s0
	s_mov_b32 s0, exec_lo
	v_cmpx_gt_i32_e64 s28, v1
	s_cbranch_execz .LBB2_41
.LBB2_60:
	s_wait_dscnt 0x0
	v_dual_add_nc_u32 v3, s34, v1 :: v_dual_bitop2_b32 v2, v0, v11 bitop3:0x40
	v_add_nc_u32_e32 v1, 0x100, v1
	s_delay_alu instid0(VALU_DEP_2) | instskip(NEXT) | instid1(VALU_DEP_1)
	v_and_b32_e32 v2, 1, v2
	v_cmp_eq_u32_e32 vcc_lo, 1, v2
	s_and_b32 s1, s8, vcc_lo
	s_delay_alu instid0(SALU_CYCLE_1) | instskip(SKIP_3) | instid1(SALU_CYCLE_1)
	v_cndmask_b32_e64 v2, 0, 1, s1
	global_store_b8 v3, v2, s[30:31]
	s_wait_xcnt 0x0
	s_or_b32 exec_lo, exec_lo, s0
	s_mov_b32 s0, exec_lo
	v_cmpx_gt_i32_e64 s28, v1
	s_cbranch_execz .LBB2_42
.LBB2_61:
	s_wait_dscnt 0x0
	v_dual_add_nc_u32 v3, s34, v1 :: v_dual_bitop2_b32 v2, v0, v14 bitop3:0x40
	v_add_nc_u32_e32 v1, 0x100, v1
	s_delay_alu instid0(VALU_DEP_2) | instskip(NEXT) | instid1(VALU_DEP_1)
	v_and_b32_e32 v2, 1, v2
	v_cmp_eq_u32_e32 vcc_lo, 1, v2
	s_and_b32 s1, s11, vcc_lo
	s_delay_alu instid0(SALU_CYCLE_1) | instskip(SKIP_3) | instid1(SALU_CYCLE_1)
	v_cndmask_b32_e64 v2, 0, 1, s1
	global_store_b8 v3, v2, s[30:31]
	s_wait_xcnt 0x0
	s_or_b32 exec_lo, exec_lo, s0
	s_mov_b32 s0, exec_lo
	v_cmpx_gt_i32_e64 s28, v1
	s_cbranch_execz .LBB2_43
.LBB2_62:
	s_wait_dscnt 0x0
	v_and_b32_e32 v2, v0, v13
	v_add_nc_u32_e32 v3, s34, v1
	v_add_nc_u32_e32 v1, 0x100, v1
	s_delay_alu instid0(VALU_DEP_3) | instskip(NEXT) | instid1(VALU_DEP_1)
	v_and_b32_e32 v2, 1, v2
	v_cmp_eq_u32_e32 vcc_lo, 1, v2
	s_and_b32 s1, s10, vcc_lo
	s_delay_alu instid0(SALU_CYCLE_1) | instskip(SKIP_3) | instid1(SALU_CYCLE_1)
	v_cndmask_b32_e64 v2, 0, 1, s1
	global_store_b8 v3, v2, s[30:31]
	s_wait_xcnt 0x0
	s_or_b32 exec_lo, exec_lo, s0
	s_mov_b32 s0, exec_lo
	v_cmpx_gt_i32_e64 s28, v1
	s_cbranch_execz .LBB2_44
.LBB2_63:
	s_wait_dscnt 0x0
	v_dual_add_nc_u32 v3, s34, v1 :: v_dual_bitop2_b32 v2, v0, v16 bitop3:0x40
	v_add_nc_u32_e32 v1, 0x100, v1
	s_delay_alu instid0(VALU_DEP_2) | instskip(NEXT) | instid1(VALU_DEP_1)
	v_and_b32_e32 v2, 1, v2
	v_cmp_eq_u32_e32 vcc_lo, 1, v2
	s_and_b32 s1, s13, vcc_lo
	s_delay_alu instid0(SALU_CYCLE_1) | instskip(SKIP_3) | instid1(SALU_CYCLE_1)
	v_cndmask_b32_e64 v2, 0, 1, s1
	global_store_b8 v3, v2, s[30:31]
	s_wait_xcnt 0x0
	s_or_b32 exec_lo, exec_lo, s0
	s_mov_b32 s0, exec_lo
	v_cmpx_gt_i32_e64 s28, v1
	s_cbranch_execz .LBB2_45
.LBB2_64:
	s_wait_dscnt 0x0
	v_dual_add_nc_u32 v3, s34, v1 :: v_dual_bitop2_b32 v2, v0, v15 bitop3:0x40
	v_add_nc_u32_e32 v1, 0x100, v1
	s_delay_alu instid0(VALU_DEP_2) | instskip(NEXT) | instid1(VALU_DEP_1)
	v_and_b32_e32 v2, 1, v2
	v_cmp_eq_u32_e32 vcc_lo, 1, v2
	s_and_b32 s1, s12, vcc_lo
	s_delay_alu instid0(SALU_CYCLE_1) | instskip(SKIP_3) | instid1(SALU_CYCLE_1)
	v_cndmask_b32_e64 v2, 0, 1, s1
	global_store_b8 v3, v2, s[30:31]
	s_wait_xcnt 0x0
	s_or_b32 exec_lo, exec_lo, s0
	s_mov_b32 s0, exec_lo
	v_cmpx_gt_i32_e64 s28, v1
	s_cbranch_execz .LBB2_46
.LBB2_65:
	s_wait_dscnt 0x0
	v_dual_add_nc_u32 v3, s34, v1 :: v_dual_bitop2_b32 v2, v0, v18 bitop3:0x40
	v_add_nc_u32_e32 v1, 0x100, v1
	s_delay_alu instid0(VALU_DEP_2) | instskip(NEXT) | instid1(VALU_DEP_1)
	v_and_b32_e32 v2, 1, v2
	v_cmp_eq_u32_e32 vcc_lo, 1, v2
	s_and_b32 s1, s15, vcc_lo
	s_delay_alu instid0(SALU_CYCLE_1) | instskip(SKIP_3) | instid1(SALU_CYCLE_1)
	v_cndmask_b32_e64 v2, 0, 1, s1
	global_store_b8 v3, v2, s[30:31]
	s_wait_xcnt 0x0
	s_or_b32 exec_lo, exec_lo, s0
	s_mov_b32 s0, exec_lo
	v_cmpx_gt_i32_e64 s28, v1
	s_cbranch_execz .LBB2_47
.LBB2_66:
	s_wait_dscnt 0x0
	v_and_b32_e32 v2, v0, v17
	v_add_nc_u32_e32 v3, s34, v1
	v_add_nc_u32_e32 v1, 0x100, v1
	s_delay_alu instid0(VALU_DEP_3) | instskip(NEXT) | instid1(VALU_DEP_1)
	v_and_b32_e32 v2, 1, v2
	v_cmp_eq_u32_e32 vcc_lo, 1, v2
	s_and_b32 s1, s14, vcc_lo
	s_delay_alu instid0(SALU_CYCLE_1) | instskip(SKIP_3) | instid1(SALU_CYCLE_1)
	v_cndmask_b32_e64 v2, 0, 1, s1
	global_store_b8 v3, v2, s[30:31]
	s_wait_xcnt 0x0
	s_or_b32 exec_lo, exec_lo, s0
	s_mov_b32 s0, exec_lo
	v_cmpx_gt_i32_e64 s28, v1
	s_cbranch_execz .LBB2_48
.LBB2_67:
	s_wait_dscnt 0x0
	v_dual_add_nc_u32 v3, s34, v1 :: v_dual_bitop2_b32 v2, v0, v20 bitop3:0x40
	v_add_nc_u32_e32 v1, 0x100, v1
	s_delay_alu instid0(VALU_DEP_2) | instskip(NEXT) | instid1(VALU_DEP_1)
	v_and_b32_e32 v2, 1, v2
	v_cmp_eq_u32_e32 vcc_lo, 1, v2
	s_and_b32 s1, s17, vcc_lo
	s_delay_alu instid0(SALU_CYCLE_1) | instskip(SKIP_3) | instid1(SALU_CYCLE_1)
	v_cndmask_b32_e64 v2, 0, 1, s1
	global_store_b8 v3, v2, s[30:31]
	s_wait_xcnt 0x0
	s_or_b32 exec_lo, exec_lo, s0
	s_mov_b32 s0, exec_lo
	v_cmpx_gt_i32_e64 s28, v1
	s_cbranch_execnz .LBB2_49
	s_branch .LBB2_50
	.section	.rodata,"a",@progbits
	.p2align	6, 0x0
	.amdhsa_kernel _ZN2at6native29vectorized_elementwise_kernelILi4EZNS0_12_GLOBAL__N_116addr_kernel_cudaERNS_14TensorIteratorERKN3c106ScalarES8_EUlbbbE_St5arrayIPcLm4EEEEviT0_T1_
		.amdhsa_group_segment_fixed_size 1024
		.amdhsa_private_segment_fixed_size 0
		.amdhsa_kernarg_size 40
		.amdhsa_user_sgpr_count 4
		.amdhsa_user_sgpr_dispatch_ptr 1
		.amdhsa_user_sgpr_queue_ptr 0
		.amdhsa_user_sgpr_kernarg_segment_ptr 1
		.amdhsa_user_sgpr_dispatch_id 0
		.amdhsa_user_sgpr_kernarg_preload_length 0
		.amdhsa_user_sgpr_kernarg_preload_offset 0
		.amdhsa_user_sgpr_private_segment_size 0
		.amdhsa_wavefront_size32 1
		.amdhsa_uses_dynamic_stack 0
		.amdhsa_enable_private_segment 0
		.amdhsa_system_sgpr_workgroup_id_x 1
		.amdhsa_system_sgpr_workgroup_id_y 0
		.amdhsa_system_sgpr_workgroup_id_z 0
		.amdhsa_system_sgpr_workgroup_info 0
		.amdhsa_system_vgpr_workitem_id 2
		.amdhsa_next_free_vgpr 35
		.amdhsa_next_free_sgpr 40
		.amdhsa_named_barrier_count 0
		.amdhsa_reserve_vcc 1
		.amdhsa_float_round_mode_32 0
		.amdhsa_float_round_mode_16_64 0
		.amdhsa_float_denorm_mode_32 3
		.amdhsa_float_denorm_mode_16_64 3
		.amdhsa_fp16_overflow 0
		.amdhsa_memory_ordered 1
		.amdhsa_forward_progress 1
		.amdhsa_inst_pref_size 38
		.amdhsa_round_robin_scheduling 0
		.amdhsa_exception_fp_ieee_invalid_op 0
		.amdhsa_exception_fp_denorm_src 0
		.amdhsa_exception_fp_ieee_div_zero 0
		.amdhsa_exception_fp_ieee_overflow 0
		.amdhsa_exception_fp_ieee_underflow 0
		.amdhsa_exception_fp_ieee_inexact 0
		.amdhsa_exception_int_div_zero 0
	.end_amdhsa_kernel
	.section	.text._ZN2at6native29vectorized_elementwise_kernelILi4EZNS0_12_GLOBAL__N_116addr_kernel_cudaERNS_14TensorIteratorERKN3c106ScalarES8_EUlbbbE_St5arrayIPcLm4EEEEviT0_T1_,"axG",@progbits,_ZN2at6native29vectorized_elementwise_kernelILi4EZNS0_12_GLOBAL__N_116addr_kernel_cudaERNS_14TensorIteratorERKN3c106ScalarES8_EUlbbbE_St5arrayIPcLm4EEEEviT0_T1_,comdat
.Lfunc_end2:
	.size	_ZN2at6native29vectorized_elementwise_kernelILi4EZNS0_12_GLOBAL__N_116addr_kernel_cudaERNS_14TensorIteratorERKN3c106ScalarES8_EUlbbbE_St5arrayIPcLm4EEEEviT0_T1_, .Lfunc_end2-_ZN2at6native29vectorized_elementwise_kernelILi4EZNS0_12_GLOBAL__N_116addr_kernel_cudaERNS_14TensorIteratorERKN3c106ScalarES8_EUlbbbE_St5arrayIPcLm4EEEEviT0_T1_
                                        ; -- End function
	.set _ZN2at6native29vectorized_elementwise_kernelILi4EZNS0_12_GLOBAL__N_116addr_kernel_cudaERNS_14TensorIteratorERKN3c106ScalarES8_EUlbbbE_St5arrayIPcLm4EEEEviT0_T1_.num_vgpr, 35
	.set _ZN2at6native29vectorized_elementwise_kernelILi4EZNS0_12_GLOBAL__N_116addr_kernel_cudaERNS_14TensorIteratorERKN3c106ScalarES8_EUlbbbE_St5arrayIPcLm4EEEEviT0_T1_.num_agpr, 0
	.set _ZN2at6native29vectorized_elementwise_kernelILi4EZNS0_12_GLOBAL__N_116addr_kernel_cudaERNS_14TensorIteratorERKN3c106ScalarES8_EUlbbbE_St5arrayIPcLm4EEEEviT0_T1_.numbered_sgpr, 40
	.set _ZN2at6native29vectorized_elementwise_kernelILi4EZNS0_12_GLOBAL__N_116addr_kernel_cudaERNS_14TensorIteratorERKN3c106ScalarES8_EUlbbbE_St5arrayIPcLm4EEEEviT0_T1_.num_named_barrier, 0
	.set _ZN2at6native29vectorized_elementwise_kernelILi4EZNS0_12_GLOBAL__N_116addr_kernel_cudaERNS_14TensorIteratorERKN3c106ScalarES8_EUlbbbE_St5arrayIPcLm4EEEEviT0_T1_.private_seg_size, 0
	.set _ZN2at6native29vectorized_elementwise_kernelILi4EZNS0_12_GLOBAL__N_116addr_kernel_cudaERNS_14TensorIteratorERKN3c106ScalarES8_EUlbbbE_St5arrayIPcLm4EEEEviT0_T1_.uses_vcc, 1
	.set _ZN2at6native29vectorized_elementwise_kernelILi4EZNS0_12_GLOBAL__N_116addr_kernel_cudaERNS_14TensorIteratorERKN3c106ScalarES8_EUlbbbE_St5arrayIPcLm4EEEEviT0_T1_.uses_flat_scratch, 0
	.set _ZN2at6native29vectorized_elementwise_kernelILi4EZNS0_12_GLOBAL__N_116addr_kernel_cudaERNS_14TensorIteratorERKN3c106ScalarES8_EUlbbbE_St5arrayIPcLm4EEEEviT0_T1_.has_dyn_sized_stack, 0
	.set _ZN2at6native29vectorized_elementwise_kernelILi4EZNS0_12_GLOBAL__N_116addr_kernel_cudaERNS_14TensorIteratorERKN3c106ScalarES8_EUlbbbE_St5arrayIPcLm4EEEEviT0_T1_.has_recursion, 0
	.set _ZN2at6native29vectorized_elementwise_kernelILi4EZNS0_12_GLOBAL__N_116addr_kernel_cudaERNS_14TensorIteratorERKN3c106ScalarES8_EUlbbbE_St5arrayIPcLm4EEEEviT0_T1_.has_indirect_call, 0
	.section	.AMDGPU.csdata,"",@progbits
; Kernel info:
; codeLenInByte = 4804
; TotalNumSgprs: 42
; NumVgprs: 35
; ScratchSize: 0
; MemoryBound: 0
; FloatMode: 240
; IeeeMode: 1
; LDSByteSize: 1024 bytes/workgroup (compile time only)
; SGPRBlocks: 0
; VGPRBlocks: 2
; NumSGPRsForWavesPerEU: 42
; NumVGPRsForWavesPerEU: 35
; NamedBarCnt: 0
; Occupancy: 16
; WaveLimiterHint : 1
; COMPUTE_PGM_RSRC2:SCRATCH_EN: 0
; COMPUTE_PGM_RSRC2:USER_SGPR: 4
; COMPUTE_PGM_RSRC2:TRAP_HANDLER: 0
; COMPUTE_PGM_RSRC2:TGID_X_EN: 1
; COMPUTE_PGM_RSRC2:TGID_Y_EN: 0
; COMPUTE_PGM_RSRC2:TGID_Z_EN: 0
; COMPUTE_PGM_RSRC2:TIDIG_COMP_CNT: 2
	.section	.text._ZN2at6native29vectorized_elementwise_kernelILi2EZNS0_12_GLOBAL__N_116addr_kernel_cudaERNS_14TensorIteratorERKN3c106ScalarES8_EUlbbbE_St5arrayIPcLm4EEEEviT0_T1_,"axG",@progbits,_ZN2at6native29vectorized_elementwise_kernelILi2EZNS0_12_GLOBAL__N_116addr_kernel_cudaERNS_14TensorIteratorERKN3c106ScalarES8_EUlbbbE_St5arrayIPcLm4EEEEviT0_T1_,comdat
	.globl	_ZN2at6native29vectorized_elementwise_kernelILi2EZNS0_12_GLOBAL__N_116addr_kernel_cudaERNS_14TensorIteratorERKN3c106ScalarES8_EUlbbbE_St5arrayIPcLm4EEEEviT0_T1_ ; -- Begin function _ZN2at6native29vectorized_elementwise_kernelILi2EZNS0_12_GLOBAL__N_116addr_kernel_cudaERNS_14TensorIteratorERKN3c106ScalarES8_EUlbbbE_St5arrayIPcLm4EEEEviT0_T1_
	.p2align	8
	.type	_ZN2at6native29vectorized_elementwise_kernelILi2EZNS0_12_GLOBAL__N_116addr_kernel_cudaERNS_14TensorIteratorERKN3c106ScalarES8_EUlbbbE_St5arrayIPcLm4EEEEviT0_T1_,@function
_ZN2at6native29vectorized_elementwise_kernelILi2EZNS0_12_GLOBAL__N_116addr_kernel_cudaERNS_14TensorIteratorERKN3c106ScalarES8_EUlbbbE_St5arrayIPcLm4EEEEviT0_T1_: ; @_ZN2at6native29vectorized_elementwise_kernelILi2EZNS0_12_GLOBAL__N_116addr_kernel_cudaERNS_14TensorIteratorERKN3c106ScalarES8_EUlbbbE_St5arrayIPcLm4EEEEviT0_T1_
; %bb.0:
	s_load_b64 s[4:5], s[0:1], 0x4
	s_load_b128 s[24:27], s[2:3], 0x0
	v_and_b32_e32 v1, 0x3ff, v0
	v_bfe_u32 v3, v0, 10, 10
	v_bfe_u32 v0, v0, 20, 10
	s_load_b128 s[28:31], s[2:3], 0x18
	s_wait_xcnt 0x0
	s_and_b32 s1, ttmp6, 15
	s_getreg_b32 s2, hwreg(HW_REG_IB_STS2, 6, 4)
	s_mov_b32 s36, -1
	s_wait_kmcnt 0x0
	s_lshr_b32 s0, s4, 16
	v_mul_u32_u24_e32 v3, s5, v3
	s_mul_i32 s0, s0, s5
	s_delay_alu instid0(SALU_CYCLE_1) | instskip(SKIP_1) | instid1(SALU_CYCLE_1)
	v_mul_lo_u32 v2, s0, v1
	s_and_b32 s0, s25, 1
	v_mov_b32_e32 v4, s0
	s_bfe_u32 s0, ttmp6, 0x4000c
	s_delay_alu instid0(SALU_CYCLE_1) | instskip(NEXT) | instid1(SALU_CYCLE_1)
	s_add_co_i32 s0, s0, 1
	s_mul_i32 s0, ttmp9, s0
	s_delay_alu instid0(SALU_CYCLE_1) | instskip(NEXT) | instid1(VALU_DEP_2)
	s_add_co_i32 s1, s1, s0
	v_add3_u32 v0, v2, v3, v0
	s_cmp_eq_u32 s2, 0
	s_cselect_b32 s0, ttmp9, s1
	s_delay_alu instid0(SALU_CYCLE_1) | instskip(SKIP_3) | instid1(SALU_CYCLE_1)
	s_lshl_b32 s34, s0, 12
	ds_store_b8 v0, v4
	ds_load_u8 v2, v0
	s_sub_co_i32 s33, s24, s34
	s_cmp_gt_i32 s33, 0xfff
	s_wait_dscnt 0x0
	v_and_b32_e32 v2, 1, v2
	s_delay_alu instid0(VALU_DEP_1)
	v_cmp_eq_u32_e32 vcc_lo, 1, v2
	ds_store_b8 v0, v2 offset:256
	v_cndmask_b32_e64 v6, 0, 1, vcc_lo
	s_cbranch_scc0 .LBB3_2
; %bb.1:
	s_ashr_i32 s35, s34, 31
	s_mov_b32 s36, 0
	s_add_nc_u64 s[0:1], s[28:29], s[34:35]
	s_add_nc_u64 s[2:3], s[30:31], s[34:35]
	s_clause 0xf
	global_load_u16 v2, v1, s[0:1] scale_offset
	global_load_u16 v3, v1, s[0:1] offset:512 scale_offset
	global_load_u16 v4, v1, s[0:1] offset:1024 scale_offset
	;; [unrolled: 1-line block ×7, first 2 shown]
	global_load_u16 v11, v1, s[2:3] scale_offset
	global_load_u16 v12, v1, s[2:3] offset:512 scale_offset
	global_load_u16 v13, v1, s[2:3] offset:1024 scale_offset
	global_load_u16 v14, v1, s[2:3] offset:1536 scale_offset
	global_load_u16 v15, v1, s[2:3] offset:2048 scale_offset
	global_load_u16 v16, v1, s[2:3] offset:2560 scale_offset
	global_load_u16 v17, v1, s[2:3] offset:3072 scale_offset
	; meta instruction
	global_load_u16 v18, v1, s[2:3] offset:3584 scale_offset
	ds_store_b8 v0, v6 offset:512
	ds_load_u8 v19, v0 offset:512
	s_add_nc_u64 s[24:25], s[26:27], s[34:35]
	s_wait_dscnt 0x0
	v_cmp_ne_u16_e32 vcc_lo, 0, v19
	s_wait_loadcnt 0xf
	v_and_b32_e32 v19, 0xff, v2
	s_wait_loadcnt 0xe
	v_and_b32_e32 v20, 0xff, v3
	;; [unrolled: 2-line block ×5, first 2 shown]
	s_wait_xcnt 0x8
	v_cmp_ne_u16_e64 s0, 0, v19
	v_cmp_ne_u16_e64 s1, 0, v20
	s_wait_xcnt 0x0
	v_cmp_ne_u16_e64 s2, 0, v21
	s_wait_loadcnt 0x7
	v_and_b32_e32 v27, 0xff, v11
	s_wait_loadcnt 0x6
	v_and_b32_e32 v28, 0xff, v12
	v_min_u16 v2, v2, v11
	s_wait_loadcnt 0x5
	v_and_b32_e32 v29, 0xff, v13
	v_min_u16 v3, v3, v12
	v_cmp_ne_u16_e64 s8, 0, v27
	s_wait_loadcnt 0x4
	v_and_b32_e32 v30, 0xff, v14
	v_min_u16 v4, v4, v13
	v_cmp_ne_u16_e64 s9, 0, v28
	v_cmp_lt_u16_e64 s16, 0xff, v2
	s_wait_loadcnt 0x3
	v_and_b32_e32 v31, 0xff, v15
	v_min_u16 v5, v5, v14
	v_cmp_ne_u16_e64 s10, 0, v29
	v_cmp_lt_u16_e64 s17, 0xff, v3
	v_and_b32_e32 v24, 0xff, v8
	s_wait_loadcnt 0x2
	v_and_b32_e32 v32, 0xff, v16
	v_min_u16 v7, v7, v15
	s_and_b32 s0, s0, s8
	v_cmp_ne_u16_e64 s3, 0, v22
	v_cmp_ne_u16_e64 s11, 0, v30
	v_cmp_lt_u16_e64 s18, 0xff, v4
	v_and_b32_e32 v25, 0xff, v9
	s_wait_loadcnt 0x1
	v_and_b32_e32 v33, 0xff, v17
	v_min_u16 v8, v8, v16
	s_and_b32 s8, s16, vcc_lo
	s_and_b32 s1, s1, s9
	s_and_b32 s0, s0, vcc_lo
	v_cmp_ne_u16_e64 s4, 0, v23
	v_cmp_ne_u16_e64 s12, 0, v31
	v_cmp_lt_u16_e64 s19, 0xff, v5
	v_and_b32_e32 v26, 0xff, v10
	s_wait_loadcnt 0x0
	v_and_b32_e32 v34, 0xff, v18
	v_min_u16 v9, v9, v17
	v_cndmask_b32_e64 v2, 0, 0x100, s8
	s_and_b32 s8, s17, vcc_lo
	s_and_b32 s2, s2, s10
	v_cndmask_b32_e64 v11, 0, 1, s0
	s_and_b32 s0, s1, vcc_lo
	v_cmp_ne_u16_e64 s5, 0, v24
	v_cmp_ne_u16_e64 s13, 0, v32
	v_cmp_lt_u16_e64 s20, 0xff, v7
	v_min_u16 v10, v10, v18
	v_cndmask_b32_e64 v3, 0, 0x100, s8
	s_and_b32 s8, s18, vcc_lo
	s_and_b32 s3, s3, s11
	v_cndmask_b32_e64 v12, 0, 1, s0
	s_and_b32 s0, s2, vcc_lo
	v_cmp_ne_u16_e64 s6, 0, v25
	v_cmp_ne_u16_e64 s14, 0, v33
	v_cmp_lt_u16_e64 s21, 0xff, v8
	v_cndmask_b32_e64 v4, 0, 0x100, s8
	s_and_b32 s8, s19, vcc_lo
	s_and_b32 s4, s4, s12
	v_cndmask_b32_e64 v13, 0, 1, s0
	s_and_b32 s0, s3, vcc_lo
	v_cmp_ne_u16_e64 s7, 0, v26
	v_cmp_ne_u16_e64 s15, 0, v34
	v_cmp_lt_u16_e64 s22, 0xff, v9
	v_cndmask_b32_e64 v5, 0, 0x100, s8
	s_and_b32 s8, s20, vcc_lo
	s_and_b32 s5, s5, s13
	v_cndmask_b32_e64 v14, 0, 1, s0
	s_and_b32 s0, s4, vcc_lo
	v_cmp_lt_u16_e64 s23, 0xff, v10
	v_cndmask_b32_e64 v7, 0, 0x100, s8
	s_and_b32 s8, s21, vcc_lo
	s_and_b32 s6, s6, s14
	v_cndmask_b32_e64 v15, 0, 1, s0
	s_and_b32 s0, s5, vcc_lo
	v_cndmask_b32_e64 v8, 0, 0x100, s8
	s_and_b32 s8, s22, vcc_lo
	s_and_b32 s7, s7, s15
	v_cndmask_b32_e64 v16, 0, 1, s0
	s_and_b32 s0, s6, vcc_lo
	v_cndmask_b32_e64 v9, 0, 0x100, s8
	s_and_b32 s8, s23, vcc_lo
	v_cndmask_b32_e64 v17, 0, 1, s0
	s_and_b32 s0, vcc_lo, s7
	v_cndmask_b32_e64 v10, 0, 0x100, s8
	v_cndmask_b32_e64 v18, 0, 1, s0
	v_or_b32_e32 v2, v2, v11
	v_or_b32_e32 v3, v3, v12
	;; [unrolled: 1-line block ×8, first 2 shown]
	s_clause 0x7
	global_store_b16 v1, v2, s[24:25] scale_offset
	global_store_b16 v1, v3, s[24:25] offset:512 scale_offset
	global_store_b16 v1, v4, s[24:25] offset:1024 scale_offset
	;; [unrolled: 1-line block ×7, first 2 shown]
.LBB3_2:
	s_and_not1_b32 vcc_lo, exec_lo, s36
	s_cbranch_vccnz .LBB3_50
; %bb.3:
	v_cmp_gt_i32_e32 vcc_lo, s33, v1
	s_wait_xcnt 0x6
	v_dual_mov_b32 v2, 0 :: v_dual_bitop2_b32 v3, s34, v1 bitop3:0x54
	s_wait_xcnt 0x4
	v_dual_mov_b32 v5, 0 :: v_dual_add_nc_u32 v4, 0x100, v1
	s_wait_xcnt 0x3
	v_mov_b32_e32 v7, v1
	s_mov_b32 s2, 0
	s_mov_b32 s3, 0
	ds_store_b8 v0, v6 offset:768
	s_wait_xcnt 0x0
	s_and_saveexec_b32 s4, vcc_lo
	s_cbranch_execz .LBB3_5
; %bb.4:
	s_clause 0x1
	global_load_u8 v5, v3, s[30:31]
	global_load_u8 v6, v3, s[28:29]
	v_add_nc_u32_e32 v7, 0x100, v1
	s_wait_loadcnt 0x1
	v_cmp_ne_u16_e64 s0, 0, v5
	s_wait_loadcnt 0x0
	v_cmp_ne_u16_e64 s1, 0, v6
	s_and_b32 s3, s0, exec_lo
	v_cndmask_b32_e64 v5, 0, 1, s1
.LBB3_5:
	s_wait_xcnt 0x0
	s_or_b32 exec_lo, exec_lo, s4
	s_delay_alu instid0(SALU_CYCLE_1)
	s_mov_b32 s4, exec_lo
	v_cmpx_gt_i32_e64 s33, v7
	s_cbranch_execz .LBB3_7
; %bb.6:
	v_add_nc_u32_e32 v2, s34, v7
	v_add_nc_u32_e32 v7, 0x100, v7
	s_clause 0x1
	global_load_u8 v6, v2, s[30:31]
	global_load_u8 v8, v2, s[28:29]
	s_wait_loadcnt 0x1
	v_cmp_ne_u16_e64 s0, 0, v6
	s_wait_loadcnt 0x0
	v_cmp_ne_u16_e64 s1, 0, v8
	s_and_b32 s2, s0, exec_lo
	s_wait_xcnt 0x0
	v_cndmask_b32_e64 v2, 0, 1, s1
.LBB3_7:
	s_or_b32 exec_lo, exec_lo, s4
	v_dual_mov_b32 v6, 0 :: v_dual_mov_b32 v8, 0
	s_mov_b32 s4, 0
	s_mov_b32 s5, 0
	s_mov_b32 s6, exec_lo
	v_cmpx_gt_i32_e64 s33, v7
	s_cbranch_execz .LBB3_9
; %bb.8:
	v_add_nc_u32_e32 v8, s34, v7
	v_add_nc_u32_e32 v7, 0x100, v7
	s_clause 0x1
	global_load_u8 v9, v8, s[30:31]
	global_load_u8 v10, v8, s[28:29]
	s_wait_loadcnt 0x1
	v_cmp_ne_u16_e64 s0, 0, v9
	s_wait_loadcnt 0x0
	v_cmp_ne_u16_e64 s1, 0, v10
	s_and_b32 s5, s0, exec_lo
	s_wait_xcnt 0x0
	v_cndmask_b32_e64 v8, 0, 1, s1
.LBB3_9:
	s_or_b32 exec_lo, exec_lo, s6
	s_delay_alu instid0(SALU_CYCLE_1)
	s_mov_b32 s6, exec_lo
	v_cmpx_gt_i32_e64 s33, v7
	s_cbranch_execz .LBB3_11
; %bb.10:
	v_add_nc_u32_e32 v6, s34, v7
	v_add_nc_u32_e32 v7, 0x100, v7
	s_clause 0x1
	global_load_u8 v9, v6, s[30:31]
	global_load_u8 v10, v6, s[28:29]
	s_wait_loadcnt 0x1
	v_cmp_ne_u16_e64 s0, 0, v9
	s_wait_loadcnt 0x0
	v_cmp_ne_u16_e64 s1, 0, v10
	s_and_b32 s4, s0, exec_lo
	s_wait_xcnt 0x0
	v_cndmask_b32_e64 v6, 0, 1, s1
.LBB3_11:
	s_or_b32 exec_lo, exec_lo, s6
	v_dual_mov_b32 v9, 0 :: v_dual_mov_b32 v10, 0
	s_mov_b32 s6, 0
	s_mov_b32 s7, 0
	s_mov_b32 s8, exec_lo
	v_cmpx_gt_i32_e64 s33, v7
	s_cbranch_execz .LBB3_13
; %bb.12:
	v_add_nc_u32_e32 v10, s34, v7
	v_add_nc_u32_e32 v7, 0x100, v7
	s_clause 0x1
	global_load_u8 v11, v10, s[30:31]
	global_load_u8 v12, v10, s[28:29]
	s_wait_loadcnt 0x1
	v_cmp_ne_u16_e64 s0, 0, v11
	s_wait_loadcnt 0x0
	v_cmp_ne_u16_e64 s1, 0, v12
	s_and_b32 s7, s0, exec_lo
	s_wait_xcnt 0x0
	v_cndmask_b32_e64 v10, 0, 1, s1
.LBB3_13:
	;; [unrolled: 40-line block ×6, first 2 shown]
	s_or_b32 exec_lo, exec_lo, s16
	s_delay_alu instid0(SALU_CYCLE_1)
	s_mov_b32 s16, exec_lo
	v_cmpx_gt_i32_e64 s33, v7
	s_cbranch_execz .LBB3_31
; %bb.30:
	v_add_nc_u32_e32 v17, s34, v7
	v_add_nc_u32_e32 v7, 0x100, v7
	s_clause 0x1
	global_load_u8 v19, v17, s[30:31]
	global_load_u8 v20, v17, s[28:29]
	s_wait_loadcnt 0x1
	v_cmp_ne_u16_e64 s0, 0, v19
	s_wait_loadcnt 0x0
	v_cmp_ne_u16_e64 s1, 0, v20
	s_and_b32 s14, s0, exec_lo
	s_wait_xcnt 0x0
	v_cndmask_b32_e64 v17, 0, 1, s1
.LBB3_31:
	s_or_b32 exec_lo, exec_lo, s16
	v_dual_mov_b32 v19, 0 :: v_dual_mov_b32 v20, 0
	s_mov_b32 s16, 0
	s_mov_b32 s17, 0
	s_mov_b32 s18, exec_lo
	v_cmpx_gt_i32_e64 s33, v7
	s_cbranch_execnz .LBB3_51
; %bb.32:
	s_or_b32 exec_lo, exec_lo, s18
	s_delay_alu instid0(SALU_CYCLE_1)
	s_mov_b32 s18, exec_lo
	v_cmpx_gt_i32_e64 s33, v7
	s_cbranch_execnz .LBB3_52
.LBB3_33:
	s_or_b32 exec_lo, exec_lo, s18
	ds_load_u8 v0, v0 offset:768
	s_and_saveexec_b32 s0, vcc_lo
	s_cbranch_execnz .LBB3_53
.LBB3_34:
	s_or_b32 exec_lo, exec_lo, s0
	s_delay_alu instid0(SALU_CYCLE_1)
	s_mov_b32 s0, exec_lo
	v_cmpx_gt_i32_e64 s33, v1
	s_cbranch_execnz .LBB3_54
.LBB3_35:
	s_or_b32 exec_lo, exec_lo, s0
	s_delay_alu instid0(SALU_CYCLE_1)
	s_mov_b32 s0, exec_lo
	v_cmpx_gt_i32_e64 s33, v1
	s_cbranch_execnz .LBB3_55
.LBB3_36:
	s_or_b32 exec_lo, exec_lo, s0
	s_delay_alu instid0(SALU_CYCLE_1)
	s_mov_b32 s0, exec_lo
	v_cmpx_gt_i32_e64 s33, v1
	s_cbranch_execnz .LBB3_56
.LBB3_37:
	s_or_b32 exec_lo, exec_lo, s0
	s_delay_alu instid0(SALU_CYCLE_1)
	s_mov_b32 s0, exec_lo
	v_cmpx_gt_i32_e64 s33, v1
	s_cbranch_execnz .LBB3_57
.LBB3_38:
	s_or_b32 exec_lo, exec_lo, s0
	s_delay_alu instid0(SALU_CYCLE_1)
	s_mov_b32 s0, exec_lo
	v_cmpx_gt_i32_e64 s33, v1
	s_cbranch_execnz .LBB3_58
.LBB3_39:
	s_or_b32 exec_lo, exec_lo, s0
	s_delay_alu instid0(SALU_CYCLE_1)
	s_mov_b32 s0, exec_lo
	v_cmpx_gt_i32_e64 s33, v1
	s_cbranch_execnz .LBB3_59
.LBB3_40:
	s_or_b32 exec_lo, exec_lo, s0
	s_delay_alu instid0(SALU_CYCLE_1)
	s_mov_b32 s0, exec_lo
	v_cmpx_gt_i32_e64 s33, v1
	s_cbranch_execnz .LBB3_60
.LBB3_41:
	s_or_b32 exec_lo, exec_lo, s0
	s_delay_alu instid0(SALU_CYCLE_1)
	s_mov_b32 s0, exec_lo
	v_cmpx_gt_i32_e64 s33, v1
	s_cbranch_execnz .LBB3_61
.LBB3_42:
	s_or_b32 exec_lo, exec_lo, s0
	s_delay_alu instid0(SALU_CYCLE_1)
	s_mov_b32 s0, exec_lo
	v_cmpx_gt_i32_e64 s33, v1
	s_cbranch_execnz .LBB3_62
.LBB3_43:
	s_or_b32 exec_lo, exec_lo, s0
	s_delay_alu instid0(SALU_CYCLE_1)
	s_mov_b32 s0, exec_lo
	v_cmpx_gt_i32_e64 s33, v1
	s_cbranch_execnz .LBB3_63
.LBB3_44:
	s_or_b32 exec_lo, exec_lo, s0
	s_delay_alu instid0(SALU_CYCLE_1)
	s_mov_b32 s0, exec_lo
	v_cmpx_gt_i32_e64 s33, v1
	s_cbranch_execnz .LBB3_64
.LBB3_45:
	s_or_b32 exec_lo, exec_lo, s0
	s_delay_alu instid0(SALU_CYCLE_1)
	s_mov_b32 s0, exec_lo
	v_cmpx_gt_i32_e64 s33, v1
	s_cbranch_execnz .LBB3_65
.LBB3_46:
	s_or_b32 exec_lo, exec_lo, s0
	s_delay_alu instid0(SALU_CYCLE_1)
	s_mov_b32 s0, exec_lo
	v_cmpx_gt_i32_e64 s33, v1
	s_cbranch_execnz .LBB3_66
.LBB3_47:
	s_or_b32 exec_lo, exec_lo, s0
	s_delay_alu instid0(SALU_CYCLE_1)
	s_mov_b32 s0, exec_lo
	v_cmpx_gt_i32_e64 s33, v1
	s_cbranch_execnz .LBB3_67
.LBB3_48:
	s_or_b32 exec_lo, exec_lo, s0
	s_delay_alu instid0(SALU_CYCLE_1)
	s_mov_b32 s0, exec_lo
	v_cmpx_gt_i32_e64 s33, v1
	s_cbranch_execz .LBB3_50
.LBB3_49:
	s_wait_dscnt 0x0
	v_dual_add_nc_u32 v1, s34, v1 :: v_dual_bitop2_b32 v0, v0, v19 bitop3:0x40
	s_delay_alu instid0(VALU_DEP_1) | instskip(NEXT) | instid1(VALU_DEP_1)
	v_and_b32_e32 v0, 1, v0
	v_cmp_eq_u32_e32 vcc_lo, 1, v0
	s_and_b32 s0, s16, vcc_lo
	s_delay_alu instid0(SALU_CYCLE_1)
	v_cndmask_b32_e64 v0, 0, 1, s0
	global_store_b8 v1, v0, s[26:27]
.LBB3_50:
	s_endpgm
.LBB3_51:
	v_add_nc_u32_e32 v20, s34, v7
	v_add_nc_u32_e32 v7, 0x100, v7
	s_clause 0x1
	global_load_u8 v21, v20, s[30:31]
	global_load_u8 v22, v20, s[28:29]
	s_wait_loadcnt 0x1
	v_cmp_ne_u16_e64 s0, 0, v21
	s_wait_loadcnt 0x0
	v_cmp_ne_u16_e64 s1, 0, v22
	s_and_b32 s17, s0, exec_lo
	s_wait_xcnt 0x0
	v_cndmask_b32_e64 v20, 0, 1, s1
	s_or_b32 exec_lo, exec_lo, s18
	s_delay_alu instid0(SALU_CYCLE_1)
	s_mov_b32 s18, exec_lo
	v_cmpx_gt_i32_e64 s33, v7
	s_cbranch_execz .LBB3_33
.LBB3_52:
	v_add_nc_u32_e32 v7, s34, v7
	s_clause 0x1
	global_load_u8 v19, v7, s[30:31]
	global_load_u8 v21, v7, s[28:29]
	s_wait_loadcnt 0x1
	v_cmp_ne_u16_e64 s0, 0, v19
	s_wait_loadcnt 0x0
	v_cmp_ne_u16_e64 s1, 0, v21
	s_and_b32 s16, s0, exec_lo
	v_cndmask_b32_e64 v19, 0, 1, s1
	s_wait_xcnt 0x0
	s_or_b32 exec_lo, exec_lo, s18
	ds_load_u8 v0, v0 offset:768
	s_and_saveexec_b32 s0, vcc_lo
	s_cbranch_execz .LBB3_34
.LBB3_53:
	s_wait_dscnt 0x0
	v_and_b32_e32 v1, v0, v5
	s_delay_alu instid0(VALU_DEP_1) | instskip(NEXT) | instid1(VALU_DEP_1)
	v_and_b32_e32 v1, 1, v1
	v_cmp_eq_u32_e32 vcc_lo, 1, v1
	v_mov_b32_e32 v1, v4
	s_and_b32 s1, s3, vcc_lo
	s_delay_alu instid0(SALU_CYCLE_1) | instskip(SKIP_3) | instid1(SALU_CYCLE_1)
	v_cndmask_b32_e64 v5, 0, 1, s1
	global_store_b8 v3, v5, s[26:27]
	s_wait_xcnt 0x0
	s_or_b32 exec_lo, exec_lo, s0
	s_mov_b32 s0, exec_lo
	v_cmpx_gt_i32_e64 s33, v1
	s_cbranch_execz .LBB3_35
.LBB3_54:
	s_wait_dscnt 0x0
	v_dual_add_nc_u32 v3, s34, v1 :: v_dual_bitop2_b32 v2, v0, v2 bitop3:0x40
	v_add_nc_u32_e32 v1, 0x100, v1
	s_delay_alu instid0(VALU_DEP_2) | instskip(NEXT) | instid1(VALU_DEP_1)
	v_and_b32_e32 v2, 1, v2
	v_cmp_eq_u32_e32 vcc_lo, 1, v2
	s_and_b32 s1, s2, vcc_lo
	s_delay_alu instid0(SALU_CYCLE_1) | instskip(SKIP_3) | instid1(SALU_CYCLE_1)
	v_cndmask_b32_e64 v2, 0, 1, s1
	global_store_b8 v3, v2, s[26:27]
	s_wait_xcnt 0x0
	s_or_b32 exec_lo, exec_lo, s0
	s_mov_b32 s0, exec_lo
	v_cmpx_gt_i32_e64 s33, v1
	s_cbranch_execz .LBB3_36
.LBB3_55:
	s_wait_dscnt 0x0
	v_dual_add_nc_u32 v3, s34, v1 :: v_dual_bitop2_b32 v2, v0, v8 bitop3:0x40
	v_add_nc_u32_e32 v1, 0x100, v1
	s_delay_alu instid0(VALU_DEP_2) | instskip(NEXT) | instid1(VALU_DEP_1)
	v_and_b32_e32 v2, 1, v2
	v_cmp_eq_u32_e32 vcc_lo, 1, v2
	s_and_b32 s1, s5, vcc_lo
	s_delay_alu instid0(SALU_CYCLE_1) | instskip(SKIP_3) | instid1(SALU_CYCLE_1)
	v_cndmask_b32_e64 v2, 0, 1, s1
	global_store_b8 v3, v2, s[26:27]
	s_wait_xcnt 0x0
	s_or_b32 exec_lo, exec_lo, s0
	s_mov_b32 s0, exec_lo
	v_cmpx_gt_i32_e64 s33, v1
	s_cbranch_execz .LBB3_37
.LBB3_56:
	s_wait_dscnt 0x0
	v_dual_add_nc_u32 v3, s34, v1 :: v_dual_bitop2_b32 v2, v0, v6 bitop3:0x40
	v_add_nc_u32_e32 v1, 0x100, v1
	s_delay_alu instid0(VALU_DEP_2) | instskip(NEXT) | instid1(VALU_DEP_1)
	v_and_b32_e32 v2, 1, v2
	v_cmp_eq_u32_e32 vcc_lo, 1, v2
	s_and_b32 s1, s4, vcc_lo
	s_delay_alu instid0(SALU_CYCLE_1) | instskip(SKIP_3) | instid1(SALU_CYCLE_1)
	v_cndmask_b32_e64 v2, 0, 1, s1
	global_store_b8 v3, v2, s[26:27]
	s_wait_xcnt 0x0
	s_or_b32 exec_lo, exec_lo, s0
	s_mov_b32 s0, exec_lo
	v_cmpx_gt_i32_e64 s33, v1
	s_cbranch_execz .LBB3_38
.LBB3_57:
	s_wait_dscnt 0x0
	v_dual_add_nc_u32 v3, s34, v1 :: v_dual_bitop2_b32 v2, v0, v10 bitop3:0x40
	v_add_nc_u32_e32 v1, 0x100, v1
	s_delay_alu instid0(VALU_DEP_2) | instskip(NEXT) | instid1(VALU_DEP_1)
	v_and_b32_e32 v2, 1, v2
	v_cmp_eq_u32_e32 vcc_lo, 1, v2
	s_and_b32 s1, s7, vcc_lo
	s_delay_alu instid0(SALU_CYCLE_1) | instskip(SKIP_3) | instid1(SALU_CYCLE_1)
	v_cndmask_b32_e64 v2, 0, 1, s1
	global_store_b8 v3, v2, s[26:27]
	s_wait_xcnt 0x0
	s_or_b32 exec_lo, exec_lo, s0
	s_mov_b32 s0, exec_lo
	v_cmpx_gt_i32_e64 s33, v1
	s_cbranch_execz .LBB3_39
.LBB3_58:
	s_wait_dscnt 0x0
	v_and_b32_e32 v2, v0, v9
	v_add_nc_u32_e32 v3, s34, v1
	v_add_nc_u32_e32 v1, 0x100, v1
	s_delay_alu instid0(VALU_DEP_3) | instskip(NEXT) | instid1(VALU_DEP_1)
	v_and_b32_e32 v2, 1, v2
	v_cmp_eq_u32_e32 vcc_lo, 1, v2
	s_and_b32 s1, s6, vcc_lo
	s_delay_alu instid0(SALU_CYCLE_1) | instskip(SKIP_3) | instid1(SALU_CYCLE_1)
	v_cndmask_b32_e64 v2, 0, 1, s1
	global_store_b8 v3, v2, s[26:27]
	s_wait_xcnt 0x0
	s_or_b32 exec_lo, exec_lo, s0
	s_mov_b32 s0, exec_lo
	v_cmpx_gt_i32_e64 s33, v1
	s_cbranch_execz .LBB3_40
.LBB3_59:
	s_wait_dscnt 0x0
	v_dual_add_nc_u32 v3, s34, v1 :: v_dual_bitop2_b32 v2, v0, v12 bitop3:0x40
	v_add_nc_u32_e32 v1, 0x100, v1
	s_delay_alu instid0(VALU_DEP_2) | instskip(NEXT) | instid1(VALU_DEP_1)
	v_and_b32_e32 v2, 1, v2
	v_cmp_eq_u32_e32 vcc_lo, 1, v2
	s_and_b32 s1, s9, vcc_lo
	s_delay_alu instid0(SALU_CYCLE_1) | instskip(SKIP_3) | instid1(SALU_CYCLE_1)
	v_cndmask_b32_e64 v2, 0, 1, s1
	global_store_b8 v3, v2, s[26:27]
	s_wait_xcnt 0x0
	s_or_b32 exec_lo, exec_lo, s0
	s_mov_b32 s0, exec_lo
	v_cmpx_gt_i32_e64 s33, v1
	s_cbranch_execz .LBB3_41
.LBB3_60:
	s_wait_dscnt 0x0
	v_dual_add_nc_u32 v3, s34, v1 :: v_dual_bitop2_b32 v2, v0, v11 bitop3:0x40
	v_add_nc_u32_e32 v1, 0x100, v1
	s_delay_alu instid0(VALU_DEP_2) | instskip(NEXT) | instid1(VALU_DEP_1)
	v_and_b32_e32 v2, 1, v2
	v_cmp_eq_u32_e32 vcc_lo, 1, v2
	s_and_b32 s1, s8, vcc_lo
	s_delay_alu instid0(SALU_CYCLE_1) | instskip(SKIP_3) | instid1(SALU_CYCLE_1)
	v_cndmask_b32_e64 v2, 0, 1, s1
	global_store_b8 v3, v2, s[26:27]
	s_wait_xcnt 0x0
	s_or_b32 exec_lo, exec_lo, s0
	s_mov_b32 s0, exec_lo
	v_cmpx_gt_i32_e64 s33, v1
	s_cbranch_execz .LBB3_42
.LBB3_61:
	s_wait_dscnt 0x0
	v_dual_add_nc_u32 v3, s34, v1 :: v_dual_bitop2_b32 v2, v0, v14 bitop3:0x40
	v_add_nc_u32_e32 v1, 0x100, v1
	s_delay_alu instid0(VALU_DEP_2) | instskip(NEXT) | instid1(VALU_DEP_1)
	v_and_b32_e32 v2, 1, v2
	v_cmp_eq_u32_e32 vcc_lo, 1, v2
	s_and_b32 s1, s11, vcc_lo
	s_delay_alu instid0(SALU_CYCLE_1) | instskip(SKIP_3) | instid1(SALU_CYCLE_1)
	v_cndmask_b32_e64 v2, 0, 1, s1
	global_store_b8 v3, v2, s[26:27]
	s_wait_xcnt 0x0
	s_or_b32 exec_lo, exec_lo, s0
	s_mov_b32 s0, exec_lo
	v_cmpx_gt_i32_e64 s33, v1
	s_cbranch_execz .LBB3_43
.LBB3_62:
	s_wait_dscnt 0x0
	v_and_b32_e32 v2, v0, v13
	v_add_nc_u32_e32 v3, s34, v1
	v_add_nc_u32_e32 v1, 0x100, v1
	s_delay_alu instid0(VALU_DEP_3) | instskip(NEXT) | instid1(VALU_DEP_1)
	v_and_b32_e32 v2, 1, v2
	v_cmp_eq_u32_e32 vcc_lo, 1, v2
	s_and_b32 s1, s10, vcc_lo
	s_delay_alu instid0(SALU_CYCLE_1) | instskip(SKIP_3) | instid1(SALU_CYCLE_1)
	v_cndmask_b32_e64 v2, 0, 1, s1
	global_store_b8 v3, v2, s[26:27]
	s_wait_xcnt 0x0
	s_or_b32 exec_lo, exec_lo, s0
	s_mov_b32 s0, exec_lo
	v_cmpx_gt_i32_e64 s33, v1
	s_cbranch_execz .LBB3_44
.LBB3_63:
	s_wait_dscnt 0x0
	v_dual_add_nc_u32 v3, s34, v1 :: v_dual_bitop2_b32 v2, v0, v16 bitop3:0x40
	v_add_nc_u32_e32 v1, 0x100, v1
	s_delay_alu instid0(VALU_DEP_2) | instskip(NEXT) | instid1(VALU_DEP_1)
	v_and_b32_e32 v2, 1, v2
	v_cmp_eq_u32_e32 vcc_lo, 1, v2
	s_and_b32 s1, s13, vcc_lo
	s_delay_alu instid0(SALU_CYCLE_1) | instskip(SKIP_3) | instid1(SALU_CYCLE_1)
	v_cndmask_b32_e64 v2, 0, 1, s1
	global_store_b8 v3, v2, s[26:27]
	s_wait_xcnt 0x0
	s_or_b32 exec_lo, exec_lo, s0
	s_mov_b32 s0, exec_lo
	v_cmpx_gt_i32_e64 s33, v1
	s_cbranch_execz .LBB3_45
.LBB3_64:
	s_wait_dscnt 0x0
	v_dual_add_nc_u32 v3, s34, v1 :: v_dual_bitop2_b32 v2, v0, v15 bitop3:0x40
	v_add_nc_u32_e32 v1, 0x100, v1
	s_delay_alu instid0(VALU_DEP_2) | instskip(NEXT) | instid1(VALU_DEP_1)
	v_and_b32_e32 v2, 1, v2
	v_cmp_eq_u32_e32 vcc_lo, 1, v2
	s_and_b32 s1, s12, vcc_lo
	s_delay_alu instid0(SALU_CYCLE_1) | instskip(SKIP_3) | instid1(SALU_CYCLE_1)
	v_cndmask_b32_e64 v2, 0, 1, s1
	global_store_b8 v3, v2, s[26:27]
	s_wait_xcnt 0x0
	s_or_b32 exec_lo, exec_lo, s0
	s_mov_b32 s0, exec_lo
	v_cmpx_gt_i32_e64 s33, v1
	s_cbranch_execz .LBB3_46
.LBB3_65:
	s_wait_dscnt 0x0
	v_dual_add_nc_u32 v3, s34, v1 :: v_dual_bitop2_b32 v2, v0, v18 bitop3:0x40
	v_add_nc_u32_e32 v1, 0x100, v1
	s_delay_alu instid0(VALU_DEP_2) | instskip(NEXT) | instid1(VALU_DEP_1)
	v_and_b32_e32 v2, 1, v2
	v_cmp_eq_u32_e32 vcc_lo, 1, v2
	s_and_b32 s1, s15, vcc_lo
	s_delay_alu instid0(SALU_CYCLE_1) | instskip(SKIP_3) | instid1(SALU_CYCLE_1)
	v_cndmask_b32_e64 v2, 0, 1, s1
	global_store_b8 v3, v2, s[26:27]
	s_wait_xcnt 0x0
	s_or_b32 exec_lo, exec_lo, s0
	s_mov_b32 s0, exec_lo
	v_cmpx_gt_i32_e64 s33, v1
	s_cbranch_execz .LBB3_47
.LBB3_66:
	s_wait_dscnt 0x0
	v_and_b32_e32 v2, v0, v17
	v_add_nc_u32_e32 v3, s34, v1
	v_add_nc_u32_e32 v1, 0x100, v1
	s_delay_alu instid0(VALU_DEP_3) | instskip(NEXT) | instid1(VALU_DEP_1)
	v_and_b32_e32 v2, 1, v2
	v_cmp_eq_u32_e32 vcc_lo, 1, v2
	s_and_b32 s1, s14, vcc_lo
	s_delay_alu instid0(SALU_CYCLE_1) | instskip(SKIP_3) | instid1(SALU_CYCLE_1)
	v_cndmask_b32_e64 v2, 0, 1, s1
	global_store_b8 v3, v2, s[26:27]
	s_wait_xcnt 0x0
	s_or_b32 exec_lo, exec_lo, s0
	s_mov_b32 s0, exec_lo
	v_cmpx_gt_i32_e64 s33, v1
	s_cbranch_execz .LBB3_48
.LBB3_67:
	s_wait_dscnt 0x0
	v_dual_add_nc_u32 v3, s34, v1 :: v_dual_bitop2_b32 v2, v0, v20 bitop3:0x40
	v_add_nc_u32_e32 v1, 0x100, v1
	s_delay_alu instid0(VALU_DEP_2) | instskip(NEXT) | instid1(VALU_DEP_1)
	v_and_b32_e32 v2, 1, v2
	v_cmp_eq_u32_e32 vcc_lo, 1, v2
	s_and_b32 s1, s17, vcc_lo
	s_delay_alu instid0(SALU_CYCLE_1) | instskip(SKIP_3) | instid1(SALU_CYCLE_1)
	v_cndmask_b32_e64 v2, 0, 1, s1
	global_store_b8 v3, v2, s[26:27]
	s_wait_xcnt 0x0
	s_or_b32 exec_lo, exec_lo, s0
	s_mov_b32 s0, exec_lo
	v_cmpx_gt_i32_e64 s33, v1
	s_cbranch_execnz .LBB3_49
	s_branch .LBB3_50
	.section	.rodata,"a",@progbits
	.p2align	6, 0x0
	.amdhsa_kernel _ZN2at6native29vectorized_elementwise_kernelILi2EZNS0_12_GLOBAL__N_116addr_kernel_cudaERNS_14TensorIteratorERKN3c106ScalarES8_EUlbbbE_St5arrayIPcLm4EEEEviT0_T1_
		.amdhsa_group_segment_fixed_size 1024
		.amdhsa_private_segment_fixed_size 0
		.amdhsa_kernarg_size 40
		.amdhsa_user_sgpr_count 4
		.amdhsa_user_sgpr_dispatch_ptr 1
		.amdhsa_user_sgpr_queue_ptr 0
		.amdhsa_user_sgpr_kernarg_segment_ptr 1
		.amdhsa_user_sgpr_dispatch_id 0
		.amdhsa_user_sgpr_kernarg_preload_length 0
		.amdhsa_user_sgpr_kernarg_preload_offset 0
		.amdhsa_user_sgpr_private_segment_size 0
		.amdhsa_wavefront_size32 1
		.amdhsa_uses_dynamic_stack 0
		.amdhsa_enable_private_segment 0
		.amdhsa_system_sgpr_workgroup_id_x 1
		.amdhsa_system_sgpr_workgroup_id_y 0
		.amdhsa_system_sgpr_workgroup_id_z 0
		.amdhsa_system_sgpr_workgroup_info 0
		.amdhsa_system_vgpr_workitem_id 2
		.amdhsa_next_free_vgpr 35
		.amdhsa_next_free_sgpr 37
		.amdhsa_named_barrier_count 0
		.amdhsa_reserve_vcc 1
		.amdhsa_float_round_mode_32 0
		.amdhsa_float_round_mode_16_64 0
		.amdhsa_float_denorm_mode_32 3
		.amdhsa_float_denorm_mode_16_64 3
		.amdhsa_fp16_overflow 0
		.amdhsa_memory_ordered 1
		.amdhsa_forward_progress 1
		.amdhsa_inst_pref_size 39
		.amdhsa_round_robin_scheduling 0
		.amdhsa_exception_fp_ieee_invalid_op 0
		.amdhsa_exception_fp_denorm_src 0
		.amdhsa_exception_fp_ieee_div_zero 0
		.amdhsa_exception_fp_ieee_overflow 0
		.amdhsa_exception_fp_ieee_underflow 0
		.amdhsa_exception_fp_ieee_inexact 0
		.amdhsa_exception_int_div_zero 0
	.end_amdhsa_kernel
	.section	.text._ZN2at6native29vectorized_elementwise_kernelILi2EZNS0_12_GLOBAL__N_116addr_kernel_cudaERNS_14TensorIteratorERKN3c106ScalarES8_EUlbbbE_St5arrayIPcLm4EEEEviT0_T1_,"axG",@progbits,_ZN2at6native29vectorized_elementwise_kernelILi2EZNS0_12_GLOBAL__N_116addr_kernel_cudaERNS_14TensorIteratorERKN3c106ScalarES8_EUlbbbE_St5arrayIPcLm4EEEEviT0_T1_,comdat
.Lfunc_end3:
	.size	_ZN2at6native29vectorized_elementwise_kernelILi2EZNS0_12_GLOBAL__N_116addr_kernel_cudaERNS_14TensorIteratorERKN3c106ScalarES8_EUlbbbE_St5arrayIPcLm4EEEEviT0_T1_, .Lfunc_end3-_ZN2at6native29vectorized_elementwise_kernelILi2EZNS0_12_GLOBAL__N_116addr_kernel_cudaERNS_14TensorIteratorERKN3c106ScalarES8_EUlbbbE_St5arrayIPcLm4EEEEviT0_T1_
                                        ; -- End function
	.set _ZN2at6native29vectorized_elementwise_kernelILi2EZNS0_12_GLOBAL__N_116addr_kernel_cudaERNS_14TensorIteratorERKN3c106ScalarES8_EUlbbbE_St5arrayIPcLm4EEEEviT0_T1_.num_vgpr, 35
	.set _ZN2at6native29vectorized_elementwise_kernelILi2EZNS0_12_GLOBAL__N_116addr_kernel_cudaERNS_14TensorIteratorERKN3c106ScalarES8_EUlbbbE_St5arrayIPcLm4EEEEviT0_T1_.num_agpr, 0
	.set _ZN2at6native29vectorized_elementwise_kernelILi2EZNS0_12_GLOBAL__N_116addr_kernel_cudaERNS_14TensorIteratorERKN3c106ScalarES8_EUlbbbE_St5arrayIPcLm4EEEEviT0_T1_.numbered_sgpr, 37
	.set _ZN2at6native29vectorized_elementwise_kernelILi2EZNS0_12_GLOBAL__N_116addr_kernel_cudaERNS_14TensorIteratorERKN3c106ScalarES8_EUlbbbE_St5arrayIPcLm4EEEEviT0_T1_.num_named_barrier, 0
	.set _ZN2at6native29vectorized_elementwise_kernelILi2EZNS0_12_GLOBAL__N_116addr_kernel_cudaERNS_14TensorIteratorERKN3c106ScalarES8_EUlbbbE_St5arrayIPcLm4EEEEviT0_T1_.private_seg_size, 0
	.set _ZN2at6native29vectorized_elementwise_kernelILi2EZNS0_12_GLOBAL__N_116addr_kernel_cudaERNS_14TensorIteratorERKN3c106ScalarES8_EUlbbbE_St5arrayIPcLm4EEEEviT0_T1_.uses_vcc, 1
	.set _ZN2at6native29vectorized_elementwise_kernelILi2EZNS0_12_GLOBAL__N_116addr_kernel_cudaERNS_14TensorIteratorERKN3c106ScalarES8_EUlbbbE_St5arrayIPcLm4EEEEviT0_T1_.uses_flat_scratch, 0
	.set _ZN2at6native29vectorized_elementwise_kernelILi2EZNS0_12_GLOBAL__N_116addr_kernel_cudaERNS_14TensorIteratorERKN3c106ScalarES8_EUlbbbE_St5arrayIPcLm4EEEEviT0_T1_.has_dyn_sized_stack, 0
	.set _ZN2at6native29vectorized_elementwise_kernelILi2EZNS0_12_GLOBAL__N_116addr_kernel_cudaERNS_14TensorIteratorERKN3c106ScalarES8_EUlbbbE_St5arrayIPcLm4EEEEviT0_T1_.has_recursion, 0
	.set _ZN2at6native29vectorized_elementwise_kernelILi2EZNS0_12_GLOBAL__N_116addr_kernel_cudaERNS_14TensorIteratorERKN3c106ScalarES8_EUlbbbE_St5arrayIPcLm4EEEEviT0_T1_.has_indirect_call, 0
	.section	.AMDGPU.csdata,"",@progbits
; Kernel info:
; codeLenInByte = 4900
; TotalNumSgprs: 39
; NumVgprs: 35
; ScratchSize: 0
; MemoryBound: 0
; FloatMode: 240
; IeeeMode: 1
; LDSByteSize: 1024 bytes/workgroup (compile time only)
; SGPRBlocks: 0
; VGPRBlocks: 2
; NumSGPRsForWavesPerEU: 39
; NumVGPRsForWavesPerEU: 35
; NamedBarCnt: 0
; Occupancy: 16
; WaveLimiterHint : 1
; COMPUTE_PGM_RSRC2:SCRATCH_EN: 0
; COMPUTE_PGM_RSRC2:USER_SGPR: 4
; COMPUTE_PGM_RSRC2:TRAP_HANDLER: 0
; COMPUTE_PGM_RSRC2:TGID_X_EN: 1
; COMPUTE_PGM_RSRC2:TGID_Y_EN: 0
; COMPUTE_PGM_RSRC2:TGID_Z_EN: 0
; COMPUTE_PGM_RSRC2:TIDIG_COMP_CNT: 2
	.section	.text._ZN2at6native27unrolled_elementwise_kernelIZNS0_12_GLOBAL__N_116addr_kernel_cudaERNS_14TensorIteratorERKN3c106ScalarES8_EUlbbbE_St5arrayIPcLm4EELi4E23TrivialOffsetCalculatorILi3EjESD_ILi1EjENS0_6memory15LoadWithoutCastENSG_16StoreWithoutCastEEEviT_T0_T2_T3_T4_T5_,"axG",@progbits,_ZN2at6native27unrolled_elementwise_kernelIZNS0_12_GLOBAL__N_116addr_kernel_cudaERNS_14TensorIteratorERKN3c106ScalarES8_EUlbbbE_St5arrayIPcLm4EELi4E23TrivialOffsetCalculatorILi3EjESD_ILi1EjENS0_6memory15LoadWithoutCastENSG_16StoreWithoutCastEEEviT_T0_T2_T3_T4_T5_,comdat
	.globl	_ZN2at6native27unrolled_elementwise_kernelIZNS0_12_GLOBAL__N_116addr_kernel_cudaERNS_14TensorIteratorERKN3c106ScalarES8_EUlbbbE_St5arrayIPcLm4EELi4E23TrivialOffsetCalculatorILi3EjESD_ILi1EjENS0_6memory15LoadWithoutCastENSG_16StoreWithoutCastEEEviT_T0_T2_T3_T4_T5_ ; -- Begin function _ZN2at6native27unrolled_elementwise_kernelIZNS0_12_GLOBAL__N_116addr_kernel_cudaERNS_14TensorIteratorERKN3c106ScalarES8_EUlbbbE_St5arrayIPcLm4EELi4E23TrivialOffsetCalculatorILi3EjESD_ILi1EjENS0_6memory15LoadWithoutCastENSG_16StoreWithoutCastEEEviT_T0_T2_T3_T4_T5_
	.p2align	8
	.type	_ZN2at6native27unrolled_elementwise_kernelIZNS0_12_GLOBAL__N_116addr_kernel_cudaERNS_14TensorIteratorERKN3c106ScalarES8_EUlbbbE_St5arrayIPcLm4EELi4E23TrivialOffsetCalculatorILi3EjESD_ILi1EjENS0_6memory15LoadWithoutCastENSG_16StoreWithoutCastEEEviT_T0_T2_T3_T4_T5_,@function
_ZN2at6native27unrolled_elementwise_kernelIZNS0_12_GLOBAL__N_116addr_kernel_cudaERNS_14TensorIteratorERKN3c106ScalarES8_EUlbbbE_St5arrayIPcLm4EELi4E23TrivialOffsetCalculatorILi3EjESD_ILi1EjENS0_6memory15LoadWithoutCastENSG_16StoreWithoutCastEEEviT_T0_T2_T3_T4_T5_: ; @_ZN2at6native27unrolled_elementwise_kernelIZNS0_12_GLOBAL__N_116addr_kernel_cudaERNS_14TensorIteratorERKN3c106ScalarES8_EUlbbbE_St5arrayIPcLm4EELi4E23TrivialOffsetCalculatorILi3EjESD_ILi1EjENS0_6memory15LoadWithoutCastENSG_16StoreWithoutCastEEEviT_T0_T2_T3_T4_T5_
; %bb.0:
	s_load_b64 s[4:5], s[0:1], 0x4
	s_load_b64 s[10:11], s[2:3], 0x0
	v_and_b32_e32 v1, 0x3ff, v0
	v_bfe_u32 v3, v0, 10, 10
	v_bfe_u32 v0, v0, 20, 10
	s_wait_xcnt 0x0
	s_and_b32 s1, ttmp6, 15
	s_getreg_b32 s8, hwreg(HW_REG_IB_STS2, 6, 4)
	v_mov_b32_e32 v8, v1
	s_wait_kmcnt 0x0
	s_lshr_b32 s0, s4, 16
	v_mul_u32_u24_e32 v3, s5, v3
	s_mul_i32 s0, s0, s5
	s_load_b128 s[4:7], s[2:3], 0x18
	v_mul_lo_u32 v2, s0, v1
	s_and_b32 s0, s11, 1
	s_mov_b32 s11, 0
	v_mov_b32_e32 v4, s0
	s_bfe_u32 s0, ttmp6, 0x4000c
	s_delay_alu instid0(SALU_CYCLE_1) | instskip(NEXT) | instid1(SALU_CYCLE_1)
	s_add_co_i32 s0, s0, 1
	s_mul_i32 s0, ttmp9, s0
	s_delay_alu instid0(SALU_CYCLE_1) | instskip(NEXT) | instid1(VALU_DEP_2)
	s_add_co_i32 s1, s1, s0
	v_add3_u32 v0, v2, v3, v0
	v_mov_b32_e32 v2, 0
	s_cmp_eq_u32 s8, 0
	v_add_nc_u32_e32 v3, 0x100, v1
	s_cselect_b32 s0, ttmp9, s1
	ds_store_b8 v0, v4
	ds_load_u8 v5, v0
	s_lshl_b32 s8, s0, 10
	s_delay_alu instid0(SALU_CYCLE_1)
	s_sub_co_i32 s9, s10, s8
	v_or_b32_e32 v4, s8, v1
	v_cmp_gt_i32_e32 vcc_lo, s9, v1
	s_mov_b32 s10, 0
	s_wait_dscnt 0x0
	v_dual_mov_b32 v5, 0 :: v_dual_bitop2_b32 v6, 1, v5 bitop3:0x40
	ds_store_b8 v0, v6 offset:256
	s_and_saveexec_b32 s12, vcc_lo
	s_cbranch_execz .LBB4_2
; %bb.1:
	s_wait_kmcnt 0x0
	s_clause 0x1
	global_load_u8 v5, v4, s[6:7]
	global_load_u8 v6, v4, s[4:5]
	v_add_nc_u32_e32 v8, 0x100, v1
	s_wait_loadcnt 0x1
	v_cmp_ne_u16_e64 s0, 0, v5
	s_wait_loadcnt 0x0
	v_cmp_ne_u16_e64 s1, 0, v6
	s_and_b32 s11, s0, exec_lo
	v_cndmask_b32_e64 v5, 0, 1, s1
.LBB4_2:
	s_or_b32 exec_lo, exec_lo, s12
	s_delay_alu instid0(SALU_CYCLE_1)
	s_mov_b32 s12, exec_lo
	v_cmpx_gt_i32_e64 s9, v8
	s_cbranch_execz .LBB4_4
; %bb.3:
	v_add_nc_u32_e32 v2, s8, v8
	v_add_nc_u32_e32 v8, 0x100, v8
	s_wait_kmcnt 0x0
	s_clause 0x1
	global_load_u8 v6, v2, s[6:7]
	global_load_u8 v7, v2, s[4:5]
	s_wait_loadcnt 0x1
	v_cmp_ne_u16_e64 s0, 0, v6
	s_wait_loadcnt 0x0
	v_cmp_ne_u16_e64 s1, 0, v7
	s_and_b32 s10, s0, exec_lo
	v_cndmask_b32_e64 v2, 0, 1, s1
.LBB4_4:
	s_or_b32 exec_lo, exec_lo, s12
	v_dual_mov_b32 v6, 0 :: v_dual_mov_b32 v7, 0
	s_mov_b32 s12, 0
	s_mov_b32 s13, 0
	s_mov_b32 s14, exec_lo
	v_cmpx_gt_i32_e64 s9, v8
	s_cbranch_execz .LBB4_6
; %bb.5:
	v_add_nc_u32_e32 v7, s8, v8
	v_add_nc_u32_e32 v8, 0x100, v8
	s_wait_kmcnt 0x0
	s_clause 0x1
	global_load_u8 v9, v7, s[6:7]
	global_load_u8 v10, v7, s[4:5]
	s_wait_loadcnt 0x1
	v_cmp_ne_u16_e64 s0, 0, v9
	s_wait_loadcnt 0x0
	v_cmp_ne_u16_e64 s1, 0, v10
	s_and_b32 s13, s0, exec_lo
	v_cndmask_b32_e64 v7, 0, 1, s1
.LBB4_6:
	s_or_b32 exec_lo, exec_lo, s14
	s_wait_xcnt 0x0
	s_load_b64 s[2:3], s[2:3], 0x8
	s_mov_b32 s14, exec_lo
	v_cmpx_gt_i32_e64 s9, v8
	s_cbranch_execnz .LBB4_12
; %bb.7:
	s_or_b32 exec_lo, exec_lo, s14
	ds_load_u8 v0, v0 offset:256
	s_and_saveexec_b32 s0, vcc_lo
	s_cbranch_execnz .LBB4_13
.LBB4_8:
	s_or_b32 exec_lo, exec_lo, s0
	s_delay_alu instid0(SALU_CYCLE_1)
	s_mov_b32 s0, exec_lo
	v_cmpx_gt_i32_e64 s9, v1
	s_cbranch_execnz .LBB4_14
.LBB4_9:
	s_or_b32 exec_lo, exec_lo, s0
	s_delay_alu instid0(SALU_CYCLE_1)
	s_mov_b32 s0, exec_lo
	v_cmpx_gt_i32_e64 s9, v1
	s_cbranch_execnz .LBB4_15
.LBB4_10:
	s_or_b32 exec_lo, exec_lo, s0
	s_delay_alu instid0(SALU_CYCLE_1)
	s_mov_b32 s0, exec_lo
	v_cmpx_gt_i32_e64 s9, v1
	s_cbranch_execnz .LBB4_16
.LBB4_11:
	s_endpgm
.LBB4_12:
	v_add_nc_u32_e32 v6, s8, v8
	s_wait_kmcnt 0x0
	s_clause 0x1
	global_load_u8 v8, v6, s[6:7]
	global_load_u8 v9, v6, s[4:5]
	s_wait_loadcnt 0x1
	v_cmp_ne_u16_e64 s0, 0, v8
	s_wait_loadcnt 0x0
	v_cmp_ne_u16_e64 s1, 0, v9
	s_and_b32 s12, s0, exec_lo
	v_cndmask_b32_e64 v6, 0, 1, s1
	s_or_b32 exec_lo, exec_lo, s14
	ds_load_u8 v0, v0 offset:256
	s_and_saveexec_b32 s0, vcc_lo
	s_cbranch_execz .LBB4_8
.LBB4_13:
	s_wait_dscnt 0x0
	v_and_b32_e32 v1, v0, v5
	s_delay_alu instid0(VALU_DEP_1) | instskip(NEXT) | instid1(VALU_DEP_1)
	v_and_b32_e32 v1, 1, v1
	v_cmp_eq_u32_e32 vcc_lo, 1, v1
	v_mov_b32_e32 v1, v3
	s_and_b32 s1, s11, vcc_lo
	s_delay_alu instid0(SALU_CYCLE_1) | instskip(SKIP_4) | instid1(SALU_CYCLE_1)
	v_cndmask_b32_e64 v5, 0, 1, s1
	s_wait_kmcnt 0x0
	global_store_b8 v4, v5, s[2:3]
	s_wait_xcnt 0x0
	s_or_b32 exec_lo, exec_lo, s0
	s_mov_b32 s0, exec_lo
	v_cmpx_gt_i32_e64 s9, v1
	s_cbranch_execz .LBB4_9
.LBB4_14:
	s_wait_dscnt 0x0
	v_dual_add_nc_u32 v4, s8, v1 :: v_dual_bitop2_b32 v2, v0, v2 bitop3:0x40
	s_delay_alu instid0(VALU_DEP_1) | instskip(NEXT) | instid1(VALU_DEP_1)
	v_and_b32_e32 v2, 1, v2
	v_cmp_eq_u32_e32 vcc_lo, 1, v2
	v_add_nc_u32_e32 v2, 0x100, v1
	s_and_b32 s1, s10, vcc_lo
	s_delay_alu instid0(VALU_DEP_1)
	v_mov_b32_e32 v1, v2
	v_cndmask_b32_e64 v3, 0, 1, s1
	s_wait_kmcnt 0x0
	global_store_b8 v4, v3, s[2:3]
	s_wait_xcnt 0x0
	s_or_b32 exec_lo, exec_lo, s0
	s_delay_alu instid0(SALU_CYCLE_1)
	s_mov_b32 s0, exec_lo
	v_cmpx_gt_i32_e64 s9, v1
	s_cbranch_execz .LBB4_10
.LBB4_15:
	s_wait_dscnt 0x0
	v_dual_add_nc_u32 v4, s8, v1 :: v_dual_bitop2_b32 v2, v0, v7 bitop3:0x40
	s_delay_alu instid0(VALU_DEP_1) | instskip(NEXT) | instid1(VALU_DEP_1)
	v_and_b32_e32 v2, 1, v2
	v_cmp_eq_u32_e32 vcc_lo, 1, v2
	v_add_nc_u32_e32 v2, 0x100, v1
	s_and_b32 s1, s13, vcc_lo
	s_delay_alu instid0(VALU_DEP_1)
	v_mov_b32_e32 v1, v2
	v_cndmask_b32_e64 v3, 0, 1, s1
	s_wait_kmcnt 0x0
	global_store_b8 v4, v3, s[2:3]
	s_wait_xcnt 0x0
	s_or_b32 exec_lo, exec_lo, s0
	s_delay_alu instid0(SALU_CYCLE_1)
	s_mov_b32 s0, exec_lo
	v_cmpx_gt_i32_e64 s9, v1
	s_cbranch_execz .LBB4_11
.LBB4_16:
	s_wait_dscnt 0x0
	v_dual_add_nc_u32 v1, s8, v1 :: v_dual_bitop2_b32 v0, v0, v6 bitop3:0x40
	s_delay_alu instid0(VALU_DEP_1) | instskip(NEXT) | instid1(VALU_DEP_1)
	v_and_b32_e32 v0, 1, v0
	v_cmp_eq_u32_e32 vcc_lo, 1, v0
	s_and_b32 s0, s12, vcc_lo
	s_delay_alu instid0(SALU_CYCLE_1)
	v_cndmask_b32_e64 v0, 0, 1, s0
	s_wait_kmcnt 0x0
	global_store_b8 v1, v0, s[2:3]
	s_endpgm
	.section	.rodata,"a",@progbits
	.p2align	6, 0x0
	.amdhsa_kernel _ZN2at6native27unrolled_elementwise_kernelIZNS0_12_GLOBAL__N_116addr_kernel_cudaERNS_14TensorIteratorERKN3c106ScalarES8_EUlbbbE_St5arrayIPcLm4EELi4E23TrivialOffsetCalculatorILi3EjESD_ILi1EjENS0_6memory15LoadWithoutCastENSG_16StoreWithoutCastEEEviT_T0_T2_T3_T4_T5_
		.amdhsa_group_segment_fixed_size 512
		.amdhsa_private_segment_fixed_size 0
		.amdhsa_kernarg_size 44
		.amdhsa_user_sgpr_count 4
		.amdhsa_user_sgpr_dispatch_ptr 1
		.amdhsa_user_sgpr_queue_ptr 0
		.amdhsa_user_sgpr_kernarg_segment_ptr 1
		.amdhsa_user_sgpr_dispatch_id 0
		.amdhsa_user_sgpr_kernarg_preload_length 0
		.amdhsa_user_sgpr_kernarg_preload_offset 0
		.amdhsa_user_sgpr_private_segment_size 0
		.amdhsa_wavefront_size32 1
		.amdhsa_uses_dynamic_stack 0
		.amdhsa_enable_private_segment 0
		.amdhsa_system_sgpr_workgroup_id_x 1
		.amdhsa_system_sgpr_workgroup_id_y 0
		.amdhsa_system_sgpr_workgroup_id_z 0
		.amdhsa_system_sgpr_workgroup_info 0
		.amdhsa_system_vgpr_workitem_id 2
		.amdhsa_next_free_vgpr 11
		.amdhsa_next_free_sgpr 15
		.amdhsa_named_barrier_count 0
		.amdhsa_reserve_vcc 1
		.amdhsa_float_round_mode_32 0
		.amdhsa_float_round_mode_16_64 0
		.amdhsa_float_denorm_mode_32 3
		.amdhsa_float_denorm_mode_16_64 3
		.amdhsa_fp16_overflow 0
		.amdhsa_memory_ordered 1
		.amdhsa_forward_progress 1
		.amdhsa_inst_pref_size 9
		.amdhsa_round_robin_scheduling 0
		.amdhsa_exception_fp_ieee_invalid_op 0
		.amdhsa_exception_fp_denorm_src 0
		.amdhsa_exception_fp_ieee_div_zero 0
		.amdhsa_exception_fp_ieee_overflow 0
		.amdhsa_exception_fp_ieee_underflow 0
		.amdhsa_exception_fp_ieee_inexact 0
		.amdhsa_exception_int_div_zero 0
	.end_amdhsa_kernel
	.section	.text._ZN2at6native27unrolled_elementwise_kernelIZNS0_12_GLOBAL__N_116addr_kernel_cudaERNS_14TensorIteratorERKN3c106ScalarES8_EUlbbbE_St5arrayIPcLm4EELi4E23TrivialOffsetCalculatorILi3EjESD_ILi1EjENS0_6memory15LoadWithoutCastENSG_16StoreWithoutCastEEEviT_T0_T2_T3_T4_T5_,"axG",@progbits,_ZN2at6native27unrolled_elementwise_kernelIZNS0_12_GLOBAL__N_116addr_kernel_cudaERNS_14TensorIteratorERKN3c106ScalarES8_EUlbbbE_St5arrayIPcLm4EELi4E23TrivialOffsetCalculatorILi3EjESD_ILi1EjENS0_6memory15LoadWithoutCastENSG_16StoreWithoutCastEEEviT_T0_T2_T3_T4_T5_,comdat
.Lfunc_end4:
	.size	_ZN2at6native27unrolled_elementwise_kernelIZNS0_12_GLOBAL__N_116addr_kernel_cudaERNS_14TensorIteratorERKN3c106ScalarES8_EUlbbbE_St5arrayIPcLm4EELi4E23TrivialOffsetCalculatorILi3EjESD_ILi1EjENS0_6memory15LoadWithoutCastENSG_16StoreWithoutCastEEEviT_T0_T2_T3_T4_T5_, .Lfunc_end4-_ZN2at6native27unrolled_elementwise_kernelIZNS0_12_GLOBAL__N_116addr_kernel_cudaERNS_14TensorIteratorERKN3c106ScalarES8_EUlbbbE_St5arrayIPcLm4EELi4E23TrivialOffsetCalculatorILi3EjESD_ILi1EjENS0_6memory15LoadWithoutCastENSG_16StoreWithoutCastEEEviT_T0_T2_T3_T4_T5_
                                        ; -- End function
	.set _ZN2at6native27unrolled_elementwise_kernelIZNS0_12_GLOBAL__N_116addr_kernel_cudaERNS_14TensorIteratorERKN3c106ScalarES8_EUlbbbE_St5arrayIPcLm4EELi4E23TrivialOffsetCalculatorILi3EjESD_ILi1EjENS0_6memory15LoadWithoutCastENSG_16StoreWithoutCastEEEviT_T0_T2_T3_T4_T5_.num_vgpr, 11
	.set _ZN2at6native27unrolled_elementwise_kernelIZNS0_12_GLOBAL__N_116addr_kernel_cudaERNS_14TensorIteratorERKN3c106ScalarES8_EUlbbbE_St5arrayIPcLm4EELi4E23TrivialOffsetCalculatorILi3EjESD_ILi1EjENS0_6memory15LoadWithoutCastENSG_16StoreWithoutCastEEEviT_T0_T2_T3_T4_T5_.num_agpr, 0
	.set _ZN2at6native27unrolled_elementwise_kernelIZNS0_12_GLOBAL__N_116addr_kernel_cudaERNS_14TensorIteratorERKN3c106ScalarES8_EUlbbbE_St5arrayIPcLm4EELi4E23TrivialOffsetCalculatorILi3EjESD_ILi1EjENS0_6memory15LoadWithoutCastENSG_16StoreWithoutCastEEEviT_T0_T2_T3_T4_T5_.numbered_sgpr, 15
	.set _ZN2at6native27unrolled_elementwise_kernelIZNS0_12_GLOBAL__N_116addr_kernel_cudaERNS_14TensorIteratorERKN3c106ScalarES8_EUlbbbE_St5arrayIPcLm4EELi4E23TrivialOffsetCalculatorILi3EjESD_ILi1EjENS0_6memory15LoadWithoutCastENSG_16StoreWithoutCastEEEviT_T0_T2_T3_T4_T5_.num_named_barrier, 0
	.set _ZN2at6native27unrolled_elementwise_kernelIZNS0_12_GLOBAL__N_116addr_kernel_cudaERNS_14TensorIteratorERKN3c106ScalarES8_EUlbbbE_St5arrayIPcLm4EELi4E23TrivialOffsetCalculatorILi3EjESD_ILi1EjENS0_6memory15LoadWithoutCastENSG_16StoreWithoutCastEEEviT_T0_T2_T3_T4_T5_.private_seg_size, 0
	.set _ZN2at6native27unrolled_elementwise_kernelIZNS0_12_GLOBAL__N_116addr_kernel_cudaERNS_14TensorIteratorERKN3c106ScalarES8_EUlbbbE_St5arrayIPcLm4EELi4E23TrivialOffsetCalculatorILi3EjESD_ILi1EjENS0_6memory15LoadWithoutCastENSG_16StoreWithoutCastEEEviT_T0_T2_T3_T4_T5_.uses_vcc, 1
	.set _ZN2at6native27unrolled_elementwise_kernelIZNS0_12_GLOBAL__N_116addr_kernel_cudaERNS_14TensorIteratorERKN3c106ScalarES8_EUlbbbE_St5arrayIPcLm4EELi4E23TrivialOffsetCalculatorILi3EjESD_ILi1EjENS0_6memory15LoadWithoutCastENSG_16StoreWithoutCastEEEviT_T0_T2_T3_T4_T5_.uses_flat_scratch, 0
	.set _ZN2at6native27unrolled_elementwise_kernelIZNS0_12_GLOBAL__N_116addr_kernel_cudaERNS_14TensorIteratorERKN3c106ScalarES8_EUlbbbE_St5arrayIPcLm4EELi4E23TrivialOffsetCalculatorILi3EjESD_ILi1EjENS0_6memory15LoadWithoutCastENSG_16StoreWithoutCastEEEviT_T0_T2_T3_T4_T5_.has_dyn_sized_stack, 0
	.set _ZN2at6native27unrolled_elementwise_kernelIZNS0_12_GLOBAL__N_116addr_kernel_cudaERNS_14TensorIteratorERKN3c106ScalarES8_EUlbbbE_St5arrayIPcLm4EELi4E23TrivialOffsetCalculatorILi3EjESD_ILi1EjENS0_6memory15LoadWithoutCastENSG_16StoreWithoutCastEEEviT_T0_T2_T3_T4_T5_.has_recursion, 0
	.set _ZN2at6native27unrolled_elementwise_kernelIZNS0_12_GLOBAL__N_116addr_kernel_cudaERNS_14TensorIteratorERKN3c106ScalarES8_EUlbbbE_St5arrayIPcLm4EELi4E23TrivialOffsetCalculatorILi3EjESD_ILi1EjENS0_6memory15LoadWithoutCastENSG_16StoreWithoutCastEEEviT_T0_T2_T3_T4_T5_.has_indirect_call, 0
	.section	.AMDGPU.csdata,"",@progbits
; Kernel info:
; codeLenInByte = 1088
; TotalNumSgprs: 17
; NumVgprs: 11
; ScratchSize: 0
; MemoryBound: 0
; FloatMode: 240
; IeeeMode: 1
; LDSByteSize: 512 bytes/workgroup (compile time only)
; SGPRBlocks: 0
; VGPRBlocks: 0
; NumSGPRsForWavesPerEU: 17
; NumVGPRsForWavesPerEU: 11
; NamedBarCnt: 0
; Occupancy: 16
; WaveLimiterHint : 0
; COMPUTE_PGM_RSRC2:SCRATCH_EN: 0
; COMPUTE_PGM_RSRC2:USER_SGPR: 4
; COMPUTE_PGM_RSRC2:TRAP_HANDLER: 0
; COMPUTE_PGM_RSRC2:TGID_X_EN: 1
; COMPUTE_PGM_RSRC2:TGID_Y_EN: 0
; COMPUTE_PGM_RSRC2:TGID_Z_EN: 0
; COMPUTE_PGM_RSRC2:TIDIG_COMP_CNT: 2
	.section	.text._ZN2at6native32elementwise_kernel_manual_unrollILi128ELi8EZNS0_22gpu_kernel_impl_nocastIZNS0_12_GLOBAL__N_116addr_kernel_cudaERNS_14TensorIteratorERKN3c106ScalarES9_EUlbbbE_EEvRNS_18TensorIteratorBaseERKT_EUlibE_EEviT1_,"axG",@progbits,_ZN2at6native32elementwise_kernel_manual_unrollILi128ELi8EZNS0_22gpu_kernel_impl_nocastIZNS0_12_GLOBAL__N_116addr_kernel_cudaERNS_14TensorIteratorERKN3c106ScalarES9_EUlbbbE_EEvRNS_18TensorIteratorBaseERKT_EUlibE_EEviT1_,comdat
	.globl	_ZN2at6native32elementwise_kernel_manual_unrollILi128ELi8EZNS0_22gpu_kernel_impl_nocastIZNS0_12_GLOBAL__N_116addr_kernel_cudaERNS_14TensorIteratorERKN3c106ScalarES9_EUlbbbE_EEvRNS_18TensorIteratorBaseERKT_EUlibE_EEviT1_ ; -- Begin function _ZN2at6native32elementwise_kernel_manual_unrollILi128ELi8EZNS0_22gpu_kernel_impl_nocastIZNS0_12_GLOBAL__N_116addr_kernel_cudaERNS_14TensorIteratorERKN3c106ScalarES9_EUlbbbE_EEvRNS_18TensorIteratorBaseERKT_EUlibE_EEviT1_
	.p2align	8
	.type	_ZN2at6native32elementwise_kernel_manual_unrollILi128ELi8EZNS0_22gpu_kernel_impl_nocastIZNS0_12_GLOBAL__N_116addr_kernel_cudaERNS_14TensorIteratorERKN3c106ScalarES9_EUlbbbE_EEvRNS_18TensorIteratorBaseERKT_EUlibE_EEviT1_,@function
_ZN2at6native32elementwise_kernel_manual_unrollILi128ELi8EZNS0_22gpu_kernel_impl_nocastIZNS0_12_GLOBAL__N_116addr_kernel_cudaERNS_14TensorIteratorERKN3c106ScalarES9_EUlbbbE_EEvRNS_18TensorIteratorBaseERKT_EUlibE_EEviT1_: ; @_ZN2at6native32elementwise_kernel_manual_unrollILi128ELi8EZNS0_22gpu_kernel_impl_nocastIZNS0_12_GLOBAL__N_116addr_kernel_cudaERNS_14TensorIteratorERKN3c106ScalarES9_EUlbbbE_EEvRNS_18TensorIteratorBaseERKT_EUlibE_EEviT1_
; %bb.0:
	s_clause 0x1
	s_load_b32 s15, s[0:1], 0x8
	s_load_b32 s35, s[0:1], 0x0
	s_bfe_u32 s2, ttmp6, 0x4000c
	s_and_b32 s3, ttmp6, 15
	s_add_co_i32 s2, s2, 1
	s_getreg_b32 s4, hwreg(HW_REG_IB_STS2, 6, 4)
	s_mul_i32 s2, ttmp9, s2
	s_add_nc_u64 s[16:17], s[0:1], 8
	s_add_co_i32 s3, s3, s2
	s_cmp_eq_u32 s4, 0
	s_mov_b32 s19, 0
	s_cselect_b32 s2, ttmp9, s3
	s_wait_xcnt 0x0
	s_mov_b32 s0, exec_lo
	v_lshl_or_b32 v0, s2, 10, v0
	s_delay_alu instid0(VALU_DEP_1) | instskip(SKIP_2) | instid1(SALU_CYCLE_1)
	v_or_b32_e32 v4, 0x380, v0
	s_wait_kmcnt 0x0
	s_add_co_i32 s28, s15, -1
	s_cmp_gt_u32 s28, 1
	s_cselect_b32 s29, -1, 0
	v_cmpx_le_i32_e64 s35, v4
	s_xor_b32 s30, exec_lo, s0
	s_cbranch_execz .LBB5_106
; %bb.1:
	s_clause 0x7
	s_load_b128 s[8:11], s[16:17], 0x4
	s_load_b64 s[0:1], s[16:17], 0x14
	s_load_b32 s23, s[16:17], 0x1e8
	s_load_b32 s31, s[16:17], 0xc4
	s_load_b96 s[12:14], s[16:17], 0xcc
	s_load_b64 s[20:21], s[16:17], 0xdc
	s_load_b64 s[2:3], s[16:17], 0x1c8
	s_load_b128 s[4:7], s[16:17], 0x1d8
	s_cmp_lg_u32 s15, 0
	s_mov_b32 s37, exec_lo
	s_cselect_b32 s36, -1, 0
	s_min_u32 s34, s28, 15
	s_cmp_gt_u32 s15, 1
	s_cselect_b32 s33, -1, 0
	s_wait_kmcnt 0x0
	s_mov_b32 s18, s9
	s_mov_b32 s22, s0
	s_bitcmp1_b32 s23, 0
	s_mov_b32 s23, s19
	s_cselect_b32 s9, -1, 0
	v_cmpx_gt_i32_e64 s35, v0
	s_cbranch_execnz .LBB5_9
; %bb.2:
	s_or_b32 exec_lo, exec_lo, s37
	s_delay_alu instid0(SALU_CYCLE_1)
	s_mov_b32 s37, exec_lo
	v_cmpx_gt_i32_e64 s35, v0
	s_cbranch_execnz .LBB5_21
.LBB5_3:
	s_or_b32 exec_lo, exec_lo, s37
	s_delay_alu instid0(SALU_CYCLE_1)
	s_mov_b32 s37, exec_lo
	v_cmpx_gt_i32_e64 s35, v0
	s_cbranch_execnz .LBB5_33
.LBB5_4:
	s_or_b32 exec_lo, exec_lo, s37
	s_delay_alu instid0(SALU_CYCLE_1)
	s_mov_b32 s37, exec_lo
	v_cmpx_gt_i32_e64 s35, v0
	s_cbranch_execnz .LBB5_45
.LBB5_5:
	s_or_b32 exec_lo, exec_lo, s37
	s_delay_alu instid0(SALU_CYCLE_1)
	s_mov_b32 s37, exec_lo
	v_cmpx_gt_i32_e64 s35, v0
	s_cbranch_execnz .LBB5_57
.LBB5_6:
	s_or_b32 exec_lo, exec_lo, s37
	s_delay_alu instid0(SALU_CYCLE_1)
	s_mov_b32 s37, exec_lo
	v_cmpx_gt_i32_e64 s35, v0
	s_cbranch_execnz .LBB5_69
.LBB5_7:
	s_or_b32 exec_lo, exec_lo, s37
	s_delay_alu instid0(SALU_CYCLE_1)
	s_mov_b32 s37, exec_lo
	v_cmpx_gt_i32_e64 s35, v0
	s_cbranch_execnz .LBB5_81
.LBB5_8:
	s_or_b32 exec_lo, exec_lo, s37
	v_cmp_gt_i32_e32 vcc_lo, s35, v0
	s_and_saveexec_b32 s35, vcc_lo
	s_cbranch_execnz .LBB5_93
	s_branch .LBB5_105
.LBB5_9:
	s_and_not1_b32 vcc_lo, exec_lo, s29
	s_cbranch_vccnz .LBB5_15
; %bb.10:
	s_and_not1_b32 vcc_lo, exec_lo, s36
	s_cbranch_vccnz .LBB5_16
; %bb.11:
	v_dual_mov_b32 v4, 0 :: v_dual_mov_b32 v1, v0
	v_dual_mov_b32 v6, 0 :: v_dual_mov_b32 v5, 0
	s_add_co_i32 s0, s34, 1
	s_mov_b64 s[24:25], 0xffffffffffffffe0
	s_and_b32 s0, s0, 30
	s_add_nc_u64 s[24:25], s[16:17], s[24:25]
	s_mov_b64 s[26:27], s[16:17]
.LBB5_12:                               ; =>This Inner Loop Header: Depth=1
	s_clause 0x1
	s_load_b128 s[40:43], s[26:27], 0x4
	s_load_b64 s[38:39], s[26:27], 0x14
	s_load_b32 s44, s[24:25], 0xe4
	s_add_co_i32 s0, s0, -2
	s_wait_xcnt 0x0
	s_add_nc_u64 s[26:27], s[26:27], 24
	s_cmp_lg_u32 s0, 0
	s_wait_kmcnt 0x0
	v_mul_hi_u32 v2, s41, v1
	s_delay_alu instid0(VALU_DEP_1) | instskip(NEXT) | instid1(VALU_DEP_1)
	v_add_nc_u32_e32 v2, v1, v2
	v_lshrrev_b32_e32 v2, s42, v2
	s_delay_alu instid0(VALU_DEP_1) | instskip(SKIP_2) | instid1(VALU_DEP_2)
	v_mul_hi_u32 v3, s38, v2
	v_mul_lo_u32 v7, v2, s40
	s_load_b96 s[40:42], s[24:25], 0xec
	v_add_nc_u32_e32 v3, v2, v3
	s_delay_alu instid0(VALU_DEP_2) | instskip(NEXT) | instid1(VALU_DEP_2)
	v_sub_nc_u32_e32 v7, v1, v7
	v_lshrrev_b32_e32 v1, s39, v3
	s_load_b64 s[38:39], s[24:25], 0xfc
	s_delay_alu instid0(VALU_DEP_2)
	v_mad_u32 v4, v7, s44, v4
	s_wait_xcnt 0x0
	s_add_nc_u64 s[24:25], s[24:25], 32
	v_mul_lo_u32 v3, v1, s43
	s_wait_kmcnt 0x0
	v_mad_u32 v5, v7, s41, v5
	v_mad_u32 v6, v7, s40, v6
	s_delay_alu instid0(VALU_DEP_3) | instskip(NEXT) | instid1(VALU_DEP_1)
	v_sub_nc_u32_e32 v2, v2, v3
	v_mad_u32 v4, v2, s42, v4
	s_delay_alu instid0(VALU_DEP_4) | instskip(NEXT) | instid1(VALU_DEP_4)
	v_mad_u32 v5, v2, s39, v5
	v_mad_u32 v6, v2, s38, v6
	s_cbranch_scc1 .LBB5_12
; %bb.13:
	s_bitcmp1_b32 s34, 0
	s_cselect_b32 s0, -1, 0
	s_delay_alu instid0(SALU_CYCLE_1)
	s_and_b32 vcc_lo, exec_lo, s0
	s_cbranch_vccnz .LBB5_17
; %bb.14:
	s_load_b96 s[40:42], s[26:27], 0x4
	s_load_b32 s0, s[24:25], 0xe4
	s_wait_xcnt 0x0
	s_load_b64 s[26:27], s[24:25], 0xec
	s_wait_kmcnt 0x0
	v_mul_hi_u32 v2, s41, v1
	s_delay_alu instid0(VALU_DEP_1) | instskip(NEXT) | instid1(VALU_DEP_1)
	v_add_nc_u32_e32 v2, v1, v2
	v_lshrrev_b32_e32 v2, s42, v2
	s_delay_alu instid0(VALU_DEP_1) | instskip(NEXT) | instid1(VALU_DEP_1)
	v_mul_lo_u32 v2, v2, s40
	v_sub_nc_u32_e32 v1, v1, v2
	s_delay_alu instid0(VALU_DEP_1)
	v_mad_u32 v4, v1, s0, v4
	v_mad_u32 v6, v1, s26, v6
	;; [unrolled: 1-line block ×3, first 2 shown]
	s_cbranch_execz .LBB5_18
	s_branch .LBB5_20
.LBB5_15:
                                        ; implicit-def: $vgpr5
                                        ; implicit-def: $vgpr6
                                        ; implicit-def: $vgpr4
	s_branch .LBB5_18
.LBB5_16:
	v_dual_mov_b32 v5, 0 :: v_dual_mov_b32 v6, 0
	v_mov_b32_e32 v4, 0
.LBB5_17:
	s_cbranch_execnz .LBB5_20
.LBB5_18:
	v_mov_b32_e32 v1, 0
	s_and_not1_b32 vcc_lo, exec_lo, s33
	s_delay_alu instid0(VALU_DEP_1) | instskip(NEXT) | instid1(VALU_DEP_1)
	v_mul_u64_e32 v[2:3], s[18:19], v[0:1]
	v_add_nc_u32_e32 v2, v0, v3
	s_delay_alu instid0(VALU_DEP_1) | instskip(NEXT) | instid1(VALU_DEP_1)
	v_lshrrev_b32_e32 v2, s10, v2
	v_mul_lo_u32 v3, v2, s8
	s_delay_alu instid0(VALU_DEP_1) | instskip(NEXT) | instid1(VALU_DEP_1)
	v_sub_nc_u32_e32 v3, v0, v3
	v_mul_lo_u32 v4, v3, s31
	v_mul_lo_u32 v5, v3, s13
	;; [unrolled: 1-line block ×3, first 2 shown]
	s_cbranch_vccnz .LBB5_20
; %bb.19:
	v_mov_b32_e32 v3, v1
	s_delay_alu instid0(VALU_DEP_1) | instskip(NEXT) | instid1(VALU_DEP_1)
	v_mul_u64_e32 v[8:9], s[22:23], v[2:3]
	v_add_nc_u32_e32 v1, v2, v9
	s_delay_alu instid0(VALU_DEP_1) | instskip(NEXT) | instid1(VALU_DEP_1)
	v_lshrrev_b32_e32 v1, s1, v1
	v_mul_lo_u32 v1, v1, s11
	s_delay_alu instid0(VALU_DEP_1) | instskip(NEXT) | instid1(VALU_DEP_1)
	v_sub_nc_u32_e32 v1, v2, v1
	v_mad_u32 v4, v1, s14, v4
	v_mad_u32 v6, v1, s20, v6
	;; [unrolled: 1-line block ×3, first 2 shown]
.LBB5_20:
	global_load_u8 v1, v6, s[4:5]
	global_load_u8 v2, v5, s[6:7]
	v_add_nc_u32_e32 v0, 0x80, v0
	s_wait_loadcnt 0x1
	v_cmp_ne_u16_e32 vcc_lo, 0, v1
	s_wait_loadcnt 0x0
	v_cmp_ne_u16_e64 s0, 0, v2
	s_and_b32 s0, vcc_lo, s0
	s_delay_alu instid0(SALU_CYCLE_1) | instskip(NEXT) | instid1(SALU_CYCLE_1)
	s_and_b32 s0, s0, s9
	v_cndmask_b32_e64 v1, 0, 1, s0
	global_store_b8 v4, v1, s[2:3]
	s_wait_xcnt 0x0
	s_or_b32 exec_lo, exec_lo, s37
	s_delay_alu instid0(SALU_CYCLE_1)
	s_mov_b32 s37, exec_lo
	v_cmpx_gt_i32_e64 s35, v0
	s_cbranch_execz .LBB5_3
.LBB5_21:
	s_and_not1_b32 vcc_lo, exec_lo, s29
	s_cbranch_vccnz .LBB5_27
; %bb.22:
	s_and_not1_b32 vcc_lo, exec_lo, s36
	s_cbranch_vccnz .LBB5_28
; %bb.23:
	v_dual_mov_b32 v4, 0 :: v_dual_mov_b32 v1, v0
	v_dual_mov_b32 v6, 0 :: v_dual_mov_b32 v5, 0
	s_add_co_i32 s0, s34, 1
	s_mov_b64 s[24:25], 0xffffffffffffffe0
	s_and_b32 s0, s0, 30
	s_add_nc_u64 s[24:25], s[16:17], s[24:25]
	s_mov_b64 s[26:27], s[16:17]
.LBB5_24:                               ; =>This Inner Loop Header: Depth=1
	s_clause 0x1
	s_load_b128 s[40:43], s[26:27], 0x4
	s_load_b64 s[38:39], s[26:27], 0x14
	s_load_b32 s44, s[24:25], 0xe4
	s_add_co_i32 s0, s0, -2
	s_wait_xcnt 0x0
	s_add_nc_u64 s[26:27], s[26:27], 24
	s_cmp_eq_u32 s0, 0
	s_wait_kmcnt 0x0
	v_mul_hi_u32 v2, s41, v1
	s_delay_alu instid0(VALU_DEP_1) | instskip(NEXT) | instid1(VALU_DEP_1)
	v_add_nc_u32_e32 v2, v1, v2
	v_lshrrev_b32_e32 v2, s42, v2
	s_delay_alu instid0(VALU_DEP_1) | instskip(SKIP_2) | instid1(VALU_DEP_2)
	v_mul_hi_u32 v3, s38, v2
	v_mul_lo_u32 v7, v2, s40
	s_load_b96 s[40:42], s[24:25], 0xec
	v_add_nc_u32_e32 v3, v2, v3
	s_delay_alu instid0(VALU_DEP_2) | instskip(NEXT) | instid1(VALU_DEP_2)
	v_sub_nc_u32_e32 v7, v1, v7
	v_lshrrev_b32_e32 v1, s39, v3
	s_load_b64 s[38:39], s[24:25], 0xfc
	s_delay_alu instid0(VALU_DEP_2)
	v_mad_u32 v4, v7, s44, v4
	s_wait_xcnt 0x0
	s_add_nc_u64 s[24:25], s[24:25], 32
	v_mul_lo_u32 v3, v1, s43
	s_wait_kmcnt 0x0
	v_mad_u32 v5, v7, s41, v5
	v_mad_u32 v6, v7, s40, v6
	s_delay_alu instid0(VALU_DEP_3) | instskip(NEXT) | instid1(VALU_DEP_1)
	v_sub_nc_u32_e32 v2, v2, v3
	v_mad_u32 v4, v2, s42, v4
	s_delay_alu instid0(VALU_DEP_4) | instskip(NEXT) | instid1(VALU_DEP_4)
	v_mad_u32 v5, v2, s39, v5
	v_mad_u32 v6, v2, s38, v6
	s_cbranch_scc0 .LBB5_24
; %bb.25:
	s_bitcmp1_b32 s34, 0
	s_cselect_b32 s0, -1, 0
	s_delay_alu instid0(SALU_CYCLE_1)
	s_and_b32 vcc_lo, exec_lo, s0
	s_cbranch_vccnz .LBB5_29
; %bb.26:
	s_load_b96 s[40:42], s[26:27], 0x4
	s_load_b32 s0, s[24:25], 0xe4
	s_wait_xcnt 0x0
	s_load_b64 s[26:27], s[24:25], 0xec
	s_wait_kmcnt 0x0
	v_mul_hi_u32 v2, s41, v1
	s_delay_alu instid0(VALU_DEP_1) | instskip(NEXT) | instid1(VALU_DEP_1)
	v_add_nc_u32_e32 v2, v1, v2
	v_lshrrev_b32_e32 v2, s42, v2
	s_delay_alu instid0(VALU_DEP_1) | instskip(NEXT) | instid1(VALU_DEP_1)
	v_mul_lo_u32 v2, v2, s40
	v_sub_nc_u32_e32 v1, v1, v2
	s_delay_alu instid0(VALU_DEP_1)
	v_mad_u32 v4, v1, s0, v4
	v_mad_u32 v6, v1, s26, v6
	;; [unrolled: 1-line block ×3, first 2 shown]
	s_branch .LBB5_29
.LBB5_27:
                                        ; implicit-def: $vgpr5
                                        ; implicit-def: $vgpr6
                                        ; implicit-def: $vgpr4
	s_branch .LBB5_30
.LBB5_28:
	v_dual_mov_b32 v5, 0 :: v_dual_mov_b32 v6, 0
	v_mov_b32_e32 v4, 0
.LBB5_29:
	s_cbranch_execnz .LBB5_32
.LBB5_30:
	v_mov_b32_e32 v1, 0
	s_and_not1_b32 vcc_lo, exec_lo, s33
	s_delay_alu instid0(VALU_DEP_1) | instskip(NEXT) | instid1(VALU_DEP_1)
	v_mul_u64_e32 v[2:3], s[18:19], v[0:1]
	v_add_nc_u32_e32 v2, v0, v3
	s_delay_alu instid0(VALU_DEP_1) | instskip(NEXT) | instid1(VALU_DEP_1)
	v_lshrrev_b32_e32 v2, s10, v2
	v_mul_lo_u32 v3, v2, s8
	s_delay_alu instid0(VALU_DEP_1) | instskip(NEXT) | instid1(VALU_DEP_1)
	v_sub_nc_u32_e32 v3, v0, v3
	v_mul_lo_u32 v4, v3, s31
	v_mul_lo_u32 v5, v3, s13
	;; [unrolled: 1-line block ×3, first 2 shown]
	s_cbranch_vccnz .LBB5_32
; %bb.31:
	v_mov_b32_e32 v3, v1
	s_delay_alu instid0(VALU_DEP_1) | instskip(NEXT) | instid1(VALU_DEP_1)
	v_mul_u64_e32 v[8:9], s[22:23], v[2:3]
	v_add_nc_u32_e32 v1, v2, v9
	s_delay_alu instid0(VALU_DEP_1) | instskip(NEXT) | instid1(VALU_DEP_1)
	v_lshrrev_b32_e32 v1, s1, v1
	v_mul_lo_u32 v1, v1, s11
	s_delay_alu instid0(VALU_DEP_1) | instskip(NEXT) | instid1(VALU_DEP_1)
	v_sub_nc_u32_e32 v1, v2, v1
	v_mad_u32 v4, v1, s14, v4
	v_mad_u32 v6, v1, s20, v6
	;; [unrolled: 1-line block ×3, first 2 shown]
.LBB5_32:
	global_load_u8 v1, v6, s[4:5]
	global_load_u8 v2, v5, s[6:7]
	v_add_nc_u32_e32 v0, 0x80, v0
	s_wait_loadcnt 0x1
	v_cmp_ne_u16_e32 vcc_lo, 0, v1
	s_wait_loadcnt 0x0
	v_cmp_ne_u16_e64 s0, 0, v2
	s_and_b32 s0, vcc_lo, s0
	s_delay_alu instid0(SALU_CYCLE_1) | instskip(NEXT) | instid1(SALU_CYCLE_1)
	s_and_b32 s0, s0, s9
	v_cndmask_b32_e64 v1, 0, 1, s0
	global_store_b8 v4, v1, s[2:3]
	s_wait_xcnt 0x0
	s_or_b32 exec_lo, exec_lo, s37
	s_delay_alu instid0(SALU_CYCLE_1)
	s_mov_b32 s37, exec_lo
	v_cmpx_gt_i32_e64 s35, v0
	s_cbranch_execz .LBB5_4
.LBB5_33:
	s_and_not1_b32 vcc_lo, exec_lo, s29
	s_cbranch_vccnz .LBB5_39
; %bb.34:
	s_and_not1_b32 vcc_lo, exec_lo, s36
	s_cbranch_vccnz .LBB5_40
; %bb.35:
	v_dual_mov_b32 v4, 0 :: v_dual_mov_b32 v1, v0
	v_dual_mov_b32 v6, 0 :: v_dual_mov_b32 v5, 0
	s_add_co_i32 s0, s34, 1
	s_mov_b64 s[24:25], 0xffffffffffffffe0
	s_and_b32 s0, s0, 30
	s_add_nc_u64 s[24:25], s[16:17], s[24:25]
	s_mov_b64 s[26:27], s[16:17]
.LBB5_36:                               ; =>This Inner Loop Header: Depth=1
	s_clause 0x1
	s_load_b128 s[40:43], s[26:27], 0x4
	s_load_b64 s[38:39], s[26:27], 0x14
	s_load_b32 s44, s[24:25], 0xe4
	s_add_co_i32 s0, s0, -2
	s_wait_xcnt 0x0
	s_add_nc_u64 s[26:27], s[26:27], 24
	s_cmp_eq_u32 s0, 0
	s_wait_kmcnt 0x0
	v_mul_hi_u32 v2, s41, v1
	s_delay_alu instid0(VALU_DEP_1) | instskip(NEXT) | instid1(VALU_DEP_1)
	v_add_nc_u32_e32 v2, v1, v2
	v_lshrrev_b32_e32 v2, s42, v2
	s_delay_alu instid0(VALU_DEP_1) | instskip(SKIP_2) | instid1(VALU_DEP_2)
	v_mul_hi_u32 v3, s38, v2
	v_mul_lo_u32 v7, v2, s40
	s_load_b96 s[40:42], s[24:25], 0xec
	v_add_nc_u32_e32 v3, v2, v3
	s_delay_alu instid0(VALU_DEP_2) | instskip(NEXT) | instid1(VALU_DEP_2)
	v_sub_nc_u32_e32 v7, v1, v7
	v_lshrrev_b32_e32 v1, s39, v3
	s_load_b64 s[38:39], s[24:25], 0xfc
	s_delay_alu instid0(VALU_DEP_2)
	v_mad_u32 v4, v7, s44, v4
	s_wait_xcnt 0x0
	s_add_nc_u64 s[24:25], s[24:25], 32
	v_mul_lo_u32 v3, v1, s43
	s_wait_kmcnt 0x0
	v_mad_u32 v5, v7, s41, v5
	v_mad_u32 v6, v7, s40, v6
	s_delay_alu instid0(VALU_DEP_3) | instskip(NEXT) | instid1(VALU_DEP_1)
	v_sub_nc_u32_e32 v2, v2, v3
	v_mad_u32 v4, v2, s42, v4
	s_delay_alu instid0(VALU_DEP_4) | instskip(NEXT) | instid1(VALU_DEP_4)
	v_mad_u32 v5, v2, s39, v5
	v_mad_u32 v6, v2, s38, v6
	s_cbranch_scc0 .LBB5_36
; %bb.37:
	s_bitcmp1_b32 s34, 0
	s_cselect_b32 s0, -1, 0
	s_delay_alu instid0(SALU_CYCLE_1)
	s_and_b32 vcc_lo, exec_lo, s0
	s_cbranch_vccnz .LBB5_41
; %bb.38:
	s_load_b96 s[40:42], s[26:27], 0x4
	s_load_b32 s0, s[24:25], 0xe4
	s_wait_xcnt 0x0
	s_load_b64 s[26:27], s[24:25], 0xec
	s_wait_kmcnt 0x0
	v_mul_hi_u32 v2, s41, v1
	s_delay_alu instid0(VALU_DEP_1) | instskip(NEXT) | instid1(VALU_DEP_1)
	v_add_nc_u32_e32 v2, v1, v2
	v_lshrrev_b32_e32 v2, s42, v2
	s_delay_alu instid0(VALU_DEP_1) | instskip(NEXT) | instid1(VALU_DEP_1)
	v_mul_lo_u32 v2, v2, s40
	v_sub_nc_u32_e32 v1, v1, v2
	s_delay_alu instid0(VALU_DEP_1)
	v_mad_u32 v4, v1, s0, v4
	v_mad_u32 v6, v1, s26, v6
	v_mad_u32 v5, v1, s27, v5
	s_branch .LBB5_41
.LBB5_39:
                                        ; implicit-def: $vgpr5
                                        ; implicit-def: $vgpr6
                                        ; implicit-def: $vgpr4
	s_branch .LBB5_42
.LBB5_40:
	v_dual_mov_b32 v5, 0 :: v_dual_mov_b32 v6, 0
	v_mov_b32_e32 v4, 0
.LBB5_41:
	s_cbranch_execnz .LBB5_44
.LBB5_42:
	v_mov_b32_e32 v1, 0
	s_and_not1_b32 vcc_lo, exec_lo, s33
	s_delay_alu instid0(VALU_DEP_1) | instskip(NEXT) | instid1(VALU_DEP_1)
	v_mul_u64_e32 v[2:3], s[18:19], v[0:1]
	v_add_nc_u32_e32 v2, v0, v3
	s_delay_alu instid0(VALU_DEP_1) | instskip(NEXT) | instid1(VALU_DEP_1)
	v_lshrrev_b32_e32 v2, s10, v2
	v_mul_lo_u32 v3, v2, s8
	s_delay_alu instid0(VALU_DEP_1) | instskip(NEXT) | instid1(VALU_DEP_1)
	v_sub_nc_u32_e32 v3, v0, v3
	v_mul_lo_u32 v4, v3, s31
	v_mul_lo_u32 v5, v3, s13
	;; [unrolled: 1-line block ×3, first 2 shown]
	s_cbranch_vccnz .LBB5_44
; %bb.43:
	v_mov_b32_e32 v3, v1
	s_delay_alu instid0(VALU_DEP_1) | instskip(NEXT) | instid1(VALU_DEP_1)
	v_mul_u64_e32 v[8:9], s[22:23], v[2:3]
	v_add_nc_u32_e32 v1, v2, v9
	s_delay_alu instid0(VALU_DEP_1) | instskip(NEXT) | instid1(VALU_DEP_1)
	v_lshrrev_b32_e32 v1, s1, v1
	v_mul_lo_u32 v1, v1, s11
	s_delay_alu instid0(VALU_DEP_1) | instskip(NEXT) | instid1(VALU_DEP_1)
	v_sub_nc_u32_e32 v1, v2, v1
	v_mad_u32 v4, v1, s14, v4
	v_mad_u32 v6, v1, s20, v6
	;; [unrolled: 1-line block ×3, first 2 shown]
.LBB5_44:
	global_load_u8 v1, v6, s[4:5]
	global_load_u8 v2, v5, s[6:7]
	v_add_nc_u32_e32 v0, 0x80, v0
	s_wait_loadcnt 0x1
	v_cmp_ne_u16_e32 vcc_lo, 0, v1
	s_wait_loadcnt 0x0
	v_cmp_ne_u16_e64 s0, 0, v2
	s_and_b32 s0, vcc_lo, s0
	s_delay_alu instid0(SALU_CYCLE_1) | instskip(NEXT) | instid1(SALU_CYCLE_1)
	s_and_b32 s0, s0, s9
	v_cndmask_b32_e64 v1, 0, 1, s0
	global_store_b8 v4, v1, s[2:3]
	s_wait_xcnt 0x0
	s_or_b32 exec_lo, exec_lo, s37
	s_delay_alu instid0(SALU_CYCLE_1)
	s_mov_b32 s37, exec_lo
	v_cmpx_gt_i32_e64 s35, v0
	s_cbranch_execz .LBB5_5
.LBB5_45:
	s_and_not1_b32 vcc_lo, exec_lo, s29
	s_cbranch_vccnz .LBB5_51
; %bb.46:
	s_and_not1_b32 vcc_lo, exec_lo, s36
	s_cbranch_vccnz .LBB5_52
; %bb.47:
	v_dual_mov_b32 v4, 0 :: v_dual_mov_b32 v1, v0
	v_dual_mov_b32 v6, 0 :: v_dual_mov_b32 v5, 0
	s_add_co_i32 s0, s34, 1
	s_mov_b64 s[24:25], 0xffffffffffffffe0
	s_and_b32 s0, s0, 30
	s_add_nc_u64 s[24:25], s[16:17], s[24:25]
	s_mov_b64 s[26:27], s[16:17]
.LBB5_48:                               ; =>This Inner Loop Header: Depth=1
	s_clause 0x1
	s_load_b128 s[40:43], s[26:27], 0x4
	s_load_b64 s[38:39], s[26:27], 0x14
	s_load_b32 s44, s[24:25], 0xe4
	s_add_co_i32 s0, s0, -2
	s_wait_xcnt 0x0
	s_add_nc_u64 s[26:27], s[26:27], 24
	s_cmp_eq_u32 s0, 0
	s_wait_kmcnt 0x0
	v_mul_hi_u32 v2, s41, v1
	s_delay_alu instid0(VALU_DEP_1) | instskip(NEXT) | instid1(VALU_DEP_1)
	v_add_nc_u32_e32 v2, v1, v2
	v_lshrrev_b32_e32 v2, s42, v2
	s_delay_alu instid0(VALU_DEP_1) | instskip(SKIP_2) | instid1(VALU_DEP_2)
	v_mul_hi_u32 v3, s38, v2
	v_mul_lo_u32 v7, v2, s40
	s_load_b96 s[40:42], s[24:25], 0xec
	v_add_nc_u32_e32 v3, v2, v3
	s_delay_alu instid0(VALU_DEP_2) | instskip(NEXT) | instid1(VALU_DEP_2)
	v_sub_nc_u32_e32 v7, v1, v7
	v_lshrrev_b32_e32 v1, s39, v3
	s_load_b64 s[38:39], s[24:25], 0xfc
	s_delay_alu instid0(VALU_DEP_2)
	v_mad_u32 v4, v7, s44, v4
	s_wait_xcnt 0x0
	s_add_nc_u64 s[24:25], s[24:25], 32
	v_mul_lo_u32 v3, v1, s43
	s_wait_kmcnt 0x0
	v_mad_u32 v5, v7, s41, v5
	v_mad_u32 v6, v7, s40, v6
	s_delay_alu instid0(VALU_DEP_3) | instskip(NEXT) | instid1(VALU_DEP_1)
	v_sub_nc_u32_e32 v2, v2, v3
	v_mad_u32 v4, v2, s42, v4
	s_delay_alu instid0(VALU_DEP_4) | instskip(NEXT) | instid1(VALU_DEP_4)
	v_mad_u32 v5, v2, s39, v5
	v_mad_u32 v6, v2, s38, v6
	s_cbranch_scc0 .LBB5_48
; %bb.49:
	s_bitcmp1_b32 s34, 0
	s_cselect_b32 s0, -1, 0
	s_delay_alu instid0(SALU_CYCLE_1)
	s_and_b32 vcc_lo, exec_lo, s0
	s_cbranch_vccnz .LBB5_53
; %bb.50:
	s_load_b96 s[40:42], s[26:27], 0x4
	s_load_b32 s0, s[24:25], 0xe4
	s_wait_xcnt 0x0
	s_load_b64 s[26:27], s[24:25], 0xec
	s_wait_kmcnt 0x0
	v_mul_hi_u32 v2, s41, v1
	s_delay_alu instid0(VALU_DEP_1) | instskip(NEXT) | instid1(VALU_DEP_1)
	v_add_nc_u32_e32 v2, v1, v2
	v_lshrrev_b32_e32 v2, s42, v2
	s_delay_alu instid0(VALU_DEP_1) | instskip(NEXT) | instid1(VALU_DEP_1)
	v_mul_lo_u32 v2, v2, s40
	v_sub_nc_u32_e32 v1, v1, v2
	s_delay_alu instid0(VALU_DEP_1)
	v_mad_u32 v4, v1, s0, v4
	v_mad_u32 v6, v1, s26, v6
	;; [unrolled: 1-line block ×3, first 2 shown]
	s_branch .LBB5_53
.LBB5_51:
                                        ; implicit-def: $vgpr5
                                        ; implicit-def: $vgpr6
                                        ; implicit-def: $vgpr4
	s_branch .LBB5_54
.LBB5_52:
	v_dual_mov_b32 v5, 0 :: v_dual_mov_b32 v6, 0
	v_mov_b32_e32 v4, 0
.LBB5_53:
	s_cbranch_execnz .LBB5_56
.LBB5_54:
	v_mov_b32_e32 v1, 0
	s_and_not1_b32 vcc_lo, exec_lo, s33
	s_delay_alu instid0(VALU_DEP_1) | instskip(NEXT) | instid1(VALU_DEP_1)
	v_mul_u64_e32 v[2:3], s[18:19], v[0:1]
	v_add_nc_u32_e32 v2, v0, v3
	s_delay_alu instid0(VALU_DEP_1) | instskip(NEXT) | instid1(VALU_DEP_1)
	v_lshrrev_b32_e32 v2, s10, v2
	v_mul_lo_u32 v3, v2, s8
	s_delay_alu instid0(VALU_DEP_1) | instskip(NEXT) | instid1(VALU_DEP_1)
	v_sub_nc_u32_e32 v3, v0, v3
	v_mul_lo_u32 v4, v3, s31
	v_mul_lo_u32 v5, v3, s13
	v_mul_lo_u32 v6, v3, s12
	s_cbranch_vccnz .LBB5_56
; %bb.55:
	v_mov_b32_e32 v3, v1
	s_delay_alu instid0(VALU_DEP_1) | instskip(NEXT) | instid1(VALU_DEP_1)
	v_mul_u64_e32 v[8:9], s[22:23], v[2:3]
	v_add_nc_u32_e32 v1, v2, v9
	s_delay_alu instid0(VALU_DEP_1) | instskip(NEXT) | instid1(VALU_DEP_1)
	v_lshrrev_b32_e32 v1, s1, v1
	v_mul_lo_u32 v1, v1, s11
	s_delay_alu instid0(VALU_DEP_1) | instskip(NEXT) | instid1(VALU_DEP_1)
	v_sub_nc_u32_e32 v1, v2, v1
	v_mad_u32 v4, v1, s14, v4
	v_mad_u32 v6, v1, s20, v6
	;; [unrolled: 1-line block ×3, first 2 shown]
.LBB5_56:
	global_load_u8 v1, v6, s[4:5]
	global_load_u8 v2, v5, s[6:7]
	v_add_nc_u32_e32 v0, 0x80, v0
	s_wait_loadcnt 0x1
	v_cmp_ne_u16_e32 vcc_lo, 0, v1
	s_wait_loadcnt 0x0
	v_cmp_ne_u16_e64 s0, 0, v2
	s_and_b32 s0, vcc_lo, s0
	s_delay_alu instid0(SALU_CYCLE_1) | instskip(NEXT) | instid1(SALU_CYCLE_1)
	s_and_b32 s0, s0, s9
	v_cndmask_b32_e64 v1, 0, 1, s0
	global_store_b8 v4, v1, s[2:3]
	s_wait_xcnt 0x0
	s_or_b32 exec_lo, exec_lo, s37
	s_delay_alu instid0(SALU_CYCLE_1)
	s_mov_b32 s37, exec_lo
	v_cmpx_gt_i32_e64 s35, v0
	s_cbranch_execz .LBB5_6
.LBB5_57:
	s_and_not1_b32 vcc_lo, exec_lo, s29
	s_cbranch_vccnz .LBB5_63
; %bb.58:
	s_and_not1_b32 vcc_lo, exec_lo, s36
	s_cbranch_vccnz .LBB5_64
; %bb.59:
	v_dual_mov_b32 v4, 0 :: v_dual_mov_b32 v1, v0
	v_dual_mov_b32 v6, 0 :: v_dual_mov_b32 v5, 0
	s_add_co_i32 s0, s34, 1
	s_mov_b64 s[24:25], 0xffffffffffffffe0
	s_and_b32 s0, s0, 30
	s_add_nc_u64 s[24:25], s[16:17], s[24:25]
	s_mov_b64 s[26:27], s[16:17]
.LBB5_60:                               ; =>This Inner Loop Header: Depth=1
	s_clause 0x1
	s_load_b128 s[40:43], s[26:27], 0x4
	s_load_b64 s[38:39], s[26:27], 0x14
	s_load_b32 s44, s[24:25], 0xe4
	s_add_co_i32 s0, s0, -2
	s_wait_xcnt 0x0
	s_add_nc_u64 s[26:27], s[26:27], 24
	s_cmp_eq_u32 s0, 0
	s_wait_kmcnt 0x0
	v_mul_hi_u32 v2, s41, v1
	s_delay_alu instid0(VALU_DEP_1) | instskip(NEXT) | instid1(VALU_DEP_1)
	v_add_nc_u32_e32 v2, v1, v2
	v_lshrrev_b32_e32 v2, s42, v2
	s_delay_alu instid0(VALU_DEP_1) | instskip(SKIP_2) | instid1(VALU_DEP_2)
	v_mul_hi_u32 v3, s38, v2
	v_mul_lo_u32 v7, v2, s40
	s_load_b96 s[40:42], s[24:25], 0xec
	v_add_nc_u32_e32 v3, v2, v3
	s_delay_alu instid0(VALU_DEP_2) | instskip(NEXT) | instid1(VALU_DEP_2)
	v_sub_nc_u32_e32 v7, v1, v7
	v_lshrrev_b32_e32 v1, s39, v3
	s_load_b64 s[38:39], s[24:25], 0xfc
	s_delay_alu instid0(VALU_DEP_2)
	v_mad_u32 v4, v7, s44, v4
	s_wait_xcnt 0x0
	s_add_nc_u64 s[24:25], s[24:25], 32
	v_mul_lo_u32 v3, v1, s43
	s_wait_kmcnt 0x0
	v_mad_u32 v5, v7, s41, v5
	v_mad_u32 v6, v7, s40, v6
	s_delay_alu instid0(VALU_DEP_3) | instskip(NEXT) | instid1(VALU_DEP_1)
	v_sub_nc_u32_e32 v2, v2, v3
	v_mad_u32 v4, v2, s42, v4
	s_delay_alu instid0(VALU_DEP_4) | instskip(NEXT) | instid1(VALU_DEP_4)
	v_mad_u32 v5, v2, s39, v5
	v_mad_u32 v6, v2, s38, v6
	s_cbranch_scc0 .LBB5_60
; %bb.61:
	s_bitcmp1_b32 s34, 0
	s_cselect_b32 s0, -1, 0
	s_delay_alu instid0(SALU_CYCLE_1)
	s_and_b32 vcc_lo, exec_lo, s0
	s_cbranch_vccnz .LBB5_65
; %bb.62:
	s_load_b96 s[40:42], s[26:27], 0x4
	s_load_b32 s0, s[24:25], 0xe4
	s_wait_xcnt 0x0
	s_load_b64 s[26:27], s[24:25], 0xec
	s_wait_kmcnt 0x0
	v_mul_hi_u32 v2, s41, v1
	s_delay_alu instid0(VALU_DEP_1) | instskip(NEXT) | instid1(VALU_DEP_1)
	v_add_nc_u32_e32 v2, v1, v2
	v_lshrrev_b32_e32 v2, s42, v2
	s_delay_alu instid0(VALU_DEP_1) | instskip(NEXT) | instid1(VALU_DEP_1)
	v_mul_lo_u32 v2, v2, s40
	v_sub_nc_u32_e32 v1, v1, v2
	s_delay_alu instid0(VALU_DEP_1)
	v_mad_u32 v4, v1, s0, v4
	v_mad_u32 v6, v1, s26, v6
	;; [unrolled: 1-line block ×3, first 2 shown]
	s_branch .LBB5_65
.LBB5_63:
                                        ; implicit-def: $vgpr5
                                        ; implicit-def: $vgpr6
                                        ; implicit-def: $vgpr4
	s_branch .LBB5_66
.LBB5_64:
	v_dual_mov_b32 v5, 0 :: v_dual_mov_b32 v6, 0
	v_mov_b32_e32 v4, 0
.LBB5_65:
	s_cbranch_execnz .LBB5_68
.LBB5_66:
	v_mov_b32_e32 v1, 0
	s_and_not1_b32 vcc_lo, exec_lo, s33
	s_delay_alu instid0(VALU_DEP_1) | instskip(NEXT) | instid1(VALU_DEP_1)
	v_mul_u64_e32 v[2:3], s[18:19], v[0:1]
	v_add_nc_u32_e32 v2, v0, v3
	s_delay_alu instid0(VALU_DEP_1) | instskip(NEXT) | instid1(VALU_DEP_1)
	v_lshrrev_b32_e32 v2, s10, v2
	v_mul_lo_u32 v3, v2, s8
	s_delay_alu instid0(VALU_DEP_1) | instskip(NEXT) | instid1(VALU_DEP_1)
	v_sub_nc_u32_e32 v3, v0, v3
	v_mul_lo_u32 v4, v3, s31
	v_mul_lo_u32 v5, v3, s13
	;; [unrolled: 1-line block ×3, first 2 shown]
	s_cbranch_vccnz .LBB5_68
; %bb.67:
	v_mov_b32_e32 v3, v1
	s_delay_alu instid0(VALU_DEP_1) | instskip(NEXT) | instid1(VALU_DEP_1)
	v_mul_u64_e32 v[8:9], s[22:23], v[2:3]
	v_add_nc_u32_e32 v1, v2, v9
	s_delay_alu instid0(VALU_DEP_1) | instskip(NEXT) | instid1(VALU_DEP_1)
	v_lshrrev_b32_e32 v1, s1, v1
	v_mul_lo_u32 v1, v1, s11
	s_delay_alu instid0(VALU_DEP_1) | instskip(NEXT) | instid1(VALU_DEP_1)
	v_sub_nc_u32_e32 v1, v2, v1
	v_mad_u32 v4, v1, s14, v4
	v_mad_u32 v6, v1, s20, v6
	;; [unrolled: 1-line block ×3, first 2 shown]
.LBB5_68:
	global_load_u8 v1, v6, s[4:5]
	global_load_u8 v2, v5, s[6:7]
	v_add_nc_u32_e32 v0, 0x80, v0
	s_wait_loadcnt 0x1
	v_cmp_ne_u16_e32 vcc_lo, 0, v1
	s_wait_loadcnt 0x0
	v_cmp_ne_u16_e64 s0, 0, v2
	s_and_b32 s0, vcc_lo, s0
	s_delay_alu instid0(SALU_CYCLE_1) | instskip(NEXT) | instid1(SALU_CYCLE_1)
	s_and_b32 s0, s0, s9
	v_cndmask_b32_e64 v1, 0, 1, s0
	global_store_b8 v4, v1, s[2:3]
	s_wait_xcnt 0x0
	s_or_b32 exec_lo, exec_lo, s37
	s_delay_alu instid0(SALU_CYCLE_1)
	s_mov_b32 s37, exec_lo
	v_cmpx_gt_i32_e64 s35, v0
	s_cbranch_execz .LBB5_7
.LBB5_69:
	s_and_not1_b32 vcc_lo, exec_lo, s29
	s_cbranch_vccnz .LBB5_75
; %bb.70:
	s_and_not1_b32 vcc_lo, exec_lo, s36
	s_cbranch_vccnz .LBB5_76
; %bb.71:
	v_dual_mov_b32 v4, 0 :: v_dual_mov_b32 v1, v0
	v_dual_mov_b32 v6, 0 :: v_dual_mov_b32 v5, 0
	s_add_co_i32 s0, s34, 1
	s_mov_b64 s[24:25], 0xffffffffffffffe0
	s_and_b32 s0, s0, 30
	s_add_nc_u64 s[24:25], s[16:17], s[24:25]
	s_mov_b64 s[26:27], s[16:17]
.LBB5_72:                               ; =>This Inner Loop Header: Depth=1
	s_clause 0x1
	s_load_b128 s[40:43], s[26:27], 0x4
	s_load_b64 s[38:39], s[26:27], 0x14
	s_load_b32 s44, s[24:25], 0xe4
	s_add_co_i32 s0, s0, -2
	s_wait_xcnt 0x0
	s_add_nc_u64 s[26:27], s[26:27], 24
	s_cmp_eq_u32 s0, 0
	s_wait_kmcnt 0x0
	v_mul_hi_u32 v2, s41, v1
	s_delay_alu instid0(VALU_DEP_1) | instskip(NEXT) | instid1(VALU_DEP_1)
	v_add_nc_u32_e32 v2, v1, v2
	v_lshrrev_b32_e32 v2, s42, v2
	s_delay_alu instid0(VALU_DEP_1) | instskip(SKIP_2) | instid1(VALU_DEP_2)
	v_mul_hi_u32 v3, s38, v2
	v_mul_lo_u32 v7, v2, s40
	s_load_b96 s[40:42], s[24:25], 0xec
	v_add_nc_u32_e32 v3, v2, v3
	s_delay_alu instid0(VALU_DEP_2) | instskip(NEXT) | instid1(VALU_DEP_2)
	v_sub_nc_u32_e32 v7, v1, v7
	v_lshrrev_b32_e32 v1, s39, v3
	s_load_b64 s[38:39], s[24:25], 0xfc
	s_delay_alu instid0(VALU_DEP_2)
	v_mad_u32 v4, v7, s44, v4
	s_wait_xcnt 0x0
	s_add_nc_u64 s[24:25], s[24:25], 32
	v_mul_lo_u32 v3, v1, s43
	s_wait_kmcnt 0x0
	v_mad_u32 v5, v7, s41, v5
	v_mad_u32 v6, v7, s40, v6
	s_delay_alu instid0(VALU_DEP_3) | instskip(NEXT) | instid1(VALU_DEP_1)
	v_sub_nc_u32_e32 v2, v2, v3
	v_mad_u32 v4, v2, s42, v4
	s_delay_alu instid0(VALU_DEP_4) | instskip(NEXT) | instid1(VALU_DEP_4)
	v_mad_u32 v5, v2, s39, v5
	v_mad_u32 v6, v2, s38, v6
	s_cbranch_scc0 .LBB5_72
; %bb.73:
	s_bitcmp1_b32 s34, 0
	s_cselect_b32 s0, -1, 0
	s_delay_alu instid0(SALU_CYCLE_1)
	s_and_b32 vcc_lo, exec_lo, s0
	s_cbranch_vccnz .LBB5_77
; %bb.74:
	s_load_b96 s[40:42], s[26:27], 0x4
	s_load_b32 s0, s[24:25], 0xe4
	s_wait_xcnt 0x0
	s_load_b64 s[26:27], s[24:25], 0xec
	s_wait_kmcnt 0x0
	v_mul_hi_u32 v2, s41, v1
	s_delay_alu instid0(VALU_DEP_1) | instskip(NEXT) | instid1(VALU_DEP_1)
	v_add_nc_u32_e32 v2, v1, v2
	v_lshrrev_b32_e32 v2, s42, v2
	s_delay_alu instid0(VALU_DEP_1) | instskip(NEXT) | instid1(VALU_DEP_1)
	v_mul_lo_u32 v2, v2, s40
	v_sub_nc_u32_e32 v1, v1, v2
	s_delay_alu instid0(VALU_DEP_1)
	v_mad_u32 v4, v1, s0, v4
	v_mad_u32 v6, v1, s26, v6
	;; [unrolled: 1-line block ×3, first 2 shown]
	s_branch .LBB5_77
.LBB5_75:
                                        ; implicit-def: $vgpr5
                                        ; implicit-def: $vgpr6
                                        ; implicit-def: $vgpr4
	s_branch .LBB5_78
.LBB5_76:
	v_dual_mov_b32 v5, 0 :: v_dual_mov_b32 v6, 0
	v_mov_b32_e32 v4, 0
.LBB5_77:
	s_cbranch_execnz .LBB5_80
.LBB5_78:
	v_mov_b32_e32 v1, 0
	s_and_not1_b32 vcc_lo, exec_lo, s33
	s_delay_alu instid0(VALU_DEP_1) | instskip(NEXT) | instid1(VALU_DEP_1)
	v_mul_u64_e32 v[2:3], s[18:19], v[0:1]
	v_add_nc_u32_e32 v2, v0, v3
	s_delay_alu instid0(VALU_DEP_1) | instskip(NEXT) | instid1(VALU_DEP_1)
	v_lshrrev_b32_e32 v2, s10, v2
	v_mul_lo_u32 v3, v2, s8
	s_delay_alu instid0(VALU_DEP_1) | instskip(NEXT) | instid1(VALU_DEP_1)
	v_sub_nc_u32_e32 v3, v0, v3
	v_mul_lo_u32 v4, v3, s31
	v_mul_lo_u32 v5, v3, s13
	;; [unrolled: 1-line block ×3, first 2 shown]
	s_cbranch_vccnz .LBB5_80
; %bb.79:
	v_mov_b32_e32 v3, v1
	s_delay_alu instid0(VALU_DEP_1) | instskip(NEXT) | instid1(VALU_DEP_1)
	v_mul_u64_e32 v[8:9], s[22:23], v[2:3]
	v_add_nc_u32_e32 v1, v2, v9
	s_delay_alu instid0(VALU_DEP_1) | instskip(NEXT) | instid1(VALU_DEP_1)
	v_lshrrev_b32_e32 v1, s1, v1
	v_mul_lo_u32 v1, v1, s11
	s_delay_alu instid0(VALU_DEP_1) | instskip(NEXT) | instid1(VALU_DEP_1)
	v_sub_nc_u32_e32 v1, v2, v1
	v_mad_u32 v4, v1, s14, v4
	v_mad_u32 v6, v1, s20, v6
	;; [unrolled: 1-line block ×3, first 2 shown]
.LBB5_80:
	global_load_u8 v1, v6, s[4:5]
	global_load_u8 v2, v5, s[6:7]
	v_add_nc_u32_e32 v0, 0x80, v0
	s_wait_loadcnt 0x1
	v_cmp_ne_u16_e32 vcc_lo, 0, v1
	s_wait_loadcnt 0x0
	v_cmp_ne_u16_e64 s0, 0, v2
	s_and_b32 s0, vcc_lo, s0
	s_delay_alu instid0(SALU_CYCLE_1) | instskip(NEXT) | instid1(SALU_CYCLE_1)
	s_and_b32 s0, s0, s9
	v_cndmask_b32_e64 v1, 0, 1, s0
	global_store_b8 v4, v1, s[2:3]
	s_wait_xcnt 0x0
	s_or_b32 exec_lo, exec_lo, s37
	s_delay_alu instid0(SALU_CYCLE_1)
	s_mov_b32 s37, exec_lo
	v_cmpx_gt_i32_e64 s35, v0
	s_cbranch_execz .LBB5_8
.LBB5_81:
	s_and_not1_b32 vcc_lo, exec_lo, s29
	s_cbranch_vccnz .LBB5_87
; %bb.82:
	s_and_not1_b32 vcc_lo, exec_lo, s36
	s_cbranch_vccnz .LBB5_88
; %bb.83:
	v_dual_mov_b32 v4, 0 :: v_dual_mov_b32 v1, v0
	v_dual_mov_b32 v6, 0 :: v_dual_mov_b32 v5, 0
	s_add_co_i32 s0, s34, 1
	s_mov_b64 s[24:25], 0xffffffffffffffe0
	s_and_b32 s0, s0, 30
	s_add_nc_u64 s[24:25], s[16:17], s[24:25]
	s_mov_b64 s[26:27], s[16:17]
.LBB5_84:                               ; =>This Inner Loop Header: Depth=1
	s_clause 0x1
	s_load_b128 s[40:43], s[26:27], 0x4
	s_load_b64 s[38:39], s[26:27], 0x14
	s_load_b32 s44, s[24:25], 0xe4
	s_add_co_i32 s0, s0, -2
	s_wait_xcnt 0x0
	s_add_nc_u64 s[26:27], s[26:27], 24
	s_cmp_eq_u32 s0, 0
	s_wait_kmcnt 0x0
	v_mul_hi_u32 v2, s41, v1
	s_delay_alu instid0(VALU_DEP_1) | instskip(NEXT) | instid1(VALU_DEP_1)
	v_add_nc_u32_e32 v2, v1, v2
	v_lshrrev_b32_e32 v2, s42, v2
	s_delay_alu instid0(VALU_DEP_1) | instskip(SKIP_2) | instid1(VALU_DEP_2)
	v_mul_hi_u32 v3, s38, v2
	v_mul_lo_u32 v7, v2, s40
	s_load_b96 s[40:42], s[24:25], 0xec
	v_add_nc_u32_e32 v3, v2, v3
	s_delay_alu instid0(VALU_DEP_2) | instskip(NEXT) | instid1(VALU_DEP_2)
	v_sub_nc_u32_e32 v7, v1, v7
	v_lshrrev_b32_e32 v1, s39, v3
	s_load_b64 s[38:39], s[24:25], 0xfc
	s_delay_alu instid0(VALU_DEP_2)
	v_mad_u32 v4, v7, s44, v4
	s_wait_xcnt 0x0
	s_add_nc_u64 s[24:25], s[24:25], 32
	v_mul_lo_u32 v3, v1, s43
	s_wait_kmcnt 0x0
	v_mad_u32 v5, v7, s41, v5
	v_mad_u32 v6, v7, s40, v6
	s_delay_alu instid0(VALU_DEP_3) | instskip(NEXT) | instid1(VALU_DEP_1)
	v_sub_nc_u32_e32 v2, v2, v3
	v_mad_u32 v4, v2, s42, v4
	s_delay_alu instid0(VALU_DEP_4) | instskip(NEXT) | instid1(VALU_DEP_4)
	v_mad_u32 v5, v2, s39, v5
	v_mad_u32 v6, v2, s38, v6
	s_cbranch_scc0 .LBB5_84
; %bb.85:
	s_bitcmp1_b32 s34, 0
	s_cselect_b32 s0, -1, 0
	s_delay_alu instid0(SALU_CYCLE_1)
	s_and_b32 vcc_lo, exec_lo, s0
	s_cbranch_vccnz .LBB5_89
; %bb.86:
	s_load_b96 s[40:42], s[26:27], 0x4
	s_load_b32 s0, s[24:25], 0xe4
	s_wait_xcnt 0x0
	s_load_b64 s[26:27], s[24:25], 0xec
	s_wait_kmcnt 0x0
	v_mul_hi_u32 v2, s41, v1
	s_delay_alu instid0(VALU_DEP_1) | instskip(NEXT) | instid1(VALU_DEP_1)
	v_add_nc_u32_e32 v2, v1, v2
	v_lshrrev_b32_e32 v2, s42, v2
	s_delay_alu instid0(VALU_DEP_1) | instskip(NEXT) | instid1(VALU_DEP_1)
	v_mul_lo_u32 v2, v2, s40
	v_sub_nc_u32_e32 v1, v1, v2
	s_delay_alu instid0(VALU_DEP_1)
	v_mad_u32 v4, v1, s0, v4
	v_mad_u32 v6, v1, s26, v6
	;; [unrolled: 1-line block ×3, first 2 shown]
	s_branch .LBB5_89
.LBB5_87:
                                        ; implicit-def: $vgpr5
                                        ; implicit-def: $vgpr6
                                        ; implicit-def: $vgpr4
	s_branch .LBB5_90
.LBB5_88:
	v_dual_mov_b32 v5, 0 :: v_dual_mov_b32 v6, 0
	v_mov_b32_e32 v4, 0
.LBB5_89:
	s_cbranch_execnz .LBB5_92
.LBB5_90:
	v_mov_b32_e32 v1, 0
	s_and_not1_b32 vcc_lo, exec_lo, s33
	s_delay_alu instid0(VALU_DEP_1) | instskip(NEXT) | instid1(VALU_DEP_1)
	v_mul_u64_e32 v[2:3], s[18:19], v[0:1]
	v_add_nc_u32_e32 v2, v0, v3
	s_delay_alu instid0(VALU_DEP_1) | instskip(NEXT) | instid1(VALU_DEP_1)
	v_lshrrev_b32_e32 v2, s10, v2
	v_mul_lo_u32 v3, v2, s8
	s_delay_alu instid0(VALU_DEP_1) | instskip(NEXT) | instid1(VALU_DEP_1)
	v_sub_nc_u32_e32 v3, v0, v3
	v_mul_lo_u32 v4, v3, s31
	v_mul_lo_u32 v5, v3, s13
	;; [unrolled: 1-line block ×3, first 2 shown]
	s_cbranch_vccnz .LBB5_92
; %bb.91:
	v_mov_b32_e32 v3, v1
	s_delay_alu instid0(VALU_DEP_1) | instskip(NEXT) | instid1(VALU_DEP_1)
	v_mul_u64_e32 v[8:9], s[22:23], v[2:3]
	v_add_nc_u32_e32 v1, v2, v9
	s_delay_alu instid0(VALU_DEP_1) | instskip(NEXT) | instid1(VALU_DEP_1)
	v_lshrrev_b32_e32 v1, s1, v1
	v_mul_lo_u32 v1, v1, s11
	s_delay_alu instid0(VALU_DEP_1) | instskip(NEXT) | instid1(VALU_DEP_1)
	v_sub_nc_u32_e32 v1, v2, v1
	v_mad_u32 v4, v1, s14, v4
	v_mad_u32 v6, v1, s20, v6
	;; [unrolled: 1-line block ×3, first 2 shown]
.LBB5_92:
	global_load_u8 v1, v6, s[4:5]
	global_load_u8 v2, v5, s[6:7]
	v_add_nc_u32_e32 v0, 0x80, v0
	s_wait_loadcnt 0x1
	v_cmp_ne_u16_e32 vcc_lo, 0, v1
	s_wait_loadcnt 0x0
	v_cmp_ne_u16_e64 s0, 0, v2
	s_and_b32 s0, vcc_lo, s0
	s_delay_alu instid0(SALU_CYCLE_1) | instskip(NEXT) | instid1(SALU_CYCLE_1)
	s_and_b32 s0, s0, s9
	v_cndmask_b32_e64 v1, 0, 1, s0
	global_store_b8 v4, v1, s[2:3]
	s_wait_xcnt 0x0
	s_or_b32 exec_lo, exec_lo, s37
	v_cmp_gt_i32_e32 vcc_lo, s35, v0
	s_and_saveexec_b32 s35, vcc_lo
	s_cbranch_execz .LBB5_105
.LBB5_93:
	s_and_not1_b32 vcc_lo, exec_lo, s29
	s_cbranch_vccnz .LBB5_99
; %bb.94:
	s_and_not1_b32 vcc_lo, exec_lo, s36
	s_cbranch_vccnz .LBB5_100
; %bb.95:
	v_dual_mov_b32 v4, 0 :: v_dual_mov_b32 v1, v0
	v_dual_mov_b32 v6, 0 :: v_dual_mov_b32 v5, 0
	s_add_co_i32 s0, s34, 1
	s_mov_b64 s[24:25], 0xffffffffffffffe0
	s_and_b32 s0, s0, 30
	s_add_nc_u64 s[24:25], s[16:17], s[24:25]
	s_mov_b64 s[26:27], s[16:17]
.LBB5_96:                               ; =>This Inner Loop Header: Depth=1
	s_clause 0x1
	s_load_b128 s[36:39], s[26:27], 0x4
	s_load_b64 s[40:41], s[26:27], 0x14
	s_load_b32 s42, s[24:25], 0xe4
	s_add_co_i32 s0, s0, -2
	s_wait_xcnt 0x0
	s_add_nc_u64 s[26:27], s[26:27], 24
	s_cmp_eq_u32 s0, 0
	s_wait_kmcnt 0x0
	v_mul_hi_u32 v2, s37, v1
	s_delay_alu instid0(VALU_DEP_1) | instskip(NEXT) | instid1(VALU_DEP_1)
	v_add_nc_u32_e32 v2, v1, v2
	v_lshrrev_b32_e32 v2, s38, v2
	s_delay_alu instid0(VALU_DEP_1) | instskip(SKIP_2) | instid1(VALU_DEP_2)
	v_mul_hi_u32 v3, s40, v2
	v_mul_lo_u32 v7, v2, s36
	s_load_b96 s[36:38], s[24:25], 0xec
	v_add_nc_u32_e32 v3, v2, v3
	s_delay_alu instid0(VALU_DEP_2) | instskip(NEXT) | instid1(VALU_DEP_2)
	v_sub_nc_u32_e32 v7, v1, v7
	v_lshrrev_b32_e32 v1, s41, v3
	s_load_b64 s[40:41], s[24:25], 0xfc
	s_delay_alu instid0(VALU_DEP_2)
	v_mad_u32 v4, v7, s42, v4
	s_wait_xcnt 0x0
	s_add_nc_u64 s[24:25], s[24:25], 32
	v_mul_lo_u32 v3, v1, s39
	s_wait_kmcnt 0x0
	v_mad_u32 v5, v7, s37, v5
	v_mad_u32 v6, v7, s36, v6
	s_delay_alu instid0(VALU_DEP_3) | instskip(NEXT) | instid1(VALU_DEP_1)
	v_sub_nc_u32_e32 v2, v2, v3
	v_mad_u32 v4, v2, s38, v4
	s_delay_alu instid0(VALU_DEP_4) | instskip(NEXT) | instid1(VALU_DEP_4)
	v_mad_u32 v5, v2, s41, v5
	v_mad_u32 v6, v2, s40, v6
	s_cbranch_scc0 .LBB5_96
; %bb.97:
	s_bitcmp1_b32 s34, 0
	s_cselect_b32 s0, -1, 0
	s_delay_alu instid0(SALU_CYCLE_1)
	s_and_b32 vcc_lo, exec_lo, s0
	s_cbranch_vccnz .LBB5_101
; %bb.98:
	s_load_b96 s[36:38], s[26:27], 0x4
	s_load_b32 s0, s[24:25], 0xe4
	s_wait_xcnt 0x0
	s_load_b64 s[26:27], s[24:25], 0xec
	s_wait_kmcnt 0x0
	v_mul_hi_u32 v2, s37, v1
	s_delay_alu instid0(VALU_DEP_1) | instskip(NEXT) | instid1(VALU_DEP_1)
	v_add_nc_u32_e32 v2, v1, v2
	v_lshrrev_b32_e32 v2, s38, v2
	s_delay_alu instid0(VALU_DEP_1) | instskip(NEXT) | instid1(VALU_DEP_1)
	v_mul_lo_u32 v2, v2, s36
	v_sub_nc_u32_e32 v1, v1, v2
	s_delay_alu instid0(VALU_DEP_1)
	v_mad_u32 v4, v1, s0, v4
	v_mad_u32 v6, v1, s26, v6
	;; [unrolled: 1-line block ×3, first 2 shown]
	s_branch .LBB5_101
.LBB5_99:
                                        ; implicit-def: $vgpr5
                                        ; implicit-def: $vgpr6
                                        ; implicit-def: $vgpr4
	s_branch .LBB5_102
.LBB5_100:
	v_dual_mov_b32 v5, 0 :: v_dual_mov_b32 v6, 0
	v_mov_b32_e32 v4, 0
.LBB5_101:
	s_cbranch_execnz .LBB5_104
.LBB5_102:
	v_mov_b32_e32 v1, 0
	s_and_not1_b32 vcc_lo, exec_lo, s33
	s_delay_alu instid0(VALU_DEP_1) | instskip(NEXT) | instid1(VALU_DEP_1)
	v_mul_u64_e32 v[2:3], s[18:19], v[0:1]
	v_add_nc_u32_e32 v2, v0, v3
	s_delay_alu instid0(VALU_DEP_1) | instskip(NEXT) | instid1(VALU_DEP_1)
	v_lshrrev_b32_e32 v2, s10, v2
	v_mul_lo_u32 v3, v2, s8
	s_delay_alu instid0(VALU_DEP_1) | instskip(NEXT) | instid1(VALU_DEP_1)
	v_sub_nc_u32_e32 v0, v0, v3
	v_mul_lo_u32 v4, v0, s31
	v_mul_lo_u32 v5, v0, s13
	;; [unrolled: 1-line block ×3, first 2 shown]
	s_cbranch_vccnz .LBB5_104
; %bb.103:
	v_mov_b32_e32 v3, v1
	s_delay_alu instid0(VALU_DEP_1) | instskip(NEXT) | instid1(VALU_DEP_1)
	v_mul_u64_e32 v[0:1], s[22:23], v[2:3]
	v_add_nc_u32_e32 v0, v2, v1
	s_delay_alu instid0(VALU_DEP_1) | instskip(NEXT) | instid1(VALU_DEP_1)
	v_lshrrev_b32_e32 v0, s1, v0
	v_mul_lo_u32 v0, v0, s11
	s_delay_alu instid0(VALU_DEP_1) | instskip(NEXT) | instid1(VALU_DEP_1)
	v_sub_nc_u32_e32 v0, v2, v0
	v_mad_u32 v4, v0, s14, v4
	v_mad_u32 v6, v0, s20, v6
	;; [unrolled: 1-line block ×3, first 2 shown]
.LBB5_104:
	global_load_u8 v0, v6, s[4:5]
	global_load_u8 v1, v5, s[6:7]
	s_wait_loadcnt 0x1
	v_cmp_ne_u16_e32 vcc_lo, 0, v0
	s_wait_loadcnt 0x0
	v_cmp_ne_u16_e64 s0, 0, v1
	s_and_b32 s0, vcc_lo, s0
	s_delay_alu instid0(SALU_CYCLE_1) | instskip(NEXT) | instid1(SALU_CYCLE_1)
	s_and_b32 s0, s0, s9
	v_cndmask_b32_e64 v0, 0, 1, s0
	global_store_b8 v4, v0, s[2:3]
.LBB5_105:
	s_wait_xcnt 0x0
	s_or_b32 exec_lo, exec_lo, s35
                                        ; implicit-def: $vgpr4
                                        ; implicit-def: $vgpr0
.LBB5_106:
	s_and_not1_saveexec_b32 s0, s30
	s_cbranch_execz .LBB5_113
; %bb.107:
	v_cndmask_b32_e64 v8, 0, 1, s29
	s_and_not1_b32 vcc_lo, exec_lo, s29
	s_cbranch_vccnz .LBB5_114
; %bb.108:
	s_cmp_lg_u32 s15, 0
	s_mov_b32 s4, 0
	s_cbranch_scc0 .LBB5_118
; %bb.109:
	s_min_u32 s5, s28, 15
	v_dual_mov_b32 v1, 0 :: v_dual_mov_b32 v5, v0
	v_dual_mov_b32 v3, 0 :: v_dual_mov_b32 v2, 0
	s_add_co_i32 s2, s5, 1
	s_mov_b64 s[0:1], 0xffffffffffffffe0
	s_and_b32 s6, s2, 30
	s_add_nc_u64 s[0:1], s[16:17], s[0:1]
	s_mov_b64 s[2:3], s[16:17]
.LBB5_110:                              ; =>This Inner Loop Header: Depth=1
	s_clause 0x1
	s_load_b128 s[8:11], s[2:3], 0x4
	s_load_b64 s[12:13], s[2:3], 0x14
	s_load_b32 s7, s[0:1], 0xe4
	s_add_co_i32 s6, s6, -2
	s_wait_xcnt 0x0
	s_add_nc_u64 s[2:3], s[2:3], 24
	s_cmp_lg_u32 s6, 0
	s_wait_kmcnt 0x0
	v_mul_hi_u32 v6, s9, v5
	s_delay_alu instid0(VALU_DEP_1) | instskip(NEXT) | instid1(VALU_DEP_1)
	v_add_nc_u32_e32 v6, v5, v6
	v_lshrrev_b32_e32 v6, s10, v6
	s_delay_alu instid0(VALU_DEP_1) | instskip(SKIP_2) | instid1(VALU_DEP_1)
	v_mul_hi_u32 v7, s12, v6
	v_mul_lo_u32 v9, v6, s8
	s_load_b96 s[8:10], s[0:1], 0xec
	v_dual_add_nc_u32 v7, v6, v7 :: v_dual_sub_nc_u32 v9, v5, v9
	s_delay_alu instid0(VALU_DEP_1) | instskip(SKIP_1) | instid1(VALU_DEP_2)
	v_lshrrev_b32_e32 v5, s13, v7
	s_load_b64 s[12:13], s[0:1], 0xfc
	v_mad_u32 v1, v9, s7, v1
	s_wait_xcnt 0x0
	s_add_nc_u64 s[0:1], s[0:1], 32
	v_mul_lo_u32 v7, v5, s11
	s_wait_kmcnt 0x0
	v_mad_u32 v2, v9, s9, v2
	v_mad_u32 v3, v9, s8, v3
	s_delay_alu instid0(VALU_DEP_3) | instskip(NEXT) | instid1(VALU_DEP_1)
	v_sub_nc_u32_e32 v6, v6, v7
	v_mad_u32 v1, v6, s10, v1
	s_delay_alu instid0(VALU_DEP_4) | instskip(NEXT) | instid1(VALU_DEP_4)
	v_mad_u32 v2, v6, s13, v2
	v_mad_u32 v3, v6, s12, v3
	s_cbranch_scc1 .LBB5_110
; %bb.111:
	s_bitcmp1_b32 s5, 0
	s_cselect_b32 s5, -1, 0
	s_delay_alu instid0(SALU_CYCLE_1)
	s_and_b32 vcc_lo, exec_lo, s5
	s_cbranch_vccnz .LBB5_115
; %bb.112:
	s_load_b96 s[8:10], s[2:3], 0x4
	s_load_b32 s5, s[0:1], 0xe4
	s_wait_xcnt 0x0
	s_load_b64 s[2:3], s[0:1], 0xec
	s_wait_kmcnt 0x0
	v_mul_hi_u32 v6, s9, v5
	s_delay_alu instid0(VALU_DEP_1) | instskip(NEXT) | instid1(VALU_DEP_1)
	v_add_nc_u32_e32 v6, v5, v6
	v_lshrrev_b32_e32 v6, s10, v6
	s_delay_alu instid0(VALU_DEP_1) | instskip(NEXT) | instid1(VALU_DEP_1)
	v_mul_lo_u32 v6, v6, s8
	v_sub_nc_u32_e32 v5, v5, v6
	s_delay_alu instid0(VALU_DEP_1)
	v_mad_u32 v1, v5, s5, v1
	v_mad_u32 v3, v5, s2, v3
	;; [unrolled: 1-line block ×3, first 2 shown]
	s_and_not1_b32 vcc_lo, exec_lo, s4
	s_cbranch_vccz .LBB5_116
	s_branch .LBB5_119
.LBB5_113:
	s_endpgm
.LBB5_114:
	s_mov_b32 s4, -1
                                        ; implicit-def: $vgpr2
                                        ; implicit-def: $vgpr3
                                        ; implicit-def: $vgpr1
.LBB5_115:
	s_delay_alu instid0(SALU_CYCLE_1)
	s_and_not1_b32 vcc_lo, exec_lo, s4
	s_cbranch_vccnz .LBB5_119
.LBB5_116:
	s_clause 0x2
	s_load_b96 s[0:2], s[16:17], 0x4
	s_load_b32 s3, s[16:17], 0xc4
	s_load_b64 s[4:5], s[16:17], 0xcc
	s_cmp_lt_u32 s15, 2
	s_wait_kmcnt 0x0
	v_mul_hi_u32 v1, s1, v0
	s_delay_alu instid0(VALU_DEP_1) | instskip(NEXT) | instid1(VALU_DEP_1)
	v_add_nc_u32_e32 v1, v0, v1
	v_lshrrev_b32_e32 v5, s2, v1
	s_delay_alu instid0(VALU_DEP_1) | instskip(NEXT) | instid1(VALU_DEP_1)
	v_mul_lo_u32 v1, v5, s0
	v_sub_nc_u32_e32 v3, v0, v1
	s_delay_alu instid0(VALU_DEP_1)
	v_mul_lo_u32 v1, v3, s3
	v_mul_lo_u32 v2, v3, s5
	v_mul_lo_u32 v3, v3, s4
	s_cbranch_scc1 .LBB5_119
; %bb.117:
	s_clause 0x2
	s_load_b96 s[0:2], s[16:17], 0x10
	s_load_b32 s3, s[16:17], 0xd4
	s_load_b64 s[4:5], s[16:17], 0xdc
	s_wait_kmcnt 0x0
	v_mul_hi_u32 v6, s1, v5
	s_delay_alu instid0(VALU_DEP_1) | instskip(NEXT) | instid1(VALU_DEP_1)
	v_add_nc_u32_e32 v6, v5, v6
	v_lshrrev_b32_e32 v6, s2, v6
	s_delay_alu instid0(VALU_DEP_1) | instskip(NEXT) | instid1(VALU_DEP_1)
	v_mul_lo_u32 v6, v6, s0
	v_sub_nc_u32_e32 v5, v5, v6
	s_delay_alu instid0(VALU_DEP_1)
	v_mad_u32 v1, v5, s3, v1
	v_mad_u32 v3, v5, s4, v3
	;; [unrolled: 1-line block ×3, first 2 shown]
	s_branch .LBB5_119
.LBB5_118:
	v_dual_mov_b32 v2, 0 :: v_dual_mov_b32 v3, 0
	v_mov_b32_e32 v1, 0
	s_and_not1_b32 vcc_lo, exec_lo, s4
	s_cbranch_vccz .LBB5_116
.LBB5_119:
	v_cmp_ne_u32_e32 vcc_lo, 1, v8
	v_add_nc_u32_e32 v9, 0x80, v0
	s_cbranch_vccnz .LBB5_125
; %bb.120:
	s_cmp_lg_u32 s15, 0
	s_mov_b32 s4, 0
	s_cbranch_scc0 .LBB5_129
; %bb.121:
	s_min_u32 s5, s28, 15
	v_dual_mov_b32 v5, 0 :: v_dual_mov_b32 v10, v9
	v_dual_mov_b32 v7, 0 :: v_dual_mov_b32 v6, 0
	s_add_co_i32 s2, s5, 1
	s_mov_b64 s[0:1], 0xffffffffffffffe0
	s_and_b32 s6, s2, 30
	s_add_nc_u64 s[0:1], s[16:17], s[0:1]
	s_mov_b64 s[2:3], s[16:17]
.LBB5_122:                              ; =>This Inner Loop Header: Depth=1
	s_clause 0x1
	s_load_b128 s[8:11], s[2:3], 0x4
	s_load_b64 s[12:13], s[2:3], 0x14
	s_load_b32 s7, s[0:1], 0xe4
	s_add_co_i32 s6, s6, -2
	s_wait_xcnt 0x0
	s_add_nc_u64 s[2:3], s[2:3], 24
	s_cmp_lg_u32 s6, 0
	s_wait_kmcnt 0x0
	v_mul_hi_u32 v11, s9, v10
	s_delay_alu instid0(VALU_DEP_1) | instskip(NEXT) | instid1(VALU_DEP_1)
	v_add_nc_u32_e32 v11, v10, v11
	v_lshrrev_b32_e32 v11, s10, v11
	s_delay_alu instid0(VALU_DEP_1) | instskip(SKIP_2) | instid1(VALU_DEP_1)
	v_mul_hi_u32 v12, s12, v11
	v_mul_lo_u32 v13, v11, s8
	s_load_b96 s[8:10], s[0:1], 0xec
	v_dual_add_nc_u32 v12, v11, v12 :: v_dual_sub_nc_u32 v13, v10, v13
	s_delay_alu instid0(VALU_DEP_1) | instskip(SKIP_1) | instid1(VALU_DEP_2)
	v_lshrrev_b32_e32 v10, s13, v12
	s_load_b64 s[12:13], s[0:1], 0xfc
	v_mad_u32 v5, v13, s7, v5
	s_wait_xcnt 0x0
	s_add_nc_u64 s[0:1], s[0:1], 32
	v_mul_lo_u32 v12, v10, s11
	s_wait_kmcnt 0x0
	v_mad_u32 v6, v13, s9, v6
	v_mad_u32 v7, v13, s8, v7
	s_delay_alu instid0(VALU_DEP_3) | instskip(NEXT) | instid1(VALU_DEP_1)
	v_sub_nc_u32_e32 v11, v11, v12
	v_mad_u32 v5, v11, s10, v5
	s_delay_alu instid0(VALU_DEP_4) | instskip(NEXT) | instid1(VALU_DEP_4)
	v_mad_u32 v6, v11, s13, v6
	v_mad_u32 v7, v11, s12, v7
	s_cbranch_scc1 .LBB5_122
; %bb.123:
	s_bitcmp1_b32 s5, 0
	s_cselect_b32 s5, -1, 0
	s_delay_alu instid0(SALU_CYCLE_1)
	s_and_b32 vcc_lo, exec_lo, s5
	s_cbranch_vccnz .LBB5_126
; %bb.124:
	s_load_b96 s[8:10], s[2:3], 0x4
	s_load_b32 s5, s[0:1], 0xe4
	s_wait_xcnt 0x0
	s_load_b64 s[2:3], s[0:1], 0xec
	s_wait_kmcnt 0x0
	v_mul_hi_u32 v11, s9, v10
	s_delay_alu instid0(VALU_DEP_1) | instskip(NEXT) | instid1(VALU_DEP_1)
	v_add_nc_u32_e32 v11, v10, v11
	v_lshrrev_b32_e32 v11, s10, v11
	s_delay_alu instid0(VALU_DEP_1) | instskip(NEXT) | instid1(VALU_DEP_1)
	v_mul_lo_u32 v11, v11, s8
	v_sub_nc_u32_e32 v10, v10, v11
	s_delay_alu instid0(VALU_DEP_1)
	v_mad_u32 v5, v10, s5, v5
	v_mad_u32 v7, v10, s2, v7
	;; [unrolled: 1-line block ×3, first 2 shown]
	s_and_not1_b32 vcc_lo, exec_lo, s4
	s_cbranch_vccz .LBB5_127
	s_branch .LBB5_130
.LBB5_125:
	s_mov_b32 s4, -1
                                        ; implicit-def: $vgpr6
                                        ; implicit-def: $vgpr7
                                        ; implicit-def: $vgpr5
.LBB5_126:
	s_delay_alu instid0(SALU_CYCLE_1)
	s_and_not1_b32 vcc_lo, exec_lo, s4
	s_cbranch_vccnz .LBB5_130
.LBB5_127:
	s_clause 0x2
	s_load_b96 s[0:2], s[16:17], 0x4
	s_load_b32 s3, s[16:17], 0xc4
	s_load_b64 s[4:5], s[16:17], 0xcc
	s_cmp_lt_u32 s15, 2
	s_wait_kmcnt 0x0
	v_mul_hi_u32 v5, s1, v9
	s_delay_alu instid0(VALU_DEP_1) | instskip(NEXT) | instid1(VALU_DEP_1)
	v_add_nc_u32_e32 v5, v9, v5
	v_lshrrev_b32_e32 v10, s2, v5
	s_delay_alu instid0(VALU_DEP_1) | instskip(NEXT) | instid1(VALU_DEP_1)
	v_mul_lo_u32 v5, v10, s0
	v_sub_nc_u32_e32 v7, v9, v5
	s_delay_alu instid0(VALU_DEP_1)
	v_mul_lo_u32 v5, v7, s3
	v_mul_lo_u32 v6, v7, s5
	;; [unrolled: 1-line block ×3, first 2 shown]
	s_cbranch_scc1 .LBB5_130
; %bb.128:
	s_clause 0x2
	s_load_b96 s[0:2], s[16:17], 0x10
	s_load_b32 s3, s[16:17], 0xd4
	s_load_b64 s[4:5], s[16:17], 0xdc
	s_wait_kmcnt 0x0
	v_mul_hi_u32 v9, s1, v10
	s_delay_alu instid0(VALU_DEP_1) | instskip(NEXT) | instid1(VALU_DEP_1)
	v_add_nc_u32_e32 v9, v10, v9
	v_lshrrev_b32_e32 v9, s2, v9
	s_delay_alu instid0(VALU_DEP_1) | instskip(NEXT) | instid1(VALU_DEP_1)
	v_mul_lo_u32 v9, v9, s0
	v_sub_nc_u32_e32 v9, v10, v9
	s_delay_alu instid0(VALU_DEP_1)
	v_mad_u32 v5, v9, s3, v5
	v_mad_u32 v7, v9, s4, v7
	;; [unrolled: 1-line block ×3, first 2 shown]
	s_branch .LBB5_130
.LBB5_129:
	v_dual_mov_b32 v6, 0 :: v_dual_mov_b32 v7, 0
	v_mov_b32_e32 v5, 0
	s_and_not1_b32 vcc_lo, exec_lo, s4
	s_cbranch_vccz .LBB5_127
.LBB5_130:
	v_cmp_ne_u32_e32 vcc_lo, 1, v8
	v_add_nc_u32_e32 v12, 0x100, v0
	s_cbranch_vccnz .LBB5_136
; %bb.131:
	s_cmp_lg_u32 s15, 0
	s_mov_b32 s4, 0
	s_cbranch_scc0 .LBB5_140
; %bb.132:
	s_min_u32 s5, s28, 15
	v_dual_mov_b32 v9, 0 :: v_dual_mov_b32 v13, v12
	v_dual_mov_b32 v10, 0 :: v_dual_mov_b32 v11, 0
	s_add_co_i32 s2, s5, 1
	s_mov_b64 s[0:1], 0xffffffffffffffe0
	s_and_b32 s6, s2, 30
	s_add_nc_u64 s[0:1], s[16:17], s[0:1]
	s_mov_b64 s[2:3], s[16:17]
.LBB5_133:                              ; =>This Inner Loop Header: Depth=1
	s_clause 0x1
	s_load_b128 s[8:11], s[2:3], 0x4
	s_load_b64 s[12:13], s[2:3], 0x14
	s_load_b32 s7, s[0:1], 0xe4
	s_add_co_i32 s6, s6, -2
	s_wait_xcnt 0x0
	s_add_nc_u64 s[2:3], s[2:3], 24
	s_cmp_lg_u32 s6, 0
	s_wait_kmcnt 0x0
	v_mul_hi_u32 v14, s9, v13
	s_delay_alu instid0(VALU_DEP_1) | instskip(NEXT) | instid1(VALU_DEP_1)
	v_add_nc_u32_e32 v14, v13, v14
	v_lshrrev_b32_e32 v14, s10, v14
	s_delay_alu instid0(VALU_DEP_1) | instskip(SKIP_2) | instid1(VALU_DEP_1)
	v_mul_hi_u32 v15, s12, v14
	v_mul_lo_u32 v16, v14, s8
	s_load_b96 s[8:10], s[0:1], 0xec
	v_dual_add_nc_u32 v15, v14, v15 :: v_dual_sub_nc_u32 v16, v13, v16
	s_delay_alu instid0(VALU_DEP_1) | instskip(SKIP_1) | instid1(VALU_DEP_2)
	v_lshrrev_b32_e32 v13, s13, v15
	s_load_b64 s[12:13], s[0:1], 0xfc
	v_mad_u32 v9, v16, s7, v9
	s_wait_xcnt 0x0
	s_add_nc_u64 s[0:1], s[0:1], 32
	v_mul_lo_u32 v15, v13, s11
	s_wait_kmcnt 0x0
	v_mad_u32 v11, v16, s9, v11
	v_mad_u32 v10, v16, s8, v10
	s_delay_alu instid0(VALU_DEP_3) | instskip(NEXT) | instid1(VALU_DEP_1)
	v_sub_nc_u32_e32 v14, v14, v15
	v_mad_u32 v9, v14, s10, v9
	s_delay_alu instid0(VALU_DEP_4) | instskip(NEXT) | instid1(VALU_DEP_4)
	v_mad_u32 v11, v14, s13, v11
	v_mad_u32 v10, v14, s12, v10
	s_cbranch_scc1 .LBB5_133
; %bb.134:
	s_bitcmp1_b32 s5, 0
	s_cselect_b32 s5, -1, 0
	s_delay_alu instid0(SALU_CYCLE_1)
	s_and_b32 vcc_lo, exec_lo, s5
	s_cbranch_vccnz .LBB5_137
; %bb.135:
	s_load_b96 s[8:10], s[2:3], 0x4
	s_load_b32 s5, s[0:1], 0xe4
	s_wait_xcnt 0x0
	s_load_b64 s[2:3], s[0:1], 0xec
	s_wait_kmcnt 0x0
	v_mul_hi_u32 v14, s9, v13
	s_delay_alu instid0(VALU_DEP_1) | instskip(NEXT) | instid1(VALU_DEP_1)
	v_add_nc_u32_e32 v14, v13, v14
	v_lshrrev_b32_e32 v14, s10, v14
	s_delay_alu instid0(VALU_DEP_1) | instskip(NEXT) | instid1(VALU_DEP_1)
	v_mul_lo_u32 v14, v14, s8
	v_sub_nc_u32_e32 v13, v13, v14
	s_delay_alu instid0(VALU_DEP_1)
	v_mad_u32 v9, v13, s5, v9
	v_mad_u32 v10, v13, s2, v10
	;; [unrolled: 1-line block ×3, first 2 shown]
	s_and_not1_b32 vcc_lo, exec_lo, s4
	s_cbranch_vccz .LBB5_138
	s_branch .LBB5_141
.LBB5_136:
	s_mov_b32 s4, -1
                                        ; implicit-def: $vgpr11
                                        ; implicit-def: $vgpr10
                                        ; implicit-def: $vgpr9
.LBB5_137:
	s_delay_alu instid0(SALU_CYCLE_1)
	s_and_not1_b32 vcc_lo, exec_lo, s4
	s_cbranch_vccnz .LBB5_141
.LBB5_138:
	s_clause 0x2
	s_load_b96 s[0:2], s[16:17], 0x4
	s_load_b32 s3, s[16:17], 0xc4
	s_load_b64 s[4:5], s[16:17], 0xcc
	s_cmp_lt_u32 s15, 2
	s_wait_kmcnt 0x0
	v_mul_hi_u32 v9, s1, v12
	s_delay_alu instid0(VALU_DEP_1) | instskip(NEXT) | instid1(VALU_DEP_1)
	v_add_nc_u32_e32 v9, v12, v9
	v_lshrrev_b32_e32 v13, s2, v9
	s_delay_alu instid0(VALU_DEP_1) | instskip(NEXT) | instid1(VALU_DEP_1)
	v_mul_lo_u32 v9, v13, s0
	v_sub_nc_u32_e32 v10, v12, v9
	s_delay_alu instid0(VALU_DEP_1)
	v_mul_lo_u32 v9, v10, s3
	v_mul_lo_u32 v11, v10, s5
	;; [unrolled: 1-line block ×3, first 2 shown]
	s_cbranch_scc1 .LBB5_141
; %bb.139:
	s_clause 0x2
	s_load_b96 s[0:2], s[16:17], 0x10
	s_load_b32 s3, s[16:17], 0xd4
	s_load_b64 s[4:5], s[16:17], 0xdc
	s_wait_kmcnt 0x0
	v_mul_hi_u32 v12, s1, v13
	s_delay_alu instid0(VALU_DEP_1) | instskip(NEXT) | instid1(VALU_DEP_1)
	v_add_nc_u32_e32 v12, v13, v12
	v_lshrrev_b32_e32 v12, s2, v12
	s_delay_alu instid0(VALU_DEP_1) | instskip(NEXT) | instid1(VALU_DEP_1)
	v_mul_lo_u32 v12, v12, s0
	v_sub_nc_u32_e32 v12, v13, v12
	s_delay_alu instid0(VALU_DEP_1)
	v_mad_u32 v9, v12, s3, v9
	v_mad_u32 v10, v12, s4, v10
	;; [unrolled: 1-line block ×3, first 2 shown]
	s_branch .LBB5_141
.LBB5_140:
	v_dual_mov_b32 v11, 0 :: v_dual_mov_b32 v10, 0
	v_mov_b32_e32 v9, 0
	s_and_not1_b32 vcc_lo, exec_lo, s4
	s_cbranch_vccz .LBB5_138
.LBB5_141:
	v_cmp_ne_u32_e32 vcc_lo, 1, v8
	v_add_nc_u32_e32 v15, 0x180, v0
	s_cbranch_vccnz .LBB5_147
; %bb.142:
	s_cmp_lg_u32 s15, 0
	s_mov_b32 s4, 0
	s_cbranch_scc0 .LBB5_151
; %bb.143:
	s_min_u32 s5, s28, 15
	v_dual_mov_b32 v12, 0 :: v_dual_mov_b32 v16, v15
	v_dual_mov_b32 v13, 0 :: v_dual_mov_b32 v14, 0
	s_add_co_i32 s2, s5, 1
	s_mov_b64 s[0:1], 0xffffffffffffffe0
	s_and_b32 s6, s2, 30
	s_add_nc_u64 s[0:1], s[16:17], s[0:1]
	s_mov_b64 s[2:3], s[16:17]
.LBB5_144:                              ; =>This Inner Loop Header: Depth=1
	s_clause 0x1
	s_load_b128 s[8:11], s[2:3], 0x4
	s_load_b64 s[12:13], s[2:3], 0x14
	s_load_b32 s7, s[0:1], 0xe4
	s_add_co_i32 s6, s6, -2
	s_wait_xcnt 0x0
	s_add_nc_u64 s[2:3], s[2:3], 24
	s_cmp_lg_u32 s6, 0
	s_wait_kmcnt 0x0
	v_mul_hi_u32 v17, s9, v16
	s_delay_alu instid0(VALU_DEP_1) | instskip(NEXT) | instid1(VALU_DEP_1)
	v_add_nc_u32_e32 v17, v16, v17
	v_lshrrev_b32_e32 v17, s10, v17
	s_delay_alu instid0(VALU_DEP_1) | instskip(SKIP_2) | instid1(VALU_DEP_1)
	v_mul_hi_u32 v18, s12, v17
	v_mul_lo_u32 v19, v17, s8
	s_load_b96 s[8:10], s[0:1], 0xec
	v_dual_add_nc_u32 v18, v17, v18 :: v_dual_sub_nc_u32 v19, v16, v19
	s_delay_alu instid0(VALU_DEP_1) | instskip(SKIP_1) | instid1(VALU_DEP_2)
	v_lshrrev_b32_e32 v16, s13, v18
	s_load_b64 s[12:13], s[0:1], 0xfc
	v_mad_u32 v12, v19, s7, v12
	s_wait_xcnt 0x0
	s_add_nc_u64 s[0:1], s[0:1], 32
	v_mul_lo_u32 v18, v16, s11
	s_wait_kmcnt 0x0
	v_mad_u32 v14, v19, s9, v14
	v_mad_u32 v13, v19, s8, v13
	s_delay_alu instid0(VALU_DEP_3) | instskip(NEXT) | instid1(VALU_DEP_1)
	v_sub_nc_u32_e32 v17, v17, v18
	v_mad_u32 v12, v17, s10, v12
	s_delay_alu instid0(VALU_DEP_4) | instskip(NEXT) | instid1(VALU_DEP_4)
	v_mad_u32 v14, v17, s13, v14
	v_mad_u32 v13, v17, s12, v13
	s_cbranch_scc1 .LBB5_144
; %bb.145:
	s_bitcmp1_b32 s5, 0
	s_cselect_b32 s5, -1, 0
	s_delay_alu instid0(SALU_CYCLE_1)
	s_and_b32 vcc_lo, exec_lo, s5
	s_cbranch_vccnz .LBB5_148
; %bb.146:
	s_load_b96 s[8:10], s[2:3], 0x4
	s_load_b32 s5, s[0:1], 0xe4
	s_wait_xcnt 0x0
	s_load_b64 s[2:3], s[0:1], 0xec
	s_wait_kmcnt 0x0
	v_mul_hi_u32 v17, s9, v16
	s_delay_alu instid0(VALU_DEP_1) | instskip(NEXT) | instid1(VALU_DEP_1)
	v_add_nc_u32_e32 v17, v16, v17
	v_lshrrev_b32_e32 v17, s10, v17
	s_delay_alu instid0(VALU_DEP_1) | instskip(NEXT) | instid1(VALU_DEP_1)
	v_mul_lo_u32 v17, v17, s8
	v_sub_nc_u32_e32 v16, v16, v17
	s_delay_alu instid0(VALU_DEP_1)
	v_mad_u32 v12, v16, s5, v12
	v_mad_u32 v13, v16, s2, v13
	;; [unrolled: 1-line block ×3, first 2 shown]
	s_and_not1_b32 vcc_lo, exec_lo, s4
	s_cbranch_vccz .LBB5_149
	s_branch .LBB5_152
.LBB5_147:
	s_mov_b32 s4, -1
                                        ; implicit-def: $vgpr14
                                        ; implicit-def: $vgpr13
                                        ; implicit-def: $vgpr12
.LBB5_148:
	s_delay_alu instid0(SALU_CYCLE_1)
	s_and_not1_b32 vcc_lo, exec_lo, s4
	s_cbranch_vccnz .LBB5_152
.LBB5_149:
	s_clause 0x2
	s_load_b96 s[0:2], s[16:17], 0x4
	s_load_b32 s3, s[16:17], 0xc4
	s_load_b64 s[4:5], s[16:17], 0xcc
	s_cmp_lt_u32 s15, 2
	s_wait_kmcnt 0x0
	v_mul_hi_u32 v12, s1, v15
	s_delay_alu instid0(VALU_DEP_1) | instskip(NEXT) | instid1(VALU_DEP_1)
	v_add_nc_u32_e32 v12, v15, v12
	v_lshrrev_b32_e32 v16, s2, v12
	s_delay_alu instid0(VALU_DEP_1) | instskip(NEXT) | instid1(VALU_DEP_1)
	v_mul_lo_u32 v12, v16, s0
	v_sub_nc_u32_e32 v13, v15, v12
	s_delay_alu instid0(VALU_DEP_1)
	v_mul_lo_u32 v12, v13, s3
	v_mul_lo_u32 v14, v13, s5
	;; [unrolled: 1-line block ×3, first 2 shown]
	s_cbranch_scc1 .LBB5_152
; %bb.150:
	s_clause 0x2
	s_load_b96 s[0:2], s[16:17], 0x10
	s_load_b32 s3, s[16:17], 0xd4
	s_load_b64 s[4:5], s[16:17], 0xdc
	s_wait_kmcnt 0x0
	v_mul_hi_u32 v15, s1, v16
	s_delay_alu instid0(VALU_DEP_1) | instskip(NEXT) | instid1(VALU_DEP_1)
	v_add_nc_u32_e32 v15, v16, v15
	v_lshrrev_b32_e32 v15, s2, v15
	s_delay_alu instid0(VALU_DEP_1) | instskip(NEXT) | instid1(VALU_DEP_1)
	v_mul_lo_u32 v15, v15, s0
	v_sub_nc_u32_e32 v15, v16, v15
	s_delay_alu instid0(VALU_DEP_1)
	v_mad_u32 v12, v15, s3, v12
	v_mad_u32 v13, v15, s4, v13
	;; [unrolled: 1-line block ×3, first 2 shown]
	s_branch .LBB5_152
.LBB5_151:
	v_dual_mov_b32 v14, 0 :: v_dual_mov_b32 v13, 0
	v_mov_b32_e32 v12, 0
	s_and_not1_b32 vcc_lo, exec_lo, s4
	s_cbranch_vccz .LBB5_149
.LBB5_152:
	v_cmp_ne_u32_e32 vcc_lo, 1, v8
	v_add_nc_u32_e32 v18, 0x200, v0
	s_cbranch_vccnz .LBB5_158
; %bb.153:
	s_cmp_lg_u32 s15, 0
	s_mov_b32 s4, 0
	s_cbranch_scc0 .LBB5_162
; %bb.154:
	s_min_u32 s5, s28, 15
	v_dual_mov_b32 v15, 0 :: v_dual_mov_b32 v19, v18
	v_dual_mov_b32 v17, 0 :: v_dual_mov_b32 v16, 0
	s_add_co_i32 s2, s5, 1
	s_mov_b64 s[0:1], 0xffffffffffffffe0
	s_and_b32 s6, s2, 30
	s_add_nc_u64 s[0:1], s[16:17], s[0:1]
	s_mov_b64 s[2:3], s[16:17]
.LBB5_155:                              ; =>This Inner Loop Header: Depth=1
	s_clause 0x1
	s_load_b128 s[8:11], s[2:3], 0x4
	s_load_b64 s[12:13], s[2:3], 0x14
	s_load_b32 s7, s[0:1], 0xe4
	s_add_co_i32 s6, s6, -2
	s_wait_xcnt 0x0
	s_add_nc_u64 s[2:3], s[2:3], 24
	s_cmp_lg_u32 s6, 0
	s_wait_kmcnt 0x0
	v_mul_hi_u32 v20, s9, v19
	s_delay_alu instid0(VALU_DEP_1) | instskip(NEXT) | instid1(VALU_DEP_1)
	v_add_nc_u32_e32 v20, v19, v20
	v_lshrrev_b32_e32 v20, s10, v20
	s_delay_alu instid0(VALU_DEP_1) | instskip(SKIP_2) | instid1(VALU_DEP_1)
	v_mul_hi_u32 v21, s12, v20
	v_mul_lo_u32 v22, v20, s8
	s_load_b96 s[8:10], s[0:1], 0xec
	v_dual_add_nc_u32 v21, v20, v21 :: v_dual_sub_nc_u32 v22, v19, v22
	s_delay_alu instid0(VALU_DEP_1) | instskip(SKIP_1) | instid1(VALU_DEP_2)
	v_lshrrev_b32_e32 v19, s13, v21
	s_load_b64 s[12:13], s[0:1], 0xfc
	v_mad_u32 v15, v22, s7, v15
	s_wait_xcnt 0x0
	s_add_nc_u64 s[0:1], s[0:1], 32
	v_mul_lo_u32 v21, v19, s11
	s_wait_kmcnt 0x0
	v_mad_u32 v16, v22, s9, v16
	v_mad_u32 v17, v22, s8, v17
	s_delay_alu instid0(VALU_DEP_3) | instskip(NEXT) | instid1(VALU_DEP_1)
	v_sub_nc_u32_e32 v20, v20, v21
	v_mad_u32 v15, v20, s10, v15
	s_delay_alu instid0(VALU_DEP_4) | instskip(NEXT) | instid1(VALU_DEP_4)
	v_mad_u32 v16, v20, s13, v16
	v_mad_u32 v17, v20, s12, v17
	s_cbranch_scc1 .LBB5_155
; %bb.156:
	s_bitcmp1_b32 s5, 0
	s_cselect_b32 s5, -1, 0
	s_delay_alu instid0(SALU_CYCLE_1)
	s_and_b32 vcc_lo, exec_lo, s5
	s_cbranch_vccnz .LBB5_159
; %bb.157:
	s_load_b96 s[8:10], s[2:3], 0x4
	s_load_b32 s5, s[0:1], 0xe4
	s_wait_xcnt 0x0
	s_load_b64 s[2:3], s[0:1], 0xec
	s_wait_kmcnt 0x0
	v_mul_hi_u32 v20, s9, v19
	s_delay_alu instid0(VALU_DEP_1) | instskip(NEXT) | instid1(VALU_DEP_1)
	v_add_nc_u32_e32 v20, v19, v20
	v_lshrrev_b32_e32 v20, s10, v20
	s_delay_alu instid0(VALU_DEP_1) | instskip(NEXT) | instid1(VALU_DEP_1)
	v_mul_lo_u32 v20, v20, s8
	v_sub_nc_u32_e32 v19, v19, v20
	s_delay_alu instid0(VALU_DEP_1)
	v_mad_u32 v15, v19, s5, v15
	v_mad_u32 v17, v19, s2, v17
	;; [unrolled: 1-line block ×3, first 2 shown]
	s_and_not1_b32 vcc_lo, exec_lo, s4
	s_cbranch_vccz .LBB5_160
	s_branch .LBB5_163
.LBB5_158:
	s_mov_b32 s4, -1
                                        ; implicit-def: $vgpr16
                                        ; implicit-def: $vgpr17
                                        ; implicit-def: $vgpr15
.LBB5_159:
	s_delay_alu instid0(SALU_CYCLE_1)
	s_and_not1_b32 vcc_lo, exec_lo, s4
	s_cbranch_vccnz .LBB5_163
.LBB5_160:
	s_clause 0x2
	s_load_b96 s[0:2], s[16:17], 0x4
	s_load_b32 s3, s[16:17], 0xc4
	s_load_b64 s[4:5], s[16:17], 0xcc
	s_cmp_lt_u32 s15, 2
	s_wait_kmcnt 0x0
	v_mul_hi_u32 v15, s1, v18
	s_delay_alu instid0(VALU_DEP_1) | instskip(NEXT) | instid1(VALU_DEP_1)
	v_add_nc_u32_e32 v15, v18, v15
	v_lshrrev_b32_e32 v19, s2, v15
	s_delay_alu instid0(VALU_DEP_1) | instskip(NEXT) | instid1(VALU_DEP_1)
	v_mul_lo_u32 v15, v19, s0
	v_sub_nc_u32_e32 v17, v18, v15
	s_delay_alu instid0(VALU_DEP_1)
	v_mul_lo_u32 v15, v17, s3
	v_mul_lo_u32 v16, v17, s5
	;; [unrolled: 1-line block ×3, first 2 shown]
	s_cbranch_scc1 .LBB5_163
; %bb.161:
	s_clause 0x2
	s_load_b96 s[0:2], s[16:17], 0x10
	s_load_b32 s3, s[16:17], 0xd4
	s_load_b64 s[4:5], s[16:17], 0xdc
	s_wait_kmcnt 0x0
	v_mul_hi_u32 v18, s1, v19
	s_delay_alu instid0(VALU_DEP_1) | instskip(NEXT) | instid1(VALU_DEP_1)
	v_add_nc_u32_e32 v18, v19, v18
	v_lshrrev_b32_e32 v18, s2, v18
	s_delay_alu instid0(VALU_DEP_1) | instskip(NEXT) | instid1(VALU_DEP_1)
	v_mul_lo_u32 v18, v18, s0
	v_sub_nc_u32_e32 v18, v19, v18
	s_delay_alu instid0(VALU_DEP_1)
	v_mad_u32 v15, v18, s3, v15
	v_mad_u32 v17, v18, s4, v17
	;; [unrolled: 1-line block ×3, first 2 shown]
	s_branch .LBB5_163
.LBB5_162:
	v_dual_mov_b32 v16, 0 :: v_dual_mov_b32 v17, 0
	v_mov_b32_e32 v15, 0
	s_and_not1_b32 vcc_lo, exec_lo, s4
	s_cbranch_vccz .LBB5_160
.LBB5_163:
	v_cmp_ne_u32_e32 vcc_lo, 1, v8
	v_add_nc_u32_e32 v21, 0x280, v0
	s_cbranch_vccnz .LBB5_169
; %bb.164:
	s_cmp_lg_u32 s15, 0
	s_mov_b32 s4, 0
	s_cbranch_scc0 .LBB5_173
; %bb.165:
	s_min_u32 s5, s28, 15
	v_dual_mov_b32 v18, 0 :: v_dual_mov_b32 v22, v21
	v_dual_mov_b32 v20, 0 :: v_dual_mov_b32 v19, 0
	s_add_co_i32 s2, s5, 1
	s_mov_b64 s[0:1], 0xffffffffffffffe0
	s_and_b32 s6, s2, 30
	s_add_nc_u64 s[0:1], s[16:17], s[0:1]
	s_mov_b64 s[2:3], s[16:17]
.LBB5_166:                              ; =>This Inner Loop Header: Depth=1
	s_clause 0x1
	s_load_b128 s[8:11], s[2:3], 0x4
	s_load_b64 s[12:13], s[2:3], 0x14
	s_load_b32 s7, s[0:1], 0xe4
	s_add_co_i32 s6, s6, -2
	s_wait_xcnt 0x0
	s_add_nc_u64 s[2:3], s[2:3], 24
	s_cmp_lg_u32 s6, 0
	s_wait_kmcnt 0x0
	v_mul_hi_u32 v23, s9, v22
	s_delay_alu instid0(VALU_DEP_1) | instskip(NEXT) | instid1(VALU_DEP_1)
	v_add_nc_u32_e32 v23, v22, v23
	v_lshrrev_b32_e32 v23, s10, v23
	s_delay_alu instid0(VALU_DEP_1) | instskip(SKIP_2) | instid1(VALU_DEP_1)
	v_mul_hi_u32 v24, s12, v23
	v_mul_lo_u32 v25, v23, s8
	s_load_b96 s[8:10], s[0:1], 0xec
	v_dual_add_nc_u32 v24, v23, v24 :: v_dual_sub_nc_u32 v25, v22, v25
	s_delay_alu instid0(VALU_DEP_1) | instskip(SKIP_1) | instid1(VALU_DEP_2)
	v_lshrrev_b32_e32 v22, s13, v24
	s_load_b64 s[12:13], s[0:1], 0xfc
	v_mad_u32 v18, v25, s7, v18
	s_wait_xcnt 0x0
	s_add_nc_u64 s[0:1], s[0:1], 32
	v_mul_lo_u32 v24, v22, s11
	s_wait_kmcnt 0x0
	v_mad_u32 v19, v25, s9, v19
	v_mad_u32 v20, v25, s8, v20
	s_delay_alu instid0(VALU_DEP_3) | instskip(NEXT) | instid1(VALU_DEP_1)
	v_sub_nc_u32_e32 v23, v23, v24
	v_mad_u32 v18, v23, s10, v18
	s_delay_alu instid0(VALU_DEP_4) | instskip(NEXT) | instid1(VALU_DEP_4)
	v_mad_u32 v19, v23, s13, v19
	v_mad_u32 v20, v23, s12, v20
	s_cbranch_scc1 .LBB5_166
; %bb.167:
	s_bitcmp1_b32 s5, 0
	s_cselect_b32 s5, -1, 0
	s_delay_alu instid0(SALU_CYCLE_1)
	s_and_b32 vcc_lo, exec_lo, s5
	s_cbranch_vccnz .LBB5_170
; %bb.168:
	s_load_b96 s[8:10], s[2:3], 0x4
	s_load_b32 s5, s[0:1], 0xe4
	s_wait_xcnt 0x0
	s_load_b64 s[2:3], s[0:1], 0xec
	s_wait_kmcnt 0x0
	v_mul_hi_u32 v23, s9, v22
	s_delay_alu instid0(VALU_DEP_1) | instskip(NEXT) | instid1(VALU_DEP_1)
	v_add_nc_u32_e32 v23, v22, v23
	v_lshrrev_b32_e32 v23, s10, v23
	s_delay_alu instid0(VALU_DEP_1) | instskip(NEXT) | instid1(VALU_DEP_1)
	v_mul_lo_u32 v23, v23, s8
	v_sub_nc_u32_e32 v22, v22, v23
	s_delay_alu instid0(VALU_DEP_1)
	v_mad_u32 v18, v22, s5, v18
	v_mad_u32 v20, v22, s2, v20
	;; [unrolled: 1-line block ×3, first 2 shown]
	s_and_not1_b32 vcc_lo, exec_lo, s4
	s_cbranch_vccz .LBB5_171
	s_branch .LBB5_174
.LBB5_169:
	s_mov_b32 s4, -1
                                        ; implicit-def: $vgpr19
                                        ; implicit-def: $vgpr20
                                        ; implicit-def: $vgpr18
.LBB5_170:
	s_delay_alu instid0(SALU_CYCLE_1)
	s_and_not1_b32 vcc_lo, exec_lo, s4
	s_cbranch_vccnz .LBB5_174
.LBB5_171:
	s_clause 0x2
	s_load_b96 s[0:2], s[16:17], 0x4
	s_load_b32 s3, s[16:17], 0xc4
	s_load_b64 s[4:5], s[16:17], 0xcc
	s_cmp_lt_u32 s15, 2
	s_wait_kmcnt 0x0
	v_mul_hi_u32 v18, s1, v21
	s_delay_alu instid0(VALU_DEP_1) | instskip(NEXT) | instid1(VALU_DEP_1)
	v_add_nc_u32_e32 v18, v21, v18
	v_lshrrev_b32_e32 v22, s2, v18
	s_delay_alu instid0(VALU_DEP_1) | instskip(NEXT) | instid1(VALU_DEP_1)
	v_mul_lo_u32 v18, v22, s0
	v_sub_nc_u32_e32 v20, v21, v18
	s_delay_alu instid0(VALU_DEP_1)
	v_mul_lo_u32 v18, v20, s3
	v_mul_lo_u32 v19, v20, s5
	;; [unrolled: 1-line block ×3, first 2 shown]
	s_cbranch_scc1 .LBB5_174
; %bb.172:
	s_clause 0x2
	s_load_b96 s[0:2], s[16:17], 0x10
	s_load_b32 s3, s[16:17], 0xd4
	s_load_b64 s[4:5], s[16:17], 0xdc
	s_wait_kmcnt 0x0
	v_mul_hi_u32 v21, s1, v22
	s_delay_alu instid0(VALU_DEP_1) | instskip(NEXT) | instid1(VALU_DEP_1)
	v_add_nc_u32_e32 v21, v22, v21
	v_lshrrev_b32_e32 v21, s2, v21
	s_delay_alu instid0(VALU_DEP_1) | instskip(NEXT) | instid1(VALU_DEP_1)
	v_mul_lo_u32 v21, v21, s0
	v_sub_nc_u32_e32 v21, v22, v21
	s_delay_alu instid0(VALU_DEP_1)
	v_mad_u32 v18, v21, s3, v18
	v_mad_u32 v20, v21, s4, v20
	;; [unrolled: 1-line block ×3, first 2 shown]
	s_branch .LBB5_174
.LBB5_173:
	v_dual_mov_b32 v19, 0 :: v_dual_mov_b32 v20, 0
	v_mov_b32_e32 v18, 0
	s_and_not1_b32 vcc_lo, exec_lo, s4
	s_cbranch_vccz .LBB5_171
.LBB5_174:
	v_cmp_ne_u32_e32 vcc_lo, 1, v8
	v_add_nc_u32_e32 v23, 0x300, v0
	s_cbranch_vccnz .LBB5_180
; %bb.175:
	s_cmp_lg_u32 s15, 0
	s_mov_b32 s4, 0
	s_cbranch_scc0 .LBB5_184
; %bb.176:
	s_min_u32 s5, s28, 15
	v_dual_mov_b32 v0, 0 :: v_dual_mov_b32 v24, v23
	v_dual_mov_b32 v21, 0 :: v_dual_mov_b32 v22, 0
	s_add_co_i32 s2, s5, 1
	s_mov_b64 s[0:1], 0xffffffffffffffe0
	s_and_b32 s6, s2, 30
	s_add_nc_u64 s[0:1], s[16:17], s[0:1]
	s_mov_b64 s[2:3], s[16:17]
.LBB5_177:                              ; =>This Inner Loop Header: Depth=1
	s_clause 0x1
	s_load_b128 s[8:11], s[2:3], 0x4
	s_load_b64 s[12:13], s[2:3], 0x14
	s_load_b32 s7, s[0:1], 0xe4
	s_add_co_i32 s6, s6, -2
	s_wait_xcnt 0x0
	s_add_nc_u64 s[2:3], s[2:3], 24
	s_cmp_lg_u32 s6, 0
	s_wait_kmcnt 0x0
	v_mul_hi_u32 v25, s9, v24
	s_delay_alu instid0(VALU_DEP_1) | instskip(NEXT) | instid1(VALU_DEP_1)
	v_add_nc_u32_e32 v25, v24, v25
	v_lshrrev_b32_e32 v25, s10, v25
	s_delay_alu instid0(VALU_DEP_1) | instskip(SKIP_2) | instid1(VALU_DEP_1)
	v_mul_hi_u32 v26, s12, v25
	v_mul_lo_u32 v27, v25, s8
	s_load_b96 s[8:10], s[0:1], 0xec
	v_dual_add_nc_u32 v26, v25, v26 :: v_dual_sub_nc_u32 v27, v24, v27
	s_delay_alu instid0(VALU_DEP_1) | instskip(SKIP_1) | instid1(VALU_DEP_2)
	v_lshrrev_b32_e32 v24, s13, v26
	s_load_b64 s[12:13], s[0:1], 0xfc
	v_mad_u32 v0, v27, s7, v0
	s_wait_xcnt 0x0
	s_add_nc_u64 s[0:1], s[0:1], 32
	v_mul_lo_u32 v26, v24, s11
	s_wait_kmcnt 0x0
	v_mad_u32 v22, v27, s9, v22
	v_mad_u32 v21, v27, s8, v21
	s_delay_alu instid0(VALU_DEP_3) | instskip(NEXT) | instid1(VALU_DEP_1)
	v_sub_nc_u32_e32 v25, v25, v26
	v_mad_u32 v0, v25, s10, v0
	s_delay_alu instid0(VALU_DEP_4) | instskip(NEXT) | instid1(VALU_DEP_4)
	v_mad_u32 v22, v25, s13, v22
	v_mad_u32 v21, v25, s12, v21
	s_cbranch_scc1 .LBB5_177
; %bb.178:
	s_bitcmp1_b32 s5, 0
	s_cselect_b32 s5, -1, 0
	s_delay_alu instid0(SALU_CYCLE_1)
	s_and_b32 vcc_lo, exec_lo, s5
	s_cbranch_vccnz .LBB5_181
; %bb.179:
	s_load_b96 s[8:10], s[2:3], 0x4
	s_load_b32 s5, s[0:1], 0xe4
	s_wait_xcnt 0x0
	s_load_b64 s[2:3], s[0:1], 0xec
	s_wait_kmcnt 0x0
	v_mul_hi_u32 v25, s9, v24
	s_delay_alu instid0(VALU_DEP_1) | instskip(NEXT) | instid1(VALU_DEP_1)
	v_add_nc_u32_e32 v25, v24, v25
	v_lshrrev_b32_e32 v25, s10, v25
	s_delay_alu instid0(VALU_DEP_1) | instskip(NEXT) | instid1(VALU_DEP_1)
	v_mul_lo_u32 v25, v25, s8
	v_sub_nc_u32_e32 v24, v24, v25
	s_delay_alu instid0(VALU_DEP_1)
	v_mad_u32 v0, v24, s5, v0
	v_mad_u32 v21, v24, s2, v21
	;; [unrolled: 1-line block ×3, first 2 shown]
	s_and_not1_b32 vcc_lo, exec_lo, s4
	s_cbranch_vccz .LBB5_182
	s_branch .LBB5_185
.LBB5_180:
	s_mov_b32 s4, -1
                                        ; implicit-def: $vgpr22
                                        ; implicit-def: $vgpr21
                                        ; implicit-def: $vgpr0
.LBB5_181:
	s_delay_alu instid0(SALU_CYCLE_1)
	s_and_not1_b32 vcc_lo, exec_lo, s4
	s_cbranch_vccnz .LBB5_185
.LBB5_182:
	s_clause 0x2
	s_load_b96 s[0:2], s[16:17], 0x4
	s_load_b32 s3, s[16:17], 0xc4
	s_load_b64 s[4:5], s[16:17], 0xcc
	s_cmp_lt_u32 s15, 2
	s_wait_kmcnt 0x0
	v_mul_hi_u32 v0, s1, v23
	s_delay_alu instid0(VALU_DEP_1) | instskip(NEXT) | instid1(VALU_DEP_1)
	v_add_nc_u32_e32 v0, v23, v0
	v_lshrrev_b32_e32 v24, s2, v0
	s_delay_alu instid0(VALU_DEP_1) | instskip(NEXT) | instid1(VALU_DEP_1)
	v_mul_lo_u32 v0, v24, s0
	v_sub_nc_u32_e32 v21, v23, v0
	s_delay_alu instid0(VALU_DEP_1)
	v_mul_lo_u32 v0, v21, s3
	v_mul_lo_u32 v22, v21, s5
	v_mul_lo_u32 v21, v21, s4
	s_cbranch_scc1 .LBB5_185
; %bb.183:
	s_clause 0x2
	s_load_b96 s[0:2], s[16:17], 0x10
	s_load_b32 s3, s[16:17], 0xd4
	s_load_b64 s[4:5], s[16:17], 0xdc
	s_wait_kmcnt 0x0
	v_mul_hi_u32 v23, s1, v24
	s_delay_alu instid0(VALU_DEP_1) | instskip(NEXT) | instid1(VALU_DEP_1)
	v_add_nc_u32_e32 v23, v24, v23
	v_lshrrev_b32_e32 v23, s2, v23
	s_delay_alu instid0(VALU_DEP_1) | instskip(NEXT) | instid1(VALU_DEP_1)
	v_mul_lo_u32 v23, v23, s0
	v_sub_nc_u32_e32 v23, v24, v23
	s_delay_alu instid0(VALU_DEP_1)
	v_mad_u32 v0, v23, s3, v0
	v_mad_u32 v21, v23, s4, v21
	;; [unrolled: 1-line block ×3, first 2 shown]
	s_branch .LBB5_185
.LBB5_184:
	v_dual_mov_b32 v22, 0 :: v_dual_mov_b32 v21, 0
	v_mov_b32_e32 v0, 0
	s_and_not1_b32 vcc_lo, exec_lo, s4
	s_cbranch_vccz .LBB5_182
.LBB5_185:
	v_cmp_ne_u32_e32 vcc_lo, 1, v8
	s_cbranch_vccnz .LBB5_191
; %bb.186:
	s_cmp_lg_u32 s15, 0
	s_mov_b32 s4, 0
	s_cbranch_scc0 .LBB5_195
; %bb.187:
	s_min_u32 s5, s28, 15
	v_dual_mov_b32 v8, 0 :: v_dual_mov_b32 v25, v4
	v_dual_mov_b32 v24, 0 :: v_dual_mov_b32 v23, 0
	s_add_co_i32 s2, s5, 1
	s_mov_b64 s[0:1], 0xffffffffffffffe0
	s_and_b32 s6, s2, 30
	s_add_nc_u64 s[0:1], s[16:17], s[0:1]
	s_mov_b64 s[2:3], s[16:17]
.LBB5_188:                              ; =>This Inner Loop Header: Depth=1
	s_clause 0x1
	s_load_b128 s[8:11], s[2:3], 0x4
	s_load_b64 s[12:13], s[2:3], 0x14
	s_load_b32 s7, s[0:1], 0xe4
	s_add_co_i32 s6, s6, -2
	s_wait_xcnt 0x0
	s_add_nc_u64 s[2:3], s[2:3], 24
	s_cmp_lg_u32 s6, 0
	s_wait_kmcnt 0x0
	v_mul_hi_u32 v26, s9, v25
	s_delay_alu instid0(VALU_DEP_1) | instskip(NEXT) | instid1(VALU_DEP_1)
	v_add_nc_u32_e32 v26, v25, v26
	v_lshrrev_b32_e32 v26, s10, v26
	s_delay_alu instid0(VALU_DEP_1) | instskip(SKIP_2) | instid1(VALU_DEP_1)
	v_mul_hi_u32 v27, s12, v26
	v_mul_lo_u32 v28, v26, s8
	s_load_b96 s[8:10], s[0:1], 0xec
	v_dual_add_nc_u32 v27, v26, v27 :: v_dual_sub_nc_u32 v28, v25, v28
	s_delay_alu instid0(VALU_DEP_1) | instskip(SKIP_1) | instid1(VALU_DEP_2)
	v_lshrrev_b32_e32 v25, s13, v27
	s_load_b64 s[12:13], s[0:1], 0xfc
	v_mad_u32 v8, v28, s7, v8
	s_wait_xcnt 0x0
	s_add_nc_u64 s[0:1], s[0:1], 32
	v_mul_lo_u32 v27, v25, s11
	s_wait_kmcnt 0x0
	v_mad_u32 v23, v28, s9, v23
	v_mad_u32 v24, v28, s8, v24
	s_delay_alu instid0(VALU_DEP_3) | instskip(NEXT) | instid1(VALU_DEP_1)
	v_sub_nc_u32_e32 v26, v26, v27
	v_mad_u32 v8, v26, s10, v8
	s_delay_alu instid0(VALU_DEP_4) | instskip(NEXT) | instid1(VALU_DEP_4)
	v_mad_u32 v23, v26, s13, v23
	v_mad_u32 v24, v26, s12, v24
	s_cbranch_scc1 .LBB5_188
; %bb.189:
	s_bitcmp1_b32 s5, 0
	s_cselect_b32 s5, -1, 0
	s_delay_alu instid0(SALU_CYCLE_1)
	s_and_b32 vcc_lo, exec_lo, s5
	s_cbranch_vccnz .LBB5_192
; %bb.190:
	s_load_b96 s[8:10], s[2:3], 0x4
	s_load_b32 s5, s[0:1], 0xe4
	s_wait_xcnt 0x0
	s_load_b64 s[2:3], s[0:1], 0xec
	s_wait_kmcnt 0x0
	v_mul_hi_u32 v26, s9, v25
	s_delay_alu instid0(VALU_DEP_1) | instskip(NEXT) | instid1(VALU_DEP_1)
	v_add_nc_u32_e32 v26, v25, v26
	v_lshrrev_b32_e32 v26, s10, v26
	s_delay_alu instid0(VALU_DEP_1) | instskip(NEXT) | instid1(VALU_DEP_1)
	v_mul_lo_u32 v26, v26, s8
	v_sub_nc_u32_e32 v25, v25, v26
	s_delay_alu instid0(VALU_DEP_1)
	v_mad_u32 v8, v25, s5, v8
	v_mad_u32 v24, v25, s2, v24
	v_mad_u32 v23, v25, s3, v23
	s_and_not1_b32 vcc_lo, exec_lo, s4
	s_cbranch_vccz .LBB5_193
	s_branch .LBB5_196
.LBB5_191:
	s_mov_b32 s4, -1
                                        ; implicit-def: $vgpr23
                                        ; implicit-def: $vgpr24
                                        ; implicit-def: $vgpr8
.LBB5_192:
	s_delay_alu instid0(SALU_CYCLE_1)
	s_and_not1_b32 vcc_lo, exec_lo, s4
	s_cbranch_vccnz .LBB5_196
.LBB5_193:
	s_clause 0x2
	s_load_b96 s[0:2], s[16:17], 0x4
	s_load_b32 s3, s[16:17], 0xc4
	s_load_b64 s[4:5], s[16:17], 0xcc
	s_cmp_lt_u32 s15, 2
	s_wait_kmcnt 0x0
	v_mul_hi_u32 v8, s1, v4
	s_delay_alu instid0(VALU_DEP_1) | instskip(NEXT) | instid1(VALU_DEP_1)
	v_add_nc_u32_e32 v8, v4, v8
	v_lshrrev_b32_e32 v25, s2, v8
	s_delay_alu instid0(VALU_DEP_1) | instskip(NEXT) | instid1(VALU_DEP_1)
	v_mul_lo_u32 v8, v25, s0
	v_sub_nc_u32_e32 v4, v4, v8
	s_delay_alu instid0(VALU_DEP_1)
	v_mul_lo_u32 v8, v4, s3
	v_mul_lo_u32 v23, v4, s5
	;; [unrolled: 1-line block ×3, first 2 shown]
	s_cbranch_scc1 .LBB5_196
; %bb.194:
	s_clause 0x2
	s_load_b96 s[0:2], s[16:17], 0x10
	s_load_b32 s3, s[16:17], 0xd4
	s_load_b64 s[4:5], s[16:17], 0xdc
	s_wait_kmcnt 0x0
	v_mul_hi_u32 v4, s1, v25
	s_delay_alu instid0(VALU_DEP_1) | instskip(NEXT) | instid1(VALU_DEP_1)
	v_add_nc_u32_e32 v4, v25, v4
	v_lshrrev_b32_e32 v4, s2, v4
	s_delay_alu instid0(VALU_DEP_1) | instskip(NEXT) | instid1(VALU_DEP_1)
	v_mul_lo_u32 v4, v4, s0
	v_sub_nc_u32_e32 v4, v25, v4
	s_delay_alu instid0(VALU_DEP_1)
	v_mad_u32 v8, v4, s3, v8
	v_mad_u32 v24, v4, s4, v24
	;; [unrolled: 1-line block ×3, first 2 shown]
	s_branch .LBB5_196
.LBB5_195:
	v_dual_mov_b32 v23, 0 :: v_dual_mov_b32 v24, 0
	v_mov_b32_e32 v8, 0
	s_and_not1_b32 vcc_lo, exec_lo, s4
	s_cbranch_vccz .LBB5_193
.LBB5_196:
	s_load_b128 s[0:3], s[16:17], 0x1d8
	s_wait_kmcnt 0x0
	global_load_u8 v4, v3, s[0:1]
	global_load_u8 v25, v2, s[2:3]
	;; [unrolled: 1-line block ×15, first 2 shown]
                                        ; kill: killed $vgpr20
                                        ; kill: killed $vgpr14
                                        ; kill: killed $vgpr22
                                        ; kill: killed $vgpr7
                                        ; kill: killed $vgpr17
                                        ; kill: killed $vgpr11
                                        ; kill: killed $vgpr24
                                        ; kill: killed $vgpr19
                                        ; kill: killed $vgpr3
                                        ; kill: killed $vgpr13
                                        ; kill: killed $vgpr6
                                        ; kill: killed $vgpr21
                                        ; kill: killed $vgpr16
                                        ; kill: killed $sgpr0_sgpr1
                                        ; kill: killed $vgpr10
                                        ; kill: killed $vgpr2
	global_load_u8 v2, v23, s[2:3]
	s_wait_xcnt 0x1
	s_load_b32 s0, s[16:17], 0x1e8
	s_wait_kmcnt 0x0
	s_bitcmp1_b32 s0, 0
	s_load_b64 s[16:17], s[16:17], 0x1c8
	s_cselect_b32 s15, -1, 0
	s_wait_loadcnt 0xf
	v_cmp_ne_u16_e32 vcc_lo, 0, v4
	s_wait_loadcnt 0xe
	v_cmp_ne_u16_e64 s0, 0, v25
	s_wait_loadcnt 0xd
	v_cmp_ne_u16_e64 s1, 0, v26
	;; [unrolled: 2-line block ×5, first 2 shown]
	s_and_b32 s0, vcc_lo, s0
	s_wait_loadcnt 0x9
	v_cmp_ne_u16_e64 s5, 0, v30
	s_wait_loadcnt 0x8
	v_cmp_ne_u16_e64 s6, 0, v31
	s_and_b32 s1, s1, s2
	s_and_b32 s0, s0, s15
	s_wait_loadcnt 0x7
	v_cmp_ne_u16_e64 s7, 0, v32
	s_wait_loadcnt 0x6
	v_cmp_ne_u16_e64 s8, 0, v33
	s_and_b32 s2, s3, s4
	s_wait_loadcnt 0x5
	v_cmp_ne_u16_e64 s9, 0, v34
	s_wait_loadcnt 0x4
	v_cmp_ne_u16_e64 s10, 0, v35
	s_and_b32 s3, s5, s6
	s_wait_loadcnt 0x3
	v_cmp_ne_u16_e64 s11, 0, v36
	s_wait_loadcnt 0x2
	v_cmp_ne_u16_e64 s12, 0, v37
	s_and_b32 s4, s7, s8
	s_wait_loadcnt 0x1
	v_cmp_ne_u16_e64 s13, 0, v38
	s_and_b32 s5, s9, s10
	s_and_b32 s6, s11, s12
	s_wait_loadcnt 0x0
	v_cmp_ne_u16_e64 s14, 0, v2
	v_cndmask_b32_e64 v2, 0, 1, s0
	s_and_b32 s0, s1, s15
	s_delay_alu instid0(SALU_CYCLE_1) | instskip(SKIP_4) | instid1(SALU_CYCLE_1)
	v_cndmask_b32_e64 v3, 0, 1, s0
	s_and_b32 s0, s2, s15
	s_and_b32 s7, s13, s14
	v_cndmask_b32_e64 v4, 0, 1, s0
	s_and_b32 s0, s3, s15
	v_cndmask_b32_e64 v6, 0, 1, s0
	s_and_b32 s0, s4, s15
	s_delay_alu instid0(SALU_CYCLE_1) | instskip(SKIP_1) | instid1(SALU_CYCLE_1)
	v_cndmask_b32_e64 v7, 0, 1, s0
	s_and_b32 s0, s5, s15
	v_cndmask_b32_e64 v10, 0, 1, s0
	s_and_b32 s0, s6, s15
	s_delay_alu instid0(SALU_CYCLE_1) | instskip(SKIP_1) | instid1(SALU_CYCLE_1)
	v_cndmask_b32_e64 v11, 0, 1, s0
	s_and_b32 s0, s7, s15
	v_cndmask_b32_e64 v13, 0, 1, s0
	s_wait_kmcnt 0x0
	s_clause 0x7
	global_store_b8 v1, v2, s[16:17]
	global_store_b8 v5, v3, s[16:17]
	;; [unrolled: 1-line block ×8, first 2 shown]
	s_endpgm
	.section	.rodata,"a",@progbits
	.p2align	6, 0x0
	.amdhsa_kernel _ZN2at6native32elementwise_kernel_manual_unrollILi128ELi8EZNS0_22gpu_kernel_impl_nocastIZNS0_12_GLOBAL__N_116addr_kernel_cudaERNS_14TensorIteratorERKN3c106ScalarES9_EUlbbbE_EEvRNS_18TensorIteratorBaseERKT_EUlibE_EEviT1_
		.amdhsa_group_segment_fixed_size 0
		.amdhsa_private_segment_fixed_size 0
		.amdhsa_kernarg_size 504
		.amdhsa_user_sgpr_count 2
		.amdhsa_user_sgpr_dispatch_ptr 0
		.amdhsa_user_sgpr_queue_ptr 0
		.amdhsa_user_sgpr_kernarg_segment_ptr 1
		.amdhsa_user_sgpr_dispatch_id 0
		.amdhsa_user_sgpr_kernarg_preload_length 0
		.amdhsa_user_sgpr_kernarg_preload_offset 0
		.amdhsa_user_sgpr_private_segment_size 0
		.amdhsa_wavefront_size32 1
		.amdhsa_uses_dynamic_stack 0
		.amdhsa_enable_private_segment 0
		.amdhsa_system_sgpr_workgroup_id_x 1
		.amdhsa_system_sgpr_workgroup_id_y 0
		.amdhsa_system_sgpr_workgroup_id_z 0
		.amdhsa_system_sgpr_workgroup_info 0
		.amdhsa_system_vgpr_workitem_id 0
		.amdhsa_next_free_vgpr 39
		.amdhsa_next_free_sgpr 45
		.amdhsa_named_barrier_count 0
		.amdhsa_reserve_vcc 1
		.amdhsa_float_round_mode_32 0
		.amdhsa_float_round_mode_16_64 0
		.amdhsa_float_denorm_mode_32 3
		.amdhsa_float_denorm_mode_16_64 3
		.amdhsa_fp16_overflow 0
		.amdhsa_memory_ordered 1
		.amdhsa_forward_progress 1
		.amdhsa_inst_pref_size 90
		.amdhsa_round_robin_scheduling 0
		.amdhsa_exception_fp_ieee_invalid_op 0
		.amdhsa_exception_fp_denorm_src 0
		.amdhsa_exception_fp_ieee_div_zero 0
		.amdhsa_exception_fp_ieee_overflow 0
		.amdhsa_exception_fp_ieee_underflow 0
		.amdhsa_exception_fp_ieee_inexact 0
		.amdhsa_exception_int_div_zero 0
	.end_amdhsa_kernel
	.section	.text._ZN2at6native32elementwise_kernel_manual_unrollILi128ELi8EZNS0_22gpu_kernel_impl_nocastIZNS0_12_GLOBAL__N_116addr_kernel_cudaERNS_14TensorIteratorERKN3c106ScalarES9_EUlbbbE_EEvRNS_18TensorIteratorBaseERKT_EUlibE_EEviT1_,"axG",@progbits,_ZN2at6native32elementwise_kernel_manual_unrollILi128ELi8EZNS0_22gpu_kernel_impl_nocastIZNS0_12_GLOBAL__N_116addr_kernel_cudaERNS_14TensorIteratorERKN3c106ScalarES9_EUlbbbE_EEvRNS_18TensorIteratorBaseERKT_EUlibE_EEviT1_,comdat
.Lfunc_end5:
	.size	_ZN2at6native32elementwise_kernel_manual_unrollILi128ELi8EZNS0_22gpu_kernel_impl_nocastIZNS0_12_GLOBAL__N_116addr_kernel_cudaERNS_14TensorIteratorERKN3c106ScalarES9_EUlbbbE_EEvRNS_18TensorIteratorBaseERKT_EUlibE_EEviT1_, .Lfunc_end5-_ZN2at6native32elementwise_kernel_manual_unrollILi128ELi8EZNS0_22gpu_kernel_impl_nocastIZNS0_12_GLOBAL__N_116addr_kernel_cudaERNS_14TensorIteratorERKN3c106ScalarES9_EUlbbbE_EEvRNS_18TensorIteratorBaseERKT_EUlibE_EEviT1_
                                        ; -- End function
	.set _ZN2at6native32elementwise_kernel_manual_unrollILi128ELi8EZNS0_22gpu_kernel_impl_nocastIZNS0_12_GLOBAL__N_116addr_kernel_cudaERNS_14TensorIteratorERKN3c106ScalarES9_EUlbbbE_EEvRNS_18TensorIteratorBaseERKT_EUlibE_EEviT1_.num_vgpr, 39
	.set _ZN2at6native32elementwise_kernel_manual_unrollILi128ELi8EZNS0_22gpu_kernel_impl_nocastIZNS0_12_GLOBAL__N_116addr_kernel_cudaERNS_14TensorIteratorERKN3c106ScalarES9_EUlbbbE_EEvRNS_18TensorIteratorBaseERKT_EUlibE_EEviT1_.num_agpr, 0
	.set _ZN2at6native32elementwise_kernel_manual_unrollILi128ELi8EZNS0_22gpu_kernel_impl_nocastIZNS0_12_GLOBAL__N_116addr_kernel_cudaERNS_14TensorIteratorERKN3c106ScalarES9_EUlbbbE_EEvRNS_18TensorIteratorBaseERKT_EUlibE_EEviT1_.numbered_sgpr, 45
	.set _ZN2at6native32elementwise_kernel_manual_unrollILi128ELi8EZNS0_22gpu_kernel_impl_nocastIZNS0_12_GLOBAL__N_116addr_kernel_cudaERNS_14TensorIteratorERKN3c106ScalarES9_EUlbbbE_EEvRNS_18TensorIteratorBaseERKT_EUlibE_EEviT1_.num_named_barrier, 0
	.set _ZN2at6native32elementwise_kernel_manual_unrollILi128ELi8EZNS0_22gpu_kernel_impl_nocastIZNS0_12_GLOBAL__N_116addr_kernel_cudaERNS_14TensorIteratorERKN3c106ScalarES9_EUlbbbE_EEvRNS_18TensorIteratorBaseERKT_EUlibE_EEviT1_.private_seg_size, 0
	.set _ZN2at6native32elementwise_kernel_manual_unrollILi128ELi8EZNS0_22gpu_kernel_impl_nocastIZNS0_12_GLOBAL__N_116addr_kernel_cudaERNS_14TensorIteratorERKN3c106ScalarES9_EUlbbbE_EEvRNS_18TensorIteratorBaseERKT_EUlibE_EEviT1_.uses_vcc, 1
	.set _ZN2at6native32elementwise_kernel_manual_unrollILi128ELi8EZNS0_22gpu_kernel_impl_nocastIZNS0_12_GLOBAL__N_116addr_kernel_cudaERNS_14TensorIteratorERKN3c106ScalarES9_EUlbbbE_EEvRNS_18TensorIteratorBaseERKT_EUlibE_EEviT1_.uses_flat_scratch, 0
	.set _ZN2at6native32elementwise_kernel_manual_unrollILi128ELi8EZNS0_22gpu_kernel_impl_nocastIZNS0_12_GLOBAL__N_116addr_kernel_cudaERNS_14TensorIteratorERKN3c106ScalarES9_EUlbbbE_EEvRNS_18TensorIteratorBaseERKT_EUlibE_EEviT1_.has_dyn_sized_stack, 0
	.set _ZN2at6native32elementwise_kernel_manual_unrollILi128ELi8EZNS0_22gpu_kernel_impl_nocastIZNS0_12_GLOBAL__N_116addr_kernel_cudaERNS_14TensorIteratorERKN3c106ScalarES9_EUlbbbE_EEvRNS_18TensorIteratorBaseERKT_EUlibE_EEviT1_.has_recursion, 0
	.set _ZN2at6native32elementwise_kernel_manual_unrollILi128ELi8EZNS0_22gpu_kernel_impl_nocastIZNS0_12_GLOBAL__N_116addr_kernel_cudaERNS_14TensorIteratorERKN3c106ScalarES9_EUlbbbE_EEvRNS_18TensorIteratorBaseERKT_EUlibE_EEviT1_.has_indirect_call, 0
	.section	.AMDGPU.csdata,"",@progbits
; Kernel info:
; codeLenInByte = 11484
; TotalNumSgprs: 47
; NumVgprs: 39
; ScratchSize: 0
; MemoryBound: 0
; FloatMode: 240
; IeeeMode: 1
; LDSByteSize: 0 bytes/workgroup (compile time only)
; SGPRBlocks: 0
; VGPRBlocks: 2
; NumSGPRsForWavesPerEU: 47
; NumVGPRsForWavesPerEU: 39
; NamedBarCnt: 0
; Occupancy: 16
; WaveLimiterHint : 1
; COMPUTE_PGM_RSRC2:SCRATCH_EN: 0
; COMPUTE_PGM_RSRC2:USER_SGPR: 2
; COMPUTE_PGM_RSRC2:TRAP_HANDLER: 0
; COMPUTE_PGM_RSRC2:TGID_X_EN: 1
; COMPUTE_PGM_RSRC2:TGID_Y_EN: 0
; COMPUTE_PGM_RSRC2:TGID_Z_EN: 0
; COMPUTE_PGM_RSRC2:TIDIG_COMP_CNT: 0
	.section	.text._ZN2at6native32elementwise_kernel_manual_unrollILi128ELi4EZNS0_15gpu_kernel_implIZNS0_12_GLOBAL__N_116addr_kernel_cudaERNS_14TensorIteratorERKN3c106ScalarES9_EUlbbbE_EEvRNS_18TensorIteratorBaseERKT_EUlibE_EEviT1_,"axG",@progbits,_ZN2at6native32elementwise_kernel_manual_unrollILi128ELi4EZNS0_15gpu_kernel_implIZNS0_12_GLOBAL__N_116addr_kernel_cudaERNS_14TensorIteratorERKN3c106ScalarES9_EUlbbbE_EEvRNS_18TensorIteratorBaseERKT_EUlibE_EEviT1_,comdat
	.globl	_ZN2at6native32elementwise_kernel_manual_unrollILi128ELi4EZNS0_15gpu_kernel_implIZNS0_12_GLOBAL__N_116addr_kernel_cudaERNS_14TensorIteratorERKN3c106ScalarES9_EUlbbbE_EEvRNS_18TensorIteratorBaseERKT_EUlibE_EEviT1_ ; -- Begin function _ZN2at6native32elementwise_kernel_manual_unrollILi128ELi4EZNS0_15gpu_kernel_implIZNS0_12_GLOBAL__N_116addr_kernel_cudaERNS_14TensorIteratorERKN3c106ScalarES9_EUlbbbE_EEvRNS_18TensorIteratorBaseERKT_EUlibE_EEviT1_
	.p2align	8
	.type	_ZN2at6native32elementwise_kernel_manual_unrollILi128ELi4EZNS0_15gpu_kernel_implIZNS0_12_GLOBAL__N_116addr_kernel_cudaERNS_14TensorIteratorERKN3c106ScalarES9_EUlbbbE_EEvRNS_18TensorIteratorBaseERKT_EUlibE_EEviT1_,@function
_ZN2at6native32elementwise_kernel_manual_unrollILi128ELi4EZNS0_15gpu_kernel_implIZNS0_12_GLOBAL__N_116addr_kernel_cudaERNS_14TensorIteratorERKN3c106ScalarES9_EUlbbbE_EEvRNS_18TensorIteratorBaseERKT_EUlibE_EEviT1_: ; @_ZN2at6native32elementwise_kernel_manual_unrollILi128ELi4EZNS0_15gpu_kernel_implIZNS0_12_GLOBAL__N_116addr_kernel_cudaERNS_14TensorIteratorERKN3c106ScalarES9_EUlbbbE_EEvRNS_18TensorIteratorBaseERKT_EUlibE_EEviT1_
; %bb.0:
	s_load_b128 s[4:7], s[0:1], 0x30
	s_bfe_u32 s8, ttmp6, 0x4000c
	s_clause 0x1
	s_load_b32 s18, s[0:1], 0x0
	s_load_b64 s[2:3], s[0:1], 0x8
	s_add_co_i32 s12, s8, 1
	s_clause 0x1
	s_load_b128 s[8:11], s[0:1], 0x18
	s_load_b32 s14, s[0:1], 0x28
	s_and_b32 s16, ttmp6, 15
	s_wait_xcnt 0x0
	s_mul_i32 s0, ttmp9, s12
	s_getreg_b32 s17, hwreg(HW_REG_IB_STS2, 6, 4)
	s_add_co_i32 s16, s16, s0
	s_wait_kmcnt 0x0
	s_lshr_b32 s1, s6, 8
	s_lshr_b32 s15, s6, 16
	s_lshr_b64 s[12:13], s[6:7], 24
	s_cmp_eq_u32 s17, 0
	s_mov_b32 s13, 0
	s_cselect_b32 s0, ttmp9, s16
	s_mov_b32 s17, 0
	v_lshl_or_b32 v6, s0, 9, v0
	s_mov_b32 s0, exec_lo
	s_delay_alu instid0(VALU_DEP_1) | instskip(NEXT) | instid1(VALU_DEP_1)
	v_or_b32_e32 v0, 0x180, v6
	v_cmpx_le_i32_e64 s18, v0
	s_xor_b32 s16, exec_lo, s0
	s_cbranch_execz .LBB6_1470
; %bb.1:
	s_bitcmp1_b32 s6, 0
	s_mov_b32 s0, -1
	s_cselect_b32 s17, -1, 0
	s_mov_b32 s24, 0
	s_mov_b32 s22, 0
	s_mov_b32 s21, 0
	s_mov_b32 s20, 0
	s_mov_b32 s19, 0
	s_mov_b32 s23, exec_lo
	v_cmpx_gt_i32_e64 s18, v6
	s_cbranch_execz .LBB6_364
; %bb.2:
	s_and_b32 s19, s15, 0xff
	s_delay_alu instid0(SALU_CYCLE_1)
	s_cmp_lt_i32 s19, 23
	s_cbranch_scc1 .LBB6_6
; %bb.3:
	s_and_b32 s20, 0xffff, s19
	s_delay_alu instid0(SALU_CYCLE_1)
	s_cmp_gt_i32 s20, 43
	s_cbranch_scc0 .LBB6_7
; %bb.4:
	s_cmp_gt_i32 s20, 45
	s_cbranch_scc0 .LBB6_8
; %bb.5:
	s_cmp_eq_u32 s20, 46
	s_mov_b32 s22, -1
	s_cselect_b32 s0, -1, 0
	s_branch .LBB6_9
.LBB6_6:
	s_mov_b32 s0, 0
	s_cbranch_execnz .LBB6_14
	s_branch .LBB6_18
.LBB6_7:
	s_mov_b32 s0, 0
	s_cbranch_execnz .LBB6_12
	s_branch .LBB6_13
.LBB6_8:
	s_mov_b32 s21, -1
	s_mov_b32 s0, 0
.LBB6_9:
	s_and_not1_b32 vcc_lo, exec_lo, s21
	s_cbranch_vccnz .LBB6_11
; %bb.10:
	s_cmp_eq_u32 s20, 44
	s_cselect_b32 s0, -1, 0
	s_cmp_lg_u32 s20, 44
	s_cselect_b32 s22, -1, 0
.LBB6_11:
	s_branch .LBB6_13
.LBB6_12:
	s_cmp_lt_i32 s20, 30
	s_cselect_b32 s0, -1, 0
	s_cmp_gt_i32 s20, 29
	s_cselect_b32 s22, -1, 0
.LBB6_13:
	s_branch .LBB6_18
.LBB6_14:
	s_and_b32 s19, 0xffff, s19
	s_mov_b32 s20, -1
	s_cmp_gt_i32 s19, 14
	s_cbranch_scc0 .LBB6_16
; %bb.15:
	s_cmp_eq_u32 s19, 15
	s_mov_b32 s20, 0
	s_cselect_b32 s0, -1, 0
	s_cmp_lg_u32 s19, 15
	s_cselect_b32 s22, -1, 0
.LBB6_16:
	s_and_not1_b32 vcc_lo, exec_lo, s20
	s_cbranch_vccnz .LBB6_18
; %bb.17:
	s_cmp_lt_i32 s19, 12
	s_cselect_b32 s0, -1, 0
	s_cmp_gt_i32 s19, 11
	s_cselect_b32 s22, -1, 0
.LBB6_18:
	s_and_b32 vcc_lo, exec_lo, s0
	s_cbranch_vccz .LBB6_26
; %bb.19:
	v_mul_lo_u32 v0, v6, s4
	s_and_b32 s0, s12, 0xff
	s_delay_alu instid0(SALU_CYCLE_1) | instskip(NEXT) | instid1(VALU_DEP_1)
	s_cmp_lt_i32 s0, 11
	v_ashrrev_i32_e32 v1, 31, v0
	s_delay_alu instid0(VALU_DEP_1)
	v_add_nc_u64_e32 v[0:1], s[8:9], v[0:1]
	s_cbranch_scc1 .LBB6_27
; %bb.20:
	s_and_b32 s20, 0xffff, s0
	s_delay_alu instid0(SALU_CYCLE_1)
	s_cmp_gt_i32 s20, 25
	s_cbranch_scc0 .LBB6_28
; %bb.21:
	s_cmp_gt_i32 s20, 28
	s_cbranch_scc0 .LBB6_29
; %bb.22:
	;; [unrolled: 3-line block ×4, first 2 shown]
	s_cmp_eq_u32 s20, 46
	s_mov_b32 s22, 0
	s_cbranch_scc0 .LBB6_32
; %bb.25:
	global_load_b32 v2, v[0:1], off
	s_mov_b32 s21, 0
	s_mov_b32 s25, -1
	s_wait_loadcnt 0x0
	v_and_b32_e32 v2, 0x7fff7fff, v2
	s_delay_alu instid0(VALU_DEP_1)
	v_cmp_ne_u32_e64 s19, 0, v2
	s_branch .LBB6_34
.LBB6_26:
	s_mov_b32 s0, 0
	s_mov_b32 s20, 0
	;; [unrolled: 1-line block ×4, first 2 shown]
                                        ; implicit-def: $vgpr6
	s_branch .LBB6_363
.LBB6_27:
	s_mov_b32 s21, 0
	s_mov_b32 s25, 0
                                        ; implicit-def: $sgpr19
	s_cbranch_execnz .LBB6_81
	s_branch .LBB6_129
.LBB6_28:
	s_mov_b32 s22, -1
	s_mov_b32 s21, 0
	s_mov_b32 s25, 0
                                        ; implicit-def: $sgpr19
	s_branch .LBB6_55
.LBB6_29:
	s_mov_b32 s22, -1
	s_mov_b32 s21, 0
	s_mov_b32 s25, 0
                                        ; implicit-def: $sgpr19
	s_branch .LBB6_42
.LBB6_30:
	s_mov_b32 s22, -1
	s_mov_b32 s21, 0
	s_mov_b32 s25, 0
                                        ; implicit-def: $sgpr19
	s_branch .LBB6_37
.LBB6_31:
	s_mov_b32 s22, -1
	s_mov_b32 s21, 0
	s_branch .LBB6_33
.LBB6_32:
	s_mov_b32 s21, -1
.LBB6_33:
	s_mov_b32 s25, 0
                                        ; implicit-def: $sgpr19
.LBB6_34:
	s_and_b32 vcc_lo, exec_lo, s22
	s_cbranch_vccz .LBB6_36
; %bb.35:
	s_cmp_eq_u32 s20, 44
	s_mov_b32 s21, -1
	s_cselect_b32 s25, -1, 0
	s_or_b32 s19, s19, exec_lo
.LBB6_36:
	s_mov_b32 s22, 0
.LBB6_37:
	s_delay_alu instid0(SALU_CYCLE_1)
	s_and_b32 vcc_lo, exec_lo, s22
	s_cbranch_vccz .LBB6_41
; %bb.38:
	s_cmp_eq_u32 s20, 29
	s_cbranch_scc0 .LBB6_40
; %bb.39:
	global_load_b64 v[2:3], v[0:1], off
	s_mov_b32 s25, -1
	s_mov_b32 s21, 0
	s_mov_b32 s22, 0
	s_wait_loadcnt 0x0
	v_cmp_ne_u64_e64 s19, 0, v[2:3]
	s_branch .LBB6_42
.LBB6_40:
	s_mov_b32 s21, -1
                                        ; implicit-def: $sgpr19
.LBB6_41:
	s_mov_b32 s22, 0
.LBB6_42:
	s_delay_alu instid0(SALU_CYCLE_1)
	s_and_b32 vcc_lo, exec_lo, s22
	s_cbranch_vccz .LBB6_54
; %bb.43:
	s_cmp_lt_i32 s20, 27
	s_cbranch_scc1 .LBB6_46
; %bb.44:
	s_cmp_gt_i32 s20, 27
	s_cbranch_scc0 .LBB6_47
; %bb.45:
	global_load_b32 v2, v[0:1], off
	s_mov_b32 s22, 0
	s_wait_loadcnt 0x0
	v_cmp_ne_u32_e64 s19, 0, v2
	s_branch .LBB6_48
.LBB6_46:
	s_mov_b32 s22, -1
                                        ; implicit-def: $sgpr19
	s_branch .LBB6_51
.LBB6_47:
	s_mov_b32 s22, -1
                                        ; implicit-def: $sgpr19
.LBB6_48:
	s_delay_alu instid0(SALU_CYCLE_1)
	s_and_not1_b32 vcc_lo, exec_lo, s22
	s_cbranch_vccnz .LBB6_50
; %bb.49:
	global_load_u16 v2, v[0:1], off
	s_and_not1_b32 s19, s19, exec_lo
	s_wait_loadcnt 0x0
	v_cmp_ne_u16_e32 vcc_lo, 0, v2
	s_and_b32 s22, vcc_lo, exec_lo
	s_delay_alu instid0(SALU_CYCLE_1)
	s_or_b32 s19, s19, s22
.LBB6_50:
	s_mov_b32 s22, 0
.LBB6_51:
	s_delay_alu instid0(SALU_CYCLE_1)
	s_and_not1_b32 vcc_lo, exec_lo, s22
	s_cbranch_vccnz .LBB6_53
; %bb.52:
	global_load_u8 v2, v[0:1], off
	s_and_not1_b32 s19, s19, exec_lo
	s_wait_loadcnt 0x0
	v_cmp_ne_u16_e32 vcc_lo, 0, v2
	s_and_b32 s22, vcc_lo, exec_lo
	s_delay_alu instid0(SALU_CYCLE_1)
	s_or_b32 s19, s19, s22
.LBB6_53:
	s_mov_b32 s25, -1
.LBB6_54:
	s_mov_b32 s22, 0
.LBB6_55:
	s_delay_alu instid0(SALU_CYCLE_1)
	s_and_b32 vcc_lo, exec_lo, s22
	s_cbranch_vccz .LBB6_80
; %bb.56:
	s_cmp_gt_i32 s20, 22
	s_cbranch_scc0 .LBB6_60
; %bb.57:
	s_cmp_lt_i32 s20, 24
	s_cbranch_scc1 .LBB6_61
; %bb.58:
	s_cmp_gt_i32 s20, 24
	s_cbranch_scc0 .LBB6_62
; %bb.59:
	global_load_u8 v2, v[0:1], off
	s_mov_b32 s22, 0
	s_wait_loadcnt 0x0
	v_cmp_ne_u16_e64 s19, 0, v2
	s_branch .LBB6_63
.LBB6_60:
	s_mov_b32 s22, -1
                                        ; implicit-def: $sgpr19
	s_branch .LBB6_69
.LBB6_61:
	s_mov_b32 s22, -1
                                        ; implicit-def: $sgpr19
	s_branch .LBB6_66
.LBB6_62:
	s_mov_b32 s22, -1
                                        ; implicit-def: $sgpr19
.LBB6_63:
	s_delay_alu instid0(SALU_CYCLE_1)
	s_and_not1_b32 vcc_lo, exec_lo, s22
	s_cbranch_vccnz .LBB6_65
; %bb.64:
	global_load_u8 v2, v[0:1], off
	s_and_not1_b32 s19, s19, exec_lo
	s_wait_loadcnt 0x0
	v_and_b32_e32 v2, 0x7f, v2
	s_delay_alu instid0(VALU_DEP_1) | instskip(SKIP_1) | instid1(SALU_CYCLE_1)
	v_cmp_ne_u16_e32 vcc_lo, 0, v2
	s_and_b32 s22, vcc_lo, exec_lo
	s_or_b32 s19, s19, s22
.LBB6_65:
	s_mov_b32 s22, 0
.LBB6_66:
	s_delay_alu instid0(SALU_CYCLE_1)
	s_and_not1_b32 vcc_lo, exec_lo, s22
	s_cbranch_vccnz .LBB6_68
; %bb.67:
	global_load_u8 v2, v[0:1], off
	s_and_not1_b32 s19, s19, exec_lo
	s_wait_loadcnt 0x0
	v_dual_lshlrev_b32 v3, 25, v2 :: v_dual_lshlrev_b32 v2, 8, v2
	s_delay_alu instid0(VALU_DEP_1) | instskip(NEXT) | instid1(VALU_DEP_2)
	v_cmp_gt_u32_e32 vcc_lo, 0x8000000, v3
	v_and_or_b32 v2, 0x7f00, v2, 0.5
	s_delay_alu instid0(VALU_DEP_1) | instskip(NEXT) | instid1(VALU_DEP_1)
	v_dual_lshrrev_b32 v4, 4, v3 :: v_dual_add_f32 v2, -0.5, v2
	v_or_b32_e32 v4, 0x70000000, v4
	s_delay_alu instid0(VALU_DEP_1) | instskip(NEXT) | instid1(VALU_DEP_1)
	v_mul_f32_e32 v4, 0x7800000, v4
	v_cndmask_b32_e32 v2, v4, v2, vcc_lo
	s_delay_alu instid0(VALU_DEP_1) | instskip(SKIP_1) | instid1(SALU_CYCLE_1)
	v_cmp_neq_f32_e32 vcc_lo, 0, v2
	s_and_b32 s22, vcc_lo, exec_lo
	s_or_b32 s19, s19, s22
.LBB6_68:
	s_mov_b32 s22, 0
	s_mov_b32 s25, -1
.LBB6_69:
	s_and_not1_b32 vcc_lo, exec_lo, s22
	s_cbranch_vccnz .LBB6_80
; %bb.70:
	s_cmp_gt_i32 s20, 14
	s_cbranch_scc0 .LBB6_73
; %bb.71:
	s_cmp_eq_u32 s20, 15
	s_cbranch_scc0 .LBB6_74
; %bb.72:
	global_load_u16 v2, v[0:1], off
	s_mov_b32 s21, 0
	s_mov_b32 s25, -1
	s_wait_loadcnt 0x0
	v_and_b32_e32 v2, 0x7fff, v2
	s_delay_alu instid0(VALU_DEP_1)
	v_cmp_ne_u16_e64 s19, 0, v2
	s_branch .LBB6_75
.LBB6_73:
	s_mov_b32 s22, -1
                                        ; implicit-def: $sgpr19
	s_branch .LBB6_76
.LBB6_74:
	s_mov_b32 s21, -1
                                        ; implicit-def: $sgpr19
.LBB6_75:
	s_mov_b32 s22, 0
.LBB6_76:
	s_delay_alu instid0(SALU_CYCLE_1)
	s_and_b32 vcc_lo, exec_lo, s22
	s_cbranch_vccz .LBB6_80
; %bb.77:
	s_cmp_eq_u32 s20, 11
	s_cbranch_scc0 .LBB6_79
; %bb.78:
	global_load_u8 v2, v[0:1], off
	s_mov_b32 s21, 0
	s_mov_b32 s25, -1
	s_wait_loadcnt 0x0
	v_cmp_ne_u16_e64 s19, 0, v2
	s_branch .LBB6_80
.LBB6_79:
	s_mov_b32 s21, -1
                                        ; implicit-def: $sgpr19
.LBB6_80:
	s_branch .LBB6_129
.LBB6_81:
	s_and_b32 s20, 0xffff, s0
	s_delay_alu instid0(SALU_CYCLE_1)
	s_cmp_lt_i32 s20, 5
	s_cbranch_scc1 .LBB6_86
; %bb.82:
	s_cmp_lt_i32 s20, 8
	s_cbranch_scc1 .LBB6_87
; %bb.83:
	;; [unrolled: 3-line block ×3, first 2 shown]
	s_cmp_gt_i32 s20, 9
	s_cbranch_scc0 .LBB6_89
; %bb.85:
	global_load_b128 v[2:5], v[0:1], off
	s_wait_loadcnt 0x0
	v_cmp_neq_f64_e32 vcc_lo, 0, v[2:3]
	v_cmp_neq_f64_e64 s0, 0, v[4:5]
	s_or_b32 s19, vcc_lo, s0
	s_mov_b32 s0, 0
	s_branch .LBB6_90
.LBB6_86:
	s_mov_b32 s0, -1
                                        ; implicit-def: $sgpr19
	s_branch .LBB6_108
.LBB6_87:
	s_mov_b32 s0, -1
                                        ; implicit-def: $sgpr19
	s_branch .LBB6_96
.LBB6_88:
	s_mov_b32 s0, -1
                                        ; implicit-def: $sgpr19
	s_branch .LBB6_93
.LBB6_89:
	s_mov_b32 s0, -1
                                        ; implicit-def: $sgpr19
.LBB6_90:
	s_delay_alu instid0(SALU_CYCLE_1)
	s_and_not1_b32 vcc_lo, exec_lo, s0
	s_cbranch_vccnz .LBB6_92
; %bb.91:
	global_load_b64 v[2:3], v[0:1], off
	s_and_not1_b32 s0, s19, exec_lo
	s_wait_loadcnt 0x0
	v_bitop3_b32 v2, v2, 0x7fffffff, v3 bitop3:0xc8
	s_delay_alu instid0(VALU_DEP_1) | instskip(SKIP_1) | instid1(SALU_CYCLE_1)
	v_cmp_ne_u32_e32 vcc_lo, 0, v2
	s_and_b32 s19, vcc_lo, exec_lo
	s_or_b32 s19, s0, s19
.LBB6_92:
	s_mov_b32 s0, 0
.LBB6_93:
	s_delay_alu instid0(SALU_CYCLE_1)
	s_and_not1_b32 vcc_lo, exec_lo, s0
	s_cbranch_vccnz .LBB6_95
; %bb.94:
	global_load_b32 v2, v[0:1], off
	s_and_not1_b32 s0, s19, exec_lo
	s_wait_loadcnt 0x0
	v_and_b32_e32 v2, 0x7fff7fff, v2
	s_delay_alu instid0(VALU_DEP_1) | instskip(SKIP_1) | instid1(SALU_CYCLE_1)
	v_cmp_ne_u32_e32 vcc_lo, 0, v2
	s_and_b32 s19, vcc_lo, exec_lo
	s_or_b32 s19, s0, s19
.LBB6_95:
	s_mov_b32 s0, 0
.LBB6_96:
	s_delay_alu instid0(SALU_CYCLE_1)
	s_and_not1_b32 vcc_lo, exec_lo, s0
	s_cbranch_vccnz .LBB6_107
; %bb.97:
	s_cmp_lt_i32 s20, 6
	s_cbranch_scc1 .LBB6_100
; %bb.98:
	s_cmp_gt_i32 s20, 6
	s_cbranch_scc0 .LBB6_101
; %bb.99:
	global_load_b64 v[2:3], v[0:1], off
	s_mov_b32 s0, 0
	s_wait_loadcnt 0x0
	v_cmp_neq_f64_e64 s19, 0, v[2:3]
	s_branch .LBB6_102
.LBB6_100:
	s_mov_b32 s0, -1
                                        ; implicit-def: $sgpr19
	s_branch .LBB6_105
.LBB6_101:
	s_mov_b32 s0, -1
                                        ; implicit-def: $sgpr19
.LBB6_102:
	s_delay_alu instid0(SALU_CYCLE_1)
	s_and_not1_b32 vcc_lo, exec_lo, s0
	s_cbranch_vccnz .LBB6_104
; %bb.103:
	global_load_b32 v2, v[0:1], off
	s_and_not1_b32 s0, s19, exec_lo
	s_wait_loadcnt 0x0
	v_cmp_neq_f32_e32 vcc_lo, 0, v2
	s_and_b32 s19, vcc_lo, exec_lo
	s_delay_alu instid0(SALU_CYCLE_1)
	s_or_b32 s19, s0, s19
.LBB6_104:
	s_mov_b32 s0, 0
.LBB6_105:
	s_delay_alu instid0(SALU_CYCLE_1)
	s_and_not1_b32 vcc_lo, exec_lo, s0
	s_cbranch_vccnz .LBB6_107
; %bb.106:
	global_load_u16 v2, v[0:1], off
	s_and_not1_b32 s0, s19, exec_lo
	s_wait_loadcnt 0x0
	v_and_b32_e32 v2, 0x7fff, v2
	s_delay_alu instid0(VALU_DEP_1) | instskip(SKIP_1) | instid1(SALU_CYCLE_1)
	v_cmp_ne_u16_e32 vcc_lo, 0, v2
	s_and_b32 s19, vcc_lo, exec_lo
	s_or_b32 s19, s0, s19
.LBB6_107:
	s_mov_b32 s0, 0
.LBB6_108:
	s_delay_alu instid0(SALU_CYCLE_1)
	s_and_not1_b32 vcc_lo, exec_lo, s0
	s_cbranch_vccnz .LBB6_128
; %bb.109:
	s_cmp_lt_i32 s20, 2
	s_cbranch_scc1 .LBB6_113
; %bb.110:
	s_cmp_lt_i32 s20, 3
	s_cbranch_scc1 .LBB6_114
; %bb.111:
	s_cmp_gt_i32 s20, 3
	s_cbranch_scc0 .LBB6_115
; %bb.112:
	global_load_b64 v[2:3], v[0:1], off
	s_mov_b32 s0, 0
	s_wait_loadcnt 0x0
	v_cmp_ne_u64_e64 s19, 0, v[2:3]
	s_branch .LBB6_116
.LBB6_113:
	s_mov_b32 s0, -1
                                        ; implicit-def: $sgpr19
	s_branch .LBB6_122
.LBB6_114:
	s_mov_b32 s0, -1
                                        ; implicit-def: $sgpr19
	s_branch .LBB6_119
.LBB6_115:
	s_mov_b32 s0, -1
                                        ; implicit-def: $sgpr19
.LBB6_116:
	s_delay_alu instid0(SALU_CYCLE_1)
	s_and_not1_b32 vcc_lo, exec_lo, s0
	s_cbranch_vccnz .LBB6_118
; %bb.117:
	global_load_b32 v2, v[0:1], off
	s_and_not1_b32 s0, s19, exec_lo
	s_wait_loadcnt 0x0
	v_cmp_ne_u32_e32 vcc_lo, 0, v2
	s_and_b32 s19, vcc_lo, exec_lo
	s_delay_alu instid0(SALU_CYCLE_1)
	s_or_b32 s19, s0, s19
.LBB6_118:
	s_mov_b32 s0, 0
.LBB6_119:
	s_delay_alu instid0(SALU_CYCLE_1)
	s_and_not1_b32 vcc_lo, exec_lo, s0
	s_cbranch_vccnz .LBB6_121
; %bb.120:
	global_load_u16 v2, v[0:1], off
	s_and_not1_b32 s0, s19, exec_lo
	s_wait_loadcnt 0x0
	v_cmp_ne_u16_e32 vcc_lo, 0, v2
	s_and_b32 s19, vcc_lo, exec_lo
	s_delay_alu instid0(SALU_CYCLE_1)
	s_or_b32 s19, s0, s19
.LBB6_121:
	s_mov_b32 s0, 0
.LBB6_122:
	s_delay_alu instid0(SALU_CYCLE_1)
	s_and_not1_b32 vcc_lo, exec_lo, s0
	s_cbranch_vccnz .LBB6_128
; %bb.123:
	s_cmp_gt_i32 s20, 0
	s_mov_b32 s0, 0
	s_cbranch_scc0 .LBB6_125
; %bb.124:
	global_load_u8 v2, v[0:1], off
	s_wait_loadcnt 0x0
	v_cmp_ne_u16_e64 s19, 0, v2
	s_branch .LBB6_126
.LBB6_125:
	s_mov_b32 s0, -1
                                        ; implicit-def: $sgpr19
.LBB6_126:
	s_delay_alu instid0(SALU_CYCLE_1)
	s_and_not1_b32 vcc_lo, exec_lo, s0
	s_cbranch_vccnz .LBB6_128
; %bb.127:
	global_load_u8 v0, v[0:1], off
	s_and_not1_b32 s0, s19, exec_lo
	s_wait_loadcnt 0x0
	v_cmp_ne_u16_e32 vcc_lo, 0, v0
	s_and_b32 s19, vcc_lo, exec_lo
	s_delay_alu instid0(SALU_CYCLE_1)
	s_or_b32 s19, s0, s19
.LBB6_128:
	s_mov_b32 s25, -1
.LBB6_129:
	s_mov_b32 s22, 0
	s_mov_b32 s0, 0
	s_and_not1_b32 vcc_lo, exec_lo, s25
	s_mov_b32 s20, 0
	s_mov_b32 s26, 0
	s_cbranch_vccnz .LBB6_363
; %bb.130:
	v_mul_lo_u32 v0, v6, s5
	s_and_b32 s0, s7, 0xff
	s_delay_alu instid0(SALU_CYCLE_1) | instskip(NEXT) | instid1(VALU_DEP_1)
	s_cmp_lt_i32 s0, 11
	v_ashrrev_i32_e32 v1, 31, v0
	s_delay_alu instid0(VALU_DEP_1)
	v_add_nc_u64_e32 v[0:1], s[10:11], v[0:1]
	s_cbranch_scc1 .LBB6_137
; %bb.131:
	s_and_b32 s21, 0xffff, s0
	s_delay_alu instid0(SALU_CYCLE_1)
	s_cmp_gt_i32 s21, 25
	s_cbranch_scc0 .LBB6_138
; %bb.132:
	s_cmp_gt_i32 s21, 28
	s_cbranch_scc0 .LBB6_139
; %bb.133:
	s_cmp_gt_i32 s21, 43
	s_cbranch_scc0 .LBB6_140
; %bb.134:
	s_cmp_gt_i32 s21, 45
	s_cbranch_scc0 .LBB6_141
; %bb.135:
	s_cmp_eq_u32 s21, 46
	s_mov_b32 s27, 0
	s_cbranch_scc0 .LBB6_142
; %bb.136:
	global_load_b32 v2, v[0:1], off
	s_mov_b32 s26, -1
	s_wait_loadcnt 0x0
	v_and_b32_e32 v2, 0x7fff7fff, v2
	s_delay_alu instid0(VALU_DEP_1)
	v_cmp_ne_u32_e64 s25, 0, v2
	s_branch .LBB6_144
.LBB6_137:
	s_mov_b32 s21, -1
                                        ; implicit-def: $sgpr25
	s_branch .LBB6_191
.LBB6_138:
	s_mov_b32 s27, -1
                                        ; implicit-def: $sgpr25
	s_branch .LBB6_165
.LBB6_139:
	s_mov_b32 s27, -1
                                        ; implicit-def: $sgpr25
	s_branch .LBB6_152
.LBB6_140:
	s_mov_b32 s27, -1
                                        ; implicit-def: $sgpr25
	s_branch .LBB6_147
.LBB6_141:
	s_mov_b32 s27, -1
	s_branch .LBB6_143
.LBB6_142:
	s_mov_b32 s20, -1
.LBB6_143:
                                        ; implicit-def: $sgpr25
.LBB6_144:
	s_and_b32 vcc_lo, exec_lo, s27
	s_cbranch_vccz .LBB6_146
; %bb.145:
	s_cmp_eq_u32 s21, 44
	s_mov_b32 s20, -1
	s_cselect_b32 s26, -1, 0
	s_or_b32 s25, s25, exec_lo
.LBB6_146:
	s_mov_b32 s27, 0
.LBB6_147:
	s_delay_alu instid0(SALU_CYCLE_1)
	s_and_b32 vcc_lo, exec_lo, s27
	s_cbranch_vccz .LBB6_151
; %bb.148:
	s_cmp_eq_u32 s21, 29
	s_cbranch_scc0 .LBB6_150
; %bb.149:
	global_load_b64 v[2:3], v[0:1], off
	s_mov_b32 s26, -1
	s_mov_b32 s20, 0
	s_mov_b32 s27, 0
	s_wait_loadcnt 0x0
	v_cmp_ne_u64_e64 s25, 0, v[2:3]
	s_branch .LBB6_152
.LBB6_150:
	s_mov_b32 s20, -1
                                        ; implicit-def: $sgpr25
.LBB6_151:
	s_mov_b32 s27, 0
.LBB6_152:
	s_delay_alu instid0(SALU_CYCLE_1)
	s_and_b32 vcc_lo, exec_lo, s27
	s_cbranch_vccz .LBB6_164
; %bb.153:
	s_cmp_lt_i32 s21, 27
	s_cbranch_scc1 .LBB6_156
; %bb.154:
	s_cmp_gt_i32 s21, 27
	s_cbranch_scc0 .LBB6_157
; %bb.155:
	global_load_b32 v2, v[0:1], off
	s_mov_b32 s26, 0
	s_wait_loadcnt 0x0
	v_cmp_ne_u32_e64 s25, 0, v2
	s_branch .LBB6_158
.LBB6_156:
	s_mov_b32 s26, -1
                                        ; implicit-def: $sgpr25
	s_branch .LBB6_161
.LBB6_157:
	s_mov_b32 s26, -1
                                        ; implicit-def: $sgpr25
.LBB6_158:
	s_delay_alu instid0(SALU_CYCLE_1)
	s_and_not1_b32 vcc_lo, exec_lo, s26
	s_cbranch_vccnz .LBB6_160
; %bb.159:
	global_load_u16 v2, v[0:1], off
	s_and_not1_b32 s25, s25, exec_lo
	s_wait_loadcnt 0x0
	v_cmp_ne_u16_e32 vcc_lo, 0, v2
	s_and_b32 s26, vcc_lo, exec_lo
	s_delay_alu instid0(SALU_CYCLE_1)
	s_or_b32 s25, s25, s26
.LBB6_160:
	s_mov_b32 s26, 0
.LBB6_161:
	s_delay_alu instid0(SALU_CYCLE_1)
	s_and_not1_b32 vcc_lo, exec_lo, s26
	s_cbranch_vccnz .LBB6_163
; %bb.162:
	global_load_u8 v2, v[0:1], off
	s_and_not1_b32 s25, s25, exec_lo
	s_wait_loadcnt 0x0
	v_cmp_ne_u16_e32 vcc_lo, 0, v2
	s_and_b32 s26, vcc_lo, exec_lo
	s_delay_alu instid0(SALU_CYCLE_1)
	s_or_b32 s25, s25, s26
.LBB6_163:
	s_mov_b32 s26, -1
.LBB6_164:
	s_mov_b32 s27, 0
.LBB6_165:
	s_delay_alu instid0(SALU_CYCLE_1)
	s_and_b32 vcc_lo, exec_lo, s27
	s_cbranch_vccz .LBB6_190
; %bb.166:
	s_cmp_gt_i32 s21, 22
	s_cbranch_scc0 .LBB6_170
; %bb.167:
	s_cmp_lt_i32 s21, 24
	s_cbranch_scc1 .LBB6_171
; %bb.168:
	s_cmp_gt_i32 s21, 24
	s_cbranch_scc0 .LBB6_172
; %bb.169:
	global_load_u8 v2, v[0:1], off
	s_mov_b32 s26, 0
	s_wait_loadcnt 0x0
	v_cmp_ne_u16_e64 s25, 0, v2
	s_branch .LBB6_173
.LBB6_170:
	s_mov_b32 s27, -1
                                        ; implicit-def: $sgpr25
	s_branch .LBB6_179
.LBB6_171:
	s_mov_b32 s26, -1
                                        ; implicit-def: $sgpr25
	s_branch .LBB6_176
.LBB6_172:
	s_mov_b32 s26, -1
                                        ; implicit-def: $sgpr25
.LBB6_173:
	s_delay_alu instid0(SALU_CYCLE_1)
	s_and_not1_b32 vcc_lo, exec_lo, s26
	s_cbranch_vccnz .LBB6_175
; %bb.174:
	global_load_u8 v2, v[0:1], off
	s_and_not1_b32 s25, s25, exec_lo
	s_wait_loadcnt 0x0
	v_and_b32_e32 v2, 0x7f, v2
	s_delay_alu instid0(VALU_DEP_1) | instskip(SKIP_1) | instid1(SALU_CYCLE_1)
	v_cmp_ne_u16_e32 vcc_lo, 0, v2
	s_and_b32 s26, vcc_lo, exec_lo
	s_or_b32 s25, s25, s26
.LBB6_175:
	s_mov_b32 s26, 0
.LBB6_176:
	s_delay_alu instid0(SALU_CYCLE_1)
	s_and_not1_b32 vcc_lo, exec_lo, s26
	s_cbranch_vccnz .LBB6_178
; %bb.177:
	global_load_u8 v2, v[0:1], off
	s_and_not1_b32 s25, s25, exec_lo
	s_wait_loadcnt 0x0
	v_dual_lshlrev_b32 v3, 25, v2 :: v_dual_lshlrev_b32 v2, 8, v2
	s_delay_alu instid0(VALU_DEP_1) | instskip(NEXT) | instid1(VALU_DEP_2)
	v_cmp_gt_u32_e32 vcc_lo, 0x8000000, v3
	v_and_or_b32 v2, 0x7f00, v2, 0.5
	s_delay_alu instid0(VALU_DEP_1) | instskip(NEXT) | instid1(VALU_DEP_1)
	v_dual_lshrrev_b32 v4, 4, v3 :: v_dual_add_f32 v2, -0.5, v2
	v_or_b32_e32 v4, 0x70000000, v4
	s_delay_alu instid0(VALU_DEP_1) | instskip(NEXT) | instid1(VALU_DEP_1)
	v_mul_f32_e32 v4, 0x7800000, v4
	v_cndmask_b32_e32 v2, v4, v2, vcc_lo
	s_delay_alu instid0(VALU_DEP_1) | instskip(SKIP_1) | instid1(SALU_CYCLE_1)
	v_cmp_neq_f32_e32 vcc_lo, 0, v2
	s_and_b32 s26, vcc_lo, exec_lo
	s_or_b32 s25, s25, s26
.LBB6_178:
	s_mov_b32 s27, 0
	s_mov_b32 s26, -1
.LBB6_179:
	s_and_not1_b32 vcc_lo, exec_lo, s27
	s_cbranch_vccnz .LBB6_190
; %bb.180:
	s_cmp_gt_i32 s21, 14
	s_cbranch_scc0 .LBB6_183
; %bb.181:
	s_cmp_eq_u32 s21, 15
	s_cbranch_scc0 .LBB6_184
; %bb.182:
	global_load_u16 v2, v[0:1], off
	s_mov_b32 s20, 0
	s_mov_b32 s26, -1
	s_wait_loadcnt 0x0
	v_and_b32_e32 v2, 0x7fff, v2
	s_delay_alu instid0(VALU_DEP_1)
	v_cmp_ne_u16_e64 s25, 0, v2
	s_branch .LBB6_185
.LBB6_183:
	s_mov_b32 s27, -1
                                        ; implicit-def: $sgpr25
	s_branch .LBB6_186
.LBB6_184:
	s_mov_b32 s20, -1
                                        ; implicit-def: $sgpr25
.LBB6_185:
	s_mov_b32 s27, 0
.LBB6_186:
	s_delay_alu instid0(SALU_CYCLE_1)
	s_and_b32 vcc_lo, exec_lo, s27
	s_cbranch_vccz .LBB6_190
; %bb.187:
	s_cmp_eq_u32 s21, 11
	s_cbranch_scc0 .LBB6_189
; %bb.188:
	global_load_u8 v2, v[0:1], off
	s_mov_b32 s20, 0
	s_mov_b32 s26, -1
	s_wait_loadcnt 0x0
	v_cmp_ne_u16_e64 s25, 0, v2
	s_branch .LBB6_190
.LBB6_189:
	s_mov_b32 s20, -1
                                        ; implicit-def: $sgpr25
.LBB6_190:
	s_mov_b32 s21, 0
.LBB6_191:
	s_delay_alu instid0(SALU_CYCLE_1)
	s_and_b32 vcc_lo, exec_lo, s21
	s_cbranch_vccz .LBB6_240
; %bb.192:
	s_and_b32 s21, 0xffff, s0
	s_delay_alu instid0(SALU_CYCLE_1)
	s_cmp_lt_i32 s21, 5
	s_cbranch_scc1 .LBB6_197
; %bb.193:
	s_cmp_lt_i32 s21, 8
	s_cbranch_scc1 .LBB6_198
; %bb.194:
	;; [unrolled: 3-line block ×3, first 2 shown]
	s_cmp_gt_i32 s21, 9
	s_cbranch_scc0 .LBB6_200
; %bb.196:
	global_load_b128 v[2:5], v[0:1], off
	s_wait_loadcnt 0x0
	v_cmp_neq_f64_e32 vcc_lo, 0, v[2:3]
	v_cmp_neq_f64_e64 s0, 0, v[4:5]
	s_or_b32 s25, vcc_lo, s0
	s_mov_b32 s0, 0
	s_branch .LBB6_201
.LBB6_197:
	s_mov_b32 s0, -1
                                        ; implicit-def: $sgpr25
	s_branch .LBB6_219
.LBB6_198:
	s_mov_b32 s0, -1
                                        ; implicit-def: $sgpr25
	s_branch .LBB6_207
.LBB6_199:
	s_mov_b32 s0, -1
                                        ; implicit-def: $sgpr25
	s_branch .LBB6_204
.LBB6_200:
	s_mov_b32 s0, -1
                                        ; implicit-def: $sgpr25
.LBB6_201:
	s_delay_alu instid0(SALU_CYCLE_1)
	s_and_not1_b32 vcc_lo, exec_lo, s0
	s_cbranch_vccnz .LBB6_203
; %bb.202:
	global_load_b64 v[2:3], v[0:1], off
	s_and_not1_b32 s0, s25, exec_lo
	s_wait_loadcnt 0x0
	v_bitop3_b32 v2, v2, 0x7fffffff, v3 bitop3:0xc8
	s_delay_alu instid0(VALU_DEP_1) | instskip(SKIP_1) | instid1(SALU_CYCLE_1)
	v_cmp_ne_u32_e32 vcc_lo, 0, v2
	s_and_b32 s25, vcc_lo, exec_lo
	s_or_b32 s25, s0, s25
.LBB6_203:
	s_mov_b32 s0, 0
.LBB6_204:
	s_delay_alu instid0(SALU_CYCLE_1)
	s_and_not1_b32 vcc_lo, exec_lo, s0
	s_cbranch_vccnz .LBB6_206
; %bb.205:
	global_load_b32 v2, v[0:1], off
	s_and_not1_b32 s0, s25, exec_lo
	s_wait_loadcnt 0x0
	v_and_b32_e32 v2, 0x7fff7fff, v2
	s_delay_alu instid0(VALU_DEP_1) | instskip(SKIP_1) | instid1(SALU_CYCLE_1)
	v_cmp_ne_u32_e32 vcc_lo, 0, v2
	s_and_b32 s25, vcc_lo, exec_lo
	s_or_b32 s25, s0, s25
.LBB6_206:
	s_mov_b32 s0, 0
.LBB6_207:
	s_delay_alu instid0(SALU_CYCLE_1)
	s_and_not1_b32 vcc_lo, exec_lo, s0
	s_cbranch_vccnz .LBB6_218
; %bb.208:
	s_cmp_lt_i32 s21, 6
	s_cbranch_scc1 .LBB6_211
; %bb.209:
	s_cmp_gt_i32 s21, 6
	s_cbranch_scc0 .LBB6_212
; %bb.210:
	global_load_b64 v[2:3], v[0:1], off
	s_mov_b32 s0, 0
	s_wait_loadcnt 0x0
	v_cmp_neq_f64_e64 s25, 0, v[2:3]
	s_branch .LBB6_213
.LBB6_211:
	s_mov_b32 s0, -1
                                        ; implicit-def: $sgpr25
	s_branch .LBB6_216
.LBB6_212:
	s_mov_b32 s0, -1
                                        ; implicit-def: $sgpr25
.LBB6_213:
	s_delay_alu instid0(SALU_CYCLE_1)
	s_and_not1_b32 vcc_lo, exec_lo, s0
	s_cbranch_vccnz .LBB6_215
; %bb.214:
	global_load_b32 v2, v[0:1], off
	s_and_not1_b32 s0, s25, exec_lo
	s_wait_loadcnt 0x0
	v_cmp_neq_f32_e32 vcc_lo, 0, v2
	s_and_b32 s25, vcc_lo, exec_lo
	s_delay_alu instid0(SALU_CYCLE_1)
	s_or_b32 s25, s0, s25
.LBB6_215:
	s_mov_b32 s0, 0
.LBB6_216:
	s_delay_alu instid0(SALU_CYCLE_1)
	s_and_not1_b32 vcc_lo, exec_lo, s0
	s_cbranch_vccnz .LBB6_218
; %bb.217:
	global_load_u16 v2, v[0:1], off
	s_and_not1_b32 s0, s25, exec_lo
	s_wait_loadcnt 0x0
	v_and_b32_e32 v2, 0x7fff, v2
	s_delay_alu instid0(VALU_DEP_1) | instskip(SKIP_1) | instid1(SALU_CYCLE_1)
	v_cmp_ne_u16_e32 vcc_lo, 0, v2
	s_and_b32 s25, vcc_lo, exec_lo
	s_or_b32 s25, s0, s25
.LBB6_218:
	s_mov_b32 s0, 0
.LBB6_219:
	s_delay_alu instid0(SALU_CYCLE_1)
	s_and_not1_b32 vcc_lo, exec_lo, s0
	s_cbranch_vccnz .LBB6_239
; %bb.220:
	s_cmp_lt_i32 s21, 2
	s_cbranch_scc1 .LBB6_224
; %bb.221:
	s_cmp_lt_i32 s21, 3
	s_cbranch_scc1 .LBB6_225
; %bb.222:
	s_cmp_gt_i32 s21, 3
	s_cbranch_scc0 .LBB6_226
; %bb.223:
	global_load_b64 v[2:3], v[0:1], off
	s_mov_b32 s0, 0
	s_wait_loadcnt 0x0
	v_cmp_ne_u64_e64 s25, 0, v[2:3]
	s_branch .LBB6_227
.LBB6_224:
	s_mov_b32 s0, -1
                                        ; implicit-def: $sgpr25
	s_branch .LBB6_233
.LBB6_225:
	s_mov_b32 s0, -1
                                        ; implicit-def: $sgpr25
	s_branch .LBB6_230
.LBB6_226:
	s_mov_b32 s0, -1
                                        ; implicit-def: $sgpr25
.LBB6_227:
	s_delay_alu instid0(SALU_CYCLE_1)
	s_and_not1_b32 vcc_lo, exec_lo, s0
	s_cbranch_vccnz .LBB6_229
; %bb.228:
	global_load_b32 v2, v[0:1], off
	s_and_not1_b32 s0, s25, exec_lo
	s_wait_loadcnt 0x0
	v_cmp_ne_u32_e32 vcc_lo, 0, v2
	s_and_b32 s25, vcc_lo, exec_lo
	s_delay_alu instid0(SALU_CYCLE_1)
	s_or_b32 s25, s0, s25
.LBB6_229:
	s_mov_b32 s0, 0
.LBB6_230:
	s_delay_alu instid0(SALU_CYCLE_1)
	s_and_not1_b32 vcc_lo, exec_lo, s0
	s_cbranch_vccnz .LBB6_232
; %bb.231:
	global_load_u16 v2, v[0:1], off
	s_and_not1_b32 s0, s25, exec_lo
	s_wait_loadcnt 0x0
	v_cmp_ne_u16_e32 vcc_lo, 0, v2
	s_and_b32 s25, vcc_lo, exec_lo
	s_delay_alu instid0(SALU_CYCLE_1)
	s_or_b32 s25, s0, s25
.LBB6_232:
	s_mov_b32 s0, 0
.LBB6_233:
	s_delay_alu instid0(SALU_CYCLE_1)
	s_and_not1_b32 vcc_lo, exec_lo, s0
	s_cbranch_vccnz .LBB6_239
; %bb.234:
	s_cmp_gt_i32 s21, 0
	s_mov_b32 s0, 0
	s_cbranch_scc0 .LBB6_236
; %bb.235:
	global_load_u8 v2, v[0:1], off
	s_wait_loadcnt 0x0
	v_cmp_ne_u16_e64 s25, 0, v2
	s_branch .LBB6_237
.LBB6_236:
	s_mov_b32 s0, -1
                                        ; implicit-def: $sgpr25
.LBB6_237:
	s_delay_alu instid0(SALU_CYCLE_1)
	s_and_not1_b32 vcc_lo, exec_lo, s0
	s_cbranch_vccnz .LBB6_239
; %bb.238:
	global_load_u8 v0, v[0:1], off
	s_and_not1_b32 s0, s25, exec_lo
	s_wait_loadcnt 0x0
	v_cmp_ne_u16_e32 vcc_lo, 0, v0
	s_and_b32 s21, vcc_lo, exec_lo
	s_delay_alu instid0(SALU_CYCLE_1)
	s_or_b32 s25, s0, s21
.LBB6_239:
	s_mov_b32 s26, -1
.LBB6_240:
	s_mov_b32 s21, 0
	s_and_not1_b32 vcc_lo, exec_lo, s26
	s_mov_b32 s0, 0
	s_mov_b32 s26, 0
	s_cbranch_vccnz .LBB6_363
; %bb.241:
	v_mul_lo_u32 v0, v6, s14
	s_delay_alu instid0(VALU_DEP_2) | instskip(SKIP_3) | instid1(VALU_DEP_1)
	s_and_b32 s0, s19, s25
	s_and_b32 s20, s1, 0xff
	;; [unrolled: 1-line block ×3, first 2 shown]
	s_cmp_lt_i32 s20, 11
	v_ashrrev_i32_e32 v1, 31, v0
	s_delay_alu instid0(VALU_DEP_1)
	v_add_nc_u64_e32 v[0:1], s[2:3], v[0:1]
	s_cbranch_scc1 .LBB6_248
; %bb.242:
	s_and_b32 s25, 0xffff, s20
	s_delay_alu instid0(SALU_CYCLE_1)
	s_cmp_gt_i32 s25, 25
	s_cbranch_scc0 .LBB6_249
; %bb.243:
	s_cmp_gt_i32 s25, 28
	s_cbranch_scc0 .LBB6_250
; %bb.244:
	;; [unrolled: 3-line block ×4, first 2 shown]
	s_mov_b32 s27, 0
	s_mov_b32 s0, -1
	s_cmp_eq_u32 s25, 46
	s_cbranch_scc0 .LBB6_253
; %bb.247:
	v_cndmask_b32_e64 v2, 0, 1.0, s19
	s_mov_b32 s26, -1
	s_mov_b32 s0, 0
	s_delay_alu instid0(VALU_DEP_1) | instskip(NEXT) | instid1(VALU_DEP_1)
	v_bfe_u32 v3, v2, 16, 1
	v_add3_u32 v2, v2, v3, 0x7fff
	s_delay_alu instid0(VALU_DEP_1)
	v_lshrrev_b32_e32 v2, 16, v2
	global_store_b32 v[0:1], v2, off
	s_branch .LBB6_253
.LBB6_248:
	s_mov_b32 s25, -1
	s_mov_b32 s0, 0
	s_branch .LBB6_322
.LBB6_249:
	s_mov_b32 s27, -1
	s_mov_b32 s0, 0
	s_branch .LBB6_280
.LBB6_250:
	s_mov_b32 s27, -1
	s_mov_b32 s0, 0
	s_branch .LBB6_263
.LBB6_251:
	s_mov_b32 s27, -1
	s_mov_b32 s0, 0
	s_branch .LBB6_259
.LBB6_252:
	s_mov_b32 s27, -1
	s_mov_b32 s0, 0
.LBB6_253:
	s_and_b32 vcc_lo, exec_lo, s27
	s_cbranch_vccz .LBB6_258
; %bb.254:
	s_cmp_eq_u32 s25, 44
	s_mov_b32 s0, -1
	s_cbranch_scc0 .LBB6_258
; %bb.255:
	v_cndmask_b32_e64 v4, 0, 1.0, s19
	s_mov_b32 s26, exec_lo
	s_wait_xcnt 0x0
	s_delay_alu instid0(VALU_DEP_1) | instskip(NEXT) | instid1(VALU_DEP_1)
	v_dual_mov_b32 v3, 0xff :: v_dual_lshrrev_b32 v2, 23, v4
	v_cmpx_ne_u32_e32 0xff, v2
; %bb.256:
	v_and_b32_e32 v3, 0x400000, v4
	v_and_or_b32 v4, 0x3fffff, v4, v2
	s_delay_alu instid0(VALU_DEP_2) | instskip(NEXT) | instid1(VALU_DEP_2)
	v_cmp_ne_u32_e32 vcc_lo, 0, v3
	v_cmp_ne_u32_e64 s0, 0, v4
	s_and_b32 s0, vcc_lo, s0
	s_delay_alu instid0(SALU_CYCLE_1) | instskip(NEXT) | instid1(VALU_DEP_1)
	v_cndmask_b32_e64 v3, 0, 1, s0
	v_add_nc_u32_e32 v3, v2, v3
; %bb.257:
	s_or_b32 exec_lo, exec_lo, s26
	s_mov_b32 s26, -1
	s_mov_b32 s0, 0
	global_store_b8 v[0:1], v3, off
.LBB6_258:
	s_mov_b32 s27, 0
.LBB6_259:
	s_delay_alu instid0(SALU_CYCLE_1)
	s_and_b32 vcc_lo, exec_lo, s27
	s_cbranch_vccz .LBB6_262
; %bb.260:
	s_cmp_eq_u32 s25, 29
	s_mov_b32 s0, -1
	s_cbranch_scc0 .LBB6_262
; %bb.261:
	s_mov_b32 s0, 0
	s_wait_xcnt 0x0
	v_cndmask_b32_e64 v2, 0, 1, s19
	v_mov_b32_e32 v3, s0
	s_mov_b32 s26, -1
	s_mov_b32 s27, 0
	global_store_b64 v[0:1], v[2:3], off
	s_branch .LBB6_263
.LBB6_262:
	s_mov_b32 s27, 0
.LBB6_263:
	s_delay_alu instid0(SALU_CYCLE_1)
	s_and_b32 vcc_lo, exec_lo, s27
	s_cbranch_vccz .LBB6_279
; %bb.264:
	s_cmp_lt_i32 s25, 27
	s_mov_b32 s26, -1
	s_cbranch_scc1 .LBB6_270
; %bb.265:
	s_cmp_gt_i32 s25, 27
	s_cbranch_scc0 .LBB6_267
; %bb.266:
	s_wait_xcnt 0x0
	v_cndmask_b32_e64 v2, 0, 1, s19
	s_mov_b32 s26, 0
	global_store_b32 v[0:1], v2, off
.LBB6_267:
	s_and_not1_b32 vcc_lo, exec_lo, s26
	s_cbranch_vccnz .LBB6_269
; %bb.268:
	s_wait_xcnt 0x0
	v_cndmask_b32_e64 v2, 0, 1, s19
	global_store_b16 v[0:1], v2, off
.LBB6_269:
	s_mov_b32 s26, 0
.LBB6_270:
	s_delay_alu instid0(SALU_CYCLE_1)
	s_and_not1_b32 vcc_lo, exec_lo, s26
	s_cbranch_vccnz .LBB6_278
; %bb.271:
	s_wait_xcnt 0x0
	v_cndmask_b32_e64 v3, 0, 1.0, s19
	v_mov_b32_e32 v4, 0x80
	s_mov_b32 s26, exec_lo
	s_delay_alu instid0(VALU_DEP_2)
	v_cmpx_gt_u32_e32 0x43800000, v3
	s_cbranch_execz .LBB6_277
; %bb.272:
	s_mov_b32 s27, 0
	s_mov_b32 s28, exec_lo
                                        ; implicit-def: $vgpr2
	v_cmpx_lt_u32_e32 0x3bffffff, v3
	s_xor_b32 s28, exec_lo, s28
	s_cbranch_execnz .LBB6_508
; %bb.273:
	s_and_not1_saveexec_b32 s28, s28
	s_cbranch_execnz .LBB6_509
.LBB6_274:
	s_or_b32 exec_lo, exec_lo, s28
	v_mov_b32_e32 v4, 0
	s_and_saveexec_b32 s28, s27
.LBB6_275:
	v_mov_b32_e32 v4, v2
.LBB6_276:
	s_or_b32 exec_lo, exec_lo, s28
.LBB6_277:
	s_delay_alu instid0(SALU_CYCLE_1)
	s_or_b32 exec_lo, exec_lo, s26
	global_store_b8 v[0:1], v4, off
.LBB6_278:
	s_mov_b32 s26, -1
.LBB6_279:
	s_mov_b32 s27, 0
.LBB6_280:
	s_delay_alu instid0(SALU_CYCLE_1)
	s_and_b32 vcc_lo, exec_lo, s27
	s_cbranch_vccz .LBB6_321
; %bb.281:
	s_cmp_gt_i32 s25, 22
	s_mov_b32 s27, -1
	s_cbranch_scc0 .LBB6_313
; %bb.282:
	s_cmp_lt_i32 s25, 24
	s_mov_b32 s26, -1
	s_cbranch_scc1 .LBB6_302
; %bb.283:
	s_cmp_gt_i32 s25, 24
	s_cbranch_scc0 .LBB6_291
; %bb.284:
	s_wait_xcnt 0x0
	v_cndmask_b32_e64 v3, 0, 1.0, s19
	v_mov_b32_e32 v4, 0x80
	s_mov_b32 s26, exec_lo
	s_delay_alu instid0(VALU_DEP_2)
	v_cmpx_gt_u32_e32 0x47800000, v3
	s_cbranch_execz .LBB6_290
; %bb.285:
	s_mov_b32 s27, 0
	s_mov_b32 s28, exec_lo
                                        ; implicit-def: $vgpr2
	v_cmpx_lt_u32_e32 0x37ffffff, v3
	s_xor_b32 s28, exec_lo, s28
	s_cbranch_execnz .LBB6_877
; %bb.286:
	s_and_not1_saveexec_b32 s28, s28
	s_cbranch_execnz .LBB6_878
.LBB6_287:
	s_or_b32 exec_lo, exec_lo, s28
	v_mov_b32_e32 v4, 0
	s_and_saveexec_b32 s28, s27
.LBB6_288:
	v_mov_b32_e32 v4, v2
.LBB6_289:
	s_or_b32 exec_lo, exec_lo, s28
.LBB6_290:
	s_delay_alu instid0(SALU_CYCLE_1)
	s_or_b32 exec_lo, exec_lo, s26
	s_mov_b32 s26, 0
	global_store_b8 v[0:1], v4, off
.LBB6_291:
	s_and_b32 vcc_lo, exec_lo, s26
	s_cbranch_vccz .LBB6_301
; %bb.292:
	s_wait_xcnt 0x0
	v_cndmask_b32_e64 v3, 0, 1.0, s19
	s_mov_b32 s26, exec_lo
                                        ; implicit-def: $vgpr2
	s_delay_alu instid0(VALU_DEP_1)
	v_cmpx_gt_u32_e32 0x43f00000, v3
	s_xor_b32 s26, exec_lo, s26
	s_cbranch_execz .LBB6_298
; %bb.293:
	s_mov_b32 s27, exec_lo
                                        ; implicit-def: $vgpr2
	v_cmpx_lt_u32_e32 0x3c7fffff, v3
	s_xor_b32 s27, exec_lo, s27
; %bb.294:
	v_bfe_u32 v2, v3, 20, 1
	s_delay_alu instid0(VALU_DEP_1) | instskip(NEXT) | instid1(VALU_DEP_1)
	v_add3_u32 v2, v3, v2, 0x407ffff
	v_and_b32_e32 v3, 0xff00000, v2
	v_lshrrev_b32_e32 v2, 20, v2
	s_delay_alu instid0(VALU_DEP_2) | instskip(NEXT) | instid1(VALU_DEP_2)
	v_cmp_ne_u32_e32 vcc_lo, 0x7f00000, v3
                                        ; implicit-def: $vgpr3
	v_cndmask_b32_e32 v2, 0x7e, v2, vcc_lo
; %bb.295:
	s_and_not1_saveexec_b32 s27, s27
; %bb.296:
	v_add_f32_e32 v2, 0x46800000, v3
; %bb.297:
	s_or_b32 exec_lo, exec_lo, s27
                                        ; implicit-def: $vgpr3
.LBB6_298:
	s_and_not1_saveexec_b32 s26, s26
; %bb.299:
	v_mov_b32_e32 v2, 0x7f
	v_cmp_lt_u32_e32 vcc_lo, 0x7f800000, v3
	s_delay_alu instid0(VALU_DEP_2)
	v_cndmask_b32_e32 v2, 0x7e, v2, vcc_lo
; %bb.300:
	s_or_b32 exec_lo, exec_lo, s26
	global_store_b8 v[0:1], v2, off
.LBB6_301:
	s_mov_b32 s26, 0
.LBB6_302:
	s_delay_alu instid0(SALU_CYCLE_1)
	s_and_not1_b32 vcc_lo, exec_lo, s26
	s_cbranch_vccnz .LBB6_312
; %bb.303:
	s_wait_xcnt 0x0
	v_cndmask_b32_e64 v3, 0, 1.0, s19
	s_mov_b32 s26, exec_lo
                                        ; implicit-def: $vgpr2
	s_delay_alu instid0(VALU_DEP_1)
	v_cmpx_gt_u32_e32 0x47800000, v3
	s_xor_b32 s26, exec_lo, s26
	s_cbranch_execz .LBB6_309
; %bb.304:
	s_mov_b32 s27, exec_lo
                                        ; implicit-def: $vgpr2
	v_cmpx_lt_u32_e32 0x387fffff, v3
	s_xor_b32 s27, exec_lo, s27
; %bb.305:
	v_bfe_u32 v2, v3, 21, 1
	s_delay_alu instid0(VALU_DEP_1) | instskip(NEXT) | instid1(VALU_DEP_1)
	v_add3_u32 v2, v3, v2, 0x80fffff
                                        ; implicit-def: $vgpr3
	v_lshrrev_b32_e32 v2, 21, v2
; %bb.306:
	s_and_not1_saveexec_b32 s27, s27
; %bb.307:
	v_add_f32_e32 v2, 0x43000000, v3
; %bb.308:
	s_or_b32 exec_lo, exec_lo, s27
                                        ; implicit-def: $vgpr3
.LBB6_309:
	s_and_not1_saveexec_b32 s26, s26
; %bb.310:
	v_mov_b32_e32 v2, 0x7f
	v_cmp_lt_u32_e32 vcc_lo, 0x7f800000, v3
	s_delay_alu instid0(VALU_DEP_2)
	v_cndmask_b32_e32 v2, 0x7c, v2, vcc_lo
; %bb.311:
	s_or_b32 exec_lo, exec_lo, s26
	global_store_b8 v[0:1], v2, off
.LBB6_312:
	s_mov_b32 s27, 0
	s_mov_b32 s26, -1
.LBB6_313:
	s_and_not1_b32 vcc_lo, exec_lo, s27
	s_cbranch_vccnz .LBB6_321
; %bb.314:
	s_cmp_gt_i32 s25, 14
	s_mov_b32 s27, -1
	s_cbranch_scc0 .LBB6_318
; %bb.315:
	s_cmp_eq_u32 s25, 15
	s_mov_b32 s0, -1
	s_cbranch_scc0 .LBB6_317
; %bb.316:
	s_wait_xcnt 0x0
	v_cndmask_b32_e64 v2, 0, 1.0, s19
	s_mov_b32 s26, -1
	s_mov_b32 s0, 0
	s_delay_alu instid0(VALU_DEP_1) | instskip(NEXT) | instid1(VALU_DEP_1)
	v_bfe_u32 v3, v2, 16, 1
	v_add3_u32 v2, v2, v3, 0x7fff
	global_store_d16_hi_b16 v[0:1], v2, off
.LBB6_317:
	s_mov_b32 s27, 0
.LBB6_318:
	s_delay_alu instid0(SALU_CYCLE_1)
	s_and_b32 vcc_lo, exec_lo, s27
	s_cbranch_vccz .LBB6_321
; %bb.319:
	s_cmp_eq_u32 s25, 11
	s_mov_b32 s0, -1
	s_cbranch_scc0 .LBB6_321
; %bb.320:
	s_wait_xcnt 0x0
	v_cndmask_b32_e64 v2, 0, 1, s19
	s_mov_b32 s26, -1
	s_mov_b32 s0, 0
	global_store_b8 v[0:1], v2, off
.LBB6_321:
	s_mov_b32 s25, 0
.LBB6_322:
	s_delay_alu instid0(SALU_CYCLE_1)
	s_and_b32 vcc_lo, exec_lo, s25
	s_cbranch_vccz .LBB6_361
; %bb.323:
	s_and_b32 s20, 0xffff, s20
	s_mov_b32 s25, -1
	s_cmp_lt_i32 s20, 5
	s_cbranch_scc1 .LBB6_344
; %bb.324:
	s_cmp_lt_i32 s20, 8
	s_cbranch_scc1 .LBB6_334
; %bb.325:
	;; [unrolled: 3-line block ×3, first 2 shown]
	s_cmp_gt_i32 s20, 9
	s_cbranch_scc0 .LBB6_328
; %bb.327:
	s_wait_xcnt 0x0
	v_cndmask_b32_e64 v2, 0, 1, s19
	v_mov_b32_e32 v4, 0
	s_mov_b32 s25, 0
	s_delay_alu instid0(VALU_DEP_2) | instskip(NEXT) | instid1(VALU_DEP_2)
	v_cvt_f64_u32_e32 v[2:3], v2
	v_mov_b32_e32 v5, v4
	global_store_b128 v[0:1], v[2:5], off
.LBB6_328:
	s_and_not1_b32 vcc_lo, exec_lo, s25
	s_cbranch_vccnz .LBB6_330
; %bb.329:
	s_wait_xcnt 0x0
	v_cndmask_b32_e64 v2, 0, 1.0, s19
	v_mov_b32_e32 v3, 0
	global_store_b64 v[0:1], v[2:3], off
.LBB6_330:
	s_mov_b32 s25, 0
.LBB6_331:
	s_delay_alu instid0(SALU_CYCLE_1)
	s_and_not1_b32 vcc_lo, exec_lo, s25
	s_cbranch_vccnz .LBB6_333
; %bb.332:
	s_wait_xcnt 0x0
	v_cndmask_b32_e64 v2, 0, 1.0, s19
	s_delay_alu instid0(VALU_DEP_1) | instskip(NEXT) | instid1(VALU_DEP_1)
	v_cvt_f16_f32_e32 v2, v2
	v_and_b32_e32 v2, 0xffff, v2
	global_store_b32 v[0:1], v2, off
.LBB6_333:
	s_mov_b32 s25, 0
.LBB6_334:
	s_delay_alu instid0(SALU_CYCLE_1)
	s_and_not1_b32 vcc_lo, exec_lo, s25
	s_cbranch_vccnz .LBB6_343
; %bb.335:
	s_cmp_lt_i32 s20, 6
	s_mov_b32 s25, -1
	s_cbranch_scc1 .LBB6_341
; %bb.336:
	s_cmp_gt_i32 s20, 6
	s_cbranch_scc0 .LBB6_338
; %bb.337:
	s_wait_xcnt 0x0
	v_cndmask_b32_e64 v2, 0, 1, s19
	s_mov_b32 s25, 0
	s_delay_alu instid0(VALU_DEP_1)
	v_cvt_f64_u32_e32 v[2:3], v2
	global_store_b64 v[0:1], v[2:3], off
.LBB6_338:
	s_and_not1_b32 vcc_lo, exec_lo, s25
	s_cbranch_vccnz .LBB6_340
; %bb.339:
	s_wait_xcnt 0x0
	v_cndmask_b32_e64 v2, 0, 1.0, s19
	global_store_b32 v[0:1], v2, off
.LBB6_340:
	s_mov_b32 s25, 0
.LBB6_341:
	s_delay_alu instid0(SALU_CYCLE_1)
	s_and_not1_b32 vcc_lo, exec_lo, s25
	s_cbranch_vccnz .LBB6_343
; %bb.342:
	s_wait_xcnt 0x0
	v_cndmask_b32_e64 v2, 0, 1.0, s19
	s_delay_alu instid0(VALU_DEP_1)
	v_cvt_f16_f32_e32 v2, v2
	global_store_b16 v[0:1], v2, off
.LBB6_343:
	s_mov_b32 s25, 0
.LBB6_344:
	s_delay_alu instid0(SALU_CYCLE_1)
	s_and_not1_b32 vcc_lo, exec_lo, s25
	s_cbranch_vccnz .LBB6_360
; %bb.345:
	s_cmp_lt_i32 s20, 2
	s_mov_b32 s25, -1
	s_cbranch_scc1 .LBB6_355
; %bb.346:
	s_cmp_lt_i32 s20, 3
	s_cbranch_scc1 .LBB6_352
; %bb.347:
	s_cmp_gt_i32 s20, 3
	s_cbranch_scc0 .LBB6_349
; %bb.348:
	s_mov_b32 s25, 0
	s_wait_xcnt 0x0
	v_cndmask_b32_e64 v2, 0, 1, s19
	v_mov_b32_e32 v3, s25
	global_store_b64 v[0:1], v[2:3], off
.LBB6_349:
	s_and_not1_b32 vcc_lo, exec_lo, s25
	s_cbranch_vccnz .LBB6_351
; %bb.350:
	s_wait_xcnt 0x0
	v_cndmask_b32_e64 v2, 0, 1, s19
	global_store_b32 v[0:1], v2, off
.LBB6_351:
	s_mov_b32 s25, 0
.LBB6_352:
	s_delay_alu instid0(SALU_CYCLE_1)
	s_and_not1_b32 vcc_lo, exec_lo, s25
	s_cbranch_vccnz .LBB6_354
; %bb.353:
	s_wait_xcnt 0x0
	v_cndmask_b32_e64 v2, 0, 1, s19
	global_store_b16 v[0:1], v2, off
.LBB6_354:
	s_mov_b32 s25, 0
.LBB6_355:
	s_delay_alu instid0(SALU_CYCLE_1)
	s_and_not1_b32 vcc_lo, exec_lo, s25
	s_cbranch_vccnz .LBB6_360
; %bb.356:
	s_wait_xcnt 0x0
	v_cndmask_b32_e64 v2, 0, 1, s19
	s_cmp_gt_i32 s20, 0
	s_mov_b32 s19, -1
	s_cbranch_scc0 .LBB6_358
; %bb.357:
	s_mov_b32 s19, 0
	global_store_b8 v[0:1], v2, off
.LBB6_358:
	s_and_not1_b32 vcc_lo, exec_lo, s19
	s_cbranch_vccnz .LBB6_360
; %bb.359:
	global_store_b8 v[0:1], v2, off
.LBB6_360:
	s_mov_b32 s26, -1
.LBB6_361:
	s_mov_b32 s20, 0
	s_and_not1_b32 vcc_lo, exec_lo, s26
	s_mov_b32 s26, 0
	s_cbranch_vccnz .LBB6_363
; %bb.362:
	v_add_nc_u32_e32 v6, 0x80, v6
	s_mov_b32 s26, -1
.LBB6_363:
	s_and_b32 s19, s0, exec_lo
	s_and_b32 s20, s20, exec_lo
	;; [unrolled: 1-line block ×4, first 2 shown]
	s_or_not1_b32 s0, s26, exec_lo
.LBB6_364:
	s_wait_xcnt 0x0
	s_or_b32 exec_lo, exec_lo, s23
	s_and_saveexec_b32 s23, s0
	s_cbranch_execz .LBB6_1127
; %bb.365:
	s_mov_b32 s29, -1
	s_mov_b32 s24, s22
	s_mov_b32 s27, s21
	;; [unrolled: 1-line block ×4, first 2 shown]
	s_mov_b32 s28, exec_lo
	v_cmpx_gt_i32_e64 s18, v6
	s_cbranch_execz .LBB6_732
; %bb.366:
	s_and_b32 s25, s15, 0xff
	s_delay_alu instid0(SALU_CYCLE_1)
	s_cmp_lt_i32 s25, 23
	s_cbranch_scc1 .LBB6_370
; %bb.367:
	s_and_b32 s26, 0xffff, s25
	s_delay_alu instid0(SALU_CYCLE_1)
	s_cmp_gt_i32 s26, 43
	s_cbranch_scc0 .LBB6_371
; %bb.368:
	s_cmp_gt_i32 s26, 45
	s_cbranch_scc0 .LBB6_372
; %bb.369:
	s_cmp_eq_u32 s26, 46
	s_mov_b32 s27, 0
	s_cselect_b32 s0, -1, 0
	s_or_b32 s24, s22, exec_lo
	s_branch .LBB6_373
.LBB6_370:
	s_mov_b32 s0, 0
	s_mov_b32 s24, s22
	s_cbranch_execnz .LBB6_379
	s_branch .LBB6_383
.LBB6_371:
	s_mov_b32 s27, -1
	s_mov_b32 s0, 0
	s_mov_b32 s24, s22
	s_branch .LBB6_376
.LBB6_372:
	s_mov_b32 s27, -1
	s_mov_b32 s0, 0
	s_mov_b32 s24, s22
.LBB6_373:
	s_and_not1_b32 vcc_lo, exec_lo, s27
	s_cbranch_vccnz .LBB6_375
; %bb.374:
	s_cmp_eq_u32 s26, 44
	s_cselect_b32 s0, -1, 0
	s_cmp_lg_u32 s26, 44
	s_cselect_b32 s27, -1, 0
	s_and_not1_b32 s24, s24, exec_lo
	s_and_b32 s27, s27, exec_lo
	s_delay_alu instid0(SALU_CYCLE_1)
	s_or_b32 s24, s24, s27
.LBB6_375:
	s_mov_b32 s27, 0
.LBB6_376:
	s_delay_alu instid0(SALU_CYCLE_1)
	s_and_b32 vcc_lo, exec_lo, s27
	s_cbranch_vccz .LBB6_378
; %bb.377:
	s_cmp_lt_i32 s26, 30
	s_cselect_b32 s0, -1, 0
	s_cmp_gt_i32 s26, 29
	s_cselect_b32 s26, -1, 0
	s_and_not1_b32 s24, s24, exec_lo
	s_and_b32 s26, s26, exec_lo
	s_delay_alu instid0(SALU_CYCLE_1)
	s_or_b32 s24, s24, s26
.LBB6_378:
	s_branch .LBB6_383
.LBB6_379:
	s_and_b32 s25, 0xffff, s25
	s_mov_b32 s26, -1
	s_cmp_gt_i32 s25, 14
	s_cbranch_scc0 .LBB6_381
; %bb.380:
	s_cmp_eq_u32 s25, 15
	s_cselect_b32 s0, -1, 0
	s_cmp_lg_u32 s25, 15
	s_cselect_b32 s26, -1, 0
	s_and_not1_b32 s24, s24, exec_lo
	s_and_b32 s27, s26, exec_lo
	s_mov_b32 s26, 0
	s_or_b32 s24, s24, s27
.LBB6_381:
	s_and_not1_b32 vcc_lo, exec_lo, s26
	s_cbranch_vccnz .LBB6_383
; %bb.382:
	s_cmp_lt_i32 s25, 12
	s_cselect_b32 s0, -1, 0
	s_cmp_gt_i32 s25, 11
	s_cselect_b32 s25, -1, 0
	s_and_not1_b32 s24, s24, exec_lo
	s_and_b32 s25, s25, exec_lo
	s_delay_alu instid0(SALU_CYCLE_1)
	s_or_b32 s24, s24, s25
.LBB6_383:
	s_and_b32 vcc_lo, exec_lo, s0
	s_cbranch_vccz .LBB6_391
; %bb.384:
	v_mul_lo_u32 v0, v6, s4
	s_and_b32 s0, s12, 0xff
	s_delay_alu instid0(SALU_CYCLE_1) | instskip(NEXT) | instid1(VALU_DEP_1)
	s_cmp_lt_i32 s0, 11
	v_ashrrev_i32_e32 v1, 31, v0
	s_delay_alu instid0(VALU_DEP_1)
	v_add_nc_u64_e32 v[0:1], s[8:9], v[0:1]
	s_cbranch_scc1 .LBB6_392
; %bb.385:
	s_and_b32 s24, 0xffff, s0
	s_delay_alu instid0(SALU_CYCLE_1)
	s_cmp_gt_i32 s24, 25
	s_cbranch_scc0 .LBB6_393
; %bb.386:
	s_cmp_gt_i32 s24, 28
	s_cbranch_scc0 .LBB6_394
; %bb.387:
	;; [unrolled: 3-line block ×4, first 2 shown]
	s_cmp_eq_u32 s24, 46
	s_mov_b32 s29, 0
	s_cbranch_scc0 .LBB6_397
; %bb.390:
	global_load_b32 v2, v[0:1], off
	s_mov_b32 s27, 0
	s_mov_b32 s26, -1
	s_wait_loadcnt 0x0
	v_and_b32_e32 v2, 0x7fff7fff, v2
	s_delay_alu instid0(VALU_DEP_1)
	v_cmp_ne_u32_e64 s25, 0, v2
	s_branch .LBB6_399
.LBB6_391:
	s_mov_b32 s30, 0
	s_mov_b32 s0, s19
	;; [unrolled: 1-line block ×4, first 2 shown]
                                        ; implicit-def: $vgpr6
	s_branch .LBB6_731
.LBB6_392:
	s_mov_b32 s24, -1
	s_mov_b32 s26, 0
	s_mov_b32 s27, s21
                                        ; implicit-def: $sgpr25
	s_branch .LBB6_446
.LBB6_393:
	s_mov_b32 s26, 0
	s_mov_b32 s27, s21
                                        ; implicit-def: $sgpr25
	s_branch .LBB6_420
.LBB6_394:
	s_mov_b32 s26, 0
	s_mov_b32 s27, s21
                                        ; implicit-def: $sgpr25
	s_branch .LBB6_407
.LBB6_395:
	s_mov_b32 s26, 0
	s_mov_b32 s27, s21
                                        ; implicit-def: $sgpr25
	s_branch .LBB6_402
.LBB6_396:
	s_mov_b32 s26, 0
	s_mov_b32 s27, s21
	s_branch .LBB6_398
.LBB6_397:
	s_mov_b32 s27, -1
	s_mov_b32 s26, 0
.LBB6_398:
                                        ; implicit-def: $sgpr25
.LBB6_399:
	s_and_b32 vcc_lo, exec_lo, s29
	s_cbranch_vccz .LBB6_401
; %bb.400:
	s_cmp_eq_u32 s24, 44
	s_cselect_b32 s26, -1, 0
	s_or_b32 s25, s25, exec_lo
	s_or_b32 s27, s27, exec_lo
.LBB6_401:
	s_mov_b32 s29, 0
.LBB6_402:
	s_delay_alu instid0(SALU_CYCLE_1)
	s_and_b32 vcc_lo, exec_lo, s29
	s_cbranch_vccz .LBB6_406
; %bb.403:
	s_cmp_eq_u32 s24, 29
	s_cbranch_scc0 .LBB6_405
; %bb.404:
	global_load_b64 v[2:3], v[0:1], off
	s_mov_b32 s26, -1
	s_mov_b32 s27, 0
	s_mov_b32 s29, 0
	s_wait_loadcnt 0x0
	v_cmp_ne_u64_e64 s25, 0, v[2:3]
	s_branch .LBB6_407
.LBB6_405:
	s_mov_b32 s27, -1
                                        ; implicit-def: $sgpr25
.LBB6_406:
	s_mov_b32 s29, 0
.LBB6_407:
	s_delay_alu instid0(SALU_CYCLE_1)
	s_and_b32 vcc_lo, exec_lo, s29
	s_cbranch_vccz .LBB6_419
; %bb.408:
	s_cmp_lt_i32 s24, 27
	s_cbranch_scc1 .LBB6_411
; %bb.409:
	s_cmp_gt_i32 s24, 27
	s_cbranch_scc0 .LBB6_412
; %bb.410:
	global_load_b32 v2, v[0:1], off
	s_mov_b32 s26, 0
	s_wait_loadcnt 0x0
	v_cmp_ne_u32_e64 s25, 0, v2
	s_branch .LBB6_413
.LBB6_411:
	s_mov_b32 s26, -1
                                        ; implicit-def: $sgpr25
	s_branch .LBB6_416
.LBB6_412:
	s_mov_b32 s26, -1
                                        ; implicit-def: $sgpr25
.LBB6_413:
	s_delay_alu instid0(SALU_CYCLE_1)
	s_and_not1_b32 vcc_lo, exec_lo, s26
	s_cbranch_vccnz .LBB6_415
; %bb.414:
	global_load_u16 v2, v[0:1], off
	s_and_not1_b32 s25, s25, exec_lo
	s_wait_loadcnt 0x0
	v_cmp_ne_u16_e32 vcc_lo, 0, v2
	s_and_b32 s26, vcc_lo, exec_lo
	s_delay_alu instid0(SALU_CYCLE_1)
	s_or_b32 s25, s25, s26
.LBB6_415:
	s_mov_b32 s26, 0
.LBB6_416:
	s_delay_alu instid0(SALU_CYCLE_1)
	s_and_not1_b32 vcc_lo, exec_lo, s26
	s_cbranch_vccnz .LBB6_418
; %bb.417:
	global_load_u8 v2, v[0:1], off
	s_and_not1_b32 s25, s25, exec_lo
	s_wait_loadcnt 0x0
	v_cmp_ne_u16_e32 vcc_lo, 0, v2
	s_and_b32 s26, vcc_lo, exec_lo
	s_delay_alu instid0(SALU_CYCLE_1)
	s_or_b32 s25, s25, s26
.LBB6_418:
	s_mov_b32 s26, -1
.LBB6_419:
	s_mov_b32 s29, 0
.LBB6_420:
	s_delay_alu instid0(SALU_CYCLE_1)
	s_and_b32 vcc_lo, exec_lo, s29
	s_cbranch_vccz .LBB6_445
; %bb.421:
	s_cmp_gt_i32 s24, 22
	s_cbranch_scc0 .LBB6_425
; %bb.422:
	s_cmp_lt_i32 s24, 24
	s_cbranch_scc1 .LBB6_426
; %bb.423:
	s_cmp_gt_i32 s24, 24
	s_cbranch_scc0 .LBB6_427
; %bb.424:
	global_load_u8 v2, v[0:1], off
	s_mov_b32 s26, 0
	s_wait_loadcnt 0x0
	v_cmp_ne_u16_e64 s25, 0, v2
	s_branch .LBB6_428
.LBB6_425:
	s_mov_b32 s29, -1
                                        ; implicit-def: $sgpr25
	s_branch .LBB6_434
.LBB6_426:
	s_mov_b32 s26, -1
                                        ; implicit-def: $sgpr25
	s_branch .LBB6_431
.LBB6_427:
	s_mov_b32 s26, -1
                                        ; implicit-def: $sgpr25
.LBB6_428:
	s_delay_alu instid0(SALU_CYCLE_1)
	s_and_not1_b32 vcc_lo, exec_lo, s26
	s_cbranch_vccnz .LBB6_430
; %bb.429:
	global_load_u8 v2, v[0:1], off
	s_and_not1_b32 s25, s25, exec_lo
	s_wait_loadcnt 0x0
	v_and_b32_e32 v2, 0x7f, v2
	s_delay_alu instid0(VALU_DEP_1) | instskip(SKIP_1) | instid1(SALU_CYCLE_1)
	v_cmp_ne_u16_e32 vcc_lo, 0, v2
	s_and_b32 s26, vcc_lo, exec_lo
	s_or_b32 s25, s25, s26
.LBB6_430:
	s_mov_b32 s26, 0
.LBB6_431:
	s_delay_alu instid0(SALU_CYCLE_1)
	s_and_not1_b32 vcc_lo, exec_lo, s26
	s_cbranch_vccnz .LBB6_433
; %bb.432:
	global_load_u8 v2, v[0:1], off
	s_and_not1_b32 s25, s25, exec_lo
	s_wait_loadcnt 0x0
	v_dual_lshlrev_b32 v3, 25, v2 :: v_dual_lshlrev_b32 v2, 8, v2
	s_delay_alu instid0(VALU_DEP_1) | instskip(NEXT) | instid1(VALU_DEP_2)
	v_cmp_gt_u32_e32 vcc_lo, 0x8000000, v3
	v_and_or_b32 v2, 0x7f00, v2, 0.5
	s_delay_alu instid0(VALU_DEP_1) | instskip(NEXT) | instid1(VALU_DEP_1)
	v_dual_lshrrev_b32 v4, 4, v3 :: v_dual_add_f32 v2, -0.5, v2
	v_or_b32_e32 v4, 0x70000000, v4
	s_delay_alu instid0(VALU_DEP_1) | instskip(NEXT) | instid1(VALU_DEP_1)
	v_mul_f32_e32 v4, 0x7800000, v4
	v_cndmask_b32_e32 v2, v4, v2, vcc_lo
	s_delay_alu instid0(VALU_DEP_1) | instskip(SKIP_1) | instid1(SALU_CYCLE_1)
	v_cmp_neq_f32_e32 vcc_lo, 0, v2
	s_and_b32 s26, vcc_lo, exec_lo
	s_or_b32 s25, s25, s26
.LBB6_433:
	s_mov_b32 s29, 0
	s_mov_b32 s26, -1
.LBB6_434:
	s_and_not1_b32 vcc_lo, exec_lo, s29
	s_cbranch_vccnz .LBB6_445
; %bb.435:
	s_cmp_gt_i32 s24, 14
	s_cbranch_scc0 .LBB6_438
; %bb.436:
	s_cmp_eq_u32 s24, 15
	s_cbranch_scc0 .LBB6_439
; %bb.437:
	global_load_u16 v2, v[0:1], off
	s_mov_b32 s27, 0
	s_mov_b32 s26, -1
	s_wait_loadcnt 0x0
	v_and_b32_e32 v2, 0x7fff, v2
	s_delay_alu instid0(VALU_DEP_1)
	v_cmp_ne_u16_e64 s25, 0, v2
	s_branch .LBB6_440
.LBB6_438:
	s_mov_b32 s29, -1
                                        ; implicit-def: $sgpr25
	s_branch .LBB6_441
.LBB6_439:
	s_mov_b32 s27, -1
                                        ; implicit-def: $sgpr25
.LBB6_440:
	s_mov_b32 s29, 0
.LBB6_441:
	s_delay_alu instid0(SALU_CYCLE_1)
	s_and_b32 vcc_lo, exec_lo, s29
	s_cbranch_vccz .LBB6_445
; %bb.442:
	s_cmp_eq_u32 s24, 11
	s_cbranch_scc0 .LBB6_444
; %bb.443:
	global_load_u8 v2, v[0:1], off
	s_mov_b32 s27, 0
	s_mov_b32 s26, -1
	s_wait_loadcnt 0x0
	v_cmp_ne_u16_e64 s25, 0, v2
	s_branch .LBB6_445
.LBB6_444:
	s_mov_b32 s27, -1
                                        ; implicit-def: $sgpr25
.LBB6_445:
	s_mov_b32 s24, 0
.LBB6_446:
	s_delay_alu instid0(SALU_CYCLE_1)
	s_and_b32 vcc_lo, exec_lo, s24
	s_cbranch_vccz .LBB6_495
; %bb.447:
	s_and_b32 s24, 0xffff, s0
	s_delay_alu instid0(SALU_CYCLE_1)
	s_cmp_lt_i32 s24, 5
	s_cbranch_scc1 .LBB6_452
; %bb.448:
	s_cmp_lt_i32 s24, 8
	s_cbranch_scc1 .LBB6_453
; %bb.449:
	;; [unrolled: 3-line block ×3, first 2 shown]
	s_cmp_gt_i32 s24, 9
	s_cbranch_scc0 .LBB6_455
; %bb.451:
	global_load_b128 v[2:5], v[0:1], off
	s_wait_loadcnt 0x0
	v_cmp_neq_f64_e32 vcc_lo, 0, v[2:3]
	v_cmp_neq_f64_e64 s0, 0, v[4:5]
	s_or_b32 s25, vcc_lo, s0
	s_mov_b32 s0, 0
	s_branch .LBB6_456
.LBB6_452:
	s_mov_b32 s0, -1
                                        ; implicit-def: $sgpr25
	s_branch .LBB6_474
.LBB6_453:
	s_mov_b32 s0, -1
                                        ; implicit-def: $sgpr25
	s_branch .LBB6_462
.LBB6_454:
	s_mov_b32 s0, -1
                                        ; implicit-def: $sgpr25
	s_branch .LBB6_459
.LBB6_455:
	s_mov_b32 s0, -1
                                        ; implicit-def: $sgpr25
.LBB6_456:
	s_delay_alu instid0(SALU_CYCLE_1)
	s_and_not1_b32 vcc_lo, exec_lo, s0
	s_cbranch_vccnz .LBB6_458
; %bb.457:
	global_load_b64 v[2:3], v[0:1], off
	s_and_not1_b32 s0, s25, exec_lo
	s_wait_loadcnt 0x0
	v_bitop3_b32 v2, v2, 0x7fffffff, v3 bitop3:0xc8
	s_delay_alu instid0(VALU_DEP_1) | instskip(SKIP_1) | instid1(SALU_CYCLE_1)
	v_cmp_ne_u32_e32 vcc_lo, 0, v2
	s_and_b32 s25, vcc_lo, exec_lo
	s_or_b32 s25, s0, s25
.LBB6_458:
	s_mov_b32 s0, 0
.LBB6_459:
	s_delay_alu instid0(SALU_CYCLE_1)
	s_and_not1_b32 vcc_lo, exec_lo, s0
	s_cbranch_vccnz .LBB6_461
; %bb.460:
	global_load_b32 v2, v[0:1], off
	s_and_not1_b32 s0, s25, exec_lo
	s_wait_loadcnt 0x0
	v_and_b32_e32 v2, 0x7fff7fff, v2
	s_delay_alu instid0(VALU_DEP_1) | instskip(SKIP_1) | instid1(SALU_CYCLE_1)
	v_cmp_ne_u32_e32 vcc_lo, 0, v2
	s_and_b32 s25, vcc_lo, exec_lo
	s_or_b32 s25, s0, s25
.LBB6_461:
	s_mov_b32 s0, 0
.LBB6_462:
	s_delay_alu instid0(SALU_CYCLE_1)
	s_and_not1_b32 vcc_lo, exec_lo, s0
	s_cbranch_vccnz .LBB6_473
; %bb.463:
	s_cmp_lt_i32 s24, 6
	s_cbranch_scc1 .LBB6_466
; %bb.464:
	s_cmp_gt_i32 s24, 6
	s_cbranch_scc0 .LBB6_467
; %bb.465:
	global_load_b64 v[2:3], v[0:1], off
	s_mov_b32 s0, 0
	s_wait_loadcnt 0x0
	v_cmp_neq_f64_e64 s25, 0, v[2:3]
	s_branch .LBB6_468
.LBB6_466:
	s_mov_b32 s0, -1
                                        ; implicit-def: $sgpr25
	s_branch .LBB6_471
.LBB6_467:
	s_mov_b32 s0, -1
                                        ; implicit-def: $sgpr25
.LBB6_468:
	s_delay_alu instid0(SALU_CYCLE_1)
	s_and_not1_b32 vcc_lo, exec_lo, s0
	s_cbranch_vccnz .LBB6_470
; %bb.469:
	global_load_b32 v2, v[0:1], off
	s_and_not1_b32 s0, s25, exec_lo
	s_wait_loadcnt 0x0
	v_cmp_neq_f32_e32 vcc_lo, 0, v2
	s_and_b32 s25, vcc_lo, exec_lo
	s_delay_alu instid0(SALU_CYCLE_1)
	s_or_b32 s25, s0, s25
.LBB6_470:
	s_mov_b32 s0, 0
.LBB6_471:
	s_delay_alu instid0(SALU_CYCLE_1)
	s_and_not1_b32 vcc_lo, exec_lo, s0
	s_cbranch_vccnz .LBB6_473
; %bb.472:
	global_load_u16 v2, v[0:1], off
	s_and_not1_b32 s0, s25, exec_lo
	s_wait_loadcnt 0x0
	v_and_b32_e32 v2, 0x7fff, v2
	s_delay_alu instid0(VALU_DEP_1) | instskip(SKIP_1) | instid1(SALU_CYCLE_1)
	v_cmp_ne_u16_e32 vcc_lo, 0, v2
	s_and_b32 s25, vcc_lo, exec_lo
	s_or_b32 s25, s0, s25
.LBB6_473:
	s_mov_b32 s0, 0
.LBB6_474:
	s_delay_alu instid0(SALU_CYCLE_1)
	s_and_not1_b32 vcc_lo, exec_lo, s0
	s_cbranch_vccnz .LBB6_494
; %bb.475:
	s_cmp_lt_i32 s24, 2
	s_cbranch_scc1 .LBB6_479
; %bb.476:
	s_cmp_lt_i32 s24, 3
	s_cbranch_scc1 .LBB6_480
; %bb.477:
	s_cmp_gt_i32 s24, 3
	s_cbranch_scc0 .LBB6_481
; %bb.478:
	global_load_b64 v[2:3], v[0:1], off
	s_mov_b32 s0, 0
	s_wait_loadcnt 0x0
	v_cmp_ne_u64_e64 s25, 0, v[2:3]
	s_branch .LBB6_482
.LBB6_479:
	s_mov_b32 s0, -1
                                        ; implicit-def: $sgpr25
	s_branch .LBB6_488
.LBB6_480:
	s_mov_b32 s0, -1
                                        ; implicit-def: $sgpr25
	s_branch .LBB6_485
.LBB6_481:
	s_mov_b32 s0, -1
                                        ; implicit-def: $sgpr25
.LBB6_482:
	s_delay_alu instid0(SALU_CYCLE_1)
	s_and_not1_b32 vcc_lo, exec_lo, s0
	s_cbranch_vccnz .LBB6_484
; %bb.483:
	global_load_b32 v2, v[0:1], off
	s_and_not1_b32 s0, s25, exec_lo
	s_wait_loadcnt 0x0
	v_cmp_ne_u32_e32 vcc_lo, 0, v2
	s_and_b32 s25, vcc_lo, exec_lo
	s_delay_alu instid0(SALU_CYCLE_1)
	s_or_b32 s25, s0, s25
.LBB6_484:
	s_mov_b32 s0, 0
.LBB6_485:
	s_delay_alu instid0(SALU_CYCLE_1)
	s_and_not1_b32 vcc_lo, exec_lo, s0
	s_cbranch_vccnz .LBB6_487
; %bb.486:
	global_load_u16 v2, v[0:1], off
	s_and_not1_b32 s0, s25, exec_lo
	s_wait_loadcnt 0x0
	v_cmp_ne_u16_e32 vcc_lo, 0, v2
	s_and_b32 s25, vcc_lo, exec_lo
	s_delay_alu instid0(SALU_CYCLE_1)
	s_or_b32 s25, s0, s25
.LBB6_487:
	s_mov_b32 s0, 0
.LBB6_488:
	s_delay_alu instid0(SALU_CYCLE_1)
	s_and_not1_b32 vcc_lo, exec_lo, s0
	s_cbranch_vccnz .LBB6_494
; %bb.489:
	s_cmp_gt_i32 s24, 0
	s_mov_b32 s0, 0
	s_cbranch_scc0 .LBB6_491
; %bb.490:
	global_load_u8 v2, v[0:1], off
	s_wait_loadcnt 0x0
	v_cmp_ne_u16_e64 s25, 0, v2
	s_branch .LBB6_492
.LBB6_491:
	s_mov_b32 s0, -1
                                        ; implicit-def: $sgpr25
.LBB6_492:
	s_delay_alu instid0(SALU_CYCLE_1)
	s_and_not1_b32 vcc_lo, exec_lo, s0
	s_cbranch_vccnz .LBB6_494
; %bb.493:
	global_load_u8 v0, v[0:1], off
	s_and_not1_b32 s0, s25, exec_lo
	s_wait_loadcnt 0x0
	v_cmp_ne_u16_e32 vcc_lo, 0, v0
	s_and_b32 s24, vcc_lo, exec_lo
	s_delay_alu instid0(SALU_CYCLE_1)
	s_or_b32 s25, s0, s24
.LBB6_494:
	s_mov_b32 s26, -1
.LBB6_495:
	s_mov_b32 s24, 0
	s_mov_b32 s0, s19
	s_and_not1_b32 vcc_lo, exec_lo, s26
	s_mov_b32 s26, s20
	s_mov_b32 s30, 0
	s_cbranch_vccnz .LBB6_731
; %bb.496:
	s_wait_xcnt 0x0
	v_mul_lo_u32 v0, v6, s5
	s_and_b32 s0, s7, 0xff
	s_delay_alu instid0(SALU_CYCLE_1) | instskip(NEXT) | instid1(VALU_DEP_1)
	s_cmp_lt_i32 s0, 11
	v_ashrrev_i32_e32 v1, 31, v0
	s_delay_alu instid0(VALU_DEP_1)
	v_add_nc_u64_e32 v[0:1], s[10:11], v[0:1]
	s_cbranch_scc1 .LBB6_503
; %bb.497:
	s_and_b32 s27, 0xffff, s0
	s_delay_alu instid0(SALU_CYCLE_1)
	s_cmp_gt_i32 s27, 25
	s_cbranch_scc0 .LBB6_504
; %bb.498:
	s_cmp_gt_i32 s27, 28
	s_cbranch_scc0 .LBB6_505
; %bb.499:
	;; [unrolled: 3-line block ×4, first 2 shown]
	s_cmp_eq_u32 s27, 46
	s_mov_b32 s31, 0
	s_cbranch_scc0 .LBB6_510
; %bb.502:
	global_load_b32 v2, v[0:1], off
	s_mov_b32 s26, 0
	s_mov_b32 s30, -1
	s_wait_loadcnt 0x0
	v_and_b32_e32 v2, 0x7fff7fff, v2
	s_delay_alu instid0(VALU_DEP_1)
	v_cmp_ne_u32_e64 s29, 0, v2
	s_branch .LBB6_512
.LBB6_503:
	s_mov_b32 s27, -1
	s_mov_b32 s26, s20
                                        ; implicit-def: $sgpr29
	s_branch .LBB6_559
.LBB6_504:
	s_mov_b32 s31, -1
	s_mov_b32 s26, s20
                                        ; implicit-def: $sgpr29
	s_branch .LBB6_533
.LBB6_505:
	s_mov_b32 s31, -1
	s_mov_b32 s26, s20
                                        ; implicit-def: $sgpr29
	s_branch .LBB6_520
.LBB6_506:
	s_mov_b32 s31, -1
	s_mov_b32 s26, s20
                                        ; implicit-def: $sgpr29
	s_branch .LBB6_515
.LBB6_507:
	s_mov_b32 s31, -1
	s_mov_b32 s26, s20
	s_branch .LBB6_511
.LBB6_508:
	v_bfe_u32 v2, v3, 20, 1
	s_mov_b32 s27, exec_lo
	s_delay_alu instid0(VALU_DEP_1) | instskip(NEXT) | instid1(VALU_DEP_1)
	v_add3_u32 v2, v3, v2, 0x487ffff
                                        ; implicit-def: $vgpr3
	v_lshrrev_b32_e32 v2, 20, v2
	s_and_not1_saveexec_b32 s28, s28
	s_cbranch_execz .LBB6_274
.LBB6_509:
	v_add_f32_e32 v2, 0x46000000, v3
	s_and_not1_b32 s27, s27, exec_lo
	s_delay_alu instid0(VALU_DEP_1) | instskip(NEXT) | instid1(VALU_DEP_1)
	v_and_b32_e32 v2, 0xff, v2
	v_cmp_ne_u32_e32 vcc_lo, 0, v2
	s_and_b32 s29, vcc_lo, exec_lo
	s_delay_alu instid0(SALU_CYCLE_1)
	s_or_b32 s27, s27, s29
	s_or_b32 exec_lo, exec_lo, s28
	v_mov_b32_e32 v4, 0
	s_and_saveexec_b32 s28, s27
	s_cbranch_execnz .LBB6_275
	s_branch .LBB6_276
.LBB6_510:
	s_mov_b32 s26, -1
.LBB6_511:
                                        ; implicit-def: $sgpr29
.LBB6_512:
	s_and_b32 vcc_lo, exec_lo, s31
	s_cbranch_vccz .LBB6_514
; %bb.513:
	s_cmp_eq_u32 s27, 44
	s_cselect_b32 s30, -1, 0
	s_or_b32 s29, s29, exec_lo
	s_or_b32 s26, s26, exec_lo
.LBB6_514:
	s_mov_b32 s31, 0
.LBB6_515:
	s_delay_alu instid0(SALU_CYCLE_1)
	s_and_b32 vcc_lo, exec_lo, s31
	s_cbranch_vccz .LBB6_519
; %bb.516:
	s_cmp_eq_u32 s27, 29
	s_cbranch_scc0 .LBB6_518
; %bb.517:
	global_load_b64 v[2:3], v[0:1], off
	s_mov_b32 s30, -1
	s_mov_b32 s26, 0
	s_mov_b32 s31, 0
	s_wait_loadcnt 0x0
	v_cmp_ne_u64_e64 s29, 0, v[2:3]
	s_branch .LBB6_520
.LBB6_518:
	s_mov_b32 s26, -1
                                        ; implicit-def: $sgpr29
.LBB6_519:
	s_mov_b32 s31, 0
.LBB6_520:
	s_delay_alu instid0(SALU_CYCLE_1)
	s_and_b32 vcc_lo, exec_lo, s31
	s_cbranch_vccz .LBB6_532
; %bb.521:
	s_cmp_lt_i32 s27, 27
	s_cbranch_scc1 .LBB6_524
; %bb.522:
	s_cmp_gt_i32 s27, 27
	s_cbranch_scc0 .LBB6_525
; %bb.523:
	global_load_b32 v2, v[0:1], off
	s_mov_b32 s30, 0
	s_wait_loadcnt 0x0
	v_cmp_ne_u32_e64 s29, 0, v2
	s_branch .LBB6_526
.LBB6_524:
	s_mov_b32 s30, -1
                                        ; implicit-def: $sgpr29
	s_branch .LBB6_529
.LBB6_525:
	s_mov_b32 s30, -1
                                        ; implicit-def: $sgpr29
.LBB6_526:
	s_delay_alu instid0(SALU_CYCLE_1)
	s_and_not1_b32 vcc_lo, exec_lo, s30
	s_cbranch_vccnz .LBB6_528
; %bb.527:
	global_load_u16 v2, v[0:1], off
	s_and_not1_b32 s29, s29, exec_lo
	s_wait_loadcnt 0x0
	v_cmp_ne_u16_e32 vcc_lo, 0, v2
	s_and_b32 s30, vcc_lo, exec_lo
	s_delay_alu instid0(SALU_CYCLE_1)
	s_or_b32 s29, s29, s30
.LBB6_528:
	s_mov_b32 s30, 0
.LBB6_529:
	s_delay_alu instid0(SALU_CYCLE_1)
	s_and_not1_b32 vcc_lo, exec_lo, s30
	s_cbranch_vccnz .LBB6_531
; %bb.530:
	global_load_u8 v2, v[0:1], off
	s_and_not1_b32 s29, s29, exec_lo
	s_wait_loadcnt 0x0
	v_cmp_ne_u16_e32 vcc_lo, 0, v2
	s_and_b32 s30, vcc_lo, exec_lo
	s_delay_alu instid0(SALU_CYCLE_1)
	s_or_b32 s29, s29, s30
.LBB6_531:
	s_mov_b32 s30, -1
.LBB6_532:
	s_mov_b32 s31, 0
.LBB6_533:
	s_delay_alu instid0(SALU_CYCLE_1)
	s_and_b32 vcc_lo, exec_lo, s31
	s_cbranch_vccz .LBB6_558
; %bb.534:
	s_cmp_gt_i32 s27, 22
	s_cbranch_scc0 .LBB6_538
; %bb.535:
	s_cmp_lt_i32 s27, 24
	s_cbranch_scc1 .LBB6_539
; %bb.536:
	s_cmp_gt_i32 s27, 24
	s_cbranch_scc0 .LBB6_540
; %bb.537:
	global_load_u8 v2, v[0:1], off
	s_mov_b32 s30, 0
	s_wait_loadcnt 0x0
	v_cmp_ne_u16_e64 s29, 0, v2
	s_branch .LBB6_541
.LBB6_538:
	s_mov_b32 s31, -1
                                        ; implicit-def: $sgpr29
	s_branch .LBB6_547
.LBB6_539:
	s_mov_b32 s30, -1
                                        ; implicit-def: $sgpr29
	s_branch .LBB6_544
.LBB6_540:
	s_mov_b32 s30, -1
                                        ; implicit-def: $sgpr29
.LBB6_541:
	s_delay_alu instid0(SALU_CYCLE_1)
	s_and_not1_b32 vcc_lo, exec_lo, s30
	s_cbranch_vccnz .LBB6_543
; %bb.542:
	global_load_u8 v2, v[0:1], off
	s_and_not1_b32 s29, s29, exec_lo
	s_wait_loadcnt 0x0
	v_and_b32_e32 v2, 0x7f, v2
	s_delay_alu instid0(VALU_DEP_1) | instskip(SKIP_1) | instid1(SALU_CYCLE_1)
	v_cmp_ne_u16_e32 vcc_lo, 0, v2
	s_and_b32 s30, vcc_lo, exec_lo
	s_or_b32 s29, s29, s30
.LBB6_543:
	s_mov_b32 s30, 0
.LBB6_544:
	s_delay_alu instid0(SALU_CYCLE_1)
	s_and_not1_b32 vcc_lo, exec_lo, s30
	s_cbranch_vccnz .LBB6_546
; %bb.545:
	global_load_u8 v2, v[0:1], off
	s_and_not1_b32 s29, s29, exec_lo
	s_wait_loadcnt 0x0
	v_dual_lshlrev_b32 v3, 25, v2 :: v_dual_lshlrev_b32 v2, 8, v2
	s_delay_alu instid0(VALU_DEP_1) | instskip(NEXT) | instid1(VALU_DEP_2)
	v_cmp_gt_u32_e32 vcc_lo, 0x8000000, v3
	v_and_or_b32 v2, 0x7f00, v2, 0.5
	s_delay_alu instid0(VALU_DEP_1) | instskip(NEXT) | instid1(VALU_DEP_1)
	v_dual_lshrrev_b32 v4, 4, v3 :: v_dual_add_f32 v2, -0.5, v2
	v_or_b32_e32 v4, 0x70000000, v4
	s_delay_alu instid0(VALU_DEP_1) | instskip(NEXT) | instid1(VALU_DEP_1)
	v_mul_f32_e32 v4, 0x7800000, v4
	v_cndmask_b32_e32 v2, v4, v2, vcc_lo
	s_delay_alu instid0(VALU_DEP_1) | instskip(SKIP_1) | instid1(SALU_CYCLE_1)
	v_cmp_neq_f32_e32 vcc_lo, 0, v2
	s_and_b32 s30, vcc_lo, exec_lo
	s_or_b32 s29, s29, s30
.LBB6_546:
	s_mov_b32 s31, 0
	s_mov_b32 s30, -1
.LBB6_547:
	s_and_not1_b32 vcc_lo, exec_lo, s31
	s_cbranch_vccnz .LBB6_558
; %bb.548:
	s_cmp_gt_i32 s27, 14
	s_cbranch_scc0 .LBB6_551
; %bb.549:
	s_cmp_eq_u32 s27, 15
	s_cbranch_scc0 .LBB6_552
; %bb.550:
	global_load_u16 v2, v[0:1], off
	s_mov_b32 s26, 0
	s_mov_b32 s30, -1
	s_wait_loadcnt 0x0
	v_and_b32_e32 v2, 0x7fff, v2
	s_delay_alu instid0(VALU_DEP_1)
	v_cmp_ne_u16_e64 s29, 0, v2
	s_branch .LBB6_553
.LBB6_551:
	s_mov_b32 s31, -1
                                        ; implicit-def: $sgpr29
	s_branch .LBB6_554
.LBB6_552:
	s_mov_b32 s26, -1
                                        ; implicit-def: $sgpr29
.LBB6_553:
	s_mov_b32 s31, 0
.LBB6_554:
	s_delay_alu instid0(SALU_CYCLE_1)
	s_and_b32 vcc_lo, exec_lo, s31
	s_cbranch_vccz .LBB6_558
; %bb.555:
	s_cmp_eq_u32 s27, 11
	s_cbranch_scc0 .LBB6_557
; %bb.556:
	global_load_u8 v2, v[0:1], off
	s_mov_b32 s26, 0
	s_mov_b32 s30, -1
	s_wait_loadcnt 0x0
	v_cmp_ne_u16_e64 s29, 0, v2
	s_branch .LBB6_558
.LBB6_557:
	s_mov_b32 s26, -1
                                        ; implicit-def: $sgpr29
.LBB6_558:
	s_mov_b32 s27, 0
.LBB6_559:
	s_delay_alu instid0(SALU_CYCLE_1)
	s_and_b32 vcc_lo, exec_lo, s27
	s_cbranch_vccz .LBB6_608
; %bb.560:
	s_and_b32 s27, 0xffff, s0
	s_delay_alu instid0(SALU_CYCLE_1)
	s_cmp_lt_i32 s27, 5
	s_cbranch_scc1 .LBB6_565
; %bb.561:
	s_cmp_lt_i32 s27, 8
	s_cbranch_scc1 .LBB6_566
; %bb.562:
	;; [unrolled: 3-line block ×3, first 2 shown]
	s_cmp_gt_i32 s27, 9
	s_cbranch_scc0 .LBB6_568
; %bb.564:
	global_load_b128 v[2:5], v[0:1], off
	s_wait_loadcnt 0x0
	v_cmp_neq_f64_e32 vcc_lo, 0, v[2:3]
	v_cmp_neq_f64_e64 s0, 0, v[4:5]
	s_or_b32 s29, vcc_lo, s0
	s_mov_b32 s0, 0
	s_branch .LBB6_569
.LBB6_565:
	s_mov_b32 s0, -1
                                        ; implicit-def: $sgpr29
	s_branch .LBB6_587
.LBB6_566:
	s_mov_b32 s0, -1
                                        ; implicit-def: $sgpr29
	s_branch .LBB6_575
.LBB6_567:
	s_mov_b32 s0, -1
                                        ; implicit-def: $sgpr29
	s_branch .LBB6_572
.LBB6_568:
	s_mov_b32 s0, -1
                                        ; implicit-def: $sgpr29
.LBB6_569:
	s_delay_alu instid0(SALU_CYCLE_1)
	s_and_not1_b32 vcc_lo, exec_lo, s0
	s_cbranch_vccnz .LBB6_571
; %bb.570:
	global_load_b64 v[2:3], v[0:1], off
	s_and_not1_b32 s0, s29, exec_lo
	s_wait_loadcnt 0x0
	v_bitop3_b32 v2, v2, 0x7fffffff, v3 bitop3:0xc8
	s_delay_alu instid0(VALU_DEP_1) | instskip(SKIP_1) | instid1(SALU_CYCLE_1)
	v_cmp_ne_u32_e32 vcc_lo, 0, v2
	s_and_b32 s29, vcc_lo, exec_lo
	s_or_b32 s29, s0, s29
.LBB6_571:
	s_mov_b32 s0, 0
.LBB6_572:
	s_delay_alu instid0(SALU_CYCLE_1)
	s_and_not1_b32 vcc_lo, exec_lo, s0
	s_cbranch_vccnz .LBB6_574
; %bb.573:
	global_load_b32 v2, v[0:1], off
	s_and_not1_b32 s0, s29, exec_lo
	s_wait_loadcnt 0x0
	v_and_b32_e32 v2, 0x7fff7fff, v2
	s_delay_alu instid0(VALU_DEP_1) | instskip(SKIP_1) | instid1(SALU_CYCLE_1)
	v_cmp_ne_u32_e32 vcc_lo, 0, v2
	s_and_b32 s29, vcc_lo, exec_lo
	s_or_b32 s29, s0, s29
.LBB6_574:
	s_mov_b32 s0, 0
.LBB6_575:
	s_delay_alu instid0(SALU_CYCLE_1)
	s_and_not1_b32 vcc_lo, exec_lo, s0
	s_cbranch_vccnz .LBB6_586
; %bb.576:
	s_cmp_lt_i32 s27, 6
	s_cbranch_scc1 .LBB6_579
; %bb.577:
	s_cmp_gt_i32 s27, 6
	s_cbranch_scc0 .LBB6_580
; %bb.578:
	global_load_b64 v[2:3], v[0:1], off
	s_mov_b32 s0, 0
	s_wait_loadcnt 0x0
	v_cmp_neq_f64_e64 s29, 0, v[2:3]
	s_branch .LBB6_581
.LBB6_579:
	s_mov_b32 s0, -1
                                        ; implicit-def: $sgpr29
	s_branch .LBB6_584
.LBB6_580:
	s_mov_b32 s0, -1
                                        ; implicit-def: $sgpr29
.LBB6_581:
	s_delay_alu instid0(SALU_CYCLE_1)
	s_and_not1_b32 vcc_lo, exec_lo, s0
	s_cbranch_vccnz .LBB6_583
; %bb.582:
	global_load_b32 v2, v[0:1], off
	s_and_not1_b32 s0, s29, exec_lo
	s_wait_loadcnt 0x0
	v_cmp_neq_f32_e32 vcc_lo, 0, v2
	s_and_b32 s29, vcc_lo, exec_lo
	s_delay_alu instid0(SALU_CYCLE_1)
	s_or_b32 s29, s0, s29
.LBB6_583:
	s_mov_b32 s0, 0
.LBB6_584:
	s_delay_alu instid0(SALU_CYCLE_1)
	s_and_not1_b32 vcc_lo, exec_lo, s0
	s_cbranch_vccnz .LBB6_586
; %bb.585:
	global_load_u16 v2, v[0:1], off
	s_and_not1_b32 s0, s29, exec_lo
	s_wait_loadcnt 0x0
	v_and_b32_e32 v2, 0x7fff, v2
	s_delay_alu instid0(VALU_DEP_1) | instskip(SKIP_1) | instid1(SALU_CYCLE_1)
	v_cmp_ne_u16_e32 vcc_lo, 0, v2
	s_and_b32 s29, vcc_lo, exec_lo
	s_or_b32 s29, s0, s29
.LBB6_586:
	s_mov_b32 s0, 0
.LBB6_587:
	s_delay_alu instid0(SALU_CYCLE_1)
	s_and_not1_b32 vcc_lo, exec_lo, s0
	s_cbranch_vccnz .LBB6_607
; %bb.588:
	s_cmp_lt_i32 s27, 2
	s_cbranch_scc1 .LBB6_592
; %bb.589:
	s_cmp_lt_i32 s27, 3
	s_cbranch_scc1 .LBB6_593
; %bb.590:
	s_cmp_gt_i32 s27, 3
	s_cbranch_scc0 .LBB6_594
; %bb.591:
	global_load_b64 v[2:3], v[0:1], off
	s_mov_b32 s0, 0
	s_wait_loadcnt 0x0
	v_cmp_ne_u64_e64 s29, 0, v[2:3]
	s_branch .LBB6_595
.LBB6_592:
	s_mov_b32 s0, -1
                                        ; implicit-def: $sgpr29
	s_branch .LBB6_601
.LBB6_593:
	s_mov_b32 s0, -1
                                        ; implicit-def: $sgpr29
	s_branch .LBB6_598
.LBB6_594:
	s_mov_b32 s0, -1
                                        ; implicit-def: $sgpr29
.LBB6_595:
	s_delay_alu instid0(SALU_CYCLE_1)
	s_and_not1_b32 vcc_lo, exec_lo, s0
	s_cbranch_vccnz .LBB6_597
; %bb.596:
	global_load_b32 v2, v[0:1], off
	s_and_not1_b32 s0, s29, exec_lo
	s_wait_loadcnt 0x0
	v_cmp_ne_u32_e32 vcc_lo, 0, v2
	s_and_b32 s29, vcc_lo, exec_lo
	s_delay_alu instid0(SALU_CYCLE_1)
	s_or_b32 s29, s0, s29
.LBB6_597:
	s_mov_b32 s0, 0
.LBB6_598:
	s_delay_alu instid0(SALU_CYCLE_1)
	s_and_not1_b32 vcc_lo, exec_lo, s0
	s_cbranch_vccnz .LBB6_600
; %bb.599:
	global_load_u16 v2, v[0:1], off
	s_and_not1_b32 s0, s29, exec_lo
	s_wait_loadcnt 0x0
	v_cmp_ne_u16_e32 vcc_lo, 0, v2
	s_and_b32 s29, vcc_lo, exec_lo
	s_delay_alu instid0(SALU_CYCLE_1)
	s_or_b32 s29, s0, s29
.LBB6_600:
	s_mov_b32 s0, 0
.LBB6_601:
	s_delay_alu instid0(SALU_CYCLE_1)
	s_and_not1_b32 vcc_lo, exec_lo, s0
	s_cbranch_vccnz .LBB6_607
; %bb.602:
	s_cmp_gt_i32 s27, 0
	s_mov_b32 s0, 0
	s_cbranch_scc0 .LBB6_604
; %bb.603:
	global_load_u8 v2, v[0:1], off
	s_wait_loadcnt 0x0
	v_cmp_ne_u16_e64 s29, 0, v2
	s_branch .LBB6_605
.LBB6_604:
	s_mov_b32 s0, -1
                                        ; implicit-def: $sgpr29
.LBB6_605:
	s_delay_alu instid0(SALU_CYCLE_1)
	s_and_not1_b32 vcc_lo, exec_lo, s0
	s_cbranch_vccnz .LBB6_607
; %bb.606:
	global_load_u8 v0, v[0:1], off
	s_and_not1_b32 s0, s29, exec_lo
	s_wait_loadcnt 0x0
	v_cmp_ne_u16_e32 vcc_lo, 0, v0
	s_and_b32 s27, vcc_lo, exec_lo
	s_delay_alu instid0(SALU_CYCLE_1)
	s_or_b32 s29, s0, s27
.LBB6_607:
	s_mov_b32 s30, -1
.LBB6_608:
	s_mov_b32 s27, 0
	s_and_not1_b32 vcc_lo, exec_lo, s30
	s_mov_b32 s0, s19
	s_mov_b32 s30, 0
	s_cbranch_vccnz .LBB6_731
; %bb.609:
	s_wait_xcnt 0x0
	v_mul_lo_u32 v0, v6, s14
	s_delay_alu instid0(VALU_DEP_2) | instskip(SKIP_3) | instid1(VALU_DEP_1)
	s_and_b32 s0, s25, s29
	s_and_b32 s26, s1, 0xff
	;; [unrolled: 1-line block ×3, first 2 shown]
	s_cmp_lt_i32 s26, 11
	v_ashrrev_i32_e32 v1, 31, v0
	s_delay_alu instid0(VALU_DEP_1)
	v_add_nc_u64_e32 v[0:1], s[2:3], v[0:1]
	s_cbranch_scc1 .LBB6_616
; %bb.610:
	s_and_b32 s29, 0xffff, s26
	s_delay_alu instid0(SALU_CYCLE_1)
	s_cmp_gt_i32 s29, 25
	s_cbranch_scc0 .LBB6_617
; %bb.611:
	s_cmp_gt_i32 s29, 28
	s_cbranch_scc0 .LBB6_618
; %bb.612:
	;; [unrolled: 3-line block ×4, first 2 shown]
	s_mov_b32 s31, 0
	s_mov_b32 s0, -1
	s_cmp_eq_u32 s29, 46
	s_cbranch_scc0 .LBB6_621
; %bb.615:
	v_cndmask_b32_e64 v2, 0, 1.0, s25
	s_mov_b32 s30, -1
	s_mov_b32 s0, 0
	s_delay_alu instid0(VALU_DEP_1) | instskip(NEXT) | instid1(VALU_DEP_1)
	v_bfe_u32 v3, v2, 16, 1
	v_add3_u32 v2, v2, v3, 0x7fff
	s_delay_alu instid0(VALU_DEP_1)
	v_lshrrev_b32_e32 v2, 16, v2
	global_store_b32 v[0:1], v2, off
	s_branch .LBB6_621
.LBB6_616:
	s_mov_b32 s29, -1
	s_mov_b32 s0, s19
	s_branch .LBB6_690
.LBB6_617:
	s_mov_b32 s31, -1
	s_mov_b32 s0, s19
	s_branch .LBB6_648
.LBB6_618:
	s_mov_b32 s31, -1
	s_mov_b32 s0, s19
	s_branch .LBB6_631
.LBB6_619:
	s_mov_b32 s31, -1
	s_mov_b32 s0, s19
	s_branch .LBB6_627
.LBB6_620:
	s_mov_b32 s31, -1
	s_mov_b32 s0, s19
.LBB6_621:
	s_and_b32 vcc_lo, exec_lo, s31
	s_cbranch_vccz .LBB6_626
; %bb.622:
	s_cmp_eq_u32 s29, 44
	s_mov_b32 s0, -1
	s_cbranch_scc0 .LBB6_626
; %bb.623:
	v_cndmask_b32_e64 v4, 0, 1.0, s25
	s_mov_b32 s30, exec_lo
	s_wait_xcnt 0x0
	s_delay_alu instid0(VALU_DEP_1) | instskip(NEXT) | instid1(VALU_DEP_1)
	v_dual_mov_b32 v3, 0xff :: v_dual_lshrrev_b32 v2, 23, v4
	v_cmpx_ne_u32_e32 0xff, v2
; %bb.624:
	v_and_b32_e32 v3, 0x400000, v4
	v_and_or_b32 v4, 0x3fffff, v4, v2
	s_delay_alu instid0(VALU_DEP_2) | instskip(NEXT) | instid1(VALU_DEP_2)
	v_cmp_ne_u32_e32 vcc_lo, 0, v3
	v_cmp_ne_u32_e64 s0, 0, v4
	s_and_b32 s0, vcc_lo, s0
	s_delay_alu instid0(SALU_CYCLE_1) | instskip(NEXT) | instid1(VALU_DEP_1)
	v_cndmask_b32_e64 v3, 0, 1, s0
	v_add_nc_u32_e32 v3, v2, v3
; %bb.625:
	s_or_b32 exec_lo, exec_lo, s30
	s_mov_b32 s30, -1
	s_mov_b32 s0, 0
	global_store_b8 v[0:1], v3, off
.LBB6_626:
	s_mov_b32 s31, 0
.LBB6_627:
	s_delay_alu instid0(SALU_CYCLE_1)
	s_and_b32 vcc_lo, exec_lo, s31
	s_cbranch_vccz .LBB6_630
; %bb.628:
	s_cmp_eq_u32 s29, 29
	s_mov_b32 s0, -1
	s_cbranch_scc0 .LBB6_630
; %bb.629:
	s_mov_b32 s0, 0
	s_wait_xcnt 0x0
	v_cndmask_b32_e64 v2, 0, 1, s25
	v_mov_b32_e32 v3, s0
	s_mov_b32 s30, -1
	s_mov_b32 s31, 0
	global_store_b64 v[0:1], v[2:3], off
	s_branch .LBB6_631
.LBB6_630:
	s_mov_b32 s31, 0
.LBB6_631:
	s_delay_alu instid0(SALU_CYCLE_1)
	s_and_b32 vcc_lo, exec_lo, s31
	s_cbranch_vccz .LBB6_647
; %bb.632:
	s_cmp_lt_i32 s29, 27
	s_mov_b32 s30, -1
	s_cbranch_scc1 .LBB6_638
; %bb.633:
	s_cmp_gt_i32 s29, 27
	s_cbranch_scc0 .LBB6_635
; %bb.634:
	s_wait_xcnt 0x0
	v_cndmask_b32_e64 v2, 0, 1, s25
	s_mov_b32 s30, 0
	global_store_b32 v[0:1], v2, off
.LBB6_635:
	s_and_not1_b32 vcc_lo, exec_lo, s30
	s_cbranch_vccnz .LBB6_637
; %bb.636:
	s_wait_xcnt 0x0
	v_cndmask_b32_e64 v2, 0, 1, s25
	global_store_b16 v[0:1], v2, off
.LBB6_637:
	s_mov_b32 s30, 0
.LBB6_638:
	s_delay_alu instid0(SALU_CYCLE_1)
	s_and_not1_b32 vcc_lo, exec_lo, s30
	s_cbranch_vccnz .LBB6_646
; %bb.639:
	s_wait_xcnt 0x0
	v_cndmask_b32_e64 v3, 0, 1.0, s25
	v_mov_b32_e32 v4, 0x80
	s_mov_b32 s30, exec_lo
	s_delay_alu instid0(VALU_DEP_2)
	v_cmpx_gt_u32_e32 0x43800000, v3
	s_cbranch_execz .LBB6_645
; %bb.640:
	s_mov_b32 s31, 0
	s_mov_b32 s33, exec_lo
                                        ; implicit-def: $vgpr2
	v_cmpx_lt_u32_e32 0x3bffffff, v3
	s_xor_b32 s33, exec_lo, s33
	s_cbranch_execnz .LBB6_879
; %bb.641:
	s_and_not1_saveexec_b32 s33, s33
	s_cbranch_execnz .LBB6_880
.LBB6_642:
	s_or_b32 exec_lo, exec_lo, s33
	v_mov_b32_e32 v4, 0
	s_and_saveexec_b32 s33, s31
.LBB6_643:
	v_mov_b32_e32 v4, v2
.LBB6_644:
	s_or_b32 exec_lo, exec_lo, s33
.LBB6_645:
	s_delay_alu instid0(SALU_CYCLE_1)
	s_or_b32 exec_lo, exec_lo, s30
	global_store_b8 v[0:1], v4, off
.LBB6_646:
	s_mov_b32 s30, -1
.LBB6_647:
	s_mov_b32 s31, 0
.LBB6_648:
	s_delay_alu instid0(SALU_CYCLE_1)
	s_and_b32 vcc_lo, exec_lo, s31
	s_cbranch_vccz .LBB6_689
; %bb.649:
	s_cmp_gt_i32 s29, 22
	s_mov_b32 s31, -1
	s_cbranch_scc0 .LBB6_681
; %bb.650:
	s_cmp_lt_i32 s29, 24
	s_mov_b32 s30, -1
	s_cbranch_scc1 .LBB6_670
; %bb.651:
	s_cmp_gt_i32 s29, 24
	s_cbranch_scc0 .LBB6_659
; %bb.652:
	s_wait_xcnt 0x0
	v_cndmask_b32_e64 v3, 0, 1.0, s25
	v_mov_b32_e32 v4, 0x80
	s_mov_b32 s30, exec_lo
	s_delay_alu instid0(VALU_DEP_2)
	v_cmpx_gt_u32_e32 0x47800000, v3
	s_cbranch_execz .LBB6_658
; %bb.653:
	s_mov_b32 s31, 0
	s_mov_b32 s33, exec_lo
                                        ; implicit-def: $vgpr2
	v_cmpx_lt_u32_e32 0x37ffffff, v3
	s_xor_b32 s33, exec_lo, s33
	s_cbranch_execnz .LBB6_1994
; %bb.654:
	s_and_not1_saveexec_b32 s33, s33
	s_cbranch_execnz .LBB6_1995
.LBB6_655:
	s_or_b32 exec_lo, exec_lo, s33
	v_mov_b32_e32 v4, 0
	s_and_saveexec_b32 s33, s31
.LBB6_656:
	v_mov_b32_e32 v4, v2
.LBB6_657:
	s_or_b32 exec_lo, exec_lo, s33
.LBB6_658:
	s_delay_alu instid0(SALU_CYCLE_1)
	s_or_b32 exec_lo, exec_lo, s30
	s_mov_b32 s30, 0
	global_store_b8 v[0:1], v4, off
.LBB6_659:
	s_and_b32 vcc_lo, exec_lo, s30
	s_cbranch_vccz .LBB6_669
; %bb.660:
	s_wait_xcnt 0x0
	v_cndmask_b32_e64 v3, 0, 1.0, s25
	s_mov_b32 s30, exec_lo
                                        ; implicit-def: $vgpr2
	s_delay_alu instid0(VALU_DEP_1)
	v_cmpx_gt_u32_e32 0x43f00000, v3
	s_xor_b32 s30, exec_lo, s30
	s_cbranch_execz .LBB6_666
; %bb.661:
	s_mov_b32 s31, exec_lo
                                        ; implicit-def: $vgpr2
	v_cmpx_lt_u32_e32 0x3c7fffff, v3
	s_xor_b32 s31, exec_lo, s31
; %bb.662:
	v_bfe_u32 v2, v3, 20, 1
	s_delay_alu instid0(VALU_DEP_1) | instskip(NEXT) | instid1(VALU_DEP_1)
	v_add3_u32 v2, v3, v2, 0x407ffff
	v_and_b32_e32 v3, 0xff00000, v2
	v_lshrrev_b32_e32 v2, 20, v2
	s_delay_alu instid0(VALU_DEP_2) | instskip(NEXT) | instid1(VALU_DEP_2)
	v_cmp_ne_u32_e32 vcc_lo, 0x7f00000, v3
                                        ; implicit-def: $vgpr3
	v_cndmask_b32_e32 v2, 0x7e, v2, vcc_lo
; %bb.663:
	s_and_not1_saveexec_b32 s31, s31
; %bb.664:
	v_add_f32_e32 v2, 0x46800000, v3
; %bb.665:
	s_or_b32 exec_lo, exec_lo, s31
                                        ; implicit-def: $vgpr3
.LBB6_666:
	s_and_not1_saveexec_b32 s30, s30
; %bb.667:
	v_mov_b32_e32 v2, 0x7f
	v_cmp_lt_u32_e32 vcc_lo, 0x7f800000, v3
	s_delay_alu instid0(VALU_DEP_2)
	v_cndmask_b32_e32 v2, 0x7e, v2, vcc_lo
; %bb.668:
	s_or_b32 exec_lo, exec_lo, s30
	global_store_b8 v[0:1], v2, off
.LBB6_669:
	s_mov_b32 s30, 0
.LBB6_670:
	s_delay_alu instid0(SALU_CYCLE_1)
	s_and_not1_b32 vcc_lo, exec_lo, s30
	s_cbranch_vccnz .LBB6_680
; %bb.671:
	s_wait_xcnt 0x0
	v_cndmask_b32_e64 v3, 0, 1.0, s25
	s_mov_b32 s30, exec_lo
                                        ; implicit-def: $vgpr2
	s_delay_alu instid0(VALU_DEP_1)
	v_cmpx_gt_u32_e32 0x47800000, v3
	s_xor_b32 s30, exec_lo, s30
	s_cbranch_execz .LBB6_677
; %bb.672:
	s_mov_b32 s31, exec_lo
                                        ; implicit-def: $vgpr2
	v_cmpx_lt_u32_e32 0x387fffff, v3
	s_xor_b32 s31, exec_lo, s31
; %bb.673:
	v_bfe_u32 v2, v3, 21, 1
	s_delay_alu instid0(VALU_DEP_1) | instskip(NEXT) | instid1(VALU_DEP_1)
	v_add3_u32 v2, v3, v2, 0x80fffff
                                        ; implicit-def: $vgpr3
	v_lshrrev_b32_e32 v2, 21, v2
; %bb.674:
	s_and_not1_saveexec_b32 s31, s31
; %bb.675:
	v_add_f32_e32 v2, 0x43000000, v3
; %bb.676:
	s_or_b32 exec_lo, exec_lo, s31
                                        ; implicit-def: $vgpr3
.LBB6_677:
	s_and_not1_saveexec_b32 s30, s30
; %bb.678:
	v_mov_b32_e32 v2, 0x7f
	v_cmp_lt_u32_e32 vcc_lo, 0x7f800000, v3
	s_delay_alu instid0(VALU_DEP_2)
	v_cndmask_b32_e32 v2, 0x7c, v2, vcc_lo
; %bb.679:
	s_or_b32 exec_lo, exec_lo, s30
	global_store_b8 v[0:1], v2, off
.LBB6_680:
	s_mov_b32 s31, 0
	s_mov_b32 s30, -1
.LBB6_681:
	s_and_not1_b32 vcc_lo, exec_lo, s31
	s_cbranch_vccnz .LBB6_689
; %bb.682:
	s_cmp_gt_i32 s29, 14
	s_mov_b32 s31, -1
	s_cbranch_scc0 .LBB6_686
; %bb.683:
	s_cmp_eq_u32 s29, 15
	s_mov_b32 s0, -1
	s_cbranch_scc0 .LBB6_685
; %bb.684:
	s_wait_xcnt 0x0
	v_cndmask_b32_e64 v2, 0, 1.0, s25
	s_mov_b32 s30, -1
	s_mov_b32 s0, 0
	s_delay_alu instid0(VALU_DEP_1) | instskip(NEXT) | instid1(VALU_DEP_1)
	v_bfe_u32 v3, v2, 16, 1
	v_add3_u32 v2, v2, v3, 0x7fff
	global_store_d16_hi_b16 v[0:1], v2, off
.LBB6_685:
	s_mov_b32 s31, 0
.LBB6_686:
	s_delay_alu instid0(SALU_CYCLE_1)
	s_and_b32 vcc_lo, exec_lo, s31
	s_cbranch_vccz .LBB6_689
; %bb.687:
	s_cmp_eq_u32 s29, 11
	s_mov_b32 s0, -1
	s_cbranch_scc0 .LBB6_689
; %bb.688:
	s_wait_xcnt 0x0
	v_cndmask_b32_e64 v2, 0, 1, s25
	s_mov_b32 s30, -1
	s_mov_b32 s0, 0
	global_store_b8 v[0:1], v2, off
.LBB6_689:
	s_mov_b32 s29, 0
.LBB6_690:
	s_delay_alu instid0(SALU_CYCLE_1)
	s_and_b32 vcc_lo, exec_lo, s29
	s_cbranch_vccz .LBB6_729
; %bb.691:
	s_and_b32 s26, 0xffff, s26
	s_mov_b32 s29, -1
	s_cmp_lt_i32 s26, 5
	s_cbranch_scc1 .LBB6_712
; %bb.692:
	s_cmp_lt_i32 s26, 8
	s_cbranch_scc1 .LBB6_702
; %bb.693:
	;; [unrolled: 3-line block ×3, first 2 shown]
	s_cmp_gt_i32 s26, 9
	s_cbranch_scc0 .LBB6_696
; %bb.695:
	s_wait_xcnt 0x0
	v_cndmask_b32_e64 v2, 0, 1, s25
	v_mov_b32_e32 v4, 0
	s_mov_b32 s29, 0
	s_delay_alu instid0(VALU_DEP_2) | instskip(NEXT) | instid1(VALU_DEP_2)
	v_cvt_f64_u32_e32 v[2:3], v2
	v_mov_b32_e32 v5, v4
	global_store_b128 v[0:1], v[2:5], off
.LBB6_696:
	s_and_not1_b32 vcc_lo, exec_lo, s29
	s_cbranch_vccnz .LBB6_698
; %bb.697:
	s_wait_xcnt 0x0
	v_cndmask_b32_e64 v2, 0, 1.0, s25
	v_mov_b32_e32 v3, 0
	global_store_b64 v[0:1], v[2:3], off
.LBB6_698:
	s_mov_b32 s29, 0
.LBB6_699:
	s_delay_alu instid0(SALU_CYCLE_1)
	s_and_not1_b32 vcc_lo, exec_lo, s29
	s_cbranch_vccnz .LBB6_701
; %bb.700:
	s_wait_xcnt 0x0
	v_cndmask_b32_e64 v2, 0, 1.0, s25
	s_delay_alu instid0(VALU_DEP_1) | instskip(NEXT) | instid1(VALU_DEP_1)
	v_cvt_f16_f32_e32 v2, v2
	v_and_b32_e32 v2, 0xffff, v2
	global_store_b32 v[0:1], v2, off
.LBB6_701:
	s_mov_b32 s29, 0
.LBB6_702:
	s_delay_alu instid0(SALU_CYCLE_1)
	s_and_not1_b32 vcc_lo, exec_lo, s29
	s_cbranch_vccnz .LBB6_711
; %bb.703:
	s_cmp_lt_i32 s26, 6
	s_mov_b32 s29, -1
	s_cbranch_scc1 .LBB6_709
; %bb.704:
	s_cmp_gt_i32 s26, 6
	s_cbranch_scc0 .LBB6_706
; %bb.705:
	s_wait_xcnt 0x0
	v_cndmask_b32_e64 v2, 0, 1, s25
	s_mov_b32 s29, 0
	s_delay_alu instid0(VALU_DEP_1)
	v_cvt_f64_u32_e32 v[2:3], v2
	global_store_b64 v[0:1], v[2:3], off
.LBB6_706:
	s_and_not1_b32 vcc_lo, exec_lo, s29
	s_cbranch_vccnz .LBB6_708
; %bb.707:
	s_wait_xcnt 0x0
	v_cndmask_b32_e64 v2, 0, 1.0, s25
	global_store_b32 v[0:1], v2, off
.LBB6_708:
	s_mov_b32 s29, 0
.LBB6_709:
	s_delay_alu instid0(SALU_CYCLE_1)
	s_and_not1_b32 vcc_lo, exec_lo, s29
	s_cbranch_vccnz .LBB6_711
; %bb.710:
	s_wait_xcnt 0x0
	v_cndmask_b32_e64 v2, 0, 1.0, s25
	s_delay_alu instid0(VALU_DEP_1)
	v_cvt_f16_f32_e32 v2, v2
	global_store_b16 v[0:1], v2, off
.LBB6_711:
	s_mov_b32 s29, 0
.LBB6_712:
	s_delay_alu instid0(SALU_CYCLE_1)
	s_and_not1_b32 vcc_lo, exec_lo, s29
	s_cbranch_vccnz .LBB6_728
; %bb.713:
	s_cmp_lt_i32 s26, 2
	s_mov_b32 s29, -1
	s_cbranch_scc1 .LBB6_723
; %bb.714:
	s_cmp_lt_i32 s26, 3
	s_cbranch_scc1 .LBB6_720
; %bb.715:
	s_cmp_gt_i32 s26, 3
	s_cbranch_scc0 .LBB6_717
; %bb.716:
	s_mov_b32 s29, 0
	s_wait_xcnt 0x0
	v_cndmask_b32_e64 v2, 0, 1, s25
	v_mov_b32_e32 v3, s29
	global_store_b64 v[0:1], v[2:3], off
.LBB6_717:
	s_and_not1_b32 vcc_lo, exec_lo, s29
	s_cbranch_vccnz .LBB6_719
; %bb.718:
	s_wait_xcnt 0x0
	v_cndmask_b32_e64 v2, 0, 1, s25
	global_store_b32 v[0:1], v2, off
.LBB6_719:
	s_mov_b32 s29, 0
.LBB6_720:
	s_delay_alu instid0(SALU_CYCLE_1)
	s_and_not1_b32 vcc_lo, exec_lo, s29
	s_cbranch_vccnz .LBB6_722
; %bb.721:
	s_wait_xcnt 0x0
	v_cndmask_b32_e64 v2, 0, 1, s25
	global_store_b16 v[0:1], v2, off
.LBB6_722:
	s_mov_b32 s29, 0
.LBB6_723:
	s_delay_alu instid0(SALU_CYCLE_1)
	s_and_not1_b32 vcc_lo, exec_lo, s29
	s_cbranch_vccnz .LBB6_728
; %bb.724:
	s_wait_xcnt 0x0
	v_cndmask_b32_e64 v2, 0, 1, s25
	s_cmp_gt_i32 s26, 0
	s_mov_b32 s25, -1
	s_cbranch_scc0 .LBB6_726
; %bb.725:
	s_mov_b32 s25, 0
	global_store_b8 v[0:1], v2, off
.LBB6_726:
	s_and_not1_b32 vcc_lo, exec_lo, s25
	s_cbranch_vccnz .LBB6_728
; %bb.727:
	global_store_b8 v[0:1], v2, off
.LBB6_728:
	s_mov_b32 s30, -1
.LBB6_729:
	s_mov_b32 s26, 0
	s_and_not1_b32 vcc_lo, exec_lo, s30
	s_mov_b32 s30, 0
	s_cbranch_vccnz .LBB6_731
; %bb.730:
	v_add_nc_u32_e32 v6, 0x80, v6
	s_mov_b32 s30, -1
.LBB6_731:
	s_and_not1_b32 s25, s19, exec_lo
	s_and_b32 s0, s0, exec_lo
	s_and_not1_b32 s29, s20, exec_lo
	s_and_b32 s26, s26, exec_lo
	s_or_b32 s25, s25, s0
	s_or_b32 s26, s29, s26
	s_and_not1_b32 s0, s21, exec_lo
	s_and_b32 s27, s27, exec_lo
	s_and_not1_b32 s29, s22, exec_lo
	s_and_b32 s24, s24, exec_lo
	s_or_b32 s27, s0, s27
	s_or_b32 s24, s29, s24
	s_or_not1_b32 s29, s30, exec_lo
.LBB6_732:
	s_wait_xcnt 0x0
	s_or_b32 exec_lo, exec_lo, s28
	s_mov_b32 s0, 0
	s_and_saveexec_b32 s28, s29
	s_cbranch_execz .LBB6_1126
; %bb.733:
	s_mov_b32 s31, -1
	s_mov_b32 s0, s24
	s_mov_b32 s30, s27
	;; [unrolled: 1-line block ×4, first 2 shown]
	s_mov_b32 s29, exec_lo
	v_cmpx_gt_i32_e64 s18, v6
	s_cbranch_execz .LBB6_1103
; %bb.734:
	s_and_b32 s31, s15, 0xff
	s_delay_alu instid0(SALU_CYCLE_1)
	s_cmp_lt_i32 s31, 23
	s_cbranch_scc1 .LBB6_738
; %bb.735:
	s_and_b32 s33, 0xffff, s31
	s_delay_alu instid0(SALU_CYCLE_1)
	s_cmp_gt_i32 s33, 43
	s_cbranch_scc0 .LBB6_739
; %bb.736:
	s_cmp_gt_i32 s33, 45
	s_cbranch_scc0 .LBB6_740
; %bb.737:
	s_cmp_eq_u32 s33, 46
	s_mov_b32 s34, 0
	s_cselect_b32 s0, -1, 0
	s_or_b32 s30, s24, exec_lo
	s_branch .LBB6_741
.LBB6_738:
	s_mov_b32 s33, -1
	s_mov_b32 s0, 0
	s_mov_b32 s30, s24
	s_branch .LBB6_747
.LBB6_739:
	s_mov_b32 s34, -1
	s_mov_b32 s0, 0
	s_mov_b32 s30, s24
	s_branch .LBB6_744
.LBB6_740:
	s_mov_b32 s34, -1
	s_mov_b32 s0, 0
	s_mov_b32 s30, s24
.LBB6_741:
	s_and_not1_b32 vcc_lo, exec_lo, s34
	s_cbranch_vccnz .LBB6_743
; %bb.742:
	s_cmp_eq_u32 s33, 44
	s_cselect_b32 s0, -1, 0
	s_cmp_lg_u32 s33, 44
	s_cselect_b32 s34, -1, 0
	s_and_not1_b32 s30, s30, exec_lo
	s_and_b32 s34, s34, exec_lo
	s_delay_alu instid0(SALU_CYCLE_1)
	s_or_b32 s30, s30, s34
.LBB6_743:
	s_mov_b32 s34, 0
.LBB6_744:
	s_delay_alu instid0(SALU_CYCLE_1)
	s_and_b32 vcc_lo, exec_lo, s34
	s_cbranch_vccz .LBB6_746
; %bb.745:
	s_cmp_lt_i32 s33, 30
	s_cselect_b32 s0, -1, 0
	s_cmp_gt_i32 s33, 29
	s_cselect_b32 s33, -1, 0
	s_and_not1_b32 s30, s30, exec_lo
	s_and_b32 s33, s33, exec_lo
	s_delay_alu instid0(SALU_CYCLE_1)
	s_or_b32 s30, s30, s33
.LBB6_746:
	s_mov_b32 s33, 0
.LBB6_747:
	s_delay_alu instid0(SALU_CYCLE_1)
	s_and_b32 vcc_lo, exec_lo, s33
	s_cbranch_vccz .LBB6_752
; %bb.748:
	s_and_b32 s31, 0xffff, s31
	s_mov_b32 s33, -1
	s_cmp_gt_i32 s31, 14
	s_cbranch_scc0 .LBB6_750
; %bb.749:
	s_cmp_eq_u32 s31, 15
	s_cselect_b32 s0, -1, 0
	s_cmp_lg_u32 s31, 15
	s_cselect_b32 s33, -1, 0
	s_and_not1_b32 s30, s30, exec_lo
	s_and_b32 s34, s33, exec_lo
	s_mov_b32 s33, 0
	s_or_b32 s30, s30, s34
.LBB6_750:
	s_and_not1_b32 vcc_lo, exec_lo, s33
	s_cbranch_vccnz .LBB6_752
; %bb.751:
	s_cmp_lt_i32 s31, 12
	s_cselect_b32 s0, -1, 0
	s_cmp_gt_i32 s31, 11
	s_cselect_b32 s31, -1, 0
	s_and_not1_b32 s30, s30, exec_lo
	s_and_b32 s31, s31, exec_lo
	s_delay_alu instid0(SALU_CYCLE_1)
	s_or_b32 s30, s30, s31
.LBB6_752:
	s_and_b32 vcc_lo, exec_lo, s0
	s_cbranch_vccz .LBB6_760
; %bb.753:
	v_mul_lo_u32 v0, v6, s4
	s_and_b32 s0, s12, 0xff
	s_delay_alu instid0(SALU_CYCLE_1) | instskip(NEXT) | instid1(VALU_DEP_1)
	s_cmp_lt_i32 s0, 11
	v_ashrrev_i32_e32 v1, 31, v0
	s_delay_alu instid0(VALU_DEP_1)
	v_add_nc_u64_e32 v[0:1], s[8:9], v[0:1]
	s_cbranch_scc1 .LBB6_761
; %bb.754:
	s_and_b32 s30, 0xffff, s0
	s_delay_alu instid0(SALU_CYCLE_1)
	s_cmp_gt_i32 s30, 25
	s_cbranch_scc0 .LBB6_762
; %bb.755:
	s_cmp_gt_i32 s30, 28
	s_cbranch_scc0 .LBB6_763
; %bb.756:
	;; [unrolled: 3-line block ×4, first 2 shown]
	s_cmp_eq_u32 s30, 46
	s_mov_b32 s35, 0
	s_cbranch_scc0 .LBB6_766
; %bb.759:
	global_load_b32 v2, v[0:1], off
	s_mov_b32 s31, 0
	s_mov_b32 s34, -1
	s_wait_loadcnt 0x0
	v_and_b32_e32 v2, 0x7fff7fff, v2
	s_delay_alu instid0(VALU_DEP_1)
	v_cmp_ne_u32_e64 s33, 0, v2
	s_branch .LBB6_768
.LBB6_760:
	s_mov_b32 s36, 0
	s_mov_b32 s0, s25
	;; [unrolled: 1-line block ×4, first 2 shown]
                                        ; implicit-def: $vgpr6
	s_branch .LBB6_1102
.LBB6_761:
	s_mov_b32 s30, -1
	s_mov_b32 s34, 0
	s_mov_b32 s31, s27
                                        ; implicit-def: $sgpr33
	s_branch .LBB6_815
.LBB6_762:
	s_mov_b32 s35, -1
	s_mov_b32 s34, 0
	s_mov_b32 s31, s27
                                        ; implicit-def: $sgpr33
	s_branch .LBB6_789
.LBB6_763:
	s_mov_b32 s35, -1
	s_mov_b32 s34, 0
	s_mov_b32 s31, s27
                                        ; implicit-def: $sgpr33
	s_branch .LBB6_776
.LBB6_764:
	s_mov_b32 s35, -1
	s_mov_b32 s34, 0
	s_mov_b32 s31, s27
                                        ; implicit-def: $sgpr33
	s_branch .LBB6_771
.LBB6_765:
	s_mov_b32 s35, -1
	s_mov_b32 s34, 0
	s_mov_b32 s31, s27
	s_branch .LBB6_767
.LBB6_766:
	s_mov_b32 s31, -1
	s_mov_b32 s34, 0
.LBB6_767:
                                        ; implicit-def: $sgpr33
.LBB6_768:
	s_and_b32 vcc_lo, exec_lo, s35
	s_cbranch_vccz .LBB6_770
; %bb.769:
	s_cmp_eq_u32 s30, 44
	s_cselect_b32 s34, -1, 0
	s_or_b32 s33, s33, exec_lo
	s_or_b32 s31, s31, exec_lo
.LBB6_770:
	s_mov_b32 s35, 0
.LBB6_771:
	s_delay_alu instid0(SALU_CYCLE_1)
	s_and_b32 vcc_lo, exec_lo, s35
	s_cbranch_vccz .LBB6_775
; %bb.772:
	s_cmp_eq_u32 s30, 29
	s_cbranch_scc0 .LBB6_774
; %bb.773:
	global_load_b64 v[2:3], v[0:1], off
	s_mov_b32 s34, -1
	s_mov_b32 s31, 0
	s_mov_b32 s35, 0
	s_wait_loadcnt 0x0
	v_cmp_ne_u64_e64 s33, 0, v[2:3]
	s_branch .LBB6_776
.LBB6_774:
	s_mov_b32 s31, -1
                                        ; implicit-def: $sgpr33
.LBB6_775:
	s_mov_b32 s35, 0
.LBB6_776:
	s_delay_alu instid0(SALU_CYCLE_1)
	s_and_b32 vcc_lo, exec_lo, s35
	s_cbranch_vccz .LBB6_788
; %bb.777:
	s_cmp_lt_i32 s30, 27
	s_cbranch_scc1 .LBB6_780
; %bb.778:
	s_cmp_gt_i32 s30, 27
	s_cbranch_scc0 .LBB6_781
; %bb.779:
	global_load_b32 v2, v[0:1], off
	s_mov_b32 s34, 0
	s_wait_loadcnt 0x0
	v_cmp_ne_u32_e64 s33, 0, v2
	s_branch .LBB6_782
.LBB6_780:
	s_mov_b32 s34, -1
                                        ; implicit-def: $sgpr33
	s_branch .LBB6_785
.LBB6_781:
	s_mov_b32 s34, -1
                                        ; implicit-def: $sgpr33
.LBB6_782:
	s_delay_alu instid0(SALU_CYCLE_1)
	s_and_not1_b32 vcc_lo, exec_lo, s34
	s_cbranch_vccnz .LBB6_784
; %bb.783:
	global_load_u16 v2, v[0:1], off
	s_and_not1_b32 s33, s33, exec_lo
	s_wait_loadcnt 0x0
	v_cmp_ne_u16_e32 vcc_lo, 0, v2
	s_and_b32 s34, vcc_lo, exec_lo
	s_delay_alu instid0(SALU_CYCLE_1)
	s_or_b32 s33, s33, s34
.LBB6_784:
	s_mov_b32 s34, 0
.LBB6_785:
	s_delay_alu instid0(SALU_CYCLE_1)
	s_and_not1_b32 vcc_lo, exec_lo, s34
	s_cbranch_vccnz .LBB6_787
; %bb.786:
	global_load_u8 v2, v[0:1], off
	s_and_not1_b32 s33, s33, exec_lo
	s_wait_loadcnt 0x0
	v_cmp_ne_u16_e32 vcc_lo, 0, v2
	s_and_b32 s34, vcc_lo, exec_lo
	s_delay_alu instid0(SALU_CYCLE_1)
	s_or_b32 s33, s33, s34
.LBB6_787:
	s_mov_b32 s34, -1
.LBB6_788:
	s_mov_b32 s35, 0
.LBB6_789:
	s_delay_alu instid0(SALU_CYCLE_1)
	s_and_b32 vcc_lo, exec_lo, s35
	s_cbranch_vccz .LBB6_814
; %bb.790:
	s_cmp_gt_i32 s30, 22
	s_cbranch_scc0 .LBB6_794
; %bb.791:
	s_cmp_lt_i32 s30, 24
	s_cbranch_scc1 .LBB6_795
; %bb.792:
	s_cmp_gt_i32 s30, 24
	s_cbranch_scc0 .LBB6_796
; %bb.793:
	global_load_u8 v2, v[0:1], off
	s_mov_b32 s34, 0
	s_wait_loadcnt 0x0
	v_cmp_ne_u16_e64 s33, 0, v2
	s_branch .LBB6_797
.LBB6_794:
	s_mov_b32 s35, -1
                                        ; implicit-def: $sgpr33
	s_branch .LBB6_803
.LBB6_795:
	s_mov_b32 s34, -1
                                        ; implicit-def: $sgpr33
	s_branch .LBB6_800
.LBB6_796:
	s_mov_b32 s34, -1
                                        ; implicit-def: $sgpr33
.LBB6_797:
	s_delay_alu instid0(SALU_CYCLE_1)
	s_and_not1_b32 vcc_lo, exec_lo, s34
	s_cbranch_vccnz .LBB6_799
; %bb.798:
	global_load_u8 v2, v[0:1], off
	s_and_not1_b32 s33, s33, exec_lo
	s_wait_loadcnt 0x0
	v_and_b32_e32 v2, 0x7f, v2
	s_delay_alu instid0(VALU_DEP_1) | instskip(SKIP_1) | instid1(SALU_CYCLE_1)
	v_cmp_ne_u16_e32 vcc_lo, 0, v2
	s_and_b32 s34, vcc_lo, exec_lo
	s_or_b32 s33, s33, s34
.LBB6_799:
	s_mov_b32 s34, 0
.LBB6_800:
	s_delay_alu instid0(SALU_CYCLE_1)
	s_and_not1_b32 vcc_lo, exec_lo, s34
	s_cbranch_vccnz .LBB6_802
; %bb.801:
	global_load_u8 v2, v[0:1], off
	s_and_not1_b32 s33, s33, exec_lo
	s_wait_loadcnt 0x0
	v_dual_lshlrev_b32 v3, 25, v2 :: v_dual_lshlrev_b32 v2, 8, v2
	s_delay_alu instid0(VALU_DEP_1) | instskip(NEXT) | instid1(VALU_DEP_2)
	v_cmp_gt_u32_e32 vcc_lo, 0x8000000, v3
	v_and_or_b32 v2, 0x7f00, v2, 0.5
	s_delay_alu instid0(VALU_DEP_1) | instskip(NEXT) | instid1(VALU_DEP_1)
	v_dual_lshrrev_b32 v4, 4, v3 :: v_dual_add_f32 v2, -0.5, v2
	v_or_b32_e32 v4, 0x70000000, v4
	s_delay_alu instid0(VALU_DEP_1) | instskip(NEXT) | instid1(VALU_DEP_1)
	v_mul_f32_e32 v4, 0x7800000, v4
	v_cndmask_b32_e32 v2, v4, v2, vcc_lo
	s_delay_alu instid0(VALU_DEP_1) | instskip(SKIP_1) | instid1(SALU_CYCLE_1)
	v_cmp_neq_f32_e32 vcc_lo, 0, v2
	s_and_b32 s34, vcc_lo, exec_lo
	s_or_b32 s33, s33, s34
.LBB6_802:
	s_mov_b32 s35, 0
	s_mov_b32 s34, -1
.LBB6_803:
	s_and_not1_b32 vcc_lo, exec_lo, s35
	s_cbranch_vccnz .LBB6_814
; %bb.804:
	s_cmp_gt_i32 s30, 14
	s_cbranch_scc0 .LBB6_807
; %bb.805:
	s_cmp_eq_u32 s30, 15
	s_cbranch_scc0 .LBB6_808
; %bb.806:
	global_load_u16 v2, v[0:1], off
	s_mov_b32 s31, 0
	s_mov_b32 s34, -1
	s_wait_loadcnt 0x0
	v_and_b32_e32 v2, 0x7fff, v2
	s_delay_alu instid0(VALU_DEP_1)
	v_cmp_ne_u16_e64 s33, 0, v2
	s_branch .LBB6_809
.LBB6_807:
	s_mov_b32 s35, -1
                                        ; implicit-def: $sgpr33
	s_branch .LBB6_810
.LBB6_808:
	s_mov_b32 s31, -1
                                        ; implicit-def: $sgpr33
.LBB6_809:
	s_mov_b32 s35, 0
.LBB6_810:
	s_delay_alu instid0(SALU_CYCLE_1)
	s_and_b32 vcc_lo, exec_lo, s35
	s_cbranch_vccz .LBB6_814
; %bb.811:
	s_cmp_eq_u32 s30, 11
	s_cbranch_scc0 .LBB6_813
; %bb.812:
	global_load_u8 v2, v[0:1], off
	s_mov_b32 s31, 0
	s_mov_b32 s34, -1
	s_wait_loadcnt 0x0
	v_cmp_ne_u16_e64 s33, 0, v2
	s_branch .LBB6_814
.LBB6_813:
	s_mov_b32 s31, -1
                                        ; implicit-def: $sgpr33
.LBB6_814:
	s_mov_b32 s30, 0
.LBB6_815:
	s_delay_alu instid0(SALU_CYCLE_1)
	s_and_b32 vcc_lo, exec_lo, s30
	s_cbranch_vccz .LBB6_864
; %bb.816:
	s_and_b32 s30, 0xffff, s0
	s_delay_alu instid0(SALU_CYCLE_1)
	s_cmp_lt_i32 s30, 5
	s_cbranch_scc1 .LBB6_821
; %bb.817:
	s_cmp_lt_i32 s30, 8
	s_cbranch_scc1 .LBB6_822
; %bb.818:
	;; [unrolled: 3-line block ×3, first 2 shown]
	s_cmp_gt_i32 s30, 9
	s_cbranch_scc0 .LBB6_824
; %bb.820:
	global_load_b128 v[2:5], v[0:1], off
	s_wait_loadcnt 0x0
	v_cmp_neq_f64_e32 vcc_lo, 0, v[2:3]
	v_cmp_neq_f64_e64 s0, 0, v[4:5]
	s_or_b32 s33, vcc_lo, s0
	s_mov_b32 s0, 0
	s_branch .LBB6_825
.LBB6_821:
	s_mov_b32 s0, -1
                                        ; implicit-def: $sgpr33
	s_branch .LBB6_843
.LBB6_822:
	s_mov_b32 s0, -1
                                        ; implicit-def: $sgpr33
	s_branch .LBB6_831
.LBB6_823:
	s_mov_b32 s0, -1
                                        ; implicit-def: $sgpr33
	s_branch .LBB6_828
.LBB6_824:
	s_mov_b32 s0, -1
                                        ; implicit-def: $sgpr33
.LBB6_825:
	s_delay_alu instid0(SALU_CYCLE_1)
	s_and_not1_b32 vcc_lo, exec_lo, s0
	s_cbranch_vccnz .LBB6_827
; %bb.826:
	global_load_b64 v[2:3], v[0:1], off
	s_and_not1_b32 s0, s33, exec_lo
	s_wait_loadcnt 0x0
	v_bitop3_b32 v2, v2, 0x7fffffff, v3 bitop3:0xc8
	s_delay_alu instid0(VALU_DEP_1) | instskip(SKIP_1) | instid1(SALU_CYCLE_1)
	v_cmp_ne_u32_e32 vcc_lo, 0, v2
	s_and_b32 s33, vcc_lo, exec_lo
	s_or_b32 s33, s0, s33
.LBB6_827:
	s_mov_b32 s0, 0
.LBB6_828:
	s_delay_alu instid0(SALU_CYCLE_1)
	s_and_not1_b32 vcc_lo, exec_lo, s0
	s_cbranch_vccnz .LBB6_830
; %bb.829:
	global_load_b32 v2, v[0:1], off
	s_and_not1_b32 s0, s33, exec_lo
	s_wait_loadcnt 0x0
	v_and_b32_e32 v2, 0x7fff7fff, v2
	s_delay_alu instid0(VALU_DEP_1) | instskip(SKIP_1) | instid1(SALU_CYCLE_1)
	v_cmp_ne_u32_e32 vcc_lo, 0, v2
	s_and_b32 s33, vcc_lo, exec_lo
	s_or_b32 s33, s0, s33
.LBB6_830:
	s_mov_b32 s0, 0
.LBB6_831:
	s_delay_alu instid0(SALU_CYCLE_1)
	s_and_not1_b32 vcc_lo, exec_lo, s0
	s_cbranch_vccnz .LBB6_842
; %bb.832:
	s_cmp_lt_i32 s30, 6
	s_cbranch_scc1 .LBB6_835
; %bb.833:
	s_cmp_gt_i32 s30, 6
	s_cbranch_scc0 .LBB6_836
; %bb.834:
	global_load_b64 v[2:3], v[0:1], off
	s_mov_b32 s0, 0
	s_wait_loadcnt 0x0
	v_cmp_neq_f64_e64 s33, 0, v[2:3]
	s_branch .LBB6_837
.LBB6_835:
	s_mov_b32 s0, -1
                                        ; implicit-def: $sgpr33
	s_branch .LBB6_840
.LBB6_836:
	s_mov_b32 s0, -1
                                        ; implicit-def: $sgpr33
.LBB6_837:
	s_delay_alu instid0(SALU_CYCLE_1)
	s_and_not1_b32 vcc_lo, exec_lo, s0
	s_cbranch_vccnz .LBB6_839
; %bb.838:
	global_load_b32 v2, v[0:1], off
	s_and_not1_b32 s0, s33, exec_lo
	s_wait_loadcnt 0x0
	v_cmp_neq_f32_e32 vcc_lo, 0, v2
	s_and_b32 s33, vcc_lo, exec_lo
	s_delay_alu instid0(SALU_CYCLE_1)
	s_or_b32 s33, s0, s33
.LBB6_839:
	s_mov_b32 s0, 0
.LBB6_840:
	s_delay_alu instid0(SALU_CYCLE_1)
	s_and_not1_b32 vcc_lo, exec_lo, s0
	s_cbranch_vccnz .LBB6_842
; %bb.841:
	global_load_u16 v2, v[0:1], off
	s_and_not1_b32 s0, s33, exec_lo
	s_wait_loadcnt 0x0
	v_and_b32_e32 v2, 0x7fff, v2
	s_delay_alu instid0(VALU_DEP_1) | instskip(SKIP_1) | instid1(SALU_CYCLE_1)
	v_cmp_ne_u16_e32 vcc_lo, 0, v2
	s_and_b32 s33, vcc_lo, exec_lo
	s_or_b32 s33, s0, s33
.LBB6_842:
	s_mov_b32 s0, 0
.LBB6_843:
	s_delay_alu instid0(SALU_CYCLE_1)
	s_and_not1_b32 vcc_lo, exec_lo, s0
	s_cbranch_vccnz .LBB6_863
; %bb.844:
	s_cmp_lt_i32 s30, 2
	s_cbranch_scc1 .LBB6_848
; %bb.845:
	s_cmp_lt_i32 s30, 3
	s_cbranch_scc1 .LBB6_849
; %bb.846:
	s_cmp_gt_i32 s30, 3
	s_cbranch_scc0 .LBB6_850
; %bb.847:
	global_load_b64 v[2:3], v[0:1], off
	s_mov_b32 s0, 0
	s_wait_loadcnt 0x0
	v_cmp_ne_u64_e64 s33, 0, v[2:3]
	s_branch .LBB6_851
.LBB6_848:
	s_mov_b32 s0, -1
                                        ; implicit-def: $sgpr33
	s_branch .LBB6_857
.LBB6_849:
	s_mov_b32 s0, -1
                                        ; implicit-def: $sgpr33
	s_branch .LBB6_854
.LBB6_850:
	s_mov_b32 s0, -1
                                        ; implicit-def: $sgpr33
.LBB6_851:
	s_delay_alu instid0(SALU_CYCLE_1)
	s_and_not1_b32 vcc_lo, exec_lo, s0
	s_cbranch_vccnz .LBB6_853
; %bb.852:
	global_load_b32 v2, v[0:1], off
	s_and_not1_b32 s0, s33, exec_lo
	s_wait_loadcnt 0x0
	v_cmp_ne_u32_e32 vcc_lo, 0, v2
	s_and_b32 s33, vcc_lo, exec_lo
	s_delay_alu instid0(SALU_CYCLE_1)
	s_or_b32 s33, s0, s33
.LBB6_853:
	s_mov_b32 s0, 0
.LBB6_854:
	s_delay_alu instid0(SALU_CYCLE_1)
	s_and_not1_b32 vcc_lo, exec_lo, s0
	s_cbranch_vccnz .LBB6_856
; %bb.855:
	global_load_u16 v2, v[0:1], off
	s_and_not1_b32 s0, s33, exec_lo
	s_wait_loadcnt 0x0
	v_cmp_ne_u16_e32 vcc_lo, 0, v2
	s_and_b32 s33, vcc_lo, exec_lo
	s_delay_alu instid0(SALU_CYCLE_1)
	s_or_b32 s33, s0, s33
.LBB6_856:
	s_mov_b32 s0, 0
.LBB6_857:
	s_delay_alu instid0(SALU_CYCLE_1)
	s_and_not1_b32 vcc_lo, exec_lo, s0
	s_cbranch_vccnz .LBB6_863
; %bb.858:
	s_cmp_gt_i32 s30, 0
	s_mov_b32 s0, 0
	s_cbranch_scc0 .LBB6_860
; %bb.859:
	global_load_u8 v2, v[0:1], off
	s_wait_loadcnt 0x0
	v_cmp_ne_u16_e64 s33, 0, v2
	s_branch .LBB6_861
.LBB6_860:
	s_mov_b32 s0, -1
                                        ; implicit-def: $sgpr33
.LBB6_861:
	s_delay_alu instid0(SALU_CYCLE_1)
	s_and_not1_b32 vcc_lo, exec_lo, s0
	s_cbranch_vccnz .LBB6_863
; %bb.862:
	global_load_u8 v0, v[0:1], off
	s_and_not1_b32 s0, s33, exec_lo
	s_wait_loadcnt 0x0
	v_cmp_ne_u16_e32 vcc_lo, 0, v0
	s_and_b32 s30, vcc_lo, exec_lo
	s_delay_alu instid0(SALU_CYCLE_1)
	s_or_b32 s33, s0, s30
.LBB6_863:
	s_mov_b32 s34, -1
.LBB6_864:
	s_mov_b32 s30, 0
	s_mov_b32 s0, s25
	s_and_not1_b32 vcc_lo, exec_lo, s34
	s_mov_b32 s34, s26
	s_mov_b32 s36, 0
	s_cbranch_vccnz .LBB6_1102
; %bb.865:
	s_wait_xcnt 0x0
	v_mul_lo_u32 v0, v6, s5
	s_and_b32 s0, s7, 0xff
	s_delay_alu instid0(SALU_CYCLE_1) | instskip(NEXT) | instid1(VALU_DEP_1)
	s_cmp_lt_i32 s0, 11
	v_ashrrev_i32_e32 v1, 31, v0
	s_delay_alu instid0(VALU_DEP_1)
	v_add_nc_u64_e32 v[0:1], s[10:11], v[0:1]
	s_cbranch_scc1 .LBB6_872
; %bb.866:
	s_and_b32 s31, 0xffff, s0
	s_delay_alu instid0(SALU_CYCLE_1)
	s_cmp_gt_i32 s31, 25
	s_cbranch_scc0 .LBB6_873
; %bb.867:
	s_cmp_gt_i32 s31, 28
	s_cbranch_scc0 .LBB6_874
; %bb.868:
	;; [unrolled: 3-line block ×4, first 2 shown]
	s_cmp_eq_u32 s31, 46
	s_mov_b32 s37, 0
	s_cbranch_scc0 .LBB6_881
; %bb.871:
	global_load_b32 v2, v[0:1], off
	s_mov_b32 s34, 0
	s_mov_b32 s36, -1
	s_wait_loadcnt 0x0
	v_and_b32_e32 v2, 0x7fff7fff, v2
	s_delay_alu instid0(VALU_DEP_1)
	v_cmp_ne_u32_e64 s35, 0, v2
	s_branch .LBB6_883
.LBB6_872:
	s_mov_b32 s31, -1
	s_mov_b32 s34, s26
                                        ; implicit-def: $sgpr35
	s_branch .LBB6_930
.LBB6_873:
	s_mov_b32 s37, -1
	s_mov_b32 s34, s26
                                        ; implicit-def: $sgpr35
	s_branch .LBB6_904
.LBB6_874:
	s_mov_b32 s37, -1
	s_mov_b32 s34, s26
                                        ; implicit-def: $sgpr35
	s_branch .LBB6_891
.LBB6_875:
	s_mov_b32 s37, -1
	s_mov_b32 s34, s26
                                        ; implicit-def: $sgpr35
	s_branch .LBB6_886
.LBB6_876:
	s_mov_b32 s37, -1
	s_mov_b32 s34, s26
	s_branch .LBB6_882
.LBB6_877:
	v_bfe_u32 v2, v3, 21, 1
	s_mov_b32 s27, exec_lo
	s_delay_alu instid0(VALU_DEP_1) | instskip(NEXT) | instid1(VALU_DEP_1)
	v_add3_u32 v2, v3, v2, 0x88fffff
                                        ; implicit-def: $vgpr3
	v_lshrrev_b32_e32 v2, 21, v2
	s_and_not1_saveexec_b32 s28, s28
	s_cbranch_execz .LBB6_287
.LBB6_878:
	v_add_f32_e32 v2, 0x42800000, v3
	s_and_not1_b32 s27, s27, exec_lo
	s_delay_alu instid0(VALU_DEP_1) | instskip(NEXT) | instid1(VALU_DEP_1)
	v_and_b32_e32 v2, 0xff, v2
	v_cmp_ne_u32_e32 vcc_lo, 0, v2
	s_and_b32 s29, vcc_lo, exec_lo
	s_delay_alu instid0(SALU_CYCLE_1)
	s_or_b32 s27, s27, s29
	s_or_b32 exec_lo, exec_lo, s28
	v_mov_b32_e32 v4, 0
	s_and_saveexec_b32 s28, s27
	s_cbranch_execnz .LBB6_288
	s_branch .LBB6_289
.LBB6_879:
	v_bfe_u32 v2, v3, 20, 1
	s_mov_b32 s31, exec_lo
	s_delay_alu instid0(VALU_DEP_1) | instskip(NEXT) | instid1(VALU_DEP_1)
	v_add3_u32 v2, v3, v2, 0x487ffff
                                        ; implicit-def: $vgpr3
	v_lshrrev_b32_e32 v2, 20, v2
	s_and_not1_saveexec_b32 s33, s33
	s_cbranch_execz .LBB6_642
.LBB6_880:
	v_add_f32_e32 v2, 0x46000000, v3
	s_and_not1_b32 s31, s31, exec_lo
	s_delay_alu instid0(VALU_DEP_1) | instskip(NEXT) | instid1(VALU_DEP_1)
	v_and_b32_e32 v2, 0xff, v2
	v_cmp_ne_u32_e32 vcc_lo, 0, v2
	s_and_b32 s34, vcc_lo, exec_lo
	s_delay_alu instid0(SALU_CYCLE_1)
	s_or_b32 s31, s31, s34
	s_or_b32 exec_lo, exec_lo, s33
	v_mov_b32_e32 v4, 0
	s_and_saveexec_b32 s33, s31
	s_cbranch_execnz .LBB6_643
	s_branch .LBB6_644
.LBB6_881:
	s_mov_b32 s34, -1
.LBB6_882:
                                        ; implicit-def: $sgpr35
.LBB6_883:
	s_and_b32 vcc_lo, exec_lo, s37
	s_cbranch_vccz .LBB6_885
; %bb.884:
	s_cmp_eq_u32 s31, 44
	s_cselect_b32 s36, -1, 0
	s_or_b32 s35, s35, exec_lo
	s_or_b32 s34, s34, exec_lo
.LBB6_885:
	s_mov_b32 s37, 0
.LBB6_886:
	s_delay_alu instid0(SALU_CYCLE_1)
	s_and_b32 vcc_lo, exec_lo, s37
	s_cbranch_vccz .LBB6_890
; %bb.887:
	s_cmp_eq_u32 s31, 29
	s_cbranch_scc0 .LBB6_889
; %bb.888:
	global_load_b64 v[2:3], v[0:1], off
	s_mov_b32 s36, -1
	s_mov_b32 s34, 0
	s_mov_b32 s37, 0
	s_wait_loadcnt 0x0
	v_cmp_ne_u64_e64 s35, 0, v[2:3]
	s_branch .LBB6_891
.LBB6_889:
	s_mov_b32 s34, -1
                                        ; implicit-def: $sgpr35
.LBB6_890:
	s_mov_b32 s37, 0
.LBB6_891:
	s_delay_alu instid0(SALU_CYCLE_1)
	s_and_b32 vcc_lo, exec_lo, s37
	s_cbranch_vccz .LBB6_903
; %bb.892:
	s_cmp_lt_i32 s31, 27
	s_cbranch_scc1 .LBB6_895
; %bb.893:
	s_cmp_gt_i32 s31, 27
	s_cbranch_scc0 .LBB6_896
; %bb.894:
	global_load_b32 v2, v[0:1], off
	s_mov_b32 s36, 0
	s_wait_loadcnt 0x0
	v_cmp_ne_u32_e64 s35, 0, v2
	s_branch .LBB6_897
.LBB6_895:
	s_mov_b32 s36, -1
                                        ; implicit-def: $sgpr35
	s_branch .LBB6_900
.LBB6_896:
	s_mov_b32 s36, -1
                                        ; implicit-def: $sgpr35
.LBB6_897:
	s_delay_alu instid0(SALU_CYCLE_1)
	s_and_not1_b32 vcc_lo, exec_lo, s36
	s_cbranch_vccnz .LBB6_899
; %bb.898:
	global_load_u16 v2, v[0:1], off
	s_and_not1_b32 s35, s35, exec_lo
	s_wait_loadcnt 0x0
	v_cmp_ne_u16_e32 vcc_lo, 0, v2
	s_and_b32 s36, vcc_lo, exec_lo
	s_delay_alu instid0(SALU_CYCLE_1)
	s_or_b32 s35, s35, s36
.LBB6_899:
	s_mov_b32 s36, 0
.LBB6_900:
	s_delay_alu instid0(SALU_CYCLE_1)
	s_and_not1_b32 vcc_lo, exec_lo, s36
	s_cbranch_vccnz .LBB6_902
; %bb.901:
	global_load_u8 v2, v[0:1], off
	s_and_not1_b32 s35, s35, exec_lo
	s_wait_loadcnt 0x0
	v_cmp_ne_u16_e32 vcc_lo, 0, v2
	s_and_b32 s36, vcc_lo, exec_lo
	s_delay_alu instid0(SALU_CYCLE_1)
	s_or_b32 s35, s35, s36
.LBB6_902:
	s_mov_b32 s36, -1
.LBB6_903:
	s_mov_b32 s37, 0
.LBB6_904:
	s_delay_alu instid0(SALU_CYCLE_1)
	s_and_b32 vcc_lo, exec_lo, s37
	s_cbranch_vccz .LBB6_929
; %bb.905:
	s_cmp_gt_i32 s31, 22
	s_cbranch_scc0 .LBB6_909
; %bb.906:
	s_cmp_lt_i32 s31, 24
	s_cbranch_scc1 .LBB6_910
; %bb.907:
	s_cmp_gt_i32 s31, 24
	s_cbranch_scc0 .LBB6_911
; %bb.908:
	global_load_u8 v2, v[0:1], off
	s_mov_b32 s36, 0
	s_wait_loadcnt 0x0
	v_cmp_ne_u16_e64 s35, 0, v2
	s_branch .LBB6_912
.LBB6_909:
	s_mov_b32 s37, -1
                                        ; implicit-def: $sgpr35
	s_branch .LBB6_918
.LBB6_910:
	s_mov_b32 s36, -1
                                        ; implicit-def: $sgpr35
	s_branch .LBB6_915
.LBB6_911:
	s_mov_b32 s36, -1
                                        ; implicit-def: $sgpr35
.LBB6_912:
	s_delay_alu instid0(SALU_CYCLE_1)
	s_and_not1_b32 vcc_lo, exec_lo, s36
	s_cbranch_vccnz .LBB6_914
; %bb.913:
	global_load_u8 v2, v[0:1], off
	s_and_not1_b32 s35, s35, exec_lo
	s_wait_loadcnt 0x0
	v_and_b32_e32 v2, 0x7f, v2
	s_delay_alu instid0(VALU_DEP_1) | instskip(SKIP_1) | instid1(SALU_CYCLE_1)
	v_cmp_ne_u16_e32 vcc_lo, 0, v2
	s_and_b32 s36, vcc_lo, exec_lo
	s_or_b32 s35, s35, s36
.LBB6_914:
	s_mov_b32 s36, 0
.LBB6_915:
	s_delay_alu instid0(SALU_CYCLE_1)
	s_and_not1_b32 vcc_lo, exec_lo, s36
	s_cbranch_vccnz .LBB6_917
; %bb.916:
	global_load_u8 v2, v[0:1], off
	s_and_not1_b32 s35, s35, exec_lo
	s_wait_loadcnt 0x0
	v_dual_lshlrev_b32 v3, 25, v2 :: v_dual_lshlrev_b32 v2, 8, v2
	s_delay_alu instid0(VALU_DEP_1) | instskip(NEXT) | instid1(VALU_DEP_2)
	v_cmp_gt_u32_e32 vcc_lo, 0x8000000, v3
	v_and_or_b32 v2, 0x7f00, v2, 0.5
	s_delay_alu instid0(VALU_DEP_1) | instskip(NEXT) | instid1(VALU_DEP_1)
	v_dual_lshrrev_b32 v4, 4, v3 :: v_dual_add_f32 v2, -0.5, v2
	v_or_b32_e32 v4, 0x70000000, v4
	s_delay_alu instid0(VALU_DEP_1) | instskip(NEXT) | instid1(VALU_DEP_1)
	v_mul_f32_e32 v4, 0x7800000, v4
	v_cndmask_b32_e32 v2, v4, v2, vcc_lo
	s_delay_alu instid0(VALU_DEP_1) | instskip(SKIP_1) | instid1(SALU_CYCLE_1)
	v_cmp_neq_f32_e32 vcc_lo, 0, v2
	s_and_b32 s36, vcc_lo, exec_lo
	s_or_b32 s35, s35, s36
.LBB6_917:
	s_mov_b32 s37, 0
	s_mov_b32 s36, -1
.LBB6_918:
	s_and_not1_b32 vcc_lo, exec_lo, s37
	s_cbranch_vccnz .LBB6_929
; %bb.919:
	s_cmp_gt_i32 s31, 14
	s_cbranch_scc0 .LBB6_922
; %bb.920:
	s_cmp_eq_u32 s31, 15
	s_cbranch_scc0 .LBB6_923
; %bb.921:
	global_load_u16 v2, v[0:1], off
	s_mov_b32 s34, 0
	s_mov_b32 s36, -1
	s_wait_loadcnt 0x0
	v_and_b32_e32 v2, 0x7fff, v2
	s_delay_alu instid0(VALU_DEP_1)
	v_cmp_ne_u16_e64 s35, 0, v2
	s_branch .LBB6_924
.LBB6_922:
	s_mov_b32 s37, -1
                                        ; implicit-def: $sgpr35
	s_branch .LBB6_925
.LBB6_923:
	s_mov_b32 s34, -1
                                        ; implicit-def: $sgpr35
.LBB6_924:
	s_mov_b32 s37, 0
.LBB6_925:
	s_delay_alu instid0(SALU_CYCLE_1)
	s_and_b32 vcc_lo, exec_lo, s37
	s_cbranch_vccz .LBB6_929
; %bb.926:
	s_cmp_eq_u32 s31, 11
	s_cbranch_scc0 .LBB6_928
; %bb.927:
	global_load_u8 v2, v[0:1], off
	s_mov_b32 s34, 0
	s_mov_b32 s36, -1
	s_wait_loadcnt 0x0
	v_cmp_ne_u16_e64 s35, 0, v2
	s_branch .LBB6_929
.LBB6_928:
	s_mov_b32 s34, -1
                                        ; implicit-def: $sgpr35
.LBB6_929:
	s_mov_b32 s31, 0
.LBB6_930:
	s_delay_alu instid0(SALU_CYCLE_1)
	s_and_b32 vcc_lo, exec_lo, s31
	s_cbranch_vccz .LBB6_979
; %bb.931:
	s_and_b32 s31, 0xffff, s0
	s_delay_alu instid0(SALU_CYCLE_1)
	s_cmp_lt_i32 s31, 5
	s_cbranch_scc1 .LBB6_936
; %bb.932:
	s_cmp_lt_i32 s31, 8
	s_cbranch_scc1 .LBB6_937
; %bb.933:
	;; [unrolled: 3-line block ×3, first 2 shown]
	s_cmp_gt_i32 s31, 9
	s_cbranch_scc0 .LBB6_939
; %bb.935:
	global_load_b128 v[2:5], v[0:1], off
	s_wait_loadcnt 0x0
	v_cmp_neq_f64_e32 vcc_lo, 0, v[2:3]
	v_cmp_neq_f64_e64 s0, 0, v[4:5]
	s_or_b32 s35, vcc_lo, s0
	s_mov_b32 s0, 0
	s_branch .LBB6_940
.LBB6_936:
	s_mov_b32 s0, -1
                                        ; implicit-def: $sgpr35
	s_branch .LBB6_958
.LBB6_937:
	s_mov_b32 s0, -1
                                        ; implicit-def: $sgpr35
	s_branch .LBB6_946
.LBB6_938:
	s_mov_b32 s0, -1
                                        ; implicit-def: $sgpr35
	s_branch .LBB6_943
.LBB6_939:
	s_mov_b32 s0, -1
                                        ; implicit-def: $sgpr35
.LBB6_940:
	s_delay_alu instid0(SALU_CYCLE_1)
	s_and_not1_b32 vcc_lo, exec_lo, s0
	s_cbranch_vccnz .LBB6_942
; %bb.941:
	global_load_b64 v[2:3], v[0:1], off
	s_and_not1_b32 s0, s35, exec_lo
	s_wait_loadcnt 0x0
	v_bitop3_b32 v2, v2, 0x7fffffff, v3 bitop3:0xc8
	s_delay_alu instid0(VALU_DEP_1) | instskip(SKIP_1) | instid1(SALU_CYCLE_1)
	v_cmp_ne_u32_e32 vcc_lo, 0, v2
	s_and_b32 s35, vcc_lo, exec_lo
	s_or_b32 s35, s0, s35
.LBB6_942:
	s_mov_b32 s0, 0
.LBB6_943:
	s_delay_alu instid0(SALU_CYCLE_1)
	s_and_not1_b32 vcc_lo, exec_lo, s0
	s_cbranch_vccnz .LBB6_945
; %bb.944:
	global_load_b32 v2, v[0:1], off
	s_and_not1_b32 s0, s35, exec_lo
	s_wait_loadcnt 0x0
	v_and_b32_e32 v2, 0x7fff7fff, v2
	s_delay_alu instid0(VALU_DEP_1) | instskip(SKIP_1) | instid1(SALU_CYCLE_1)
	v_cmp_ne_u32_e32 vcc_lo, 0, v2
	s_and_b32 s35, vcc_lo, exec_lo
	s_or_b32 s35, s0, s35
.LBB6_945:
	s_mov_b32 s0, 0
.LBB6_946:
	s_delay_alu instid0(SALU_CYCLE_1)
	s_and_not1_b32 vcc_lo, exec_lo, s0
	s_cbranch_vccnz .LBB6_957
; %bb.947:
	s_cmp_lt_i32 s31, 6
	s_cbranch_scc1 .LBB6_950
; %bb.948:
	s_cmp_gt_i32 s31, 6
	s_cbranch_scc0 .LBB6_951
; %bb.949:
	global_load_b64 v[2:3], v[0:1], off
	s_mov_b32 s0, 0
	s_wait_loadcnt 0x0
	v_cmp_neq_f64_e64 s35, 0, v[2:3]
	s_branch .LBB6_952
.LBB6_950:
	s_mov_b32 s0, -1
                                        ; implicit-def: $sgpr35
	s_branch .LBB6_955
.LBB6_951:
	s_mov_b32 s0, -1
                                        ; implicit-def: $sgpr35
.LBB6_952:
	s_delay_alu instid0(SALU_CYCLE_1)
	s_and_not1_b32 vcc_lo, exec_lo, s0
	s_cbranch_vccnz .LBB6_954
; %bb.953:
	global_load_b32 v2, v[0:1], off
	s_and_not1_b32 s0, s35, exec_lo
	s_wait_loadcnt 0x0
	v_cmp_neq_f32_e32 vcc_lo, 0, v2
	s_and_b32 s35, vcc_lo, exec_lo
	s_delay_alu instid0(SALU_CYCLE_1)
	s_or_b32 s35, s0, s35
.LBB6_954:
	s_mov_b32 s0, 0
.LBB6_955:
	s_delay_alu instid0(SALU_CYCLE_1)
	s_and_not1_b32 vcc_lo, exec_lo, s0
	s_cbranch_vccnz .LBB6_957
; %bb.956:
	global_load_u16 v2, v[0:1], off
	s_and_not1_b32 s0, s35, exec_lo
	s_wait_loadcnt 0x0
	v_and_b32_e32 v2, 0x7fff, v2
	s_delay_alu instid0(VALU_DEP_1) | instskip(SKIP_1) | instid1(SALU_CYCLE_1)
	v_cmp_ne_u16_e32 vcc_lo, 0, v2
	s_and_b32 s35, vcc_lo, exec_lo
	s_or_b32 s35, s0, s35
.LBB6_957:
	s_mov_b32 s0, 0
.LBB6_958:
	s_delay_alu instid0(SALU_CYCLE_1)
	s_and_not1_b32 vcc_lo, exec_lo, s0
	s_cbranch_vccnz .LBB6_978
; %bb.959:
	s_cmp_lt_i32 s31, 2
	s_cbranch_scc1 .LBB6_963
; %bb.960:
	s_cmp_lt_i32 s31, 3
	s_cbranch_scc1 .LBB6_964
; %bb.961:
	s_cmp_gt_i32 s31, 3
	s_cbranch_scc0 .LBB6_965
; %bb.962:
	global_load_b64 v[2:3], v[0:1], off
	s_mov_b32 s0, 0
	s_wait_loadcnt 0x0
	v_cmp_ne_u64_e64 s35, 0, v[2:3]
	s_branch .LBB6_966
.LBB6_963:
	s_mov_b32 s0, -1
                                        ; implicit-def: $sgpr35
	s_branch .LBB6_972
.LBB6_964:
	s_mov_b32 s0, -1
                                        ; implicit-def: $sgpr35
	s_branch .LBB6_969
.LBB6_965:
	s_mov_b32 s0, -1
                                        ; implicit-def: $sgpr35
.LBB6_966:
	s_delay_alu instid0(SALU_CYCLE_1)
	s_and_not1_b32 vcc_lo, exec_lo, s0
	s_cbranch_vccnz .LBB6_968
; %bb.967:
	global_load_b32 v2, v[0:1], off
	s_and_not1_b32 s0, s35, exec_lo
	s_wait_loadcnt 0x0
	v_cmp_ne_u32_e32 vcc_lo, 0, v2
	s_and_b32 s35, vcc_lo, exec_lo
	s_delay_alu instid0(SALU_CYCLE_1)
	s_or_b32 s35, s0, s35
.LBB6_968:
	s_mov_b32 s0, 0
.LBB6_969:
	s_delay_alu instid0(SALU_CYCLE_1)
	s_and_not1_b32 vcc_lo, exec_lo, s0
	s_cbranch_vccnz .LBB6_971
; %bb.970:
	global_load_u16 v2, v[0:1], off
	s_and_not1_b32 s0, s35, exec_lo
	s_wait_loadcnt 0x0
	v_cmp_ne_u16_e32 vcc_lo, 0, v2
	s_and_b32 s35, vcc_lo, exec_lo
	s_delay_alu instid0(SALU_CYCLE_1)
	s_or_b32 s35, s0, s35
.LBB6_971:
	s_mov_b32 s0, 0
.LBB6_972:
	s_delay_alu instid0(SALU_CYCLE_1)
	s_and_not1_b32 vcc_lo, exec_lo, s0
	s_cbranch_vccnz .LBB6_978
; %bb.973:
	s_cmp_gt_i32 s31, 0
	s_mov_b32 s0, 0
	s_cbranch_scc0 .LBB6_975
; %bb.974:
	global_load_u8 v2, v[0:1], off
	s_wait_loadcnt 0x0
	v_cmp_ne_u16_e64 s35, 0, v2
	s_branch .LBB6_976
.LBB6_975:
	s_mov_b32 s0, -1
                                        ; implicit-def: $sgpr35
.LBB6_976:
	s_delay_alu instid0(SALU_CYCLE_1)
	s_and_not1_b32 vcc_lo, exec_lo, s0
	s_cbranch_vccnz .LBB6_978
; %bb.977:
	global_load_u8 v0, v[0:1], off
	s_and_not1_b32 s0, s35, exec_lo
	s_wait_loadcnt 0x0
	v_cmp_ne_u16_e32 vcc_lo, 0, v0
	s_and_b32 s31, vcc_lo, exec_lo
	s_delay_alu instid0(SALU_CYCLE_1)
	s_or_b32 s35, s0, s31
.LBB6_978:
	s_mov_b32 s36, -1
.LBB6_979:
	s_mov_b32 s31, 0
	s_and_not1_b32 vcc_lo, exec_lo, s36
	s_mov_b32 s0, s25
	s_mov_b32 s36, 0
	s_cbranch_vccnz .LBB6_1102
; %bb.980:
	s_wait_xcnt 0x0
	v_mul_lo_u32 v0, v6, s14
	s_delay_alu instid0(VALU_DEP_2) | instskip(SKIP_3) | instid1(VALU_DEP_1)
	s_and_b32 s0, s33, s35
	s_and_b32 s34, s1, 0xff
	;; [unrolled: 1-line block ×3, first 2 shown]
	s_cmp_lt_i32 s34, 11
	v_ashrrev_i32_e32 v1, 31, v0
	s_delay_alu instid0(VALU_DEP_1)
	v_add_nc_u64_e32 v[0:1], s[2:3], v[0:1]
	s_cbranch_scc1 .LBB6_987
; %bb.981:
	s_and_b32 s35, 0xffff, s34
	s_delay_alu instid0(SALU_CYCLE_1)
	s_cmp_gt_i32 s35, 25
	s_cbranch_scc0 .LBB6_988
; %bb.982:
	s_cmp_gt_i32 s35, 28
	s_cbranch_scc0 .LBB6_989
; %bb.983:
	;; [unrolled: 3-line block ×4, first 2 shown]
	s_mov_b32 s37, 0
	s_mov_b32 s0, -1
	s_cmp_eq_u32 s35, 46
	s_cbranch_scc0 .LBB6_992
; %bb.986:
	v_cndmask_b32_e64 v2, 0, 1.0, s33
	s_mov_b32 s36, -1
	s_mov_b32 s0, 0
	s_delay_alu instid0(VALU_DEP_1) | instskip(NEXT) | instid1(VALU_DEP_1)
	v_bfe_u32 v3, v2, 16, 1
	v_add3_u32 v2, v2, v3, 0x7fff
	s_delay_alu instid0(VALU_DEP_1)
	v_lshrrev_b32_e32 v2, 16, v2
	global_store_b32 v[0:1], v2, off
	s_branch .LBB6_992
.LBB6_987:
	s_mov_b32 s35, -1
	s_mov_b32 s0, s25
	s_branch .LBB6_1061
.LBB6_988:
	s_mov_b32 s37, -1
	s_mov_b32 s0, s25
	s_branch .LBB6_1019
.LBB6_989:
	s_mov_b32 s37, -1
	s_mov_b32 s0, s25
	s_branch .LBB6_1002
.LBB6_990:
	s_mov_b32 s37, -1
	s_mov_b32 s0, s25
	s_branch .LBB6_998
.LBB6_991:
	s_mov_b32 s37, -1
	s_mov_b32 s0, s25
.LBB6_992:
	s_and_b32 vcc_lo, exec_lo, s37
	s_cbranch_vccz .LBB6_997
; %bb.993:
	s_cmp_eq_u32 s35, 44
	s_mov_b32 s0, -1
	s_cbranch_scc0 .LBB6_997
; %bb.994:
	v_cndmask_b32_e64 v4, 0, 1.0, s33
	s_mov_b32 s36, exec_lo
	s_wait_xcnt 0x0
	s_delay_alu instid0(VALU_DEP_1) | instskip(NEXT) | instid1(VALU_DEP_1)
	v_dual_mov_b32 v3, 0xff :: v_dual_lshrrev_b32 v2, 23, v4
	v_cmpx_ne_u32_e32 0xff, v2
; %bb.995:
	v_and_b32_e32 v3, 0x400000, v4
	v_and_or_b32 v4, 0x3fffff, v4, v2
	s_delay_alu instid0(VALU_DEP_2) | instskip(NEXT) | instid1(VALU_DEP_2)
	v_cmp_ne_u32_e32 vcc_lo, 0, v3
	v_cmp_ne_u32_e64 s0, 0, v4
	s_and_b32 s0, vcc_lo, s0
	s_delay_alu instid0(SALU_CYCLE_1) | instskip(NEXT) | instid1(VALU_DEP_1)
	v_cndmask_b32_e64 v3, 0, 1, s0
	v_add_nc_u32_e32 v3, v2, v3
; %bb.996:
	s_or_b32 exec_lo, exec_lo, s36
	s_mov_b32 s36, -1
	s_mov_b32 s0, 0
	global_store_b8 v[0:1], v3, off
.LBB6_997:
	s_mov_b32 s37, 0
.LBB6_998:
	s_delay_alu instid0(SALU_CYCLE_1)
	s_and_b32 vcc_lo, exec_lo, s37
	s_cbranch_vccz .LBB6_1001
; %bb.999:
	s_cmp_eq_u32 s35, 29
	s_mov_b32 s0, -1
	s_cbranch_scc0 .LBB6_1001
; %bb.1000:
	s_mov_b32 s0, 0
	s_wait_xcnt 0x0
	v_cndmask_b32_e64 v2, 0, 1, s33
	v_mov_b32_e32 v3, s0
	s_mov_b32 s36, -1
	s_mov_b32 s37, 0
	global_store_b64 v[0:1], v[2:3], off
	s_branch .LBB6_1002
.LBB6_1001:
	s_mov_b32 s37, 0
.LBB6_1002:
	s_delay_alu instid0(SALU_CYCLE_1)
	s_and_b32 vcc_lo, exec_lo, s37
	s_cbranch_vccz .LBB6_1018
; %bb.1003:
	s_cmp_lt_i32 s35, 27
	s_mov_b32 s36, -1
	s_cbranch_scc1 .LBB6_1009
; %bb.1004:
	s_cmp_gt_i32 s35, 27
	s_cbranch_scc0 .LBB6_1006
; %bb.1005:
	s_wait_xcnt 0x0
	v_cndmask_b32_e64 v2, 0, 1, s33
	s_mov_b32 s36, 0
	global_store_b32 v[0:1], v2, off
.LBB6_1006:
	s_and_not1_b32 vcc_lo, exec_lo, s36
	s_cbranch_vccnz .LBB6_1008
; %bb.1007:
	s_wait_xcnt 0x0
	v_cndmask_b32_e64 v2, 0, 1, s33
	global_store_b16 v[0:1], v2, off
.LBB6_1008:
	s_mov_b32 s36, 0
.LBB6_1009:
	s_delay_alu instid0(SALU_CYCLE_1)
	s_and_not1_b32 vcc_lo, exec_lo, s36
	s_cbranch_vccnz .LBB6_1017
; %bb.1010:
	s_wait_xcnt 0x0
	v_cndmask_b32_e64 v3, 0, 1.0, s33
	v_mov_b32_e32 v4, 0x80
	s_mov_b32 s36, exec_lo
	s_delay_alu instid0(VALU_DEP_2)
	v_cmpx_gt_u32_e32 0x43800000, v3
	s_cbranch_execz .LBB6_1016
; %bb.1011:
	s_mov_b32 s37, 0
	s_mov_b32 s38, exec_lo
                                        ; implicit-def: $vgpr2
	v_cmpx_lt_u32_e32 0x3bffffff, v3
	s_xor_b32 s38, exec_lo, s38
	s_cbranch_execnz .LBB6_1996
; %bb.1012:
	s_and_not1_saveexec_b32 s38, s38
	s_cbranch_execnz .LBB6_1997
.LBB6_1013:
	s_or_b32 exec_lo, exec_lo, s38
	v_mov_b32_e32 v4, 0
	s_and_saveexec_b32 s38, s37
.LBB6_1014:
	v_mov_b32_e32 v4, v2
.LBB6_1015:
	s_or_b32 exec_lo, exec_lo, s38
.LBB6_1016:
	s_delay_alu instid0(SALU_CYCLE_1)
	s_or_b32 exec_lo, exec_lo, s36
	global_store_b8 v[0:1], v4, off
.LBB6_1017:
	s_mov_b32 s36, -1
.LBB6_1018:
	s_mov_b32 s37, 0
.LBB6_1019:
	s_delay_alu instid0(SALU_CYCLE_1)
	s_and_b32 vcc_lo, exec_lo, s37
	s_cbranch_vccz .LBB6_1060
; %bb.1020:
	s_cmp_gt_i32 s35, 22
	s_mov_b32 s37, -1
	s_cbranch_scc0 .LBB6_1052
; %bb.1021:
	s_cmp_lt_i32 s35, 24
	s_mov_b32 s36, -1
	s_cbranch_scc1 .LBB6_1041
; %bb.1022:
	s_cmp_gt_i32 s35, 24
	s_cbranch_scc0 .LBB6_1030
; %bb.1023:
	s_wait_xcnt 0x0
	v_cndmask_b32_e64 v3, 0, 1.0, s33
	v_mov_b32_e32 v4, 0x80
	s_mov_b32 s36, exec_lo
	s_delay_alu instid0(VALU_DEP_2)
	v_cmpx_gt_u32_e32 0x47800000, v3
	s_cbranch_execz .LBB6_1029
; %bb.1024:
	s_mov_b32 s37, 0
	s_mov_b32 s38, exec_lo
                                        ; implicit-def: $vgpr2
	v_cmpx_lt_u32_e32 0x37ffffff, v3
	s_xor_b32 s38, exec_lo, s38
	s_cbranch_execnz .LBB6_1999
; %bb.1025:
	s_and_not1_saveexec_b32 s38, s38
	s_cbranch_execnz .LBB6_2000
.LBB6_1026:
	s_or_b32 exec_lo, exec_lo, s38
	v_mov_b32_e32 v4, 0
	s_and_saveexec_b32 s38, s37
.LBB6_1027:
	v_mov_b32_e32 v4, v2
.LBB6_1028:
	s_or_b32 exec_lo, exec_lo, s38
.LBB6_1029:
	s_delay_alu instid0(SALU_CYCLE_1)
	s_or_b32 exec_lo, exec_lo, s36
	s_mov_b32 s36, 0
	global_store_b8 v[0:1], v4, off
.LBB6_1030:
	s_and_b32 vcc_lo, exec_lo, s36
	s_cbranch_vccz .LBB6_1040
; %bb.1031:
	s_wait_xcnt 0x0
	v_cndmask_b32_e64 v3, 0, 1.0, s33
	s_mov_b32 s36, exec_lo
                                        ; implicit-def: $vgpr2
	s_delay_alu instid0(VALU_DEP_1)
	v_cmpx_gt_u32_e32 0x43f00000, v3
	s_xor_b32 s36, exec_lo, s36
	s_cbranch_execz .LBB6_1037
; %bb.1032:
	s_mov_b32 s37, exec_lo
                                        ; implicit-def: $vgpr2
	v_cmpx_lt_u32_e32 0x3c7fffff, v3
	s_xor_b32 s37, exec_lo, s37
; %bb.1033:
	v_bfe_u32 v2, v3, 20, 1
	s_delay_alu instid0(VALU_DEP_1) | instskip(NEXT) | instid1(VALU_DEP_1)
	v_add3_u32 v2, v3, v2, 0x407ffff
	v_and_b32_e32 v3, 0xff00000, v2
	v_lshrrev_b32_e32 v2, 20, v2
	s_delay_alu instid0(VALU_DEP_2) | instskip(NEXT) | instid1(VALU_DEP_2)
	v_cmp_ne_u32_e32 vcc_lo, 0x7f00000, v3
                                        ; implicit-def: $vgpr3
	v_cndmask_b32_e32 v2, 0x7e, v2, vcc_lo
; %bb.1034:
	s_and_not1_saveexec_b32 s37, s37
; %bb.1035:
	v_add_f32_e32 v2, 0x46800000, v3
; %bb.1036:
	s_or_b32 exec_lo, exec_lo, s37
                                        ; implicit-def: $vgpr3
.LBB6_1037:
	s_and_not1_saveexec_b32 s36, s36
; %bb.1038:
	v_mov_b32_e32 v2, 0x7f
	v_cmp_lt_u32_e32 vcc_lo, 0x7f800000, v3
	s_delay_alu instid0(VALU_DEP_2)
	v_cndmask_b32_e32 v2, 0x7e, v2, vcc_lo
; %bb.1039:
	s_or_b32 exec_lo, exec_lo, s36
	global_store_b8 v[0:1], v2, off
.LBB6_1040:
	s_mov_b32 s36, 0
.LBB6_1041:
	s_delay_alu instid0(SALU_CYCLE_1)
	s_and_not1_b32 vcc_lo, exec_lo, s36
	s_cbranch_vccnz .LBB6_1051
; %bb.1042:
	s_wait_xcnt 0x0
	v_cndmask_b32_e64 v3, 0, 1.0, s33
	s_mov_b32 s36, exec_lo
                                        ; implicit-def: $vgpr2
	s_delay_alu instid0(VALU_DEP_1)
	v_cmpx_gt_u32_e32 0x47800000, v3
	s_xor_b32 s36, exec_lo, s36
	s_cbranch_execz .LBB6_1048
; %bb.1043:
	s_mov_b32 s37, exec_lo
                                        ; implicit-def: $vgpr2
	v_cmpx_lt_u32_e32 0x387fffff, v3
	s_xor_b32 s37, exec_lo, s37
; %bb.1044:
	v_bfe_u32 v2, v3, 21, 1
	s_delay_alu instid0(VALU_DEP_1) | instskip(NEXT) | instid1(VALU_DEP_1)
	v_add3_u32 v2, v3, v2, 0x80fffff
                                        ; implicit-def: $vgpr3
	v_lshrrev_b32_e32 v2, 21, v2
; %bb.1045:
	s_and_not1_saveexec_b32 s37, s37
; %bb.1046:
	v_add_f32_e32 v2, 0x43000000, v3
; %bb.1047:
	s_or_b32 exec_lo, exec_lo, s37
                                        ; implicit-def: $vgpr3
.LBB6_1048:
	s_and_not1_saveexec_b32 s36, s36
; %bb.1049:
	v_mov_b32_e32 v2, 0x7f
	v_cmp_lt_u32_e32 vcc_lo, 0x7f800000, v3
	s_delay_alu instid0(VALU_DEP_2)
	v_cndmask_b32_e32 v2, 0x7c, v2, vcc_lo
; %bb.1050:
	s_or_b32 exec_lo, exec_lo, s36
	global_store_b8 v[0:1], v2, off
.LBB6_1051:
	s_mov_b32 s37, 0
	s_mov_b32 s36, -1
.LBB6_1052:
	s_and_not1_b32 vcc_lo, exec_lo, s37
	s_cbranch_vccnz .LBB6_1060
; %bb.1053:
	s_cmp_gt_i32 s35, 14
	s_mov_b32 s37, -1
	s_cbranch_scc0 .LBB6_1057
; %bb.1054:
	s_cmp_eq_u32 s35, 15
	s_mov_b32 s0, -1
	s_cbranch_scc0 .LBB6_1056
; %bb.1055:
	s_wait_xcnt 0x0
	v_cndmask_b32_e64 v2, 0, 1.0, s33
	s_mov_b32 s36, -1
	s_mov_b32 s0, 0
	s_delay_alu instid0(VALU_DEP_1) | instskip(NEXT) | instid1(VALU_DEP_1)
	v_bfe_u32 v3, v2, 16, 1
	v_add3_u32 v2, v2, v3, 0x7fff
	global_store_d16_hi_b16 v[0:1], v2, off
.LBB6_1056:
	s_mov_b32 s37, 0
.LBB6_1057:
	s_delay_alu instid0(SALU_CYCLE_1)
	s_and_b32 vcc_lo, exec_lo, s37
	s_cbranch_vccz .LBB6_1060
; %bb.1058:
	s_cmp_eq_u32 s35, 11
	s_mov_b32 s0, -1
	s_cbranch_scc0 .LBB6_1060
; %bb.1059:
	s_wait_xcnt 0x0
	v_cndmask_b32_e64 v2, 0, 1, s33
	s_mov_b32 s36, -1
	s_mov_b32 s0, 0
	global_store_b8 v[0:1], v2, off
.LBB6_1060:
	s_mov_b32 s35, 0
.LBB6_1061:
	s_delay_alu instid0(SALU_CYCLE_1)
	s_and_b32 vcc_lo, exec_lo, s35
	s_cbranch_vccz .LBB6_1100
; %bb.1062:
	s_and_b32 s34, 0xffff, s34
	s_mov_b32 s35, -1
	s_cmp_lt_i32 s34, 5
	s_cbranch_scc1 .LBB6_1083
; %bb.1063:
	s_cmp_lt_i32 s34, 8
	s_cbranch_scc1 .LBB6_1073
; %bb.1064:
	;; [unrolled: 3-line block ×3, first 2 shown]
	s_cmp_gt_i32 s34, 9
	s_cbranch_scc0 .LBB6_1067
; %bb.1066:
	s_wait_xcnt 0x0
	v_cndmask_b32_e64 v2, 0, 1, s33
	v_mov_b32_e32 v4, 0
	s_mov_b32 s35, 0
	s_delay_alu instid0(VALU_DEP_2) | instskip(NEXT) | instid1(VALU_DEP_2)
	v_cvt_f64_u32_e32 v[2:3], v2
	v_mov_b32_e32 v5, v4
	global_store_b128 v[0:1], v[2:5], off
.LBB6_1067:
	s_and_not1_b32 vcc_lo, exec_lo, s35
	s_cbranch_vccnz .LBB6_1069
; %bb.1068:
	s_wait_xcnt 0x0
	v_cndmask_b32_e64 v2, 0, 1.0, s33
	v_mov_b32_e32 v3, 0
	global_store_b64 v[0:1], v[2:3], off
.LBB6_1069:
	s_mov_b32 s35, 0
.LBB6_1070:
	s_delay_alu instid0(SALU_CYCLE_1)
	s_and_not1_b32 vcc_lo, exec_lo, s35
	s_cbranch_vccnz .LBB6_1072
; %bb.1071:
	s_wait_xcnt 0x0
	v_cndmask_b32_e64 v2, 0, 1.0, s33
	s_delay_alu instid0(VALU_DEP_1) | instskip(NEXT) | instid1(VALU_DEP_1)
	v_cvt_f16_f32_e32 v2, v2
	v_and_b32_e32 v2, 0xffff, v2
	global_store_b32 v[0:1], v2, off
.LBB6_1072:
	s_mov_b32 s35, 0
.LBB6_1073:
	s_delay_alu instid0(SALU_CYCLE_1)
	s_and_not1_b32 vcc_lo, exec_lo, s35
	s_cbranch_vccnz .LBB6_1082
; %bb.1074:
	s_cmp_lt_i32 s34, 6
	s_mov_b32 s35, -1
	s_cbranch_scc1 .LBB6_1080
; %bb.1075:
	s_cmp_gt_i32 s34, 6
	s_cbranch_scc0 .LBB6_1077
; %bb.1076:
	s_wait_xcnt 0x0
	v_cndmask_b32_e64 v2, 0, 1, s33
	s_mov_b32 s35, 0
	s_delay_alu instid0(VALU_DEP_1)
	v_cvt_f64_u32_e32 v[2:3], v2
	global_store_b64 v[0:1], v[2:3], off
.LBB6_1077:
	s_and_not1_b32 vcc_lo, exec_lo, s35
	s_cbranch_vccnz .LBB6_1079
; %bb.1078:
	s_wait_xcnt 0x0
	v_cndmask_b32_e64 v2, 0, 1.0, s33
	global_store_b32 v[0:1], v2, off
.LBB6_1079:
	s_mov_b32 s35, 0
.LBB6_1080:
	s_delay_alu instid0(SALU_CYCLE_1)
	s_and_not1_b32 vcc_lo, exec_lo, s35
	s_cbranch_vccnz .LBB6_1082
; %bb.1081:
	s_wait_xcnt 0x0
	v_cndmask_b32_e64 v2, 0, 1.0, s33
	s_delay_alu instid0(VALU_DEP_1)
	v_cvt_f16_f32_e32 v2, v2
	global_store_b16 v[0:1], v2, off
.LBB6_1082:
	s_mov_b32 s35, 0
.LBB6_1083:
	s_delay_alu instid0(SALU_CYCLE_1)
	s_and_not1_b32 vcc_lo, exec_lo, s35
	s_cbranch_vccnz .LBB6_1099
; %bb.1084:
	s_cmp_lt_i32 s34, 2
	s_mov_b32 s35, -1
	s_cbranch_scc1 .LBB6_1094
; %bb.1085:
	s_cmp_lt_i32 s34, 3
	s_cbranch_scc1 .LBB6_1091
; %bb.1086:
	s_cmp_gt_i32 s34, 3
	s_cbranch_scc0 .LBB6_1088
; %bb.1087:
	s_mov_b32 s35, 0
	s_wait_xcnt 0x0
	v_cndmask_b32_e64 v2, 0, 1, s33
	v_mov_b32_e32 v3, s35
	global_store_b64 v[0:1], v[2:3], off
.LBB6_1088:
	s_and_not1_b32 vcc_lo, exec_lo, s35
	s_cbranch_vccnz .LBB6_1090
; %bb.1089:
	s_wait_xcnt 0x0
	v_cndmask_b32_e64 v2, 0, 1, s33
	global_store_b32 v[0:1], v2, off
.LBB6_1090:
	s_mov_b32 s35, 0
.LBB6_1091:
	s_delay_alu instid0(SALU_CYCLE_1)
	s_and_not1_b32 vcc_lo, exec_lo, s35
	s_cbranch_vccnz .LBB6_1093
; %bb.1092:
	s_wait_xcnt 0x0
	v_cndmask_b32_e64 v2, 0, 1, s33
	global_store_b16 v[0:1], v2, off
.LBB6_1093:
	s_mov_b32 s35, 0
.LBB6_1094:
	s_delay_alu instid0(SALU_CYCLE_1)
	s_and_not1_b32 vcc_lo, exec_lo, s35
	s_cbranch_vccnz .LBB6_1099
; %bb.1095:
	s_wait_xcnt 0x0
	v_cndmask_b32_e64 v2, 0, 1, s33
	s_cmp_gt_i32 s34, 0
	s_mov_b32 s33, -1
	s_cbranch_scc0 .LBB6_1097
; %bb.1096:
	s_mov_b32 s33, 0
	global_store_b8 v[0:1], v2, off
.LBB6_1097:
	s_and_not1_b32 vcc_lo, exec_lo, s33
	s_cbranch_vccnz .LBB6_1099
; %bb.1098:
	global_store_b8 v[0:1], v2, off
.LBB6_1099:
	s_mov_b32 s36, -1
.LBB6_1100:
	s_mov_b32 s34, 0
	s_and_not1_b32 vcc_lo, exec_lo, s36
	s_mov_b32 s36, 0
	s_cbranch_vccnz .LBB6_1102
; %bb.1101:
	v_add_nc_u32_e32 v6, 0x80, v6
	s_mov_b32 s36, -1
.LBB6_1102:
	s_and_not1_b32 s33, s25, exec_lo
	s_and_b32 s0, s0, exec_lo
	s_and_not1_b32 s35, s26, exec_lo
	s_and_b32 s37, s34, exec_lo
	s_or_b32 s34, s33, s0
	s_or_b32 s33, s35, s37
	s_and_not1_b32 s0, s27, exec_lo
	s_and_b32 s31, s31, exec_lo
	s_and_not1_b32 s35, s24, exec_lo
	s_and_b32 s37, s30, exec_lo
	s_or_b32 s30, s0, s31
	s_or_b32 s0, s35, s37
	s_or_not1_b32 s31, s36, exec_lo
.LBB6_1103:
	s_wait_xcnt 0x0
	s_or_b32 exec_lo, exec_lo, s29
	s_mov_b32 s35, 0
	s_and_saveexec_b32 s29, s31
	s_cbranch_execz .LBB6_1125
; %bb.1104:
	v_cmp_gt_i32_e32 vcc_lo, s18, v6
	s_mov_b32 s31, 0
	s_mov_b32 s35, s0
	s_and_saveexec_b32 s18, vcc_lo
	s_cbranch_execz .LBB6_1124
; %bb.1105:
	s_and_b32 s36, s15, 0xff
	s_delay_alu instid0(SALU_CYCLE_1)
	s_cmp_lt_i32 s36, 23
	s_cbranch_scc1 .LBB6_1109
; %bb.1106:
	s_and_b32 s37, 0xffff, s36
	s_delay_alu instid0(SALU_CYCLE_1)
	s_cmp_gt_i32 s37, 43
	s_cbranch_scc0 .LBB6_1110
; %bb.1107:
	s_cmp_gt_i32 s37, 45
	s_cbranch_scc0 .LBB6_1111
; %bb.1108:
	s_cmp_lg_u32 s37, 46
	s_mov_b32 s38, 0
	s_cselect_b32 s31, -1, 0
	s_and_not1_b32 s35, s0, exec_lo
	s_and_b32 s39, s31, exec_lo
	s_mov_b32 s31, -1
	s_or_b32 s35, s35, s39
	s_branch .LBB6_1112
.LBB6_1109:
	s_mov_b32 s37, -1
	s_mov_b32 s35, s0
	s_branch .LBB6_1118
.LBB6_1110:
	s_mov_b32 s38, -1
	s_mov_b32 s35, s0
	s_branch .LBB6_1115
.LBB6_1111:
	s_mov_b32 s38, -1
	s_mov_b32 s35, s0
.LBB6_1112:
	s_and_not1_b32 vcc_lo, exec_lo, s38
	s_cbranch_vccnz .LBB6_1114
; %bb.1113:
	s_cmp_eq_u32 s37, 44
	s_cselect_b32 s31, -1, 0
	s_cmp_lg_u32 s37, 44
	s_cselect_b32 s38, -1, 0
	s_and_not1_b32 s35, s35, exec_lo
	s_and_b32 s38, s38, exec_lo
	s_delay_alu instid0(SALU_CYCLE_1)
	s_or_b32 s35, s35, s38
.LBB6_1114:
	s_mov_b32 s38, 0
.LBB6_1115:
	s_delay_alu instid0(SALU_CYCLE_1)
	s_and_b32 vcc_lo, exec_lo, s38
	s_cbranch_vccz .LBB6_1117
; %bb.1116:
	s_cmp_lt_i32 s37, 30
	s_cselect_b32 s31, -1, 0
	s_cmp_gt_i32 s37, 29
	s_cselect_b32 s37, -1, 0
	s_and_not1_b32 s35, s35, exec_lo
	s_and_b32 s37, s37, exec_lo
	s_delay_alu instid0(SALU_CYCLE_1)
	s_or_b32 s35, s35, s37
.LBB6_1117:
	s_mov_b32 s37, 0
.LBB6_1118:
	s_delay_alu instid0(SALU_CYCLE_1)
	s_and_b32 vcc_lo, exec_lo, s37
	s_cbranch_vccz .LBB6_1123
; %bb.1119:
	s_and_b32 s36, 0xffff, s36
	s_mov_b32 s37, -1
	s_cmp_gt_i32 s36, 14
	s_cbranch_scc0 .LBB6_1121
; %bb.1120:
	s_cmp_eq_u32 s36, 15
	s_cselect_b32 s31, -1, 0
	s_cmp_lg_u32 s36, 15
	s_cselect_b32 s37, -1, 0
	s_and_not1_b32 s35, s35, exec_lo
	s_and_b32 s38, s37, exec_lo
	s_mov_b32 s37, 0
	s_or_b32 s35, s35, s38
.LBB6_1121:
	s_and_not1_b32 vcc_lo, exec_lo, s37
	s_cbranch_vccnz .LBB6_1123
; %bb.1122:
	s_cmp_lt_i32 s36, 12
	s_cselect_b32 s31, -1, 0
	s_cmp_gt_i32 s36, 11
	s_cselect_b32 s36, -1, 0
	s_and_not1_b32 s35, s35, exec_lo
	s_and_b32 s36, s36, exec_lo
	s_delay_alu instid0(SALU_CYCLE_1)
	s_or_b32 s35, s35, s36
.LBB6_1123:
	s_and_not1_b32 s36, s0, exec_lo
	s_and_b32 s35, s35, exec_lo
	s_and_b32 s31, s31, exec_lo
	s_or_b32 s35, s36, s35
.LBB6_1124:
	s_or_b32 exec_lo, exec_lo, s18
	s_delay_alu instid0(SALU_CYCLE_1)
	s_and_not1_b32 s0, s0, exec_lo
	s_and_b32 s18, s35, exec_lo
	s_and_b32 s35, s31, exec_lo
	s_or_b32 s0, s0, s18
.LBB6_1125:
	s_or_b32 exec_lo, exec_lo, s29
	s_delay_alu instid0(SALU_CYCLE_1)
	s_and_not1_b32 s18, s25, exec_lo
	s_and_b32 s25, s34, exec_lo
	s_and_not1_b32 s27, s27, exec_lo
	s_or_b32 s25, s18, s25
	s_and_not1_b32 s18, s26, exec_lo
	s_and_b32 s26, s33, exec_lo
	s_and_b32 s29, s30, exec_lo
	s_or_b32 s26, s18, s26
	s_and_not1_b32 s18, s24, exec_lo
	s_and_b32 s24, s0, exec_lo
	s_or_b32 s27, s27, s29
	s_and_b32 s0, s35, exec_lo
	s_or_b32 s24, s18, s24
.LBB6_1126:
	s_or_b32 exec_lo, exec_lo, s28
	s_delay_alu instid0(SALU_CYCLE_1)
	s_and_not1_b32 s18, s19, exec_lo
	s_and_b32 s19, s25, exec_lo
	s_and_not1_b32 s21, s21, exec_lo
	s_or_b32 s19, s18, s19
	s_and_not1_b32 s18, s20, exec_lo
	s_and_b32 s20, s26, exec_lo
	s_and_b32 s25, s27, exec_lo
	s_or_b32 s20, s18, s20
	s_and_not1_b32 s18, s22, exec_lo
	s_and_b32 s22, s24, exec_lo
	s_or_b32 s21, s21, s25
	s_and_b32 s24, s0, exec_lo
	s_or_b32 s22, s18, s22
.LBB6_1127:
	s_or_b32 exec_lo, exec_lo, s23
	s_mov_b32 s26, 0
	s_mov_b32 s18, 0
	s_and_saveexec_b32 s0, s22
	s_cbranch_execnz .LBB6_1142
.LBB6_1128:
	s_or_b32 exec_lo, exec_lo, s0
	s_mov_b32 s27, 0
	s_mov_b32 s25, 0
                                        ; implicit-def: $sgpr22
                                        ; implicit-def: $sgpr23
                                        ; implicit-def: $vgpr0_vgpr1
	s_and_saveexec_b32 s0, s24
	s_cbranch_execnz .LBB6_1132
; %bb.1129:
	s_or_b32 exec_lo, exec_lo, s0
	s_and_saveexec_b32 s0, s21
	s_cbranch_execnz .LBB6_1192
.LBB6_1130:
	s_or_b32 exec_lo, exec_lo, s0
	s_and_saveexec_b32 s0, s26
	s_delay_alu instid0(SALU_CYCLE_1)
	s_xor_b32 s0, exec_lo, s0
	s_cbranch_execnz .LBB6_1193
.LBB6_1131:
	s_or_b32 exec_lo, exec_lo, s0
	s_and_saveexec_b32 s21, s27
	s_cbranch_execnz .LBB6_1194
	s_branch .LBB6_1239
.LBB6_1132:
	v_mul_lo_u32 v0, v6, s4
	s_and_b32 s23, s12, 0xff
	s_delay_alu instid0(SALU_CYCLE_1) | instskip(NEXT) | instid1(VALU_DEP_1)
	s_cmp_lt_i32 s23, 11
	v_ashrrev_i32_e32 v1, 31, v0
	s_delay_alu instid0(VALU_DEP_1)
	v_add_nc_u64_e32 v[0:1], s[8:9], v[0:1]
	s_cbranch_scc1 .LBB6_1139
; %bb.1133:
	s_and_b32 s25, 0xffff, s23
	s_delay_alu instid0(SALU_CYCLE_1)
	s_cmp_gt_i32 s25, 25
	s_cbranch_scc0 .LBB6_1140
; %bb.1134:
	s_cmp_gt_i32 s25, 28
	s_cbranch_scc0 .LBB6_1141
; %bb.1135:
	;; [unrolled: 3-line block ×4, first 2 shown]
	s_cmp_eq_u32 s25, 46
	s_mov_b32 s28, 0
	s_cbranch_scc0 .LBB6_1145
; %bb.1138:
	global_load_b32 v2, v[0:1], off
	s_mov_b32 s24, 0
	s_mov_b32 s27, -1
	s_wait_loadcnt 0x0
	v_and_b32_e32 v2, 0x7fff7fff, v2
	s_delay_alu instid0(VALU_DEP_1)
	v_cmp_ne_u32_e64 s22, 0, v2
	s_branch .LBB6_1147
.LBB6_1139:
	s_mov_b32 s28, -1
	s_mov_b32 s24, s21
                                        ; implicit-def: $sgpr22
	s_branch .LBB6_1191
.LBB6_1140:
	s_mov_b32 s24, s21
                                        ; implicit-def: $sgpr22
	s_cbranch_execnz .LBB6_1168
	s_branch .LBB6_1190
.LBB6_1141:
	s_mov_b32 s28, -1
	s_mov_b32 s24, s21
                                        ; implicit-def: $sgpr22
	s_branch .LBB6_1155
.LBB6_1142:
	s_mov_b32 s18, exec_lo
	s_and_not1_b32 s24, s24, exec_lo
	s_trap 2
	s_branch .LBB6_1128
.LBB6_1143:
	s_mov_b32 s28, -1
	s_mov_b32 s24, s21
                                        ; implicit-def: $sgpr22
	s_branch .LBB6_1150
.LBB6_1144:
	s_mov_b32 s28, -1
	s_mov_b32 s24, s21
	s_branch .LBB6_1146
.LBB6_1145:
	s_mov_b32 s24, -1
.LBB6_1146:
                                        ; implicit-def: $sgpr22
.LBB6_1147:
	s_and_b32 vcc_lo, exec_lo, s28
	s_cbranch_vccz .LBB6_1149
; %bb.1148:
	s_cmp_lg_u32 s25, 44
	s_mov_b32 s27, -1
	s_cselect_b32 s28, -1, 0
	s_and_not1_b32 s24, s24, exec_lo
	s_and_b32 s28, s28, exec_lo
	s_or_b32 s22, s22, exec_lo
	s_or_b32 s24, s24, s28
.LBB6_1149:
	s_mov_b32 s28, 0
.LBB6_1150:
	s_delay_alu instid0(SALU_CYCLE_1)
	s_and_b32 vcc_lo, exec_lo, s28
	s_cbranch_vccz .LBB6_1154
; %bb.1151:
	s_cmp_eq_u32 s25, 29
	s_cbranch_scc0 .LBB6_1153
; %bb.1152:
	global_load_b64 v[2:3], v[0:1], off
	s_mov_b32 s24, 0
	s_mov_b32 s27, -1
	s_mov_b32 s28, 0
	s_wait_loadcnt 0x0
	v_cmp_ne_u64_e64 s22, 0, v[2:3]
	s_branch .LBB6_1155
.LBB6_1153:
	s_mov_b32 s24, -1
                                        ; implicit-def: $sgpr22
.LBB6_1154:
	s_mov_b32 s28, 0
.LBB6_1155:
	s_delay_alu instid0(SALU_CYCLE_1)
	s_and_b32 vcc_lo, exec_lo, s28
	s_cbranch_vccz .LBB6_1167
; %bb.1156:
	s_cmp_lt_i32 s25, 27
	s_cbranch_scc1 .LBB6_1159
; %bb.1157:
	s_cmp_gt_i32 s25, 27
	s_cbranch_scc0 .LBB6_1160
; %bb.1158:
	global_load_b32 v2, v[0:1], off
	s_mov_b32 s27, 0
	s_wait_loadcnt 0x0
	v_cmp_ne_u32_e64 s22, 0, v2
	s_branch .LBB6_1161
.LBB6_1159:
	s_mov_b32 s27, -1
                                        ; implicit-def: $sgpr22
	s_branch .LBB6_1164
.LBB6_1160:
	s_mov_b32 s27, -1
                                        ; implicit-def: $sgpr22
.LBB6_1161:
	s_delay_alu instid0(SALU_CYCLE_1)
	s_and_not1_b32 vcc_lo, exec_lo, s27
	s_cbranch_vccnz .LBB6_1163
; %bb.1162:
	global_load_u16 v2, v[0:1], off
	s_and_not1_b32 s22, s22, exec_lo
	s_wait_loadcnt 0x0
	v_cmp_ne_u16_e32 vcc_lo, 0, v2
	s_and_b32 s27, vcc_lo, exec_lo
	s_delay_alu instid0(SALU_CYCLE_1)
	s_or_b32 s22, s22, s27
.LBB6_1163:
	s_mov_b32 s27, 0
.LBB6_1164:
	s_delay_alu instid0(SALU_CYCLE_1)
	s_and_not1_b32 vcc_lo, exec_lo, s27
	s_cbranch_vccnz .LBB6_1166
; %bb.1165:
	global_load_u8 v2, v[0:1], off
	s_and_not1_b32 s22, s22, exec_lo
	s_wait_loadcnt 0x0
	v_cmp_ne_u16_e32 vcc_lo, 0, v2
	s_and_b32 s27, vcc_lo, exec_lo
	s_delay_alu instid0(SALU_CYCLE_1)
	s_or_b32 s22, s22, s27
.LBB6_1166:
	s_mov_b32 s27, -1
.LBB6_1167:
	s_branch .LBB6_1190
.LBB6_1168:
	s_cmp_gt_i32 s25, 22
	s_cbranch_scc0 .LBB6_1172
; %bb.1169:
	s_cmp_lt_i32 s25, 24
	s_cbranch_scc1 .LBB6_1173
; %bb.1170:
	s_cmp_gt_i32 s25, 24
	s_cbranch_scc0 .LBB6_1174
; %bb.1171:
	global_load_u8 v2, v[0:1], off
	s_wait_loadcnt 0x0
	v_cmp_ne_u16_e64 s22, 0, v2
	s_branch .LBB6_1175
.LBB6_1172:
	s_mov_b32 s26, -1
                                        ; implicit-def: $sgpr22
	s_branch .LBB6_1181
.LBB6_1173:
	s_mov_b32 s26, -1
                                        ; implicit-def: $sgpr22
	s_branch .LBB6_1178
.LBB6_1174:
	s_mov_b32 s26, -1
                                        ; implicit-def: $sgpr22
.LBB6_1175:
	s_delay_alu instid0(SALU_CYCLE_1)
	s_and_not1_b32 vcc_lo, exec_lo, s26
	s_cbranch_vccnz .LBB6_1177
; %bb.1176:
	global_load_u8 v2, v[0:1], off
	s_and_not1_b32 s22, s22, exec_lo
	s_wait_loadcnt 0x0
	v_and_b32_e32 v2, 0x7f, v2
	s_delay_alu instid0(VALU_DEP_1) | instskip(SKIP_1) | instid1(SALU_CYCLE_1)
	v_cmp_ne_u16_e32 vcc_lo, 0, v2
	s_and_b32 s26, vcc_lo, exec_lo
	s_or_b32 s22, s22, s26
.LBB6_1177:
	s_mov_b32 s26, 0
.LBB6_1178:
	s_delay_alu instid0(SALU_CYCLE_1)
	s_and_not1_b32 vcc_lo, exec_lo, s26
	s_cbranch_vccnz .LBB6_1180
; %bb.1179:
	global_load_u8 v2, v[0:1], off
	s_and_not1_b32 s22, s22, exec_lo
	s_wait_loadcnt 0x0
	v_dual_lshlrev_b32 v3, 25, v2 :: v_dual_lshlrev_b32 v2, 8, v2
	s_delay_alu instid0(VALU_DEP_1) | instskip(NEXT) | instid1(VALU_DEP_2)
	v_cmp_gt_u32_e32 vcc_lo, 0x8000000, v3
	v_and_or_b32 v2, 0x7f00, v2, 0.5
	s_delay_alu instid0(VALU_DEP_1) | instskip(NEXT) | instid1(VALU_DEP_1)
	v_dual_lshrrev_b32 v4, 4, v3 :: v_dual_add_f32 v2, -0.5, v2
	v_or_b32_e32 v4, 0x70000000, v4
	s_delay_alu instid0(VALU_DEP_1) | instskip(NEXT) | instid1(VALU_DEP_1)
	v_mul_f32_e32 v4, 0x7800000, v4
	v_cndmask_b32_e32 v2, v4, v2, vcc_lo
	s_delay_alu instid0(VALU_DEP_1) | instskip(SKIP_1) | instid1(SALU_CYCLE_1)
	v_cmp_neq_f32_e32 vcc_lo, 0, v2
	s_and_b32 s26, vcc_lo, exec_lo
	s_or_b32 s22, s22, s26
.LBB6_1180:
	s_mov_b32 s26, 0
	s_mov_b32 s27, -1
.LBB6_1181:
	s_and_not1_b32 vcc_lo, exec_lo, s26
	s_mov_b32 s26, 0
	s_cbranch_vccnz .LBB6_1190
; %bb.1182:
	s_cmp_gt_i32 s25, 14
	s_cbranch_scc0 .LBB6_1185
; %bb.1183:
	s_cmp_eq_u32 s25, 15
	s_cbranch_scc0 .LBB6_1186
; %bb.1184:
	global_load_u16 v2, v[0:1], off
	s_mov_b32 s24, 0
	s_mov_b32 s27, -1
	s_wait_loadcnt 0x0
	v_and_b32_e32 v2, 0x7fff, v2
	s_delay_alu instid0(VALU_DEP_1)
	v_cmp_ne_u16_e64 s22, 0, v2
	s_branch .LBB6_1188
.LBB6_1185:
	s_mov_b32 s26, -1
	s_branch .LBB6_1187
.LBB6_1186:
	s_mov_b32 s24, -1
.LBB6_1187:
                                        ; implicit-def: $sgpr22
.LBB6_1188:
	s_and_b32 vcc_lo, exec_lo, s26
	s_mov_b32 s26, 0
	s_cbranch_vccz .LBB6_1190
; %bb.1189:
	s_cmp_lg_u32 s25, 11
	s_mov_b32 s26, -1
	s_cselect_b32 s25, -1, 0
	s_and_not1_b32 s24, s24, exec_lo
	s_and_b32 s25, s25, exec_lo
	s_delay_alu instid0(SALU_CYCLE_1)
	s_or_b32 s24, s24, s25
.LBB6_1190:
	s_mov_b32 s28, 0
.LBB6_1191:
	s_and_not1_b32 s21, s21, exec_lo
	s_and_b32 s24, s24, exec_lo
	s_and_b32 s25, s27, exec_lo
	;; [unrolled: 1-line block ×4, first 2 shown]
	s_or_b32 s21, s21, s24
	s_wait_xcnt 0x0
	s_or_b32 exec_lo, exec_lo, s0
	s_and_saveexec_b32 s0, s21
	s_cbranch_execz .LBB6_1130
.LBB6_1192:
	s_or_b32 s18, s18, exec_lo
	s_and_not1_b32 s25, s25, exec_lo
	s_and_not1_b32 s26, s26, exec_lo
	s_trap 2
	s_or_b32 exec_lo, exec_lo, s0
	s_and_saveexec_b32 s0, s26
	s_delay_alu instid0(SALU_CYCLE_1)
	s_xor_b32 s0, exec_lo, s0
	s_cbranch_execz .LBB6_1131
.LBB6_1193:
	global_load_u8 v2, v[0:1], off
	s_and_not1_b32 s21, s22, exec_lo
	s_or_b32 s25, s25, exec_lo
	s_wait_loadcnt 0x0
	v_cmp_ne_u16_e32 vcc_lo, 0, v2
	s_and_b32 s22, vcc_lo, exec_lo
	s_delay_alu instid0(SALU_CYCLE_1)
	s_or_b32 s22, s21, s22
	s_wait_xcnt 0x0
	s_or_b32 exec_lo, exec_lo, s0
	s_and_saveexec_b32 s21, s27
	s_cbranch_execz .LBB6_1239
.LBB6_1194:
	s_sext_i32_i16 s0, s23
	s_delay_alu instid0(SALU_CYCLE_1)
	s_cmp_lt_i32 s0, 5
	s_cbranch_scc1 .LBB6_1199
; %bb.1195:
	s_cmp_lt_i32 s0, 8
	s_cbranch_scc1 .LBB6_1200
; %bb.1196:
	;; [unrolled: 3-line block ×3, first 2 shown]
	s_cmp_gt_i32 s0, 9
	s_cbranch_scc0 .LBB6_1202
; %bb.1198:
	global_load_b128 v[2:5], v[0:1], off
	s_mov_b32 s24, 0
	s_wait_loadcnt 0x0
	v_cmp_neq_f64_e32 vcc_lo, 0, v[2:3]
	v_cmp_neq_f64_e64 s0, 0, v[4:5]
	s_or_b32 s0, vcc_lo, s0
	s_branch .LBB6_1203
.LBB6_1199:
                                        ; implicit-def: $sgpr0
	s_branch .LBB6_1220
.LBB6_1200:
                                        ; implicit-def: $sgpr0
	s_branch .LBB6_1209
.LBB6_1201:
	s_mov_b32 s24, -1
                                        ; implicit-def: $sgpr0
	s_branch .LBB6_1206
.LBB6_1202:
	s_mov_b32 s24, -1
                                        ; implicit-def: $sgpr0
.LBB6_1203:
	s_delay_alu instid0(SALU_CYCLE_1)
	s_and_not1_b32 vcc_lo, exec_lo, s24
	s_cbranch_vccnz .LBB6_1205
; %bb.1204:
	global_load_b64 v[2:3], v[0:1], off
	s_and_not1_b32 s0, s0, exec_lo
	s_wait_loadcnt 0x0
	v_bitop3_b32 v2, v2, 0x7fffffff, v3 bitop3:0xc8
	s_delay_alu instid0(VALU_DEP_1) | instskip(SKIP_1) | instid1(SALU_CYCLE_1)
	v_cmp_ne_u32_e32 vcc_lo, 0, v2
	s_and_b32 s24, vcc_lo, exec_lo
	s_or_b32 s0, s0, s24
.LBB6_1205:
	s_mov_b32 s24, 0
.LBB6_1206:
	s_delay_alu instid0(SALU_CYCLE_1)
	s_and_not1_b32 vcc_lo, exec_lo, s24
	s_cbranch_vccnz .LBB6_1208
; %bb.1207:
	global_load_b32 v2, v[0:1], off
	s_and_not1_b32 s0, s0, exec_lo
	s_wait_loadcnt 0x0
	v_and_b32_e32 v2, 0x7fff7fff, v2
	s_delay_alu instid0(VALU_DEP_1) | instskip(SKIP_1) | instid1(SALU_CYCLE_1)
	v_cmp_ne_u32_e32 vcc_lo, 0, v2
	s_and_b32 s24, vcc_lo, exec_lo
	s_or_b32 s0, s0, s24
.LBB6_1208:
	s_cbranch_execnz .LBB6_1219
.LBB6_1209:
	s_sext_i32_i16 s0, s23
	s_delay_alu instid0(SALU_CYCLE_1)
	s_cmp_lt_i32 s0, 6
	s_cbranch_scc1 .LBB6_1212
; %bb.1210:
	s_cmp_gt_i32 s0, 6
	s_cbranch_scc0 .LBB6_1213
; %bb.1211:
	global_load_b64 v[2:3], v[0:1], off
	s_mov_b32 s24, 0
	s_wait_loadcnt 0x0
	v_cmp_neq_f64_e64 s0, 0, v[2:3]
	s_branch .LBB6_1214
.LBB6_1212:
	s_mov_b32 s24, -1
                                        ; implicit-def: $sgpr0
	s_branch .LBB6_1217
.LBB6_1213:
	s_mov_b32 s24, -1
                                        ; implicit-def: $sgpr0
.LBB6_1214:
	s_delay_alu instid0(SALU_CYCLE_1)
	s_and_not1_b32 vcc_lo, exec_lo, s24
	s_cbranch_vccnz .LBB6_1216
; %bb.1215:
	global_load_b32 v2, v[0:1], off
	s_and_not1_b32 s0, s0, exec_lo
	s_wait_loadcnt 0x0
	v_cmp_neq_f32_e32 vcc_lo, 0, v2
	s_and_b32 s24, vcc_lo, exec_lo
	s_delay_alu instid0(SALU_CYCLE_1)
	s_or_b32 s0, s0, s24
.LBB6_1216:
	s_mov_b32 s24, 0
.LBB6_1217:
	s_delay_alu instid0(SALU_CYCLE_1)
	s_and_not1_b32 vcc_lo, exec_lo, s24
	s_cbranch_vccnz .LBB6_1219
; %bb.1218:
	global_load_u16 v2, v[0:1], off
	s_and_not1_b32 s0, s0, exec_lo
	s_wait_loadcnt 0x0
	v_and_b32_e32 v2, 0x7fff, v2
	s_delay_alu instid0(VALU_DEP_1) | instskip(SKIP_1) | instid1(SALU_CYCLE_1)
	v_cmp_ne_u16_e32 vcc_lo, 0, v2
	s_and_b32 s24, vcc_lo, exec_lo
	s_or_b32 s0, s0, s24
.LBB6_1219:
	s_cbranch_execnz .LBB6_1238
.LBB6_1220:
	s_sext_i32_i16 s0, s23
	s_delay_alu instid0(SALU_CYCLE_1)
	s_cmp_lt_i32 s0, 2
	s_cbranch_scc1 .LBB6_1224
; %bb.1221:
	s_cmp_lt_i32 s0, 3
	s_cbranch_scc1 .LBB6_1225
; %bb.1222:
	s_cmp_gt_i32 s0, 3
	s_cbranch_scc0 .LBB6_1226
; %bb.1223:
	global_load_b64 v[2:3], v[0:1], off
	s_mov_b32 s24, 0
	s_wait_loadcnt 0x0
	v_cmp_ne_u64_e64 s0, 0, v[2:3]
	s_branch .LBB6_1227
.LBB6_1224:
                                        ; implicit-def: $sgpr0
	s_branch .LBB6_1233
.LBB6_1225:
	s_mov_b32 s24, -1
                                        ; implicit-def: $sgpr0
	s_branch .LBB6_1230
.LBB6_1226:
	s_mov_b32 s24, -1
                                        ; implicit-def: $sgpr0
.LBB6_1227:
	s_delay_alu instid0(SALU_CYCLE_1)
	s_and_not1_b32 vcc_lo, exec_lo, s24
	s_cbranch_vccnz .LBB6_1229
; %bb.1228:
	global_load_b32 v2, v[0:1], off
	s_and_not1_b32 s0, s0, exec_lo
	s_wait_loadcnt 0x0
	v_cmp_ne_u32_e32 vcc_lo, 0, v2
	s_and_b32 s24, vcc_lo, exec_lo
	s_delay_alu instid0(SALU_CYCLE_1)
	s_or_b32 s0, s0, s24
.LBB6_1229:
	s_mov_b32 s24, 0
.LBB6_1230:
	s_delay_alu instid0(SALU_CYCLE_1)
	s_and_not1_b32 vcc_lo, exec_lo, s24
	s_cbranch_vccnz .LBB6_1232
; %bb.1231:
	global_load_u16 v2, v[0:1], off
	s_and_not1_b32 s0, s0, exec_lo
	s_wait_loadcnt 0x0
	v_cmp_ne_u16_e32 vcc_lo, 0, v2
	s_and_b32 s24, vcc_lo, exec_lo
	s_delay_alu instid0(SALU_CYCLE_1)
	s_or_b32 s0, s0, s24
.LBB6_1232:
	s_cbranch_execnz .LBB6_1238
.LBB6_1233:
	s_sext_i32_i16 s0, s23
	s_mov_b32 s23, 0
	s_cmp_gt_i32 s0, 0
	s_cbranch_scc0 .LBB6_1235
; %bb.1234:
	global_load_u8 v2, v[0:1], off
	s_wait_loadcnt 0x0
	v_cmp_ne_u16_e64 s0, 0, v2
	s_branch .LBB6_1236
.LBB6_1235:
	s_mov_b32 s23, -1
                                        ; implicit-def: $sgpr0
.LBB6_1236:
	s_delay_alu instid0(SALU_CYCLE_1)
	s_and_not1_b32 vcc_lo, exec_lo, s23
	s_cbranch_vccnz .LBB6_1238
; %bb.1237:
	global_load_u8 v0, v[0:1], off
	s_and_not1_b32 s0, s0, exec_lo
	s_wait_loadcnt 0x0
	v_cmp_ne_u16_e32 vcc_lo, 0, v0
	s_and_b32 s23, vcc_lo, exec_lo
	s_delay_alu instid0(SALU_CYCLE_1)
	s_or_b32 s0, s0, s23
.LBB6_1238:
	s_and_not1_b32 s22, s22, exec_lo
	s_delay_alu instid0(VALU_DEP_1)
	s_and_b32 s0, s0, exec_lo
	s_or_b32 s25, s25, exec_lo
	s_or_b32 s22, s22, s0
.LBB6_1239:
	s_wait_xcnt 0x0
	s_or_b32 exec_lo, exec_lo, s21
	s_mov_b32 s24, 0
	s_mov_b32 s28, 0
	;; [unrolled: 1-line block ×3, first 2 shown]
                                        ; implicit-def: $sgpr23
                                        ; implicit-def: $sgpr21
                                        ; implicit-def: $vgpr0_vgpr1
	s_and_saveexec_b32 s0, s25
	s_cbranch_execnz .LBB6_1243
; %bb.1240:
	s_or_b32 exec_lo, exec_lo, s0
	s_and_saveexec_b32 s0, s20
	s_cbranch_execnz .LBB6_1302
.LBB6_1241:
	s_or_b32 exec_lo, exec_lo, s0
	s_and_saveexec_b32 s0, s24
	s_delay_alu instid0(SALU_CYCLE_1)
	s_xor_b32 s0, exec_lo, s0
	s_cbranch_execnz .LBB6_1303
.LBB6_1242:
	s_or_b32 exec_lo, exec_lo, s0
	s_and_saveexec_b32 s20, s28
	s_cbranch_execnz .LBB6_1304
	s_branch .LBB6_1349
.LBB6_1243:
	v_mul_lo_u32 v0, v6, s5
	s_and_b32 s21, s7, 0xff
	s_delay_alu instid0(SALU_CYCLE_1) | instskip(NEXT) | instid1(VALU_DEP_1)
	s_cmp_lt_i32 s21, 11
	v_ashrrev_i32_e32 v1, 31, v0
	s_delay_alu instid0(VALU_DEP_1)
	v_add_nc_u64_e32 v[0:1], s[10:11], v[0:1]
	s_cbranch_scc1 .LBB6_1250
; %bb.1244:
	s_and_b32 s25, 0xffff, s21
	s_mov_b32 s27, 0
	s_cmp_gt_i32 s25, 25
	s_cbranch_scc0 .LBB6_1251
; %bb.1245:
	s_cmp_gt_i32 s25, 28
	s_cbranch_scc0 .LBB6_1252
; %bb.1246:
	;; [unrolled: 3-line block ×4, first 2 shown]
	s_cmp_eq_u32 s25, 46
	s_cbranch_scc0 .LBB6_1255
; %bb.1249:
	global_load_b32 v2, v[0:1], off
	s_mov_b32 s26, -1
	s_wait_loadcnt 0x0
	v_and_b32_e32 v2, 0x7fff7fff, v2
	s_delay_alu instid0(VALU_DEP_1)
	v_cmp_ne_u32_e64 s23, 0, v2
	s_branch .LBB6_1257
.LBB6_1250:
	s_mov_b32 s25, -1
	s_mov_b32 s27, 0
	s_mov_b32 s24, s20
                                        ; implicit-def: $sgpr23
	s_branch .LBB6_1301
.LBB6_1251:
	s_mov_b32 s24, s20
                                        ; implicit-def: $sgpr23
	s_cbranch_execnz .LBB6_1278
	s_branch .LBB6_1300
.LBB6_1252:
	s_mov_b32 s28, -1
	s_mov_b32 s24, s20
                                        ; implicit-def: $sgpr23
	s_branch .LBB6_1265
.LBB6_1253:
	s_mov_b32 s28, -1
	s_mov_b32 s24, s20
                                        ; implicit-def: $sgpr23
	s_branch .LBB6_1260
.LBB6_1254:
	s_mov_b32 s28, -1
	s_mov_b32 s24, s20
	s_branch .LBB6_1256
.LBB6_1255:
	s_mov_b32 s24, -1
.LBB6_1256:
                                        ; implicit-def: $sgpr23
.LBB6_1257:
	s_and_b32 vcc_lo, exec_lo, s28
	s_cbranch_vccz .LBB6_1259
; %bb.1258:
	s_cmp_lg_u32 s25, 44
	s_mov_b32 s26, -1
	s_cselect_b32 s28, -1, 0
	s_and_not1_b32 s24, s24, exec_lo
	s_and_b32 s28, s28, exec_lo
	s_or_b32 s23, s23, exec_lo
	s_or_b32 s24, s24, s28
.LBB6_1259:
	s_mov_b32 s28, 0
.LBB6_1260:
	s_delay_alu instid0(SALU_CYCLE_1)
	s_and_b32 vcc_lo, exec_lo, s28
	s_cbranch_vccz .LBB6_1264
; %bb.1261:
	s_cmp_eq_u32 s25, 29
	s_cbranch_scc0 .LBB6_1263
; %bb.1262:
	global_load_b64 v[2:3], v[0:1], off
	s_mov_b32 s24, 0
	s_mov_b32 s26, -1
	s_mov_b32 s28, 0
	s_wait_loadcnt 0x0
	v_cmp_ne_u64_e64 s23, 0, v[2:3]
	s_branch .LBB6_1265
.LBB6_1263:
	s_mov_b32 s24, -1
                                        ; implicit-def: $sgpr23
.LBB6_1264:
	s_mov_b32 s28, 0
.LBB6_1265:
	s_delay_alu instid0(SALU_CYCLE_1)
	s_and_b32 vcc_lo, exec_lo, s28
	s_cbranch_vccz .LBB6_1277
; %bb.1266:
	s_cmp_lt_i32 s25, 27
	s_cbranch_scc1 .LBB6_1269
; %bb.1267:
	s_cmp_gt_i32 s25, 27
	s_cbranch_scc0 .LBB6_1270
; %bb.1268:
	global_load_b32 v2, v[0:1], off
	s_mov_b32 s26, 0
	s_wait_loadcnt 0x0
	v_cmp_ne_u32_e64 s23, 0, v2
	s_branch .LBB6_1271
.LBB6_1269:
	s_mov_b32 s26, -1
                                        ; implicit-def: $sgpr23
	s_branch .LBB6_1274
.LBB6_1270:
	s_mov_b32 s26, -1
                                        ; implicit-def: $sgpr23
.LBB6_1271:
	s_delay_alu instid0(SALU_CYCLE_1)
	s_and_not1_b32 vcc_lo, exec_lo, s26
	s_cbranch_vccnz .LBB6_1273
; %bb.1272:
	global_load_u16 v2, v[0:1], off
	s_and_not1_b32 s23, s23, exec_lo
	s_wait_loadcnt 0x0
	v_cmp_ne_u16_e32 vcc_lo, 0, v2
	s_and_b32 s26, vcc_lo, exec_lo
	s_delay_alu instid0(SALU_CYCLE_1)
	s_or_b32 s23, s23, s26
.LBB6_1273:
	s_mov_b32 s26, 0
.LBB6_1274:
	s_delay_alu instid0(SALU_CYCLE_1)
	s_and_not1_b32 vcc_lo, exec_lo, s26
	s_cbranch_vccnz .LBB6_1276
; %bb.1275:
	global_load_u8 v2, v[0:1], off
	s_and_not1_b32 s23, s23, exec_lo
	s_wait_loadcnt 0x0
	v_cmp_ne_u16_e32 vcc_lo, 0, v2
	s_and_b32 s26, vcc_lo, exec_lo
	s_delay_alu instid0(SALU_CYCLE_1)
	s_or_b32 s23, s23, s26
.LBB6_1276:
	s_mov_b32 s26, -1
.LBB6_1277:
	s_branch .LBB6_1300
.LBB6_1278:
	s_cmp_gt_i32 s25, 22
	s_cbranch_scc0 .LBB6_1282
; %bb.1279:
	s_cmp_lt_i32 s25, 24
	s_cbranch_scc1 .LBB6_1283
; %bb.1280:
	s_cmp_gt_i32 s25, 24
	s_cbranch_scc0 .LBB6_1284
; %bb.1281:
	global_load_u8 v2, v[0:1], off
	s_mov_b32 s26, 0
	s_wait_loadcnt 0x0
	v_cmp_ne_u16_e64 s23, 0, v2
	s_branch .LBB6_1285
.LBB6_1282:
	s_mov_b32 s27, -1
                                        ; implicit-def: $sgpr23
	s_branch .LBB6_1291
.LBB6_1283:
	s_mov_b32 s26, -1
                                        ; implicit-def: $sgpr23
	s_branch .LBB6_1288
.LBB6_1284:
	s_mov_b32 s26, -1
                                        ; implicit-def: $sgpr23
.LBB6_1285:
	s_delay_alu instid0(SALU_CYCLE_1)
	s_and_not1_b32 vcc_lo, exec_lo, s26
	s_cbranch_vccnz .LBB6_1287
; %bb.1286:
	global_load_u8 v2, v[0:1], off
	s_and_not1_b32 s23, s23, exec_lo
	s_wait_loadcnt 0x0
	v_and_b32_e32 v2, 0x7f, v2
	s_delay_alu instid0(VALU_DEP_1) | instskip(SKIP_1) | instid1(SALU_CYCLE_1)
	v_cmp_ne_u16_e32 vcc_lo, 0, v2
	s_and_b32 s26, vcc_lo, exec_lo
	s_or_b32 s23, s23, s26
.LBB6_1287:
	s_mov_b32 s26, 0
.LBB6_1288:
	s_delay_alu instid0(SALU_CYCLE_1)
	s_and_not1_b32 vcc_lo, exec_lo, s26
	s_cbranch_vccnz .LBB6_1290
; %bb.1289:
	global_load_u8 v2, v[0:1], off
	s_and_not1_b32 s23, s23, exec_lo
	s_wait_loadcnt 0x0
	v_dual_lshlrev_b32 v3, 25, v2 :: v_dual_lshlrev_b32 v2, 8, v2
	s_delay_alu instid0(VALU_DEP_1) | instskip(NEXT) | instid1(VALU_DEP_2)
	v_cmp_gt_u32_e32 vcc_lo, 0x8000000, v3
	v_and_or_b32 v2, 0x7f00, v2, 0.5
	s_delay_alu instid0(VALU_DEP_1) | instskip(NEXT) | instid1(VALU_DEP_1)
	v_dual_lshrrev_b32 v4, 4, v3 :: v_dual_add_f32 v2, -0.5, v2
	v_or_b32_e32 v4, 0x70000000, v4
	s_delay_alu instid0(VALU_DEP_1) | instskip(NEXT) | instid1(VALU_DEP_1)
	v_mul_f32_e32 v4, 0x7800000, v4
	v_cndmask_b32_e32 v2, v4, v2, vcc_lo
	s_delay_alu instid0(VALU_DEP_1) | instskip(SKIP_1) | instid1(SALU_CYCLE_1)
	v_cmp_neq_f32_e32 vcc_lo, 0, v2
	s_and_b32 s26, vcc_lo, exec_lo
	s_or_b32 s23, s23, s26
.LBB6_1290:
	s_mov_b32 s26, -1
.LBB6_1291:
	s_and_not1_b32 vcc_lo, exec_lo, s27
	s_mov_b32 s27, 0
	s_cbranch_vccnz .LBB6_1300
; %bb.1292:
	s_cmp_gt_i32 s25, 14
	s_cbranch_scc0 .LBB6_1295
; %bb.1293:
	s_cmp_eq_u32 s25, 15
	s_cbranch_scc0 .LBB6_1296
; %bb.1294:
	global_load_u16 v2, v[0:1], off
	s_mov_b32 s24, 0
	s_mov_b32 s26, -1
	s_wait_loadcnt 0x0
	v_and_b32_e32 v2, 0x7fff, v2
	s_delay_alu instid0(VALU_DEP_1)
	v_cmp_ne_u16_e64 s23, 0, v2
	s_branch .LBB6_1298
.LBB6_1295:
	s_mov_b32 s27, -1
	s_branch .LBB6_1297
.LBB6_1296:
	s_mov_b32 s24, -1
.LBB6_1297:
                                        ; implicit-def: $sgpr23
.LBB6_1298:
	s_and_b32 vcc_lo, exec_lo, s27
	s_mov_b32 s27, 0
	s_cbranch_vccz .LBB6_1300
; %bb.1299:
	s_cmp_lg_u32 s25, 11
	s_mov_b32 s27, -1
	s_cselect_b32 s25, -1, 0
	s_and_not1_b32 s24, s24, exec_lo
	s_and_b32 s25, s25, exec_lo
	s_delay_alu instid0(SALU_CYCLE_1)
	s_or_b32 s24, s24, s25
.LBB6_1300:
	s_mov_b32 s25, 0
.LBB6_1301:
	s_delay_alu instid0(SALU_CYCLE_1)
	s_and_b32 s28, s25, exec_lo
	s_and_not1_b32 s20, s20, exec_lo
	s_and_b32 s25, s24, exec_lo
	s_and_b32 s26, s26, exec_lo
	;; [unrolled: 1-line block ×3, first 2 shown]
	s_or_b32 s20, s20, s25
	s_wait_xcnt 0x0
	s_or_b32 exec_lo, exec_lo, s0
	s_and_saveexec_b32 s0, s20
	s_cbranch_execz .LBB6_1241
.LBB6_1302:
	s_or_b32 s18, s18, exec_lo
	s_and_not1_b32 s26, s26, exec_lo
	s_and_not1_b32 s24, s24, exec_lo
	s_trap 2
	s_or_b32 exec_lo, exec_lo, s0
	s_and_saveexec_b32 s0, s24
	s_delay_alu instid0(SALU_CYCLE_1)
	s_xor_b32 s0, exec_lo, s0
	s_cbranch_execz .LBB6_1242
.LBB6_1303:
	global_load_u8 v2, v[0:1], off
	s_and_not1_b32 s20, s23, exec_lo
	s_or_b32 s26, s26, exec_lo
	s_wait_loadcnt 0x0
	v_cmp_ne_u16_e32 vcc_lo, 0, v2
	s_and_b32 s23, vcc_lo, exec_lo
	s_delay_alu instid0(SALU_CYCLE_1)
	s_or_b32 s23, s20, s23
	s_wait_xcnt 0x0
	s_or_b32 exec_lo, exec_lo, s0
	s_and_saveexec_b32 s20, s28
	s_cbranch_execz .LBB6_1349
.LBB6_1304:
	s_sext_i32_i16 s0, s21
	s_delay_alu instid0(SALU_CYCLE_1)
	s_cmp_lt_i32 s0, 5
	s_cbranch_scc1 .LBB6_1309
; %bb.1305:
	s_cmp_lt_i32 s0, 8
	s_cbranch_scc1 .LBB6_1310
; %bb.1306:
	;; [unrolled: 3-line block ×3, first 2 shown]
	s_cmp_gt_i32 s0, 9
	s_cbranch_scc0 .LBB6_1312
; %bb.1308:
	global_load_b128 v[2:5], v[0:1], off
	s_mov_b32 s24, 0
	s_wait_loadcnt 0x0
	v_cmp_neq_f64_e32 vcc_lo, 0, v[2:3]
	v_cmp_neq_f64_e64 s0, 0, v[4:5]
	s_or_b32 s0, vcc_lo, s0
	s_branch .LBB6_1313
.LBB6_1309:
                                        ; implicit-def: $sgpr0
	s_branch .LBB6_1330
.LBB6_1310:
                                        ; implicit-def: $sgpr0
	s_branch .LBB6_1319
.LBB6_1311:
	s_mov_b32 s24, -1
                                        ; implicit-def: $sgpr0
	s_branch .LBB6_1316
.LBB6_1312:
	s_mov_b32 s24, -1
                                        ; implicit-def: $sgpr0
.LBB6_1313:
	s_delay_alu instid0(SALU_CYCLE_1)
	s_and_not1_b32 vcc_lo, exec_lo, s24
	s_cbranch_vccnz .LBB6_1315
; %bb.1314:
	global_load_b64 v[2:3], v[0:1], off
	s_and_not1_b32 s0, s0, exec_lo
	s_wait_loadcnt 0x0
	v_bitop3_b32 v2, v2, 0x7fffffff, v3 bitop3:0xc8
	s_delay_alu instid0(VALU_DEP_1) | instskip(SKIP_1) | instid1(SALU_CYCLE_1)
	v_cmp_ne_u32_e32 vcc_lo, 0, v2
	s_and_b32 s24, vcc_lo, exec_lo
	s_or_b32 s0, s0, s24
.LBB6_1315:
	s_mov_b32 s24, 0
.LBB6_1316:
	s_delay_alu instid0(SALU_CYCLE_1)
	s_and_not1_b32 vcc_lo, exec_lo, s24
	s_cbranch_vccnz .LBB6_1318
; %bb.1317:
	global_load_b32 v2, v[0:1], off
	s_and_not1_b32 s0, s0, exec_lo
	s_wait_loadcnt 0x0
	v_and_b32_e32 v2, 0x7fff7fff, v2
	s_delay_alu instid0(VALU_DEP_1) | instskip(SKIP_1) | instid1(SALU_CYCLE_1)
	v_cmp_ne_u32_e32 vcc_lo, 0, v2
	s_and_b32 s24, vcc_lo, exec_lo
	s_or_b32 s0, s0, s24
.LBB6_1318:
	s_cbranch_execnz .LBB6_1329
.LBB6_1319:
	s_sext_i32_i16 s0, s21
	s_delay_alu instid0(SALU_CYCLE_1)
	s_cmp_lt_i32 s0, 6
	s_cbranch_scc1 .LBB6_1322
; %bb.1320:
	s_cmp_gt_i32 s0, 6
	s_cbranch_scc0 .LBB6_1323
; %bb.1321:
	global_load_b64 v[2:3], v[0:1], off
	s_mov_b32 s24, 0
	s_wait_loadcnt 0x0
	v_cmp_neq_f64_e64 s0, 0, v[2:3]
	s_branch .LBB6_1324
.LBB6_1322:
	s_mov_b32 s24, -1
                                        ; implicit-def: $sgpr0
	s_branch .LBB6_1327
.LBB6_1323:
	s_mov_b32 s24, -1
                                        ; implicit-def: $sgpr0
.LBB6_1324:
	s_delay_alu instid0(SALU_CYCLE_1)
	s_and_not1_b32 vcc_lo, exec_lo, s24
	s_cbranch_vccnz .LBB6_1326
; %bb.1325:
	global_load_b32 v2, v[0:1], off
	s_and_not1_b32 s0, s0, exec_lo
	s_wait_loadcnt 0x0
	v_cmp_neq_f32_e32 vcc_lo, 0, v2
	s_and_b32 s24, vcc_lo, exec_lo
	s_delay_alu instid0(SALU_CYCLE_1)
	s_or_b32 s0, s0, s24
.LBB6_1326:
	s_mov_b32 s24, 0
.LBB6_1327:
	s_delay_alu instid0(SALU_CYCLE_1)
	s_and_not1_b32 vcc_lo, exec_lo, s24
	s_cbranch_vccnz .LBB6_1329
; %bb.1328:
	global_load_u16 v2, v[0:1], off
	s_and_not1_b32 s0, s0, exec_lo
	s_wait_loadcnt 0x0
	v_and_b32_e32 v2, 0x7fff, v2
	s_delay_alu instid0(VALU_DEP_1) | instskip(SKIP_1) | instid1(SALU_CYCLE_1)
	v_cmp_ne_u16_e32 vcc_lo, 0, v2
	s_and_b32 s24, vcc_lo, exec_lo
	s_or_b32 s0, s0, s24
.LBB6_1329:
	s_cbranch_execnz .LBB6_1348
.LBB6_1330:
	s_sext_i32_i16 s0, s21
	s_delay_alu instid0(SALU_CYCLE_1)
	s_cmp_lt_i32 s0, 2
	s_cbranch_scc1 .LBB6_1334
; %bb.1331:
	s_cmp_lt_i32 s0, 3
	s_cbranch_scc1 .LBB6_1335
; %bb.1332:
	s_cmp_gt_i32 s0, 3
	s_cbranch_scc0 .LBB6_1336
; %bb.1333:
	global_load_b64 v[2:3], v[0:1], off
	s_mov_b32 s24, 0
	s_wait_loadcnt 0x0
	v_cmp_ne_u64_e64 s0, 0, v[2:3]
	s_branch .LBB6_1337
.LBB6_1334:
                                        ; implicit-def: $sgpr0
	s_branch .LBB6_1343
.LBB6_1335:
	s_mov_b32 s24, -1
                                        ; implicit-def: $sgpr0
	s_branch .LBB6_1340
.LBB6_1336:
	s_mov_b32 s24, -1
                                        ; implicit-def: $sgpr0
.LBB6_1337:
	s_delay_alu instid0(SALU_CYCLE_1)
	s_and_not1_b32 vcc_lo, exec_lo, s24
	s_cbranch_vccnz .LBB6_1339
; %bb.1338:
	global_load_b32 v2, v[0:1], off
	s_and_not1_b32 s0, s0, exec_lo
	s_wait_loadcnt 0x0
	v_cmp_ne_u32_e32 vcc_lo, 0, v2
	s_and_b32 s24, vcc_lo, exec_lo
	s_delay_alu instid0(SALU_CYCLE_1)
	s_or_b32 s0, s0, s24
.LBB6_1339:
	s_mov_b32 s24, 0
.LBB6_1340:
	s_delay_alu instid0(SALU_CYCLE_1)
	s_and_not1_b32 vcc_lo, exec_lo, s24
	s_cbranch_vccnz .LBB6_1342
; %bb.1341:
	global_load_u16 v2, v[0:1], off
	s_and_not1_b32 s0, s0, exec_lo
	s_wait_loadcnt 0x0
	v_cmp_ne_u16_e32 vcc_lo, 0, v2
	s_and_b32 s24, vcc_lo, exec_lo
	s_delay_alu instid0(SALU_CYCLE_1)
	s_or_b32 s0, s0, s24
.LBB6_1342:
	s_cbranch_execnz .LBB6_1348
.LBB6_1343:
	s_sext_i32_i16 s0, s21
	s_mov_b32 s21, 0
	s_cmp_gt_i32 s0, 0
	s_cbranch_scc0 .LBB6_1345
; %bb.1344:
	global_load_u8 v2, v[0:1], off
	s_wait_loadcnt 0x0
	v_cmp_ne_u16_e64 s0, 0, v2
	s_branch .LBB6_1346
.LBB6_1345:
	s_mov_b32 s21, -1
                                        ; implicit-def: $sgpr0
.LBB6_1346:
	s_delay_alu instid0(SALU_CYCLE_1)
	s_and_not1_b32 vcc_lo, exec_lo, s21
	s_cbranch_vccnz .LBB6_1348
; %bb.1347:
	global_load_u8 v0, v[0:1], off
	s_and_not1_b32 s0, s0, exec_lo
	s_wait_loadcnt 0x0
	v_cmp_ne_u16_e32 vcc_lo, 0, v0
	s_and_b32 s21, vcc_lo, exec_lo
	s_delay_alu instid0(SALU_CYCLE_1)
	s_or_b32 s0, s0, s21
.LBB6_1348:
	s_and_not1_b32 s21, s23, exec_lo
	s_delay_alu instid0(VALU_DEP_1)
	s_and_b32 s0, s0, exec_lo
	s_or_b32 s26, s26, exec_lo
	s_or_b32 s23, s21, s0
.LBB6_1349:
	s_wait_xcnt 0x0
	s_or_b32 exec_lo, exec_lo, s20
	s_mov_b32 s0, 0
	s_mov_b32 s25, 0
                                        ; implicit-def: $sgpr20
                                        ; implicit-def: $sgpr21
                                        ; implicit-def: $vgpr0_vgpr1
	s_and_saveexec_b32 s24, s26
	s_cbranch_execnz .LBB6_1353
; %bb.1350:
	s_or_b32 exec_lo, exec_lo, s24
	s_and_saveexec_b32 s17, s19
	s_cbranch_execnz .LBB6_1430
.LBB6_1351:
	s_or_b32 exec_lo, exec_lo, s17
	s_and_saveexec_b32 s17, s0
	s_delay_alu instid0(SALU_CYCLE_1)
	s_xor_b32 s0, exec_lo, s17
	s_cbranch_execnz .LBB6_1431
.LBB6_1352:
	s_or_b32 exec_lo, exec_lo, s0
	s_and_saveexec_b32 s0, s25
	s_delay_alu instid0(SALU_CYCLE_1)
	s_xor_b32 s0, exec_lo, s0
	s_cbranch_execnz .LBB6_1432
	s_branch .LBB6_1469
.LBB6_1353:
	v_mul_lo_u32 v0, v6, s14
	s_and_b32 s0, s22, s23
	s_and_b32 s21, s1, 0xff
	;; [unrolled: 1-line block ×3, first 2 shown]
	s_cmp_lt_i32 s21, 11
	s_delay_alu instid0(VALU_DEP_1) | instskip(NEXT) | instid1(VALU_DEP_1)
	v_ashrrev_i32_e32 v1, 31, v0
	v_add_nc_u64_e32 v[0:1], s[2:3], v[0:1]
	s_cbranch_scc1 .LBB6_1360
; %bb.1354:
	s_and_b32 s17, 0xffff, s21
	s_mov_b32 s22, -1
	s_cmp_gt_i32 s17, 25
	s_mov_b32 s0, s19
	s_cbranch_scc0 .LBB6_1388
; %bb.1355:
	s_cmp_gt_i32 s17, 28
	s_mov_b32 s0, s19
	s_cbranch_scc0 .LBB6_1372
; %bb.1356:
	s_cmp_gt_i32 s17, 43
	s_mov_b32 s0, s19
	s_cbranch_scc0 .LBB6_1368
; %bb.1357:
	s_cmp_gt_i32 s17, 45
	s_mov_b32 s0, s19
	s_cbranch_scc0 .LBB6_1362
; %bb.1358:
	s_cmp_eq_u32 s17, 46
	s_mov_b32 s0, -1
	s_cbranch_scc0 .LBB6_1361
; %bb.1359:
	v_cndmask_b32_e64 v2, 0, 1.0, s20
	s_mov_b32 s0, 0
	s_mov_b32 s22, 0
	s_delay_alu instid0(VALU_DEP_1) | instskip(NEXT) | instid1(VALU_DEP_1)
	v_bfe_u32 v3, v2, 16, 1
	v_add3_u32 v2, v2, v3, 0x7fff
	s_delay_alu instid0(VALU_DEP_1)
	v_lshrrev_b32_e32 v2, 16, v2
	global_store_b32 v[0:1], v2, off
	s_branch .LBB6_1362
.LBB6_1360:
	s_mov_b32 s23, 0
	s_mov_b32 s22, -1
	s_mov_b32 s0, s19
	s_branch .LBB6_1429
.LBB6_1361:
	s_mov_b32 s22, 0
.LBB6_1362:
	s_delay_alu instid0(SALU_CYCLE_1)
	s_and_b32 vcc_lo, exec_lo, s22
	s_cbranch_vccz .LBB6_1367
; %bb.1363:
	s_cmp_eq_u32 s17, 44
	s_mov_b32 s0, -1
	s_cbranch_scc0 .LBB6_1367
; %bb.1364:
	v_cndmask_b32_e64 v4, 0, 1.0, s20
	s_mov_b32 s22, exec_lo
	s_wait_xcnt 0x0
	s_delay_alu instid0(VALU_DEP_1) | instskip(NEXT) | instid1(VALU_DEP_1)
	v_dual_mov_b32 v3, 0xff :: v_dual_lshrrev_b32 v2, 23, v4
	v_cmpx_ne_u32_e32 0xff, v2
; %bb.1365:
	v_and_b32_e32 v3, 0x400000, v4
	v_and_or_b32 v4, 0x3fffff, v4, v2
	s_delay_alu instid0(VALU_DEP_2) | instskip(NEXT) | instid1(VALU_DEP_2)
	v_cmp_ne_u32_e32 vcc_lo, 0, v3
	v_cmp_ne_u32_e64 s0, 0, v4
	s_and_b32 s0, vcc_lo, s0
	s_delay_alu instid0(SALU_CYCLE_1) | instskip(NEXT) | instid1(VALU_DEP_1)
	v_cndmask_b32_e64 v3, 0, 1, s0
	v_add_nc_u32_e32 v3, v2, v3
; %bb.1366:
	s_or_b32 exec_lo, exec_lo, s22
	s_mov_b32 s0, 0
	global_store_b8 v[0:1], v3, off
.LBB6_1367:
	s_mov_b32 s22, 0
.LBB6_1368:
	s_delay_alu instid0(SALU_CYCLE_1)
	s_and_b32 vcc_lo, exec_lo, s22
	s_cbranch_vccz .LBB6_1371
; %bb.1369:
	s_cmp_eq_u32 s17, 29
	s_mov_b32 s0, -1
	s_cbranch_scc0 .LBB6_1371
; %bb.1370:
	s_mov_b32 s0, 0
	s_wait_xcnt 0x0
	v_cndmask_b32_e64 v2, 0, 1, s20
	v_mov_b32_e32 v3, s0
	s_mov_b32 s22, 0
	global_store_b64 v[0:1], v[2:3], off
	s_branch .LBB6_1372
.LBB6_1371:
	s_mov_b32 s22, 0
.LBB6_1372:
	s_delay_alu instid0(SALU_CYCLE_1)
	s_and_b32 vcc_lo, exec_lo, s22
	s_cbranch_vccz .LBB6_1387
; %bb.1373:
	s_cmp_lt_i32 s17, 27
	s_mov_b32 s22, -1
	s_cbranch_scc1 .LBB6_1379
; %bb.1374:
	s_wait_xcnt 0x0
	v_cndmask_b32_e64 v2, 0, 1, s20
	s_cmp_gt_i32 s17, 27
	s_cbranch_scc0 .LBB6_1376
; %bb.1375:
	s_mov_b32 s22, 0
	global_store_b32 v[0:1], v2, off
.LBB6_1376:
	s_and_not1_b32 vcc_lo, exec_lo, s22
	s_cbranch_vccnz .LBB6_1378
; %bb.1377:
	global_store_b16 v[0:1], v2, off
.LBB6_1378:
	s_mov_b32 s22, 0
.LBB6_1379:
	s_delay_alu instid0(SALU_CYCLE_1)
	s_and_not1_b32 vcc_lo, exec_lo, s22
	s_cbranch_vccnz .LBB6_1387
; %bb.1380:
	s_wait_xcnt 0x0
	v_cndmask_b32_e64 v3, 0, 1.0, s20
	v_mov_b32_e32 v4, 0x80
	s_mov_b32 s22, exec_lo
	s_delay_alu instid0(VALU_DEP_2)
	v_cmpx_gt_u32_e32 0x43800000, v3
	s_cbranch_execz .LBB6_1386
; %bb.1381:
	s_mov_b32 s23, 0
	s_mov_b32 s25, exec_lo
                                        ; implicit-def: $vgpr2
	v_cmpx_lt_u32_e32 0x3bffffff, v3
	s_xor_b32 s25, exec_lo, s25
	s_cbranch_execnz .LBB6_1502
; %bb.1382:
	s_and_not1_saveexec_b32 s25, s25
	s_cbranch_execnz .LBB6_1503
.LBB6_1383:
	s_or_b32 exec_lo, exec_lo, s25
	v_mov_b32_e32 v4, 0
	s_and_saveexec_b32 s25, s23
.LBB6_1384:
	v_mov_b32_e32 v4, v2
.LBB6_1385:
	s_or_b32 exec_lo, exec_lo, s25
.LBB6_1386:
	s_delay_alu instid0(SALU_CYCLE_1)
	s_or_b32 exec_lo, exec_lo, s22
	global_store_b8 v[0:1], v4, off
.LBB6_1387:
	s_mov_b32 s22, 0
.LBB6_1388:
	s_delay_alu instid0(SALU_CYCLE_1)
	s_and_b32 vcc_lo, exec_lo, s22
	s_mov_b32 s22, 0
	s_cbranch_vccz .LBB6_1428
; %bb.1389:
	s_cmp_gt_i32 s17, 22
	s_mov_b32 s23, -1
	s_cbranch_scc0 .LBB6_1421
; %bb.1390:
	s_cmp_lt_i32 s17, 24
	s_cbranch_scc1 .LBB6_1410
; %bb.1391:
	s_cmp_gt_i32 s17, 24
	s_cbranch_scc0 .LBB6_1399
; %bb.1392:
	s_wait_xcnt 0x0
	v_cndmask_b32_e64 v3, 0, 1.0, s20
	v_mov_b32_e32 v4, 0x80
	s_mov_b32 s23, exec_lo
	s_delay_alu instid0(VALU_DEP_2)
	v_cmpx_gt_u32_e32 0x47800000, v3
	s_cbranch_execz .LBB6_1398
; %bb.1393:
	s_mov_b32 s25, 0
	s_mov_b32 s26, exec_lo
                                        ; implicit-def: $vgpr2
	v_cmpx_lt_u32_e32 0x37ffffff, v3
	s_xor_b32 s26, exec_lo, s26
	s_cbranch_execnz .LBB6_1614
; %bb.1394:
	s_and_not1_saveexec_b32 s26, s26
	s_cbranch_execnz .LBB6_1615
.LBB6_1395:
	s_or_b32 exec_lo, exec_lo, s26
	v_mov_b32_e32 v4, 0
	s_and_saveexec_b32 s26, s25
.LBB6_1396:
	v_mov_b32_e32 v4, v2
.LBB6_1397:
	s_or_b32 exec_lo, exec_lo, s26
.LBB6_1398:
	s_delay_alu instid0(SALU_CYCLE_1)
	s_or_b32 exec_lo, exec_lo, s23
	s_mov_b32 s23, 0
	global_store_b8 v[0:1], v4, off
.LBB6_1399:
	s_and_b32 vcc_lo, exec_lo, s23
	s_cbranch_vccz .LBB6_1409
; %bb.1400:
	s_wait_xcnt 0x0
	v_cndmask_b32_e64 v3, 0, 1.0, s20
	s_mov_b32 s23, exec_lo
                                        ; implicit-def: $vgpr2
	s_delay_alu instid0(VALU_DEP_1)
	v_cmpx_gt_u32_e32 0x43f00000, v3
	s_xor_b32 s23, exec_lo, s23
	s_cbranch_execz .LBB6_1406
; %bb.1401:
	s_mov_b32 s25, exec_lo
                                        ; implicit-def: $vgpr2
	v_cmpx_lt_u32_e32 0x3c7fffff, v3
	s_xor_b32 s25, exec_lo, s25
; %bb.1402:
	v_bfe_u32 v2, v3, 20, 1
	s_delay_alu instid0(VALU_DEP_1) | instskip(NEXT) | instid1(VALU_DEP_1)
	v_add3_u32 v2, v3, v2, 0x407ffff
	v_and_b32_e32 v3, 0xff00000, v2
	v_lshrrev_b32_e32 v2, 20, v2
	s_delay_alu instid0(VALU_DEP_2) | instskip(NEXT) | instid1(VALU_DEP_2)
	v_cmp_ne_u32_e32 vcc_lo, 0x7f00000, v3
                                        ; implicit-def: $vgpr3
	v_cndmask_b32_e32 v2, 0x7e, v2, vcc_lo
; %bb.1403:
	s_and_not1_saveexec_b32 s25, s25
; %bb.1404:
	v_add_f32_e32 v2, 0x46800000, v3
; %bb.1405:
	s_or_b32 exec_lo, exec_lo, s25
                                        ; implicit-def: $vgpr3
.LBB6_1406:
	s_and_not1_saveexec_b32 s23, s23
; %bb.1407:
	v_mov_b32_e32 v2, 0x7f
	v_cmp_lt_u32_e32 vcc_lo, 0x7f800000, v3
	s_delay_alu instid0(VALU_DEP_2)
	v_cndmask_b32_e32 v2, 0x7e, v2, vcc_lo
; %bb.1408:
	s_or_b32 exec_lo, exec_lo, s23
	global_store_b8 v[0:1], v2, off
.LBB6_1409:
	s_mov_b32 s23, 0
.LBB6_1410:
	s_delay_alu instid0(SALU_CYCLE_1)
	s_and_not1_b32 vcc_lo, exec_lo, s23
	s_cbranch_vccnz .LBB6_1420
; %bb.1411:
	s_wait_xcnt 0x0
	v_cndmask_b32_e64 v3, 0, 1.0, s20
	s_mov_b32 s23, exec_lo
                                        ; implicit-def: $vgpr2
	s_delay_alu instid0(VALU_DEP_1)
	v_cmpx_gt_u32_e32 0x47800000, v3
	s_xor_b32 s23, exec_lo, s23
	s_cbranch_execz .LBB6_1417
; %bb.1412:
	s_mov_b32 s25, exec_lo
                                        ; implicit-def: $vgpr2
	v_cmpx_lt_u32_e32 0x387fffff, v3
	s_xor_b32 s25, exec_lo, s25
; %bb.1413:
	v_bfe_u32 v2, v3, 21, 1
	s_delay_alu instid0(VALU_DEP_1) | instskip(NEXT) | instid1(VALU_DEP_1)
	v_add3_u32 v2, v3, v2, 0x80fffff
                                        ; implicit-def: $vgpr3
	v_lshrrev_b32_e32 v2, 21, v2
; %bb.1414:
	s_and_not1_saveexec_b32 s25, s25
; %bb.1415:
	v_add_f32_e32 v2, 0x43000000, v3
; %bb.1416:
	s_or_b32 exec_lo, exec_lo, s25
                                        ; implicit-def: $vgpr3
.LBB6_1417:
	s_and_not1_saveexec_b32 s23, s23
; %bb.1418:
	v_mov_b32_e32 v2, 0x7f
	v_cmp_lt_u32_e32 vcc_lo, 0x7f800000, v3
	s_delay_alu instid0(VALU_DEP_2)
	v_cndmask_b32_e32 v2, 0x7c, v2, vcc_lo
; %bb.1419:
	s_or_b32 exec_lo, exec_lo, s23
	global_store_b8 v[0:1], v2, off
.LBB6_1420:
	s_mov_b32 s23, 0
.LBB6_1421:
	s_delay_alu instid0(SALU_CYCLE_1)
	s_and_not1_b32 vcc_lo, exec_lo, s23
	s_mov_b32 s23, 0
	s_cbranch_vccnz .LBB6_1429
; %bb.1422:
	s_cmp_gt_i32 s17, 14
	s_mov_b32 s23, -1
	s_cbranch_scc0 .LBB6_1426
; %bb.1423:
	s_cmp_eq_u32 s17, 15
	s_mov_b32 s0, -1
	s_cbranch_scc0 .LBB6_1425
; %bb.1424:
	s_wait_xcnt 0x0
	v_cndmask_b32_e64 v2, 0, 1.0, s20
	s_mov_b32 s0, 0
	s_delay_alu instid0(VALU_DEP_1) | instskip(NEXT) | instid1(VALU_DEP_1)
	v_bfe_u32 v3, v2, 16, 1
	v_add3_u32 v2, v2, v3, 0x7fff
	global_store_d16_hi_b16 v[0:1], v2, off
.LBB6_1425:
	s_mov_b32 s23, 0
.LBB6_1426:
	s_delay_alu instid0(SALU_CYCLE_1)
	s_and_b32 vcc_lo, exec_lo, s23
	s_mov_b32 s23, 0
	s_cbranch_vccz .LBB6_1429
; %bb.1427:
	s_cmp_lg_u32 s17, 11
	s_mov_b32 s23, -1
	s_cselect_b32 s17, -1, 0
	s_and_not1_b32 s0, s0, exec_lo
	s_and_b32 s17, s17, exec_lo
	s_delay_alu instid0(SALU_CYCLE_1)
	s_or_b32 s0, s0, s17
	s_branch .LBB6_1429
.LBB6_1428:
	s_mov_b32 s23, 0
.LBB6_1429:
	s_and_not1_b32 s17, s19, exec_lo
	s_and_b32 s19, s0, exec_lo
	s_and_b32 s25, s22, exec_lo
	;; [unrolled: 1-line block ×3, first 2 shown]
	s_or_b32 s19, s17, s19
	s_wait_xcnt 0x0
	s_or_b32 exec_lo, exec_lo, s24
	s_and_saveexec_b32 s17, s19
	s_cbranch_execz .LBB6_1351
.LBB6_1430:
	s_or_b32 s18, s18, exec_lo
	s_and_not1_b32 s0, s0, exec_lo
	s_trap 2
	s_or_b32 exec_lo, exec_lo, s17
	s_and_saveexec_b32 s17, s0
	s_delay_alu instid0(SALU_CYCLE_1)
	s_xor_b32 s0, exec_lo, s17
	s_cbranch_execz .LBB6_1352
.LBB6_1431:
	v_cndmask_b32_e64 v2, 0, 1, s20
	global_store_b8 v[0:1], v2, off
	s_wait_xcnt 0x0
	s_or_b32 exec_lo, exec_lo, s0
	s_and_saveexec_b32 s0, s25
	s_delay_alu instid0(SALU_CYCLE_1)
	s_xor_b32 s0, exec_lo, s0
	s_cbranch_execz .LBB6_1469
.LBB6_1432:
	s_sext_i32_i16 s19, s21
	s_mov_b32 s17, -1
	s_cmp_lt_i32 s19, 5
	s_cbranch_scc1 .LBB6_1453
; %bb.1433:
	s_cmp_lt_i32 s19, 8
	s_cbranch_scc1 .LBB6_1443
; %bb.1434:
	;; [unrolled: 3-line block ×3, first 2 shown]
	s_cmp_gt_i32 s19, 9
	s_cbranch_scc0 .LBB6_1437
; %bb.1436:
	v_cndmask_b32_e64 v2, 0, 1, s20
	v_mov_b32_e32 v4, 0
	s_mov_b32 s17, 0
	s_delay_alu instid0(VALU_DEP_2) | instskip(NEXT) | instid1(VALU_DEP_2)
	v_cvt_f64_u32_e32 v[2:3], v2
	v_mov_b32_e32 v5, v4
	global_store_b128 v[0:1], v[2:5], off
.LBB6_1437:
	s_and_not1_b32 vcc_lo, exec_lo, s17
	s_cbranch_vccnz .LBB6_1439
; %bb.1438:
	s_wait_xcnt 0x0
	v_cndmask_b32_e64 v2, 0, 1.0, s20
	v_mov_b32_e32 v3, 0
	global_store_b64 v[0:1], v[2:3], off
.LBB6_1439:
	s_mov_b32 s17, 0
.LBB6_1440:
	s_delay_alu instid0(SALU_CYCLE_1)
	s_and_not1_b32 vcc_lo, exec_lo, s17
	s_cbranch_vccnz .LBB6_1442
; %bb.1441:
	s_wait_xcnt 0x0
	v_cndmask_b32_e64 v2, 0, 1.0, s20
	s_delay_alu instid0(VALU_DEP_1) | instskip(NEXT) | instid1(VALU_DEP_1)
	v_cvt_f16_f32_e32 v2, v2
	v_and_b32_e32 v2, 0xffff, v2
	global_store_b32 v[0:1], v2, off
.LBB6_1442:
	s_mov_b32 s17, 0
.LBB6_1443:
	s_delay_alu instid0(SALU_CYCLE_1)
	s_and_not1_b32 vcc_lo, exec_lo, s17
	s_cbranch_vccnz .LBB6_1452
; %bb.1444:
	s_sext_i32_i16 s19, s21
	s_mov_b32 s17, -1
	s_cmp_lt_i32 s19, 6
	s_cbranch_scc1 .LBB6_1450
; %bb.1445:
	s_cmp_gt_i32 s19, 6
	s_cbranch_scc0 .LBB6_1447
; %bb.1446:
	s_wait_xcnt 0x0
	v_cndmask_b32_e64 v2, 0, 1, s20
	s_mov_b32 s17, 0
	s_delay_alu instid0(VALU_DEP_1)
	v_cvt_f64_u32_e32 v[2:3], v2
	global_store_b64 v[0:1], v[2:3], off
.LBB6_1447:
	s_and_not1_b32 vcc_lo, exec_lo, s17
	s_cbranch_vccnz .LBB6_1449
; %bb.1448:
	s_wait_xcnt 0x0
	v_cndmask_b32_e64 v2, 0, 1.0, s20
	global_store_b32 v[0:1], v2, off
.LBB6_1449:
	s_mov_b32 s17, 0
.LBB6_1450:
	s_delay_alu instid0(SALU_CYCLE_1)
	s_and_not1_b32 vcc_lo, exec_lo, s17
	s_cbranch_vccnz .LBB6_1452
; %bb.1451:
	s_wait_xcnt 0x0
	v_cndmask_b32_e64 v2, 0, 1.0, s20
	s_delay_alu instid0(VALU_DEP_1)
	v_cvt_f16_f32_e32 v2, v2
	global_store_b16 v[0:1], v2, off
.LBB6_1452:
	s_mov_b32 s17, 0
.LBB6_1453:
	s_delay_alu instid0(SALU_CYCLE_1)
	s_and_not1_b32 vcc_lo, exec_lo, s17
	s_cbranch_vccnz .LBB6_1469
; %bb.1454:
	s_sext_i32_i16 s19, s21
	s_mov_b32 s17, -1
	s_cmp_lt_i32 s19, 2
	s_cbranch_scc1 .LBB6_1464
; %bb.1455:
	s_cmp_lt_i32 s19, 3
	s_cbranch_scc1 .LBB6_1461
; %bb.1456:
	s_cmp_gt_i32 s19, 3
	s_cbranch_scc0 .LBB6_1458
; %bb.1457:
	s_mov_b32 s17, 0
	s_wait_xcnt 0x0
	v_cndmask_b32_e64 v2, 0, 1, s20
	v_mov_b32_e32 v3, s17
	global_store_b64 v[0:1], v[2:3], off
.LBB6_1458:
	s_and_not1_b32 vcc_lo, exec_lo, s17
	s_cbranch_vccnz .LBB6_1460
; %bb.1459:
	s_wait_xcnt 0x0
	v_cndmask_b32_e64 v2, 0, 1, s20
	global_store_b32 v[0:1], v2, off
.LBB6_1460:
	s_mov_b32 s17, 0
.LBB6_1461:
	s_delay_alu instid0(SALU_CYCLE_1)
	s_and_not1_b32 vcc_lo, exec_lo, s17
	s_cbranch_vccnz .LBB6_1463
; %bb.1462:
	s_wait_xcnt 0x0
	v_cndmask_b32_e64 v2, 0, 1, s20
	global_store_b16 v[0:1], v2, off
.LBB6_1463:
	s_mov_b32 s17, 0
.LBB6_1464:
	s_delay_alu instid0(SALU_CYCLE_1)
	s_and_not1_b32 vcc_lo, exec_lo, s17
	s_cbranch_vccnz .LBB6_1469
; %bb.1465:
	s_wait_xcnt 0x0
	v_cndmask_b32_e64 v2, 0, 1, s20
	s_sext_i32_i16 s17, s21
	s_delay_alu instid0(SALU_CYCLE_1)
	s_cmp_gt_i32 s17, 0
	s_mov_b32 s17, -1
	s_cbranch_scc0 .LBB6_1467
; %bb.1466:
	s_mov_b32 s17, 0
	global_store_b8 v[0:1], v2, off
.LBB6_1467:
	s_and_not1_b32 vcc_lo, exec_lo, s17
	s_cbranch_vccnz .LBB6_1469
; %bb.1468:
	global_store_b8 v[0:1], v2, off
.LBB6_1469:
	s_wait_xcnt 0x0
	s_or_b32 exec_lo, exec_lo, s0
	s_delay_alu instid0(SALU_CYCLE_1)
	s_and_b32 s17, s18, exec_lo
                                        ; implicit-def: $vgpr6
.LBB6_1470:
	s_or_saveexec_b32 s16, s16
	s_mov_b32 s0, 0
                                        ; implicit-def: $sgpr19
                                        ; implicit-def: $sgpr18
                                        ; implicit-def: $vgpr0_vgpr1
	s_xor_b32 exec_lo, exec_lo, s16
	s_cbranch_execz .LBB6_2896
; %bb.1471:
	s_and_b32 s19, s15, 0xff
	s_delay_alu instid0(SALU_CYCLE_1)
	s_cmp_lt_i32 s19, 23
	s_cbranch_scc1 .LBB6_1475
; %bb.1472:
	s_and_b32 s15, 0xffff, s19
	s_delay_alu instid0(SALU_CYCLE_1)
	s_cmp_gt_i32 s15, 43
	s_cbranch_scc0 .LBB6_1476
; %bb.1473:
	s_cmp_gt_i32 s15, 45
	s_cbranch_scc0 .LBB6_1477
; %bb.1474:
	s_cmp_lg_u32 s15, 46
	s_mov_b32 s0, -1
	s_cselect_b32 s13, -1, 0
	s_cbranch_execz .LBB6_1478
	s_branch .LBB6_1479
.LBB6_1475:
	s_cbranch_execnz .LBB6_1482
	s_branch .LBB6_1486
.LBB6_1476:
	s_cbranch_execnz .LBB6_1480
	s_branch .LBB6_1481
.LBB6_1477:
.LBB6_1478:
	s_cmp_eq_u32 s15, 44
	s_cselect_b32 s0, -1, 0
	s_cmp_lg_u32 s15, 44
	s_cselect_b32 s13, -1, 0
.LBB6_1479:
	s_branch .LBB6_1481
.LBB6_1480:
	s_cmp_lt_i32 s15, 30
	s_cselect_b32 s0, -1, 0
	s_cmp_gt_i32 s15, 29
	s_cselect_b32 s13, -1, 0
.LBB6_1481:
	s_branch .LBB6_1486
.LBB6_1482:
	s_and_b32 s15, 0xffff, s19
	s_mov_b32 s18, -1
	s_cmp_gt_i32 s15, 14
	s_cbranch_scc0 .LBB6_1484
; %bb.1483:
	s_cmp_eq_u32 s15, 15
	s_mov_b32 s18, 0
	s_cselect_b32 s0, -1, 0
	s_cmp_lg_u32 s15, 15
	s_cselect_b32 s13, -1, 0
.LBB6_1484:
	s_and_not1_b32 vcc_lo, exec_lo, s18
	s_cbranch_vccnz .LBB6_1486
; %bb.1485:
	s_cmp_lt_i32 s15, 12
	s_cselect_b32 s0, -1, 0
	s_cmp_gt_i32 s15, 11
	s_cselect_b32 s13, -1, 0
.LBB6_1486:
	s_delay_alu instid0(SALU_CYCLE_1)
	s_and_b32 vcc_lo, exec_lo, s13
	s_mov_b32 s13, s17
	s_cbranch_vccnz .LBB6_1499
; %bb.1487:
	s_and_not1_b32 vcc_lo, exec_lo, s0
	s_cbranch_vccnz .LBB6_2894
.LBB6_1488:
	v_mul_lo_u32 v0, s4, v6
	s_and_b32 s15, s12, 0xff
	s_delay_alu instid0(SALU_CYCLE_1) | instskip(NEXT) | instid1(VALU_DEP_1)
	s_cmp_lt_i32 s15, 11
	v_ashrrev_i32_e32 v1, 31, v0
	s_delay_alu instid0(VALU_DEP_1)
	v_add_nc_u64_e32 v[2:3], s[8:9], v[0:1]
	s_cbranch_scc1 .LBB6_1495
; %bb.1489:
	s_and_b32 s0, 0xffff, s15
	s_mov_b32 s21, 0
	s_cmp_gt_i32 s0, 25
	s_cbranch_scc0 .LBB6_1497
; %bb.1490:
	s_cmp_gt_i32 s0, 28
	s_cbranch_scc0 .LBB6_1498
; %bb.1491:
	s_cmp_gt_i32 s0, 43
	s_cbranch_scc0 .LBB6_1500
; %bb.1492:
	s_cmp_gt_i32 s0, 45
	s_cbranch_scc0 .LBB6_1501
; %bb.1493:
	s_cmp_eq_u32 s0, 46
	s_mov_b32 s22, 0
	s_cbranch_scc0 .LBB6_1504
; %bb.1494:
	global_load_b32 v1, v[2:3], off
	s_mov_b32 s18, 0
	s_mov_b32 s20, -1
	s_wait_loadcnt 0x0
	v_and_b32_e32 v1, 0x7fff7fff, v1
	s_delay_alu instid0(VALU_DEP_1)
	v_cmp_ne_u32_e64 s12, 0, v1
	s_branch .LBB6_1506
.LBB6_1495:
	s_mov_b32 s20, 0
                                        ; implicit-def: $sgpr12
	s_cbranch_execnz .LBB6_1553
.LBB6_1496:
	s_and_not1_b32 vcc_lo, exec_lo, s20
	s_cbranch_vccz .LBB6_1600
	s_branch .LBB6_2894
.LBB6_1497:
	s_mov_b32 s20, 0
	s_mov_b32 s18, 0
                                        ; implicit-def: $sgpr12
	s_cbranch_execnz .LBB6_1527
	s_branch .LBB6_1549
.LBB6_1498:
	s_mov_b32 s22, -1
	s_mov_b32 s20, 0
	s_mov_b32 s18, 0
                                        ; implicit-def: $sgpr12
	s_branch .LBB6_1514
.LBB6_1499:
	s_or_b32 s13, s17, exec_lo
	s_trap 2
	s_cbranch_execz .LBB6_1488
	s_branch .LBB6_2894
.LBB6_1500:
	s_mov_b32 s22, -1
	s_mov_b32 s20, 0
	s_mov_b32 s18, 0
                                        ; implicit-def: $sgpr12
	s_branch .LBB6_1509
.LBB6_1501:
	s_mov_b32 s22, -1
	s_mov_b32 s20, 0
	s_mov_b32 s18, 0
	s_branch .LBB6_1505
.LBB6_1502:
	v_bfe_u32 v2, v3, 20, 1
	s_mov_b32 s23, exec_lo
	s_delay_alu instid0(VALU_DEP_1) | instskip(NEXT) | instid1(VALU_DEP_1)
	v_add3_u32 v2, v3, v2, 0x487ffff
                                        ; implicit-def: $vgpr3
	v_lshrrev_b32_e32 v2, 20, v2
	s_and_not1_saveexec_b32 s25, s25
	s_cbranch_execz .LBB6_1383
.LBB6_1503:
	v_add_f32_e32 v2, 0x46000000, v3
	s_and_not1_b32 s23, s23, exec_lo
	s_delay_alu instid0(VALU_DEP_1) | instskip(NEXT) | instid1(VALU_DEP_1)
	v_and_b32_e32 v2, 0xff, v2
	v_cmp_ne_u32_e32 vcc_lo, 0, v2
	s_and_b32 s26, vcc_lo, exec_lo
	s_delay_alu instid0(SALU_CYCLE_1)
	s_or_b32 s23, s23, s26
	s_or_b32 exec_lo, exec_lo, s25
	v_mov_b32_e32 v4, 0
	s_and_saveexec_b32 s25, s23
	s_cbranch_execnz .LBB6_1384
	s_branch .LBB6_1385
.LBB6_1504:
	s_mov_b32 s18, -1
	s_mov_b32 s20, 0
.LBB6_1505:
                                        ; implicit-def: $sgpr12
.LBB6_1506:
	s_and_b32 vcc_lo, exec_lo, s22
	s_cbranch_vccz .LBB6_1508
; %bb.1507:
	s_cmp_lg_u32 s0, 44
	s_mov_b32 s20, -1
	s_cselect_b32 s18, -1, 0
	s_or_b32 s12, s12, exec_lo
.LBB6_1508:
	s_mov_b32 s22, 0
.LBB6_1509:
	s_delay_alu instid0(SALU_CYCLE_1)
	s_and_b32 vcc_lo, exec_lo, s22
	s_cbranch_vccz .LBB6_1513
; %bb.1510:
	s_cmp_eq_u32 s0, 29
	s_cbranch_scc0 .LBB6_1512
; %bb.1511:
	global_load_b64 v[4:5], v[2:3], off
	s_mov_b32 s18, 0
	s_mov_b32 s20, -1
	s_mov_b32 s22, 0
	s_wait_loadcnt 0x0
	v_cmp_ne_u64_e64 s12, 0, v[4:5]
	s_branch .LBB6_1514
.LBB6_1512:
	s_mov_b32 s18, -1
                                        ; implicit-def: $sgpr12
.LBB6_1513:
	s_mov_b32 s22, 0
.LBB6_1514:
	s_delay_alu instid0(SALU_CYCLE_1)
	s_and_b32 vcc_lo, exec_lo, s22
	s_cbranch_vccz .LBB6_1526
; %bb.1515:
	s_cmp_lt_i32 s0, 27
	s_cbranch_scc1 .LBB6_1518
; %bb.1516:
	s_cmp_gt_i32 s0, 27
	s_cbranch_scc0 .LBB6_1519
; %bb.1517:
	global_load_b32 v1, v[2:3], off
	s_mov_b32 s20, 0
	s_wait_loadcnt 0x0
	v_cmp_ne_u32_e64 s12, 0, v1
	s_branch .LBB6_1520
.LBB6_1518:
	s_mov_b32 s20, -1
                                        ; implicit-def: $sgpr12
	s_branch .LBB6_1523
.LBB6_1519:
	s_mov_b32 s20, -1
                                        ; implicit-def: $sgpr12
.LBB6_1520:
	s_delay_alu instid0(SALU_CYCLE_1)
	s_and_not1_b32 vcc_lo, exec_lo, s20
	s_cbranch_vccnz .LBB6_1522
; %bb.1521:
	global_load_u16 v1, v[2:3], off
	s_and_not1_b32 s12, s12, exec_lo
	s_wait_loadcnt 0x0
	v_cmp_ne_u16_e32 vcc_lo, 0, v1
	s_and_b32 s20, vcc_lo, exec_lo
	s_delay_alu instid0(SALU_CYCLE_1)
	s_or_b32 s12, s12, s20
.LBB6_1522:
	s_mov_b32 s20, 0
.LBB6_1523:
	s_delay_alu instid0(SALU_CYCLE_1)
	s_and_not1_b32 vcc_lo, exec_lo, s20
	s_cbranch_vccnz .LBB6_1525
; %bb.1524:
	global_load_u8 v1, v[2:3], off
	s_and_not1_b32 s12, s12, exec_lo
	s_wait_loadcnt 0x0
	v_cmp_ne_u16_e32 vcc_lo, 0, v1
	s_and_b32 s20, vcc_lo, exec_lo
	s_delay_alu instid0(SALU_CYCLE_1)
	s_or_b32 s12, s12, s20
.LBB6_1525:
	s_mov_b32 s20, -1
.LBB6_1526:
	s_branch .LBB6_1549
.LBB6_1527:
	s_cmp_gt_i32 s0, 22
	s_cbranch_scc0 .LBB6_1531
; %bb.1528:
	s_cmp_lt_i32 s0, 24
	s_cbranch_scc1 .LBB6_1532
; %bb.1529:
	s_cmp_gt_i32 s0, 24
	s_cbranch_scc0 .LBB6_1533
; %bb.1530:
	global_load_u8 v1, v[2:3], off
	s_mov_b32 s20, 0
	s_wait_loadcnt 0x0
	v_cmp_ne_u16_e64 s12, 0, v1
	s_branch .LBB6_1534
.LBB6_1531:
	s_mov_b32 s21, -1
                                        ; implicit-def: $sgpr12
	s_branch .LBB6_1540
.LBB6_1532:
	s_mov_b32 s20, -1
                                        ; implicit-def: $sgpr12
	s_branch .LBB6_1537
.LBB6_1533:
	s_mov_b32 s20, -1
                                        ; implicit-def: $sgpr12
.LBB6_1534:
	s_delay_alu instid0(SALU_CYCLE_1)
	s_and_not1_b32 vcc_lo, exec_lo, s20
	s_cbranch_vccnz .LBB6_1536
; %bb.1535:
	global_load_u8 v1, v[2:3], off
	s_and_not1_b32 s12, s12, exec_lo
	s_wait_loadcnt 0x0
	v_and_b32_e32 v1, 0x7f, v1
	s_delay_alu instid0(VALU_DEP_1) | instskip(SKIP_1) | instid1(SALU_CYCLE_1)
	v_cmp_ne_u16_e32 vcc_lo, 0, v1
	s_and_b32 s20, vcc_lo, exec_lo
	s_or_b32 s12, s12, s20
.LBB6_1536:
	s_mov_b32 s20, 0
.LBB6_1537:
	s_delay_alu instid0(SALU_CYCLE_1)
	s_and_not1_b32 vcc_lo, exec_lo, s20
	s_cbranch_vccnz .LBB6_1539
; %bb.1538:
	global_load_u8 v1, v[2:3], off
	s_and_not1_b32 s12, s12, exec_lo
	s_wait_loadcnt 0x0
	v_dual_lshlrev_b32 v4, 25, v1 :: v_dual_lshlrev_b32 v1, 8, v1
	s_delay_alu instid0(VALU_DEP_1) | instskip(NEXT) | instid1(VALU_DEP_2)
	v_cmp_gt_u32_e32 vcc_lo, 0x8000000, v4
	v_and_or_b32 v1, 0x7f00, v1, 0.5
	s_delay_alu instid0(VALU_DEP_1) | instskip(NEXT) | instid1(VALU_DEP_1)
	v_dual_lshrrev_b32 v5, 4, v4 :: v_dual_add_f32 v1, -0.5, v1
	v_or_b32_e32 v5, 0x70000000, v5
	s_delay_alu instid0(VALU_DEP_1) | instskip(NEXT) | instid1(VALU_DEP_1)
	v_mul_f32_e32 v5, 0x7800000, v5
	v_cndmask_b32_e32 v1, v5, v1, vcc_lo
	s_delay_alu instid0(VALU_DEP_1) | instskip(SKIP_1) | instid1(SALU_CYCLE_1)
	v_cmp_neq_f32_e32 vcc_lo, 0, v1
	s_and_b32 s20, vcc_lo, exec_lo
	s_or_b32 s12, s12, s20
.LBB6_1539:
	s_mov_b32 s20, -1
.LBB6_1540:
	s_and_not1_b32 vcc_lo, exec_lo, s21
	s_mov_b32 s21, 0
	s_cbranch_vccnz .LBB6_1549
; %bb.1541:
	s_cmp_gt_i32 s0, 14
	s_cbranch_scc0 .LBB6_1544
; %bb.1542:
	s_cmp_eq_u32 s0, 15
	s_cbranch_scc0 .LBB6_1545
; %bb.1543:
	global_load_u16 v1, v[2:3], off
	s_mov_b32 s18, 0
	s_mov_b32 s20, -1
	s_wait_loadcnt 0x0
	v_and_b32_e32 v1, 0x7fff, v1
	s_delay_alu instid0(VALU_DEP_1)
	v_cmp_ne_u16_e64 s12, 0, v1
	s_branch .LBB6_1547
.LBB6_1544:
	s_mov_b32 s21, -1
	s_branch .LBB6_1546
.LBB6_1545:
	s_mov_b32 s18, -1
.LBB6_1546:
                                        ; implicit-def: $sgpr12
.LBB6_1547:
	s_and_b32 vcc_lo, exec_lo, s21
	s_mov_b32 s21, 0
	s_cbranch_vccz .LBB6_1549
; %bb.1548:
	s_cmp_lg_u32 s0, 11
	s_mov_b32 s21, -1
	s_cselect_b32 s18, -1, 0
.LBB6_1549:
	s_delay_alu instid0(SALU_CYCLE_1)
	s_and_b32 vcc_lo, exec_lo, s18
	s_cbranch_vccnz .LBB6_1612
; %bb.1550:
	s_and_not1_b32 vcc_lo, exec_lo, s21
	s_cbranch_vccnz .LBB6_1552
.LBB6_1551:
	global_load_u8 v1, v[2:3], off
	s_and_not1_b32 s0, s12, exec_lo
	s_mov_b32 s20, -1
	s_wait_loadcnt 0x0
	v_cmp_ne_u16_e32 vcc_lo, 0, v1
	s_and_b32 s12, vcc_lo, exec_lo
	s_delay_alu instid0(SALU_CYCLE_1)
	s_or_b32 s12, s0, s12
.LBB6_1552:
	s_branch .LBB6_1496
.LBB6_1553:
	s_and_b32 s18, 0xffff, s15
	s_delay_alu instid0(SALU_CYCLE_1)
	s_cmp_lt_i32 s18, 5
	s_cbranch_scc1 .LBB6_1558
; %bb.1554:
	s_cmp_lt_i32 s18, 8
	s_cbranch_scc1 .LBB6_1559
; %bb.1555:
	;; [unrolled: 3-line block ×3, first 2 shown]
	s_cmp_gt_i32 s18, 9
	s_cbranch_scc0 .LBB6_1561
; %bb.1557:
	global_load_b128 v[8:11], v[2:3], off
	s_wait_loadcnt 0x0
	v_cmp_neq_f64_e32 vcc_lo, 0, v[8:9]
	v_cmp_neq_f64_e64 s0, 0, v[10:11]
	s_or_b32 s12, vcc_lo, s0
	s_mov_b32 s0, 0
	s_branch .LBB6_1562
.LBB6_1558:
                                        ; implicit-def: $sgpr12
	s_branch .LBB6_1580
.LBB6_1559:
	s_mov_b32 s0, -1
                                        ; implicit-def: $sgpr12
	s_branch .LBB6_1568
.LBB6_1560:
	s_mov_b32 s0, -1
                                        ; implicit-def: $sgpr12
	s_branch .LBB6_1565
.LBB6_1561:
	s_mov_b32 s0, -1
                                        ; implicit-def: $sgpr12
.LBB6_1562:
	s_delay_alu instid0(SALU_CYCLE_1)
	s_and_not1_b32 vcc_lo, exec_lo, s0
	s_cbranch_vccnz .LBB6_1564
; %bb.1563:
	global_load_b64 v[4:5], v[2:3], off
	s_and_not1_b32 s0, s12, exec_lo
	s_wait_loadcnt 0x0
	v_bitop3_b32 v1, v4, 0x7fffffff, v5 bitop3:0xc8
	s_delay_alu instid0(VALU_DEP_1) | instskip(SKIP_1) | instid1(SALU_CYCLE_1)
	v_cmp_ne_u32_e32 vcc_lo, 0, v1
	s_and_b32 s12, vcc_lo, exec_lo
	s_or_b32 s12, s0, s12
.LBB6_1564:
	s_mov_b32 s0, 0
.LBB6_1565:
	s_delay_alu instid0(SALU_CYCLE_1)
	s_and_not1_b32 vcc_lo, exec_lo, s0
	s_cbranch_vccnz .LBB6_1567
; %bb.1566:
	global_load_b32 v1, v[2:3], off
	s_and_not1_b32 s0, s12, exec_lo
	s_wait_loadcnt 0x0
	v_and_b32_e32 v1, 0x7fff7fff, v1
	s_delay_alu instid0(VALU_DEP_1) | instskip(SKIP_1) | instid1(SALU_CYCLE_1)
	v_cmp_ne_u32_e32 vcc_lo, 0, v1
	s_and_b32 s12, vcc_lo, exec_lo
	s_or_b32 s12, s0, s12
.LBB6_1567:
	s_mov_b32 s0, 0
.LBB6_1568:
	s_delay_alu instid0(SALU_CYCLE_1)
	s_and_not1_b32 vcc_lo, exec_lo, s0
	s_cbranch_vccnz .LBB6_1579
; %bb.1569:
	s_cmp_lt_i32 s18, 6
	s_cbranch_scc1 .LBB6_1572
; %bb.1570:
	s_cmp_gt_i32 s18, 6
	s_cbranch_scc0 .LBB6_1573
; %bb.1571:
	global_load_b64 v[4:5], v[2:3], off
	s_mov_b32 s0, 0
	s_wait_loadcnt 0x0
	v_cmp_neq_f64_e64 s12, 0, v[4:5]
	s_branch .LBB6_1574
.LBB6_1572:
	s_mov_b32 s0, -1
                                        ; implicit-def: $sgpr12
	s_branch .LBB6_1577
.LBB6_1573:
	s_mov_b32 s0, -1
                                        ; implicit-def: $sgpr12
.LBB6_1574:
	s_delay_alu instid0(SALU_CYCLE_1)
	s_and_not1_b32 vcc_lo, exec_lo, s0
	s_cbranch_vccnz .LBB6_1576
; %bb.1575:
	global_load_b32 v1, v[2:3], off
	s_and_not1_b32 s0, s12, exec_lo
	s_wait_loadcnt 0x0
	v_cmp_neq_f32_e32 vcc_lo, 0, v1
	s_and_b32 s12, vcc_lo, exec_lo
	s_delay_alu instid0(SALU_CYCLE_1)
	s_or_b32 s12, s0, s12
.LBB6_1576:
	s_mov_b32 s0, 0
.LBB6_1577:
	s_delay_alu instid0(SALU_CYCLE_1)
	s_and_not1_b32 vcc_lo, exec_lo, s0
	s_cbranch_vccnz .LBB6_1579
; %bb.1578:
	global_load_u16 v1, v[2:3], off
	s_and_not1_b32 s0, s12, exec_lo
	s_wait_loadcnt 0x0
	v_and_b32_e32 v1, 0x7fff, v1
	s_delay_alu instid0(VALU_DEP_1) | instskip(SKIP_1) | instid1(SALU_CYCLE_1)
	v_cmp_ne_u16_e32 vcc_lo, 0, v1
	s_and_b32 s12, vcc_lo, exec_lo
	s_or_b32 s12, s0, s12
.LBB6_1579:
	s_cbranch_execnz .LBB6_1599
.LBB6_1580:
	s_cmp_lt_i32 s18, 2
	s_cbranch_scc1 .LBB6_1584
; %bb.1581:
	s_cmp_lt_i32 s18, 3
	s_cbranch_scc1 .LBB6_1585
; %bb.1582:
	s_cmp_gt_i32 s18, 3
	s_cbranch_scc0 .LBB6_1586
; %bb.1583:
	global_load_b64 v[4:5], v[2:3], off
	s_mov_b32 s0, 0
	s_wait_loadcnt 0x0
	v_cmp_ne_u64_e64 s12, 0, v[4:5]
	s_branch .LBB6_1587
.LBB6_1584:
	s_mov_b32 s0, -1
                                        ; implicit-def: $sgpr12
	s_branch .LBB6_1593
.LBB6_1585:
	s_mov_b32 s0, -1
                                        ; implicit-def: $sgpr12
	s_branch .LBB6_1590
.LBB6_1586:
	s_mov_b32 s0, -1
                                        ; implicit-def: $sgpr12
.LBB6_1587:
	s_delay_alu instid0(SALU_CYCLE_1)
	s_and_not1_b32 vcc_lo, exec_lo, s0
	s_cbranch_vccnz .LBB6_1589
; %bb.1588:
	global_load_b32 v1, v[2:3], off
	s_and_not1_b32 s0, s12, exec_lo
	s_wait_loadcnt 0x0
	v_cmp_ne_u32_e32 vcc_lo, 0, v1
	s_and_b32 s12, vcc_lo, exec_lo
	s_delay_alu instid0(SALU_CYCLE_1)
	s_or_b32 s12, s0, s12
.LBB6_1589:
	s_mov_b32 s0, 0
.LBB6_1590:
	s_delay_alu instid0(SALU_CYCLE_1)
	s_and_not1_b32 vcc_lo, exec_lo, s0
	s_cbranch_vccnz .LBB6_1592
; %bb.1591:
	global_load_u16 v1, v[2:3], off
	s_and_not1_b32 s0, s12, exec_lo
	s_wait_loadcnt 0x0
	v_cmp_ne_u16_e32 vcc_lo, 0, v1
	s_and_b32 s12, vcc_lo, exec_lo
	s_delay_alu instid0(SALU_CYCLE_1)
	s_or_b32 s12, s0, s12
.LBB6_1592:
	s_mov_b32 s0, 0
.LBB6_1593:
	s_delay_alu instid0(SALU_CYCLE_1)
	s_and_not1_b32 vcc_lo, exec_lo, s0
	s_cbranch_vccnz .LBB6_1599
; %bb.1594:
	s_cmp_gt_i32 s18, 0
	s_mov_b32 s0, 0
	s_cbranch_scc0 .LBB6_1596
; %bb.1595:
	global_load_u8 v1, v[2:3], off
	s_wait_loadcnt 0x0
	v_cmp_ne_u16_e64 s12, 0, v1
	s_branch .LBB6_1597
.LBB6_1596:
	s_mov_b32 s0, -1
                                        ; implicit-def: $sgpr12
.LBB6_1597:
	s_delay_alu instid0(SALU_CYCLE_1)
	s_and_not1_b32 vcc_lo, exec_lo, s0
	s_cbranch_vccnz .LBB6_1599
; %bb.1598:
	global_load_u8 v1, v[2:3], off
	s_and_not1_b32 s0, s12, exec_lo
	s_wait_loadcnt 0x0
	v_cmp_ne_u16_e32 vcc_lo, 0, v1
	s_and_b32 s12, vcc_lo, exec_lo
	s_delay_alu instid0(SALU_CYCLE_1)
	s_or_b32 s12, s0, s12
.LBB6_1599:
.LBB6_1600:
	s_wait_xcnt 0x0
	v_mul_lo_u32 v2, s5, v6
	s_and_b32 s18, s7, 0xff
	s_delay_alu instid0(SALU_CYCLE_1) | instskip(NEXT) | instid1(VALU_DEP_1)
	s_cmp_lt_i32 s18, 11
	v_ashrrev_i32_e32 v3, 31, v2
	s_delay_alu instid0(VALU_DEP_1)
	v_add_nc_u64_e32 v[4:5], s[10:11], v[2:3]
	s_cbranch_scc1 .LBB6_1607
; %bb.1601:
	s_and_b32 s0, 0xffff, s18
	s_mov_b32 s22, 0
	s_cmp_gt_i32 s0, 25
	s_cbranch_scc0 .LBB6_1609
; %bb.1602:
	s_cmp_gt_i32 s0, 28
	s_cbranch_scc0 .LBB6_1610
; %bb.1603:
	;; [unrolled: 3-line block ×4, first 2 shown]
	s_cmp_eq_u32 s0, 46
	s_mov_b32 s23, 0
	s_cbranch_scc0 .LBB6_1616
; %bb.1606:
	global_load_b32 v1, v[4:5], off
	s_mov_b32 s20, 0
	s_mov_b32 s21, -1
	s_wait_loadcnt 0x0
	v_and_b32_e32 v1, 0x7fff7fff, v1
	s_delay_alu instid0(VALU_DEP_1)
	v_cmp_ne_u32_e64 s7, 0, v1
	s_branch .LBB6_1618
.LBB6_1607:
	s_mov_b32 s21, 0
                                        ; implicit-def: $sgpr7
	s_cbranch_execnz .LBB6_1666
.LBB6_1608:
	s_and_not1_b32 vcc_lo, exec_lo, s21
	s_cbranch_vccz .LBB6_1714
	s_branch .LBB6_2894
.LBB6_1609:
	s_mov_b32 s23, -1
	s_mov_b32 s21, 0
	s_mov_b32 s20, 0
                                        ; implicit-def: $sgpr7
	s_branch .LBB6_1639
.LBB6_1610:
	s_mov_b32 s23, -1
	s_mov_b32 s21, 0
	s_mov_b32 s20, 0
                                        ; implicit-def: $sgpr7
	s_branch .LBB6_1626
.LBB6_1611:
	s_mov_b32 s23, -1
	s_mov_b32 s21, 0
	s_mov_b32 s20, 0
                                        ; implicit-def: $sgpr7
	s_branch .LBB6_1621
.LBB6_1612:
	s_mov_b32 s20, 0
	s_or_b32 s13, s13, exec_lo
	s_trap 2
	s_cbranch_execz .LBB6_1551
	s_branch .LBB6_1552
.LBB6_1613:
	s_mov_b32 s23, -1
	s_mov_b32 s21, 0
	s_mov_b32 s20, 0
	s_branch .LBB6_1617
.LBB6_1614:
	v_bfe_u32 v2, v3, 21, 1
	s_mov_b32 s25, exec_lo
	s_delay_alu instid0(VALU_DEP_1) | instskip(NEXT) | instid1(VALU_DEP_1)
	v_add3_u32 v2, v3, v2, 0x88fffff
                                        ; implicit-def: $vgpr3
	v_lshrrev_b32_e32 v2, 21, v2
	s_and_not1_saveexec_b32 s26, s26
	s_cbranch_execz .LBB6_1395
.LBB6_1615:
	v_add_f32_e32 v2, 0x42800000, v3
	s_and_not1_b32 s25, s25, exec_lo
	s_delay_alu instid0(VALU_DEP_1) | instskip(NEXT) | instid1(VALU_DEP_1)
	v_and_b32_e32 v2, 0xff, v2
	v_cmp_ne_u32_e32 vcc_lo, 0, v2
	s_and_b32 s27, vcc_lo, exec_lo
	s_delay_alu instid0(SALU_CYCLE_1)
	s_or_b32 s25, s25, s27
	s_or_b32 exec_lo, exec_lo, s26
	v_mov_b32_e32 v4, 0
	s_and_saveexec_b32 s26, s25
	s_cbranch_execnz .LBB6_1396
	s_branch .LBB6_1397
.LBB6_1616:
	s_mov_b32 s20, -1
	s_mov_b32 s21, 0
.LBB6_1617:
                                        ; implicit-def: $sgpr7
.LBB6_1618:
	s_and_b32 vcc_lo, exec_lo, s23
	s_cbranch_vccz .LBB6_1620
; %bb.1619:
	s_cmp_lg_u32 s0, 44
	s_mov_b32 s21, -1
	s_cselect_b32 s20, -1, 0
	s_or_b32 s7, s7, exec_lo
.LBB6_1620:
	s_mov_b32 s23, 0
.LBB6_1621:
	s_delay_alu instid0(SALU_CYCLE_1)
	s_and_b32 vcc_lo, exec_lo, s23
	s_cbranch_vccz .LBB6_1625
; %bb.1622:
	s_cmp_eq_u32 s0, 29
	s_cbranch_scc0 .LBB6_1624
; %bb.1623:
	global_load_b64 v[8:9], v[4:5], off
	s_mov_b32 s20, 0
	s_mov_b32 s21, -1
	s_mov_b32 s23, 0
	s_wait_loadcnt 0x0
	v_cmp_ne_u64_e64 s7, 0, v[8:9]
	s_branch .LBB6_1626
.LBB6_1624:
	s_mov_b32 s20, -1
                                        ; implicit-def: $sgpr7
.LBB6_1625:
	s_mov_b32 s23, 0
.LBB6_1626:
	s_delay_alu instid0(SALU_CYCLE_1)
	s_and_b32 vcc_lo, exec_lo, s23
	s_cbranch_vccz .LBB6_1638
; %bb.1627:
	s_cmp_lt_i32 s0, 27
	s_cbranch_scc1 .LBB6_1630
; %bb.1628:
	s_cmp_gt_i32 s0, 27
	s_cbranch_scc0 .LBB6_1631
; %bb.1629:
	global_load_b32 v1, v[4:5], off
	s_mov_b32 s21, 0
	s_wait_loadcnt 0x0
	v_cmp_ne_u32_e64 s7, 0, v1
	s_branch .LBB6_1632
.LBB6_1630:
	s_mov_b32 s21, -1
                                        ; implicit-def: $sgpr7
	s_branch .LBB6_1635
.LBB6_1631:
	s_mov_b32 s21, -1
                                        ; implicit-def: $sgpr7
.LBB6_1632:
	s_delay_alu instid0(SALU_CYCLE_1)
	s_and_not1_b32 vcc_lo, exec_lo, s21
	s_cbranch_vccnz .LBB6_1634
; %bb.1633:
	global_load_u16 v1, v[4:5], off
	s_and_not1_b32 s7, s7, exec_lo
	s_wait_loadcnt 0x0
	v_cmp_ne_u16_e32 vcc_lo, 0, v1
	s_and_b32 s21, vcc_lo, exec_lo
	s_delay_alu instid0(SALU_CYCLE_1)
	s_or_b32 s7, s7, s21
.LBB6_1634:
	s_mov_b32 s21, 0
.LBB6_1635:
	s_delay_alu instid0(SALU_CYCLE_1)
	s_and_not1_b32 vcc_lo, exec_lo, s21
	s_cbranch_vccnz .LBB6_1637
; %bb.1636:
	global_load_u8 v1, v[4:5], off
	s_and_not1_b32 s7, s7, exec_lo
	s_wait_loadcnt 0x0
	v_cmp_ne_u16_e32 vcc_lo, 0, v1
	s_and_b32 s21, vcc_lo, exec_lo
	s_delay_alu instid0(SALU_CYCLE_1)
	s_or_b32 s7, s7, s21
.LBB6_1637:
	s_mov_b32 s21, -1
.LBB6_1638:
	s_mov_b32 s23, 0
.LBB6_1639:
	s_delay_alu instid0(SALU_CYCLE_1)
	s_and_b32 vcc_lo, exec_lo, s23
	s_cbranch_vccz .LBB6_1662
; %bb.1640:
	s_cmp_gt_i32 s0, 22
	s_cbranch_scc0 .LBB6_1644
; %bb.1641:
	s_cmp_lt_i32 s0, 24
	s_cbranch_scc1 .LBB6_1645
; %bb.1642:
	s_cmp_gt_i32 s0, 24
	s_cbranch_scc0 .LBB6_1646
; %bb.1643:
	global_load_u8 v1, v[4:5], off
	s_mov_b32 s21, 0
	s_wait_loadcnt 0x0
	v_cmp_ne_u16_e64 s7, 0, v1
	s_branch .LBB6_1647
.LBB6_1644:
	s_mov_b32 s22, -1
                                        ; implicit-def: $sgpr7
	s_branch .LBB6_1653
.LBB6_1645:
	s_mov_b32 s21, -1
                                        ; implicit-def: $sgpr7
	s_branch .LBB6_1650
.LBB6_1646:
	s_mov_b32 s21, -1
                                        ; implicit-def: $sgpr7
.LBB6_1647:
	s_delay_alu instid0(SALU_CYCLE_1)
	s_and_not1_b32 vcc_lo, exec_lo, s21
	s_cbranch_vccnz .LBB6_1649
; %bb.1648:
	global_load_u8 v1, v[4:5], off
	s_and_not1_b32 s7, s7, exec_lo
	s_wait_loadcnt 0x0
	v_and_b32_e32 v1, 0x7f, v1
	s_delay_alu instid0(VALU_DEP_1) | instskip(SKIP_1) | instid1(SALU_CYCLE_1)
	v_cmp_ne_u16_e32 vcc_lo, 0, v1
	s_and_b32 s21, vcc_lo, exec_lo
	s_or_b32 s7, s7, s21
.LBB6_1649:
	s_mov_b32 s21, 0
.LBB6_1650:
	s_delay_alu instid0(SALU_CYCLE_1)
	s_and_not1_b32 vcc_lo, exec_lo, s21
	s_cbranch_vccnz .LBB6_1652
; %bb.1651:
	global_load_u8 v1, v[4:5], off
	s_and_not1_b32 s7, s7, exec_lo
	s_wait_loadcnt 0x0
	v_dual_lshlrev_b32 v3, 25, v1 :: v_dual_lshlrev_b32 v1, 8, v1
	s_delay_alu instid0(VALU_DEP_1) | instskip(NEXT) | instid1(VALU_DEP_2)
	v_cmp_gt_u32_e32 vcc_lo, 0x8000000, v3
	v_and_or_b32 v1, 0x7f00, v1, 0.5
	s_delay_alu instid0(VALU_DEP_1) | instskip(NEXT) | instid1(VALU_DEP_1)
	v_dual_lshrrev_b32 v7, 4, v3 :: v_dual_add_f32 v1, -0.5, v1
	v_or_b32_e32 v7, 0x70000000, v7
	s_delay_alu instid0(VALU_DEP_1) | instskip(NEXT) | instid1(VALU_DEP_1)
	v_mul_f32_e32 v7, 0x7800000, v7
	v_cndmask_b32_e32 v1, v7, v1, vcc_lo
	s_delay_alu instid0(VALU_DEP_1) | instskip(SKIP_1) | instid1(SALU_CYCLE_1)
	v_cmp_neq_f32_e32 vcc_lo, 0, v1
	s_and_b32 s21, vcc_lo, exec_lo
	s_or_b32 s7, s7, s21
.LBB6_1652:
	s_mov_b32 s21, -1
.LBB6_1653:
	s_and_not1_b32 vcc_lo, exec_lo, s22
	s_mov_b32 s22, 0
	s_cbranch_vccnz .LBB6_1662
; %bb.1654:
	s_cmp_gt_i32 s0, 14
	s_cbranch_scc0 .LBB6_1657
; %bb.1655:
	s_cmp_eq_u32 s0, 15
	s_cbranch_scc0 .LBB6_1658
; %bb.1656:
	global_load_u16 v1, v[4:5], off
	s_mov_b32 s20, 0
	s_mov_b32 s21, -1
	s_wait_loadcnt 0x0
	v_and_b32_e32 v1, 0x7fff, v1
	s_delay_alu instid0(VALU_DEP_1)
	v_cmp_ne_u16_e64 s7, 0, v1
	s_branch .LBB6_1660
.LBB6_1657:
	s_mov_b32 s22, -1
	s_branch .LBB6_1659
.LBB6_1658:
	s_mov_b32 s20, -1
.LBB6_1659:
                                        ; implicit-def: $sgpr7
.LBB6_1660:
	s_and_b32 vcc_lo, exec_lo, s22
	s_mov_b32 s22, 0
	s_cbranch_vccz .LBB6_1662
; %bb.1661:
	s_cmp_lg_u32 s0, 11
	s_mov_b32 s22, -1
	s_cselect_b32 s20, -1, 0
.LBB6_1662:
	s_delay_alu instid0(SALU_CYCLE_1)
	s_and_b32 vcc_lo, exec_lo, s20
	s_cbranch_vccnz .LBB6_1744
; %bb.1663:
	s_and_not1_b32 vcc_lo, exec_lo, s22
	s_cbranch_vccnz .LBB6_1665
.LBB6_1664:
	global_load_u8 v1, v[4:5], off
	s_and_not1_b32 s0, s7, exec_lo
	s_mov_b32 s21, -1
	s_wait_loadcnt 0x0
	v_cmp_ne_u16_e32 vcc_lo, 0, v1
	s_and_b32 s7, vcc_lo, exec_lo
	s_delay_alu instid0(SALU_CYCLE_1)
	s_or_b32 s7, s0, s7
.LBB6_1665:
	s_branch .LBB6_1608
.LBB6_1666:
	s_and_b32 s20, 0xffff, s18
	s_delay_alu instid0(SALU_CYCLE_1)
	s_cmp_lt_i32 s20, 5
	s_cbranch_scc1 .LBB6_1671
; %bb.1667:
	s_cmp_lt_i32 s20, 8
	s_cbranch_scc1 .LBB6_1672
; %bb.1668:
	;; [unrolled: 3-line block ×3, first 2 shown]
	s_cmp_gt_i32 s20, 9
	s_cbranch_scc0 .LBB6_1674
; %bb.1670:
	global_load_b128 v[8:11], v[4:5], off
	s_wait_loadcnt 0x0
	v_cmp_neq_f64_e32 vcc_lo, 0, v[8:9]
	v_cmp_neq_f64_e64 s0, 0, v[10:11]
	s_or_b32 s7, vcc_lo, s0
	s_mov_b32 s0, 0
	s_branch .LBB6_1675
.LBB6_1671:
	s_mov_b32 s0, -1
                                        ; implicit-def: $sgpr7
	s_branch .LBB6_1693
.LBB6_1672:
	s_mov_b32 s0, -1
                                        ; implicit-def: $sgpr7
	s_branch .LBB6_1681
.LBB6_1673:
	s_mov_b32 s0, -1
                                        ; implicit-def: $sgpr7
	s_branch .LBB6_1678
.LBB6_1674:
	s_mov_b32 s0, -1
                                        ; implicit-def: $sgpr7
.LBB6_1675:
	s_delay_alu instid0(SALU_CYCLE_1)
	s_and_not1_b32 vcc_lo, exec_lo, s0
	s_cbranch_vccnz .LBB6_1677
; %bb.1676:
	global_load_b64 v[8:9], v[4:5], off
	s_and_not1_b32 s0, s7, exec_lo
	s_wait_loadcnt 0x0
	v_bitop3_b32 v1, v8, 0x7fffffff, v9 bitop3:0xc8
	s_delay_alu instid0(VALU_DEP_1) | instskip(SKIP_1) | instid1(SALU_CYCLE_1)
	v_cmp_ne_u32_e32 vcc_lo, 0, v1
	s_and_b32 s7, vcc_lo, exec_lo
	s_or_b32 s7, s0, s7
.LBB6_1677:
	s_mov_b32 s0, 0
.LBB6_1678:
	s_delay_alu instid0(SALU_CYCLE_1)
	s_and_not1_b32 vcc_lo, exec_lo, s0
	s_cbranch_vccnz .LBB6_1680
; %bb.1679:
	global_load_b32 v1, v[4:5], off
	s_and_not1_b32 s0, s7, exec_lo
	s_wait_loadcnt 0x0
	v_and_b32_e32 v1, 0x7fff7fff, v1
	s_delay_alu instid0(VALU_DEP_1) | instskip(SKIP_1) | instid1(SALU_CYCLE_1)
	v_cmp_ne_u32_e32 vcc_lo, 0, v1
	s_and_b32 s7, vcc_lo, exec_lo
	s_or_b32 s7, s0, s7
.LBB6_1680:
	s_mov_b32 s0, 0
.LBB6_1681:
	s_delay_alu instid0(SALU_CYCLE_1)
	s_and_not1_b32 vcc_lo, exec_lo, s0
	s_cbranch_vccnz .LBB6_1692
; %bb.1682:
	s_cmp_lt_i32 s20, 6
	s_cbranch_scc1 .LBB6_1685
; %bb.1683:
	s_cmp_gt_i32 s20, 6
	s_cbranch_scc0 .LBB6_1686
; %bb.1684:
	global_load_b64 v[8:9], v[4:5], off
	s_mov_b32 s0, 0
	s_wait_loadcnt 0x0
	v_cmp_neq_f64_e64 s7, 0, v[8:9]
	s_branch .LBB6_1687
.LBB6_1685:
	s_mov_b32 s0, -1
                                        ; implicit-def: $sgpr7
	s_branch .LBB6_1690
.LBB6_1686:
	s_mov_b32 s0, -1
                                        ; implicit-def: $sgpr7
.LBB6_1687:
	s_delay_alu instid0(SALU_CYCLE_1)
	s_and_not1_b32 vcc_lo, exec_lo, s0
	s_cbranch_vccnz .LBB6_1689
; %bb.1688:
	global_load_b32 v1, v[4:5], off
	s_and_not1_b32 s0, s7, exec_lo
	s_wait_loadcnt 0x0
	v_cmp_neq_f32_e32 vcc_lo, 0, v1
	s_and_b32 s7, vcc_lo, exec_lo
	s_delay_alu instid0(SALU_CYCLE_1)
	s_or_b32 s7, s0, s7
.LBB6_1689:
	s_mov_b32 s0, 0
.LBB6_1690:
	s_delay_alu instid0(SALU_CYCLE_1)
	s_and_not1_b32 vcc_lo, exec_lo, s0
	s_cbranch_vccnz .LBB6_1692
; %bb.1691:
	global_load_u16 v1, v[4:5], off
	s_and_not1_b32 s0, s7, exec_lo
	s_wait_loadcnt 0x0
	v_and_b32_e32 v1, 0x7fff, v1
	s_delay_alu instid0(VALU_DEP_1) | instskip(SKIP_1) | instid1(SALU_CYCLE_1)
	v_cmp_ne_u16_e32 vcc_lo, 0, v1
	s_and_b32 s7, vcc_lo, exec_lo
	s_or_b32 s7, s0, s7
.LBB6_1692:
	s_mov_b32 s0, 0
.LBB6_1693:
	s_delay_alu instid0(SALU_CYCLE_1)
	s_and_not1_b32 vcc_lo, exec_lo, s0
	s_cbranch_vccnz .LBB6_1713
; %bb.1694:
	s_cmp_lt_i32 s20, 2
	s_cbranch_scc1 .LBB6_1698
; %bb.1695:
	s_cmp_lt_i32 s20, 3
	s_cbranch_scc1 .LBB6_1699
; %bb.1696:
	s_cmp_gt_i32 s20, 3
	s_cbranch_scc0 .LBB6_1700
; %bb.1697:
	global_load_b64 v[8:9], v[4:5], off
	s_mov_b32 s0, 0
	s_wait_loadcnt 0x0
	v_cmp_ne_u64_e64 s7, 0, v[8:9]
	s_branch .LBB6_1701
.LBB6_1698:
	s_mov_b32 s0, -1
                                        ; implicit-def: $sgpr7
	s_branch .LBB6_1707
.LBB6_1699:
	s_mov_b32 s0, -1
                                        ; implicit-def: $sgpr7
	s_branch .LBB6_1704
.LBB6_1700:
	s_mov_b32 s0, -1
                                        ; implicit-def: $sgpr7
.LBB6_1701:
	s_delay_alu instid0(SALU_CYCLE_1)
	s_and_not1_b32 vcc_lo, exec_lo, s0
	s_cbranch_vccnz .LBB6_1703
; %bb.1702:
	global_load_b32 v1, v[4:5], off
	s_and_not1_b32 s0, s7, exec_lo
	s_wait_loadcnt 0x0
	v_cmp_ne_u32_e32 vcc_lo, 0, v1
	s_and_b32 s7, vcc_lo, exec_lo
	s_delay_alu instid0(SALU_CYCLE_1)
	s_or_b32 s7, s0, s7
.LBB6_1703:
	s_mov_b32 s0, 0
.LBB6_1704:
	s_delay_alu instid0(SALU_CYCLE_1)
	s_and_not1_b32 vcc_lo, exec_lo, s0
	s_cbranch_vccnz .LBB6_1706
; %bb.1705:
	global_load_u16 v1, v[4:5], off
	s_and_not1_b32 s0, s7, exec_lo
	s_wait_loadcnt 0x0
	v_cmp_ne_u16_e32 vcc_lo, 0, v1
	s_and_b32 s7, vcc_lo, exec_lo
	s_delay_alu instid0(SALU_CYCLE_1)
	s_or_b32 s7, s0, s7
.LBB6_1706:
	s_mov_b32 s0, 0
.LBB6_1707:
	s_delay_alu instid0(SALU_CYCLE_1)
	s_and_not1_b32 vcc_lo, exec_lo, s0
	s_cbranch_vccnz .LBB6_1713
; %bb.1708:
	s_cmp_gt_i32 s20, 0
	s_mov_b32 s0, 0
	s_cbranch_scc0 .LBB6_1710
; %bb.1709:
	global_load_u8 v1, v[4:5], off
	s_wait_loadcnt 0x0
	v_cmp_ne_u16_e64 s7, 0, v1
	s_branch .LBB6_1711
.LBB6_1710:
	s_mov_b32 s0, -1
                                        ; implicit-def: $sgpr7
.LBB6_1711:
	s_delay_alu instid0(SALU_CYCLE_1)
	s_and_not1_b32 vcc_lo, exec_lo, s0
	s_cbranch_vccnz .LBB6_1713
; %bb.1712:
	global_load_u8 v1, v[4:5], off
	s_and_not1_b32 s0, s7, exec_lo
	s_wait_loadcnt 0x0
	v_cmp_ne_u16_e32 vcc_lo, 0, v1
	s_and_b32 s7, vcc_lo, exec_lo
	s_delay_alu instid0(SALU_CYCLE_1)
	s_or_b32 s7, s0, s7
.LBB6_1713:
.LBB6_1714:
	s_cmp_lt_i32 s19, 23
	s_cbranch_scc1 .LBB6_1718
; %bb.1715:
	s_and_b32 s21, 0xffff, s19
	s_delay_alu instid0(SALU_CYCLE_1)
	s_cmp_gt_i32 s21, 43
	s_cbranch_scc0 .LBB6_1719
; %bb.1716:
	s_cmp_gt_i32 s21, 45
	s_cbranch_scc0 .LBB6_1720
; %bb.1717:
	s_cmp_lg_u32 s21, 46
	s_mov_b32 s22, 0
	s_mov_b32 s0, -1
	s_cselect_b32 s20, -1, 0
	s_branch .LBB6_1721
.LBB6_1718:
	s_mov_b32 s21, -1
	s_mov_b32 s0, 0
	s_mov_b32 s20, 0
	s_branch .LBB6_1727
.LBB6_1719:
	s_mov_b32 s22, -1
	s_mov_b32 s0, 0
	s_mov_b32 s20, 0
	s_branch .LBB6_1724
.LBB6_1720:
	s_mov_b32 s22, -1
	s_mov_b32 s0, 0
	s_mov_b32 s20, 0
.LBB6_1721:
	s_and_not1_b32 vcc_lo, exec_lo, s22
	s_cbranch_vccnz .LBB6_1723
; %bb.1722:
	s_cmp_eq_u32 s21, 44
	s_cselect_b32 s0, -1, 0
	s_cmp_lg_u32 s21, 44
	s_cselect_b32 s20, -1, 0
.LBB6_1723:
	s_mov_b32 s22, 0
.LBB6_1724:
	s_delay_alu instid0(SALU_CYCLE_1)
	s_and_b32 vcc_lo, exec_lo, s22
	s_cbranch_vccz .LBB6_1726
; %bb.1725:
	s_cmp_lt_i32 s21, 30
	s_cselect_b32 s0, -1, 0
	s_cmp_gt_i32 s21, 29
	s_cselect_b32 s20, -1, 0
.LBB6_1726:
	s_mov_b32 s21, 0
.LBB6_1727:
	s_delay_alu instid0(SALU_CYCLE_1)
	s_and_b32 vcc_lo, exec_lo, s21
	s_cbranch_vccz .LBB6_1732
; %bb.1728:
	s_and_b32 s21, 0xffff, s19
	s_mov_b32 s22, -1
	s_cmp_gt_i32 s21, 14
	s_cbranch_scc0 .LBB6_1730
; %bb.1729:
	s_cmp_eq_u32 s21, 15
	s_mov_b32 s22, 0
	s_cselect_b32 s0, -1, 0
	s_cmp_lg_u32 s21, 15
	s_cselect_b32 s20, -1, 0
.LBB6_1730:
	s_and_not1_b32 vcc_lo, exec_lo, s22
	s_cbranch_vccnz .LBB6_1732
; %bb.1731:
	s_cmp_lt_i32 s21, 12
	s_cselect_b32 s0, -1, 0
	s_cmp_gt_i32 s21, 11
	s_cselect_b32 s20, -1, 0
.LBB6_1732:
	s_delay_alu instid0(SALU_CYCLE_1)
	s_and_b32 vcc_lo, exec_lo, s20
	s_cbranch_vccnz .LBB6_1745
; %bb.1733:
	s_and_not1_b32 vcc_lo, exec_lo, s0
	s_cbranch_vccnz .LBB6_2894
.LBB6_1734:
	s_lshl_b32 s22, s4, 7
	s_cmp_lt_i32 s15, 11
	v_add_nc_u32_e32 v0, s22, v0
	s_delay_alu instid0(VALU_DEP_1) | instskip(SKIP_1) | instid1(VALU_DEP_1)
	v_ashrrev_i32_e32 v1, 31, v0
	s_wait_xcnt 0x0
	v_add_nc_u64_e32 v[4:5], s[8:9], v[0:1]
	s_cbranch_scc1 .LBB6_1741
; %bb.1735:
	s_and_b32 s0, 0xffff, s15
	s_mov_b32 s23, 0
	s_cmp_gt_i32 s0, 25
	s_cbranch_scc0 .LBB6_1742
; %bb.1736:
	s_cmp_gt_i32 s0, 28
	s_cbranch_scc0 .LBB6_1743
; %bb.1737:
	;; [unrolled: 3-line block ×4, first 2 shown]
	s_cmp_eq_u32 s0, 46
	s_mov_b32 s24, 0
	s_cbranch_scc0 .LBB6_1748
; %bb.1740:
	global_load_b32 v1, v[4:5], off
	s_mov_b32 s20, 0
	s_mov_b32 s21, -1
	s_wait_loadcnt 0x0
	v_and_b32_e32 v1, 0x7fff7fff, v1
	s_delay_alu instid0(VALU_DEP_1)
	v_cmp_ne_u32_e64 s4, 0, v1
	s_branch .LBB6_1750
.LBB6_1741:
	s_mov_b32 s0, -1
	s_mov_b32 s21, 0
                                        ; implicit-def: $sgpr4
	s_branch .LBB6_1798
.LBB6_1742:
	s_mov_b32 s24, -1
	s_mov_b32 s21, 0
	s_mov_b32 s20, 0
                                        ; implicit-def: $sgpr4
	s_branch .LBB6_1771
.LBB6_1743:
	s_mov_b32 s24, -1
	s_mov_b32 s21, 0
	s_mov_b32 s20, 0
                                        ; implicit-def: $sgpr4
	s_branch .LBB6_1758
.LBB6_1744:
	s_mov_b32 s21, 0
	s_or_b32 s13, s13, exec_lo
	s_trap 2
	s_cbranch_execz .LBB6_1664
	s_branch .LBB6_1665
.LBB6_1745:
	s_or_b32 s13, s13, exec_lo
	s_trap 2
	s_cbranch_execz .LBB6_1734
	s_branch .LBB6_2894
.LBB6_1746:
	s_mov_b32 s24, -1
	s_mov_b32 s21, 0
	s_mov_b32 s20, 0
                                        ; implicit-def: $sgpr4
	s_branch .LBB6_1753
.LBB6_1747:
	s_mov_b32 s24, -1
	s_mov_b32 s21, 0
	s_mov_b32 s20, 0
	s_branch .LBB6_1749
.LBB6_1748:
	s_mov_b32 s20, -1
	s_mov_b32 s21, 0
.LBB6_1749:
                                        ; implicit-def: $sgpr4
.LBB6_1750:
	s_and_b32 vcc_lo, exec_lo, s24
	s_cbranch_vccz .LBB6_1752
; %bb.1751:
	s_cmp_lg_u32 s0, 44
	s_mov_b32 s21, -1
	s_cselect_b32 s20, -1, 0
	s_or_b32 s4, s4, exec_lo
.LBB6_1752:
	s_mov_b32 s24, 0
.LBB6_1753:
	s_delay_alu instid0(SALU_CYCLE_1)
	s_and_b32 vcc_lo, exec_lo, s24
	s_cbranch_vccz .LBB6_1757
; %bb.1754:
	s_cmp_eq_u32 s0, 29
	s_cbranch_scc0 .LBB6_1756
; %bb.1755:
	global_load_b64 v[8:9], v[4:5], off
	s_mov_b32 s20, 0
	s_mov_b32 s21, -1
	s_mov_b32 s24, 0
	s_wait_loadcnt 0x0
	v_cmp_ne_u64_e64 s4, 0, v[8:9]
	s_branch .LBB6_1758
.LBB6_1756:
	s_mov_b32 s20, -1
                                        ; implicit-def: $sgpr4
.LBB6_1757:
	s_mov_b32 s24, 0
.LBB6_1758:
	s_delay_alu instid0(SALU_CYCLE_1)
	s_and_b32 vcc_lo, exec_lo, s24
	s_cbranch_vccz .LBB6_1770
; %bb.1759:
	s_cmp_lt_i32 s0, 27
	s_cbranch_scc1 .LBB6_1762
; %bb.1760:
	s_cmp_gt_i32 s0, 27
	s_cbranch_scc0 .LBB6_1763
; %bb.1761:
	global_load_b32 v1, v[4:5], off
	s_mov_b32 s21, 0
	s_wait_loadcnt 0x0
	v_cmp_ne_u32_e64 s4, 0, v1
	s_branch .LBB6_1764
.LBB6_1762:
	s_mov_b32 s21, -1
                                        ; implicit-def: $sgpr4
	s_branch .LBB6_1767
.LBB6_1763:
	s_mov_b32 s21, -1
                                        ; implicit-def: $sgpr4
.LBB6_1764:
	s_delay_alu instid0(SALU_CYCLE_1)
	s_and_not1_b32 vcc_lo, exec_lo, s21
	s_cbranch_vccnz .LBB6_1766
; %bb.1765:
	global_load_u16 v1, v[4:5], off
	s_and_not1_b32 s4, s4, exec_lo
	s_wait_loadcnt 0x0
	v_cmp_ne_u16_e32 vcc_lo, 0, v1
	s_and_b32 s21, vcc_lo, exec_lo
	s_delay_alu instid0(SALU_CYCLE_1)
	s_or_b32 s4, s4, s21
.LBB6_1766:
	s_mov_b32 s21, 0
.LBB6_1767:
	s_delay_alu instid0(SALU_CYCLE_1)
	s_and_not1_b32 vcc_lo, exec_lo, s21
	s_cbranch_vccnz .LBB6_1769
; %bb.1768:
	global_load_u8 v1, v[4:5], off
	s_and_not1_b32 s4, s4, exec_lo
	s_wait_loadcnt 0x0
	v_cmp_ne_u16_e32 vcc_lo, 0, v1
	s_and_b32 s21, vcc_lo, exec_lo
	s_delay_alu instid0(SALU_CYCLE_1)
	s_or_b32 s4, s4, s21
.LBB6_1769:
	s_mov_b32 s21, -1
.LBB6_1770:
	s_mov_b32 s24, 0
.LBB6_1771:
	s_delay_alu instid0(SALU_CYCLE_1)
	s_and_b32 vcc_lo, exec_lo, s24
	s_cbranch_vccz .LBB6_1794
; %bb.1772:
	s_cmp_gt_i32 s0, 22
	s_cbranch_scc0 .LBB6_1776
; %bb.1773:
	s_cmp_lt_i32 s0, 24
	s_cbranch_scc1 .LBB6_1777
; %bb.1774:
	s_cmp_gt_i32 s0, 24
	s_cbranch_scc0 .LBB6_1778
; %bb.1775:
	global_load_u8 v1, v[4:5], off
	s_mov_b32 s21, 0
	s_wait_loadcnt 0x0
	v_cmp_ne_u16_e64 s4, 0, v1
	s_branch .LBB6_1779
.LBB6_1776:
	s_mov_b32 s23, -1
                                        ; implicit-def: $sgpr4
	s_branch .LBB6_1785
.LBB6_1777:
	s_mov_b32 s21, -1
                                        ; implicit-def: $sgpr4
	s_branch .LBB6_1782
.LBB6_1778:
	s_mov_b32 s21, -1
                                        ; implicit-def: $sgpr4
.LBB6_1779:
	s_delay_alu instid0(SALU_CYCLE_1)
	s_and_not1_b32 vcc_lo, exec_lo, s21
	s_cbranch_vccnz .LBB6_1781
; %bb.1780:
	global_load_u8 v1, v[4:5], off
	s_and_not1_b32 s4, s4, exec_lo
	s_wait_loadcnt 0x0
	v_and_b32_e32 v1, 0x7f, v1
	s_delay_alu instid0(VALU_DEP_1) | instskip(SKIP_1) | instid1(SALU_CYCLE_1)
	v_cmp_ne_u16_e32 vcc_lo, 0, v1
	s_and_b32 s21, vcc_lo, exec_lo
	s_or_b32 s4, s4, s21
.LBB6_1781:
	s_mov_b32 s21, 0
.LBB6_1782:
	s_delay_alu instid0(SALU_CYCLE_1)
	s_and_not1_b32 vcc_lo, exec_lo, s21
	s_cbranch_vccnz .LBB6_1784
; %bb.1783:
	global_load_u8 v1, v[4:5], off
	s_and_not1_b32 s4, s4, exec_lo
	s_wait_loadcnt 0x0
	v_dual_lshlrev_b32 v3, 25, v1 :: v_dual_lshlrev_b32 v1, 8, v1
	s_delay_alu instid0(VALU_DEP_1) | instskip(NEXT) | instid1(VALU_DEP_2)
	v_cmp_gt_u32_e32 vcc_lo, 0x8000000, v3
	v_and_or_b32 v1, 0x7f00, v1, 0.5
	s_delay_alu instid0(VALU_DEP_1) | instskip(NEXT) | instid1(VALU_DEP_1)
	v_dual_lshrrev_b32 v7, 4, v3 :: v_dual_add_f32 v1, -0.5, v1
	v_or_b32_e32 v7, 0x70000000, v7
	s_delay_alu instid0(VALU_DEP_1) | instskip(NEXT) | instid1(VALU_DEP_1)
	v_mul_f32_e32 v7, 0x7800000, v7
	v_cndmask_b32_e32 v1, v7, v1, vcc_lo
	s_delay_alu instid0(VALU_DEP_1) | instskip(SKIP_1) | instid1(SALU_CYCLE_1)
	v_cmp_neq_f32_e32 vcc_lo, 0, v1
	s_and_b32 s21, vcc_lo, exec_lo
	s_or_b32 s4, s4, s21
.LBB6_1784:
	s_mov_b32 s21, -1
.LBB6_1785:
	s_and_not1_b32 vcc_lo, exec_lo, s23
	s_mov_b32 s23, 0
	s_cbranch_vccnz .LBB6_1794
; %bb.1786:
	s_cmp_gt_i32 s0, 14
	s_cbranch_scc0 .LBB6_1789
; %bb.1787:
	s_cmp_eq_u32 s0, 15
	s_cbranch_scc0 .LBB6_1790
; %bb.1788:
	global_load_u16 v1, v[4:5], off
	s_mov_b32 s20, 0
	s_mov_b32 s21, -1
	s_wait_loadcnt 0x0
	v_and_b32_e32 v1, 0x7fff, v1
	s_delay_alu instid0(VALU_DEP_1)
	v_cmp_ne_u16_e64 s4, 0, v1
	s_branch .LBB6_1792
.LBB6_1789:
	s_mov_b32 s23, -1
	s_branch .LBB6_1791
.LBB6_1790:
	s_mov_b32 s20, -1
.LBB6_1791:
                                        ; implicit-def: $sgpr4
.LBB6_1792:
	s_and_b32 vcc_lo, exec_lo, s23
	s_mov_b32 s23, 0
	s_cbranch_vccz .LBB6_1794
; %bb.1793:
	s_cmp_lg_u32 s0, 11
	s_mov_b32 s23, -1
	s_cselect_b32 s20, -1, 0
.LBB6_1794:
	s_delay_alu instid0(SALU_CYCLE_1)
	s_and_b32 vcc_lo, exec_lo, s20
	s_cbranch_vccnz .LBB6_1859
; %bb.1795:
	s_and_not1_b32 vcc_lo, exec_lo, s23
	s_cbranch_vccnz .LBB6_1797
.LBB6_1796:
	global_load_u8 v1, v[4:5], off
	s_and_not1_b32 s0, s4, exec_lo
	s_mov_b32 s21, -1
	s_wait_loadcnt 0x0
	v_cmp_ne_u16_e32 vcc_lo, 0, v1
	s_and_b32 s4, vcc_lo, exec_lo
	s_delay_alu instid0(SALU_CYCLE_1)
	s_or_b32 s4, s0, s4
.LBB6_1797:
	s_mov_b32 s0, 0
.LBB6_1798:
	s_delay_alu instid0(SALU_CYCLE_1)
	s_and_b32 vcc_lo, exec_lo, s0
	s_cbranch_vccz .LBB6_1847
; %bb.1799:
	s_and_b32 s20, 0xffff, s15
	s_delay_alu instid0(SALU_CYCLE_1)
	s_cmp_lt_i32 s20, 5
	s_cbranch_scc1 .LBB6_1804
; %bb.1800:
	s_cmp_lt_i32 s20, 8
	s_cbranch_scc1 .LBB6_1805
; %bb.1801:
	;; [unrolled: 3-line block ×3, first 2 shown]
	s_cmp_gt_i32 s20, 9
	s_cbranch_scc0 .LBB6_1807
; %bb.1803:
	global_load_b128 v[8:11], v[4:5], off
	s_wait_loadcnt 0x0
	v_cmp_neq_f64_e32 vcc_lo, 0, v[8:9]
	v_cmp_neq_f64_e64 s0, 0, v[10:11]
	s_or_b32 s4, vcc_lo, s0
	s_mov_b32 s0, 0
	s_branch .LBB6_1808
.LBB6_1804:
	s_mov_b32 s0, -1
                                        ; implicit-def: $sgpr4
	s_branch .LBB6_1826
.LBB6_1805:
	s_mov_b32 s0, -1
                                        ; implicit-def: $sgpr4
	s_branch .LBB6_1814
.LBB6_1806:
	s_mov_b32 s0, -1
                                        ; implicit-def: $sgpr4
	s_branch .LBB6_1811
.LBB6_1807:
	s_mov_b32 s0, -1
                                        ; implicit-def: $sgpr4
.LBB6_1808:
	s_delay_alu instid0(SALU_CYCLE_1)
	s_and_not1_b32 vcc_lo, exec_lo, s0
	s_cbranch_vccnz .LBB6_1810
; %bb.1809:
	global_load_b64 v[8:9], v[4:5], off
	s_and_not1_b32 s0, s4, exec_lo
	s_wait_loadcnt 0x0
	v_bitop3_b32 v1, v8, 0x7fffffff, v9 bitop3:0xc8
	s_delay_alu instid0(VALU_DEP_1) | instskip(SKIP_1) | instid1(SALU_CYCLE_1)
	v_cmp_ne_u32_e32 vcc_lo, 0, v1
	s_and_b32 s4, vcc_lo, exec_lo
	s_or_b32 s4, s0, s4
.LBB6_1810:
	s_mov_b32 s0, 0
.LBB6_1811:
	s_delay_alu instid0(SALU_CYCLE_1)
	s_and_not1_b32 vcc_lo, exec_lo, s0
	s_cbranch_vccnz .LBB6_1813
; %bb.1812:
	global_load_b32 v1, v[4:5], off
	s_and_not1_b32 s0, s4, exec_lo
	s_wait_loadcnt 0x0
	v_and_b32_e32 v1, 0x7fff7fff, v1
	s_delay_alu instid0(VALU_DEP_1) | instskip(SKIP_1) | instid1(SALU_CYCLE_1)
	v_cmp_ne_u32_e32 vcc_lo, 0, v1
	s_and_b32 s4, vcc_lo, exec_lo
	s_or_b32 s4, s0, s4
.LBB6_1813:
	s_mov_b32 s0, 0
.LBB6_1814:
	s_delay_alu instid0(SALU_CYCLE_1)
	s_and_not1_b32 vcc_lo, exec_lo, s0
	s_cbranch_vccnz .LBB6_1825
; %bb.1815:
	s_cmp_lt_i32 s20, 6
	s_cbranch_scc1 .LBB6_1818
; %bb.1816:
	s_cmp_gt_i32 s20, 6
	s_cbranch_scc0 .LBB6_1819
; %bb.1817:
	global_load_b64 v[8:9], v[4:5], off
	s_mov_b32 s0, 0
	s_wait_loadcnt 0x0
	v_cmp_neq_f64_e64 s4, 0, v[8:9]
	s_branch .LBB6_1820
.LBB6_1818:
	s_mov_b32 s0, -1
                                        ; implicit-def: $sgpr4
	s_branch .LBB6_1823
.LBB6_1819:
	s_mov_b32 s0, -1
                                        ; implicit-def: $sgpr4
.LBB6_1820:
	s_delay_alu instid0(SALU_CYCLE_1)
	s_and_not1_b32 vcc_lo, exec_lo, s0
	s_cbranch_vccnz .LBB6_1822
; %bb.1821:
	global_load_b32 v1, v[4:5], off
	s_and_not1_b32 s0, s4, exec_lo
	s_wait_loadcnt 0x0
	v_cmp_neq_f32_e32 vcc_lo, 0, v1
	s_and_b32 s4, vcc_lo, exec_lo
	s_delay_alu instid0(SALU_CYCLE_1)
	s_or_b32 s4, s0, s4
.LBB6_1822:
	s_mov_b32 s0, 0
.LBB6_1823:
	s_delay_alu instid0(SALU_CYCLE_1)
	s_and_not1_b32 vcc_lo, exec_lo, s0
	s_cbranch_vccnz .LBB6_1825
; %bb.1824:
	global_load_u16 v1, v[4:5], off
	s_and_not1_b32 s0, s4, exec_lo
	s_wait_loadcnt 0x0
	v_and_b32_e32 v1, 0x7fff, v1
	s_delay_alu instid0(VALU_DEP_1) | instskip(SKIP_1) | instid1(SALU_CYCLE_1)
	v_cmp_ne_u16_e32 vcc_lo, 0, v1
	s_and_b32 s4, vcc_lo, exec_lo
	s_or_b32 s4, s0, s4
.LBB6_1825:
	s_mov_b32 s0, 0
.LBB6_1826:
	s_delay_alu instid0(SALU_CYCLE_1)
	s_and_not1_b32 vcc_lo, exec_lo, s0
	s_cbranch_vccnz .LBB6_1846
; %bb.1827:
	s_cmp_lt_i32 s20, 2
	s_cbranch_scc1 .LBB6_1831
; %bb.1828:
	s_cmp_lt_i32 s20, 3
	s_cbranch_scc1 .LBB6_1832
; %bb.1829:
	s_cmp_gt_i32 s20, 3
	s_cbranch_scc0 .LBB6_1833
; %bb.1830:
	global_load_b64 v[8:9], v[4:5], off
	s_mov_b32 s0, 0
	s_wait_loadcnt 0x0
	v_cmp_ne_u64_e64 s4, 0, v[8:9]
	s_branch .LBB6_1834
.LBB6_1831:
	s_mov_b32 s0, -1
                                        ; implicit-def: $sgpr4
	s_branch .LBB6_1840
.LBB6_1832:
	s_mov_b32 s0, -1
                                        ; implicit-def: $sgpr4
	s_branch .LBB6_1837
.LBB6_1833:
	s_mov_b32 s0, -1
                                        ; implicit-def: $sgpr4
.LBB6_1834:
	s_delay_alu instid0(SALU_CYCLE_1)
	s_and_not1_b32 vcc_lo, exec_lo, s0
	s_cbranch_vccnz .LBB6_1836
; %bb.1835:
	global_load_b32 v1, v[4:5], off
	s_and_not1_b32 s0, s4, exec_lo
	s_wait_loadcnt 0x0
	v_cmp_ne_u32_e32 vcc_lo, 0, v1
	s_and_b32 s4, vcc_lo, exec_lo
	s_delay_alu instid0(SALU_CYCLE_1)
	s_or_b32 s4, s0, s4
.LBB6_1836:
	s_mov_b32 s0, 0
.LBB6_1837:
	s_delay_alu instid0(SALU_CYCLE_1)
	s_and_not1_b32 vcc_lo, exec_lo, s0
	s_cbranch_vccnz .LBB6_1839
; %bb.1838:
	global_load_u16 v1, v[4:5], off
	s_and_not1_b32 s0, s4, exec_lo
	s_wait_loadcnt 0x0
	v_cmp_ne_u16_e32 vcc_lo, 0, v1
	s_and_b32 s4, vcc_lo, exec_lo
	s_delay_alu instid0(SALU_CYCLE_1)
	s_or_b32 s4, s0, s4
.LBB6_1839:
	s_mov_b32 s0, 0
.LBB6_1840:
	s_delay_alu instid0(SALU_CYCLE_1)
	s_and_not1_b32 vcc_lo, exec_lo, s0
	s_cbranch_vccnz .LBB6_1846
; %bb.1841:
	s_cmp_gt_i32 s20, 0
	s_mov_b32 s0, 0
	s_cbranch_scc0 .LBB6_1843
; %bb.1842:
	global_load_u8 v1, v[4:5], off
	s_wait_loadcnt 0x0
	v_cmp_ne_u16_e64 s4, 0, v1
	s_branch .LBB6_1844
.LBB6_1843:
	s_mov_b32 s0, -1
                                        ; implicit-def: $sgpr4
.LBB6_1844:
	s_delay_alu instid0(SALU_CYCLE_1)
	s_and_not1_b32 vcc_lo, exec_lo, s0
	s_cbranch_vccnz .LBB6_1846
; %bb.1845:
	global_load_u8 v1, v[4:5], off
	s_and_not1_b32 s0, s4, exec_lo
	s_wait_loadcnt 0x0
	v_cmp_ne_u16_e32 vcc_lo, 0, v1
	s_and_b32 s4, vcc_lo, exec_lo
	s_delay_alu instid0(SALU_CYCLE_1)
	s_or_b32 s4, s0, s4
.LBB6_1846:
	s_mov_b32 s21, -1
.LBB6_1847:
	s_delay_alu instid0(SALU_CYCLE_1)
	s_and_not1_b32 vcc_lo, exec_lo, s21
	s_cbranch_vccnz .LBB6_2894
; %bb.1848:
	s_lshl_b32 s23, s5, 7
	s_cmp_lt_i32 s18, 11
	v_add_nc_u32_e32 v2, s23, v2
	s_delay_alu instid0(VALU_DEP_1) | instskip(SKIP_1) | instid1(VALU_DEP_1)
	v_ashrrev_i32_e32 v3, 31, v2
	s_wait_xcnt 0x0
	v_add_nc_u64_e32 v[4:5], s[10:11], v[2:3]
	s_cbranch_scc1 .LBB6_1855
; %bb.1849:
	s_and_b32 s0, 0xffff, s18
	s_mov_b32 s24, 0
	s_cmp_gt_i32 s0, 25
	s_cbranch_scc0 .LBB6_1856
; %bb.1850:
	s_cmp_gt_i32 s0, 28
	s_cbranch_scc0 .LBB6_1857
; %bb.1851:
	;; [unrolled: 3-line block ×4, first 2 shown]
	s_cmp_eq_u32 s0, 46
	s_mov_b32 s25, 0
	s_cbranch_scc0 .LBB6_1861
; %bb.1854:
	global_load_b32 v1, v[4:5], off
	s_mov_b32 s20, 0
	s_mov_b32 s21, -1
	s_wait_loadcnt 0x0
	v_and_b32_e32 v1, 0x7fff7fff, v1
	s_delay_alu instid0(VALU_DEP_1)
	v_cmp_ne_u32_e64 s5, 0, v1
	s_branch .LBB6_1863
.LBB6_1855:
	s_mov_b32 s0, -1
	s_mov_b32 s21, 0
                                        ; implicit-def: $sgpr5
	s_branch .LBB6_1911
.LBB6_1856:
	s_mov_b32 s25, -1
	s_mov_b32 s21, 0
	s_mov_b32 s20, 0
                                        ; implicit-def: $sgpr5
	s_branch .LBB6_1884
.LBB6_1857:
	s_mov_b32 s25, -1
	s_mov_b32 s21, 0
	s_mov_b32 s20, 0
                                        ; implicit-def: $sgpr5
	s_branch .LBB6_1871
.LBB6_1858:
	s_mov_b32 s25, -1
	s_mov_b32 s21, 0
	s_mov_b32 s20, 0
                                        ; implicit-def: $sgpr5
	s_branch .LBB6_1866
.LBB6_1859:
	s_mov_b32 s21, 0
	s_or_b32 s13, s13, exec_lo
	s_trap 2
	s_cbranch_execz .LBB6_1796
	s_branch .LBB6_1797
.LBB6_1860:
	s_mov_b32 s25, -1
	s_mov_b32 s21, 0
	s_mov_b32 s20, 0
	s_branch .LBB6_1862
.LBB6_1861:
	s_mov_b32 s20, -1
	s_mov_b32 s21, 0
.LBB6_1862:
                                        ; implicit-def: $sgpr5
.LBB6_1863:
	s_and_b32 vcc_lo, exec_lo, s25
	s_cbranch_vccz .LBB6_1865
; %bb.1864:
	s_cmp_lg_u32 s0, 44
	s_mov_b32 s21, -1
	s_cselect_b32 s20, -1, 0
	s_or_b32 s5, s5, exec_lo
.LBB6_1865:
	s_mov_b32 s25, 0
.LBB6_1866:
	s_delay_alu instid0(SALU_CYCLE_1)
	s_and_b32 vcc_lo, exec_lo, s25
	s_cbranch_vccz .LBB6_1870
; %bb.1867:
	s_cmp_eq_u32 s0, 29
	s_cbranch_scc0 .LBB6_1869
; %bb.1868:
	global_load_b64 v[8:9], v[4:5], off
	s_mov_b32 s20, 0
	s_mov_b32 s21, -1
	s_mov_b32 s25, 0
	s_wait_loadcnt 0x0
	v_cmp_ne_u64_e64 s5, 0, v[8:9]
	s_branch .LBB6_1871
.LBB6_1869:
	s_mov_b32 s20, -1
                                        ; implicit-def: $sgpr5
.LBB6_1870:
	s_mov_b32 s25, 0
.LBB6_1871:
	s_delay_alu instid0(SALU_CYCLE_1)
	s_and_b32 vcc_lo, exec_lo, s25
	s_cbranch_vccz .LBB6_1883
; %bb.1872:
	s_cmp_lt_i32 s0, 27
	s_cbranch_scc1 .LBB6_1875
; %bb.1873:
	s_cmp_gt_i32 s0, 27
	s_cbranch_scc0 .LBB6_1876
; %bb.1874:
	global_load_b32 v1, v[4:5], off
	s_mov_b32 s21, 0
	s_wait_loadcnt 0x0
	v_cmp_ne_u32_e64 s5, 0, v1
	s_branch .LBB6_1877
.LBB6_1875:
	s_mov_b32 s21, -1
                                        ; implicit-def: $sgpr5
	s_branch .LBB6_1880
.LBB6_1876:
	s_mov_b32 s21, -1
                                        ; implicit-def: $sgpr5
.LBB6_1877:
	s_delay_alu instid0(SALU_CYCLE_1)
	s_and_not1_b32 vcc_lo, exec_lo, s21
	s_cbranch_vccnz .LBB6_1879
; %bb.1878:
	global_load_u16 v1, v[4:5], off
	s_and_not1_b32 s5, s5, exec_lo
	s_wait_loadcnt 0x0
	v_cmp_ne_u16_e32 vcc_lo, 0, v1
	s_and_b32 s21, vcc_lo, exec_lo
	s_delay_alu instid0(SALU_CYCLE_1)
	s_or_b32 s5, s5, s21
.LBB6_1879:
	s_mov_b32 s21, 0
.LBB6_1880:
	s_delay_alu instid0(SALU_CYCLE_1)
	s_and_not1_b32 vcc_lo, exec_lo, s21
	s_cbranch_vccnz .LBB6_1882
; %bb.1881:
	global_load_u8 v1, v[4:5], off
	s_and_not1_b32 s5, s5, exec_lo
	s_wait_loadcnt 0x0
	v_cmp_ne_u16_e32 vcc_lo, 0, v1
	s_and_b32 s21, vcc_lo, exec_lo
	s_delay_alu instid0(SALU_CYCLE_1)
	s_or_b32 s5, s5, s21
.LBB6_1882:
	s_mov_b32 s21, -1
.LBB6_1883:
	s_mov_b32 s25, 0
.LBB6_1884:
	s_delay_alu instid0(SALU_CYCLE_1)
	s_and_b32 vcc_lo, exec_lo, s25
	s_cbranch_vccz .LBB6_1907
; %bb.1885:
	s_cmp_gt_i32 s0, 22
	s_cbranch_scc0 .LBB6_1889
; %bb.1886:
	s_cmp_lt_i32 s0, 24
	s_cbranch_scc1 .LBB6_1890
; %bb.1887:
	s_cmp_gt_i32 s0, 24
	s_cbranch_scc0 .LBB6_1891
; %bb.1888:
	global_load_u8 v1, v[4:5], off
	s_mov_b32 s21, 0
	s_wait_loadcnt 0x0
	v_cmp_ne_u16_e64 s5, 0, v1
	s_branch .LBB6_1892
.LBB6_1889:
	s_mov_b32 s24, -1
                                        ; implicit-def: $sgpr5
	s_branch .LBB6_1898
.LBB6_1890:
	s_mov_b32 s21, -1
                                        ; implicit-def: $sgpr5
	s_branch .LBB6_1895
.LBB6_1891:
	s_mov_b32 s21, -1
                                        ; implicit-def: $sgpr5
.LBB6_1892:
	s_delay_alu instid0(SALU_CYCLE_1)
	s_and_not1_b32 vcc_lo, exec_lo, s21
	s_cbranch_vccnz .LBB6_1894
; %bb.1893:
	global_load_u8 v1, v[4:5], off
	s_and_not1_b32 s5, s5, exec_lo
	s_wait_loadcnt 0x0
	v_and_b32_e32 v1, 0x7f, v1
	s_delay_alu instid0(VALU_DEP_1) | instskip(SKIP_1) | instid1(SALU_CYCLE_1)
	v_cmp_ne_u16_e32 vcc_lo, 0, v1
	s_and_b32 s21, vcc_lo, exec_lo
	s_or_b32 s5, s5, s21
.LBB6_1894:
	s_mov_b32 s21, 0
.LBB6_1895:
	s_delay_alu instid0(SALU_CYCLE_1)
	s_and_not1_b32 vcc_lo, exec_lo, s21
	s_cbranch_vccnz .LBB6_1897
; %bb.1896:
	global_load_u8 v1, v[4:5], off
	s_and_not1_b32 s5, s5, exec_lo
	s_wait_loadcnt 0x0
	v_dual_lshlrev_b32 v3, 25, v1 :: v_dual_lshlrev_b32 v1, 8, v1
	s_delay_alu instid0(VALU_DEP_1) | instskip(NEXT) | instid1(VALU_DEP_2)
	v_cmp_gt_u32_e32 vcc_lo, 0x8000000, v3
	v_and_or_b32 v1, 0x7f00, v1, 0.5
	s_delay_alu instid0(VALU_DEP_1) | instskip(NEXT) | instid1(VALU_DEP_1)
	v_dual_lshrrev_b32 v7, 4, v3 :: v_dual_add_f32 v1, -0.5, v1
	v_or_b32_e32 v7, 0x70000000, v7
	s_delay_alu instid0(VALU_DEP_1) | instskip(NEXT) | instid1(VALU_DEP_1)
	v_mul_f32_e32 v7, 0x7800000, v7
	v_cndmask_b32_e32 v1, v7, v1, vcc_lo
	s_delay_alu instid0(VALU_DEP_1) | instskip(SKIP_1) | instid1(SALU_CYCLE_1)
	v_cmp_neq_f32_e32 vcc_lo, 0, v1
	s_and_b32 s21, vcc_lo, exec_lo
	s_or_b32 s5, s5, s21
.LBB6_1897:
	s_mov_b32 s21, -1
.LBB6_1898:
	s_and_not1_b32 vcc_lo, exec_lo, s24
	s_mov_b32 s24, 0
	s_cbranch_vccnz .LBB6_1907
; %bb.1899:
	s_cmp_gt_i32 s0, 14
	s_cbranch_scc0 .LBB6_1902
; %bb.1900:
	s_cmp_eq_u32 s0, 15
	s_cbranch_scc0 .LBB6_1903
; %bb.1901:
	global_load_u16 v1, v[4:5], off
	s_mov_b32 s20, 0
	s_mov_b32 s21, -1
	s_wait_loadcnt 0x0
	v_and_b32_e32 v1, 0x7fff, v1
	s_delay_alu instid0(VALU_DEP_1)
	v_cmp_ne_u16_e64 s5, 0, v1
	s_branch .LBB6_1905
.LBB6_1902:
	s_mov_b32 s24, -1
	s_branch .LBB6_1904
.LBB6_1903:
	s_mov_b32 s20, -1
.LBB6_1904:
                                        ; implicit-def: $sgpr5
.LBB6_1905:
	s_and_b32 vcc_lo, exec_lo, s24
	s_mov_b32 s24, 0
	s_cbranch_vccz .LBB6_1907
; %bb.1906:
	s_cmp_lg_u32 s0, 11
	s_mov_b32 s24, -1
	s_cselect_b32 s20, -1, 0
.LBB6_1907:
	s_delay_alu instid0(SALU_CYCLE_1)
	s_and_b32 vcc_lo, exec_lo, s20
	s_cbranch_vccnz .LBB6_1991
; %bb.1908:
	s_and_not1_b32 vcc_lo, exec_lo, s24
	s_cbranch_vccnz .LBB6_1910
.LBB6_1909:
	global_load_u8 v1, v[4:5], off
	s_and_not1_b32 s0, s5, exec_lo
	s_mov_b32 s21, -1
	s_wait_loadcnt 0x0
	v_cmp_ne_u16_e32 vcc_lo, 0, v1
	s_and_b32 s5, vcc_lo, exec_lo
	s_delay_alu instid0(SALU_CYCLE_1)
	s_or_b32 s5, s0, s5
.LBB6_1910:
	s_mov_b32 s0, 0
.LBB6_1911:
	s_delay_alu instid0(SALU_CYCLE_1)
	s_and_b32 vcc_lo, exec_lo, s0
	s_cbranch_vccz .LBB6_1960
; %bb.1912:
	s_and_b32 s20, 0xffff, s18
	s_delay_alu instid0(SALU_CYCLE_1)
	s_cmp_lt_i32 s20, 5
	s_cbranch_scc1 .LBB6_1917
; %bb.1913:
	s_cmp_lt_i32 s20, 8
	s_cbranch_scc1 .LBB6_1918
; %bb.1914:
	;; [unrolled: 3-line block ×3, first 2 shown]
	s_cmp_gt_i32 s20, 9
	s_cbranch_scc0 .LBB6_1920
; %bb.1916:
	global_load_b128 v[8:11], v[4:5], off
	s_wait_loadcnt 0x0
	v_cmp_neq_f64_e32 vcc_lo, 0, v[8:9]
	v_cmp_neq_f64_e64 s0, 0, v[10:11]
	s_or_b32 s5, vcc_lo, s0
	s_mov_b32 s0, 0
	s_branch .LBB6_1921
.LBB6_1917:
	s_mov_b32 s0, -1
                                        ; implicit-def: $sgpr5
	s_branch .LBB6_1939
.LBB6_1918:
	s_mov_b32 s0, -1
                                        ; implicit-def: $sgpr5
	s_branch .LBB6_1927
.LBB6_1919:
	s_mov_b32 s0, -1
                                        ; implicit-def: $sgpr5
	s_branch .LBB6_1924
.LBB6_1920:
	s_mov_b32 s0, -1
                                        ; implicit-def: $sgpr5
.LBB6_1921:
	s_delay_alu instid0(SALU_CYCLE_1)
	s_and_not1_b32 vcc_lo, exec_lo, s0
	s_cbranch_vccnz .LBB6_1923
; %bb.1922:
	global_load_b64 v[8:9], v[4:5], off
	s_and_not1_b32 s0, s5, exec_lo
	s_wait_loadcnt 0x0
	v_bitop3_b32 v1, v8, 0x7fffffff, v9 bitop3:0xc8
	s_delay_alu instid0(VALU_DEP_1) | instskip(SKIP_1) | instid1(SALU_CYCLE_1)
	v_cmp_ne_u32_e32 vcc_lo, 0, v1
	s_and_b32 s5, vcc_lo, exec_lo
	s_or_b32 s5, s0, s5
.LBB6_1923:
	s_mov_b32 s0, 0
.LBB6_1924:
	s_delay_alu instid0(SALU_CYCLE_1)
	s_and_not1_b32 vcc_lo, exec_lo, s0
	s_cbranch_vccnz .LBB6_1926
; %bb.1925:
	global_load_b32 v1, v[4:5], off
	s_and_not1_b32 s0, s5, exec_lo
	s_wait_loadcnt 0x0
	v_and_b32_e32 v1, 0x7fff7fff, v1
	s_delay_alu instid0(VALU_DEP_1) | instskip(SKIP_1) | instid1(SALU_CYCLE_1)
	v_cmp_ne_u32_e32 vcc_lo, 0, v1
	s_and_b32 s5, vcc_lo, exec_lo
	s_or_b32 s5, s0, s5
.LBB6_1926:
	s_mov_b32 s0, 0
.LBB6_1927:
	s_delay_alu instid0(SALU_CYCLE_1)
	s_and_not1_b32 vcc_lo, exec_lo, s0
	s_cbranch_vccnz .LBB6_1938
; %bb.1928:
	s_cmp_lt_i32 s20, 6
	s_cbranch_scc1 .LBB6_1931
; %bb.1929:
	s_cmp_gt_i32 s20, 6
	s_cbranch_scc0 .LBB6_1932
; %bb.1930:
	global_load_b64 v[8:9], v[4:5], off
	s_mov_b32 s0, 0
	s_wait_loadcnt 0x0
	v_cmp_neq_f64_e64 s5, 0, v[8:9]
	s_branch .LBB6_1933
.LBB6_1931:
	s_mov_b32 s0, -1
                                        ; implicit-def: $sgpr5
	s_branch .LBB6_1936
.LBB6_1932:
	s_mov_b32 s0, -1
                                        ; implicit-def: $sgpr5
.LBB6_1933:
	s_delay_alu instid0(SALU_CYCLE_1)
	s_and_not1_b32 vcc_lo, exec_lo, s0
	s_cbranch_vccnz .LBB6_1935
; %bb.1934:
	global_load_b32 v1, v[4:5], off
	s_and_not1_b32 s0, s5, exec_lo
	s_wait_loadcnt 0x0
	v_cmp_neq_f32_e32 vcc_lo, 0, v1
	s_and_b32 s5, vcc_lo, exec_lo
	s_delay_alu instid0(SALU_CYCLE_1)
	s_or_b32 s5, s0, s5
.LBB6_1935:
	s_mov_b32 s0, 0
.LBB6_1936:
	s_delay_alu instid0(SALU_CYCLE_1)
	s_and_not1_b32 vcc_lo, exec_lo, s0
	s_cbranch_vccnz .LBB6_1938
; %bb.1937:
	global_load_u16 v1, v[4:5], off
	s_and_not1_b32 s0, s5, exec_lo
	s_wait_loadcnt 0x0
	v_and_b32_e32 v1, 0x7fff, v1
	s_delay_alu instid0(VALU_DEP_1) | instskip(SKIP_1) | instid1(SALU_CYCLE_1)
	v_cmp_ne_u16_e32 vcc_lo, 0, v1
	s_and_b32 s5, vcc_lo, exec_lo
	s_or_b32 s5, s0, s5
.LBB6_1938:
	s_mov_b32 s0, 0
.LBB6_1939:
	s_delay_alu instid0(SALU_CYCLE_1)
	s_and_not1_b32 vcc_lo, exec_lo, s0
	s_cbranch_vccnz .LBB6_1959
; %bb.1940:
	s_cmp_lt_i32 s20, 2
	s_cbranch_scc1 .LBB6_1944
; %bb.1941:
	s_cmp_lt_i32 s20, 3
	s_cbranch_scc1 .LBB6_1945
; %bb.1942:
	s_cmp_gt_i32 s20, 3
	s_cbranch_scc0 .LBB6_1946
; %bb.1943:
	global_load_b64 v[8:9], v[4:5], off
	s_mov_b32 s0, 0
	s_wait_loadcnt 0x0
	v_cmp_ne_u64_e64 s5, 0, v[8:9]
	s_branch .LBB6_1947
.LBB6_1944:
	s_mov_b32 s0, -1
                                        ; implicit-def: $sgpr5
	s_branch .LBB6_1953
.LBB6_1945:
	s_mov_b32 s0, -1
                                        ; implicit-def: $sgpr5
	s_branch .LBB6_1950
.LBB6_1946:
	s_mov_b32 s0, -1
                                        ; implicit-def: $sgpr5
.LBB6_1947:
	s_delay_alu instid0(SALU_CYCLE_1)
	s_and_not1_b32 vcc_lo, exec_lo, s0
	s_cbranch_vccnz .LBB6_1949
; %bb.1948:
	global_load_b32 v1, v[4:5], off
	s_and_not1_b32 s0, s5, exec_lo
	s_wait_loadcnt 0x0
	v_cmp_ne_u32_e32 vcc_lo, 0, v1
	s_and_b32 s5, vcc_lo, exec_lo
	s_delay_alu instid0(SALU_CYCLE_1)
	s_or_b32 s5, s0, s5
.LBB6_1949:
	s_mov_b32 s0, 0
.LBB6_1950:
	s_delay_alu instid0(SALU_CYCLE_1)
	s_and_not1_b32 vcc_lo, exec_lo, s0
	s_cbranch_vccnz .LBB6_1952
; %bb.1951:
	global_load_u16 v1, v[4:5], off
	s_and_not1_b32 s0, s5, exec_lo
	s_wait_loadcnt 0x0
	v_cmp_ne_u16_e32 vcc_lo, 0, v1
	s_and_b32 s5, vcc_lo, exec_lo
	s_delay_alu instid0(SALU_CYCLE_1)
	s_or_b32 s5, s0, s5
.LBB6_1952:
	s_mov_b32 s0, 0
.LBB6_1953:
	s_delay_alu instid0(SALU_CYCLE_1)
	s_and_not1_b32 vcc_lo, exec_lo, s0
	s_cbranch_vccnz .LBB6_1959
; %bb.1954:
	s_cmp_gt_i32 s20, 0
	s_mov_b32 s0, 0
	s_cbranch_scc0 .LBB6_1956
; %bb.1955:
	global_load_u8 v1, v[4:5], off
	s_wait_loadcnt 0x0
	v_cmp_ne_u16_e64 s5, 0, v1
	s_branch .LBB6_1957
.LBB6_1956:
	s_mov_b32 s0, -1
                                        ; implicit-def: $sgpr5
.LBB6_1957:
	s_delay_alu instid0(SALU_CYCLE_1)
	s_and_not1_b32 vcc_lo, exec_lo, s0
	s_cbranch_vccnz .LBB6_1959
; %bb.1958:
	global_load_u8 v1, v[4:5], off
	s_and_not1_b32 s0, s5, exec_lo
	s_wait_loadcnt 0x0
	v_cmp_ne_u16_e32 vcc_lo, 0, v1
	s_and_b32 s5, vcc_lo, exec_lo
	s_delay_alu instid0(SALU_CYCLE_1)
	s_or_b32 s5, s0, s5
.LBB6_1959:
	s_mov_b32 s21, -1
.LBB6_1960:
	s_delay_alu instid0(SALU_CYCLE_1)
	s_and_not1_b32 vcc_lo, exec_lo, s21
	s_cbranch_vccnz .LBB6_2894
; %bb.1961:
	s_cmp_lt_i32 s19, 23
	s_cbranch_scc1 .LBB6_1965
; %bb.1962:
	s_and_b32 s21, 0xffff, s19
	s_delay_alu instid0(SALU_CYCLE_1)
	s_cmp_gt_i32 s21, 43
	s_cbranch_scc0 .LBB6_1966
; %bb.1963:
	s_cmp_gt_i32 s21, 45
	s_cbranch_scc0 .LBB6_1967
; %bb.1964:
	s_cmp_lg_u32 s21, 46
	s_mov_b32 s24, 0
	s_mov_b32 s0, -1
	s_cselect_b32 s20, -1, 0
	s_branch .LBB6_1968
.LBB6_1965:
	s_mov_b32 s21, -1
	s_mov_b32 s0, 0
	s_mov_b32 s20, 0
	s_branch .LBB6_1974
.LBB6_1966:
	s_mov_b32 s24, -1
	s_mov_b32 s0, 0
	s_mov_b32 s20, 0
	s_branch .LBB6_1971
.LBB6_1967:
	s_mov_b32 s24, -1
	s_mov_b32 s0, 0
	s_mov_b32 s20, 0
.LBB6_1968:
	s_and_not1_b32 vcc_lo, exec_lo, s24
	s_cbranch_vccnz .LBB6_1970
; %bb.1969:
	s_cmp_eq_u32 s21, 44
	s_cselect_b32 s0, -1, 0
	s_cmp_lg_u32 s21, 44
	s_cselect_b32 s20, -1, 0
.LBB6_1970:
	s_mov_b32 s24, 0
.LBB6_1971:
	s_delay_alu instid0(SALU_CYCLE_1)
	s_and_b32 vcc_lo, exec_lo, s24
	s_cbranch_vccz .LBB6_1973
; %bb.1972:
	s_cmp_lt_i32 s21, 30
	s_cselect_b32 s0, -1, 0
	s_cmp_gt_i32 s21, 29
	s_cselect_b32 s20, -1, 0
.LBB6_1973:
	s_mov_b32 s21, 0
.LBB6_1974:
	s_delay_alu instid0(SALU_CYCLE_1)
	s_and_b32 vcc_lo, exec_lo, s21
	s_cbranch_vccz .LBB6_1979
; %bb.1975:
	s_and_b32 s21, 0xffff, s19
	s_mov_b32 s24, -1
	s_cmp_gt_i32 s21, 14
	s_cbranch_scc0 .LBB6_1977
; %bb.1976:
	s_cmp_eq_u32 s21, 15
	s_mov_b32 s24, 0
	s_cselect_b32 s0, -1, 0
	s_cmp_lg_u32 s21, 15
	s_cselect_b32 s20, -1, 0
.LBB6_1977:
	s_and_not1_b32 vcc_lo, exec_lo, s24
	s_cbranch_vccnz .LBB6_1979
; %bb.1978:
	s_cmp_lt_i32 s21, 12
	s_cselect_b32 s0, -1, 0
	s_cmp_gt_i32 s21, 11
	s_cselect_b32 s20, -1, 0
.LBB6_1979:
	s_delay_alu instid0(SALU_CYCLE_1)
	s_and_b32 vcc_lo, exec_lo, s20
	s_cbranch_vccnz .LBB6_1992
; %bb.1980:
	s_and_not1_b32 vcc_lo, exec_lo, s0
	s_cbranch_vccnz .LBB6_2894
.LBB6_1981:
	v_add_nc_u32_e32 v0, s22, v0
	s_cmp_lt_i32 s15, 11
	s_delay_alu instid0(VALU_DEP_1) | instskip(SKIP_1) | instid1(VALU_DEP_1)
	v_ashrrev_i32_e32 v1, 31, v0
	s_wait_xcnt 0x0
	v_add_nc_u64_e32 v[4:5], s[8:9], v[0:1]
	s_cbranch_scc1 .LBB6_1988
; %bb.1982:
	s_and_b32 s0, 0xffff, s15
	s_mov_b32 s25, 0
	s_cmp_gt_i32 s0, 25
	s_cbranch_scc0 .LBB6_1989
; %bb.1983:
	s_cmp_gt_i32 s0, 28
	s_cbranch_scc0 .LBB6_1990
; %bb.1984:
	;; [unrolled: 3-line block ×4, first 2 shown]
	s_cmp_eq_u32 s0, 46
	s_mov_b32 s26, 0
	s_cbranch_scc0 .LBB6_2001
; %bb.1987:
	global_load_b32 v1, v[4:5], off
	s_mov_b32 s21, 0
	s_mov_b32 s24, -1
	s_wait_loadcnt 0x0
	v_and_b32_e32 v1, 0x7fff7fff, v1
	s_delay_alu instid0(VALU_DEP_1)
	v_cmp_ne_u32_e64 s20, 0, v1
	s_branch .LBB6_2003
.LBB6_1988:
	s_mov_b32 s0, -1
	s_mov_b32 s24, 0
                                        ; implicit-def: $sgpr20
	s_branch .LBB6_2051
.LBB6_1989:
	s_mov_b32 s26, -1
	s_mov_b32 s24, 0
	s_mov_b32 s21, 0
                                        ; implicit-def: $sgpr20
	s_branch .LBB6_2024
.LBB6_1990:
	s_mov_b32 s26, -1
	s_mov_b32 s24, 0
	s_mov_b32 s21, 0
                                        ; implicit-def: $sgpr20
	s_branch .LBB6_2011
.LBB6_1991:
	s_mov_b32 s21, 0
	s_or_b32 s13, s13, exec_lo
	s_trap 2
	s_cbranch_execz .LBB6_1909
	s_branch .LBB6_1910
.LBB6_1992:
	s_or_b32 s13, s13, exec_lo
	s_trap 2
	s_cbranch_execz .LBB6_1981
	s_branch .LBB6_2894
.LBB6_1993:
	s_mov_b32 s26, -1
	s_mov_b32 s24, 0
	s_mov_b32 s21, 0
                                        ; implicit-def: $sgpr20
	s_branch .LBB6_2006
.LBB6_1994:
	v_bfe_u32 v2, v3, 21, 1
	s_mov_b32 s31, exec_lo
	s_delay_alu instid0(VALU_DEP_1) | instskip(NEXT) | instid1(VALU_DEP_1)
	v_add3_u32 v2, v3, v2, 0x88fffff
                                        ; implicit-def: $vgpr3
	v_lshrrev_b32_e32 v2, 21, v2
	s_and_not1_saveexec_b32 s33, s33
	s_cbranch_execz .LBB6_655
.LBB6_1995:
	v_add_f32_e32 v2, 0x42800000, v3
	s_and_not1_b32 s31, s31, exec_lo
	s_delay_alu instid0(VALU_DEP_1) | instskip(NEXT) | instid1(VALU_DEP_1)
	v_and_b32_e32 v2, 0xff, v2
	v_cmp_ne_u32_e32 vcc_lo, 0, v2
	s_and_b32 s34, vcc_lo, exec_lo
	s_delay_alu instid0(SALU_CYCLE_1)
	s_or_b32 s31, s31, s34
	s_or_b32 exec_lo, exec_lo, s33
	v_mov_b32_e32 v4, 0
	s_and_saveexec_b32 s33, s31
	s_cbranch_execnz .LBB6_656
	s_branch .LBB6_657
.LBB6_1996:
	v_bfe_u32 v2, v3, 20, 1
	s_mov_b32 s37, exec_lo
	s_delay_alu instid0(VALU_DEP_1) | instskip(NEXT) | instid1(VALU_DEP_1)
	v_add3_u32 v2, v3, v2, 0x487ffff
                                        ; implicit-def: $vgpr3
	v_lshrrev_b32_e32 v2, 20, v2
	s_and_not1_saveexec_b32 s38, s38
	s_cbranch_execz .LBB6_1013
.LBB6_1997:
	v_add_f32_e32 v2, 0x46000000, v3
	s_and_not1_b32 s37, s37, exec_lo
	s_delay_alu instid0(VALU_DEP_1) | instskip(NEXT) | instid1(VALU_DEP_1)
	v_and_b32_e32 v2, 0xff, v2
	v_cmp_ne_u32_e32 vcc_lo, 0, v2
	s_and_b32 s39, vcc_lo, exec_lo
	s_delay_alu instid0(SALU_CYCLE_1)
	s_or_b32 s37, s37, s39
	s_or_b32 exec_lo, exec_lo, s38
	v_mov_b32_e32 v4, 0
	s_and_saveexec_b32 s38, s37
	s_cbranch_execnz .LBB6_1014
	s_branch .LBB6_1015
.LBB6_1998:
	s_mov_b32 s26, -1
	s_mov_b32 s24, 0
	s_mov_b32 s21, 0
	s_branch .LBB6_2002
.LBB6_1999:
	v_bfe_u32 v2, v3, 21, 1
	s_mov_b32 s37, exec_lo
	s_delay_alu instid0(VALU_DEP_1) | instskip(NEXT) | instid1(VALU_DEP_1)
	v_add3_u32 v2, v3, v2, 0x88fffff
                                        ; implicit-def: $vgpr3
	v_lshrrev_b32_e32 v2, 21, v2
	s_and_not1_saveexec_b32 s38, s38
	s_cbranch_execz .LBB6_1026
.LBB6_2000:
	v_add_f32_e32 v2, 0x42800000, v3
	s_and_not1_b32 s37, s37, exec_lo
	s_delay_alu instid0(VALU_DEP_1) | instskip(NEXT) | instid1(VALU_DEP_1)
	v_and_b32_e32 v2, 0xff, v2
	v_cmp_ne_u32_e32 vcc_lo, 0, v2
	s_and_b32 s39, vcc_lo, exec_lo
	s_delay_alu instid0(SALU_CYCLE_1)
	s_or_b32 s37, s37, s39
	s_or_b32 exec_lo, exec_lo, s38
	v_mov_b32_e32 v4, 0
	s_and_saveexec_b32 s38, s37
	s_cbranch_execnz .LBB6_1027
	s_branch .LBB6_1028
.LBB6_2001:
	s_mov_b32 s21, -1
	s_mov_b32 s24, 0
.LBB6_2002:
                                        ; implicit-def: $sgpr20
.LBB6_2003:
	s_and_b32 vcc_lo, exec_lo, s26
	s_cbranch_vccz .LBB6_2005
; %bb.2004:
	s_cmp_lg_u32 s0, 44
	s_mov_b32 s24, -1
	s_cselect_b32 s21, -1, 0
	s_or_b32 s20, s20, exec_lo
.LBB6_2005:
	s_mov_b32 s26, 0
.LBB6_2006:
	s_delay_alu instid0(SALU_CYCLE_1)
	s_and_b32 vcc_lo, exec_lo, s26
	s_cbranch_vccz .LBB6_2010
; %bb.2007:
	s_cmp_eq_u32 s0, 29
	s_cbranch_scc0 .LBB6_2009
; %bb.2008:
	global_load_b64 v[8:9], v[4:5], off
	s_mov_b32 s21, 0
	s_mov_b32 s24, -1
	s_mov_b32 s26, 0
	s_wait_loadcnt 0x0
	v_cmp_ne_u64_e64 s20, 0, v[8:9]
	s_branch .LBB6_2011
.LBB6_2009:
	s_mov_b32 s21, -1
                                        ; implicit-def: $sgpr20
.LBB6_2010:
	s_mov_b32 s26, 0
.LBB6_2011:
	s_delay_alu instid0(SALU_CYCLE_1)
	s_and_b32 vcc_lo, exec_lo, s26
	s_cbranch_vccz .LBB6_2023
; %bb.2012:
	s_cmp_lt_i32 s0, 27
	s_cbranch_scc1 .LBB6_2015
; %bb.2013:
	s_cmp_gt_i32 s0, 27
	s_cbranch_scc0 .LBB6_2016
; %bb.2014:
	global_load_b32 v1, v[4:5], off
	s_mov_b32 s24, 0
	s_wait_loadcnt 0x0
	v_cmp_ne_u32_e64 s20, 0, v1
	s_branch .LBB6_2017
.LBB6_2015:
	s_mov_b32 s24, -1
                                        ; implicit-def: $sgpr20
	s_branch .LBB6_2020
.LBB6_2016:
	s_mov_b32 s24, -1
                                        ; implicit-def: $sgpr20
.LBB6_2017:
	s_delay_alu instid0(SALU_CYCLE_1)
	s_and_not1_b32 vcc_lo, exec_lo, s24
	s_cbranch_vccnz .LBB6_2019
; %bb.2018:
	global_load_u16 v1, v[4:5], off
	s_and_not1_b32 s20, s20, exec_lo
	s_wait_loadcnt 0x0
	v_cmp_ne_u16_e32 vcc_lo, 0, v1
	s_and_b32 s24, vcc_lo, exec_lo
	s_delay_alu instid0(SALU_CYCLE_1)
	s_or_b32 s20, s20, s24
.LBB6_2019:
	s_mov_b32 s24, 0
.LBB6_2020:
	s_delay_alu instid0(SALU_CYCLE_1)
	s_and_not1_b32 vcc_lo, exec_lo, s24
	s_cbranch_vccnz .LBB6_2022
; %bb.2021:
	global_load_u8 v1, v[4:5], off
	s_and_not1_b32 s20, s20, exec_lo
	s_wait_loadcnt 0x0
	v_cmp_ne_u16_e32 vcc_lo, 0, v1
	s_and_b32 s24, vcc_lo, exec_lo
	s_delay_alu instid0(SALU_CYCLE_1)
	s_or_b32 s20, s20, s24
.LBB6_2022:
	s_mov_b32 s24, -1
.LBB6_2023:
	s_mov_b32 s26, 0
.LBB6_2024:
	s_delay_alu instid0(SALU_CYCLE_1)
	s_and_b32 vcc_lo, exec_lo, s26
	s_cbranch_vccz .LBB6_2047
; %bb.2025:
	s_cmp_gt_i32 s0, 22
	s_cbranch_scc0 .LBB6_2029
; %bb.2026:
	s_cmp_lt_i32 s0, 24
	s_cbranch_scc1 .LBB6_2030
; %bb.2027:
	s_cmp_gt_i32 s0, 24
	s_cbranch_scc0 .LBB6_2031
; %bb.2028:
	global_load_u8 v1, v[4:5], off
	s_mov_b32 s24, 0
	s_wait_loadcnt 0x0
	v_cmp_ne_u16_e64 s20, 0, v1
	s_branch .LBB6_2032
.LBB6_2029:
	s_mov_b32 s25, -1
                                        ; implicit-def: $sgpr20
	s_branch .LBB6_2038
.LBB6_2030:
	s_mov_b32 s24, -1
                                        ; implicit-def: $sgpr20
	s_branch .LBB6_2035
.LBB6_2031:
	s_mov_b32 s24, -1
                                        ; implicit-def: $sgpr20
.LBB6_2032:
	s_delay_alu instid0(SALU_CYCLE_1)
	s_and_not1_b32 vcc_lo, exec_lo, s24
	s_cbranch_vccnz .LBB6_2034
; %bb.2033:
	global_load_u8 v1, v[4:5], off
	s_and_not1_b32 s20, s20, exec_lo
	s_wait_loadcnt 0x0
	v_and_b32_e32 v1, 0x7f, v1
	s_delay_alu instid0(VALU_DEP_1) | instskip(SKIP_1) | instid1(SALU_CYCLE_1)
	v_cmp_ne_u16_e32 vcc_lo, 0, v1
	s_and_b32 s24, vcc_lo, exec_lo
	s_or_b32 s20, s20, s24
.LBB6_2034:
	s_mov_b32 s24, 0
.LBB6_2035:
	s_delay_alu instid0(SALU_CYCLE_1)
	s_and_not1_b32 vcc_lo, exec_lo, s24
	s_cbranch_vccnz .LBB6_2037
; %bb.2036:
	global_load_u8 v1, v[4:5], off
	s_and_not1_b32 s20, s20, exec_lo
	s_wait_loadcnt 0x0
	v_dual_lshlrev_b32 v3, 25, v1 :: v_dual_lshlrev_b32 v1, 8, v1
	s_delay_alu instid0(VALU_DEP_1) | instskip(NEXT) | instid1(VALU_DEP_2)
	v_cmp_gt_u32_e32 vcc_lo, 0x8000000, v3
	v_and_or_b32 v1, 0x7f00, v1, 0.5
	s_delay_alu instid0(VALU_DEP_1) | instskip(NEXT) | instid1(VALU_DEP_1)
	v_dual_lshrrev_b32 v7, 4, v3 :: v_dual_add_f32 v1, -0.5, v1
	v_or_b32_e32 v7, 0x70000000, v7
	s_delay_alu instid0(VALU_DEP_1) | instskip(NEXT) | instid1(VALU_DEP_1)
	v_mul_f32_e32 v7, 0x7800000, v7
	v_cndmask_b32_e32 v1, v7, v1, vcc_lo
	s_delay_alu instid0(VALU_DEP_1) | instskip(SKIP_1) | instid1(SALU_CYCLE_1)
	v_cmp_neq_f32_e32 vcc_lo, 0, v1
	s_and_b32 s24, vcc_lo, exec_lo
	s_or_b32 s20, s20, s24
.LBB6_2037:
	s_mov_b32 s24, -1
.LBB6_2038:
	s_and_not1_b32 vcc_lo, exec_lo, s25
	s_mov_b32 s25, 0
	s_cbranch_vccnz .LBB6_2047
; %bb.2039:
	s_cmp_gt_i32 s0, 14
	s_cbranch_scc0 .LBB6_2042
; %bb.2040:
	s_cmp_eq_u32 s0, 15
	s_cbranch_scc0 .LBB6_2043
; %bb.2041:
	global_load_u16 v1, v[4:5], off
	s_mov_b32 s21, 0
	s_mov_b32 s24, -1
	s_wait_loadcnt 0x0
	v_and_b32_e32 v1, 0x7fff, v1
	s_delay_alu instid0(VALU_DEP_1)
	v_cmp_ne_u16_e64 s20, 0, v1
	s_branch .LBB6_2045
.LBB6_2042:
	s_mov_b32 s25, -1
	s_branch .LBB6_2044
.LBB6_2043:
	s_mov_b32 s21, -1
.LBB6_2044:
                                        ; implicit-def: $sgpr20
.LBB6_2045:
	s_and_b32 vcc_lo, exec_lo, s25
	s_mov_b32 s25, 0
	s_cbranch_vccz .LBB6_2047
; %bb.2046:
	s_cmp_lg_u32 s0, 11
	s_mov_b32 s25, -1
	s_cselect_b32 s21, -1, 0
.LBB6_2047:
	s_delay_alu instid0(SALU_CYCLE_1)
	s_and_b32 vcc_lo, exec_lo, s21
	s_cbranch_vccnz .LBB6_2112
; %bb.2048:
	s_and_not1_b32 vcc_lo, exec_lo, s25
	s_cbranch_vccnz .LBB6_2050
.LBB6_2049:
	global_load_u8 v1, v[4:5], off
	s_and_not1_b32 s0, s20, exec_lo
	s_mov_b32 s24, -1
	s_wait_loadcnt 0x0
	v_cmp_ne_u16_e32 vcc_lo, 0, v1
	s_and_b32 s20, vcc_lo, exec_lo
	s_delay_alu instid0(SALU_CYCLE_1)
	s_or_b32 s20, s0, s20
.LBB6_2050:
	s_mov_b32 s0, 0
.LBB6_2051:
	s_delay_alu instid0(SALU_CYCLE_1)
	s_and_b32 vcc_lo, exec_lo, s0
	s_cbranch_vccz .LBB6_2100
; %bb.2052:
	s_and_b32 s21, 0xffff, s15
	s_delay_alu instid0(SALU_CYCLE_1)
	s_cmp_lt_i32 s21, 5
	s_cbranch_scc1 .LBB6_2057
; %bb.2053:
	s_cmp_lt_i32 s21, 8
	s_cbranch_scc1 .LBB6_2058
; %bb.2054:
	;; [unrolled: 3-line block ×3, first 2 shown]
	s_cmp_gt_i32 s21, 9
	s_cbranch_scc0 .LBB6_2060
; %bb.2056:
	global_load_b128 v[8:11], v[4:5], off
	s_wait_loadcnt 0x0
	v_cmp_neq_f64_e32 vcc_lo, 0, v[8:9]
	v_cmp_neq_f64_e64 s0, 0, v[10:11]
	s_or_b32 s20, vcc_lo, s0
	s_mov_b32 s0, 0
	s_branch .LBB6_2061
.LBB6_2057:
	s_mov_b32 s0, -1
                                        ; implicit-def: $sgpr20
	s_branch .LBB6_2079
.LBB6_2058:
	s_mov_b32 s0, -1
                                        ; implicit-def: $sgpr20
	s_branch .LBB6_2067
.LBB6_2059:
	s_mov_b32 s0, -1
                                        ; implicit-def: $sgpr20
	s_branch .LBB6_2064
.LBB6_2060:
	s_mov_b32 s0, -1
                                        ; implicit-def: $sgpr20
.LBB6_2061:
	s_delay_alu instid0(SALU_CYCLE_1)
	s_and_not1_b32 vcc_lo, exec_lo, s0
	s_cbranch_vccnz .LBB6_2063
; %bb.2062:
	global_load_b64 v[8:9], v[4:5], off
	s_and_not1_b32 s0, s20, exec_lo
	s_wait_loadcnt 0x0
	v_bitop3_b32 v1, v8, 0x7fffffff, v9 bitop3:0xc8
	s_delay_alu instid0(VALU_DEP_1) | instskip(SKIP_1) | instid1(SALU_CYCLE_1)
	v_cmp_ne_u32_e32 vcc_lo, 0, v1
	s_and_b32 s20, vcc_lo, exec_lo
	s_or_b32 s20, s0, s20
.LBB6_2063:
	s_mov_b32 s0, 0
.LBB6_2064:
	s_delay_alu instid0(SALU_CYCLE_1)
	s_and_not1_b32 vcc_lo, exec_lo, s0
	s_cbranch_vccnz .LBB6_2066
; %bb.2065:
	global_load_b32 v1, v[4:5], off
	s_and_not1_b32 s0, s20, exec_lo
	s_wait_loadcnt 0x0
	v_and_b32_e32 v1, 0x7fff7fff, v1
	s_delay_alu instid0(VALU_DEP_1) | instskip(SKIP_1) | instid1(SALU_CYCLE_1)
	v_cmp_ne_u32_e32 vcc_lo, 0, v1
	s_and_b32 s20, vcc_lo, exec_lo
	s_or_b32 s20, s0, s20
.LBB6_2066:
	s_mov_b32 s0, 0
.LBB6_2067:
	s_delay_alu instid0(SALU_CYCLE_1)
	s_and_not1_b32 vcc_lo, exec_lo, s0
	s_cbranch_vccnz .LBB6_2078
; %bb.2068:
	s_cmp_lt_i32 s21, 6
	s_cbranch_scc1 .LBB6_2071
; %bb.2069:
	s_cmp_gt_i32 s21, 6
	s_cbranch_scc0 .LBB6_2072
; %bb.2070:
	global_load_b64 v[8:9], v[4:5], off
	s_mov_b32 s0, 0
	s_wait_loadcnt 0x0
	v_cmp_neq_f64_e64 s20, 0, v[8:9]
	s_branch .LBB6_2073
.LBB6_2071:
	s_mov_b32 s0, -1
                                        ; implicit-def: $sgpr20
	s_branch .LBB6_2076
.LBB6_2072:
	s_mov_b32 s0, -1
                                        ; implicit-def: $sgpr20
.LBB6_2073:
	s_delay_alu instid0(SALU_CYCLE_1)
	s_and_not1_b32 vcc_lo, exec_lo, s0
	s_cbranch_vccnz .LBB6_2075
; %bb.2074:
	global_load_b32 v1, v[4:5], off
	s_and_not1_b32 s0, s20, exec_lo
	s_wait_loadcnt 0x0
	v_cmp_neq_f32_e32 vcc_lo, 0, v1
	s_and_b32 s20, vcc_lo, exec_lo
	s_delay_alu instid0(SALU_CYCLE_1)
	s_or_b32 s20, s0, s20
.LBB6_2075:
	s_mov_b32 s0, 0
.LBB6_2076:
	s_delay_alu instid0(SALU_CYCLE_1)
	s_and_not1_b32 vcc_lo, exec_lo, s0
	s_cbranch_vccnz .LBB6_2078
; %bb.2077:
	global_load_u16 v1, v[4:5], off
	s_and_not1_b32 s0, s20, exec_lo
	s_wait_loadcnt 0x0
	v_and_b32_e32 v1, 0x7fff, v1
	s_delay_alu instid0(VALU_DEP_1) | instskip(SKIP_1) | instid1(SALU_CYCLE_1)
	v_cmp_ne_u16_e32 vcc_lo, 0, v1
	s_and_b32 s20, vcc_lo, exec_lo
	s_or_b32 s20, s0, s20
.LBB6_2078:
	s_mov_b32 s0, 0
.LBB6_2079:
	s_delay_alu instid0(SALU_CYCLE_1)
	s_and_not1_b32 vcc_lo, exec_lo, s0
	s_cbranch_vccnz .LBB6_2099
; %bb.2080:
	s_cmp_lt_i32 s21, 2
	s_cbranch_scc1 .LBB6_2084
; %bb.2081:
	s_cmp_lt_i32 s21, 3
	s_cbranch_scc1 .LBB6_2085
; %bb.2082:
	s_cmp_gt_i32 s21, 3
	s_cbranch_scc0 .LBB6_2086
; %bb.2083:
	global_load_b64 v[8:9], v[4:5], off
	s_mov_b32 s0, 0
	s_wait_loadcnt 0x0
	v_cmp_ne_u64_e64 s20, 0, v[8:9]
	s_branch .LBB6_2087
.LBB6_2084:
	s_mov_b32 s0, -1
                                        ; implicit-def: $sgpr20
	s_branch .LBB6_2093
.LBB6_2085:
	s_mov_b32 s0, -1
                                        ; implicit-def: $sgpr20
	s_branch .LBB6_2090
.LBB6_2086:
	s_mov_b32 s0, -1
                                        ; implicit-def: $sgpr20
.LBB6_2087:
	s_delay_alu instid0(SALU_CYCLE_1)
	s_and_not1_b32 vcc_lo, exec_lo, s0
	s_cbranch_vccnz .LBB6_2089
; %bb.2088:
	global_load_b32 v1, v[4:5], off
	s_and_not1_b32 s0, s20, exec_lo
	s_wait_loadcnt 0x0
	v_cmp_ne_u32_e32 vcc_lo, 0, v1
	s_and_b32 s20, vcc_lo, exec_lo
	s_delay_alu instid0(SALU_CYCLE_1)
	s_or_b32 s20, s0, s20
.LBB6_2089:
	s_mov_b32 s0, 0
.LBB6_2090:
	s_delay_alu instid0(SALU_CYCLE_1)
	s_and_not1_b32 vcc_lo, exec_lo, s0
	s_cbranch_vccnz .LBB6_2092
; %bb.2091:
	global_load_u16 v1, v[4:5], off
	s_and_not1_b32 s0, s20, exec_lo
	s_wait_loadcnt 0x0
	v_cmp_ne_u16_e32 vcc_lo, 0, v1
	s_and_b32 s20, vcc_lo, exec_lo
	s_delay_alu instid0(SALU_CYCLE_1)
	s_or_b32 s20, s0, s20
.LBB6_2092:
	s_mov_b32 s0, 0
.LBB6_2093:
	s_delay_alu instid0(SALU_CYCLE_1)
	s_and_not1_b32 vcc_lo, exec_lo, s0
	s_cbranch_vccnz .LBB6_2099
; %bb.2094:
	s_cmp_gt_i32 s21, 0
	s_mov_b32 s0, 0
	s_cbranch_scc0 .LBB6_2096
; %bb.2095:
	global_load_u8 v1, v[4:5], off
	s_wait_loadcnt 0x0
	v_cmp_ne_u16_e64 s20, 0, v1
	s_branch .LBB6_2097
.LBB6_2096:
	s_mov_b32 s0, -1
                                        ; implicit-def: $sgpr20
.LBB6_2097:
	s_delay_alu instid0(SALU_CYCLE_1)
	s_and_not1_b32 vcc_lo, exec_lo, s0
	s_cbranch_vccnz .LBB6_2099
; %bb.2098:
	global_load_u8 v1, v[4:5], off
	s_and_not1_b32 s0, s20, exec_lo
	s_wait_loadcnt 0x0
	v_cmp_ne_u16_e32 vcc_lo, 0, v1
	s_and_b32 s20, vcc_lo, exec_lo
	s_delay_alu instid0(SALU_CYCLE_1)
	s_or_b32 s20, s0, s20
.LBB6_2099:
	s_mov_b32 s24, -1
.LBB6_2100:
	s_delay_alu instid0(SALU_CYCLE_1)
	s_and_not1_b32 vcc_lo, exec_lo, s24
	s_cbranch_vccnz .LBB6_2894
; %bb.2101:
	v_add_nc_u32_e32 v2, s23, v2
	s_cmp_lt_i32 s18, 11
	s_delay_alu instid0(VALU_DEP_1) | instskip(SKIP_1) | instid1(VALU_DEP_1)
	v_ashrrev_i32_e32 v3, 31, v2
	s_wait_xcnt 0x0
	v_add_nc_u64_e32 v[4:5], s[10:11], v[2:3]
	s_cbranch_scc1 .LBB6_2108
; %bb.2102:
	s_and_b32 s0, 0xffff, s18
	s_mov_b32 s26, 0
	s_cmp_gt_i32 s0, 25
	s_cbranch_scc0 .LBB6_2109
; %bb.2103:
	s_cmp_gt_i32 s0, 28
	s_cbranch_scc0 .LBB6_2110
; %bb.2104:
	;; [unrolled: 3-line block ×4, first 2 shown]
	s_cmp_eq_u32 s0, 46
	s_mov_b32 s27, 0
	s_cbranch_scc0 .LBB6_2114
; %bb.2107:
	global_load_b32 v1, v[4:5], off
	s_mov_b32 s24, 0
	s_mov_b32 s25, -1
	s_wait_loadcnt 0x0
	v_and_b32_e32 v1, 0x7fff7fff, v1
	s_delay_alu instid0(VALU_DEP_1)
	v_cmp_ne_u32_e64 s21, 0, v1
	s_branch .LBB6_2116
.LBB6_2108:
	s_mov_b32 s0, -1
	s_mov_b32 s25, 0
                                        ; implicit-def: $sgpr21
	s_branch .LBB6_2164
.LBB6_2109:
	s_mov_b32 s27, -1
	s_mov_b32 s25, 0
	s_mov_b32 s24, 0
                                        ; implicit-def: $sgpr21
	s_branch .LBB6_2137
.LBB6_2110:
	s_mov_b32 s27, -1
	s_mov_b32 s25, 0
	s_mov_b32 s24, 0
                                        ; implicit-def: $sgpr21
	s_branch .LBB6_2124
.LBB6_2111:
	s_mov_b32 s27, -1
	s_mov_b32 s25, 0
	s_mov_b32 s24, 0
                                        ; implicit-def: $sgpr21
	s_branch .LBB6_2119
.LBB6_2112:
	s_mov_b32 s24, 0
	s_or_b32 s13, s13, exec_lo
	s_trap 2
	s_cbranch_execz .LBB6_2049
	s_branch .LBB6_2050
.LBB6_2113:
	s_mov_b32 s27, -1
	s_mov_b32 s25, 0
	s_mov_b32 s24, 0
	s_branch .LBB6_2115
.LBB6_2114:
	s_mov_b32 s24, -1
	s_mov_b32 s25, 0
.LBB6_2115:
                                        ; implicit-def: $sgpr21
.LBB6_2116:
	s_and_b32 vcc_lo, exec_lo, s27
	s_cbranch_vccz .LBB6_2118
; %bb.2117:
	s_cmp_lg_u32 s0, 44
	s_mov_b32 s25, -1
	s_cselect_b32 s24, -1, 0
	s_or_b32 s21, s21, exec_lo
.LBB6_2118:
	s_mov_b32 s27, 0
.LBB6_2119:
	s_delay_alu instid0(SALU_CYCLE_1)
	s_and_b32 vcc_lo, exec_lo, s27
	s_cbranch_vccz .LBB6_2123
; %bb.2120:
	s_cmp_eq_u32 s0, 29
	s_cbranch_scc0 .LBB6_2122
; %bb.2121:
	global_load_b64 v[8:9], v[4:5], off
	s_mov_b32 s24, 0
	s_mov_b32 s25, -1
	s_mov_b32 s27, 0
	s_wait_loadcnt 0x0
	v_cmp_ne_u64_e64 s21, 0, v[8:9]
	s_branch .LBB6_2124
.LBB6_2122:
	s_mov_b32 s24, -1
                                        ; implicit-def: $sgpr21
.LBB6_2123:
	s_mov_b32 s27, 0
.LBB6_2124:
	s_delay_alu instid0(SALU_CYCLE_1)
	s_and_b32 vcc_lo, exec_lo, s27
	s_cbranch_vccz .LBB6_2136
; %bb.2125:
	s_cmp_lt_i32 s0, 27
	s_cbranch_scc1 .LBB6_2128
; %bb.2126:
	s_cmp_gt_i32 s0, 27
	s_cbranch_scc0 .LBB6_2129
; %bb.2127:
	global_load_b32 v1, v[4:5], off
	s_mov_b32 s25, 0
	s_wait_loadcnt 0x0
	v_cmp_ne_u32_e64 s21, 0, v1
	s_branch .LBB6_2130
.LBB6_2128:
	s_mov_b32 s25, -1
                                        ; implicit-def: $sgpr21
	s_branch .LBB6_2133
.LBB6_2129:
	s_mov_b32 s25, -1
                                        ; implicit-def: $sgpr21
.LBB6_2130:
	s_delay_alu instid0(SALU_CYCLE_1)
	s_and_not1_b32 vcc_lo, exec_lo, s25
	s_cbranch_vccnz .LBB6_2132
; %bb.2131:
	global_load_u16 v1, v[4:5], off
	s_and_not1_b32 s21, s21, exec_lo
	s_wait_loadcnt 0x0
	v_cmp_ne_u16_e32 vcc_lo, 0, v1
	s_and_b32 s25, vcc_lo, exec_lo
	s_delay_alu instid0(SALU_CYCLE_1)
	s_or_b32 s21, s21, s25
.LBB6_2132:
	s_mov_b32 s25, 0
.LBB6_2133:
	s_delay_alu instid0(SALU_CYCLE_1)
	s_and_not1_b32 vcc_lo, exec_lo, s25
	s_cbranch_vccnz .LBB6_2135
; %bb.2134:
	global_load_u8 v1, v[4:5], off
	s_and_not1_b32 s21, s21, exec_lo
	s_wait_loadcnt 0x0
	v_cmp_ne_u16_e32 vcc_lo, 0, v1
	s_and_b32 s25, vcc_lo, exec_lo
	s_delay_alu instid0(SALU_CYCLE_1)
	s_or_b32 s21, s21, s25
.LBB6_2135:
	s_mov_b32 s25, -1
.LBB6_2136:
	s_mov_b32 s27, 0
.LBB6_2137:
	s_delay_alu instid0(SALU_CYCLE_1)
	s_and_b32 vcc_lo, exec_lo, s27
	s_cbranch_vccz .LBB6_2160
; %bb.2138:
	s_cmp_gt_i32 s0, 22
	s_cbranch_scc0 .LBB6_2142
; %bb.2139:
	s_cmp_lt_i32 s0, 24
	s_cbranch_scc1 .LBB6_2143
; %bb.2140:
	s_cmp_gt_i32 s0, 24
	s_cbranch_scc0 .LBB6_2144
; %bb.2141:
	global_load_u8 v1, v[4:5], off
	s_mov_b32 s25, 0
	s_wait_loadcnt 0x0
	v_cmp_ne_u16_e64 s21, 0, v1
	s_branch .LBB6_2145
.LBB6_2142:
	s_mov_b32 s26, -1
                                        ; implicit-def: $sgpr21
	s_branch .LBB6_2151
.LBB6_2143:
	s_mov_b32 s25, -1
                                        ; implicit-def: $sgpr21
	s_branch .LBB6_2148
.LBB6_2144:
	s_mov_b32 s25, -1
                                        ; implicit-def: $sgpr21
.LBB6_2145:
	s_delay_alu instid0(SALU_CYCLE_1)
	s_and_not1_b32 vcc_lo, exec_lo, s25
	s_cbranch_vccnz .LBB6_2147
; %bb.2146:
	global_load_u8 v1, v[4:5], off
	s_and_not1_b32 s21, s21, exec_lo
	s_wait_loadcnt 0x0
	v_and_b32_e32 v1, 0x7f, v1
	s_delay_alu instid0(VALU_DEP_1) | instskip(SKIP_1) | instid1(SALU_CYCLE_1)
	v_cmp_ne_u16_e32 vcc_lo, 0, v1
	s_and_b32 s25, vcc_lo, exec_lo
	s_or_b32 s21, s21, s25
.LBB6_2147:
	s_mov_b32 s25, 0
.LBB6_2148:
	s_delay_alu instid0(SALU_CYCLE_1)
	s_and_not1_b32 vcc_lo, exec_lo, s25
	s_cbranch_vccnz .LBB6_2150
; %bb.2149:
	global_load_u8 v1, v[4:5], off
	s_and_not1_b32 s21, s21, exec_lo
	s_wait_loadcnt 0x0
	v_dual_lshlrev_b32 v3, 25, v1 :: v_dual_lshlrev_b32 v1, 8, v1
	s_delay_alu instid0(VALU_DEP_1) | instskip(NEXT) | instid1(VALU_DEP_2)
	v_cmp_gt_u32_e32 vcc_lo, 0x8000000, v3
	v_and_or_b32 v1, 0x7f00, v1, 0.5
	s_delay_alu instid0(VALU_DEP_1) | instskip(NEXT) | instid1(VALU_DEP_1)
	v_dual_lshrrev_b32 v7, 4, v3 :: v_dual_add_f32 v1, -0.5, v1
	v_or_b32_e32 v7, 0x70000000, v7
	s_delay_alu instid0(VALU_DEP_1) | instskip(NEXT) | instid1(VALU_DEP_1)
	v_mul_f32_e32 v7, 0x7800000, v7
	v_cndmask_b32_e32 v1, v7, v1, vcc_lo
	s_delay_alu instid0(VALU_DEP_1) | instskip(SKIP_1) | instid1(SALU_CYCLE_1)
	v_cmp_neq_f32_e32 vcc_lo, 0, v1
	s_and_b32 s25, vcc_lo, exec_lo
	s_or_b32 s21, s21, s25
.LBB6_2150:
	s_mov_b32 s25, -1
.LBB6_2151:
	s_and_not1_b32 vcc_lo, exec_lo, s26
	s_mov_b32 s26, 0
	s_cbranch_vccnz .LBB6_2160
; %bb.2152:
	s_cmp_gt_i32 s0, 14
	s_cbranch_scc0 .LBB6_2155
; %bb.2153:
	s_cmp_eq_u32 s0, 15
	s_cbranch_scc0 .LBB6_2156
; %bb.2154:
	global_load_u16 v1, v[4:5], off
	s_mov_b32 s24, 0
	s_mov_b32 s25, -1
	s_wait_loadcnt 0x0
	v_and_b32_e32 v1, 0x7fff, v1
	s_delay_alu instid0(VALU_DEP_1)
	v_cmp_ne_u16_e64 s21, 0, v1
	s_branch .LBB6_2158
.LBB6_2155:
	s_mov_b32 s26, -1
	s_branch .LBB6_2157
.LBB6_2156:
	s_mov_b32 s24, -1
.LBB6_2157:
                                        ; implicit-def: $sgpr21
.LBB6_2158:
	s_and_b32 vcc_lo, exec_lo, s26
	s_mov_b32 s26, 0
	s_cbranch_vccz .LBB6_2160
; %bb.2159:
	s_cmp_lg_u32 s0, 11
	s_mov_b32 s26, -1
	s_cselect_b32 s24, -1, 0
.LBB6_2160:
	s_delay_alu instid0(SALU_CYCLE_1)
	s_and_b32 vcc_lo, exec_lo, s24
	s_cbranch_vccnz .LBB6_2244
; %bb.2161:
	s_and_not1_b32 vcc_lo, exec_lo, s26
	s_cbranch_vccnz .LBB6_2163
.LBB6_2162:
	global_load_u8 v1, v[4:5], off
	s_and_not1_b32 s0, s21, exec_lo
	s_mov_b32 s25, -1
	s_wait_loadcnt 0x0
	v_cmp_ne_u16_e32 vcc_lo, 0, v1
	s_and_b32 s21, vcc_lo, exec_lo
	s_delay_alu instid0(SALU_CYCLE_1)
	s_or_b32 s21, s0, s21
.LBB6_2163:
	s_mov_b32 s0, 0
.LBB6_2164:
	s_delay_alu instid0(SALU_CYCLE_1)
	s_and_b32 vcc_lo, exec_lo, s0
	s_cbranch_vccz .LBB6_2213
; %bb.2165:
	s_and_b32 s24, 0xffff, s18
	s_delay_alu instid0(SALU_CYCLE_1)
	s_cmp_lt_i32 s24, 5
	s_cbranch_scc1 .LBB6_2170
; %bb.2166:
	s_cmp_lt_i32 s24, 8
	s_cbranch_scc1 .LBB6_2171
; %bb.2167:
	;; [unrolled: 3-line block ×3, first 2 shown]
	s_cmp_gt_i32 s24, 9
	s_cbranch_scc0 .LBB6_2173
; %bb.2169:
	global_load_b128 v[8:11], v[4:5], off
	s_wait_loadcnt 0x0
	v_cmp_neq_f64_e32 vcc_lo, 0, v[8:9]
	v_cmp_neq_f64_e64 s0, 0, v[10:11]
	s_or_b32 s21, vcc_lo, s0
	s_mov_b32 s0, 0
	s_branch .LBB6_2174
.LBB6_2170:
	s_mov_b32 s0, -1
                                        ; implicit-def: $sgpr21
	s_branch .LBB6_2192
.LBB6_2171:
	s_mov_b32 s0, -1
                                        ; implicit-def: $sgpr21
	s_branch .LBB6_2180
.LBB6_2172:
	s_mov_b32 s0, -1
                                        ; implicit-def: $sgpr21
	s_branch .LBB6_2177
.LBB6_2173:
	s_mov_b32 s0, -1
                                        ; implicit-def: $sgpr21
.LBB6_2174:
	s_delay_alu instid0(SALU_CYCLE_1)
	s_and_not1_b32 vcc_lo, exec_lo, s0
	s_cbranch_vccnz .LBB6_2176
; %bb.2175:
	global_load_b64 v[8:9], v[4:5], off
	s_and_not1_b32 s0, s21, exec_lo
	s_wait_loadcnt 0x0
	v_bitop3_b32 v1, v8, 0x7fffffff, v9 bitop3:0xc8
	s_delay_alu instid0(VALU_DEP_1) | instskip(SKIP_1) | instid1(SALU_CYCLE_1)
	v_cmp_ne_u32_e32 vcc_lo, 0, v1
	s_and_b32 s21, vcc_lo, exec_lo
	s_or_b32 s21, s0, s21
.LBB6_2176:
	s_mov_b32 s0, 0
.LBB6_2177:
	s_delay_alu instid0(SALU_CYCLE_1)
	s_and_not1_b32 vcc_lo, exec_lo, s0
	s_cbranch_vccnz .LBB6_2179
; %bb.2178:
	global_load_b32 v1, v[4:5], off
	s_and_not1_b32 s0, s21, exec_lo
	s_wait_loadcnt 0x0
	v_and_b32_e32 v1, 0x7fff7fff, v1
	s_delay_alu instid0(VALU_DEP_1) | instskip(SKIP_1) | instid1(SALU_CYCLE_1)
	v_cmp_ne_u32_e32 vcc_lo, 0, v1
	s_and_b32 s21, vcc_lo, exec_lo
	s_or_b32 s21, s0, s21
.LBB6_2179:
	s_mov_b32 s0, 0
.LBB6_2180:
	s_delay_alu instid0(SALU_CYCLE_1)
	s_and_not1_b32 vcc_lo, exec_lo, s0
	s_cbranch_vccnz .LBB6_2191
; %bb.2181:
	s_cmp_lt_i32 s24, 6
	s_cbranch_scc1 .LBB6_2184
; %bb.2182:
	s_cmp_gt_i32 s24, 6
	s_cbranch_scc0 .LBB6_2185
; %bb.2183:
	global_load_b64 v[8:9], v[4:5], off
	s_mov_b32 s0, 0
	s_wait_loadcnt 0x0
	v_cmp_neq_f64_e64 s21, 0, v[8:9]
	s_branch .LBB6_2186
.LBB6_2184:
	s_mov_b32 s0, -1
                                        ; implicit-def: $sgpr21
	s_branch .LBB6_2189
.LBB6_2185:
	s_mov_b32 s0, -1
                                        ; implicit-def: $sgpr21
.LBB6_2186:
	s_delay_alu instid0(SALU_CYCLE_1)
	s_and_not1_b32 vcc_lo, exec_lo, s0
	s_cbranch_vccnz .LBB6_2188
; %bb.2187:
	global_load_b32 v1, v[4:5], off
	s_and_not1_b32 s0, s21, exec_lo
	s_wait_loadcnt 0x0
	v_cmp_neq_f32_e32 vcc_lo, 0, v1
	s_and_b32 s21, vcc_lo, exec_lo
	s_delay_alu instid0(SALU_CYCLE_1)
	s_or_b32 s21, s0, s21
.LBB6_2188:
	s_mov_b32 s0, 0
.LBB6_2189:
	s_delay_alu instid0(SALU_CYCLE_1)
	s_and_not1_b32 vcc_lo, exec_lo, s0
	s_cbranch_vccnz .LBB6_2191
; %bb.2190:
	global_load_u16 v1, v[4:5], off
	s_and_not1_b32 s0, s21, exec_lo
	s_wait_loadcnt 0x0
	v_and_b32_e32 v1, 0x7fff, v1
	s_delay_alu instid0(VALU_DEP_1) | instskip(SKIP_1) | instid1(SALU_CYCLE_1)
	v_cmp_ne_u16_e32 vcc_lo, 0, v1
	s_and_b32 s21, vcc_lo, exec_lo
	s_or_b32 s21, s0, s21
.LBB6_2191:
	s_mov_b32 s0, 0
.LBB6_2192:
	s_delay_alu instid0(SALU_CYCLE_1)
	s_and_not1_b32 vcc_lo, exec_lo, s0
	s_cbranch_vccnz .LBB6_2212
; %bb.2193:
	s_cmp_lt_i32 s24, 2
	s_cbranch_scc1 .LBB6_2197
; %bb.2194:
	s_cmp_lt_i32 s24, 3
	s_cbranch_scc1 .LBB6_2198
; %bb.2195:
	s_cmp_gt_i32 s24, 3
	s_cbranch_scc0 .LBB6_2199
; %bb.2196:
	global_load_b64 v[8:9], v[4:5], off
	s_mov_b32 s0, 0
	s_wait_loadcnt 0x0
	v_cmp_ne_u64_e64 s21, 0, v[8:9]
	s_branch .LBB6_2200
.LBB6_2197:
	s_mov_b32 s0, -1
                                        ; implicit-def: $sgpr21
	s_branch .LBB6_2206
.LBB6_2198:
	s_mov_b32 s0, -1
                                        ; implicit-def: $sgpr21
	s_branch .LBB6_2203
.LBB6_2199:
	s_mov_b32 s0, -1
                                        ; implicit-def: $sgpr21
.LBB6_2200:
	s_delay_alu instid0(SALU_CYCLE_1)
	s_and_not1_b32 vcc_lo, exec_lo, s0
	s_cbranch_vccnz .LBB6_2202
; %bb.2201:
	global_load_b32 v1, v[4:5], off
	s_and_not1_b32 s0, s21, exec_lo
	s_wait_loadcnt 0x0
	v_cmp_ne_u32_e32 vcc_lo, 0, v1
	s_and_b32 s21, vcc_lo, exec_lo
	s_delay_alu instid0(SALU_CYCLE_1)
	s_or_b32 s21, s0, s21
.LBB6_2202:
	s_mov_b32 s0, 0
.LBB6_2203:
	s_delay_alu instid0(SALU_CYCLE_1)
	s_and_not1_b32 vcc_lo, exec_lo, s0
	s_cbranch_vccnz .LBB6_2205
; %bb.2204:
	global_load_u16 v1, v[4:5], off
	s_and_not1_b32 s0, s21, exec_lo
	s_wait_loadcnt 0x0
	v_cmp_ne_u16_e32 vcc_lo, 0, v1
	s_and_b32 s21, vcc_lo, exec_lo
	s_delay_alu instid0(SALU_CYCLE_1)
	s_or_b32 s21, s0, s21
.LBB6_2205:
	s_mov_b32 s0, 0
.LBB6_2206:
	s_delay_alu instid0(SALU_CYCLE_1)
	s_and_not1_b32 vcc_lo, exec_lo, s0
	s_cbranch_vccnz .LBB6_2212
; %bb.2207:
	s_cmp_gt_i32 s24, 0
	s_mov_b32 s0, 0
	s_cbranch_scc0 .LBB6_2209
; %bb.2208:
	global_load_u8 v1, v[4:5], off
	s_wait_loadcnt 0x0
	v_cmp_ne_u16_e64 s21, 0, v1
	s_branch .LBB6_2210
.LBB6_2209:
	s_mov_b32 s0, -1
                                        ; implicit-def: $sgpr21
.LBB6_2210:
	s_delay_alu instid0(SALU_CYCLE_1)
	s_and_not1_b32 vcc_lo, exec_lo, s0
	s_cbranch_vccnz .LBB6_2212
; %bb.2211:
	global_load_u8 v1, v[4:5], off
	s_and_not1_b32 s0, s21, exec_lo
	s_wait_loadcnt 0x0
	v_cmp_ne_u16_e32 vcc_lo, 0, v1
	s_and_b32 s21, vcc_lo, exec_lo
	s_delay_alu instid0(SALU_CYCLE_1)
	s_or_b32 s21, s0, s21
.LBB6_2212:
	s_mov_b32 s25, -1
.LBB6_2213:
	s_delay_alu instid0(SALU_CYCLE_1)
	s_and_not1_b32 vcc_lo, exec_lo, s25
	s_cbranch_vccnz .LBB6_2894
; %bb.2214:
	s_cmp_lt_i32 s19, 23
	s_cbranch_scc1 .LBB6_2218
; %bb.2215:
	s_and_b32 s25, 0xffff, s19
	s_delay_alu instid0(SALU_CYCLE_1)
	s_cmp_gt_i32 s25, 43
	s_cbranch_scc0 .LBB6_2219
; %bb.2216:
	s_cmp_gt_i32 s25, 45
	s_cbranch_scc0 .LBB6_2220
; %bb.2217:
	s_cmp_lg_u32 s25, 46
	s_mov_b32 s26, 0
	s_mov_b32 s0, -1
	s_cselect_b32 s24, -1, 0
	s_branch .LBB6_2221
.LBB6_2218:
	s_mov_b32 s25, -1
	s_mov_b32 s0, 0
	s_mov_b32 s24, 0
	s_branch .LBB6_2227
.LBB6_2219:
	s_mov_b32 s26, -1
	s_mov_b32 s0, 0
	s_mov_b32 s24, 0
	s_branch .LBB6_2224
.LBB6_2220:
	s_mov_b32 s26, -1
	s_mov_b32 s0, 0
	s_mov_b32 s24, 0
.LBB6_2221:
	s_and_not1_b32 vcc_lo, exec_lo, s26
	s_cbranch_vccnz .LBB6_2223
; %bb.2222:
	s_cmp_eq_u32 s25, 44
	s_cselect_b32 s0, -1, 0
	s_cmp_lg_u32 s25, 44
	s_cselect_b32 s24, -1, 0
.LBB6_2223:
	s_mov_b32 s26, 0
.LBB6_2224:
	s_delay_alu instid0(SALU_CYCLE_1)
	s_and_b32 vcc_lo, exec_lo, s26
	s_cbranch_vccz .LBB6_2226
; %bb.2225:
	s_cmp_lt_i32 s25, 30
	s_cselect_b32 s0, -1, 0
	s_cmp_gt_i32 s25, 29
	s_cselect_b32 s24, -1, 0
.LBB6_2226:
	s_mov_b32 s25, 0
.LBB6_2227:
	s_delay_alu instid0(SALU_CYCLE_1)
	s_and_b32 vcc_lo, exec_lo, s25
	s_cbranch_vccz .LBB6_2232
; %bb.2228:
	s_and_b32 s19, 0xffff, s19
	s_mov_b32 s25, -1
	s_cmp_gt_i32 s19, 14
	s_cbranch_scc0 .LBB6_2230
; %bb.2229:
	s_cmp_eq_u32 s19, 15
	s_mov_b32 s25, 0
	s_cselect_b32 s0, -1, 0
	s_cmp_lg_u32 s19, 15
	s_cselect_b32 s24, -1, 0
.LBB6_2230:
	s_and_not1_b32 vcc_lo, exec_lo, s25
	s_cbranch_vccnz .LBB6_2232
; %bb.2231:
	s_cmp_lt_i32 s19, 12
	s_cselect_b32 s0, -1, 0
	s_cmp_gt_i32 s19, 11
	s_cselect_b32 s24, -1, 0
.LBB6_2232:
	s_delay_alu instid0(SALU_CYCLE_1)
	s_and_b32 vcc_lo, exec_lo, s24
	s_cbranch_vccnz .LBB6_2245
; %bb.2233:
	s_and_not1_b32 vcc_lo, exec_lo, s0
	s_cbranch_vccnz .LBB6_2894
.LBB6_2234:
	v_add_nc_u32_e32 v0, s22, v0
	s_cmp_lt_i32 s15, 11
	s_delay_alu instid0(VALU_DEP_1) | instskip(NEXT) | instid1(VALU_DEP_1)
	v_ashrrev_i32_e32 v1, 31, v0
	v_add_nc_u64_e32 v[0:1], s[8:9], v[0:1]
	s_cbranch_scc1 .LBB6_2241
; %bb.2235:
	s_and_b32 s0, 0xffff, s15
	s_mov_b32 s22, 0
	s_cmp_gt_i32 s0, 25
	s_cbranch_scc0 .LBB6_2242
; %bb.2236:
	s_cmp_gt_i32 s0, 28
	s_cbranch_scc0 .LBB6_2243
; %bb.2237:
	;; [unrolled: 3-line block ×4, first 2 shown]
	s_cmp_eq_u32 s0, 46
	s_mov_b32 s24, 0
	s_cbranch_scc0 .LBB6_2248
; %bb.2240:
	global_load_b32 v3, v[0:1], off
	s_mov_b32 s9, 0
	s_mov_b32 s19, -1
	s_wait_loadcnt 0x0
	v_and_b32_e32 v3, 0x7fff7fff, v3
	s_delay_alu instid0(VALU_DEP_1)
	v_cmp_ne_u32_e64 s8, 0, v3
	s_branch .LBB6_2250
.LBB6_2241:
	s_mov_b32 s0, -1
	s_mov_b32 s19, 0
                                        ; implicit-def: $sgpr8
	s_branch .LBB6_2298
.LBB6_2242:
	s_mov_b32 s24, -1
	s_mov_b32 s19, 0
	s_mov_b32 s9, 0
                                        ; implicit-def: $sgpr8
	s_branch .LBB6_2271
.LBB6_2243:
	s_mov_b32 s24, -1
	s_mov_b32 s19, 0
	s_mov_b32 s9, 0
                                        ; implicit-def: $sgpr8
	s_branch .LBB6_2258
.LBB6_2244:
	s_mov_b32 s25, 0
	s_or_b32 s13, s13, exec_lo
	s_trap 2
	s_cbranch_execz .LBB6_2162
	s_branch .LBB6_2163
.LBB6_2245:
	s_or_b32 s13, s13, exec_lo
	s_trap 2
	s_cbranch_execz .LBB6_2234
	s_branch .LBB6_2894
.LBB6_2246:
	s_mov_b32 s24, -1
	s_mov_b32 s19, 0
	s_mov_b32 s9, 0
                                        ; implicit-def: $sgpr8
	s_branch .LBB6_2253
.LBB6_2247:
	s_mov_b32 s24, -1
	s_mov_b32 s19, 0
	s_mov_b32 s9, 0
	s_branch .LBB6_2249
.LBB6_2248:
	s_mov_b32 s9, -1
	s_mov_b32 s19, 0
.LBB6_2249:
                                        ; implicit-def: $sgpr8
.LBB6_2250:
	s_and_b32 vcc_lo, exec_lo, s24
	s_cbranch_vccz .LBB6_2252
; %bb.2251:
	s_cmp_lg_u32 s0, 44
	s_mov_b32 s19, -1
	s_cselect_b32 s9, -1, 0
	s_or_b32 s8, s8, exec_lo
.LBB6_2252:
	s_mov_b32 s24, 0
.LBB6_2253:
	s_delay_alu instid0(SALU_CYCLE_1)
	s_and_b32 vcc_lo, exec_lo, s24
	s_cbranch_vccz .LBB6_2257
; %bb.2254:
	s_cmp_eq_u32 s0, 29
	s_cbranch_scc0 .LBB6_2256
; %bb.2255:
	global_load_b64 v[4:5], v[0:1], off
	s_mov_b32 s9, 0
	s_mov_b32 s19, -1
	s_mov_b32 s24, 0
	s_wait_loadcnt 0x0
	v_cmp_ne_u64_e64 s8, 0, v[4:5]
	s_branch .LBB6_2258
.LBB6_2256:
	s_mov_b32 s9, -1
                                        ; implicit-def: $sgpr8
.LBB6_2257:
	s_mov_b32 s24, 0
.LBB6_2258:
	s_delay_alu instid0(SALU_CYCLE_1)
	s_and_b32 vcc_lo, exec_lo, s24
	s_cbranch_vccz .LBB6_2270
; %bb.2259:
	s_cmp_lt_i32 s0, 27
	s_cbranch_scc1 .LBB6_2262
; %bb.2260:
	s_cmp_gt_i32 s0, 27
	s_cbranch_scc0 .LBB6_2263
; %bb.2261:
	global_load_b32 v3, v[0:1], off
	s_mov_b32 s19, 0
	s_wait_loadcnt 0x0
	v_cmp_ne_u32_e64 s8, 0, v3
	s_branch .LBB6_2264
.LBB6_2262:
	s_mov_b32 s19, -1
                                        ; implicit-def: $sgpr8
	s_branch .LBB6_2267
.LBB6_2263:
	s_mov_b32 s19, -1
                                        ; implicit-def: $sgpr8
.LBB6_2264:
	s_delay_alu instid0(SALU_CYCLE_1)
	s_and_not1_b32 vcc_lo, exec_lo, s19
	s_cbranch_vccnz .LBB6_2266
; %bb.2265:
	global_load_u16 v3, v[0:1], off
	s_and_not1_b32 s8, s8, exec_lo
	s_wait_loadcnt 0x0
	v_cmp_ne_u16_e32 vcc_lo, 0, v3
	s_and_b32 s19, vcc_lo, exec_lo
	s_delay_alu instid0(SALU_CYCLE_1)
	s_or_b32 s8, s8, s19
.LBB6_2266:
	s_mov_b32 s19, 0
.LBB6_2267:
	s_delay_alu instid0(SALU_CYCLE_1)
	s_and_not1_b32 vcc_lo, exec_lo, s19
	s_cbranch_vccnz .LBB6_2269
; %bb.2268:
	global_load_u8 v3, v[0:1], off
	s_and_not1_b32 s8, s8, exec_lo
	s_wait_loadcnt 0x0
	v_cmp_ne_u16_e32 vcc_lo, 0, v3
	s_and_b32 s19, vcc_lo, exec_lo
	s_delay_alu instid0(SALU_CYCLE_1)
	s_or_b32 s8, s8, s19
.LBB6_2269:
	s_mov_b32 s19, -1
.LBB6_2270:
	s_mov_b32 s24, 0
.LBB6_2271:
	s_delay_alu instid0(SALU_CYCLE_1)
	s_and_b32 vcc_lo, exec_lo, s24
	s_cbranch_vccz .LBB6_2294
; %bb.2272:
	s_cmp_gt_i32 s0, 22
	s_cbranch_scc0 .LBB6_2276
; %bb.2273:
	s_cmp_lt_i32 s0, 24
	s_cbranch_scc1 .LBB6_2277
; %bb.2274:
	s_cmp_gt_i32 s0, 24
	s_cbranch_scc0 .LBB6_2278
; %bb.2275:
	global_load_u8 v3, v[0:1], off
	s_mov_b32 s19, 0
	s_wait_loadcnt 0x0
	v_cmp_ne_u16_e64 s8, 0, v3
	s_branch .LBB6_2279
.LBB6_2276:
	s_mov_b32 s22, -1
                                        ; implicit-def: $sgpr8
	s_branch .LBB6_2285
.LBB6_2277:
	s_mov_b32 s19, -1
                                        ; implicit-def: $sgpr8
	s_branch .LBB6_2282
.LBB6_2278:
	s_mov_b32 s19, -1
                                        ; implicit-def: $sgpr8
.LBB6_2279:
	s_delay_alu instid0(SALU_CYCLE_1)
	s_and_not1_b32 vcc_lo, exec_lo, s19
	s_cbranch_vccnz .LBB6_2281
; %bb.2280:
	global_load_u8 v3, v[0:1], off
	s_and_not1_b32 s8, s8, exec_lo
	s_wait_loadcnt 0x0
	v_and_b32_e32 v3, 0x7f, v3
	s_delay_alu instid0(VALU_DEP_1) | instskip(SKIP_1) | instid1(SALU_CYCLE_1)
	v_cmp_ne_u16_e32 vcc_lo, 0, v3
	s_and_b32 s19, vcc_lo, exec_lo
	s_or_b32 s8, s8, s19
.LBB6_2281:
	s_mov_b32 s19, 0
.LBB6_2282:
	s_delay_alu instid0(SALU_CYCLE_1)
	s_and_not1_b32 vcc_lo, exec_lo, s19
	s_cbranch_vccnz .LBB6_2284
; %bb.2283:
	global_load_u8 v3, v[0:1], off
	s_and_not1_b32 s8, s8, exec_lo
	s_wait_loadcnt 0x0
	s_wait_xcnt 0x1
	v_dual_lshlrev_b32 v4, 25, v3 :: v_dual_lshlrev_b32 v3, 8, v3
	s_delay_alu instid0(VALU_DEP_1) | instskip(NEXT) | instid1(VALU_DEP_2)
	v_cmp_gt_u32_e32 vcc_lo, 0x8000000, v4
	v_and_or_b32 v3, 0x7f00, v3, 0.5
	s_delay_alu instid0(VALU_DEP_1) | instskip(NEXT) | instid1(VALU_DEP_1)
	v_dual_lshrrev_b32 v5, 4, v4 :: v_dual_add_f32 v3, -0.5, v3
	v_or_b32_e32 v5, 0x70000000, v5
	s_delay_alu instid0(VALU_DEP_1) | instskip(NEXT) | instid1(VALU_DEP_1)
	v_mul_f32_e32 v5, 0x7800000, v5
	v_cndmask_b32_e32 v3, v5, v3, vcc_lo
	s_delay_alu instid0(VALU_DEP_1) | instskip(SKIP_1) | instid1(SALU_CYCLE_1)
	v_cmp_neq_f32_e32 vcc_lo, 0, v3
	s_and_b32 s19, vcc_lo, exec_lo
	s_or_b32 s8, s8, s19
.LBB6_2284:
	s_mov_b32 s19, -1
.LBB6_2285:
	s_and_not1_b32 vcc_lo, exec_lo, s22
	s_mov_b32 s22, 0
	s_cbranch_vccnz .LBB6_2294
; %bb.2286:
	s_cmp_gt_i32 s0, 14
	s_cbranch_scc0 .LBB6_2289
; %bb.2287:
	s_cmp_eq_u32 s0, 15
	s_cbranch_scc0 .LBB6_2290
; %bb.2288:
	global_load_u16 v3, v[0:1], off
	s_mov_b32 s9, 0
	s_mov_b32 s19, -1
	s_wait_loadcnt 0x0
	v_and_b32_e32 v3, 0x7fff, v3
	s_delay_alu instid0(VALU_DEP_1)
	v_cmp_ne_u16_e64 s8, 0, v3
	s_branch .LBB6_2292
.LBB6_2289:
	s_mov_b32 s22, -1
	s_branch .LBB6_2291
.LBB6_2290:
	s_mov_b32 s9, -1
.LBB6_2291:
                                        ; implicit-def: $sgpr8
.LBB6_2292:
	s_and_b32 vcc_lo, exec_lo, s22
	s_mov_b32 s22, 0
	s_cbranch_vccz .LBB6_2294
; %bb.2293:
	s_cmp_lg_u32 s0, 11
	s_mov_b32 s22, -1
	s_cselect_b32 s9, -1, 0
.LBB6_2294:
	s_delay_alu instid0(SALU_CYCLE_1)
	s_and_b32 vcc_lo, exec_lo, s9
	s_cbranch_vccnz .LBB6_2359
; %bb.2295:
	s_and_not1_b32 vcc_lo, exec_lo, s22
	s_cbranch_vccnz .LBB6_2297
.LBB6_2296:
	global_load_u8 v3, v[0:1], off
	s_and_not1_b32 s0, s8, exec_lo
	s_mov_b32 s19, -1
	s_wait_loadcnt 0x0
	v_cmp_ne_u16_e32 vcc_lo, 0, v3
	s_and_b32 s8, vcc_lo, exec_lo
	s_delay_alu instid0(SALU_CYCLE_1)
	s_or_b32 s8, s0, s8
.LBB6_2297:
	s_mov_b32 s0, 0
.LBB6_2298:
	s_delay_alu instid0(SALU_CYCLE_1)
	s_and_b32 vcc_lo, exec_lo, s0
	s_cbranch_vccz .LBB6_2347
; %bb.2299:
	s_and_b32 s9, 0xffff, s15
	s_delay_alu instid0(SALU_CYCLE_1)
	s_cmp_lt_i32 s9, 5
	s_cbranch_scc1 .LBB6_2304
; %bb.2300:
	s_cmp_lt_i32 s9, 8
	s_cbranch_scc1 .LBB6_2305
; %bb.2301:
	;; [unrolled: 3-line block ×3, first 2 shown]
	s_cmp_gt_i32 s9, 9
	s_cbranch_scc0 .LBB6_2307
; %bb.2303:
	global_load_b128 v[8:11], v[0:1], off
	s_wait_loadcnt 0x0
	v_cmp_neq_f64_e32 vcc_lo, 0, v[8:9]
	v_cmp_neq_f64_e64 s0, 0, v[10:11]
	s_or_b32 s8, vcc_lo, s0
	s_mov_b32 s0, 0
	s_branch .LBB6_2308
.LBB6_2304:
	s_mov_b32 s0, -1
                                        ; implicit-def: $sgpr8
	s_branch .LBB6_2326
.LBB6_2305:
	s_mov_b32 s0, -1
                                        ; implicit-def: $sgpr8
	s_branch .LBB6_2314
.LBB6_2306:
	s_mov_b32 s0, -1
                                        ; implicit-def: $sgpr8
	s_branch .LBB6_2311
.LBB6_2307:
	s_mov_b32 s0, -1
                                        ; implicit-def: $sgpr8
.LBB6_2308:
	s_delay_alu instid0(SALU_CYCLE_1)
	s_and_not1_b32 vcc_lo, exec_lo, s0
	s_cbranch_vccnz .LBB6_2310
; %bb.2309:
	global_load_b64 v[4:5], v[0:1], off
	s_and_not1_b32 s0, s8, exec_lo
	s_wait_loadcnt 0x0
	v_bitop3_b32 v3, v4, 0x7fffffff, v5 bitop3:0xc8
	s_delay_alu instid0(VALU_DEP_1) | instskip(SKIP_1) | instid1(SALU_CYCLE_1)
	v_cmp_ne_u32_e32 vcc_lo, 0, v3
	s_and_b32 s8, vcc_lo, exec_lo
	s_or_b32 s8, s0, s8
.LBB6_2310:
	s_mov_b32 s0, 0
.LBB6_2311:
	s_delay_alu instid0(SALU_CYCLE_1)
	s_and_not1_b32 vcc_lo, exec_lo, s0
	s_cbranch_vccnz .LBB6_2313
; %bb.2312:
	global_load_b32 v3, v[0:1], off
	s_and_not1_b32 s0, s8, exec_lo
	s_wait_loadcnt 0x0
	v_and_b32_e32 v3, 0x7fff7fff, v3
	s_delay_alu instid0(VALU_DEP_1) | instskip(SKIP_1) | instid1(SALU_CYCLE_1)
	v_cmp_ne_u32_e32 vcc_lo, 0, v3
	s_and_b32 s8, vcc_lo, exec_lo
	s_or_b32 s8, s0, s8
.LBB6_2313:
	s_mov_b32 s0, 0
.LBB6_2314:
	s_delay_alu instid0(SALU_CYCLE_1)
	s_and_not1_b32 vcc_lo, exec_lo, s0
	s_cbranch_vccnz .LBB6_2325
; %bb.2315:
	s_cmp_lt_i32 s9, 6
	s_cbranch_scc1 .LBB6_2318
; %bb.2316:
	s_cmp_gt_i32 s9, 6
	s_cbranch_scc0 .LBB6_2319
; %bb.2317:
	global_load_b64 v[4:5], v[0:1], off
	s_mov_b32 s0, 0
	s_wait_loadcnt 0x0
	v_cmp_neq_f64_e64 s8, 0, v[4:5]
	s_branch .LBB6_2320
.LBB6_2318:
	s_mov_b32 s0, -1
                                        ; implicit-def: $sgpr8
	s_branch .LBB6_2323
.LBB6_2319:
	s_mov_b32 s0, -1
                                        ; implicit-def: $sgpr8
.LBB6_2320:
	s_delay_alu instid0(SALU_CYCLE_1)
	s_and_not1_b32 vcc_lo, exec_lo, s0
	s_cbranch_vccnz .LBB6_2322
; %bb.2321:
	global_load_b32 v3, v[0:1], off
	s_and_not1_b32 s0, s8, exec_lo
	s_wait_loadcnt 0x0
	v_cmp_neq_f32_e32 vcc_lo, 0, v3
	s_and_b32 s8, vcc_lo, exec_lo
	s_delay_alu instid0(SALU_CYCLE_1)
	s_or_b32 s8, s0, s8
.LBB6_2322:
	s_mov_b32 s0, 0
.LBB6_2323:
	s_delay_alu instid0(SALU_CYCLE_1)
	s_and_not1_b32 vcc_lo, exec_lo, s0
	s_cbranch_vccnz .LBB6_2325
; %bb.2324:
	global_load_u16 v3, v[0:1], off
	s_and_not1_b32 s0, s8, exec_lo
	s_wait_loadcnt 0x0
	v_and_b32_e32 v3, 0x7fff, v3
	s_delay_alu instid0(VALU_DEP_1) | instskip(SKIP_1) | instid1(SALU_CYCLE_1)
	v_cmp_ne_u16_e32 vcc_lo, 0, v3
	s_and_b32 s8, vcc_lo, exec_lo
	s_or_b32 s8, s0, s8
.LBB6_2325:
	s_mov_b32 s0, 0
.LBB6_2326:
	s_delay_alu instid0(SALU_CYCLE_1)
	s_and_not1_b32 vcc_lo, exec_lo, s0
	s_cbranch_vccnz .LBB6_2346
; %bb.2327:
	s_cmp_lt_i32 s9, 2
	s_cbranch_scc1 .LBB6_2331
; %bb.2328:
	s_cmp_lt_i32 s9, 3
	s_cbranch_scc1 .LBB6_2332
; %bb.2329:
	s_cmp_gt_i32 s9, 3
	s_cbranch_scc0 .LBB6_2333
; %bb.2330:
	global_load_b64 v[4:5], v[0:1], off
	s_mov_b32 s0, 0
	s_wait_loadcnt 0x0
	v_cmp_ne_u64_e64 s8, 0, v[4:5]
	s_branch .LBB6_2334
.LBB6_2331:
	s_mov_b32 s0, -1
                                        ; implicit-def: $sgpr8
	s_branch .LBB6_2340
.LBB6_2332:
	s_mov_b32 s0, -1
                                        ; implicit-def: $sgpr8
	s_branch .LBB6_2337
.LBB6_2333:
	s_mov_b32 s0, -1
                                        ; implicit-def: $sgpr8
.LBB6_2334:
	s_delay_alu instid0(SALU_CYCLE_1)
	s_and_not1_b32 vcc_lo, exec_lo, s0
	s_cbranch_vccnz .LBB6_2336
; %bb.2335:
	global_load_b32 v3, v[0:1], off
	s_and_not1_b32 s0, s8, exec_lo
	s_wait_loadcnt 0x0
	v_cmp_ne_u32_e32 vcc_lo, 0, v3
	s_and_b32 s8, vcc_lo, exec_lo
	s_delay_alu instid0(SALU_CYCLE_1)
	s_or_b32 s8, s0, s8
.LBB6_2336:
	s_mov_b32 s0, 0
.LBB6_2337:
	s_delay_alu instid0(SALU_CYCLE_1)
	s_and_not1_b32 vcc_lo, exec_lo, s0
	s_cbranch_vccnz .LBB6_2339
; %bb.2338:
	global_load_u16 v3, v[0:1], off
	s_and_not1_b32 s0, s8, exec_lo
	s_wait_loadcnt 0x0
	v_cmp_ne_u16_e32 vcc_lo, 0, v3
	s_and_b32 s8, vcc_lo, exec_lo
	s_delay_alu instid0(SALU_CYCLE_1)
	s_or_b32 s8, s0, s8
.LBB6_2339:
	s_mov_b32 s0, 0
.LBB6_2340:
	s_delay_alu instid0(SALU_CYCLE_1)
	s_and_not1_b32 vcc_lo, exec_lo, s0
	s_cbranch_vccnz .LBB6_2346
; %bb.2341:
	s_cmp_gt_i32 s9, 0
	s_mov_b32 s0, 0
	s_cbranch_scc0 .LBB6_2343
; %bb.2342:
	global_load_u8 v3, v[0:1], off
	s_wait_loadcnt 0x0
	v_cmp_ne_u16_e64 s8, 0, v3
	s_branch .LBB6_2344
.LBB6_2343:
	s_mov_b32 s0, -1
                                        ; implicit-def: $sgpr8
.LBB6_2344:
	s_delay_alu instid0(SALU_CYCLE_1)
	s_and_not1_b32 vcc_lo, exec_lo, s0
	s_cbranch_vccnz .LBB6_2346
; %bb.2345:
	global_load_u8 v0, v[0:1], off
	s_and_not1_b32 s0, s8, exec_lo
	s_wait_loadcnt 0x0
	v_cmp_ne_u16_e32 vcc_lo, 0, v0
	s_and_b32 s8, vcc_lo, exec_lo
	s_delay_alu instid0(SALU_CYCLE_1)
	s_or_b32 s8, s0, s8
.LBB6_2346:
	s_mov_b32 s19, -1
.LBB6_2347:
	s_delay_alu instid0(SALU_CYCLE_1)
	s_and_not1_b32 vcc_lo, exec_lo, s19
	s_cbranch_vccnz .LBB6_2894
; %bb.2348:
	s_wait_xcnt 0x0
	v_add_nc_u32_e32 v0, s23, v2
	s_cmp_lt_i32 s18, 11
	s_delay_alu instid0(VALU_DEP_1) | instskip(NEXT) | instid1(VALU_DEP_1)
	v_ashrrev_i32_e32 v1, 31, v0
	v_add_nc_u64_e32 v[0:1], s[10:11], v[0:1]
	s_cbranch_scc1 .LBB6_2355
; %bb.2349:
	s_and_b32 s0, 0xffff, s18
	s_mov_b32 s15, 0
	s_cmp_gt_i32 s0, 25
	s_cbranch_scc0 .LBB6_2356
; %bb.2350:
	s_cmp_gt_i32 s0, 28
	s_cbranch_scc0 .LBB6_2357
; %bb.2351:
	;; [unrolled: 3-line block ×4, first 2 shown]
	s_cmp_eq_u32 s0, 46
	s_mov_b32 s19, 0
	s_cbranch_scc0 .LBB6_2361
; %bb.2354:
	global_load_b32 v2, v[0:1], off
	s_mov_b32 s10, 0
	s_mov_b32 s11, -1
	s_wait_loadcnt 0x0
	v_and_b32_e32 v2, 0x7fff7fff, v2
	s_delay_alu instid0(VALU_DEP_1)
	v_cmp_ne_u32_e64 s9, 0, v2
	s_branch .LBB6_2363
.LBB6_2355:
	s_mov_b32 s0, -1
	s_mov_b32 s11, 0
                                        ; implicit-def: $sgpr9
	s_branch .LBB6_2411
.LBB6_2356:
	s_mov_b32 s19, -1
	s_mov_b32 s11, 0
	s_mov_b32 s10, 0
                                        ; implicit-def: $sgpr9
	s_branch .LBB6_2384
.LBB6_2357:
	s_mov_b32 s19, -1
	s_mov_b32 s11, 0
	s_mov_b32 s10, 0
                                        ; implicit-def: $sgpr9
	s_branch .LBB6_2371
.LBB6_2358:
	s_mov_b32 s19, -1
	s_mov_b32 s11, 0
	s_mov_b32 s10, 0
                                        ; implicit-def: $sgpr9
	s_branch .LBB6_2366
.LBB6_2359:
	s_mov_b32 s19, 0
	s_or_b32 s13, s13, exec_lo
	s_trap 2
	s_cbranch_execz .LBB6_2296
	s_branch .LBB6_2297
.LBB6_2360:
	s_mov_b32 s19, -1
	s_mov_b32 s11, 0
	s_mov_b32 s10, 0
	s_branch .LBB6_2362
.LBB6_2361:
	s_mov_b32 s10, -1
	s_mov_b32 s11, 0
.LBB6_2362:
                                        ; implicit-def: $sgpr9
.LBB6_2363:
	s_and_b32 vcc_lo, exec_lo, s19
	s_cbranch_vccz .LBB6_2365
; %bb.2364:
	s_cmp_lg_u32 s0, 44
	s_mov_b32 s11, -1
	s_cselect_b32 s10, -1, 0
	s_or_b32 s9, s9, exec_lo
.LBB6_2365:
	s_mov_b32 s19, 0
.LBB6_2366:
	s_delay_alu instid0(SALU_CYCLE_1)
	s_and_b32 vcc_lo, exec_lo, s19
	s_cbranch_vccz .LBB6_2370
; %bb.2367:
	s_cmp_eq_u32 s0, 29
	s_cbranch_scc0 .LBB6_2369
; %bb.2368:
	global_load_b64 v[2:3], v[0:1], off
	s_mov_b32 s10, 0
	s_mov_b32 s11, -1
	s_mov_b32 s19, 0
	s_wait_loadcnt 0x0
	v_cmp_ne_u64_e64 s9, 0, v[2:3]
	s_branch .LBB6_2371
.LBB6_2369:
	s_mov_b32 s10, -1
                                        ; implicit-def: $sgpr9
.LBB6_2370:
	s_mov_b32 s19, 0
.LBB6_2371:
	s_delay_alu instid0(SALU_CYCLE_1)
	s_and_b32 vcc_lo, exec_lo, s19
	s_cbranch_vccz .LBB6_2383
; %bb.2372:
	s_cmp_lt_i32 s0, 27
	s_cbranch_scc1 .LBB6_2375
; %bb.2373:
	s_cmp_gt_i32 s0, 27
	s_cbranch_scc0 .LBB6_2376
; %bb.2374:
	global_load_b32 v2, v[0:1], off
	s_mov_b32 s11, 0
	s_wait_loadcnt 0x0
	v_cmp_ne_u32_e64 s9, 0, v2
	s_branch .LBB6_2377
.LBB6_2375:
	s_mov_b32 s11, -1
                                        ; implicit-def: $sgpr9
	s_branch .LBB6_2380
.LBB6_2376:
	s_mov_b32 s11, -1
                                        ; implicit-def: $sgpr9
.LBB6_2377:
	s_delay_alu instid0(SALU_CYCLE_1)
	s_and_not1_b32 vcc_lo, exec_lo, s11
	s_cbranch_vccnz .LBB6_2379
; %bb.2378:
	global_load_u16 v2, v[0:1], off
	s_and_not1_b32 s9, s9, exec_lo
	s_wait_loadcnt 0x0
	v_cmp_ne_u16_e32 vcc_lo, 0, v2
	s_and_b32 s11, vcc_lo, exec_lo
	s_delay_alu instid0(SALU_CYCLE_1)
	s_or_b32 s9, s9, s11
.LBB6_2379:
	s_mov_b32 s11, 0
.LBB6_2380:
	s_delay_alu instid0(SALU_CYCLE_1)
	s_and_not1_b32 vcc_lo, exec_lo, s11
	s_cbranch_vccnz .LBB6_2382
; %bb.2381:
	global_load_u8 v2, v[0:1], off
	s_and_not1_b32 s9, s9, exec_lo
	s_wait_loadcnt 0x0
	v_cmp_ne_u16_e32 vcc_lo, 0, v2
	s_and_b32 s11, vcc_lo, exec_lo
	s_delay_alu instid0(SALU_CYCLE_1)
	s_or_b32 s9, s9, s11
.LBB6_2382:
	s_mov_b32 s11, -1
.LBB6_2383:
	s_mov_b32 s19, 0
.LBB6_2384:
	s_delay_alu instid0(SALU_CYCLE_1)
	s_and_b32 vcc_lo, exec_lo, s19
	s_cbranch_vccz .LBB6_2407
; %bb.2385:
	s_cmp_gt_i32 s0, 22
	s_cbranch_scc0 .LBB6_2389
; %bb.2386:
	s_cmp_lt_i32 s0, 24
	s_cbranch_scc1 .LBB6_2390
; %bb.2387:
	s_cmp_gt_i32 s0, 24
	s_cbranch_scc0 .LBB6_2391
; %bb.2388:
	global_load_u8 v2, v[0:1], off
	s_mov_b32 s11, 0
	s_wait_loadcnt 0x0
	v_cmp_ne_u16_e64 s9, 0, v2
	s_branch .LBB6_2392
.LBB6_2389:
	s_mov_b32 s15, -1
                                        ; implicit-def: $sgpr9
	s_branch .LBB6_2398
.LBB6_2390:
	s_mov_b32 s11, -1
                                        ; implicit-def: $sgpr9
	s_branch .LBB6_2395
.LBB6_2391:
	s_mov_b32 s11, -1
                                        ; implicit-def: $sgpr9
.LBB6_2392:
	s_delay_alu instid0(SALU_CYCLE_1)
	s_and_not1_b32 vcc_lo, exec_lo, s11
	s_cbranch_vccnz .LBB6_2394
; %bb.2393:
	global_load_u8 v2, v[0:1], off
	s_and_not1_b32 s9, s9, exec_lo
	s_wait_loadcnt 0x0
	v_and_b32_e32 v2, 0x7f, v2
	s_delay_alu instid0(VALU_DEP_1) | instskip(SKIP_1) | instid1(SALU_CYCLE_1)
	v_cmp_ne_u16_e32 vcc_lo, 0, v2
	s_and_b32 s11, vcc_lo, exec_lo
	s_or_b32 s9, s9, s11
.LBB6_2394:
	s_mov_b32 s11, 0
.LBB6_2395:
	s_delay_alu instid0(SALU_CYCLE_1)
	s_and_not1_b32 vcc_lo, exec_lo, s11
	s_cbranch_vccnz .LBB6_2397
; %bb.2396:
	global_load_u8 v2, v[0:1], off
	s_and_not1_b32 s9, s9, exec_lo
	s_wait_loadcnt 0x0
	v_dual_lshlrev_b32 v3, 25, v2 :: v_dual_lshlrev_b32 v2, 8, v2
	s_delay_alu instid0(VALU_DEP_1) | instskip(NEXT) | instid1(VALU_DEP_2)
	v_cmp_gt_u32_e32 vcc_lo, 0x8000000, v3
	v_and_or_b32 v2, 0x7f00, v2, 0.5
	s_delay_alu instid0(VALU_DEP_1) | instskip(NEXT) | instid1(VALU_DEP_1)
	v_dual_lshrrev_b32 v4, 4, v3 :: v_dual_add_f32 v2, -0.5, v2
	v_or_b32_e32 v4, 0x70000000, v4
	s_delay_alu instid0(VALU_DEP_1) | instskip(NEXT) | instid1(VALU_DEP_1)
	v_mul_f32_e32 v4, 0x7800000, v4
	v_cndmask_b32_e32 v2, v4, v2, vcc_lo
	s_delay_alu instid0(VALU_DEP_1) | instskip(SKIP_1) | instid1(SALU_CYCLE_1)
	v_cmp_neq_f32_e32 vcc_lo, 0, v2
	s_and_b32 s11, vcc_lo, exec_lo
	s_or_b32 s9, s9, s11
.LBB6_2397:
	s_mov_b32 s11, -1
.LBB6_2398:
	s_and_not1_b32 vcc_lo, exec_lo, s15
	s_mov_b32 s15, 0
	s_cbranch_vccnz .LBB6_2407
; %bb.2399:
	s_cmp_gt_i32 s0, 14
	s_cbranch_scc0 .LBB6_2402
; %bb.2400:
	s_cmp_eq_u32 s0, 15
	s_cbranch_scc0 .LBB6_2403
; %bb.2401:
	global_load_u16 v2, v[0:1], off
	s_mov_b32 s10, 0
	s_mov_b32 s11, -1
	s_wait_loadcnt 0x0
	v_and_b32_e32 v2, 0x7fff, v2
	s_delay_alu instid0(VALU_DEP_1)
	v_cmp_ne_u16_e64 s9, 0, v2
	s_branch .LBB6_2405
.LBB6_2402:
	s_mov_b32 s15, -1
	s_branch .LBB6_2404
.LBB6_2403:
	s_mov_b32 s10, -1
.LBB6_2404:
                                        ; implicit-def: $sgpr9
.LBB6_2405:
	s_and_b32 vcc_lo, exec_lo, s15
	s_mov_b32 s15, 0
	s_cbranch_vccz .LBB6_2407
; %bb.2406:
	s_cmp_lg_u32 s0, 11
	s_mov_b32 s15, -1
	s_cselect_b32 s10, -1, 0
.LBB6_2407:
	s_delay_alu instid0(SALU_CYCLE_1)
	s_and_b32 vcc_lo, exec_lo, s10
	s_cbranch_vccnz .LBB6_2940
; %bb.2408:
	s_and_not1_b32 vcc_lo, exec_lo, s15
	s_cbranch_vccnz .LBB6_2410
.LBB6_2409:
	global_load_u8 v2, v[0:1], off
	s_and_not1_b32 s0, s9, exec_lo
	s_mov_b32 s11, -1
	s_wait_loadcnt 0x0
	v_cmp_ne_u16_e32 vcc_lo, 0, v2
	s_and_b32 s9, vcc_lo, exec_lo
	s_delay_alu instid0(SALU_CYCLE_1)
	s_or_b32 s9, s0, s9
.LBB6_2410:
	s_mov_b32 s0, 0
.LBB6_2411:
	s_delay_alu instid0(SALU_CYCLE_1)
	s_and_b32 vcc_lo, exec_lo, s0
	s_cbranch_vccz .LBB6_2460
; %bb.2412:
	s_and_b32 s10, 0xffff, s18
	s_delay_alu instid0(SALU_CYCLE_1)
	s_cmp_lt_i32 s10, 5
	s_cbranch_scc1 .LBB6_2417
; %bb.2413:
	s_cmp_lt_i32 s10, 8
	s_cbranch_scc1 .LBB6_2418
; %bb.2414:
	;; [unrolled: 3-line block ×3, first 2 shown]
	s_cmp_gt_i32 s10, 9
	s_cbranch_scc0 .LBB6_2420
; %bb.2416:
	global_load_b128 v[2:5], v[0:1], off
	s_wait_loadcnt 0x0
	v_cmp_neq_f64_e32 vcc_lo, 0, v[2:3]
	v_cmp_neq_f64_e64 s0, 0, v[4:5]
	s_or_b32 s9, vcc_lo, s0
	s_mov_b32 s0, 0
	s_branch .LBB6_2421
.LBB6_2417:
	s_mov_b32 s0, -1
                                        ; implicit-def: $sgpr9
	s_branch .LBB6_2439
.LBB6_2418:
	s_mov_b32 s0, -1
                                        ; implicit-def: $sgpr9
	s_branch .LBB6_2427
.LBB6_2419:
	s_mov_b32 s0, -1
                                        ; implicit-def: $sgpr9
	s_branch .LBB6_2424
.LBB6_2420:
	s_mov_b32 s0, -1
                                        ; implicit-def: $sgpr9
.LBB6_2421:
	s_delay_alu instid0(SALU_CYCLE_1)
	s_and_not1_b32 vcc_lo, exec_lo, s0
	s_cbranch_vccnz .LBB6_2423
; %bb.2422:
	global_load_b64 v[2:3], v[0:1], off
	s_and_not1_b32 s0, s9, exec_lo
	s_wait_loadcnt 0x0
	v_bitop3_b32 v2, v2, 0x7fffffff, v3 bitop3:0xc8
	s_delay_alu instid0(VALU_DEP_1) | instskip(SKIP_1) | instid1(SALU_CYCLE_1)
	v_cmp_ne_u32_e32 vcc_lo, 0, v2
	s_and_b32 s9, vcc_lo, exec_lo
	s_or_b32 s9, s0, s9
.LBB6_2423:
	s_mov_b32 s0, 0
.LBB6_2424:
	s_delay_alu instid0(SALU_CYCLE_1)
	s_and_not1_b32 vcc_lo, exec_lo, s0
	s_cbranch_vccnz .LBB6_2426
; %bb.2425:
	global_load_b32 v2, v[0:1], off
	s_and_not1_b32 s0, s9, exec_lo
	s_wait_loadcnt 0x0
	v_and_b32_e32 v2, 0x7fff7fff, v2
	s_delay_alu instid0(VALU_DEP_1) | instskip(SKIP_1) | instid1(SALU_CYCLE_1)
	v_cmp_ne_u32_e32 vcc_lo, 0, v2
	s_and_b32 s9, vcc_lo, exec_lo
	s_or_b32 s9, s0, s9
.LBB6_2426:
	s_mov_b32 s0, 0
.LBB6_2427:
	s_delay_alu instid0(SALU_CYCLE_1)
	s_and_not1_b32 vcc_lo, exec_lo, s0
	s_cbranch_vccnz .LBB6_2438
; %bb.2428:
	s_cmp_lt_i32 s10, 6
	s_cbranch_scc1 .LBB6_2431
; %bb.2429:
	s_cmp_gt_i32 s10, 6
	s_cbranch_scc0 .LBB6_2432
; %bb.2430:
	global_load_b64 v[2:3], v[0:1], off
	s_mov_b32 s0, 0
	s_wait_loadcnt 0x0
	v_cmp_neq_f64_e64 s9, 0, v[2:3]
	s_branch .LBB6_2433
.LBB6_2431:
	s_mov_b32 s0, -1
                                        ; implicit-def: $sgpr9
	s_branch .LBB6_2436
.LBB6_2432:
	s_mov_b32 s0, -1
                                        ; implicit-def: $sgpr9
.LBB6_2433:
	s_delay_alu instid0(SALU_CYCLE_1)
	s_and_not1_b32 vcc_lo, exec_lo, s0
	s_cbranch_vccnz .LBB6_2435
; %bb.2434:
	global_load_b32 v2, v[0:1], off
	s_and_not1_b32 s0, s9, exec_lo
	s_wait_loadcnt 0x0
	v_cmp_neq_f32_e32 vcc_lo, 0, v2
	s_and_b32 s9, vcc_lo, exec_lo
	s_delay_alu instid0(SALU_CYCLE_1)
	s_or_b32 s9, s0, s9
.LBB6_2435:
	s_mov_b32 s0, 0
.LBB6_2436:
	s_delay_alu instid0(SALU_CYCLE_1)
	s_and_not1_b32 vcc_lo, exec_lo, s0
	s_cbranch_vccnz .LBB6_2438
; %bb.2437:
	global_load_u16 v2, v[0:1], off
	s_and_not1_b32 s0, s9, exec_lo
	s_wait_loadcnt 0x0
	v_and_b32_e32 v2, 0x7fff, v2
	s_delay_alu instid0(VALU_DEP_1) | instskip(SKIP_1) | instid1(SALU_CYCLE_1)
	v_cmp_ne_u16_e32 vcc_lo, 0, v2
	s_and_b32 s9, vcc_lo, exec_lo
	s_or_b32 s9, s0, s9
.LBB6_2438:
	s_mov_b32 s0, 0
.LBB6_2439:
	s_delay_alu instid0(SALU_CYCLE_1)
	s_and_not1_b32 vcc_lo, exec_lo, s0
	s_cbranch_vccnz .LBB6_2459
; %bb.2440:
	s_cmp_lt_i32 s10, 2
	s_cbranch_scc1 .LBB6_2444
; %bb.2441:
	s_cmp_lt_i32 s10, 3
	s_cbranch_scc1 .LBB6_2445
; %bb.2442:
	s_cmp_gt_i32 s10, 3
	s_cbranch_scc0 .LBB6_2446
; %bb.2443:
	global_load_b64 v[2:3], v[0:1], off
	s_mov_b32 s0, 0
	s_wait_loadcnt 0x0
	v_cmp_ne_u64_e64 s9, 0, v[2:3]
	s_branch .LBB6_2447
.LBB6_2444:
	s_mov_b32 s0, -1
                                        ; implicit-def: $sgpr9
	s_branch .LBB6_2453
.LBB6_2445:
	s_mov_b32 s0, -1
                                        ; implicit-def: $sgpr9
	s_branch .LBB6_2450
.LBB6_2446:
	s_mov_b32 s0, -1
                                        ; implicit-def: $sgpr9
.LBB6_2447:
	s_delay_alu instid0(SALU_CYCLE_1)
	s_and_not1_b32 vcc_lo, exec_lo, s0
	s_cbranch_vccnz .LBB6_2449
; %bb.2448:
	global_load_b32 v2, v[0:1], off
	s_and_not1_b32 s0, s9, exec_lo
	s_wait_loadcnt 0x0
	v_cmp_ne_u32_e32 vcc_lo, 0, v2
	s_and_b32 s9, vcc_lo, exec_lo
	s_delay_alu instid0(SALU_CYCLE_1)
	s_or_b32 s9, s0, s9
.LBB6_2449:
	s_mov_b32 s0, 0
.LBB6_2450:
	s_delay_alu instid0(SALU_CYCLE_1)
	s_and_not1_b32 vcc_lo, exec_lo, s0
	s_cbranch_vccnz .LBB6_2452
; %bb.2451:
	global_load_u16 v2, v[0:1], off
	s_and_not1_b32 s0, s9, exec_lo
	s_wait_loadcnt 0x0
	v_cmp_ne_u16_e32 vcc_lo, 0, v2
	s_and_b32 s9, vcc_lo, exec_lo
	s_delay_alu instid0(SALU_CYCLE_1)
	s_or_b32 s9, s0, s9
.LBB6_2452:
	s_mov_b32 s0, 0
.LBB6_2453:
	s_delay_alu instid0(SALU_CYCLE_1)
	s_and_not1_b32 vcc_lo, exec_lo, s0
	s_cbranch_vccnz .LBB6_2459
; %bb.2454:
	s_cmp_gt_i32 s10, 0
	s_mov_b32 s0, 0
	s_cbranch_scc0 .LBB6_2456
; %bb.2455:
	global_load_u8 v2, v[0:1], off
	s_wait_loadcnt 0x0
	v_cmp_ne_u16_e64 s9, 0, v2
	s_branch .LBB6_2457
.LBB6_2456:
	s_mov_b32 s0, -1
                                        ; implicit-def: $sgpr9
.LBB6_2457:
	s_delay_alu instid0(SALU_CYCLE_1)
	s_and_not1_b32 vcc_lo, exec_lo, s0
	s_cbranch_vccnz .LBB6_2459
; %bb.2458:
	global_load_u8 v0, v[0:1], off
	s_and_not1_b32 s0, s9, exec_lo
	s_wait_loadcnt 0x0
	v_cmp_ne_u16_e32 vcc_lo, 0, v0
	s_and_b32 s9, vcc_lo, exec_lo
	s_delay_alu instid0(SALU_CYCLE_1)
	s_or_b32 s9, s0, s9
.LBB6_2459:
	s_mov_b32 s11, -1
.LBB6_2460:
	s_delay_alu instid0(SALU_CYCLE_1)
	s_and_not1_b32 vcc_lo, exec_lo, s11
	s_cbranch_vccnz .LBB6_2894
; %bb.2461:
	s_wait_xcnt 0x0
	v_mul_lo_u32 v0, s14, v6
	s_bitcmp1_b32 s6, 0
	s_cselect_b32 s6, -1, 0
	s_and_b32 s0, s12, s7
	s_and_b32 s18, s1, 0xff
	;; [unrolled: 1-line block ×3, first 2 shown]
	s_cmp_lt_i32 s18, 11
	s_delay_alu instid0(VALU_DEP_1) | instskip(NEXT) | instid1(VALU_DEP_1)
	v_ashrrev_i32_e32 v1, 31, v0
	v_add_nc_u64_e32 v[2:3], s[2:3], v[0:1]
	s_cbranch_scc1 .LBB6_2539
; %bb.2462:
	s_and_b32 s7, 0xffff, s18
	s_mov_b32 s12, -1
	s_mov_b32 s10, 0
	s_cmp_gt_i32 s7, 25
	s_mov_b32 s11, 0
	s_mov_b32 s0, 0
	s_cbranch_scc0 .LBB6_2495
; %bb.2463:
	s_cmp_gt_i32 s7, 28
	s_cbranch_scc0 .LBB6_2478
; %bb.2464:
	s_cmp_gt_i32 s7, 43
	s_cbranch_scc0 .LBB6_2474
; %bb.2465:
	s_cmp_gt_i32 s7, 45
	s_cbranch_scc0 .LBB6_2468
; %bb.2466:
	s_mov_b32 s0, -1
	s_mov_b32 s12, 0
	s_cmp_eq_u32 s7, 46
	s_cbranch_scc0 .LBB6_2468
; %bb.2467:
	v_cndmask_b32_e64 v1, 0, 1.0, s1
	s_mov_b32 s0, 0
	s_mov_b32 s11, -1
	s_delay_alu instid0(VALU_DEP_1) | instskip(NEXT) | instid1(VALU_DEP_1)
	v_bfe_u32 v4, v1, 16, 1
	v_add3_u32 v1, v1, v4, 0x7fff
	s_delay_alu instid0(VALU_DEP_1)
	v_lshrrev_b32_e32 v1, 16, v1
	global_store_b32 v[2:3], v1, off
.LBB6_2468:
	s_and_b32 vcc_lo, exec_lo, s12
	s_cbranch_vccz .LBB6_2473
; %bb.2469:
	s_cmp_eq_u32 s7, 44
	s_mov_b32 s0, -1
	s_cbranch_scc0 .LBB6_2473
; %bb.2470:
	v_cndmask_b32_e64 v5, 0, 1.0, s1
	s_mov_b32 s11, exec_lo
	s_wait_xcnt 0x0
	s_delay_alu instid0(VALU_DEP_1) | instskip(NEXT) | instid1(VALU_DEP_1)
	v_dual_mov_b32 v4, 0xff :: v_dual_lshrrev_b32 v1, 23, v5
	v_cmpx_ne_u32_e32 0xff, v1
; %bb.2471:
	v_and_b32_e32 v4, 0x400000, v5
	v_and_or_b32 v5, 0x3fffff, v5, v1
	s_delay_alu instid0(VALU_DEP_2) | instskip(NEXT) | instid1(VALU_DEP_2)
	v_cmp_ne_u32_e32 vcc_lo, 0, v4
	v_cmp_ne_u32_e64 s0, 0, v5
	s_and_b32 s0, vcc_lo, s0
	s_delay_alu instid0(SALU_CYCLE_1) | instskip(NEXT) | instid1(VALU_DEP_1)
	v_cndmask_b32_e64 v4, 0, 1, s0
	v_add_nc_u32_e32 v4, v1, v4
; %bb.2472:
	s_or_b32 exec_lo, exec_lo, s11
	s_mov_b32 s0, 0
	s_mov_b32 s11, -1
	global_store_b8 v[2:3], v4, off
.LBB6_2473:
	s_mov_b32 s12, 0
.LBB6_2474:
	s_delay_alu instid0(SALU_CYCLE_1)
	s_and_b32 vcc_lo, exec_lo, s12
	s_cbranch_vccz .LBB6_2477
; %bb.2475:
	s_cmp_eq_u32 s7, 29
	s_mov_b32 s0, -1
	s_cbranch_scc0 .LBB6_2477
; %bb.2476:
	s_mov_b32 s0, 0
	s_wait_xcnt 0x0
	v_cndmask_b32_e64 v4, 0, 1, s1
	v_mov_b32_e32 v5, s0
	s_mov_b32 s11, -1
	global_store_b64 v[2:3], v[4:5], off
.LBB6_2477:
	s_mov_b32 s12, 0
.LBB6_2478:
	s_delay_alu instid0(SALU_CYCLE_1)
	s_and_b32 vcc_lo, exec_lo, s12
	s_cbranch_vccz .LBB6_2494
; %bb.2479:
	s_cmp_lt_i32 s7, 27
	s_mov_b32 s11, -1
	s_cbranch_scc1 .LBB6_2485
; %bb.2480:
	s_cmp_gt_i32 s7, 27
	s_cbranch_scc0 .LBB6_2482
; %bb.2481:
	s_wait_xcnt 0x0
	v_cndmask_b32_e64 v1, 0, 1, s1
	s_mov_b32 s11, 0
	global_store_b32 v[2:3], v1, off
.LBB6_2482:
	s_and_not1_b32 vcc_lo, exec_lo, s11
	s_cbranch_vccnz .LBB6_2484
; %bb.2483:
	s_wait_xcnt 0x0
	v_cndmask_b32_e64 v1, 0, 1, s1
	global_store_b16 v[2:3], v1, off
.LBB6_2484:
	s_mov_b32 s11, 0
.LBB6_2485:
	s_delay_alu instid0(SALU_CYCLE_1)
	s_and_not1_b32 vcc_lo, exec_lo, s11
	s_cbranch_vccnz .LBB6_2493
; %bb.2486:
	s_wait_xcnt 0x0
	v_cndmask_b32_e64 v4, 0, 1.0, s1
	v_mov_b32_e32 v5, 0x80
	s_mov_b32 s11, exec_lo
	s_delay_alu instid0(VALU_DEP_2)
	v_cmpx_gt_u32_e32 0x43800000, v4
	s_cbranch_execz .LBB6_2492
; %bb.2487:
	s_mov_b32 s12, 0
	s_mov_b32 s15, exec_lo
                                        ; implicit-def: $vgpr1
	v_cmpx_lt_u32_e32 0x3bffffff, v4
	s_xor_b32 s15, exec_lo, s15
	s_cbranch_execnz .LBB6_2942
; %bb.2488:
	s_and_not1_saveexec_b32 s15, s15
	s_cbranch_execnz .LBB6_2943
.LBB6_2489:
	s_or_b32 exec_lo, exec_lo, s15
	v_mov_b32_e32 v5, 0
	s_and_saveexec_b32 s15, s12
.LBB6_2490:
	v_mov_b32_e32 v5, v1
.LBB6_2491:
	s_or_b32 exec_lo, exec_lo, s15
.LBB6_2492:
	s_delay_alu instid0(SALU_CYCLE_1)
	s_or_b32 exec_lo, exec_lo, s11
	global_store_b8 v[2:3], v5, off
.LBB6_2493:
	s_mov_b32 s11, -1
.LBB6_2494:
	s_mov_b32 s12, 0
.LBB6_2495:
	s_delay_alu instid0(SALU_CYCLE_1)
	s_and_b32 vcc_lo, exec_lo, s12
	s_cbranch_vccz .LBB6_2535
; %bb.2496:
	s_cmp_gt_i32 s7, 22
	s_mov_b32 s10, -1
	s_cbranch_scc0 .LBB6_2528
; %bb.2497:
	s_cmp_lt_i32 s7, 24
	s_cbranch_scc1 .LBB6_2517
; %bb.2498:
	s_cmp_gt_i32 s7, 24
	s_cbranch_scc0 .LBB6_2506
; %bb.2499:
	s_wait_xcnt 0x0
	v_cndmask_b32_e64 v4, 0, 1.0, s1
	v_mov_b32_e32 v5, 0x80
	s_mov_b32 s10, exec_lo
	s_delay_alu instid0(VALU_DEP_2)
	v_cmpx_gt_u32_e32 0x47800000, v4
	s_cbranch_execz .LBB6_2505
; %bb.2500:
	s_mov_b32 s11, 0
	s_mov_b32 s12, exec_lo
                                        ; implicit-def: $vgpr1
	v_cmpx_lt_u32_e32 0x37ffffff, v4
	s_xor_b32 s12, exec_lo, s12
	s_cbranch_execnz .LBB6_2945
; %bb.2501:
	s_and_not1_saveexec_b32 s12, s12
	s_cbranch_execnz .LBB6_2946
.LBB6_2502:
	s_or_b32 exec_lo, exec_lo, s12
	v_mov_b32_e32 v5, 0
	s_and_saveexec_b32 s12, s11
.LBB6_2503:
	v_mov_b32_e32 v5, v1
.LBB6_2504:
	s_or_b32 exec_lo, exec_lo, s12
.LBB6_2505:
	s_delay_alu instid0(SALU_CYCLE_1)
	s_or_b32 exec_lo, exec_lo, s10
	s_mov_b32 s10, 0
	global_store_b8 v[2:3], v5, off
.LBB6_2506:
	s_and_b32 vcc_lo, exec_lo, s10
	s_cbranch_vccz .LBB6_2516
; %bb.2507:
	s_wait_xcnt 0x0
	v_cndmask_b32_e64 v4, 0, 1.0, s1
	s_mov_b32 s10, exec_lo
                                        ; implicit-def: $vgpr1
	s_delay_alu instid0(VALU_DEP_1)
	v_cmpx_gt_u32_e32 0x43f00000, v4
	s_xor_b32 s10, exec_lo, s10
	s_cbranch_execz .LBB6_2513
; %bb.2508:
	s_mov_b32 s11, exec_lo
                                        ; implicit-def: $vgpr1
	v_cmpx_lt_u32_e32 0x3c7fffff, v4
	s_xor_b32 s11, exec_lo, s11
; %bb.2509:
	v_bfe_u32 v1, v4, 20, 1
	s_delay_alu instid0(VALU_DEP_1) | instskip(NEXT) | instid1(VALU_DEP_1)
	v_add3_u32 v1, v4, v1, 0x407ffff
	v_and_b32_e32 v4, 0xff00000, v1
	v_lshrrev_b32_e32 v1, 20, v1
	s_delay_alu instid0(VALU_DEP_2) | instskip(NEXT) | instid1(VALU_DEP_2)
	v_cmp_ne_u32_e32 vcc_lo, 0x7f00000, v4
                                        ; implicit-def: $vgpr4
	v_cndmask_b32_e32 v1, 0x7e, v1, vcc_lo
; %bb.2510:
	s_and_not1_saveexec_b32 s11, s11
; %bb.2511:
	v_add_f32_e32 v1, 0x46800000, v4
; %bb.2512:
	s_or_b32 exec_lo, exec_lo, s11
                                        ; implicit-def: $vgpr4
.LBB6_2513:
	s_and_not1_saveexec_b32 s10, s10
; %bb.2514:
	v_mov_b32_e32 v1, 0x7f
	v_cmp_lt_u32_e32 vcc_lo, 0x7f800000, v4
	s_delay_alu instid0(VALU_DEP_2)
	v_cndmask_b32_e32 v1, 0x7e, v1, vcc_lo
; %bb.2515:
	s_or_b32 exec_lo, exec_lo, s10
	global_store_b8 v[2:3], v1, off
.LBB6_2516:
	s_mov_b32 s10, 0
.LBB6_2517:
	s_delay_alu instid0(SALU_CYCLE_1)
	s_and_not1_b32 vcc_lo, exec_lo, s10
	s_cbranch_vccnz .LBB6_2527
; %bb.2518:
	s_wait_xcnt 0x0
	v_cndmask_b32_e64 v4, 0, 1.0, s1
	s_mov_b32 s10, exec_lo
                                        ; implicit-def: $vgpr1
	s_delay_alu instid0(VALU_DEP_1)
	v_cmpx_gt_u32_e32 0x47800000, v4
	s_xor_b32 s10, exec_lo, s10
	s_cbranch_execz .LBB6_2524
; %bb.2519:
	s_mov_b32 s11, exec_lo
                                        ; implicit-def: $vgpr1
	v_cmpx_lt_u32_e32 0x387fffff, v4
	s_xor_b32 s11, exec_lo, s11
; %bb.2520:
	v_bfe_u32 v1, v4, 21, 1
	s_delay_alu instid0(VALU_DEP_1) | instskip(NEXT) | instid1(VALU_DEP_1)
	v_add3_u32 v1, v4, v1, 0x80fffff
                                        ; implicit-def: $vgpr4
	v_lshrrev_b32_e32 v1, 21, v1
; %bb.2521:
	s_and_not1_saveexec_b32 s11, s11
; %bb.2522:
	v_add_f32_e32 v1, 0x43000000, v4
; %bb.2523:
	s_or_b32 exec_lo, exec_lo, s11
                                        ; implicit-def: $vgpr4
.LBB6_2524:
	s_and_not1_saveexec_b32 s10, s10
; %bb.2525:
	v_mov_b32_e32 v1, 0x7f
	v_cmp_lt_u32_e32 vcc_lo, 0x7f800000, v4
	s_delay_alu instid0(VALU_DEP_2)
	v_cndmask_b32_e32 v1, 0x7c, v1, vcc_lo
; %bb.2526:
	s_or_b32 exec_lo, exec_lo, s10
	global_store_b8 v[2:3], v1, off
.LBB6_2527:
	s_mov_b32 s10, 0
	s_mov_b32 s11, -1
.LBB6_2528:
	s_and_not1_b32 vcc_lo, exec_lo, s10
	s_mov_b32 s10, 0
	s_cbranch_vccnz .LBB6_2535
; %bb.2529:
	s_cmp_gt_i32 s7, 14
	s_mov_b32 s10, -1
	s_cbranch_scc0 .LBB6_2533
; %bb.2530:
	s_cmp_eq_u32 s7, 15
	s_mov_b32 s0, -1
	s_cbranch_scc0 .LBB6_2532
; %bb.2531:
	s_wait_xcnt 0x0
	v_cndmask_b32_e64 v1, 0, 1.0, s1
	s_mov_b32 s0, 0
	s_mov_b32 s11, -1
	s_delay_alu instid0(VALU_DEP_1) | instskip(NEXT) | instid1(VALU_DEP_1)
	v_bfe_u32 v4, v1, 16, 1
	v_add3_u32 v1, v1, v4, 0x7fff
	global_store_d16_hi_b16 v[2:3], v1, off
.LBB6_2532:
	s_mov_b32 s10, 0
.LBB6_2533:
	s_delay_alu instid0(SALU_CYCLE_1)
	s_and_b32 vcc_lo, exec_lo, s10
	s_mov_b32 s10, 0
	s_cbranch_vccz .LBB6_2535
; %bb.2534:
	s_cmp_lg_u32 s7, 11
	s_mov_b32 s10, -1
	s_cselect_b32 s0, -1, 0
.LBB6_2535:
	s_delay_alu instid0(SALU_CYCLE_1)
	s_and_b32 vcc_lo, exec_lo, s0
	s_cbranch_vccnz .LBB6_2941
; %bb.2536:
	s_and_not1_b32 vcc_lo, exec_lo, s10
	s_cbranch_vccnz .LBB6_2538
.LBB6_2537:
	s_wait_xcnt 0x0
	v_cndmask_b32_e64 v1, 0, 1, s1
	s_mov_b32 s11, -1
	global_store_b8 v[2:3], v1, off
.LBB6_2538:
	s_mov_b32 s0, 0
	s_branch .LBB6_2540
.LBB6_2539:
	s_mov_b32 s0, -1
	s_mov_b32 s11, 0
.LBB6_2540:
	s_and_b32 vcc_lo, exec_lo, s0
	s_cbranch_vccz .LBB6_2579
; %bb.2541:
	s_and_b32 s0, 0xffff, s18
	s_mov_b32 s7, -1
	s_cmp_lt_i32 s0, 5
	s_cbranch_scc1 .LBB6_2562
; %bb.2542:
	s_cmp_lt_i32 s0, 8
	s_cbranch_scc1 .LBB6_2552
; %bb.2543:
	;; [unrolled: 3-line block ×3, first 2 shown]
	s_cmp_gt_i32 s0, 9
	s_cbranch_scc0 .LBB6_2546
; %bb.2545:
	s_wait_xcnt 0x0
	v_cndmask_b32_e64 v1, 0, 1, s1
	v_mov_b32_e32 v6, 0
	s_mov_b32 s7, 0
	s_delay_alu instid0(VALU_DEP_2) | instskip(NEXT) | instid1(VALU_DEP_2)
	v_cvt_f64_u32_e32 v[4:5], v1
	v_mov_b32_e32 v7, v6
	global_store_b128 v[2:3], v[4:7], off
.LBB6_2546:
	s_and_not1_b32 vcc_lo, exec_lo, s7
	s_cbranch_vccnz .LBB6_2548
; %bb.2547:
	s_wait_xcnt 0x0
	v_cndmask_b32_e64 v4, 0, 1.0, s1
	v_mov_b32_e32 v5, 0
	global_store_b64 v[2:3], v[4:5], off
.LBB6_2548:
	s_mov_b32 s7, 0
.LBB6_2549:
	s_delay_alu instid0(SALU_CYCLE_1)
	s_and_not1_b32 vcc_lo, exec_lo, s7
	s_cbranch_vccnz .LBB6_2551
; %bb.2550:
	s_wait_xcnt 0x0
	v_cndmask_b32_e64 v1, 0, 1.0, s1
	s_delay_alu instid0(VALU_DEP_1) | instskip(NEXT) | instid1(VALU_DEP_1)
	v_cvt_f16_f32_e32 v1, v1
	v_and_b32_e32 v1, 0xffff, v1
	global_store_b32 v[2:3], v1, off
.LBB6_2551:
	s_mov_b32 s7, 0
.LBB6_2552:
	s_delay_alu instid0(SALU_CYCLE_1)
	s_and_not1_b32 vcc_lo, exec_lo, s7
	s_cbranch_vccnz .LBB6_2561
; %bb.2553:
	s_cmp_lt_i32 s0, 6
	s_mov_b32 s7, -1
	s_cbranch_scc1 .LBB6_2559
; %bb.2554:
	s_cmp_gt_i32 s0, 6
	s_cbranch_scc0 .LBB6_2556
; %bb.2555:
	s_wait_xcnt 0x0
	v_cndmask_b32_e64 v1, 0, 1, s1
	s_mov_b32 s7, 0
	s_delay_alu instid0(VALU_DEP_1)
	v_cvt_f64_u32_e32 v[4:5], v1
	global_store_b64 v[2:3], v[4:5], off
.LBB6_2556:
	s_and_not1_b32 vcc_lo, exec_lo, s7
	s_cbranch_vccnz .LBB6_2558
; %bb.2557:
	s_wait_xcnt 0x0
	v_cndmask_b32_e64 v1, 0, 1.0, s1
	global_store_b32 v[2:3], v1, off
.LBB6_2558:
	s_mov_b32 s7, 0
.LBB6_2559:
	s_delay_alu instid0(SALU_CYCLE_1)
	s_and_not1_b32 vcc_lo, exec_lo, s7
	s_cbranch_vccnz .LBB6_2561
; %bb.2560:
	s_wait_xcnt 0x0
	v_cndmask_b32_e64 v1, 0, 1.0, s1
	s_delay_alu instid0(VALU_DEP_1)
	v_cvt_f16_f32_e32 v1, v1
	global_store_b16 v[2:3], v1, off
.LBB6_2561:
	s_mov_b32 s7, 0
.LBB6_2562:
	s_delay_alu instid0(SALU_CYCLE_1)
	s_and_not1_b32 vcc_lo, exec_lo, s7
	s_cbranch_vccnz .LBB6_2578
; %bb.2563:
	s_cmp_lt_i32 s0, 2
	s_mov_b32 s7, -1
	s_cbranch_scc1 .LBB6_2573
; %bb.2564:
	s_cmp_lt_i32 s0, 3
	s_cbranch_scc1 .LBB6_2570
; %bb.2565:
	s_cmp_gt_i32 s0, 3
	s_cbranch_scc0 .LBB6_2567
; %bb.2566:
	s_mov_b32 s7, 0
	s_wait_xcnt 0x0
	v_cndmask_b32_e64 v4, 0, 1, s1
	v_mov_b32_e32 v5, s7
	global_store_b64 v[2:3], v[4:5], off
.LBB6_2567:
	s_and_not1_b32 vcc_lo, exec_lo, s7
	s_cbranch_vccnz .LBB6_2569
; %bb.2568:
	s_wait_xcnt 0x0
	v_cndmask_b32_e64 v1, 0, 1, s1
	global_store_b32 v[2:3], v1, off
.LBB6_2569:
	s_mov_b32 s7, 0
.LBB6_2570:
	s_delay_alu instid0(SALU_CYCLE_1)
	s_and_not1_b32 vcc_lo, exec_lo, s7
	s_cbranch_vccnz .LBB6_2572
; %bb.2571:
	s_wait_xcnt 0x0
	v_cndmask_b32_e64 v1, 0, 1, s1
	global_store_b16 v[2:3], v1, off
.LBB6_2572:
	s_mov_b32 s7, 0
.LBB6_2573:
	s_delay_alu instid0(SALU_CYCLE_1)
	s_and_not1_b32 vcc_lo, exec_lo, s7
	s_cbranch_vccnz .LBB6_2578
; %bb.2574:
	s_wait_xcnt 0x0
	v_cndmask_b32_e64 v1, 0, 1, s1
	s_cmp_gt_i32 s0, 0
	s_mov_b32 s0, -1
	s_cbranch_scc0 .LBB6_2576
; %bb.2575:
	s_mov_b32 s0, 0
	global_store_b8 v[2:3], v1, off
.LBB6_2576:
	s_and_not1_b32 vcc_lo, exec_lo, s0
	s_cbranch_vccnz .LBB6_2578
; %bb.2577:
	global_store_b8 v[2:3], v1, off
.LBB6_2578:
	s_mov_b32 s11, -1
.LBB6_2579:
	s_delay_alu instid0(SALU_CYCLE_1)
	s_and_not1_b32 vcc_lo, exec_lo, s11
	s_cbranch_vccnz .LBB6_2894
; %bb.2580:
	s_lshl_b32 s1, s14, 7
	s_and_b32 s0, s4, s5
	v_add_nc_u32_e32 v0, s1, v0
	s_and_b32 s4, s0, s6
	s_cmp_lt_i32 s18, 11
	s_wait_xcnt 0x0
	s_delay_alu instid0(VALU_DEP_1) | instskip(NEXT) | instid1(VALU_DEP_1)
	v_ashrrev_i32_e32 v1, 31, v0
	v_add_nc_u64_e32 v[2:3], s[2:3], v[0:1]
	s_cbranch_scc1 .LBB6_2658
; %bb.2581:
	s_and_b32 s5, 0xffff, s18
	s_mov_b32 s11, -1
	s_mov_b32 s7, 0
	s_cmp_gt_i32 s5, 25
	s_mov_b32 s10, 0
	s_mov_b32 s0, 0
	s_cbranch_scc0 .LBB6_2614
; %bb.2582:
	s_cmp_gt_i32 s5, 28
	s_cbranch_scc0 .LBB6_2597
; %bb.2583:
	s_cmp_gt_i32 s5, 43
	;; [unrolled: 3-line block ×3, first 2 shown]
	s_cbranch_scc0 .LBB6_2587
; %bb.2585:
	s_mov_b32 s0, -1
	s_mov_b32 s11, 0
	s_cmp_eq_u32 s5, 46
	s_cbranch_scc0 .LBB6_2587
; %bb.2586:
	v_cndmask_b32_e64 v1, 0, 1.0, s4
	s_mov_b32 s0, 0
	s_mov_b32 s10, -1
	s_delay_alu instid0(VALU_DEP_1) | instskip(NEXT) | instid1(VALU_DEP_1)
	v_bfe_u32 v4, v1, 16, 1
	v_add3_u32 v1, v1, v4, 0x7fff
	s_delay_alu instid0(VALU_DEP_1)
	v_lshrrev_b32_e32 v1, 16, v1
	global_store_b32 v[2:3], v1, off
.LBB6_2587:
	s_and_b32 vcc_lo, exec_lo, s11
	s_cbranch_vccz .LBB6_2592
; %bb.2588:
	s_cmp_eq_u32 s5, 44
	s_mov_b32 s0, -1
	s_cbranch_scc0 .LBB6_2592
; %bb.2589:
	v_cndmask_b32_e64 v5, 0, 1.0, s4
	s_mov_b32 s10, exec_lo
	s_wait_xcnt 0x0
	s_delay_alu instid0(VALU_DEP_1) | instskip(NEXT) | instid1(VALU_DEP_1)
	v_dual_mov_b32 v4, 0xff :: v_dual_lshrrev_b32 v1, 23, v5
	v_cmpx_ne_u32_e32 0xff, v1
; %bb.2590:
	v_and_b32_e32 v4, 0x400000, v5
	v_and_or_b32 v5, 0x3fffff, v5, v1
	s_delay_alu instid0(VALU_DEP_2) | instskip(NEXT) | instid1(VALU_DEP_2)
	v_cmp_ne_u32_e32 vcc_lo, 0, v4
	v_cmp_ne_u32_e64 s0, 0, v5
	s_and_b32 s0, vcc_lo, s0
	s_delay_alu instid0(SALU_CYCLE_1) | instskip(NEXT) | instid1(VALU_DEP_1)
	v_cndmask_b32_e64 v4, 0, 1, s0
	v_add_nc_u32_e32 v4, v1, v4
; %bb.2591:
	s_or_b32 exec_lo, exec_lo, s10
	s_mov_b32 s0, 0
	s_mov_b32 s10, -1
	global_store_b8 v[2:3], v4, off
.LBB6_2592:
	s_mov_b32 s11, 0
.LBB6_2593:
	s_delay_alu instid0(SALU_CYCLE_1)
	s_and_b32 vcc_lo, exec_lo, s11
	s_cbranch_vccz .LBB6_2596
; %bb.2594:
	s_cmp_eq_u32 s5, 29
	s_mov_b32 s0, -1
	s_cbranch_scc0 .LBB6_2596
; %bb.2595:
	s_mov_b32 s0, 0
	s_wait_xcnt 0x0
	v_cndmask_b32_e64 v4, 0, 1, s4
	v_mov_b32_e32 v5, s0
	s_mov_b32 s10, -1
	global_store_b64 v[2:3], v[4:5], off
.LBB6_2596:
	s_mov_b32 s11, 0
.LBB6_2597:
	s_delay_alu instid0(SALU_CYCLE_1)
	s_and_b32 vcc_lo, exec_lo, s11
	s_cbranch_vccz .LBB6_2613
; %bb.2598:
	s_cmp_lt_i32 s5, 27
	s_mov_b32 s10, -1
	s_cbranch_scc1 .LBB6_2604
; %bb.2599:
	s_cmp_gt_i32 s5, 27
	s_cbranch_scc0 .LBB6_2601
; %bb.2600:
	s_wait_xcnt 0x0
	v_cndmask_b32_e64 v1, 0, 1, s4
	s_mov_b32 s10, 0
	global_store_b32 v[2:3], v1, off
.LBB6_2601:
	s_and_not1_b32 vcc_lo, exec_lo, s10
	s_cbranch_vccnz .LBB6_2603
; %bb.2602:
	s_wait_xcnt 0x0
	v_cndmask_b32_e64 v1, 0, 1, s4
	global_store_b16 v[2:3], v1, off
.LBB6_2603:
	s_mov_b32 s10, 0
.LBB6_2604:
	s_delay_alu instid0(SALU_CYCLE_1)
	s_and_not1_b32 vcc_lo, exec_lo, s10
	s_cbranch_vccnz .LBB6_2612
; %bb.2605:
	s_wait_xcnt 0x0
	v_cndmask_b32_e64 v4, 0, 1.0, s4
	v_mov_b32_e32 v5, 0x80
	s_mov_b32 s10, exec_lo
	s_delay_alu instid0(VALU_DEP_2)
	v_cmpx_gt_u32_e32 0x43800000, v4
	s_cbranch_execz .LBB6_2611
; %bb.2606:
	s_mov_b32 s11, 0
	s_mov_b32 s12, exec_lo
                                        ; implicit-def: $vgpr1
	v_cmpx_lt_u32_e32 0x3bffffff, v4
	s_xor_b32 s12, exec_lo, s12
	s_cbranch_execnz .LBB6_2947
; %bb.2607:
	s_and_not1_saveexec_b32 s12, s12
	s_cbranch_execnz .LBB6_2948
.LBB6_2608:
	s_or_b32 exec_lo, exec_lo, s12
	v_mov_b32_e32 v5, 0
	s_and_saveexec_b32 s12, s11
.LBB6_2609:
	v_mov_b32_e32 v5, v1
.LBB6_2610:
	s_or_b32 exec_lo, exec_lo, s12
.LBB6_2611:
	s_delay_alu instid0(SALU_CYCLE_1)
	s_or_b32 exec_lo, exec_lo, s10
	global_store_b8 v[2:3], v5, off
.LBB6_2612:
	s_mov_b32 s10, -1
.LBB6_2613:
	s_mov_b32 s11, 0
.LBB6_2614:
	s_delay_alu instid0(SALU_CYCLE_1)
	s_and_b32 vcc_lo, exec_lo, s11
	s_cbranch_vccz .LBB6_2654
; %bb.2615:
	s_cmp_gt_i32 s5, 22
	s_mov_b32 s7, -1
	s_cbranch_scc0 .LBB6_2647
; %bb.2616:
	s_cmp_lt_i32 s5, 24
	s_cbranch_scc1 .LBB6_2636
; %bb.2617:
	s_cmp_gt_i32 s5, 24
	s_cbranch_scc0 .LBB6_2625
; %bb.2618:
	s_wait_xcnt 0x0
	v_cndmask_b32_e64 v4, 0, 1.0, s4
	v_mov_b32_e32 v5, 0x80
	s_mov_b32 s7, exec_lo
	s_delay_alu instid0(VALU_DEP_2)
	v_cmpx_gt_u32_e32 0x47800000, v4
	s_cbranch_execz .LBB6_2624
; %bb.2619:
	s_mov_b32 s10, 0
	s_mov_b32 s11, exec_lo
                                        ; implicit-def: $vgpr1
	v_cmpx_lt_u32_e32 0x37ffffff, v4
	s_xor_b32 s11, exec_lo, s11
	s_cbranch_execnz .LBB6_2950
; %bb.2620:
	s_and_not1_saveexec_b32 s11, s11
	s_cbranch_execnz .LBB6_2951
.LBB6_2621:
	s_or_b32 exec_lo, exec_lo, s11
	v_mov_b32_e32 v5, 0
	s_and_saveexec_b32 s11, s10
.LBB6_2622:
	v_mov_b32_e32 v5, v1
.LBB6_2623:
	s_or_b32 exec_lo, exec_lo, s11
.LBB6_2624:
	s_delay_alu instid0(SALU_CYCLE_1)
	s_or_b32 exec_lo, exec_lo, s7
	s_mov_b32 s7, 0
	global_store_b8 v[2:3], v5, off
.LBB6_2625:
	s_and_b32 vcc_lo, exec_lo, s7
	s_cbranch_vccz .LBB6_2635
; %bb.2626:
	s_wait_xcnt 0x0
	v_cndmask_b32_e64 v4, 0, 1.0, s4
	s_mov_b32 s7, exec_lo
                                        ; implicit-def: $vgpr1
	s_delay_alu instid0(VALU_DEP_1)
	v_cmpx_gt_u32_e32 0x43f00000, v4
	s_xor_b32 s7, exec_lo, s7
	s_cbranch_execz .LBB6_2632
; %bb.2627:
	s_mov_b32 s10, exec_lo
                                        ; implicit-def: $vgpr1
	v_cmpx_lt_u32_e32 0x3c7fffff, v4
	s_xor_b32 s10, exec_lo, s10
; %bb.2628:
	v_bfe_u32 v1, v4, 20, 1
	s_delay_alu instid0(VALU_DEP_1) | instskip(NEXT) | instid1(VALU_DEP_1)
	v_add3_u32 v1, v4, v1, 0x407ffff
	v_and_b32_e32 v4, 0xff00000, v1
	v_lshrrev_b32_e32 v1, 20, v1
	s_delay_alu instid0(VALU_DEP_2) | instskip(NEXT) | instid1(VALU_DEP_2)
	v_cmp_ne_u32_e32 vcc_lo, 0x7f00000, v4
                                        ; implicit-def: $vgpr4
	v_cndmask_b32_e32 v1, 0x7e, v1, vcc_lo
; %bb.2629:
	s_and_not1_saveexec_b32 s10, s10
; %bb.2630:
	v_add_f32_e32 v1, 0x46800000, v4
; %bb.2631:
	s_or_b32 exec_lo, exec_lo, s10
                                        ; implicit-def: $vgpr4
.LBB6_2632:
	s_and_not1_saveexec_b32 s7, s7
; %bb.2633:
	v_mov_b32_e32 v1, 0x7f
	v_cmp_lt_u32_e32 vcc_lo, 0x7f800000, v4
	s_delay_alu instid0(VALU_DEP_2)
	v_cndmask_b32_e32 v1, 0x7e, v1, vcc_lo
; %bb.2634:
	s_or_b32 exec_lo, exec_lo, s7
	global_store_b8 v[2:3], v1, off
.LBB6_2635:
	s_mov_b32 s7, 0
.LBB6_2636:
	s_delay_alu instid0(SALU_CYCLE_1)
	s_and_not1_b32 vcc_lo, exec_lo, s7
	s_cbranch_vccnz .LBB6_2646
; %bb.2637:
	s_wait_xcnt 0x0
	v_cndmask_b32_e64 v4, 0, 1.0, s4
	s_mov_b32 s7, exec_lo
                                        ; implicit-def: $vgpr1
	s_delay_alu instid0(VALU_DEP_1)
	v_cmpx_gt_u32_e32 0x47800000, v4
	s_xor_b32 s7, exec_lo, s7
	s_cbranch_execz .LBB6_2643
; %bb.2638:
	s_mov_b32 s10, exec_lo
                                        ; implicit-def: $vgpr1
	v_cmpx_lt_u32_e32 0x387fffff, v4
	s_xor_b32 s10, exec_lo, s10
; %bb.2639:
	v_bfe_u32 v1, v4, 21, 1
	s_delay_alu instid0(VALU_DEP_1) | instskip(NEXT) | instid1(VALU_DEP_1)
	v_add3_u32 v1, v4, v1, 0x80fffff
                                        ; implicit-def: $vgpr4
	v_lshrrev_b32_e32 v1, 21, v1
; %bb.2640:
	s_and_not1_saveexec_b32 s10, s10
; %bb.2641:
	v_add_f32_e32 v1, 0x43000000, v4
; %bb.2642:
	s_or_b32 exec_lo, exec_lo, s10
                                        ; implicit-def: $vgpr4
.LBB6_2643:
	s_and_not1_saveexec_b32 s7, s7
; %bb.2644:
	v_mov_b32_e32 v1, 0x7f
	v_cmp_lt_u32_e32 vcc_lo, 0x7f800000, v4
	s_delay_alu instid0(VALU_DEP_2)
	v_cndmask_b32_e32 v1, 0x7c, v1, vcc_lo
; %bb.2645:
	s_or_b32 exec_lo, exec_lo, s7
	global_store_b8 v[2:3], v1, off
.LBB6_2646:
	s_mov_b32 s7, 0
	s_mov_b32 s10, -1
.LBB6_2647:
	s_and_not1_b32 vcc_lo, exec_lo, s7
	s_mov_b32 s7, 0
	s_cbranch_vccnz .LBB6_2654
; %bb.2648:
	s_cmp_gt_i32 s5, 14
	s_mov_b32 s7, -1
	s_cbranch_scc0 .LBB6_2652
; %bb.2649:
	s_cmp_eq_u32 s5, 15
	s_mov_b32 s0, -1
	s_cbranch_scc0 .LBB6_2651
; %bb.2650:
	s_wait_xcnt 0x0
	v_cndmask_b32_e64 v1, 0, 1.0, s4
	s_mov_b32 s0, 0
	s_mov_b32 s10, -1
	s_delay_alu instid0(VALU_DEP_1) | instskip(NEXT) | instid1(VALU_DEP_1)
	v_bfe_u32 v4, v1, 16, 1
	v_add3_u32 v1, v1, v4, 0x7fff
	global_store_d16_hi_b16 v[2:3], v1, off
.LBB6_2651:
	s_mov_b32 s7, 0
.LBB6_2652:
	s_delay_alu instid0(SALU_CYCLE_1)
	s_and_b32 vcc_lo, exec_lo, s7
	s_mov_b32 s7, 0
	s_cbranch_vccz .LBB6_2654
; %bb.2653:
	s_cmp_lg_u32 s5, 11
	s_mov_b32 s7, -1
	s_cselect_b32 s0, -1, 0
.LBB6_2654:
	s_delay_alu instid0(SALU_CYCLE_1)
	s_and_b32 vcc_lo, exec_lo, s0
	s_cbranch_vccnz .LBB6_2944
; %bb.2655:
	s_and_not1_b32 vcc_lo, exec_lo, s7
	s_cbranch_vccnz .LBB6_2657
.LBB6_2656:
	s_wait_xcnt 0x0
	v_cndmask_b32_e64 v1, 0, 1, s4
	s_mov_b32 s10, -1
	global_store_b8 v[2:3], v1, off
.LBB6_2657:
	s_mov_b32 s0, 0
	s_branch .LBB6_2659
.LBB6_2658:
	s_mov_b32 s0, -1
	s_mov_b32 s10, 0
.LBB6_2659:
	s_and_b32 vcc_lo, exec_lo, s0
	s_cbranch_vccz .LBB6_2698
; %bb.2660:
	s_and_b32 s0, 0xffff, s18
	s_mov_b32 s5, -1
	s_cmp_lt_i32 s0, 5
	s_cbranch_scc1 .LBB6_2681
; %bb.2661:
	s_cmp_lt_i32 s0, 8
	s_cbranch_scc1 .LBB6_2671
; %bb.2662:
	;; [unrolled: 3-line block ×3, first 2 shown]
	s_cmp_gt_i32 s0, 9
	s_cbranch_scc0 .LBB6_2665
; %bb.2664:
	s_wait_xcnt 0x0
	v_cndmask_b32_e64 v1, 0, 1, s4
	v_mov_b32_e32 v6, 0
	s_mov_b32 s5, 0
	s_delay_alu instid0(VALU_DEP_2) | instskip(NEXT) | instid1(VALU_DEP_2)
	v_cvt_f64_u32_e32 v[4:5], v1
	v_mov_b32_e32 v7, v6
	global_store_b128 v[2:3], v[4:7], off
.LBB6_2665:
	s_and_not1_b32 vcc_lo, exec_lo, s5
	s_cbranch_vccnz .LBB6_2667
; %bb.2666:
	s_wait_xcnt 0x0
	v_cndmask_b32_e64 v4, 0, 1.0, s4
	v_mov_b32_e32 v5, 0
	global_store_b64 v[2:3], v[4:5], off
.LBB6_2667:
	s_mov_b32 s5, 0
.LBB6_2668:
	s_delay_alu instid0(SALU_CYCLE_1)
	s_and_not1_b32 vcc_lo, exec_lo, s5
	s_cbranch_vccnz .LBB6_2670
; %bb.2669:
	s_wait_xcnt 0x0
	v_cndmask_b32_e64 v1, 0, 1.0, s4
	s_delay_alu instid0(VALU_DEP_1) | instskip(NEXT) | instid1(VALU_DEP_1)
	v_cvt_f16_f32_e32 v1, v1
	v_and_b32_e32 v1, 0xffff, v1
	global_store_b32 v[2:3], v1, off
.LBB6_2670:
	s_mov_b32 s5, 0
.LBB6_2671:
	s_delay_alu instid0(SALU_CYCLE_1)
	s_and_not1_b32 vcc_lo, exec_lo, s5
	s_cbranch_vccnz .LBB6_2680
; %bb.2672:
	s_cmp_lt_i32 s0, 6
	s_mov_b32 s5, -1
	s_cbranch_scc1 .LBB6_2678
; %bb.2673:
	s_cmp_gt_i32 s0, 6
	s_cbranch_scc0 .LBB6_2675
; %bb.2674:
	s_wait_xcnt 0x0
	v_cndmask_b32_e64 v1, 0, 1, s4
	s_mov_b32 s5, 0
	s_delay_alu instid0(VALU_DEP_1)
	v_cvt_f64_u32_e32 v[4:5], v1
	global_store_b64 v[2:3], v[4:5], off
.LBB6_2675:
	s_and_not1_b32 vcc_lo, exec_lo, s5
	s_cbranch_vccnz .LBB6_2677
; %bb.2676:
	s_wait_xcnt 0x0
	v_cndmask_b32_e64 v1, 0, 1.0, s4
	global_store_b32 v[2:3], v1, off
.LBB6_2677:
	s_mov_b32 s5, 0
.LBB6_2678:
	s_delay_alu instid0(SALU_CYCLE_1)
	s_and_not1_b32 vcc_lo, exec_lo, s5
	s_cbranch_vccnz .LBB6_2680
; %bb.2679:
	s_wait_xcnt 0x0
	v_cndmask_b32_e64 v1, 0, 1.0, s4
	s_delay_alu instid0(VALU_DEP_1)
	v_cvt_f16_f32_e32 v1, v1
	global_store_b16 v[2:3], v1, off
.LBB6_2680:
	s_mov_b32 s5, 0
.LBB6_2681:
	s_delay_alu instid0(SALU_CYCLE_1)
	s_and_not1_b32 vcc_lo, exec_lo, s5
	s_cbranch_vccnz .LBB6_2697
; %bb.2682:
	s_cmp_lt_i32 s0, 2
	s_mov_b32 s5, -1
	s_cbranch_scc1 .LBB6_2692
; %bb.2683:
	s_cmp_lt_i32 s0, 3
	s_cbranch_scc1 .LBB6_2689
; %bb.2684:
	s_cmp_gt_i32 s0, 3
	s_cbranch_scc0 .LBB6_2686
; %bb.2685:
	s_mov_b32 s5, 0
	s_wait_xcnt 0x0
	v_cndmask_b32_e64 v4, 0, 1, s4
	v_mov_b32_e32 v5, s5
	global_store_b64 v[2:3], v[4:5], off
.LBB6_2686:
	s_and_not1_b32 vcc_lo, exec_lo, s5
	s_cbranch_vccnz .LBB6_2688
; %bb.2687:
	s_wait_xcnt 0x0
	v_cndmask_b32_e64 v1, 0, 1, s4
	global_store_b32 v[2:3], v1, off
.LBB6_2688:
	s_mov_b32 s5, 0
.LBB6_2689:
	s_delay_alu instid0(SALU_CYCLE_1)
	s_and_not1_b32 vcc_lo, exec_lo, s5
	s_cbranch_vccnz .LBB6_2691
; %bb.2690:
	s_wait_xcnt 0x0
	v_cndmask_b32_e64 v1, 0, 1, s4
	global_store_b16 v[2:3], v1, off
.LBB6_2691:
	s_mov_b32 s5, 0
.LBB6_2692:
	s_delay_alu instid0(SALU_CYCLE_1)
	s_and_not1_b32 vcc_lo, exec_lo, s5
	s_cbranch_vccnz .LBB6_2697
; %bb.2693:
	s_wait_xcnt 0x0
	v_cndmask_b32_e64 v1, 0, 1, s4
	s_cmp_gt_i32 s0, 0
	s_mov_b32 s0, -1
	s_cbranch_scc0 .LBB6_2695
; %bb.2694:
	s_mov_b32 s0, 0
	global_store_b8 v[2:3], v1, off
.LBB6_2695:
	s_and_not1_b32 vcc_lo, exec_lo, s0
	s_cbranch_vccnz .LBB6_2697
; %bb.2696:
	global_store_b8 v[2:3], v1, off
.LBB6_2697:
	s_mov_b32 s10, -1
.LBB6_2698:
	s_delay_alu instid0(SALU_CYCLE_1)
	s_and_not1_b32 vcc_lo, exec_lo, s10
	s_cbranch_vccnz .LBB6_2894
; %bb.2699:
	v_add_nc_u32_e32 v0, s1, v0
	s_and_b32 s0, s20, s21
	s_delay_alu instid0(SALU_CYCLE_1) | instskip(SKIP_3) | instid1(VALU_DEP_1)
	s_and_b32 s4, s0, s6
	s_cmp_lt_i32 s18, 11
	s_wait_xcnt 0x0
	v_ashrrev_i32_e32 v1, 31, v0
	v_add_nc_u64_e32 v[2:3], s[2:3], v[0:1]
	s_cbranch_scc1 .LBB6_2777
; %bb.2700:
	s_and_b32 s5, 0xffff, s18
	s_mov_b32 s11, -1
	s_mov_b32 s7, 0
	s_cmp_gt_i32 s5, 25
	s_mov_b32 s10, 0
	s_mov_b32 s0, 0
	s_cbranch_scc0 .LBB6_2733
; %bb.2701:
	s_cmp_gt_i32 s5, 28
	s_cbranch_scc0 .LBB6_2716
; %bb.2702:
	s_cmp_gt_i32 s5, 43
	;; [unrolled: 3-line block ×3, first 2 shown]
	s_cbranch_scc0 .LBB6_2706
; %bb.2704:
	s_mov_b32 s0, -1
	s_mov_b32 s11, 0
	s_cmp_eq_u32 s5, 46
	s_cbranch_scc0 .LBB6_2706
; %bb.2705:
	v_cndmask_b32_e64 v1, 0, 1.0, s4
	s_mov_b32 s0, 0
	s_mov_b32 s10, -1
	s_delay_alu instid0(VALU_DEP_1) | instskip(NEXT) | instid1(VALU_DEP_1)
	v_bfe_u32 v4, v1, 16, 1
	v_add3_u32 v1, v1, v4, 0x7fff
	s_delay_alu instid0(VALU_DEP_1)
	v_lshrrev_b32_e32 v1, 16, v1
	global_store_b32 v[2:3], v1, off
.LBB6_2706:
	s_and_b32 vcc_lo, exec_lo, s11
	s_cbranch_vccz .LBB6_2711
; %bb.2707:
	s_cmp_eq_u32 s5, 44
	s_mov_b32 s0, -1
	s_cbranch_scc0 .LBB6_2711
; %bb.2708:
	v_cndmask_b32_e64 v5, 0, 1.0, s4
	s_mov_b32 s10, exec_lo
	s_wait_xcnt 0x0
	s_delay_alu instid0(VALU_DEP_1) | instskip(NEXT) | instid1(VALU_DEP_1)
	v_dual_mov_b32 v4, 0xff :: v_dual_lshrrev_b32 v1, 23, v5
	v_cmpx_ne_u32_e32 0xff, v1
; %bb.2709:
	v_and_b32_e32 v4, 0x400000, v5
	v_and_or_b32 v5, 0x3fffff, v5, v1
	s_delay_alu instid0(VALU_DEP_2) | instskip(NEXT) | instid1(VALU_DEP_2)
	v_cmp_ne_u32_e32 vcc_lo, 0, v4
	v_cmp_ne_u32_e64 s0, 0, v5
	s_and_b32 s0, vcc_lo, s0
	s_delay_alu instid0(SALU_CYCLE_1) | instskip(NEXT) | instid1(VALU_DEP_1)
	v_cndmask_b32_e64 v4, 0, 1, s0
	v_add_nc_u32_e32 v4, v1, v4
; %bb.2710:
	s_or_b32 exec_lo, exec_lo, s10
	s_mov_b32 s0, 0
	s_mov_b32 s10, -1
	global_store_b8 v[2:3], v4, off
.LBB6_2711:
	s_mov_b32 s11, 0
.LBB6_2712:
	s_delay_alu instid0(SALU_CYCLE_1)
	s_and_b32 vcc_lo, exec_lo, s11
	s_cbranch_vccz .LBB6_2715
; %bb.2713:
	s_cmp_eq_u32 s5, 29
	s_mov_b32 s0, -1
	s_cbranch_scc0 .LBB6_2715
; %bb.2714:
	s_mov_b32 s0, 0
	s_wait_xcnt 0x0
	v_cndmask_b32_e64 v4, 0, 1, s4
	v_mov_b32_e32 v5, s0
	s_mov_b32 s10, -1
	global_store_b64 v[2:3], v[4:5], off
.LBB6_2715:
	s_mov_b32 s11, 0
.LBB6_2716:
	s_delay_alu instid0(SALU_CYCLE_1)
	s_and_b32 vcc_lo, exec_lo, s11
	s_cbranch_vccz .LBB6_2732
; %bb.2717:
	s_cmp_lt_i32 s5, 27
	s_mov_b32 s10, -1
	s_cbranch_scc1 .LBB6_2723
; %bb.2718:
	s_cmp_gt_i32 s5, 27
	s_cbranch_scc0 .LBB6_2720
; %bb.2719:
	s_wait_xcnt 0x0
	v_cndmask_b32_e64 v1, 0, 1, s4
	s_mov_b32 s10, 0
	global_store_b32 v[2:3], v1, off
.LBB6_2720:
	s_and_not1_b32 vcc_lo, exec_lo, s10
	s_cbranch_vccnz .LBB6_2722
; %bb.2721:
	s_wait_xcnt 0x0
	v_cndmask_b32_e64 v1, 0, 1, s4
	global_store_b16 v[2:3], v1, off
.LBB6_2722:
	s_mov_b32 s10, 0
.LBB6_2723:
	s_delay_alu instid0(SALU_CYCLE_1)
	s_and_not1_b32 vcc_lo, exec_lo, s10
	s_cbranch_vccnz .LBB6_2731
; %bb.2724:
	s_wait_xcnt 0x0
	v_cndmask_b32_e64 v4, 0, 1.0, s4
	v_mov_b32_e32 v5, 0x80
	s_mov_b32 s10, exec_lo
	s_delay_alu instid0(VALU_DEP_2)
	v_cmpx_gt_u32_e32 0x43800000, v4
	s_cbranch_execz .LBB6_2730
; %bb.2725:
	s_mov_b32 s11, 0
	s_mov_b32 s12, exec_lo
                                        ; implicit-def: $vgpr1
	v_cmpx_lt_u32_e32 0x3bffffff, v4
	s_xor_b32 s12, exec_lo, s12
	s_cbranch_execnz .LBB6_2952
; %bb.2726:
	s_and_not1_saveexec_b32 s12, s12
	s_cbranch_execnz .LBB6_2953
.LBB6_2727:
	s_or_b32 exec_lo, exec_lo, s12
	v_mov_b32_e32 v5, 0
	s_and_saveexec_b32 s12, s11
.LBB6_2728:
	v_mov_b32_e32 v5, v1
.LBB6_2729:
	s_or_b32 exec_lo, exec_lo, s12
.LBB6_2730:
	s_delay_alu instid0(SALU_CYCLE_1)
	s_or_b32 exec_lo, exec_lo, s10
	global_store_b8 v[2:3], v5, off
.LBB6_2731:
	s_mov_b32 s10, -1
.LBB6_2732:
	s_mov_b32 s11, 0
.LBB6_2733:
	s_delay_alu instid0(SALU_CYCLE_1)
	s_and_b32 vcc_lo, exec_lo, s11
	s_cbranch_vccz .LBB6_2773
; %bb.2734:
	s_cmp_gt_i32 s5, 22
	s_mov_b32 s7, -1
	s_cbranch_scc0 .LBB6_2766
; %bb.2735:
	s_cmp_lt_i32 s5, 24
	s_cbranch_scc1 .LBB6_2755
; %bb.2736:
	s_cmp_gt_i32 s5, 24
	s_cbranch_scc0 .LBB6_2744
; %bb.2737:
	s_wait_xcnt 0x0
	v_cndmask_b32_e64 v4, 0, 1.0, s4
	v_mov_b32_e32 v5, 0x80
	s_mov_b32 s7, exec_lo
	s_delay_alu instid0(VALU_DEP_2)
	v_cmpx_gt_u32_e32 0x47800000, v4
	s_cbranch_execz .LBB6_2743
; %bb.2738:
	s_mov_b32 s10, 0
	s_mov_b32 s11, exec_lo
                                        ; implicit-def: $vgpr1
	v_cmpx_lt_u32_e32 0x37ffffff, v4
	s_xor_b32 s11, exec_lo, s11
	s_cbranch_execnz .LBB6_2955
; %bb.2739:
	s_and_not1_saveexec_b32 s11, s11
	s_cbranch_execnz .LBB6_2956
.LBB6_2740:
	s_or_b32 exec_lo, exec_lo, s11
	v_mov_b32_e32 v5, 0
	s_and_saveexec_b32 s11, s10
.LBB6_2741:
	v_mov_b32_e32 v5, v1
.LBB6_2742:
	s_or_b32 exec_lo, exec_lo, s11
.LBB6_2743:
	s_delay_alu instid0(SALU_CYCLE_1)
	s_or_b32 exec_lo, exec_lo, s7
	s_mov_b32 s7, 0
	global_store_b8 v[2:3], v5, off
.LBB6_2744:
	s_and_b32 vcc_lo, exec_lo, s7
	s_cbranch_vccz .LBB6_2754
; %bb.2745:
	s_wait_xcnt 0x0
	v_cndmask_b32_e64 v4, 0, 1.0, s4
	s_mov_b32 s7, exec_lo
                                        ; implicit-def: $vgpr1
	s_delay_alu instid0(VALU_DEP_1)
	v_cmpx_gt_u32_e32 0x43f00000, v4
	s_xor_b32 s7, exec_lo, s7
	s_cbranch_execz .LBB6_2751
; %bb.2746:
	s_mov_b32 s10, exec_lo
                                        ; implicit-def: $vgpr1
	v_cmpx_lt_u32_e32 0x3c7fffff, v4
	s_xor_b32 s10, exec_lo, s10
; %bb.2747:
	v_bfe_u32 v1, v4, 20, 1
	s_delay_alu instid0(VALU_DEP_1) | instskip(NEXT) | instid1(VALU_DEP_1)
	v_add3_u32 v1, v4, v1, 0x407ffff
	v_and_b32_e32 v4, 0xff00000, v1
	v_lshrrev_b32_e32 v1, 20, v1
	s_delay_alu instid0(VALU_DEP_2) | instskip(NEXT) | instid1(VALU_DEP_2)
	v_cmp_ne_u32_e32 vcc_lo, 0x7f00000, v4
                                        ; implicit-def: $vgpr4
	v_cndmask_b32_e32 v1, 0x7e, v1, vcc_lo
; %bb.2748:
	s_and_not1_saveexec_b32 s10, s10
; %bb.2749:
	v_add_f32_e32 v1, 0x46800000, v4
; %bb.2750:
	s_or_b32 exec_lo, exec_lo, s10
                                        ; implicit-def: $vgpr4
.LBB6_2751:
	s_and_not1_saveexec_b32 s7, s7
; %bb.2752:
	v_mov_b32_e32 v1, 0x7f
	v_cmp_lt_u32_e32 vcc_lo, 0x7f800000, v4
	s_delay_alu instid0(VALU_DEP_2)
	v_cndmask_b32_e32 v1, 0x7e, v1, vcc_lo
; %bb.2753:
	s_or_b32 exec_lo, exec_lo, s7
	global_store_b8 v[2:3], v1, off
.LBB6_2754:
	s_mov_b32 s7, 0
.LBB6_2755:
	s_delay_alu instid0(SALU_CYCLE_1)
	s_and_not1_b32 vcc_lo, exec_lo, s7
	s_cbranch_vccnz .LBB6_2765
; %bb.2756:
	s_wait_xcnt 0x0
	v_cndmask_b32_e64 v4, 0, 1.0, s4
	s_mov_b32 s7, exec_lo
                                        ; implicit-def: $vgpr1
	s_delay_alu instid0(VALU_DEP_1)
	v_cmpx_gt_u32_e32 0x47800000, v4
	s_xor_b32 s7, exec_lo, s7
	s_cbranch_execz .LBB6_2762
; %bb.2757:
	s_mov_b32 s10, exec_lo
                                        ; implicit-def: $vgpr1
	v_cmpx_lt_u32_e32 0x387fffff, v4
	s_xor_b32 s10, exec_lo, s10
; %bb.2758:
	v_bfe_u32 v1, v4, 21, 1
	s_delay_alu instid0(VALU_DEP_1) | instskip(NEXT) | instid1(VALU_DEP_1)
	v_add3_u32 v1, v4, v1, 0x80fffff
                                        ; implicit-def: $vgpr4
	v_lshrrev_b32_e32 v1, 21, v1
; %bb.2759:
	s_and_not1_saveexec_b32 s10, s10
; %bb.2760:
	v_add_f32_e32 v1, 0x43000000, v4
; %bb.2761:
	s_or_b32 exec_lo, exec_lo, s10
                                        ; implicit-def: $vgpr4
.LBB6_2762:
	s_and_not1_saveexec_b32 s7, s7
; %bb.2763:
	v_mov_b32_e32 v1, 0x7f
	v_cmp_lt_u32_e32 vcc_lo, 0x7f800000, v4
	s_delay_alu instid0(VALU_DEP_2)
	v_cndmask_b32_e32 v1, 0x7c, v1, vcc_lo
; %bb.2764:
	s_or_b32 exec_lo, exec_lo, s7
	global_store_b8 v[2:3], v1, off
.LBB6_2765:
	s_mov_b32 s7, 0
	s_mov_b32 s10, -1
.LBB6_2766:
	s_and_not1_b32 vcc_lo, exec_lo, s7
	s_mov_b32 s7, 0
	s_cbranch_vccnz .LBB6_2773
; %bb.2767:
	s_cmp_gt_i32 s5, 14
	s_mov_b32 s7, -1
	s_cbranch_scc0 .LBB6_2771
; %bb.2768:
	s_cmp_eq_u32 s5, 15
	s_mov_b32 s0, -1
	s_cbranch_scc0 .LBB6_2770
; %bb.2769:
	s_wait_xcnt 0x0
	v_cndmask_b32_e64 v1, 0, 1.0, s4
	s_mov_b32 s0, 0
	s_mov_b32 s10, -1
	s_delay_alu instid0(VALU_DEP_1) | instskip(NEXT) | instid1(VALU_DEP_1)
	v_bfe_u32 v4, v1, 16, 1
	v_add3_u32 v1, v1, v4, 0x7fff
	global_store_d16_hi_b16 v[2:3], v1, off
.LBB6_2770:
	s_mov_b32 s7, 0
.LBB6_2771:
	s_delay_alu instid0(SALU_CYCLE_1)
	s_and_b32 vcc_lo, exec_lo, s7
	s_mov_b32 s7, 0
	s_cbranch_vccz .LBB6_2773
; %bb.2772:
	s_cmp_lg_u32 s5, 11
	s_mov_b32 s7, -1
	s_cselect_b32 s0, -1, 0
.LBB6_2773:
	s_delay_alu instid0(SALU_CYCLE_1)
	s_and_b32 vcc_lo, exec_lo, s0
	s_cbranch_vccnz .LBB6_2949
; %bb.2774:
	s_and_not1_b32 vcc_lo, exec_lo, s7
	s_cbranch_vccnz .LBB6_2776
.LBB6_2775:
	s_wait_xcnt 0x0
	v_cndmask_b32_e64 v1, 0, 1, s4
	s_mov_b32 s10, -1
	global_store_b8 v[2:3], v1, off
.LBB6_2776:
	s_mov_b32 s0, 0
	s_branch .LBB6_2778
.LBB6_2777:
	s_mov_b32 s0, -1
	s_mov_b32 s10, 0
.LBB6_2778:
	s_and_b32 vcc_lo, exec_lo, s0
	s_cbranch_vccz .LBB6_2817
; %bb.2779:
	s_and_b32 s0, 0xffff, s18
	s_mov_b32 s5, -1
	s_cmp_lt_i32 s0, 5
	s_cbranch_scc1 .LBB6_2800
; %bb.2780:
	s_cmp_lt_i32 s0, 8
	s_cbranch_scc1 .LBB6_2790
; %bb.2781:
	;; [unrolled: 3-line block ×3, first 2 shown]
	s_cmp_gt_i32 s0, 9
	s_cbranch_scc0 .LBB6_2784
; %bb.2783:
	s_wait_xcnt 0x0
	v_cndmask_b32_e64 v1, 0, 1, s4
	v_mov_b32_e32 v6, 0
	s_mov_b32 s5, 0
	s_delay_alu instid0(VALU_DEP_2) | instskip(NEXT) | instid1(VALU_DEP_2)
	v_cvt_f64_u32_e32 v[4:5], v1
	v_mov_b32_e32 v7, v6
	global_store_b128 v[2:3], v[4:7], off
.LBB6_2784:
	s_and_not1_b32 vcc_lo, exec_lo, s5
	s_cbranch_vccnz .LBB6_2786
; %bb.2785:
	s_wait_xcnt 0x0
	v_cndmask_b32_e64 v4, 0, 1.0, s4
	v_mov_b32_e32 v5, 0
	global_store_b64 v[2:3], v[4:5], off
.LBB6_2786:
	s_mov_b32 s5, 0
.LBB6_2787:
	s_delay_alu instid0(SALU_CYCLE_1)
	s_and_not1_b32 vcc_lo, exec_lo, s5
	s_cbranch_vccnz .LBB6_2789
; %bb.2788:
	s_wait_xcnt 0x0
	v_cndmask_b32_e64 v1, 0, 1.0, s4
	s_delay_alu instid0(VALU_DEP_1) | instskip(NEXT) | instid1(VALU_DEP_1)
	v_cvt_f16_f32_e32 v1, v1
	v_and_b32_e32 v1, 0xffff, v1
	global_store_b32 v[2:3], v1, off
.LBB6_2789:
	s_mov_b32 s5, 0
.LBB6_2790:
	s_delay_alu instid0(SALU_CYCLE_1)
	s_and_not1_b32 vcc_lo, exec_lo, s5
	s_cbranch_vccnz .LBB6_2799
; %bb.2791:
	s_cmp_lt_i32 s0, 6
	s_mov_b32 s5, -1
	s_cbranch_scc1 .LBB6_2797
; %bb.2792:
	s_cmp_gt_i32 s0, 6
	s_cbranch_scc0 .LBB6_2794
; %bb.2793:
	s_wait_xcnt 0x0
	v_cndmask_b32_e64 v1, 0, 1, s4
	s_mov_b32 s5, 0
	s_delay_alu instid0(VALU_DEP_1)
	v_cvt_f64_u32_e32 v[4:5], v1
	global_store_b64 v[2:3], v[4:5], off
.LBB6_2794:
	s_and_not1_b32 vcc_lo, exec_lo, s5
	s_cbranch_vccnz .LBB6_2796
; %bb.2795:
	s_wait_xcnt 0x0
	v_cndmask_b32_e64 v1, 0, 1.0, s4
	global_store_b32 v[2:3], v1, off
.LBB6_2796:
	s_mov_b32 s5, 0
.LBB6_2797:
	s_delay_alu instid0(SALU_CYCLE_1)
	s_and_not1_b32 vcc_lo, exec_lo, s5
	s_cbranch_vccnz .LBB6_2799
; %bb.2798:
	s_wait_xcnt 0x0
	v_cndmask_b32_e64 v1, 0, 1.0, s4
	s_delay_alu instid0(VALU_DEP_1)
	v_cvt_f16_f32_e32 v1, v1
	global_store_b16 v[2:3], v1, off
.LBB6_2799:
	s_mov_b32 s5, 0
.LBB6_2800:
	s_delay_alu instid0(SALU_CYCLE_1)
	s_and_not1_b32 vcc_lo, exec_lo, s5
	s_cbranch_vccnz .LBB6_2816
; %bb.2801:
	s_cmp_lt_i32 s0, 2
	s_mov_b32 s5, -1
	s_cbranch_scc1 .LBB6_2811
; %bb.2802:
	s_cmp_lt_i32 s0, 3
	s_cbranch_scc1 .LBB6_2808
; %bb.2803:
	s_cmp_gt_i32 s0, 3
	s_cbranch_scc0 .LBB6_2805
; %bb.2804:
	s_mov_b32 s5, 0
	s_wait_xcnt 0x0
	v_cndmask_b32_e64 v4, 0, 1, s4
	v_mov_b32_e32 v5, s5
	global_store_b64 v[2:3], v[4:5], off
.LBB6_2805:
	s_and_not1_b32 vcc_lo, exec_lo, s5
	s_cbranch_vccnz .LBB6_2807
; %bb.2806:
	s_wait_xcnt 0x0
	v_cndmask_b32_e64 v1, 0, 1, s4
	global_store_b32 v[2:3], v1, off
.LBB6_2807:
	s_mov_b32 s5, 0
.LBB6_2808:
	s_delay_alu instid0(SALU_CYCLE_1)
	s_and_not1_b32 vcc_lo, exec_lo, s5
	s_cbranch_vccnz .LBB6_2810
; %bb.2809:
	s_wait_xcnt 0x0
	v_cndmask_b32_e64 v1, 0, 1, s4
	global_store_b16 v[2:3], v1, off
.LBB6_2810:
	s_mov_b32 s5, 0
.LBB6_2811:
	s_delay_alu instid0(SALU_CYCLE_1)
	s_and_not1_b32 vcc_lo, exec_lo, s5
	s_cbranch_vccnz .LBB6_2816
; %bb.2812:
	s_wait_xcnt 0x0
	v_cndmask_b32_e64 v1, 0, 1, s4
	s_cmp_gt_i32 s0, 0
	s_mov_b32 s0, -1
	s_cbranch_scc0 .LBB6_2814
; %bb.2813:
	s_mov_b32 s0, 0
	global_store_b8 v[2:3], v1, off
.LBB6_2814:
	s_and_not1_b32 vcc_lo, exec_lo, s0
	s_cbranch_vccnz .LBB6_2816
; %bb.2815:
	global_store_b8 v[2:3], v1, off
.LBB6_2816:
	s_mov_b32 s10, -1
.LBB6_2817:
	s_delay_alu instid0(SALU_CYCLE_1)
	s_and_not1_b32 vcc_lo, exec_lo, s10
	s_cbranch_vccnz .LBB6_2894
; %bb.2818:
	v_add_nc_u32_e32 v0, s1, v0
	s_and_b32 s0, s8, s9
	s_delay_alu instid0(SALU_CYCLE_1) | instskip(SKIP_3) | instid1(VALU_DEP_1)
	s_and_b32 s19, s0, s6
	s_cmp_lt_i32 s18, 11
	s_wait_xcnt 0x0
	v_ashrrev_i32_e32 v1, 31, v0
	v_add_nc_u64_e32 v[0:1], s[2:3], v[0:1]
	s_cbranch_scc1 .LBB6_2939
; %bb.2819:
	s_and_b32 s2, 0xffff, s18
	s_mov_b32 s3, -1
	s_mov_b32 s1, 0
	s_cmp_gt_i32 s2, 25
	s_mov_b32 s0, 0
	s_cbranch_scc0 .LBB6_2852
; %bb.2820:
	s_cmp_gt_i32 s2, 28
	s_cbranch_scc0 .LBB6_2836
; %bb.2821:
	s_cmp_gt_i32 s2, 43
	;; [unrolled: 3-line block ×3, first 2 shown]
	s_cbranch_scc0 .LBB6_2826
; %bb.2823:
	s_cmp_eq_u32 s2, 46
	s_mov_b32 s0, -1
	s_cbranch_scc0 .LBB6_2825
; %bb.2824:
	v_cndmask_b32_e64 v2, 0, 1.0, s19
	s_mov_b32 s0, 0
	s_delay_alu instid0(VALU_DEP_1) | instskip(NEXT) | instid1(VALU_DEP_1)
	v_bfe_u32 v3, v2, 16, 1
	v_add3_u32 v2, v2, v3, 0x7fff
	s_delay_alu instid0(VALU_DEP_1)
	v_lshrrev_b32_e32 v2, 16, v2
	global_store_b32 v[0:1], v2, off
.LBB6_2825:
	s_mov_b32 s3, 0
.LBB6_2826:
	s_delay_alu instid0(SALU_CYCLE_1)
	s_and_b32 vcc_lo, exec_lo, s3
	s_cbranch_vccz .LBB6_2831
; %bb.2827:
	s_cmp_eq_u32 s2, 44
	s_mov_b32 s0, -1
	s_cbranch_scc0 .LBB6_2831
; %bb.2828:
	v_cndmask_b32_e64 v4, 0, 1.0, s19
	s_mov_b32 s3, exec_lo
	s_wait_xcnt 0x0
	s_delay_alu instid0(VALU_DEP_1) | instskip(NEXT) | instid1(VALU_DEP_1)
	v_dual_mov_b32 v3, 0xff :: v_dual_lshrrev_b32 v2, 23, v4
	v_cmpx_ne_u32_e32 0xff, v2
; %bb.2829:
	v_and_b32_e32 v3, 0x400000, v4
	v_and_or_b32 v4, 0x3fffff, v4, v2
	s_delay_alu instid0(VALU_DEP_2) | instskip(NEXT) | instid1(VALU_DEP_2)
	v_cmp_ne_u32_e32 vcc_lo, 0, v3
	v_cmp_ne_u32_e64 s0, 0, v4
	s_and_b32 s0, vcc_lo, s0
	s_delay_alu instid0(SALU_CYCLE_1) | instskip(NEXT) | instid1(VALU_DEP_1)
	v_cndmask_b32_e64 v3, 0, 1, s0
	v_add_nc_u32_e32 v3, v2, v3
; %bb.2830:
	s_or_b32 exec_lo, exec_lo, s3
	s_mov_b32 s0, 0
	global_store_b8 v[0:1], v3, off
.LBB6_2831:
	s_mov_b32 s3, 0
.LBB6_2832:
	s_delay_alu instid0(SALU_CYCLE_1)
	s_and_b32 vcc_lo, exec_lo, s3
	s_cbranch_vccz .LBB6_2835
; %bb.2833:
	s_cmp_eq_u32 s2, 29
	s_mov_b32 s0, -1
	s_cbranch_scc0 .LBB6_2835
; %bb.2834:
	s_mov_b32 s0, 0
	s_wait_xcnt 0x0
	v_cndmask_b32_e64 v2, 0, 1, s19
	v_mov_b32_e32 v3, s0
	global_store_b64 v[0:1], v[2:3], off
.LBB6_2835:
	s_mov_b32 s3, 0
.LBB6_2836:
	s_delay_alu instid0(SALU_CYCLE_1)
	s_and_b32 vcc_lo, exec_lo, s3
	s_cbranch_vccz .LBB6_2851
; %bb.2837:
	s_cmp_lt_i32 s2, 27
	s_mov_b32 s3, -1
	s_cbranch_scc1 .LBB6_2843
; %bb.2838:
	s_wait_xcnt 0x0
	v_cndmask_b32_e64 v2, 0, 1, s19
	s_cmp_gt_i32 s2, 27
	s_cbranch_scc0 .LBB6_2840
; %bb.2839:
	s_mov_b32 s3, 0
	global_store_b32 v[0:1], v2, off
.LBB6_2840:
	s_and_not1_b32 vcc_lo, exec_lo, s3
	s_cbranch_vccnz .LBB6_2842
; %bb.2841:
	global_store_b16 v[0:1], v2, off
.LBB6_2842:
	s_mov_b32 s3, 0
.LBB6_2843:
	s_delay_alu instid0(SALU_CYCLE_1)
	s_and_not1_b32 vcc_lo, exec_lo, s3
	s_cbranch_vccnz .LBB6_2851
; %bb.2844:
	s_wait_xcnt 0x0
	v_cndmask_b32_e64 v3, 0, 1.0, s19
	v_mov_b32_e32 v4, 0x80
	s_mov_b32 s3, exec_lo
	s_delay_alu instid0(VALU_DEP_2)
	v_cmpx_gt_u32_e32 0x43800000, v3
	s_cbranch_execz .LBB6_2850
; %bb.2845:
	s_mov_b32 s4, 0
	s_mov_b32 s5, exec_lo
                                        ; implicit-def: $vgpr2
	v_cmpx_lt_u32_e32 0x3bffffff, v3
	s_xor_b32 s5, exec_lo, s5
	s_cbranch_execnz .LBB6_2957
; %bb.2846:
	s_and_not1_saveexec_b32 s5, s5
	s_cbranch_execnz .LBB6_2958
.LBB6_2847:
	s_or_b32 exec_lo, exec_lo, s5
	v_mov_b32_e32 v4, 0
	s_and_saveexec_b32 s5, s4
.LBB6_2848:
	v_mov_b32_e32 v4, v2
.LBB6_2849:
	s_or_b32 exec_lo, exec_lo, s5
.LBB6_2850:
	s_delay_alu instid0(SALU_CYCLE_1)
	s_or_b32 exec_lo, exec_lo, s3
	global_store_b8 v[0:1], v4, off
.LBB6_2851:
	s_mov_b32 s3, 0
.LBB6_2852:
	s_delay_alu instid0(SALU_CYCLE_1)
	s_and_b32 vcc_lo, exec_lo, s3
	s_cbranch_vccz .LBB6_2892
; %bb.2853:
	s_cmp_gt_i32 s2, 22
	s_mov_b32 s1, -1
	s_cbranch_scc0 .LBB6_2885
; %bb.2854:
	s_cmp_lt_i32 s2, 24
	s_cbranch_scc1 .LBB6_2874
; %bb.2855:
	s_cmp_gt_i32 s2, 24
	s_cbranch_scc0 .LBB6_2863
; %bb.2856:
	s_wait_xcnt 0x0
	v_cndmask_b32_e64 v3, 0, 1.0, s19
	v_mov_b32_e32 v4, 0x80
	s_mov_b32 s1, exec_lo
	s_delay_alu instid0(VALU_DEP_2)
	v_cmpx_gt_u32_e32 0x47800000, v3
	s_cbranch_execz .LBB6_2862
; %bb.2857:
	s_mov_b32 s3, 0
	s_mov_b32 s4, exec_lo
                                        ; implicit-def: $vgpr2
	v_cmpx_lt_u32_e32 0x37ffffff, v3
	s_xor_b32 s4, exec_lo, s4
	s_cbranch_execnz .LBB6_2959
; %bb.2858:
	s_and_not1_saveexec_b32 s4, s4
	s_cbranch_execnz .LBB6_2960
.LBB6_2859:
	s_or_b32 exec_lo, exec_lo, s4
	v_mov_b32_e32 v4, 0
	s_and_saveexec_b32 s4, s3
.LBB6_2860:
	v_mov_b32_e32 v4, v2
.LBB6_2861:
	s_or_b32 exec_lo, exec_lo, s4
.LBB6_2862:
	s_delay_alu instid0(SALU_CYCLE_1)
	s_or_b32 exec_lo, exec_lo, s1
	s_mov_b32 s1, 0
	global_store_b8 v[0:1], v4, off
.LBB6_2863:
	s_and_b32 vcc_lo, exec_lo, s1
	s_cbranch_vccz .LBB6_2873
; %bb.2864:
	s_wait_xcnt 0x0
	v_cndmask_b32_e64 v3, 0, 1.0, s19
	s_mov_b32 s1, exec_lo
                                        ; implicit-def: $vgpr2
	s_delay_alu instid0(VALU_DEP_1)
	v_cmpx_gt_u32_e32 0x43f00000, v3
	s_xor_b32 s1, exec_lo, s1
	s_cbranch_execz .LBB6_2870
; %bb.2865:
	s_mov_b32 s3, exec_lo
                                        ; implicit-def: $vgpr2
	v_cmpx_lt_u32_e32 0x3c7fffff, v3
	s_xor_b32 s3, exec_lo, s3
; %bb.2866:
	v_bfe_u32 v2, v3, 20, 1
	s_delay_alu instid0(VALU_DEP_1) | instskip(NEXT) | instid1(VALU_DEP_1)
	v_add3_u32 v2, v3, v2, 0x407ffff
	v_and_b32_e32 v3, 0xff00000, v2
	v_lshrrev_b32_e32 v2, 20, v2
	s_delay_alu instid0(VALU_DEP_2) | instskip(NEXT) | instid1(VALU_DEP_2)
	v_cmp_ne_u32_e32 vcc_lo, 0x7f00000, v3
                                        ; implicit-def: $vgpr3
	v_cndmask_b32_e32 v2, 0x7e, v2, vcc_lo
; %bb.2867:
	s_and_not1_saveexec_b32 s3, s3
; %bb.2868:
	v_add_f32_e32 v2, 0x46800000, v3
; %bb.2869:
	s_or_b32 exec_lo, exec_lo, s3
                                        ; implicit-def: $vgpr3
.LBB6_2870:
	s_and_not1_saveexec_b32 s1, s1
; %bb.2871:
	v_mov_b32_e32 v2, 0x7f
	v_cmp_lt_u32_e32 vcc_lo, 0x7f800000, v3
	s_delay_alu instid0(VALU_DEP_2)
	v_cndmask_b32_e32 v2, 0x7e, v2, vcc_lo
; %bb.2872:
	s_or_b32 exec_lo, exec_lo, s1
	global_store_b8 v[0:1], v2, off
.LBB6_2873:
	s_mov_b32 s1, 0
.LBB6_2874:
	s_delay_alu instid0(SALU_CYCLE_1)
	s_and_not1_b32 vcc_lo, exec_lo, s1
	s_cbranch_vccnz .LBB6_2884
; %bb.2875:
	s_wait_xcnt 0x0
	v_cndmask_b32_e64 v3, 0, 1.0, s19
	s_mov_b32 s1, exec_lo
                                        ; implicit-def: $vgpr2
	s_delay_alu instid0(VALU_DEP_1)
	v_cmpx_gt_u32_e32 0x47800000, v3
	s_xor_b32 s1, exec_lo, s1
	s_cbranch_execz .LBB6_2881
; %bb.2876:
	s_mov_b32 s3, exec_lo
                                        ; implicit-def: $vgpr2
	v_cmpx_lt_u32_e32 0x387fffff, v3
	s_xor_b32 s3, exec_lo, s3
; %bb.2877:
	v_bfe_u32 v2, v3, 21, 1
	s_delay_alu instid0(VALU_DEP_1) | instskip(NEXT) | instid1(VALU_DEP_1)
	v_add3_u32 v2, v3, v2, 0x80fffff
                                        ; implicit-def: $vgpr3
	v_lshrrev_b32_e32 v2, 21, v2
; %bb.2878:
	s_and_not1_saveexec_b32 s3, s3
; %bb.2879:
	v_add_f32_e32 v2, 0x43000000, v3
; %bb.2880:
	s_or_b32 exec_lo, exec_lo, s3
                                        ; implicit-def: $vgpr3
.LBB6_2881:
	s_and_not1_saveexec_b32 s1, s1
; %bb.2882:
	v_mov_b32_e32 v2, 0x7f
	v_cmp_lt_u32_e32 vcc_lo, 0x7f800000, v3
	s_delay_alu instid0(VALU_DEP_2)
	v_cndmask_b32_e32 v2, 0x7c, v2, vcc_lo
; %bb.2883:
	s_or_b32 exec_lo, exec_lo, s1
	global_store_b8 v[0:1], v2, off
.LBB6_2884:
	s_mov_b32 s1, 0
.LBB6_2885:
	s_delay_alu instid0(SALU_CYCLE_1)
	s_and_not1_b32 vcc_lo, exec_lo, s1
	s_mov_b32 s1, 0
	s_cbranch_vccnz .LBB6_2892
; %bb.2886:
	s_cmp_gt_i32 s2, 14
	s_mov_b32 s1, -1
	s_cbranch_scc0 .LBB6_2890
; %bb.2887:
	s_cmp_eq_u32 s2, 15
	s_mov_b32 s0, -1
	s_cbranch_scc0 .LBB6_2889
; %bb.2888:
	s_wait_xcnt 0x0
	v_cndmask_b32_e64 v2, 0, 1.0, s19
	s_mov_b32 s0, 0
	s_delay_alu instid0(VALU_DEP_1) | instskip(NEXT) | instid1(VALU_DEP_1)
	v_bfe_u32 v3, v2, 16, 1
	v_add3_u32 v2, v2, v3, 0x7fff
	global_store_d16_hi_b16 v[0:1], v2, off
.LBB6_2889:
	s_mov_b32 s1, 0
.LBB6_2890:
	s_delay_alu instid0(SALU_CYCLE_1)
	s_and_b32 vcc_lo, exec_lo, s1
	s_mov_b32 s1, 0
	s_cbranch_vccz .LBB6_2892
; %bb.2891:
	s_cmp_lg_u32 s2, 11
	s_mov_b32 s1, -1
	s_cselect_b32 s0, -1, 0
.LBB6_2892:
	s_delay_alu instid0(SALU_CYCLE_1)
	s_and_b32 vcc_lo, exec_lo, s0
	s_cbranch_vccnz .LBB6_2954
.LBB6_2893:
	s_mov_b32 s0, 0
	s_branch .LBB6_2895
.LBB6_2894:
	s_mov_b32 s0, 0
	s_mov_b32 s1, 0
                                        ; implicit-def: $sgpr19
                                        ; implicit-def: $sgpr18
                                        ; implicit-def: $vgpr0_vgpr1
.LBB6_2895:
	s_and_not1_b32 s2, s17, exec_lo
	s_and_b32 s3, s13, exec_lo
	s_and_b32 s0, s0, exec_lo
	;; [unrolled: 1-line block ×3, first 2 shown]
	s_or_b32 s17, s2, s3
.LBB6_2896:
	s_wait_xcnt 0x0
	s_or_b32 exec_lo, exec_lo, s16
	s_and_saveexec_b32 s1, s17
	s_cbranch_execnz .LBB6_2900
; %bb.2897:
	s_or_b32 exec_lo, exec_lo, s1
	s_and_saveexec_b32 s1, s13
	s_delay_alu instid0(SALU_CYCLE_1)
	s_xor_b32 s1, exec_lo, s1
	s_cbranch_execnz .LBB6_2901
.LBB6_2898:
	s_or_b32 exec_lo, exec_lo, s1
	s_and_saveexec_b32 s1, s0
	s_cbranch_execnz .LBB6_2902
.LBB6_2899:
	s_endpgm
.LBB6_2900:
	; divergent unreachable
	s_or_b32 exec_lo, exec_lo, s1
	s_and_saveexec_b32 s1, s13
	s_delay_alu instid0(SALU_CYCLE_1)
	s_xor_b32 s1, exec_lo, s1
	s_cbranch_execz .LBB6_2898
.LBB6_2901:
	v_cndmask_b32_e64 v2, 0, 1, s19
	global_store_b8 v[0:1], v2, off
	s_wait_xcnt 0x0
	s_or_b32 exec_lo, exec_lo, s1
	s_and_saveexec_b32 s1, s0
	s_cbranch_execz .LBB6_2899
.LBB6_2902:
	s_sext_i32_i16 s1, s18
	s_mov_b32 s0, -1
	s_cmp_lt_i32 s1, 5
	s_cbranch_scc1 .LBB6_2923
; %bb.2903:
	s_cmp_lt_i32 s1, 8
	s_cbranch_scc1 .LBB6_2913
; %bb.2904:
	s_cmp_lt_i32 s1, 9
	s_cbranch_scc1 .LBB6_2910
; %bb.2905:
	s_cmp_gt_i32 s1, 9
	s_cbranch_scc0 .LBB6_2907
; %bb.2906:
	v_cndmask_b32_e64 v2, 0, 1, s19
	v_mov_b32_e32 v4, 0
	s_mov_b32 s0, 0
	s_delay_alu instid0(VALU_DEP_2) | instskip(NEXT) | instid1(VALU_DEP_2)
	v_cvt_f64_u32_e32 v[2:3], v2
	v_mov_b32_e32 v5, v4
	global_store_b128 v[0:1], v[2:5], off
.LBB6_2907:
	s_and_not1_b32 vcc_lo, exec_lo, s0
	s_cbranch_vccnz .LBB6_2909
; %bb.2908:
	s_wait_xcnt 0x0
	v_cndmask_b32_e64 v2, 0, 1.0, s19
	v_mov_b32_e32 v3, 0
	global_store_b64 v[0:1], v[2:3], off
.LBB6_2909:
	s_mov_b32 s0, 0
.LBB6_2910:
	s_delay_alu instid0(SALU_CYCLE_1)
	s_and_not1_b32 vcc_lo, exec_lo, s0
	s_cbranch_vccnz .LBB6_2912
; %bb.2911:
	s_wait_xcnt 0x0
	v_cndmask_b32_e64 v2, 0, 1.0, s19
	s_delay_alu instid0(VALU_DEP_1) | instskip(NEXT) | instid1(VALU_DEP_1)
	v_cvt_f16_f32_e32 v2, v2
	v_and_b32_e32 v2, 0xffff, v2
	global_store_b32 v[0:1], v2, off
.LBB6_2912:
	s_mov_b32 s0, 0
.LBB6_2913:
	s_delay_alu instid0(SALU_CYCLE_1)
	s_and_not1_b32 vcc_lo, exec_lo, s0
	s_cbranch_vccnz .LBB6_2922
; %bb.2914:
	s_sext_i32_i16 s1, s18
	s_mov_b32 s0, -1
	s_cmp_lt_i32 s1, 6
	s_cbranch_scc1 .LBB6_2920
; %bb.2915:
	s_cmp_gt_i32 s1, 6
	s_cbranch_scc0 .LBB6_2917
; %bb.2916:
	s_wait_xcnt 0x0
	v_cndmask_b32_e64 v2, 0, 1, s19
	s_mov_b32 s0, 0
	s_delay_alu instid0(VALU_DEP_1)
	v_cvt_f64_u32_e32 v[2:3], v2
	global_store_b64 v[0:1], v[2:3], off
.LBB6_2917:
	s_and_not1_b32 vcc_lo, exec_lo, s0
	s_cbranch_vccnz .LBB6_2919
; %bb.2918:
	s_wait_xcnt 0x0
	v_cndmask_b32_e64 v2, 0, 1.0, s19
	global_store_b32 v[0:1], v2, off
.LBB6_2919:
	s_mov_b32 s0, 0
.LBB6_2920:
	s_delay_alu instid0(SALU_CYCLE_1)
	s_and_not1_b32 vcc_lo, exec_lo, s0
	s_cbranch_vccnz .LBB6_2922
; %bb.2921:
	s_wait_xcnt 0x0
	v_cndmask_b32_e64 v2, 0, 1.0, s19
	s_delay_alu instid0(VALU_DEP_1)
	v_cvt_f16_f32_e32 v2, v2
	global_store_b16 v[0:1], v2, off
.LBB6_2922:
	s_mov_b32 s0, 0
.LBB6_2923:
	s_delay_alu instid0(SALU_CYCLE_1)
	s_and_not1_b32 vcc_lo, exec_lo, s0
	s_cbranch_vccnz .LBB6_2899
; %bb.2924:
	s_sext_i32_i16 s1, s18
	s_mov_b32 s0, -1
	s_cmp_lt_i32 s1, 2
	s_cbranch_scc1 .LBB6_2934
; %bb.2925:
	s_cmp_lt_i32 s1, 3
	s_cbranch_scc1 .LBB6_2931
; %bb.2926:
	s_cmp_gt_i32 s1, 3
	s_cbranch_scc0 .LBB6_2928
; %bb.2927:
	s_mov_b32 s0, 0
	s_wait_xcnt 0x0
	v_cndmask_b32_e64 v2, 0, 1, s19
	v_mov_b32_e32 v3, s0
	global_store_b64 v[0:1], v[2:3], off
.LBB6_2928:
	s_and_not1_b32 vcc_lo, exec_lo, s0
	s_cbranch_vccnz .LBB6_2930
; %bb.2929:
	s_wait_xcnt 0x0
	v_cndmask_b32_e64 v2, 0, 1, s19
	global_store_b32 v[0:1], v2, off
.LBB6_2930:
	s_mov_b32 s0, 0
.LBB6_2931:
	s_delay_alu instid0(SALU_CYCLE_1)
	s_and_not1_b32 vcc_lo, exec_lo, s0
	s_cbranch_vccnz .LBB6_2933
; %bb.2932:
	s_wait_xcnt 0x0
	v_cndmask_b32_e64 v2, 0, 1, s19
	global_store_b16 v[0:1], v2, off
.LBB6_2933:
	s_mov_b32 s0, 0
.LBB6_2934:
	s_delay_alu instid0(SALU_CYCLE_1)
	s_and_not1_b32 vcc_lo, exec_lo, s0
	s_cbranch_vccnz .LBB6_2899
; %bb.2935:
	s_wait_xcnt 0x0
	v_cndmask_b32_e64 v2, 0, 1, s19
	s_sext_i32_i16 s0, s18
	s_delay_alu instid0(SALU_CYCLE_1)
	s_cmp_gt_i32 s0, 0
	s_mov_b32 s0, -1
	s_cbranch_scc0 .LBB6_2937
; %bb.2936:
	s_mov_b32 s0, 0
	global_store_b8 v[0:1], v2, off
.LBB6_2937:
	s_and_not1_b32 vcc_lo, exec_lo, s0
	s_cbranch_vccnz .LBB6_2899
; %bb.2938:
	global_store_b8 v[0:1], v2, off
	s_endpgm
.LBB6_2939:
	s_mov_b32 s1, 0
	s_mov_b32 s0, -1
	s_branch .LBB6_2895
.LBB6_2940:
	s_mov_b32 s11, 0
	s_or_b32 s13, s13, exec_lo
	s_trap 2
	s_cbranch_execz .LBB6_2409
	s_branch .LBB6_2410
.LBB6_2941:
	s_or_b32 s13, s13, exec_lo
	s_trap 2
	s_cbranch_execz .LBB6_2537
	s_branch .LBB6_2538
.LBB6_2942:
	v_bfe_u32 v1, v4, 20, 1
	s_mov_b32 s12, exec_lo
	s_delay_alu instid0(VALU_DEP_1) | instskip(NEXT) | instid1(VALU_DEP_1)
	v_add3_u32 v1, v4, v1, 0x487ffff
                                        ; implicit-def: $vgpr4
	v_lshrrev_b32_e32 v1, 20, v1
	s_and_not1_saveexec_b32 s15, s15
	s_cbranch_execz .LBB6_2489
.LBB6_2943:
	v_add_f32_e32 v1, 0x46000000, v4
	s_and_not1_b32 s12, s12, exec_lo
	s_delay_alu instid0(VALU_DEP_1) | instskip(NEXT) | instid1(VALU_DEP_1)
	v_and_b32_e32 v1, 0xff, v1
	v_cmp_ne_u32_e32 vcc_lo, 0, v1
	s_and_b32 s19, vcc_lo, exec_lo
	s_delay_alu instid0(SALU_CYCLE_1)
	s_or_b32 s12, s12, s19
	s_or_b32 exec_lo, exec_lo, s15
	v_mov_b32_e32 v5, 0
	s_and_saveexec_b32 s15, s12
	s_cbranch_execnz .LBB6_2490
	s_branch .LBB6_2491
.LBB6_2944:
	s_or_b32 s13, s13, exec_lo
	s_trap 2
	s_cbranch_execz .LBB6_2656
	s_branch .LBB6_2657
.LBB6_2945:
	v_bfe_u32 v1, v4, 21, 1
	s_mov_b32 s11, exec_lo
	s_delay_alu instid0(VALU_DEP_1) | instskip(NEXT) | instid1(VALU_DEP_1)
	v_add3_u32 v1, v4, v1, 0x88fffff
                                        ; implicit-def: $vgpr4
	v_lshrrev_b32_e32 v1, 21, v1
	s_and_not1_saveexec_b32 s12, s12
	s_cbranch_execz .LBB6_2502
.LBB6_2946:
	v_add_f32_e32 v1, 0x42800000, v4
	s_and_not1_b32 s11, s11, exec_lo
	s_delay_alu instid0(VALU_DEP_1) | instskip(NEXT) | instid1(VALU_DEP_1)
	v_and_b32_e32 v1, 0xff, v1
	v_cmp_ne_u32_e32 vcc_lo, 0, v1
	s_and_b32 s15, vcc_lo, exec_lo
	s_delay_alu instid0(SALU_CYCLE_1)
	s_or_b32 s11, s11, s15
	s_or_b32 exec_lo, exec_lo, s12
	v_mov_b32_e32 v5, 0
	s_and_saveexec_b32 s12, s11
	s_cbranch_execnz .LBB6_2503
	s_branch .LBB6_2504
.LBB6_2947:
	v_bfe_u32 v1, v4, 20, 1
	s_mov_b32 s11, exec_lo
	s_delay_alu instid0(VALU_DEP_1) | instskip(NEXT) | instid1(VALU_DEP_1)
	v_add3_u32 v1, v4, v1, 0x487ffff
                                        ; implicit-def: $vgpr4
	v_lshrrev_b32_e32 v1, 20, v1
	s_and_not1_saveexec_b32 s12, s12
	s_cbranch_execz .LBB6_2608
.LBB6_2948:
	v_add_f32_e32 v1, 0x46000000, v4
	s_and_not1_b32 s11, s11, exec_lo
	s_delay_alu instid0(VALU_DEP_1) | instskip(NEXT) | instid1(VALU_DEP_1)
	v_and_b32_e32 v1, 0xff, v1
	v_cmp_ne_u32_e32 vcc_lo, 0, v1
	s_and_b32 s14, vcc_lo, exec_lo
	s_delay_alu instid0(SALU_CYCLE_1)
	s_or_b32 s11, s11, s14
	s_or_b32 exec_lo, exec_lo, s12
	v_mov_b32_e32 v5, 0
	s_and_saveexec_b32 s12, s11
	s_cbranch_execnz .LBB6_2609
	s_branch .LBB6_2610
.LBB6_2949:
	s_or_b32 s13, s13, exec_lo
	s_trap 2
	s_cbranch_execz .LBB6_2775
	s_branch .LBB6_2776
.LBB6_2950:
	v_bfe_u32 v1, v4, 21, 1
	s_mov_b32 s10, exec_lo
	s_delay_alu instid0(VALU_DEP_1) | instskip(NEXT) | instid1(VALU_DEP_1)
	v_add3_u32 v1, v4, v1, 0x88fffff
                                        ; implicit-def: $vgpr4
	v_lshrrev_b32_e32 v1, 21, v1
	s_and_not1_saveexec_b32 s11, s11
	s_cbranch_execz .LBB6_2621
.LBB6_2951:
	v_add_f32_e32 v1, 0x42800000, v4
	s_and_not1_b32 s10, s10, exec_lo
	s_delay_alu instid0(VALU_DEP_1) | instskip(NEXT) | instid1(VALU_DEP_1)
	v_and_b32_e32 v1, 0xff, v1
	v_cmp_ne_u32_e32 vcc_lo, 0, v1
	s_and_b32 s12, vcc_lo, exec_lo
	s_delay_alu instid0(SALU_CYCLE_1)
	s_or_b32 s10, s10, s12
	s_or_b32 exec_lo, exec_lo, s11
	v_mov_b32_e32 v5, 0
	s_and_saveexec_b32 s11, s10
	s_cbranch_execnz .LBB6_2622
	s_branch .LBB6_2623
.LBB6_2952:
	v_bfe_u32 v1, v4, 20, 1
	s_mov_b32 s11, exec_lo
	s_delay_alu instid0(VALU_DEP_1) | instskip(NEXT) | instid1(VALU_DEP_1)
	v_add3_u32 v1, v4, v1, 0x487ffff
                                        ; implicit-def: $vgpr4
	v_lshrrev_b32_e32 v1, 20, v1
	s_and_not1_saveexec_b32 s12, s12
	s_cbranch_execz .LBB6_2727
.LBB6_2953:
	v_add_f32_e32 v1, 0x46000000, v4
	s_and_not1_b32 s11, s11, exec_lo
	s_delay_alu instid0(VALU_DEP_1) | instskip(NEXT) | instid1(VALU_DEP_1)
	v_and_b32_e32 v1, 0xff, v1
	v_cmp_ne_u32_e32 vcc_lo, 0, v1
	s_and_b32 s14, vcc_lo, exec_lo
	s_delay_alu instid0(SALU_CYCLE_1)
	s_or_b32 s11, s11, s14
	s_or_b32 exec_lo, exec_lo, s12
	v_mov_b32_e32 v5, 0
	s_and_saveexec_b32 s12, s11
	s_cbranch_execnz .LBB6_2728
	s_branch .LBB6_2729
.LBB6_2954:
	s_mov_b32 s1, 0
	s_or_b32 s13, s13, exec_lo
	s_trap 2
	s_branch .LBB6_2893
.LBB6_2955:
	v_bfe_u32 v1, v4, 21, 1
	s_mov_b32 s10, exec_lo
	s_delay_alu instid0(VALU_DEP_1) | instskip(NEXT) | instid1(VALU_DEP_1)
	v_add3_u32 v1, v4, v1, 0x88fffff
                                        ; implicit-def: $vgpr4
	v_lshrrev_b32_e32 v1, 21, v1
	s_and_not1_saveexec_b32 s11, s11
	s_cbranch_execz .LBB6_2740
.LBB6_2956:
	v_add_f32_e32 v1, 0x42800000, v4
	s_and_not1_b32 s10, s10, exec_lo
	s_delay_alu instid0(VALU_DEP_1) | instskip(NEXT) | instid1(VALU_DEP_1)
	v_and_b32_e32 v1, 0xff, v1
	v_cmp_ne_u32_e32 vcc_lo, 0, v1
	s_and_b32 s12, vcc_lo, exec_lo
	s_delay_alu instid0(SALU_CYCLE_1)
	s_or_b32 s10, s10, s12
	s_or_b32 exec_lo, exec_lo, s11
	v_mov_b32_e32 v5, 0
	s_and_saveexec_b32 s11, s10
	s_cbranch_execnz .LBB6_2741
	s_branch .LBB6_2742
.LBB6_2957:
	v_bfe_u32 v2, v3, 20, 1
	s_mov_b32 s4, exec_lo
	s_delay_alu instid0(VALU_DEP_1) | instskip(NEXT) | instid1(VALU_DEP_1)
	v_add3_u32 v2, v3, v2, 0x487ffff
                                        ; implicit-def: $vgpr3
	v_lshrrev_b32_e32 v2, 20, v2
	s_and_not1_saveexec_b32 s5, s5
	s_cbranch_execz .LBB6_2847
.LBB6_2958:
	v_add_f32_e32 v2, 0x46000000, v3
	s_and_not1_b32 s4, s4, exec_lo
	s_delay_alu instid0(VALU_DEP_1) | instskip(NEXT) | instid1(VALU_DEP_1)
	v_and_b32_e32 v2, 0xff, v2
	v_cmp_ne_u32_e32 vcc_lo, 0, v2
	s_and_b32 s6, vcc_lo, exec_lo
	s_delay_alu instid0(SALU_CYCLE_1)
	s_or_b32 s4, s4, s6
	s_or_b32 exec_lo, exec_lo, s5
	v_mov_b32_e32 v4, 0
	s_and_saveexec_b32 s5, s4
	s_cbranch_execnz .LBB6_2848
	s_branch .LBB6_2849
.LBB6_2959:
	v_bfe_u32 v2, v3, 21, 1
	s_mov_b32 s3, exec_lo
	s_delay_alu instid0(VALU_DEP_1) | instskip(NEXT) | instid1(VALU_DEP_1)
	v_add3_u32 v2, v3, v2, 0x88fffff
                                        ; implicit-def: $vgpr3
	v_lshrrev_b32_e32 v2, 21, v2
	s_and_not1_saveexec_b32 s4, s4
	s_cbranch_execz .LBB6_2859
.LBB6_2960:
	v_add_f32_e32 v2, 0x42800000, v3
	s_and_not1_b32 s3, s3, exec_lo
	s_delay_alu instid0(VALU_DEP_1) | instskip(NEXT) | instid1(VALU_DEP_1)
	v_and_b32_e32 v2, 0xff, v2
	v_cmp_ne_u32_e32 vcc_lo, 0, v2
	s_and_b32 s5, vcc_lo, exec_lo
	s_delay_alu instid0(SALU_CYCLE_1)
	s_or_b32 s3, s3, s5
	s_or_b32 exec_lo, exec_lo, s4
	v_mov_b32_e32 v4, 0
	s_and_saveexec_b32 s4, s3
	s_cbranch_execnz .LBB6_2860
	s_branch .LBB6_2861
	.section	.rodata,"a",@progbits
	.p2align	6, 0x0
	.amdhsa_kernel _ZN2at6native32elementwise_kernel_manual_unrollILi128ELi4EZNS0_15gpu_kernel_implIZNS0_12_GLOBAL__N_116addr_kernel_cudaERNS_14TensorIteratorERKN3c106ScalarES9_EUlbbbE_EEvRNS_18TensorIteratorBaseERKT_EUlibE_EEviT1_
		.amdhsa_group_segment_fixed_size 0
		.amdhsa_private_segment_fixed_size 0
		.amdhsa_kernarg_size 64
		.amdhsa_user_sgpr_count 2
		.amdhsa_user_sgpr_dispatch_ptr 0
		.amdhsa_user_sgpr_queue_ptr 0
		.amdhsa_user_sgpr_kernarg_segment_ptr 1
		.amdhsa_user_sgpr_dispatch_id 0
		.amdhsa_user_sgpr_kernarg_preload_length 0
		.amdhsa_user_sgpr_kernarg_preload_offset 0
		.amdhsa_user_sgpr_private_segment_size 0
		.amdhsa_wavefront_size32 1
		.amdhsa_uses_dynamic_stack 0
		.amdhsa_enable_private_segment 0
		.amdhsa_system_sgpr_workgroup_id_x 1
		.amdhsa_system_sgpr_workgroup_id_y 0
		.amdhsa_system_sgpr_workgroup_id_z 0
		.amdhsa_system_sgpr_workgroup_info 0
		.amdhsa_system_vgpr_workitem_id 0
		.amdhsa_next_free_vgpr 12
		.amdhsa_next_free_sgpr 40
		.amdhsa_named_barrier_count 0
		.amdhsa_reserve_vcc 1
		.amdhsa_float_round_mode_32 0
		.amdhsa_float_round_mode_16_64 0
		.amdhsa_float_denorm_mode_32 3
		.amdhsa_float_denorm_mode_16_64 3
		.amdhsa_fp16_overflow 0
		.amdhsa_memory_ordered 1
		.amdhsa_forward_progress 1
		.amdhsa_inst_pref_size 255
		.amdhsa_round_robin_scheduling 0
		.amdhsa_exception_fp_ieee_invalid_op 0
		.amdhsa_exception_fp_denorm_src 0
		.amdhsa_exception_fp_ieee_div_zero 0
		.amdhsa_exception_fp_ieee_overflow 0
		.amdhsa_exception_fp_ieee_underflow 0
		.amdhsa_exception_fp_ieee_inexact 0
		.amdhsa_exception_int_div_zero 0
	.end_amdhsa_kernel
	.section	.text._ZN2at6native32elementwise_kernel_manual_unrollILi128ELi4EZNS0_15gpu_kernel_implIZNS0_12_GLOBAL__N_116addr_kernel_cudaERNS_14TensorIteratorERKN3c106ScalarES9_EUlbbbE_EEvRNS_18TensorIteratorBaseERKT_EUlibE_EEviT1_,"axG",@progbits,_ZN2at6native32elementwise_kernel_manual_unrollILi128ELi4EZNS0_15gpu_kernel_implIZNS0_12_GLOBAL__N_116addr_kernel_cudaERNS_14TensorIteratorERKN3c106ScalarES9_EUlbbbE_EEvRNS_18TensorIteratorBaseERKT_EUlibE_EEviT1_,comdat
.Lfunc_end6:
	.size	_ZN2at6native32elementwise_kernel_manual_unrollILi128ELi4EZNS0_15gpu_kernel_implIZNS0_12_GLOBAL__N_116addr_kernel_cudaERNS_14TensorIteratorERKN3c106ScalarES9_EUlbbbE_EEvRNS_18TensorIteratorBaseERKT_EUlibE_EEviT1_, .Lfunc_end6-_ZN2at6native32elementwise_kernel_manual_unrollILi128ELi4EZNS0_15gpu_kernel_implIZNS0_12_GLOBAL__N_116addr_kernel_cudaERNS_14TensorIteratorERKN3c106ScalarES9_EUlbbbE_EEvRNS_18TensorIteratorBaseERKT_EUlibE_EEviT1_
                                        ; -- End function
	.set _ZN2at6native32elementwise_kernel_manual_unrollILi128ELi4EZNS0_15gpu_kernel_implIZNS0_12_GLOBAL__N_116addr_kernel_cudaERNS_14TensorIteratorERKN3c106ScalarES9_EUlbbbE_EEvRNS_18TensorIteratorBaseERKT_EUlibE_EEviT1_.num_vgpr, 12
	.set _ZN2at6native32elementwise_kernel_manual_unrollILi128ELi4EZNS0_15gpu_kernel_implIZNS0_12_GLOBAL__N_116addr_kernel_cudaERNS_14TensorIteratorERKN3c106ScalarES9_EUlbbbE_EEvRNS_18TensorIteratorBaseERKT_EUlibE_EEviT1_.num_agpr, 0
	.set _ZN2at6native32elementwise_kernel_manual_unrollILi128ELi4EZNS0_15gpu_kernel_implIZNS0_12_GLOBAL__N_116addr_kernel_cudaERNS_14TensorIteratorERKN3c106ScalarES9_EUlbbbE_EEvRNS_18TensorIteratorBaseERKT_EUlibE_EEviT1_.numbered_sgpr, 40
	.set _ZN2at6native32elementwise_kernel_manual_unrollILi128ELi4EZNS0_15gpu_kernel_implIZNS0_12_GLOBAL__N_116addr_kernel_cudaERNS_14TensorIteratorERKN3c106ScalarES9_EUlbbbE_EEvRNS_18TensorIteratorBaseERKT_EUlibE_EEviT1_.num_named_barrier, 0
	.set _ZN2at6native32elementwise_kernel_manual_unrollILi128ELi4EZNS0_15gpu_kernel_implIZNS0_12_GLOBAL__N_116addr_kernel_cudaERNS_14TensorIteratorERKN3c106ScalarES9_EUlbbbE_EEvRNS_18TensorIteratorBaseERKT_EUlibE_EEviT1_.private_seg_size, 0
	.set _ZN2at6native32elementwise_kernel_manual_unrollILi128ELi4EZNS0_15gpu_kernel_implIZNS0_12_GLOBAL__N_116addr_kernel_cudaERNS_14TensorIteratorERKN3c106ScalarES9_EUlbbbE_EEvRNS_18TensorIteratorBaseERKT_EUlibE_EEviT1_.uses_vcc, 1
	.set _ZN2at6native32elementwise_kernel_manual_unrollILi128ELi4EZNS0_15gpu_kernel_implIZNS0_12_GLOBAL__N_116addr_kernel_cudaERNS_14TensorIteratorERKN3c106ScalarES9_EUlbbbE_EEvRNS_18TensorIteratorBaseERKT_EUlibE_EEviT1_.uses_flat_scratch, 0
	.set _ZN2at6native32elementwise_kernel_manual_unrollILi128ELi4EZNS0_15gpu_kernel_implIZNS0_12_GLOBAL__N_116addr_kernel_cudaERNS_14TensorIteratorERKN3c106ScalarES9_EUlbbbE_EEvRNS_18TensorIteratorBaseERKT_EUlibE_EEviT1_.has_dyn_sized_stack, 0
	.set _ZN2at6native32elementwise_kernel_manual_unrollILi128ELi4EZNS0_15gpu_kernel_implIZNS0_12_GLOBAL__N_116addr_kernel_cudaERNS_14TensorIteratorERKN3c106ScalarES9_EUlbbbE_EEvRNS_18TensorIteratorBaseERKT_EUlibE_EEviT1_.has_recursion, 0
	.set _ZN2at6native32elementwise_kernel_manual_unrollILi128ELi4EZNS0_15gpu_kernel_implIZNS0_12_GLOBAL__N_116addr_kernel_cudaERNS_14TensorIteratorERKN3c106ScalarES9_EUlbbbE_EEvRNS_18TensorIteratorBaseERKT_EUlibE_EEviT1_.has_indirect_call, 0
	.section	.AMDGPU.csdata,"",@progbits
; Kernel info:
; codeLenInByte = 47312
; TotalNumSgprs: 42
; NumVgprs: 12
; ScratchSize: 0
; MemoryBound: 1
; FloatMode: 240
; IeeeMode: 1
; LDSByteSize: 0 bytes/workgroup (compile time only)
; SGPRBlocks: 0
; VGPRBlocks: 0
; NumSGPRsForWavesPerEU: 42
; NumVGPRsForWavesPerEU: 12
; NamedBarCnt: 0
; Occupancy: 16
; WaveLimiterHint : 0
; COMPUTE_PGM_RSRC2:SCRATCH_EN: 0
; COMPUTE_PGM_RSRC2:USER_SGPR: 2
; COMPUTE_PGM_RSRC2:TRAP_HANDLER: 0
; COMPUTE_PGM_RSRC2:TGID_X_EN: 1
; COMPUTE_PGM_RSRC2:TGID_Y_EN: 0
; COMPUTE_PGM_RSRC2:TGID_Z_EN: 0
; COMPUTE_PGM_RSRC2:TIDIG_COMP_CNT: 0
	.section	.text._ZN2at6native32elementwise_kernel_manual_unrollILi128ELi4EZNS0_15gpu_kernel_implIZNS0_12_GLOBAL__N_116addr_kernel_cudaERNS_14TensorIteratorERKN3c106ScalarES9_EUlbbbE_EEvRNS_18TensorIteratorBaseERKT_EUlibE0_EEviT1_,"axG",@progbits,_ZN2at6native32elementwise_kernel_manual_unrollILi128ELi4EZNS0_15gpu_kernel_implIZNS0_12_GLOBAL__N_116addr_kernel_cudaERNS_14TensorIteratorERKN3c106ScalarES9_EUlbbbE_EEvRNS_18TensorIteratorBaseERKT_EUlibE0_EEviT1_,comdat
	.globl	_ZN2at6native32elementwise_kernel_manual_unrollILi128ELi4EZNS0_15gpu_kernel_implIZNS0_12_GLOBAL__N_116addr_kernel_cudaERNS_14TensorIteratorERKN3c106ScalarES9_EUlbbbE_EEvRNS_18TensorIteratorBaseERKT_EUlibE0_EEviT1_ ; -- Begin function _ZN2at6native32elementwise_kernel_manual_unrollILi128ELi4EZNS0_15gpu_kernel_implIZNS0_12_GLOBAL__N_116addr_kernel_cudaERNS_14TensorIteratorERKN3c106ScalarES9_EUlbbbE_EEvRNS_18TensorIteratorBaseERKT_EUlibE0_EEviT1_
	.p2align	8
	.type	_ZN2at6native32elementwise_kernel_manual_unrollILi128ELi4EZNS0_15gpu_kernel_implIZNS0_12_GLOBAL__N_116addr_kernel_cudaERNS_14TensorIteratorERKN3c106ScalarES9_EUlbbbE_EEvRNS_18TensorIteratorBaseERKT_EUlibE0_EEviT1_,@function
_ZN2at6native32elementwise_kernel_manual_unrollILi128ELi4EZNS0_15gpu_kernel_implIZNS0_12_GLOBAL__N_116addr_kernel_cudaERNS_14TensorIteratorERKN3c106ScalarES9_EUlbbbE_EEvRNS_18TensorIteratorBaseERKT_EUlibE0_EEviT1_: ; @_ZN2at6native32elementwise_kernel_manual_unrollILi128ELi4EZNS0_15gpu_kernel_implIZNS0_12_GLOBAL__N_116addr_kernel_cudaERNS_14TensorIteratorERKN3c106ScalarES9_EUlbbbE_EEvRNS_18TensorIteratorBaseERKT_EUlibE0_EEviT1_
; %bb.0:
	s_clause 0x1
	s_load_b32 s15, s[0:1], 0x8
	s_load_b32 s41, s[0:1], 0x0
	s_bfe_u32 s2, ttmp6, 0x4000c
	s_and_b32 s3, ttmp6, 15
	s_add_co_i32 s2, s2, 1
	s_getreg_b32 s4, hwreg(HW_REG_IB_STS2, 6, 4)
	s_mul_i32 s2, ttmp9, s2
	s_mov_b32 s34, 0
	s_add_co_i32 s3, s3, s2
	s_cmp_eq_u32 s4, 0
	s_mov_b32 s28, -1
	s_cselect_b32 s2, ttmp9, s3
	s_mov_b32 s8, 0
	v_lshl_or_b32 v0, s2, 9, v0
	s_add_nc_u64 s[2:3], s[0:1], 8
	s_wait_xcnt 0x0
	s_mov_b32 s0, exec_lo
	s_delay_alu instid0(VALU_DEP_1) | instskip(SKIP_2) | instid1(SALU_CYCLE_1)
	v_or_b32_e32 v1, 0x180, v0
	s_wait_kmcnt 0x0
	s_add_co_i32 s33, s15, -1
	s_cmp_gt_u32 s33, 1
	s_cselect_b32 s35, -1, 0
	v_cmpx_le_i32_e64 s41, v1
	s_xor_b32 s36, exec_lo, s0
	s_cbranch_execz .LBB7_1516
; %bb.1:
	s_clause 0x7
	s_load_b128 s[8:11], s[2:3], 0x4
	s_load_b64 s[0:1], s[2:3], 0x1e8
	s_load_b64 s[24:25], s[2:3], 0x14
	s_load_b32 s38, s[2:3], 0xc4
	s_load_b96 s[12:14], s[2:3], 0xcc
	s_load_b64 s[22:23], s[2:3], 0xdc
	s_load_b64 s[16:17], s[2:3], 0x1c8
	s_load_b128 s[4:7], s[2:3], 0x1d8
	s_cmp_lg_u32 s15, 0
	s_mov_b32 s21, 0
	s_cselect_b32 s42, -1, 0
	s_min_u32 s40, s33, 15
	s_cmp_gt_u32 s15, 1
	s_mov_b32 s27, s21
	s_cselect_b32 s39, -1, 0
	s_mov_b32 s45, s21
	s_mov_b32 s44, s21
	;; [unrolled: 1-line block ×3, first 2 shown]
	s_mov_b32 s46, exec_lo
	s_wait_kmcnt 0x0
	s_mov_b32 s20, s9
	s_lshr_b32 s9, s0, 8
	s_lshr_b32 s37, s0, 16
	s_lshr_b64 s[18:19], s[0:1], 24
	s_bitcmp1_b32 s0, 0
	s_mov_b32 s26, s24
	s_cselect_b32 s19, -1, 0
	s_mov_b32 s24, s21
	v_cmpx_gt_i32_e64 s41, v0
	s_cbranch_execz .LBB7_375
; %bb.2:
	s_and_not1_b32 vcc_lo, exec_lo, s35
	s_cbranch_vccnz .LBB7_8
; %bb.3:
	s_and_not1_b32 vcc_lo, exec_lo, s42
	s_cbranch_vccnz .LBB7_9
; %bb.4:
	v_dual_mov_b32 v2, 0 :: v_dual_mov_b32 v1, v0
	v_dual_mov_b32 v6, 0 :: v_dual_mov_b32 v4, 0
	s_add_co_i32 s0, s40, 1
	s_mov_b64 s[28:29], 0xffffffffffffffe0
	s_and_b32 s0, s0, 30
	s_add_nc_u64 s[28:29], s[2:3], s[28:29]
	s_mov_b64 s[30:31], s[2:3]
.LBB7_5:                                ; =>This Inner Loop Header: Depth=1
	s_clause 0x1
	s_load_b128 s[48:51], s[30:31], 0x4
	s_load_b64 s[44:45], s[30:31], 0x14
	s_load_b32 s24, s[28:29], 0xe4
	s_add_co_i32 s0, s0, -2
	s_wait_xcnt 0x0
	s_add_nc_u64 s[30:31], s[30:31], 24
	s_cmp_lg_u32 s0, 0
	s_wait_kmcnt 0x0
	v_mul_hi_u32 v3, s49, v1
	s_delay_alu instid0(VALU_DEP_1) | instskip(NEXT) | instid1(VALU_DEP_1)
	v_add_nc_u32_e32 v3, v1, v3
	v_lshrrev_b32_e32 v3, s50, v3
	s_delay_alu instid0(VALU_DEP_1) | instskip(SKIP_2) | instid1(VALU_DEP_1)
	v_mul_hi_u32 v5, s44, v3
	v_mul_lo_u32 v7, v3, s48
	s_load_b96 s[48:50], s[28:29], 0xec
	v_dual_add_nc_u32 v5, v3, v5 :: v_dual_sub_nc_u32 v7, v1, v7
	s_delay_alu instid0(VALU_DEP_1) | instskip(SKIP_1) | instid1(VALU_DEP_2)
	v_lshrrev_b32_e32 v1, s45, v5
	s_load_b64 s[44:45], s[28:29], 0xfc
	v_mad_u32 v2, v7, s24, v2
	s_wait_xcnt 0x0
	s_add_nc_u64 s[28:29], s[28:29], 32
	v_mul_lo_u32 v5, v1, s51
	s_wait_kmcnt 0x0
	v_mad_u32 v4, v7, s49, v4
	v_mad_u32 v6, v7, s48, v6
	s_delay_alu instid0(VALU_DEP_3) | instskip(NEXT) | instid1(VALU_DEP_1)
	v_sub_nc_u32_e32 v3, v3, v5
	v_mad_u32 v2, v3, s50, v2
	s_delay_alu instid0(VALU_DEP_4) | instskip(NEXT) | instid1(VALU_DEP_4)
	v_mad_u32 v4, v3, s45, v4
	v_mad_u32 v6, v3, s44, v6
	s_cbranch_scc1 .LBB7_5
; %bb.6:
	s_bitcmp1_b32 s40, 0
	s_cselect_b32 s0, -1, 0
	s_delay_alu instid0(SALU_CYCLE_1)
	s_and_b32 vcc_lo, exec_lo, s0
	s_cbranch_vccnz .LBB7_10
; %bb.7:
	s_load_b96 s[48:50], s[30:31], 0x4
	s_load_b32 s0, s[28:29], 0xe4
	s_wait_xcnt 0x0
	s_load_b64 s[30:31], s[28:29], 0xec
	s_wait_kmcnt 0x0
	v_mul_hi_u32 v3, s49, v1
	s_delay_alu instid0(VALU_DEP_1) | instskip(NEXT) | instid1(VALU_DEP_1)
	v_add_nc_u32_e32 v3, v1, v3
	v_lshrrev_b32_e32 v3, s50, v3
	s_delay_alu instid0(VALU_DEP_1) | instskip(NEXT) | instid1(VALU_DEP_1)
	v_mul_lo_u32 v3, v3, s48
	v_sub_nc_u32_e32 v1, v1, v3
	s_delay_alu instid0(VALU_DEP_1)
	v_mad_u32 v2, v1, s0, v2
	v_mad_u32 v6, v1, s30, v6
	;; [unrolled: 1-line block ×3, first 2 shown]
	s_cbranch_execz .LBB7_11
	s_branch .LBB7_13
.LBB7_8:
                                        ; implicit-def: $vgpr4
                                        ; implicit-def: $vgpr6
                                        ; implicit-def: $vgpr2
	s_branch .LBB7_11
.LBB7_9:
	v_dual_mov_b32 v4, 0 :: v_dual_mov_b32 v6, 0
	v_mov_b32_e32 v2, 0
.LBB7_10:
	s_cbranch_execnz .LBB7_13
.LBB7_11:
	v_mov_b32_e32 v1, 0
	s_and_not1_b32 vcc_lo, exec_lo, s39
	s_delay_alu instid0(VALU_DEP_1) | instskip(NEXT) | instid1(VALU_DEP_1)
	v_mul_u64_e32 v[2:3], s[20:21], v[0:1]
	v_add_nc_u32_e32 v2, v0, v3
	s_delay_alu instid0(VALU_DEP_1) | instskip(NEXT) | instid1(VALU_DEP_1)
	v_lshrrev_b32_e32 v8, s10, v2
	v_mul_lo_u32 v2, v8, s8
	s_delay_alu instid0(VALU_DEP_1) | instskip(NEXT) | instid1(VALU_DEP_1)
	v_sub_nc_u32_e32 v3, v0, v2
	v_mul_lo_u32 v2, v3, s38
	v_mul_lo_u32 v4, v3, s13
	;; [unrolled: 1-line block ×3, first 2 shown]
	s_cbranch_vccnz .LBB7_13
; %bb.12:
	v_mov_b32_e32 v9, v1
	s_delay_alu instid0(VALU_DEP_1) | instskip(NEXT) | instid1(VALU_DEP_1)
	v_mul_u64_e32 v[10:11], s[26:27], v[8:9]
	v_add_nc_u32_e32 v1, v8, v11
	s_delay_alu instid0(VALU_DEP_1) | instskip(NEXT) | instid1(VALU_DEP_1)
	v_lshrrev_b32_e32 v1, s25, v1
	v_mul_lo_u32 v1, v1, s11
	s_delay_alu instid0(VALU_DEP_1) | instskip(NEXT) | instid1(VALU_DEP_1)
	v_sub_nc_u32_e32 v1, v8, v1
	v_mad_u32 v2, v1, s14, v2
	v_mad_u32 v6, v1, s22, v6
	;; [unrolled: 1-line block ×3, first 2 shown]
.LBB7_13:
	s_and_b32 s24, s37, 0xff
	s_delay_alu instid0(SALU_CYCLE_1)
	s_cmp_lt_i32 s24, 23
	s_cbranch_scc1 .LBB7_17
; %bb.14:
	s_and_b32 s29, 0xffff, s24
	s_delay_alu instid0(SALU_CYCLE_1)
	s_cmp_gt_i32 s29, 43
	s_cbranch_scc0 .LBB7_18
; %bb.15:
	s_cmp_gt_i32 s29, 45
	s_cbranch_scc0 .LBB7_19
; %bb.16:
	s_cmp_eq_u32 s29, 46
	s_mov_b32 s30, 0
	s_mov_b32 s28, -1
	s_cselect_b32 s0, -1, 0
	s_branch .LBB7_20
.LBB7_17:
	s_mov_b32 s28, 0
	s_mov_b32 s0, 0
	s_cbranch_execnz .LBB7_25
	s_branch .LBB7_29
.LBB7_18:
	s_mov_b32 s28, 0
	s_mov_b32 s0, 0
	s_cbranch_execnz .LBB7_23
	s_branch .LBB7_24
.LBB7_19:
	s_mov_b32 s30, -1
	s_mov_b32 s28, 0
	s_mov_b32 s0, 0
.LBB7_20:
	s_and_not1_b32 vcc_lo, exec_lo, s30
	s_cbranch_vccnz .LBB7_22
; %bb.21:
	s_cmp_eq_u32 s29, 44
	s_cselect_b32 s0, -1, 0
	s_cmp_lg_u32 s29, 44
	s_cselect_b32 s28, -1, 0
.LBB7_22:
	s_branch .LBB7_24
.LBB7_23:
	s_cmp_lt_i32 s29, 30
	s_cselect_b32 s0, -1, 0
	s_cmp_gt_i32 s29, 29
	s_cselect_b32 s28, -1, 0
.LBB7_24:
	s_branch .LBB7_29
.LBB7_25:
	s_and_b32 s24, 0xffff, s24
	s_mov_b32 s29, -1
	s_cmp_gt_i32 s24, 14
	s_cbranch_scc0 .LBB7_27
; %bb.26:
	s_cmp_eq_u32 s24, 15
	s_mov_b32 s29, 0
	s_cselect_b32 s0, -1, 0
	s_cmp_lg_u32 s24, 15
	s_cselect_b32 s28, -1, 0
.LBB7_27:
	s_and_not1_b32 vcc_lo, exec_lo, s29
	s_cbranch_vccnz .LBB7_29
; %bb.28:
	s_cmp_lt_i32 s24, 12
	s_cselect_b32 s0, -1, 0
	s_cmp_gt_i32 s24, 11
	s_cselect_b32 s28, -1, 0
.LBB7_29:
	s_and_b32 vcc_lo, exec_lo, s0
	s_cbranch_vccz .LBB7_37
; %bb.30:
	v_mov_b32_e32 v7, 0
	s_and_b32 s0, s18, 0xff
	s_delay_alu instid0(SALU_CYCLE_1) | instskip(NEXT) | instid1(VALU_DEP_1)
	s_cmp_lt_i32 s0, 11
	v_add_nc_u64_e32 v[6:7], s[4:5], v[6:7]
	s_cbranch_scc1 .LBB7_38
; %bb.31:
	s_and_b32 s28, 0xffff, s0
	s_delay_alu instid0(SALU_CYCLE_1)
	s_cmp_gt_i32 s28, 25
	s_cbranch_scc0 .LBB7_39
; %bb.32:
	s_cmp_gt_i32 s28, 28
	s_cbranch_scc0 .LBB7_40
; %bb.33:
	;; [unrolled: 3-line block ×4, first 2 shown]
	s_cmp_eq_u32 s28, 46
	s_mov_b32 s31, 0
	s_cbranch_scc0 .LBB7_43
; %bb.36:
	global_load_b32 v1, v[6:7], off
	s_mov_b32 s29, 0
	s_mov_b32 s30, -1
	s_wait_loadcnt 0x0
	v_and_b32_e32 v1, 0x7fff7fff, v1
	s_delay_alu instid0(VALU_DEP_1)
	v_cmp_ne_u32_e64 s24, 0, v1
	s_branch .LBB7_45
.LBB7_37:
	s_mov_b32 s0, 0
	s_mov_b32 s30, 0
	;; [unrolled: 1-line block ×4, first 2 shown]
                                        ; implicit-def: $vgpr0
	s_branch .LBB7_374
.LBB7_38:
	s_mov_b32 s29, 0
	s_mov_b32 s30, 0
                                        ; implicit-def: $sgpr24
	s_cbranch_execnz .LBB7_92
	s_branch .LBB7_140
.LBB7_39:
	s_mov_b32 s31, -1
	s_mov_b32 s29, 0
	s_mov_b32 s30, 0
                                        ; implicit-def: $sgpr24
	s_branch .LBB7_66
.LBB7_40:
	s_mov_b32 s31, -1
	s_mov_b32 s29, 0
	s_mov_b32 s30, 0
                                        ; implicit-def: $sgpr24
	s_branch .LBB7_53
.LBB7_41:
	s_mov_b32 s31, -1
	s_mov_b32 s29, 0
	s_mov_b32 s30, 0
                                        ; implicit-def: $sgpr24
	s_branch .LBB7_48
.LBB7_42:
	s_mov_b32 s31, -1
	s_mov_b32 s29, 0
	s_branch .LBB7_44
.LBB7_43:
	s_mov_b32 s29, -1
.LBB7_44:
	s_mov_b32 s30, 0
                                        ; implicit-def: $sgpr24
.LBB7_45:
	s_and_b32 vcc_lo, exec_lo, s31
	s_cbranch_vccz .LBB7_47
; %bb.46:
	s_cmp_eq_u32 s28, 44
	s_mov_b32 s29, -1
	s_cselect_b32 s30, -1, 0
	s_or_b32 s24, s24, exec_lo
.LBB7_47:
	s_mov_b32 s31, 0
.LBB7_48:
	s_delay_alu instid0(SALU_CYCLE_1)
	s_and_b32 vcc_lo, exec_lo, s31
	s_cbranch_vccz .LBB7_52
; %bb.49:
	s_cmp_eq_u32 s28, 29
	s_cbranch_scc0 .LBB7_51
; %bb.50:
	global_load_b64 v[8:9], v[6:7], off
	s_mov_b32 s30, -1
	s_mov_b32 s29, 0
	s_mov_b32 s31, 0
	s_wait_loadcnt 0x0
	v_cmp_ne_u64_e64 s24, 0, v[8:9]
	s_branch .LBB7_53
.LBB7_51:
	s_mov_b32 s29, -1
                                        ; implicit-def: $sgpr24
.LBB7_52:
	s_mov_b32 s31, 0
.LBB7_53:
	s_delay_alu instid0(SALU_CYCLE_1)
	s_and_b32 vcc_lo, exec_lo, s31
	s_cbranch_vccz .LBB7_65
; %bb.54:
	s_cmp_lt_i32 s28, 27
	s_cbranch_scc1 .LBB7_57
; %bb.55:
	s_cmp_gt_i32 s28, 27
	s_cbranch_scc0 .LBB7_58
; %bb.56:
	global_load_b32 v1, v[6:7], off
	s_mov_b32 s30, 0
	s_wait_loadcnt 0x0
	v_cmp_ne_u32_e64 s24, 0, v1
	s_branch .LBB7_59
.LBB7_57:
	s_mov_b32 s30, -1
                                        ; implicit-def: $sgpr24
	s_branch .LBB7_62
.LBB7_58:
	s_mov_b32 s30, -1
                                        ; implicit-def: $sgpr24
.LBB7_59:
	s_delay_alu instid0(SALU_CYCLE_1)
	s_and_not1_b32 vcc_lo, exec_lo, s30
	s_cbranch_vccnz .LBB7_61
; %bb.60:
	global_load_u16 v1, v[6:7], off
	s_and_not1_b32 s24, s24, exec_lo
	s_wait_loadcnt 0x0
	v_cmp_ne_u16_e32 vcc_lo, 0, v1
	s_and_b32 s30, vcc_lo, exec_lo
	s_delay_alu instid0(SALU_CYCLE_1)
	s_or_b32 s24, s24, s30
.LBB7_61:
	s_mov_b32 s30, 0
.LBB7_62:
	s_delay_alu instid0(SALU_CYCLE_1)
	s_and_not1_b32 vcc_lo, exec_lo, s30
	s_cbranch_vccnz .LBB7_64
; %bb.63:
	global_load_u8 v1, v[6:7], off
	s_and_not1_b32 s24, s24, exec_lo
	s_wait_loadcnt 0x0
	v_cmp_ne_u16_e32 vcc_lo, 0, v1
	s_and_b32 s30, vcc_lo, exec_lo
	s_delay_alu instid0(SALU_CYCLE_1)
	s_or_b32 s24, s24, s30
.LBB7_64:
	s_mov_b32 s30, -1
.LBB7_65:
	s_mov_b32 s31, 0
.LBB7_66:
	s_delay_alu instid0(SALU_CYCLE_1)
	s_and_b32 vcc_lo, exec_lo, s31
	s_cbranch_vccz .LBB7_91
; %bb.67:
	s_cmp_gt_i32 s28, 22
	s_cbranch_scc0 .LBB7_71
; %bb.68:
	s_cmp_lt_i32 s28, 24
	s_cbranch_scc1 .LBB7_72
; %bb.69:
	s_cmp_gt_i32 s28, 24
	s_cbranch_scc0 .LBB7_73
; %bb.70:
	global_load_u8 v1, v[6:7], off
	s_mov_b32 s30, 0
	s_wait_loadcnt 0x0
	v_cmp_ne_u16_e64 s24, 0, v1
	s_branch .LBB7_74
.LBB7_71:
	s_mov_b32 s31, -1
                                        ; implicit-def: $sgpr24
	s_branch .LBB7_80
.LBB7_72:
	s_mov_b32 s30, -1
                                        ; implicit-def: $sgpr24
	s_branch .LBB7_77
.LBB7_73:
	s_mov_b32 s30, -1
                                        ; implicit-def: $sgpr24
.LBB7_74:
	s_delay_alu instid0(SALU_CYCLE_1)
	s_and_not1_b32 vcc_lo, exec_lo, s30
	s_cbranch_vccnz .LBB7_76
; %bb.75:
	global_load_u8 v1, v[6:7], off
	s_and_not1_b32 s24, s24, exec_lo
	s_wait_loadcnt 0x0
	v_and_b32_e32 v1, 0x7f, v1
	s_delay_alu instid0(VALU_DEP_1) | instskip(SKIP_1) | instid1(SALU_CYCLE_1)
	v_cmp_ne_u16_e32 vcc_lo, 0, v1
	s_and_b32 s30, vcc_lo, exec_lo
	s_or_b32 s24, s24, s30
.LBB7_76:
	s_mov_b32 s30, 0
.LBB7_77:
	s_delay_alu instid0(SALU_CYCLE_1)
	s_and_not1_b32 vcc_lo, exec_lo, s30
	s_cbranch_vccnz .LBB7_79
; %bb.78:
	global_load_u8 v1, v[6:7], off
	s_and_not1_b32 s24, s24, exec_lo
	s_wait_loadcnt 0x0
	v_dual_lshlrev_b32 v3, 25, v1 :: v_dual_lshlrev_b32 v1, 8, v1
	s_delay_alu instid0(VALU_DEP_1) | instskip(NEXT) | instid1(VALU_DEP_2)
	v_cmp_gt_u32_e32 vcc_lo, 0x8000000, v3
	v_and_or_b32 v1, 0x7f00, v1, 0.5
	s_delay_alu instid0(VALU_DEP_1) | instskip(NEXT) | instid1(VALU_DEP_1)
	v_dual_lshrrev_b32 v5, 4, v3 :: v_dual_add_f32 v1, -0.5, v1
	v_or_b32_e32 v5, 0x70000000, v5
	s_delay_alu instid0(VALU_DEP_1) | instskip(NEXT) | instid1(VALU_DEP_1)
	v_mul_f32_e32 v5, 0x7800000, v5
	v_cndmask_b32_e32 v1, v5, v1, vcc_lo
	s_delay_alu instid0(VALU_DEP_1) | instskip(SKIP_1) | instid1(SALU_CYCLE_1)
	v_cmp_neq_f32_e32 vcc_lo, 0, v1
	s_and_b32 s30, vcc_lo, exec_lo
	s_or_b32 s24, s24, s30
.LBB7_79:
	s_mov_b32 s31, 0
	s_mov_b32 s30, -1
.LBB7_80:
	s_and_not1_b32 vcc_lo, exec_lo, s31
	s_cbranch_vccnz .LBB7_91
; %bb.81:
	s_cmp_gt_i32 s28, 14
	s_cbranch_scc0 .LBB7_84
; %bb.82:
	s_cmp_eq_u32 s28, 15
	s_cbranch_scc0 .LBB7_85
; %bb.83:
	global_load_u16 v1, v[6:7], off
	s_mov_b32 s29, 0
	s_mov_b32 s30, -1
	s_wait_loadcnt 0x0
	v_and_b32_e32 v1, 0x7fff, v1
	s_delay_alu instid0(VALU_DEP_1)
	v_cmp_ne_u16_e64 s24, 0, v1
	s_branch .LBB7_86
.LBB7_84:
	s_mov_b32 s31, -1
                                        ; implicit-def: $sgpr24
	s_branch .LBB7_87
.LBB7_85:
	s_mov_b32 s29, -1
                                        ; implicit-def: $sgpr24
.LBB7_86:
	s_mov_b32 s31, 0
.LBB7_87:
	s_delay_alu instid0(SALU_CYCLE_1)
	s_and_b32 vcc_lo, exec_lo, s31
	s_cbranch_vccz .LBB7_91
; %bb.88:
	s_cmp_eq_u32 s28, 11
	s_cbranch_scc0 .LBB7_90
; %bb.89:
	global_load_u8 v1, v[6:7], off
	s_mov_b32 s29, 0
	s_mov_b32 s30, -1
	s_wait_loadcnt 0x0
	v_cmp_ne_u16_e64 s24, 0, v1
	s_branch .LBB7_91
.LBB7_90:
	s_mov_b32 s29, -1
                                        ; implicit-def: $sgpr24
.LBB7_91:
	s_branch .LBB7_140
.LBB7_92:
	s_and_b32 s28, 0xffff, s0
	s_delay_alu instid0(SALU_CYCLE_1)
	s_cmp_lt_i32 s28, 5
	s_cbranch_scc1 .LBB7_97
; %bb.93:
	s_cmp_lt_i32 s28, 8
	s_cbranch_scc1 .LBB7_98
; %bb.94:
	;; [unrolled: 3-line block ×3, first 2 shown]
	s_cmp_gt_i32 s28, 9
	s_cbranch_scc0 .LBB7_100
; %bb.96:
	global_load_b128 v[8:11], v[6:7], off
	s_wait_loadcnt 0x0
	v_cmp_neq_f64_e32 vcc_lo, 0, v[8:9]
	v_cmp_neq_f64_e64 s0, 0, v[10:11]
	s_or_b32 s24, vcc_lo, s0
	s_mov_b32 s0, 0
	s_branch .LBB7_101
.LBB7_97:
	s_mov_b32 s0, -1
                                        ; implicit-def: $sgpr24
	s_branch .LBB7_119
.LBB7_98:
	s_mov_b32 s0, -1
                                        ; implicit-def: $sgpr24
	s_branch .LBB7_107
.LBB7_99:
	s_mov_b32 s0, -1
                                        ; implicit-def: $sgpr24
	s_branch .LBB7_104
.LBB7_100:
	s_mov_b32 s0, -1
                                        ; implicit-def: $sgpr24
.LBB7_101:
	s_delay_alu instid0(SALU_CYCLE_1)
	s_and_not1_b32 vcc_lo, exec_lo, s0
	s_cbranch_vccnz .LBB7_103
; %bb.102:
	global_load_b64 v[8:9], v[6:7], off
	s_and_not1_b32 s0, s24, exec_lo
	s_wait_loadcnt 0x0
	v_bitop3_b32 v1, v8, 0x7fffffff, v9 bitop3:0xc8
	s_delay_alu instid0(VALU_DEP_1) | instskip(SKIP_1) | instid1(SALU_CYCLE_1)
	v_cmp_ne_u32_e32 vcc_lo, 0, v1
	s_and_b32 s24, vcc_lo, exec_lo
	s_or_b32 s24, s0, s24
.LBB7_103:
	s_mov_b32 s0, 0
.LBB7_104:
	s_delay_alu instid0(SALU_CYCLE_1)
	s_and_not1_b32 vcc_lo, exec_lo, s0
	s_cbranch_vccnz .LBB7_106
; %bb.105:
	global_load_b32 v1, v[6:7], off
	s_and_not1_b32 s0, s24, exec_lo
	s_wait_loadcnt 0x0
	v_and_b32_e32 v1, 0x7fff7fff, v1
	s_delay_alu instid0(VALU_DEP_1) | instskip(SKIP_1) | instid1(SALU_CYCLE_1)
	v_cmp_ne_u32_e32 vcc_lo, 0, v1
	s_and_b32 s24, vcc_lo, exec_lo
	s_or_b32 s24, s0, s24
.LBB7_106:
	s_mov_b32 s0, 0
.LBB7_107:
	s_delay_alu instid0(SALU_CYCLE_1)
	s_and_not1_b32 vcc_lo, exec_lo, s0
	s_cbranch_vccnz .LBB7_118
; %bb.108:
	s_cmp_lt_i32 s28, 6
	s_cbranch_scc1 .LBB7_111
; %bb.109:
	s_cmp_gt_i32 s28, 6
	s_cbranch_scc0 .LBB7_112
; %bb.110:
	global_load_b64 v[8:9], v[6:7], off
	s_mov_b32 s0, 0
	s_wait_loadcnt 0x0
	v_cmp_neq_f64_e64 s24, 0, v[8:9]
	s_branch .LBB7_113
.LBB7_111:
	s_mov_b32 s0, -1
                                        ; implicit-def: $sgpr24
	s_branch .LBB7_116
.LBB7_112:
	s_mov_b32 s0, -1
                                        ; implicit-def: $sgpr24
.LBB7_113:
	s_delay_alu instid0(SALU_CYCLE_1)
	s_and_not1_b32 vcc_lo, exec_lo, s0
	s_cbranch_vccnz .LBB7_115
; %bb.114:
	global_load_b32 v1, v[6:7], off
	s_and_not1_b32 s0, s24, exec_lo
	s_wait_loadcnt 0x0
	v_cmp_neq_f32_e32 vcc_lo, 0, v1
	s_and_b32 s24, vcc_lo, exec_lo
	s_delay_alu instid0(SALU_CYCLE_1)
	s_or_b32 s24, s0, s24
.LBB7_115:
	s_mov_b32 s0, 0
.LBB7_116:
	s_delay_alu instid0(SALU_CYCLE_1)
	s_and_not1_b32 vcc_lo, exec_lo, s0
	s_cbranch_vccnz .LBB7_118
; %bb.117:
	global_load_u16 v1, v[6:7], off
	s_and_not1_b32 s0, s24, exec_lo
	s_wait_loadcnt 0x0
	v_and_b32_e32 v1, 0x7fff, v1
	s_delay_alu instid0(VALU_DEP_1) | instskip(SKIP_1) | instid1(SALU_CYCLE_1)
	v_cmp_ne_u16_e32 vcc_lo, 0, v1
	s_and_b32 s24, vcc_lo, exec_lo
	s_or_b32 s24, s0, s24
.LBB7_118:
	s_mov_b32 s0, 0
.LBB7_119:
	s_delay_alu instid0(SALU_CYCLE_1)
	s_and_not1_b32 vcc_lo, exec_lo, s0
	s_cbranch_vccnz .LBB7_139
; %bb.120:
	s_cmp_lt_i32 s28, 2
	s_cbranch_scc1 .LBB7_124
; %bb.121:
	s_cmp_lt_i32 s28, 3
	s_cbranch_scc1 .LBB7_125
; %bb.122:
	s_cmp_gt_i32 s28, 3
	s_cbranch_scc0 .LBB7_126
; %bb.123:
	global_load_b64 v[8:9], v[6:7], off
	s_mov_b32 s0, 0
	s_wait_loadcnt 0x0
	v_cmp_ne_u64_e64 s24, 0, v[8:9]
	s_branch .LBB7_127
.LBB7_124:
	s_mov_b32 s0, -1
                                        ; implicit-def: $sgpr24
	s_branch .LBB7_133
.LBB7_125:
	s_mov_b32 s0, -1
                                        ; implicit-def: $sgpr24
	s_branch .LBB7_130
.LBB7_126:
	s_mov_b32 s0, -1
                                        ; implicit-def: $sgpr24
.LBB7_127:
	s_delay_alu instid0(SALU_CYCLE_1)
	s_and_not1_b32 vcc_lo, exec_lo, s0
	s_cbranch_vccnz .LBB7_129
; %bb.128:
	global_load_b32 v1, v[6:7], off
	s_and_not1_b32 s0, s24, exec_lo
	s_wait_loadcnt 0x0
	v_cmp_ne_u32_e32 vcc_lo, 0, v1
	s_and_b32 s24, vcc_lo, exec_lo
	s_delay_alu instid0(SALU_CYCLE_1)
	s_or_b32 s24, s0, s24
.LBB7_129:
	s_mov_b32 s0, 0
.LBB7_130:
	s_delay_alu instid0(SALU_CYCLE_1)
	s_and_not1_b32 vcc_lo, exec_lo, s0
	s_cbranch_vccnz .LBB7_132
; %bb.131:
	global_load_u16 v1, v[6:7], off
	s_and_not1_b32 s0, s24, exec_lo
	s_wait_loadcnt 0x0
	v_cmp_ne_u16_e32 vcc_lo, 0, v1
	s_and_b32 s24, vcc_lo, exec_lo
	s_delay_alu instid0(SALU_CYCLE_1)
	s_or_b32 s24, s0, s24
.LBB7_132:
	s_mov_b32 s0, 0
.LBB7_133:
	s_delay_alu instid0(SALU_CYCLE_1)
	s_and_not1_b32 vcc_lo, exec_lo, s0
	s_cbranch_vccnz .LBB7_139
; %bb.134:
	s_cmp_gt_i32 s28, 0
	s_mov_b32 s0, 0
	s_cbranch_scc0 .LBB7_136
; %bb.135:
	global_load_u8 v1, v[6:7], off
	s_wait_loadcnt 0x0
	v_cmp_ne_u16_e64 s24, 0, v1
	s_branch .LBB7_137
.LBB7_136:
	s_mov_b32 s0, -1
                                        ; implicit-def: $sgpr24
.LBB7_137:
	s_delay_alu instid0(SALU_CYCLE_1)
	s_and_not1_b32 vcc_lo, exec_lo, s0
	s_cbranch_vccnz .LBB7_139
; %bb.138:
	global_load_u8 v1, v[6:7], off
	s_and_not1_b32 s0, s24, exec_lo
	s_wait_loadcnt 0x0
	v_cmp_ne_u16_e32 vcc_lo, 0, v1
	s_and_b32 s24, vcc_lo, exec_lo
	s_delay_alu instid0(SALU_CYCLE_1)
	s_or_b32 s24, s0, s24
.LBB7_139:
	s_mov_b32 s30, -1
.LBB7_140:
	s_mov_b32 s28, 0
	s_mov_b32 s0, 0
	s_and_not1_b32 vcc_lo, exec_lo, s30
	s_mov_b32 s30, 0
	s_mov_b32 s47, 0
	s_cbranch_vccnz .LBB7_374
; %bb.141:
	v_mov_b32_e32 v5, 0
	s_and_b32 s0, s1, 0xff
	s_delay_alu instid0(SALU_CYCLE_1) | instskip(NEXT) | instid1(VALU_DEP_1)
	s_cmp_lt_i32 s0, 11
	v_add_nc_u64_e32 v[4:5], s[6:7], v[4:5]
	s_cbranch_scc1 .LBB7_148
; %bb.142:
	s_and_b32 s29, 0xffff, s0
	s_delay_alu instid0(SALU_CYCLE_1)
	s_cmp_gt_i32 s29, 25
	s_cbranch_scc0 .LBB7_149
; %bb.143:
	s_cmp_gt_i32 s29, 28
	s_cbranch_scc0 .LBB7_150
; %bb.144:
	;; [unrolled: 3-line block ×4, first 2 shown]
	s_cmp_eq_u32 s29, 46
	s_mov_b32 s44, 0
	s_cbranch_scc0 .LBB7_153
; %bb.147:
	global_load_b32 v1, v[4:5], off
	s_mov_b32 s43, -1
	s_wait_loadcnt 0x0
	v_and_b32_e32 v1, 0x7fff7fff, v1
	s_delay_alu instid0(VALU_DEP_1)
	v_cmp_ne_u32_e64 s31, 0, v1
	s_branch .LBB7_155
.LBB7_148:
	s_mov_b32 s29, -1
	s_mov_b32 s43, 0
                                        ; implicit-def: $sgpr31
	s_branch .LBB7_202
.LBB7_149:
	s_mov_b32 s44, -1
	s_mov_b32 s43, 0
                                        ; implicit-def: $sgpr31
	s_branch .LBB7_176
.LBB7_150:
	s_mov_b32 s44, -1
	s_mov_b32 s43, 0
                                        ; implicit-def: $sgpr31
	s_branch .LBB7_163
.LBB7_151:
	s_mov_b32 s44, -1
	s_mov_b32 s43, 0
                                        ; implicit-def: $sgpr31
	s_branch .LBB7_158
.LBB7_152:
	s_mov_b32 s44, -1
	s_branch .LBB7_154
.LBB7_153:
	s_mov_b32 s30, -1
.LBB7_154:
	s_mov_b32 s43, 0
                                        ; implicit-def: $sgpr31
.LBB7_155:
	s_and_b32 vcc_lo, exec_lo, s44
	s_cbranch_vccz .LBB7_157
; %bb.156:
	s_cmp_eq_u32 s29, 44
	s_mov_b32 s30, -1
	s_cselect_b32 s43, -1, 0
	s_or_b32 s31, s31, exec_lo
.LBB7_157:
	s_mov_b32 s44, 0
.LBB7_158:
	s_delay_alu instid0(SALU_CYCLE_1)
	s_and_b32 vcc_lo, exec_lo, s44
	s_cbranch_vccz .LBB7_162
; %bb.159:
	s_cmp_eq_u32 s29, 29
	s_cbranch_scc0 .LBB7_161
; %bb.160:
	global_load_b64 v[6:7], v[4:5], off
	s_mov_b32 s43, -1
	s_mov_b32 s30, 0
	s_mov_b32 s44, 0
	s_wait_loadcnt 0x0
	v_cmp_ne_u64_e64 s31, 0, v[6:7]
	s_branch .LBB7_163
.LBB7_161:
	s_mov_b32 s30, -1
                                        ; implicit-def: $sgpr31
.LBB7_162:
	s_mov_b32 s44, 0
.LBB7_163:
	s_delay_alu instid0(SALU_CYCLE_1)
	s_and_b32 vcc_lo, exec_lo, s44
	s_cbranch_vccz .LBB7_175
; %bb.164:
	s_cmp_lt_i32 s29, 27
	s_cbranch_scc1 .LBB7_167
; %bb.165:
	s_cmp_gt_i32 s29, 27
	s_cbranch_scc0 .LBB7_168
; %bb.166:
	global_load_b32 v1, v[4:5], off
	s_mov_b32 s43, 0
	s_wait_loadcnt 0x0
	v_cmp_ne_u32_e64 s31, 0, v1
	s_branch .LBB7_169
.LBB7_167:
	s_mov_b32 s43, -1
                                        ; implicit-def: $sgpr31
	s_branch .LBB7_172
.LBB7_168:
	s_mov_b32 s43, -1
                                        ; implicit-def: $sgpr31
.LBB7_169:
	s_delay_alu instid0(SALU_CYCLE_1)
	s_and_not1_b32 vcc_lo, exec_lo, s43
	s_cbranch_vccnz .LBB7_171
; %bb.170:
	global_load_u16 v1, v[4:5], off
	s_and_not1_b32 s31, s31, exec_lo
	s_wait_loadcnt 0x0
	v_cmp_ne_u16_e32 vcc_lo, 0, v1
	s_and_b32 s43, vcc_lo, exec_lo
	s_delay_alu instid0(SALU_CYCLE_1)
	s_or_b32 s31, s31, s43
.LBB7_171:
	s_mov_b32 s43, 0
.LBB7_172:
	s_delay_alu instid0(SALU_CYCLE_1)
	s_and_not1_b32 vcc_lo, exec_lo, s43
	s_cbranch_vccnz .LBB7_174
; %bb.173:
	global_load_u8 v1, v[4:5], off
	s_and_not1_b32 s31, s31, exec_lo
	s_wait_loadcnt 0x0
	v_cmp_ne_u16_e32 vcc_lo, 0, v1
	s_and_b32 s43, vcc_lo, exec_lo
	s_delay_alu instid0(SALU_CYCLE_1)
	s_or_b32 s31, s31, s43
.LBB7_174:
	s_mov_b32 s43, -1
.LBB7_175:
	s_mov_b32 s44, 0
.LBB7_176:
	s_delay_alu instid0(SALU_CYCLE_1)
	s_and_b32 vcc_lo, exec_lo, s44
	s_cbranch_vccz .LBB7_201
; %bb.177:
	s_cmp_gt_i32 s29, 22
	s_cbranch_scc0 .LBB7_181
; %bb.178:
	s_cmp_lt_i32 s29, 24
	s_cbranch_scc1 .LBB7_182
; %bb.179:
	s_cmp_gt_i32 s29, 24
	s_cbranch_scc0 .LBB7_183
; %bb.180:
	global_load_u8 v1, v[4:5], off
	s_mov_b32 s43, 0
	s_wait_loadcnt 0x0
	v_cmp_ne_u16_e64 s31, 0, v1
	s_branch .LBB7_184
.LBB7_181:
	s_mov_b32 s44, -1
                                        ; implicit-def: $sgpr31
	s_branch .LBB7_190
.LBB7_182:
	s_mov_b32 s43, -1
                                        ; implicit-def: $sgpr31
	s_branch .LBB7_187
.LBB7_183:
	s_mov_b32 s43, -1
                                        ; implicit-def: $sgpr31
.LBB7_184:
	s_delay_alu instid0(SALU_CYCLE_1)
	s_and_not1_b32 vcc_lo, exec_lo, s43
	s_cbranch_vccnz .LBB7_186
; %bb.185:
	global_load_u8 v1, v[4:5], off
	s_and_not1_b32 s31, s31, exec_lo
	s_wait_loadcnt 0x0
	v_and_b32_e32 v1, 0x7f, v1
	s_delay_alu instid0(VALU_DEP_1) | instskip(SKIP_1) | instid1(SALU_CYCLE_1)
	v_cmp_ne_u16_e32 vcc_lo, 0, v1
	s_and_b32 s43, vcc_lo, exec_lo
	s_or_b32 s31, s31, s43
.LBB7_186:
	s_mov_b32 s43, 0
.LBB7_187:
	s_delay_alu instid0(SALU_CYCLE_1)
	s_and_not1_b32 vcc_lo, exec_lo, s43
	s_cbranch_vccnz .LBB7_189
; %bb.188:
	global_load_u8 v1, v[4:5], off
	s_and_not1_b32 s31, s31, exec_lo
	s_wait_loadcnt 0x0
	v_dual_lshlrev_b32 v3, 25, v1 :: v_dual_lshlrev_b32 v1, 8, v1
	s_delay_alu instid0(VALU_DEP_1) | instskip(NEXT) | instid1(VALU_DEP_2)
	v_cmp_gt_u32_e32 vcc_lo, 0x8000000, v3
	v_and_or_b32 v1, 0x7f00, v1, 0.5
	s_delay_alu instid0(VALU_DEP_1) | instskip(NEXT) | instid1(VALU_DEP_1)
	v_dual_add_f32 v1, -0.5, v1 :: v_dual_lshrrev_b32 v6, 4, v3
	v_or_b32_e32 v6, 0x70000000, v6
	s_delay_alu instid0(VALU_DEP_1) | instskip(NEXT) | instid1(VALU_DEP_1)
	v_mul_f32_e32 v6, 0x7800000, v6
	v_cndmask_b32_e32 v1, v6, v1, vcc_lo
	s_delay_alu instid0(VALU_DEP_1) | instskip(SKIP_1) | instid1(SALU_CYCLE_1)
	v_cmp_neq_f32_e32 vcc_lo, 0, v1
	s_and_b32 s43, vcc_lo, exec_lo
	s_or_b32 s31, s31, s43
.LBB7_189:
	s_mov_b32 s44, 0
	s_mov_b32 s43, -1
.LBB7_190:
	s_and_not1_b32 vcc_lo, exec_lo, s44
	s_cbranch_vccnz .LBB7_201
; %bb.191:
	s_cmp_gt_i32 s29, 14
	s_cbranch_scc0 .LBB7_194
; %bb.192:
	s_cmp_eq_u32 s29, 15
	s_cbranch_scc0 .LBB7_195
; %bb.193:
	global_load_u16 v1, v[4:5], off
	s_mov_b32 s30, 0
	s_mov_b32 s43, -1
	s_wait_loadcnt 0x0
	v_and_b32_e32 v1, 0x7fff, v1
	s_delay_alu instid0(VALU_DEP_1)
	v_cmp_ne_u16_e64 s31, 0, v1
	s_branch .LBB7_196
.LBB7_194:
	s_mov_b32 s44, -1
                                        ; implicit-def: $sgpr31
	s_branch .LBB7_197
.LBB7_195:
	s_mov_b32 s30, -1
                                        ; implicit-def: $sgpr31
.LBB7_196:
	s_mov_b32 s44, 0
.LBB7_197:
	s_delay_alu instid0(SALU_CYCLE_1)
	s_and_b32 vcc_lo, exec_lo, s44
	s_cbranch_vccz .LBB7_201
; %bb.198:
	s_cmp_eq_u32 s29, 11
	s_cbranch_scc0 .LBB7_200
; %bb.199:
	global_load_u8 v1, v[4:5], off
	s_mov_b32 s30, 0
	s_mov_b32 s43, -1
	s_wait_loadcnt 0x0
	v_cmp_ne_u16_e64 s31, 0, v1
	s_branch .LBB7_201
.LBB7_200:
	s_mov_b32 s30, -1
                                        ; implicit-def: $sgpr31
.LBB7_201:
	s_mov_b32 s29, 0
.LBB7_202:
	s_delay_alu instid0(SALU_CYCLE_1)
	s_and_b32 vcc_lo, exec_lo, s29
	s_cbranch_vccz .LBB7_251
; %bb.203:
	s_and_b32 s29, 0xffff, s0
	s_delay_alu instid0(SALU_CYCLE_1)
	s_cmp_lt_i32 s29, 5
	s_cbranch_scc1 .LBB7_208
; %bb.204:
	s_cmp_lt_i32 s29, 8
	s_cbranch_scc1 .LBB7_209
; %bb.205:
	;; [unrolled: 3-line block ×3, first 2 shown]
	s_cmp_gt_i32 s29, 9
	s_cbranch_scc0 .LBB7_211
; %bb.207:
	global_load_b128 v[6:9], v[4:5], off
	s_wait_loadcnt 0x0
	v_cmp_neq_f64_e32 vcc_lo, 0, v[6:7]
	v_cmp_neq_f64_e64 s0, 0, v[8:9]
	s_or_b32 s31, vcc_lo, s0
	s_mov_b32 s0, 0
	s_branch .LBB7_212
.LBB7_208:
	s_mov_b32 s0, -1
                                        ; implicit-def: $sgpr31
	s_branch .LBB7_230
.LBB7_209:
	s_mov_b32 s0, -1
                                        ; implicit-def: $sgpr31
	s_branch .LBB7_218
.LBB7_210:
	s_mov_b32 s0, -1
                                        ; implicit-def: $sgpr31
	s_branch .LBB7_215
.LBB7_211:
	s_mov_b32 s0, -1
                                        ; implicit-def: $sgpr31
.LBB7_212:
	s_delay_alu instid0(SALU_CYCLE_1)
	s_and_not1_b32 vcc_lo, exec_lo, s0
	s_cbranch_vccnz .LBB7_214
; %bb.213:
	global_load_b64 v[6:7], v[4:5], off
	s_and_not1_b32 s0, s31, exec_lo
	s_wait_loadcnt 0x0
	v_bitop3_b32 v1, v6, 0x7fffffff, v7 bitop3:0xc8
	s_delay_alu instid0(VALU_DEP_1) | instskip(SKIP_1) | instid1(SALU_CYCLE_1)
	v_cmp_ne_u32_e32 vcc_lo, 0, v1
	s_and_b32 s31, vcc_lo, exec_lo
	s_or_b32 s31, s0, s31
.LBB7_214:
	s_mov_b32 s0, 0
.LBB7_215:
	s_delay_alu instid0(SALU_CYCLE_1)
	s_and_not1_b32 vcc_lo, exec_lo, s0
	s_cbranch_vccnz .LBB7_217
; %bb.216:
	global_load_b32 v1, v[4:5], off
	s_and_not1_b32 s0, s31, exec_lo
	s_wait_loadcnt 0x0
	v_and_b32_e32 v1, 0x7fff7fff, v1
	s_delay_alu instid0(VALU_DEP_1) | instskip(SKIP_1) | instid1(SALU_CYCLE_1)
	v_cmp_ne_u32_e32 vcc_lo, 0, v1
	s_and_b32 s31, vcc_lo, exec_lo
	s_or_b32 s31, s0, s31
.LBB7_217:
	s_mov_b32 s0, 0
.LBB7_218:
	s_delay_alu instid0(SALU_CYCLE_1)
	s_and_not1_b32 vcc_lo, exec_lo, s0
	s_cbranch_vccnz .LBB7_229
; %bb.219:
	s_cmp_lt_i32 s29, 6
	s_cbranch_scc1 .LBB7_222
; %bb.220:
	s_cmp_gt_i32 s29, 6
	s_cbranch_scc0 .LBB7_223
; %bb.221:
	global_load_b64 v[6:7], v[4:5], off
	s_mov_b32 s0, 0
	s_wait_loadcnt 0x0
	v_cmp_neq_f64_e64 s31, 0, v[6:7]
	s_branch .LBB7_224
.LBB7_222:
	s_mov_b32 s0, -1
                                        ; implicit-def: $sgpr31
	s_branch .LBB7_227
.LBB7_223:
	s_mov_b32 s0, -1
                                        ; implicit-def: $sgpr31
.LBB7_224:
	s_delay_alu instid0(SALU_CYCLE_1)
	s_and_not1_b32 vcc_lo, exec_lo, s0
	s_cbranch_vccnz .LBB7_226
; %bb.225:
	global_load_b32 v1, v[4:5], off
	s_and_not1_b32 s0, s31, exec_lo
	s_wait_loadcnt 0x0
	v_cmp_neq_f32_e32 vcc_lo, 0, v1
	s_and_b32 s31, vcc_lo, exec_lo
	s_delay_alu instid0(SALU_CYCLE_1)
	s_or_b32 s31, s0, s31
.LBB7_226:
	s_mov_b32 s0, 0
.LBB7_227:
	s_delay_alu instid0(SALU_CYCLE_1)
	s_and_not1_b32 vcc_lo, exec_lo, s0
	s_cbranch_vccnz .LBB7_229
; %bb.228:
	global_load_u16 v1, v[4:5], off
	s_and_not1_b32 s0, s31, exec_lo
	s_wait_loadcnt 0x0
	v_and_b32_e32 v1, 0x7fff, v1
	s_delay_alu instid0(VALU_DEP_1) | instskip(SKIP_1) | instid1(SALU_CYCLE_1)
	v_cmp_ne_u16_e32 vcc_lo, 0, v1
	s_and_b32 s31, vcc_lo, exec_lo
	s_or_b32 s31, s0, s31
.LBB7_229:
	s_mov_b32 s0, 0
.LBB7_230:
	s_delay_alu instid0(SALU_CYCLE_1)
	s_and_not1_b32 vcc_lo, exec_lo, s0
	s_cbranch_vccnz .LBB7_250
; %bb.231:
	s_cmp_lt_i32 s29, 2
	s_cbranch_scc1 .LBB7_235
; %bb.232:
	s_cmp_lt_i32 s29, 3
	s_cbranch_scc1 .LBB7_236
; %bb.233:
	s_cmp_gt_i32 s29, 3
	s_cbranch_scc0 .LBB7_237
; %bb.234:
	global_load_b64 v[6:7], v[4:5], off
	s_mov_b32 s0, 0
	s_wait_loadcnt 0x0
	v_cmp_ne_u64_e64 s31, 0, v[6:7]
	s_branch .LBB7_238
.LBB7_235:
	s_mov_b32 s0, -1
                                        ; implicit-def: $sgpr31
	s_branch .LBB7_244
.LBB7_236:
	s_mov_b32 s0, -1
                                        ; implicit-def: $sgpr31
	s_branch .LBB7_241
.LBB7_237:
	s_mov_b32 s0, -1
                                        ; implicit-def: $sgpr31
.LBB7_238:
	s_delay_alu instid0(SALU_CYCLE_1)
	s_and_not1_b32 vcc_lo, exec_lo, s0
	s_cbranch_vccnz .LBB7_240
; %bb.239:
	global_load_b32 v1, v[4:5], off
	s_and_not1_b32 s0, s31, exec_lo
	s_wait_loadcnt 0x0
	v_cmp_ne_u32_e32 vcc_lo, 0, v1
	s_and_b32 s31, vcc_lo, exec_lo
	s_delay_alu instid0(SALU_CYCLE_1)
	s_or_b32 s31, s0, s31
.LBB7_240:
	s_mov_b32 s0, 0
.LBB7_241:
	s_delay_alu instid0(SALU_CYCLE_1)
	s_and_not1_b32 vcc_lo, exec_lo, s0
	s_cbranch_vccnz .LBB7_243
; %bb.242:
	global_load_u16 v1, v[4:5], off
	s_and_not1_b32 s0, s31, exec_lo
	s_wait_loadcnt 0x0
	v_cmp_ne_u16_e32 vcc_lo, 0, v1
	s_and_b32 s31, vcc_lo, exec_lo
	s_delay_alu instid0(SALU_CYCLE_1)
	s_or_b32 s31, s0, s31
.LBB7_243:
	s_mov_b32 s0, 0
.LBB7_244:
	s_delay_alu instid0(SALU_CYCLE_1)
	s_and_not1_b32 vcc_lo, exec_lo, s0
	s_cbranch_vccnz .LBB7_250
; %bb.245:
	s_cmp_gt_i32 s29, 0
	s_mov_b32 s0, 0
	s_cbranch_scc0 .LBB7_247
; %bb.246:
	global_load_u8 v1, v[4:5], off
	s_wait_loadcnt 0x0
	v_cmp_ne_u16_e64 s31, 0, v1
	s_branch .LBB7_248
.LBB7_247:
	s_mov_b32 s0, -1
                                        ; implicit-def: $sgpr31
.LBB7_248:
	s_delay_alu instid0(SALU_CYCLE_1)
	s_and_not1_b32 vcc_lo, exec_lo, s0
	s_cbranch_vccnz .LBB7_250
; %bb.249:
	global_load_u8 v1, v[4:5], off
	s_and_not1_b32 s0, s31, exec_lo
	s_wait_loadcnt 0x0
	v_cmp_ne_u16_e32 vcc_lo, 0, v1
	s_and_b32 s29, vcc_lo, exec_lo
	s_delay_alu instid0(SALU_CYCLE_1)
	s_or_b32 s31, s0, s29
.LBB7_250:
	s_mov_b32 s43, -1
.LBB7_251:
	s_mov_b32 s29, 0
	s_and_not1_b32 vcc_lo, exec_lo, s43
	s_mov_b32 s0, 0
	s_cbranch_vccnz .LBB7_374
; %bb.252:
	v_mov_b32_e32 v3, 0
	s_delay_alu instid0(VALU_DEP_2)
	s_and_b32 s0, s24, s31
	s_and_b32 s30, s9, 0xff
	s_and_b32 s24, s0, s19
	s_cmp_lt_i32 s30, 11
	v_add_nc_u64_e32 v[2:3], s[16:17], v[2:3]
	s_cbranch_scc1 .LBB7_259
; %bb.253:
	s_and_b32 s31, 0xffff, s30
	s_delay_alu instid0(SALU_CYCLE_1)
	s_cmp_gt_i32 s31, 25
	s_cbranch_scc0 .LBB7_260
; %bb.254:
	s_cmp_gt_i32 s31, 28
	s_cbranch_scc0 .LBB7_261
; %bb.255:
	;; [unrolled: 3-line block ×4, first 2 shown]
	s_mov_b32 s44, 0
	s_mov_b32 s0, -1
	s_cmp_eq_u32 s31, 46
	s_mov_b32 s43, 0
	s_cbranch_scc0 .LBB7_264
; %bb.258:
	v_cndmask_b32_e64 v1, 0, 1.0, s24
	s_mov_b32 s43, -1
	s_mov_b32 s0, 0
	s_delay_alu instid0(VALU_DEP_1) | instskip(NEXT) | instid1(VALU_DEP_1)
	v_bfe_u32 v4, v1, 16, 1
	v_add3_u32 v1, v1, v4, 0x7fff
	s_delay_alu instid0(VALU_DEP_1)
	v_lshrrev_b32_e32 v1, 16, v1
	global_store_b32 v[2:3], v1, off
	s_branch .LBB7_264
.LBB7_259:
	s_mov_b32 s31, -1
	s_mov_b32 s0, 0
	s_mov_b32 s43, 0
	s_branch .LBB7_333
.LBB7_260:
	s_mov_b32 s44, -1
	s_mov_b32 s0, 0
	s_mov_b32 s43, 0
	s_branch .LBB7_291
.LBB7_261:
	s_mov_b32 s44, -1
	s_mov_b32 s0, 0
	s_mov_b32 s43, 0
	s_branch .LBB7_274
.LBB7_262:
	s_mov_b32 s44, -1
	s_mov_b32 s0, 0
	s_mov_b32 s43, 0
	s_branch .LBB7_270
.LBB7_263:
	s_mov_b32 s44, -1
	s_mov_b32 s0, 0
	s_mov_b32 s43, 0
.LBB7_264:
	s_and_b32 vcc_lo, exec_lo, s44
	s_cbranch_vccz .LBB7_269
; %bb.265:
	s_cmp_eq_u32 s31, 44
	s_mov_b32 s0, -1
	s_cbranch_scc0 .LBB7_269
; %bb.266:
	v_cndmask_b32_e64 v5, 0, 1.0, s24
	s_mov_b32 s43, exec_lo
	s_wait_xcnt 0x0
	s_delay_alu instid0(VALU_DEP_1) | instskip(NEXT) | instid1(VALU_DEP_1)
	v_dual_mov_b32 v4, 0xff :: v_dual_lshrrev_b32 v1, 23, v5
	v_cmpx_ne_u32_e32 0xff, v1
; %bb.267:
	v_and_b32_e32 v4, 0x400000, v5
	v_and_or_b32 v5, 0x3fffff, v5, v1
	s_delay_alu instid0(VALU_DEP_2) | instskip(NEXT) | instid1(VALU_DEP_2)
	v_cmp_ne_u32_e32 vcc_lo, 0, v4
	v_cmp_ne_u32_e64 s0, 0, v5
	s_and_b32 s0, vcc_lo, s0
	s_delay_alu instid0(SALU_CYCLE_1) | instskip(NEXT) | instid1(VALU_DEP_1)
	v_cndmask_b32_e64 v4, 0, 1, s0
	v_add_nc_u32_e32 v4, v1, v4
; %bb.268:
	s_or_b32 exec_lo, exec_lo, s43
	s_mov_b32 s43, -1
	s_mov_b32 s0, 0
	global_store_b8 v[2:3], v4, off
.LBB7_269:
	s_mov_b32 s44, 0
.LBB7_270:
	s_delay_alu instid0(SALU_CYCLE_1)
	s_and_b32 vcc_lo, exec_lo, s44
	s_cbranch_vccz .LBB7_273
; %bb.271:
	s_cmp_eq_u32 s31, 29
	s_mov_b32 s0, -1
	s_cbranch_scc0 .LBB7_273
; %bb.272:
	s_mov_b32 s0, 0
	s_wait_xcnt 0x0
	v_cndmask_b32_e64 v4, 0, 1, s24
	v_mov_b32_e32 v5, s0
	s_mov_b32 s43, -1
	s_mov_b32 s44, 0
	global_store_b64 v[2:3], v[4:5], off
	s_branch .LBB7_274
.LBB7_273:
	s_mov_b32 s44, 0
.LBB7_274:
	s_delay_alu instid0(SALU_CYCLE_1)
	s_and_b32 vcc_lo, exec_lo, s44
	s_cbranch_vccz .LBB7_290
; %bb.275:
	s_cmp_lt_i32 s31, 27
	s_mov_b32 s43, -1
	s_cbranch_scc1 .LBB7_281
; %bb.276:
	s_cmp_gt_i32 s31, 27
	s_cbranch_scc0 .LBB7_278
; %bb.277:
	s_wait_xcnt 0x0
	v_cndmask_b32_e64 v1, 0, 1, s24
	s_mov_b32 s43, 0
	global_store_b32 v[2:3], v1, off
.LBB7_278:
	s_and_not1_b32 vcc_lo, exec_lo, s43
	s_cbranch_vccnz .LBB7_280
; %bb.279:
	s_wait_xcnt 0x0
	v_cndmask_b32_e64 v1, 0, 1, s24
	global_store_b16 v[2:3], v1, off
.LBB7_280:
	s_mov_b32 s43, 0
.LBB7_281:
	s_delay_alu instid0(SALU_CYCLE_1)
	s_and_not1_b32 vcc_lo, exec_lo, s43
	s_cbranch_vccnz .LBB7_289
; %bb.282:
	s_wait_xcnt 0x0
	v_cndmask_b32_e64 v4, 0, 1.0, s24
	v_mov_b32_e32 v5, 0x80
	s_mov_b32 s43, exec_lo
	s_delay_alu instid0(VALU_DEP_2)
	v_cmpx_gt_u32_e32 0x43800000, v4
	s_cbranch_execz .LBB7_288
; %bb.283:
	s_mov_b32 s44, 0
	s_mov_b32 s45, exec_lo
                                        ; implicit-def: $vgpr1
	v_cmpx_lt_u32_e32 0x3bffffff, v4
	s_xor_b32 s45, exec_lo, s45
	s_cbranch_execnz .LBB7_530
; %bb.284:
	s_and_not1_saveexec_b32 s45, s45
	s_cbranch_execnz .LBB7_531
.LBB7_285:
	s_or_b32 exec_lo, exec_lo, s45
	v_mov_b32_e32 v5, 0
	s_and_saveexec_b32 s45, s44
.LBB7_286:
	v_mov_b32_e32 v5, v1
.LBB7_287:
	s_or_b32 exec_lo, exec_lo, s45
.LBB7_288:
	s_delay_alu instid0(SALU_CYCLE_1)
	s_or_b32 exec_lo, exec_lo, s43
	global_store_b8 v[2:3], v5, off
.LBB7_289:
	s_mov_b32 s43, -1
.LBB7_290:
	s_mov_b32 s44, 0
.LBB7_291:
	s_delay_alu instid0(SALU_CYCLE_1)
	s_and_b32 vcc_lo, exec_lo, s44
	s_cbranch_vccz .LBB7_332
; %bb.292:
	s_cmp_gt_i32 s31, 22
	s_mov_b32 s44, -1
	s_cbranch_scc0 .LBB7_324
; %bb.293:
	s_cmp_lt_i32 s31, 24
	s_mov_b32 s43, -1
	s_cbranch_scc1 .LBB7_313
; %bb.294:
	s_cmp_gt_i32 s31, 24
	s_cbranch_scc0 .LBB7_302
; %bb.295:
	s_wait_xcnt 0x0
	v_cndmask_b32_e64 v4, 0, 1.0, s24
	v_mov_b32_e32 v5, 0x80
	s_mov_b32 s43, exec_lo
	s_delay_alu instid0(VALU_DEP_2)
	v_cmpx_gt_u32_e32 0x47800000, v4
	s_cbranch_execz .LBB7_301
; %bb.296:
	s_mov_b32 s44, 0
	s_mov_b32 s45, exec_lo
                                        ; implicit-def: $vgpr1
	v_cmpx_lt_u32_e32 0x37ffffff, v4
	s_xor_b32 s45, exec_lo, s45
	s_cbranch_execnz .LBB7_911
; %bb.297:
	s_and_not1_saveexec_b32 s45, s45
	s_cbranch_execnz .LBB7_912
.LBB7_298:
	s_or_b32 exec_lo, exec_lo, s45
	v_mov_b32_e32 v5, 0
	s_and_saveexec_b32 s45, s44
.LBB7_299:
	v_mov_b32_e32 v5, v1
.LBB7_300:
	s_or_b32 exec_lo, exec_lo, s45
.LBB7_301:
	s_delay_alu instid0(SALU_CYCLE_1)
	s_or_b32 exec_lo, exec_lo, s43
	s_mov_b32 s43, 0
	global_store_b8 v[2:3], v5, off
.LBB7_302:
	s_and_b32 vcc_lo, exec_lo, s43
	s_cbranch_vccz .LBB7_312
; %bb.303:
	s_wait_xcnt 0x0
	v_cndmask_b32_e64 v4, 0, 1.0, s24
	s_mov_b32 s43, exec_lo
                                        ; implicit-def: $vgpr1
	s_delay_alu instid0(VALU_DEP_1)
	v_cmpx_gt_u32_e32 0x43f00000, v4
	s_xor_b32 s43, exec_lo, s43
	s_cbranch_execz .LBB7_309
; %bb.304:
	s_mov_b32 s44, exec_lo
                                        ; implicit-def: $vgpr1
	v_cmpx_lt_u32_e32 0x3c7fffff, v4
	s_xor_b32 s44, exec_lo, s44
; %bb.305:
	v_bfe_u32 v1, v4, 20, 1
	s_delay_alu instid0(VALU_DEP_1) | instskip(NEXT) | instid1(VALU_DEP_1)
	v_add3_u32 v1, v4, v1, 0x407ffff
	v_and_b32_e32 v4, 0xff00000, v1
	v_lshrrev_b32_e32 v1, 20, v1
	s_delay_alu instid0(VALU_DEP_2) | instskip(NEXT) | instid1(VALU_DEP_2)
	v_cmp_ne_u32_e32 vcc_lo, 0x7f00000, v4
                                        ; implicit-def: $vgpr4
	v_cndmask_b32_e32 v1, 0x7e, v1, vcc_lo
; %bb.306:
	s_and_not1_saveexec_b32 s44, s44
; %bb.307:
	v_add_f32_e32 v1, 0x46800000, v4
; %bb.308:
	s_or_b32 exec_lo, exec_lo, s44
                                        ; implicit-def: $vgpr4
.LBB7_309:
	s_and_not1_saveexec_b32 s43, s43
; %bb.310:
	v_mov_b32_e32 v1, 0x7f
	v_cmp_lt_u32_e32 vcc_lo, 0x7f800000, v4
	s_delay_alu instid0(VALU_DEP_2)
	v_cndmask_b32_e32 v1, 0x7e, v1, vcc_lo
; %bb.311:
	s_or_b32 exec_lo, exec_lo, s43
	global_store_b8 v[2:3], v1, off
.LBB7_312:
	s_mov_b32 s43, 0
.LBB7_313:
	s_delay_alu instid0(SALU_CYCLE_1)
	s_and_not1_b32 vcc_lo, exec_lo, s43
	s_cbranch_vccnz .LBB7_323
; %bb.314:
	s_wait_xcnt 0x0
	v_cndmask_b32_e64 v4, 0, 1.0, s24
	s_mov_b32 s43, exec_lo
                                        ; implicit-def: $vgpr1
	s_delay_alu instid0(VALU_DEP_1)
	v_cmpx_gt_u32_e32 0x47800000, v4
	s_xor_b32 s43, exec_lo, s43
	s_cbranch_execz .LBB7_320
; %bb.315:
	s_mov_b32 s44, exec_lo
                                        ; implicit-def: $vgpr1
	v_cmpx_lt_u32_e32 0x387fffff, v4
	s_xor_b32 s44, exec_lo, s44
; %bb.316:
	v_bfe_u32 v1, v4, 21, 1
	s_delay_alu instid0(VALU_DEP_1) | instskip(NEXT) | instid1(VALU_DEP_1)
	v_add3_u32 v1, v4, v1, 0x80fffff
                                        ; implicit-def: $vgpr4
	v_lshrrev_b32_e32 v1, 21, v1
; %bb.317:
	s_and_not1_saveexec_b32 s44, s44
; %bb.318:
	v_add_f32_e32 v1, 0x43000000, v4
; %bb.319:
	s_or_b32 exec_lo, exec_lo, s44
                                        ; implicit-def: $vgpr4
.LBB7_320:
	s_and_not1_saveexec_b32 s43, s43
; %bb.321:
	v_mov_b32_e32 v1, 0x7f
	v_cmp_lt_u32_e32 vcc_lo, 0x7f800000, v4
	s_delay_alu instid0(VALU_DEP_2)
	v_cndmask_b32_e32 v1, 0x7c, v1, vcc_lo
; %bb.322:
	s_or_b32 exec_lo, exec_lo, s43
	global_store_b8 v[2:3], v1, off
.LBB7_323:
	s_mov_b32 s44, 0
	s_mov_b32 s43, -1
.LBB7_324:
	s_and_not1_b32 vcc_lo, exec_lo, s44
	s_cbranch_vccnz .LBB7_332
; %bb.325:
	s_cmp_gt_i32 s31, 14
	s_mov_b32 s44, -1
	s_cbranch_scc0 .LBB7_329
; %bb.326:
	s_cmp_eq_u32 s31, 15
	s_mov_b32 s0, -1
	s_cbranch_scc0 .LBB7_328
; %bb.327:
	s_wait_xcnt 0x0
	v_cndmask_b32_e64 v1, 0, 1.0, s24
	s_mov_b32 s43, -1
	s_mov_b32 s0, 0
	s_delay_alu instid0(VALU_DEP_1) | instskip(NEXT) | instid1(VALU_DEP_1)
	v_bfe_u32 v4, v1, 16, 1
	v_add3_u32 v1, v1, v4, 0x7fff
	global_store_d16_hi_b16 v[2:3], v1, off
.LBB7_328:
	s_mov_b32 s44, 0
.LBB7_329:
	s_delay_alu instid0(SALU_CYCLE_1)
	s_and_b32 vcc_lo, exec_lo, s44
	s_cbranch_vccz .LBB7_332
; %bb.330:
	s_cmp_eq_u32 s31, 11
	s_mov_b32 s0, -1
	s_cbranch_scc0 .LBB7_332
; %bb.331:
	s_wait_xcnt 0x0
	v_cndmask_b32_e64 v1, 0, 1, s24
	s_mov_b32 s43, -1
	s_mov_b32 s0, 0
	global_store_b8 v[2:3], v1, off
.LBB7_332:
	s_mov_b32 s31, 0
.LBB7_333:
	s_delay_alu instid0(SALU_CYCLE_1)
	s_and_b32 vcc_lo, exec_lo, s31
	s_cbranch_vccz .LBB7_372
; %bb.334:
	s_and_b32 s30, 0xffff, s30
	s_mov_b32 s31, -1
	s_cmp_lt_i32 s30, 5
	s_cbranch_scc1 .LBB7_355
; %bb.335:
	s_cmp_lt_i32 s30, 8
	s_cbranch_scc1 .LBB7_345
; %bb.336:
	;; [unrolled: 3-line block ×3, first 2 shown]
	s_cmp_gt_i32 s30, 9
	s_cbranch_scc0 .LBB7_339
; %bb.338:
	s_wait_xcnt 0x0
	v_cndmask_b32_e64 v1, 0, 1, s24
	v_mov_b32_e32 v6, 0
	s_mov_b32 s31, 0
	s_delay_alu instid0(VALU_DEP_2) | instskip(NEXT) | instid1(VALU_DEP_2)
	v_cvt_f64_u32_e32 v[4:5], v1
	v_mov_b32_e32 v7, v6
	global_store_b128 v[2:3], v[4:7], off
.LBB7_339:
	s_and_not1_b32 vcc_lo, exec_lo, s31
	s_cbranch_vccnz .LBB7_341
; %bb.340:
	s_wait_xcnt 0x0
	v_cndmask_b32_e64 v4, 0, 1.0, s24
	v_mov_b32_e32 v5, 0
	global_store_b64 v[2:3], v[4:5], off
.LBB7_341:
	s_mov_b32 s31, 0
.LBB7_342:
	s_delay_alu instid0(SALU_CYCLE_1)
	s_and_not1_b32 vcc_lo, exec_lo, s31
	s_cbranch_vccnz .LBB7_344
; %bb.343:
	s_wait_xcnt 0x0
	v_cndmask_b32_e64 v1, 0, 1.0, s24
	s_delay_alu instid0(VALU_DEP_1) | instskip(NEXT) | instid1(VALU_DEP_1)
	v_cvt_f16_f32_e32 v1, v1
	v_and_b32_e32 v1, 0xffff, v1
	global_store_b32 v[2:3], v1, off
.LBB7_344:
	s_mov_b32 s31, 0
.LBB7_345:
	s_delay_alu instid0(SALU_CYCLE_1)
	s_and_not1_b32 vcc_lo, exec_lo, s31
	s_cbranch_vccnz .LBB7_354
; %bb.346:
	s_cmp_lt_i32 s30, 6
	s_mov_b32 s31, -1
	s_cbranch_scc1 .LBB7_352
; %bb.347:
	s_cmp_gt_i32 s30, 6
	s_cbranch_scc0 .LBB7_349
; %bb.348:
	s_wait_xcnt 0x0
	v_cndmask_b32_e64 v1, 0, 1, s24
	s_mov_b32 s31, 0
	s_delay_alu instid0(VALU_DEP_1)
	v_cvt_f64_u32_e32 v[4:5], v1
	global_store_b64 v[2:3], v[4:5], off
.LBB7_349:
	s_and_not1_b32 vcc_lo, exec_lo, s31
	s_cbranch_vccnz .LBB7_351
; %bb.350:
	s_wait_xcnt 0x0
	v_cndmask_b32_e64 v1, 0, 1.0, s24
	global_store_b32 v[2:3], v1, off
.LBB7_351:
	s_mov_b32 s31, 0
.LBB7_352:
	s_delay_alu instid0(SALU_CYCLE_1)
	s_and_not1_b32 vcc_lo, exec_lo, s31
	s_cbranch_vccnz .LBB7_354
; %bb.353:
	s_wait_xcnt 0x0
	v_cndmask_b32_e64 v1, 0, 1.0, s24
	s_delay_alu instid0(VALU_DEP_1)
	v_cvt_f16_f32_e32 v1, v1
	global_store_b16 v[2:3], v1, off
.LBB7_354:
	s_mov_b32 s31, 0
.LBB7_355:
	s_delay_alu instid0(SALU_CYCLE_1)
	s_and_not1_b32 vcc_lo, exec_lo, s31
	s_cbranch_vccnz .LBB7_371
; %bb.356:
	s_cmp_lt_i32 s30, 2
	s_mov_b32 s31, -1
	s_cbranch_scc1 .LBB7_366
; %bb.357:
	s_cmp_lt_i32 s30, 3
	s_cbranch_scc1 .LBB7_363
; %bb.358:
	s_cmp_gt_i32 s30, 3
	s_cbranch_scc0 .LBB7_360
; %bb.359:
	s_mov_b32 s31, 0
	s_wait_xcnt 0x0
	v_cndmask_b32_e64 v4, 0, 1, s24
	v_mov_b32_e32 v5, s31
	global_store_b64 v[2:3], v[4:5], off
.LBB7_360:
	s_and_not1_b32 vcc_lo, exec_lo, s31
	s_cbranch_vccnz .LBB7_362
; %bb.361:
	s_wait_xcnt 0x0
	v_cndmask_b32_e64 v1, 0, 1, s24
	global_store_b32 v[2:3], v1, off
.LBB7_362:
	s_mov_b32 s31, 0
.LBB7_363:
	s_delay_alu instid0(SALU_CYCLE_1)
	s_and_not1_b32 vcc_lo, exec_lo, s31
	s_cbranch_vccnz .LBB7_365
; %bb.364:
	s_wait_xcnt 0x0
	v_cndmask_b32_e64 v1, 0, 1, s24
	global_store_b16 v[2:3], v1, off
.LBB7_365:
	s_mov_b32 s31, 0
.LBB7_366:
	s_delay_alu instid0(SALU_CYCLE_1)
	s_and_not1_b32 vcc_lo, exec_lo, s31
	s_cbranch_vccnz .LBB7_371
; %bb.367:
	s_wait_xcnt 0x0
	v_cndmask_b32_e64 v1, 0, 1, s24
	s_cmp_gt_i32 s30, 0
	s_mov_b32 s24, -1
	s_cbranch_scc0 .LBB7_369
; %bb.368:
	s_mov_b32 s24, 0
	global_store_b8 v[2:3], v1, off
.LBB7_369:
	s_and_not1_b32 vcc_lo, exec_lo, s24
	s_cbranch_vccnz .LBB7_371
; %bb.370:
	global_store_b8 v[2:3], v1, off
.LBB7_371:
	s_mov_b32 s43, -1
.LBB7_372:
	s_mov_b32 s30, 0
	s_and_not1_b32 vcc_lo, exec_lo, s43
	s_mov_b32 s47, 0
	s_cbranch_vccnz .LBB7_374
; %bb.373:
	v_add_nc_u32_e32 v0, 0x80, v0
	s_mov_b32 s47, -1
.LBB7_374:
	s_and_b32 s24, s0, exec_lo
	s_and_b32 s43, s30, exec_lo
	;; [unrolled: 1-line block ×4, first 2 shown]
	s_or_not1_b32 s28, s47, exec_lo
.LBB7_375:
	s_wait_xcnt 0x0
	s_or_b32 exec_lo, exec_lo, s46
                                        ; implicit-def: $vgpr4
                                        ; implicit-def: $vgpr6
                                        ; implicit-def: $vgpr2
	s_and_saveexec_b32 s46, s28
	s_cbranch_execz .LBB7_1173
; %bb.376:
	s_mov_b32 s28, -1
	s_mov_b32 s47, s45
	s_mov_b32 s50, s44
	;; [unrolled: 1-line block ×4, first 2 shown]
	s_mov_b32 s51, exec_lo
	v_cmpx_gt_i32_e64 s41, v0
	s_cbranch_execz .LBB7_754
; %bb.377:
	s_and_not1_b32 vcc_lo, exec_lo, s35
	s_cbranch_vccnz .LBB7_383
; %bb.378:
	s_and_not1_b32 vcc_lo, exec_lo, s42
	s_cbranch_vccnz .LBB7_384
; %bb.379:
	v_dual_mov_b32 v2, 0 :: v_dual_mov_b32 v1, v0
	v_dual_mov_b32 v6, 0 :: v_dual_mov_b32 v4, 0
	s_add_co_i32 s0, s40, 1
	s_mov_b64 s[28:29], 0xffffffffffffffe0
	s_and_b32 s0, s0, 30
	s_add_nc_u64 s[28:29], s[2:3], s[28:29]
	s_mov_b64 s[30:31], s[2:3]
.LBB7_380:                              ; =>This Inner Loop Header: Depth=1
	s_clause 0x1
	s_load_b128 s[52:55], s[30:31], 0x4
	s_load_b64 s[56:57], s[30:31], 0x14
	s_clause 0x1
	s_load_b32 s47, s[28:29], 0xe4
	s_load_b96 s[48:50], s[28:29], 0xec
	s_add_co_i32 s0, s0, -2
	s_wait_xcnt 0x0
	s_add_nc_u64 s[30:31], s[30:31], 24
	s_cmp_eq_u32 s0, 0
	s_wait_kmcnt 0x0
	v_mul_hi_u32 v3, s53, v1
	s_delay_alu instid0(VALU_DEP_1) | instskip(NEXT) | instid1(VALU_DEP_1)
	v_add_nc_u32_e32 v3, v1, v3
	v_lshrrev_b32_e32 v3, s54, v3
	s_delay_alu instid0(VALU_DEP_1) | instskip(SKIP_4) | instid1(VALU_DEP_1)
	v_mul_hi_u32 v5, s56, v3
	v_mul_lo_u32 v7, v3, s52
	s_load_b64 s[52:53], s[28:29], 0xfc
	s_wait_xcnt 0x0
	s_add_nc_u64 s[28:29], s[28:29], 32
	v_dual_add_nc_u32 v5, v3, v5 :: v_dual_sub_nc_u32 v7, v1, v7
	s_delay_alu instid0(VALU_DEP_1) | instskip(NEXT) | instid1(VALU_DEP_2)
	v_lshrrev_b32_e32 v1, s57, v5
	v_mad_u32 v2, v7, s47, v2
	v_mad_u32 v4, v7, s49, v4
	;; [unrolled: 1-line block ×3, first 2 shown]
	s_delay_alu instid0(VALU_DEP_4) | instskip(NEXT) | instid1(VALU_DEP_1)
	v_mul_lo_u32 v5, v1, s55
	v_sub_nc_u32_e32 v3, v3, v5
	s_delay_alu instid0(VALU_DEP_1)
	v_mad_u32 v2, v3, s50, v2
	s_wait_kmcnt 0x0
	v_mad_u32 v4, v3, s53, v4
	v_mad_u32 v6, v3, s52, v6
	s_cbranch_scc0 .LBB7_380
; %bb.381:
	s_bitcmp1_b32 s40, 0
	s_cselect_b32 s0, -1, 0
	s_delay_alu instid0(SALU_CYCLE_1)
	s_and_b32 vcc_lo, exec_lo, s0
	s_cbranch_vccnz .LBB7_385
; %bb.382:
	s_load_b96 s[48:50], s[30:31], 0x4
	s_load_b32 s0, s[28:29], 0xe4
	s_wait_xcnt 0x0
	s_load_b64 s[30:31], s[28:29], 0xec
	s_wait_kmcnt 0x0
	v_mul_hi_u32 v3, s49, v1
	s_delay_alu instid0(VALU_DEP_1) | instskip(NEXT) | instid1(VALU_DEP_1)
	v_add_nc_u32_e32 v3, v1, v3
	v_lshrrev_b32_e32 v3, s50, v3
	s_delay_alu instid0(VALU_DEP_1) | instskip(NEXT) | instid1(VALU_DEP_1)
	v_mul_lo_u32 v3, v3, s48
	v_sub_nc_u32_e32 v1, v1, v3
	s_delay_alu instid0(VALU_DEP_1)
	v_mad_u32 v2, v1, s0, v2
	v_mad_u32 v6, v1, s30, v6
	;; [unrolled: 1-line block ×3, first 2 shown]
	s_branch .LBB7_385
.LBB7_383:
                                        ; implicit-def: $vgpr4
                                        ; implicit-def: $vgpr6
                                        ; implicit-def: $vgpr2
	s_branch .LBB7_386
.LBB7_384:
	v_dual_mov_b32 v4, 0 :: v_dual_mov_b32 v6, 0
	v_mov_b32_e32 v2, 0
.LBB7_385:
	s_cbranch_execnz .LBB7_388
.LBB7_386:
	v_mov_b32_e32 v1, 0
	s_and_not1_b32 vcc_lo, exec_lo, s39
	s_delay_alu instid0(VALU_DEP_1) | instskip(NEXT) | instid1(VALU_DEP_1)
	v_mul_u64_e32 v[2:3], s[20:21], v[0:1]
	v_add_nc_u32_e32 v2, v0, v3
	s_delay_alu instid0(VALU_DEP_1) | instskip(NEXT) | instid1(VALU_DEP_1)
	v_lshrrev_b32_e32 v8, s10, v2
	v_mul_lo_u32 v2, v8, s8
	s_delay_alu instid0(VALU_DEP_1) | instskip(NEXT) | instid1(VALU_DEP_1)
	v_sub_nc_u32_e32 v3, v0, v2
	v_mul_lo_u32 v2, v3, s38
	v_mul_lo_u32 v4, v3, s13
	;; [unrolled: 1-line block ×3, first 2 shown]
	s_cbranch_vccnz .LBB7_388
; %bb.387:
	v_mov_b32_e32 v9, v1
	s_delay_alu instid0(VALU_DEP_1) | instskip(NEXT) | instid1(VALU_DEP_1)
	v_mul_u64_e32 v[10:11], s[26:27], v[8:9]
	v_add_nc_u32_e32 v1, v8, v11
	s_delay_alu instid0(VALU_DEP_1) | instskip(NEXT) | instid1(VALU_DEP_1)
	v_lshrrev_b32_e32 v1, s25, v1
	v_mul_lo_u32 v1, v1, s11
	s_delay_alu instid0(VALU_DEP_1) | instskip(NEXT) | instid1(VALU_DEP_1)
	v_sub_nc_u32_e32 v1, v8, v1
	v_mad_u32 v2, v1, s14, v2
	v_mad_u32 v6, v1, s22, v6
	;; [unrolled: 1-line block ×3, first 2 shown]
.LBB7_388:
	s_and_b32 s29, s37, 0xff
	s_delay_alu instid0(SALU_CYCLE_1)
	s_cmp_lt_i32 s29, 23
	s_cbranch_scc1 .LBB7_392
; %bb.389:
	s_and_b32 s30, 0xffff, s29
	s_delay_alu instid0(SALU_CYCLE_1)
	s_cmp_gt_i32 s30, 43
	s_cbranch_scc0 .LBB7_393
; %bb.390:
	s_cmp_gt_i32 s30, 45
	s_cbranch_scc0 .LBB7_394
; %bb.391:
	s_cmp_eq_u32 s30, 46
	s_mov_b32 s31, 0
	s_cselect_b32 s0, -1, 0
	s_or_b32 s28, s45, exec_lo
	s_branch .LBB7_395
.LBB7_392:
	s_mov_b32 s0, 0
	s_mov_b32 s28, s45
	s_cbranch_execnz .LBB7_401
	s_branch .LBB7_405
.LBB7_393:
	s_mov_b32 s31, -1
	s_mov_b32 s0, 0
	s_mov_b32 s28, s45
	s_branch .LBB7_398
.LBB7_394:
	s_mov_b32 s31, -1
	s_mov_b32 s0, 0
	s_mov_b32 s28, s45
.LBB7_395:
	s_and_not1_b32 vcc_lo, exec_lo, s31
	s_cbranch_vccnz .LBB7_397
; %bb.396:
	s_cmp_eq_u32 s30, 44
	s_cselect_b32 s0, -1, 0
	s_cmp_lg_u32 s30, 44
	s_cselect_b32 s31, -1, 0
	s_and_not1_b32 s28, s28, exec_lo
	s_and_b32 s31, s31, exec_lo
	s_delay_alu instid0(SALU_CYCLE_1)
	s_or_b32 s28, s28, s31
.LBB7_397:
	s_mov_b32 s31, 0
.LBB7_398:
	s_delay_alu instid0(SALU_CYCLE_1)
	s_and_b32 vcc_lo, exec_lo, s31
	s_cbranch_vccz .LBB7_400
; %bb.399:
	s_cmp_lt_i32 s30, 30
	s_cselect_b32 s0, -1, 0
	s_cmp_gt_i32 s30, 29
	s_cselect_b32 s30, -1, 0
	s_and_not1_b32 s28, s28, exec_lo
	s_and_b32 s30, s30, exec_lo
	s_delay_alu instid0(SALU_CYCLE_1)
	s_or_b32 s28, s28, s30
.LBB7_400:
	s_branch .LBB7_405
.LBB7_401:
	s_and_b32 s29, 0xffff, s29
	s_mov_b32 s30, -1
	s_cmp_gt_i32 s29, 14
	s_cbranch_scc0 .LBB7_403
; %bb.402:
	s_cmp_eq_u32 s29, 15
	s_cselect_b32 s0, -1, 0
	s_cmp_lg_u32 s29, 15
	s_cselect_b32 s30, -1, 0
	s_and_not1_b32 s28, s28, exec_lo
	s_and_b32 s31, s30, exec_lo
	s_mov_b32 s30, 0
	s_or_b32 s28, s28, s31
.LBB7_403:
	s_and_not1_b32 vcc_lo, exec_lo, s30
	s_cbranch_vccnz .LBB7_405
; %bb.404:
	s_cmp_lt_i32 s29, 12
	s_cselect_b32 s0, -1, 0
	s_cmp_gt_i32 s29, 11
	s_cselect_b32 s29, -1, 0
	s_and_not1_b32 s28, s28, exec_lo
	s_and_b32 s29, s29, exec_lo
	s_delay_alu instid0(SALU_CYCLE_1)
	s_or_b32 s28, s28, s29
.LBB7_405:
	s_and_b32 vcc_lo, exec_lo, s0
	s_cbranch_vccz .LBB7_413
; %bb.406:
	v_mov_b32_e32 v7, 0
	s_and_b32 s0, s18, 0xff
	s_delay_alu instid0(SALU_CYCLE_1) | instskip(NEXT) | instid1(VALU_DEP_1)
	s_cmp_lt_i32 s0, 11
	v_add_nc_u64_e32 v[6:7], s[4:5], v[6:7]
	s_cbranch_scc1 .LBB7_414
; %bb.407:
	s_and_b32 s28, 0xffff, s0
	s_delay_alu instid0(SALU_CYCLE_1)
	s_cmp_gt_i32 s28, 25
	s_cbranch_scc0 .LBB7_415
; %bb.408:
	s_cmp_gt_i32 s28, 28
	s_cbranch_scc0 .LBB7_416
; %bb.409:
	;; [unrolled: 3-line block ×4, first 2 shown]
	s_cmp_eq_u32 s28, 46
	s_mov_b32 s47, 0
	s_cbranch_scc0 .LBB7_419
; %bb.412:
	global_load_b32 v1, v[6:7], off
	s_mov_b32 s29, 0
	s_mov_b32 s31, -1
	s_wait_loadcnt 0x0
	v_and_b32_e32 v1, 0x7fff7fff, v1
	s_delay_alu instid0(VALU_DEP_1)
	v_cmp_ne_u32_e64 s30, 0, v1
	s_branch .LBB7_421
.LBB7_413:
	s_mov_b32 s52, 0
	s_mov_b32 s0, s24
	;; [unrolled: 1-line block ×4, first 2 shown]
                                        ; implicit-def: $vgpr0
	s_branch .LBB7_753
.LBB7_414:
	s_mov_b32 s28, -1
	s_mov_b32 s31, 0
	s_mov_b32 s29, s44
                                        ; implicit-def: $sgpr30
	s_branch .LBB7_468
.LBB7_415:
	s_mov_b32 s47, -1
	s_mov_b32 s31, 0
	s_mov_b32 s29, s44
                                        ; implicit-def: $sgpr30
	s_branch .LBB7_442
.LBB7_416:
	s_mov_b32 s47, -1
	s_mov_b32 s31, 0
	s_mov_b32 s29, s44
                                        ; implicit-def: $sgpr30
	s_branch .LBB7_429
.LBB7_417:
	s_mov_b32 s47, -1
	s_mov_b32 s31, 0
	s_mov_b32 s29, s44
                                        ; implicit-def: $sgpr30
	s_branch .LBB7_424
.LBB7_418:
	s_mov_b32 s47, -1
	s_mov_b32 s31, 0
	s_mov_b32 s29, s44
	s_branch .LBB7_420
.LBB7_419:
	s_mov_b32 s29, -1
	s_mov_b32 s31, 0
.LBB7_420:
                                        ; implicit-def: $sgpr30
.LBB7_421:
	s_and_b32 vcc_lo, exec_lo, s47
	s_cbranch_vccz .LBB7_423
; %bb.422:
	s_cmp_eq_u32 s28, 44
	s_cselect_b32 s31, -1, 0
	s_or_b32 s30, s30, exec_lo
	s_or_b32 s29, s29, exec_lo
.LBB7_423:
	s_mov_b32 s47, 0
.LBB7_424:
	s_delay_alu instid0(SALU_CYCLE_1)
	s_and_b32 vcc_lo, exec_lo, s47
	s_cbranch_vccz .LBB7_428
; %bb.425:
	s_cmp_eq_u32 s28, 29
	s_cbranch_scc0 .LBB7_427
; %bb.426:
	global_load_b64 v[8:9], v[6:7], off
	s_mov_b32 s31, -1
	s_mov_b32 s29, 0
	s_mov_b32 s47, 0
	s_wait_loadcnt 0x0
	v_cmp_ne_u64_e64 s30, 0, v[8:9]
	s_branch .LBB7_429
.LBB7_427:
	s_mov_b32 s29, -1
                                        ; implicit-def: $sgpr30
.LBB7_428:
	s_mov_b32 s47, 0
.LBB7_429:
	s_delay_alu instid0(SALU_CYCLE_1)
	s_and_b32 vcc_lo, exec_lo, s47
	s_cbranch_vccz .LBB7_441
; %bb.430:
	s_cmp_lt_i32 s28, 27
	s_cbranch_scc1 .LBB7_433
; %bb.431:
	s_cmp_gt_i32 s28, 27
	s_cbranch_scc0 .LBB7_434
; %bb.432:
	global_load_b32 v1, v[6:7], off
	s_mov_b32 s31, 0
	s_wait_loadcnt 0x0
	v_cmp_ne_u32_e64 s30, 0, v1
	s_branch .LBB7_435
.LBB7_433:
	s_mov_b32 s31, -1
                                        ; implicit-def: $sgpr30
	s_branch .LBB7_438
.LBB7_434:
	s_mov_b32 s31, -1
                                        ; implicit-def: $sgpr30
.LBB7_435:
	s_delay_alu instid0(SALU_CYCLE_1)
	s_and_not1_b32 vcc_lo, exec_lo, s31
	s_cbranch_vccnz .LBB7_437
; %bb.436:
	global_load_u16 v1, v[6:7], off
	s_and_not1_b32 s30, s30, exec_lo
	s_wait_loadcnt 0x0
	v_cmp_ne_u16_e32 vcc_lo, 0, v1
	s_and_b32 s31, vcc_lo, exec_lo
	s_delay_alu instid0(SALU_CYCLE_1)
	s_or_b32 s30, s30, s31
.LBB7_437:
	s_mov_b32 s31, 0
.LBB7_438:
	s_delay_alu instid0(SALU_CYCLE_1)
	s_and_not1_b32 vcc_lo, exec_lo, s31
	s_cbranch_vccnz .LBB7_440
; %bb.439:
	global_load_u8 v1, v[6:7], off
	s_and_not1_b32 s30, s30, exec_lo
	s_wait_loadcnt 0x0
	v_cmp_ne_u16_e32 vcc_lo, 0, v1
	s_and_b32 s31, vcc_lo, exec_lo
	s_delay_alu instid0(SALU_CYCLE_1)
	s_or_b32 s30, s30, s31
.LBB7_440:
	s_mov_b32 s31, -1
.LBB7_441:
	s_mov_b32 s47, 0
.LBB7_442:
	s_delay_alu instid0(SALU_CYCLE_1)
	s_and_b32 vcc_lo, exec_lo, s47
	s_cbranch_vccz .LBB7_467
; %bb.443:
	s_cmp_gt_i32 s28, 22
	s_cbranch_scc0 .LBB7_447
; %bb.444:
	s_cmp_lt_i32 s28, 24
	s_cbranch_scc1 .LBB7_448
; %bb.445:
	s_cmp_gt_i32 s28, 24
	s_cbranch_scc0 .LBB7_449
; %bb.446:
	global_load_u8 v1, v[6:7], off
	s_mov_b32 s31, 0
	s_wait_loadcnt 0x0
	v_cmp_ne_u16_e64 s30, 0, v1
	s_branch .LBB7_450
.LBB7_447:
	s_mov_b32 s47, -1
                                        ; implicit-def: $sgpr30
	s_branch .LBB7_456
.LBB7_448:
	s_mov_b32 s31, -1
                                        ; implicit-def: $sgpr30
	s_branch .LBB7_453
.LBB7_449:
	s_mov_b32 s31, -1
                                        ; implicit-def: $sgpr30
.LBB7_450:
	s_delay_alu instid0(SALU_CYCLE_1)
	s_and_not1_b32 vcc_lo, exec_lo, s31
	s_cbranch_vccnz .LBB7_452
; %bb.451:
	global_load_u8 v1, v[6:7], off
	s_and_not1_b32 s30, s30, exec_lo
	s_wait_loadcnt 0x0
	v_and_b32_e32 v1, 0x7f, v1
	s_delay_alu instid0(VALU_DEP_1) | instskip(SKIP_1) | instid1(SALU_CYCLE_1)
	v_cmp_ne_u16_e32 vcc_lo, 0, v1
	s_and_b32 s31, vcc_lo, exec_lo
	s_or_b32 s30, s30, s31
.LBB7_452:
	s_mov_b32 s31, 0
.LBB7_453:
	s_delay_alu instid0(SALU_CYCLE_1)
	s_and_not1_b32 vcc_lo, exec_lo, s31
	s_cbranch_vccnz .LBB7_455
; %bb.454:
	global_load_u8 v1, v[6:7], off
	s_and_not1_b32 s30, s30, exec_lo
	s_wait_loadcnt 0x0
	v_dual_lshlrev_b32 v3, 25, v1 :: v_dual_lshlrev_b32 v1, 8, v1
	s_delay_alu instid0(VALU_DEP_1) | instskip(NEXT) | instid1(VALU_DEP_2)
	v_cmp_gt_u32_e32 vcc_lo, 0x8000000, v3
	v_and_or_b32 v1, 0x7f00, v1, 0.5
	s_delay_alu instid0(VALU_DEP_1) | instskip(NEXT) | instid1(VALU_DEP_1)
	v_dual_lshrrev_b32 v5, 4, v3 :: v_dual_add_f32 v1, -0.5, v1
	v_or_b32_e32 v5, 0x70000000, v5
	s_delay_alu instid0(VALU_DEP_1) | instskip(NEXT) | instid1(VALU_DEP_1)
	v_mul_f32_e32 v5, 0x7800000, v5
	v_cndmask_b32_e32 v1, v5, v1, vcc_lo
	s_delay_alu instid0(VALU_DEP_1) | instskip(SKIP_1) | instid1(SALU_CYCLE_1)
	v_cmp_neq_f32_e32 vcc_lo, 0, v1
	s_and_b32 s31, vcc_lo, exec_lo
	s_or_b32 s30, s30, s31
.LBB7_455:
	s_mov_b32 s47, 0
	s_mov_b32 s31, -1
.LBB7_456:
	s_and_not1_b32 vcc_lo, exec_lo, s47
	s_cbranch_vccnz .LBB7_467
; %bb.457:
	s_cmp_gt_i32 s28, 14
	s_cbranch_scc0 .LBB7_460
; %bb.458:
	s_cmp_eq_u32 s28, 15
	s_cbranch_scc0 .LBB7_461
; %bb.459:
	global_load_u16 v1, v[6:7], off
	s_mov_b32 s29, 0
	s_mov_b32 s31, -1
	s_wait_loadcnt 0x0
	v_and_b32_e32 v1, 0x7fff, v1
	s_delay_alu instid0(VALU_DEP_1)
	v_cmp_ne_u16_e64 s30, 0, v1
	s_branch .LBB7_462
.LBB7_460:
	s_mov_b32 s47, -1
                                        ; implicit-def: $sgpr30
	s_branch .LBB7_463
.LBB7_461:
	s_mov_b32 s29, -1
                                        ; implicit-def: $sgpr30
.LBB7_462:
	s_mov_b32 s47, 0
.LBB7_463:
	s_delay_alu instid0(SALU_CYCLE_1)
	s_and_b32 vcc_lo, exec_lo, s47
	s_cbranch_vccz .LBB7_467
; %bb.464:
	s_cmp_eq_u32 s28, 11
	s_cbranch_scc0 .LBB7_466
; %bb.465:
	global_load_u8 v1, v[6:7], off
	s_mov_b32 s29, 0
	s_mov_b32 s31, -1
	s_wait_loadcnt 0x0
	v_cmp_ne_u16_e64 s30, 0, v1
	s_branch .LBB7_467
.LBB7_466:
	s_mov_b32 s29, -1
                                        ; implicit-def: $sgpr30
.LBB7_467:
	s_mov_b32 s28, 0
.LBB7_468:
	s_delay_alu instid0(SALU_CYCLE_1)
	s_and_b32 vcc_lo, exec_lo, s28
	s_cbranch_vccz .LBB7_517
; %bb.469:
	s_and_b32 s28, 0xffff, s0
	s_delay_alu instid0(SALU_CYCLE_1)
	s_cmp_lt_i32 s28, 5
	s_cbranch_scc1 .LBB7_474
; %bb.470:
	s_cmp_lt_i32 s28, 8
	s_cbranch_scc1 .LBB7_475
; %bb.471:
	s_cmp_lt_i32 s28, 9
	s_cbranch_scc1 .LBB7_476
; %bb.472:
	s_cmp_gt_i32 s28, 9
	s_cbranch_scc0 .LBB7_477
; %bb.473:
	global_load_b128 v[8:11], v[6:7], off
	s_wait_loadcnt 0x0
	v_cmp_neq_f64_e32 vcc_lo, 0, v[8:9]
	v_cmp_neq_f64_e64 s0, 0, v[10:11]
	s_or_b32 s30, vcc_lo, s0
	s_mov_b32 s0, 0
	s_branch .LBB7_478
.LBB7_474:
	s_mov_b32 s0, -1
                                        ; implicit-def: $sgpr30
	s_branch .LBB7_496
.LBB7_475:
	s_mov_b32 s0, -1
                                        ; implicit-def: $sgpr30
	s_branch .LBB7_484
.LBB7_476:
	s_mov_b32 s0, -1
                                        ; implicit-def: $sgpr30
	s_branch .LBB7_481
.LBB7_477:
	s_mov_b32 s0, -1
                                        ; implicit-def: $sgpr30
.LBB7_478:
	s_delay_alu instid0(SALU_CYCLE_1)
	s_and_not1_b32 vcc_lo, exec_lo, s0
	s_cbranch_vccnz .LBB7_480
; %bb.479:
	global_load_b64 v[8:9], v[6:7], off
	s_and_not1_b32 s0, s30, exec_lo
	s_wait_loadcnt 0x0
	v_bitop3_b32 v1, v8, 0x7fffffff, v9 bitop3:0xc8
	s_delay_alu instid0(VALU_DEP_1) | instskip(SKIP_1) | instid1(SALU_CYCLE_1)
	v_cmp_ne_u32_e32 vcc_lo, 0, v1
	s_and_b32 s30, vcc_lo, exec_lo
	s_or_b32 s30, s0, s30
.LBB7_480:
	s_mov_b32 s0, 0
.LBB7_481:
	s_delay_alu instid0(SALU_CYCLE_1)
	s_and_not1_b32 vcc_lo, exec_lo, s0
	s_cbranch_vccnz .LBB7_483
; %bb.482:
	global_load_b32 v1, v[6:7], off
	s_and_not1_b32 s0, s30, exec_lo
	s_wait_loadcnt 0x0
	v_and_b32_e32 v1, 0x7fff7fff, v1
	s_delay_alu instid0(VALU_DEP_1) | instskip(SKIP_1) | instid1(SALU_CYCLE_1)
	v_cmp_ne_u32_e32 vcc_lo, 0, v1
	s_and_b32 s30, vcc_lo, exec_lo
	s_or_b32 s30, s0, s30
.LBB7_483:
	s_mov_b32 s0, 0
.LBB7_484:
	s_delay_alu instid0(SALU_CYCLE_1)
	s_and_not1_b32 vcc_lo, exec_lo, s0
	s_cbranch_vccnz .LBB7_495
; %bb.485:
	s_cmp_lt_i32 s28, 6
	s_cbranch_scc1 .LBB7_488
; %bb.486:
	s_cmp_gt_i32 s28, 6
	s_cbranch_scc0 .LBB7_489
; %bb.487:
	global_load_b64 v[8:9], v[6:7], off
	s_mov_b32 s0, 0
	s_wait_loadcnt 0x0
	v_cmp_neq_f64_e64 s30, 0, v[8:9]
	s_branch .LBB7_490
.LBB7_488:
	s_mov_b32 s0, -1
                                        ; implicit-def: $sgpr30
	s_branch .LBB7_493
.LBB7_489:
	s_mov_b32 s0, -1
                                        ; implicit-def: $sgpr30
.LBB7_490:
	s_delay_alu instid0(SALU_CYCLE_1)
	s_and_not1_b32 vcc_lo, exec_lo, s0
	s_cbranch_vccnz .LBB7_492
; %bb.491:
	global_load_b32 v1, v[6:7], off
	s_and_not1_b32 s0, s30, exec_lo
	s_wait_loadcnt 0x0
	v_cmp_neq_f32_e32 vcc_lo, 0, v1
	s_and_b32 s30, vcc_lo, exec_lo
	s_delay_alu instid0(SALU_CYCLE_1)
	s_or_b32 s30, s0, s30
.LBB7_492:
	s_mov_b32 s0, 0
.LBB7_493:
	s_delay_alu instid0(SALU_CYCLE_1)
	s_and_not1_b32 vcc_lo, exec_lo, s0
	s_cbranch_vccnz .LBB7_495
; %bb.494:
	global_load_u16 v1, v[6:7], off
	s_and_not1_b32 s0, s30, exec_lo
	s_wait_loadcnt 0x0
	v_and_b32_e32 v1, 0x7fff, v1
	s_delay_alu instid0(VALU_DEP_1) | instskip(SKIP_1) | instid1(SALU_CYCLE_1)
	v_cmp_ne_u16_e32 vcc_lo, 0, v1
	s_and_b32 s30, vcc_lo, exec_lo
	s_or_b32 s30, s0, s30
.LBB7_495:
	s_mov_b32 s0, 0
.LBB7_496:
	s_delay_alu instid0(SALU_CYCLE_1)
	s_and_not1_b32 vcc_lo, exec_lo, s0
	s_cbranch_vccnz .LBB7_516
; %bb.497:
	s_cmp_lt_i32 s28, 2
	s_cbranch_scc1 .LBB7_501
; %bb.498:
	s_cmp_lt_i32 s28, 3
	s_cbranch_scc1 .LBB7_502
; %bb.499:
	s_cmp_gt_i32 s28, 3
	s_cbranch_scc0 .LBB7_503
; %bb.500:
	global_load_b64 v[8:9], v[6:7], off
	s_mov_b32 s0, 0
	s_wait_loadcnt 0x0
	v_cmp_ne_u64_e64 s30, 0, v[8:9]
	s_branch .LBB7_504
.LBB7_501:
	s_mov_b32 s0, -1
                                        ; implicit-def: $sgpr30
	s_branch .LBB7_510
.LBB7_502:
	s_mov_b32 s0, -1
                                        ; implicit-def: $sgpr30
	s_branch .LBB7_507
.LBB7_503:
	s_mov_b32 s0, -1
                                        ; implicit-def: $sgpr30
.LBB7_504:
	s_delay_alu instid0(SALU_CYCLE_1)
	s_and_not1_b32 vcc_lo, exec_lo, s0
	s_cbranch_vccnz .LBB7_506
; %bb.505:
	global_load_b32 v1, v[6:7], off
	s_and_not1_b32 s0, s30, exec_lo
	s_wait_loadcnt 0x0
	v_cmp_ne_u32_e32 vcc_lo, 0, v1
	s_and_b32 s30, vcc_lo, exec_lo
	s_delay_alu instid0(SALU_CYCLE_1)
	s_or_b32 s30, s0, s30
.LBB7_506:
	s_mov_b32 s0, 0
.LBB7_507:
	s_delay_alu instid0(SALU_CYCLE_1)
	s_and_not1_b32 vcc_lo, exec_lo, s0
	s_cbranch_vccnz .LBB7_509
; %bb.508:
	global_load_u16 v1, v[6:7], off
	s_and_not1_b32 s0, s30, exec_lo
	s_wait_loadcnt 0x0
	v_cmp_ne_u16_e32 vcc_lo, 0, v1
	s_and_b32 s30, vcc_lo, exec_lo
	s_delay_alu instid0(SALU_CYCLE_1)
	s_or_b32 s30, s0, s30
.LBB7_509:
	s_mov_b32 s0, 0
.LBB7_510:
	s_delay_alu instid0(SALU_CYCLE_1)
	s_and_not1_b32 vcc_lo, exec_lo, s0
	s_cbranch_vccnz .LBB7_516
; %bb.511:
	s_cmp_gt_i32 s28, 0
	s_mov_b32 s0, 0
	s_cbranch_scc0 .LBB7_513
; %bb.512:
	global_load_u8 v1, v[6:7], off
	s_wait_loadcnt 0x0
	v_cmp_ne_u16_e64 s30, 0, v1
	s_branch .LBB7_514
.LBB7_513:
	s_mov_b32 s0, -1
                                        ; implicit-def: $sgpr30
.LBB7_514:
	s_delay_alu instid0(SALU_CYCLE_1)
	s_and_not1_b32 vcc_lo, exec_lo, s0
	s_cbranch_vccnz .LBB7_516
; %bb.515:
	global_load_u8 v1, v[6:7], off
	s_and_not1_b32 s0, s30, exec_lo
	s_wait_loadcnt 0x0
	v_cmp_ne_u16_e32 vcc_lo, 0, v1
	s_and_b32 s28, vcc_lo, exec_lo
	s_delay_alu instid0(SALU_CYCLE_1)
	s_or_b32 s30, s0, s28
.LBB7_516:
	s_mov_b32 s31, -1
.LBB7_517:
	s_mov_b32 s28, 0
	s_mov_b32 s0, s24
	s_and_not1_b32 vcc_lo, exec_lo, s31
	s_mov_b32 s31, s43
	s_mov_b32 s52, 0
	s_cbranch_vccnz .LBB7_753
; %bb.518:
	v_mov_b32_e32 v5, 0
	s_and_b32 s0, s1, 0xff
	s_delay_alu instid0(SALU_CYCLE_1) | instskip(NEXT) | instid1(VALU_DEP_1)
	s_cmp_lt_i32 s0, 11
	v_add_nc_u64_e32 v[4:5], s[6:7], v[4:5]
	s_cbranch_scc1 .LBB7_525
; %bb.519:
	s_and_b32 s29, 0xffff, s0
	s_delay_alu instid0(SALU_CYCLE_1)
	s_cmp_gt_i32 s29, 25
	s_cbranch_scc0 .LBB7_526
; %bb.520:
	s_cmp_gt_i32 s29, 28
	s_cbranch_scc0 .LBB7_527
; %bb.521:
	;; [unrolled: 3-line block ×4, first 2 shown]
	s_cmp_eq_u32 s29, 46
	s_mov_b32 s49, 0
	s_cbranch_scc0 .LBB7_532
; %bb.524:
	global_load_b32 v1, v[4:5], off
	s_mov_b32 s31, 0
	s_mov_b32 s48, -1
	s_wait_loadcnt 0x0
	v_and_b32_e32 v1, 0x7fff7fff, v1
	s_delay_alu instid0(VALU_DEP_1)
	v_cmp_ne_u32_e64 s47, 0, v1
	s_branch .LBB7_534
.LBB7_525:
	s_mov_b32 s29, -1
	s_mov_b32 s48, 0
	s_mov_b32 s31, s43
                                        ; implicit-def: $sgpr47
	s_branch .LBB7_581
.LBB7_526:
	s_mov_b32 s49, -1
	s_mov_b32 s48, 0
	s_mov_b32 s31, s43
                                        ; implicit-def: $sgpr47
	s_branch .LBB7_555
.LBB7_527:
	s_mov_b32 s49, -1
	s_mov_b32 s48, 0
	s_mov_b32 s31, s43
                                        ; implicit-def: $sgpr47
	s_branch .LBB7_542
.LBB7_528:
	s_mov_b32 s49, -1
	s_mov_b32 s48, 0
	s_mov_b32 s31, s43
                                        ; implicit-def: $sgpr47
	s_branch .LBB7_537
.LBB7_529:
	s_mov_b32 s49, -1
	s_mov_b32 s48, 0
	s_mov_b32 s31, s43
	s_branch .LBB7_533
.LBB7_530:
	v_bfe_u32 v1, v4, 20, 1
	s_mov_b32 s44, exec_lo
	s_delay_alu instid0(VALU_DEP_1) | instskip(NEXT) | instid1(VALU_DEP_1)
	v_add3_u32 v1, v4, v1, 0x487ffff
                                        ; implicit-def: $vgpr4
	v_lshrrev_b32_e32 v1, 20, v1
	s_and_not1_saveexec_b32 s45, s45
	s_cbranch_execz .LBB7_285
.LBB7_531:
	v_add_f32_e32 v1, 0x46000000, v4
	s_and_not1_b32 s44, s44, exec_lo
	s_delay_alu instid0(VALU_DEP_1) | instskip(NEXT) | instid1(VALU_DEP_1)
	v_and_b32_e32 v1, 0xff, v1
	v_cmp_ne_u32_e32 vcc_lo, 0, v1
	s_and_b32 s47, vcc_lo, exec_lo
	s_delay_alu instid0(SALU_CYCLE_1)
	s_or_b32 s44, s44, s47
	s_or_b32 exec_lo, exec_lo, s45
	v_mov_b32_e32 v5, 0
	s_and_saveexec_b32 s45, s44
	s_cbranch_execnz .LBB7_286
	s_branch .LBB7_287
.LBB7_532:
	s_mov_b32 s31, -1
	s_mov_b32 s48, 0
.LBB7_533:
                                        ; implicit-def: $sgpr47
.LBB7_534:
	s_and_b32 vcc_lo, exec_lo, s49
	s_cbranch_vccz .LBB7_536
; %bb.535:
	s_cmp_eq_u32 s29, 44
	s_cselect_b32 s48, -1, 0
	s_or_b32 s47, s47, exec_lo
	s_or_b32 s31, s31, exec_lo
.LBB7_536:
	s_mov_b32 s49, 0
.LBB7_537:
	s_delay_alu instid0(SALU_CYCLE_1)
	s_and_b32 vcc_lo, exec_lo, s49
	s_cbranch_vccz .LBB7_541
; %bb.538:
	s_cmp_eq_u32 s29, 29
	s_cbranch_scc0 .LBB7_540
; %bb.539:
	global_load_b64 v[6:7], v[4:5], off
	s_mov_b32 s48, -1
	s_mov_b32 s31, 0
	s_mov_b32 s49, 0
	s_wait_loadcnt 0x0
	v_cmp_ne_u64_e64 s47, 0, v[6:7]
	s_branch .LBB7_542
.LBB7_540:
	s_mov_b32 s31, -1
                                        ; implicit-def: $sgpr47
.LBB7_541:
	s_mov_b32 s49, 0
.LBB7_542:
	s_delay_alu instid0(SALU_CYCLE_1)
	s_and_b32 vcc_lo, exec_lo, s49
	s_cbranch_vccz .LBB7_554
; %bb.543:
	s_cmp_lt_i32 s29, 27
	s_cbranch_scc1 .LBB7_546
; %bb.544:
	s_cmp_gt_i32 s29, 27
	s_cbranch_scc0 .LBB7_547
; %bb.545:
	global_load_b32 v1, v[4:5], off
	s_mov_b32 s48, 0
	s_wait_loadcnt 0x0
	v_cmp_ne_u32_e64 s47, 0, v1
	s_branch .LBB7_548
.LBB7_546:
	s_mov_b32 s48, -1
                                        ; implicit-def: $sgpr47
	s_branch .LBB7_551
.LBB7_547:
	s_mov_b32 s48, -1
                                        ; implicit-def: $sgpr47
.LBB7_548:
	s_delay_alu instid0(SALU_CYCLE_1)
	s_and_not1_b32 vcc_lo, exec_lo, s48
	s_cbranch_vccnz .LBB7_550
; %bb.549:
	global_load_u16 v1, v[4:5], off
	s_and_not1_b32 s47, s47, exec_lo
	s_wait_loadcnt 0x0
	v_cmp_ne_u16_e32 vcc_lo, 0, v1
	s_and_b32 s48, vcc_lo, exec_lo
	s_delay_alu instid0(SALU_CYCLE_1)
	s_or_b32 s47, s47, s48
.LBB7_550:
	s_mov_b32 s48, 0
.LBB7_551:
	s_delay_alu instid0(SALU_CYCLE_1)
	s_and_not1_b32 vcc_lo, exec_lo, s48
	s_cbranch_vccnz .LBB7_553
; %bb.552:
	global_load_u8 v1, v[4:5], off
	s_and_not1_b32 s47, s47, exec_lo
	s_wait_loadcnt 0x0
	v_cmp_ne_u16_e32 vcc_lo, 0, v1
	s_and_b32 s48, vcc_lo, exec_lo
	s_delay_alu instid0(SALU_CYCLE_1)
	s_or_b32 s47, s47, s48
.LBB7_553:
	s_mov_b32 s48, -1
.LBB7_554:
	s_mov_b32 s49, 0
.LBB7_555:
	s_delay_alu instid0(SALU_CYCLE_1)
	s_and_b32 vcc_lo, exec_lo, s49
	s_cbranch_vccz .LBB7_580
; %bb.556:
	s_cmp_gt_i32 s29, 22
	s_cbranch_scc0 .LBB7_560
; %bb.557:
	s_cmp_lt_i32 s29, 24
	s_cbranch_scc1 .LBB7_561
; %bb.558:
	s_cmp_gt_i32 s29, 24
	s_cbranch_scc0 .LBB7_562
; %bb.559:
	global_load_u8 v1, v[4:5], off
	s_mov_b32 s48, 0
	s_wait_loadcnt 0x0
	v_cmp_ne_u16_e64 s47, 0, v1
	s_branch .LBB7_563
.LBB7_560:
	s_mov_b32 s49, -1
                                        ; implicit-def: $sgpr47
	s_branch .LBB7_569
.LBB7_561:
	s_mov_b32 s48, -1
                                        ; implicit-def: $sgpr47
	s_branch .LBB7_566
.LBB7_562:
	s_mov_b32 s48, -1
                                        ; implicit-def: $sgpr47
.LBB7_563:
	s_delay_alu instid0(SALU_CYCLE_1)
	s_and_not1_b32 vcc_lo, exec_lo, s48
	s_cbranch_vccnz .LBB7_565
; %bb.564:
	global_load_u8 v1, v[4:5], off
	s_and_not1_b32 s47, s47, exec_lo
	s_wait_loadcnt 0x0
	v_and_b32_e32 v1, 0x7f, v1
	s_delay_alu instid0(VALU_DEP_1) | instskip(SKIP_1) | instid1(SALU_CYCLE_1)
	v_cmp_ne_u16_e32 vcc_lo, 0, v1
	s_and_b32 s48, vcc_lo, exec_lo
	s_or_b32 s47, s47, s48
.LBB7_565:
	s_mov_b32 s48, 0
.LBB7_566:
	s_delay_alu instid0(SALU_CYCLE_1)
	s_and_not1_b32 vcc_lo, exec_lo, s48
	s_cbranch_vccnz .LBB7_568
; %bb.567:
	global_load_u8 v1, v[4:5], off
	s_and_not1_b32 s47, s47, exec_lo
	s_wait_loadcnt 0x0
	v_dual_lshlrev_b32 v3, 25, v1 :: v_dual_lshlrev_b32 v1, 8, v1
	s_delay_alu instid0(VALU_DEP_1) | instskip(NEXT) | instid1(VALU_DEP_2)
	v_cmp_gt_u32_e32 vcc_lo, 0x8000000, v3
	v_and_or_b32 v1, 0x7f00, v1, 0.5
	s_wait_xcnt 0x1
	s_delay_alu instid0(VALU_DEP_1) | instskip(NEXT) | instid1(VALU_DEP_1)
	v_dual_add_f32 v1, -0.5, v1 :: v_dual_lshrrev_b32 v6, 4, v3
	v_or_b32_e32 v6, 0x70000000, v6
	s_delay_alu instid0(VALU_DEP_1) | instskip(NEXT) | instid1(VALU_DEP_1)
	v_mul_f32_e32 v6, 0x7800000, v6
	v_cndmask_b32_e32 v1, v6, v1, vcc_lo
	s_delay_alu instid0(VALU_DEP_1) | instskip(SKIP_1) | instid1(SALU_CYCLE_1)
	v_cmp_neq_f32_e32 vcc_lo, 0, v1
	s_and_b32 s48, vcc_lo, exec_lo
	s_or_b32 s47, s47, s48
.LBB7_568:
	s_mov_b32 s49, 0
	s_mov_b32 s48, -1
.LBB7_569:
	s_and_not1_b32 vcc_lo, exec_lo, s49
	s_cbranch_vccnz .LBB7_580
; %bb.570:
	s_cmp_gt_i32 s29, 14
	s_cbranch_scc0 .LBB7_573
; %bb.571:
	s_cmp_eq_u32 s29, 15
	s_cbranch_scc0 .LBB7_574
; %bb.572:
	global_load_u16 v1, v[4:5], off
	s_mov_b32 s31, 0
	s_mov_b32 s48, -1
	s_wait_loadcnt 0x0
	v_and_b32_e32 v1, 0x7fff, v1
	s_delay_alu instid0(VALU_DEP_1)
	v_cmp_ne_u16_e64 s47, 0, v1
	s_branch .LBB7_575
.LBB7_573:
	s_mov_b32 s49, -1
                                        ; implicit-def: $sgpr47
	s_branch .LBB7_576
.LBB7_574:
	s_mov_b32 s31, -1
                                        ; implicit-def: $sgpr47
.LBB7_575:
	s_mov_b32 s49, 0
.LBB7_576:
	s_delay_alu instid0(SALU_CYCLE_1)
	s_and_b32 vcc_lo, exec_lo, s49
	s_cbranch_vccz .LBB7_580
; %bb.577:
	s_cmp_eq_u32 s29, 11
	s_cbranch_scc0 .LBB7_579
; %bb.578:
	global_load_u8 v1, v[4:5], off
	s_mov_b32 s31, 0
	s_mov_b32 s48, -1
	s_wait_loadcnt 0x0
	v_cmp_ne_u16_e64 s47, 0, v1
	s_branch .LBB7_580
.LBB7_579:
	s_mov_b32 s31, -1
                                        ; implicit-def: $sgpr47
.LBB7_580:
	s_mov_b32 s29, 0
.LBB7_581:
	s_delay_alu instid0(SALU_CYCLE_1)
	s_and_b32 vcc_lo, exec_lo, s29
	s_cbranch_vccz .LBB7_630
; %bb.582:
	s_and_b32 s29, 0xffff, s0
	s_delay_alu instid0(SALU_CYCLE_1)
	s_cmp_lt_i32 s29, 5
	s_cbranch_scc1 .LBB7_587
; %bb.583:
	s_cmp_lt_i32 s29, 8
	s_cbranch_scc1 .LBB7_588
; %bb.584:
	;; [unrolled: 3-line block ×3, first 2 shown]
	s_cmp_gt_i32 s29, 9
	s_cbranch_scc0 .LBB7_590
; %bb.586:
	global_load_b128 v[6:9], v[4:5], off
	s_wait_loadcnt 0x0
	v_cmp_neq_f64_e32 vcc_lo, 0, v[6:7]
	v_cmp_neq_f64_e64 s0, 0, v[8:9]
	s_or_b32 s47, vcc_lo, s0
	s_mov_b32 s0, 0
	s_branch .LBB7_591
.LBB7_587:
	s_mov_b32 s0, -1
                                        ; implicit-def: $sgpr47
	s_branch .LBB7_609
.LBB7_588:
	s_mov_b32 s0, -1
                                        ; implicit-def: $sgpr47
	s_branch .LBB7_597
.LBB7_589:
	s_mov_b32 s0, -1
                                        ; implicit-def: $sgpr47
	s_branch .LBB7_594
.LBB7_590:
	s_mov_b32 s0, -1
                                        ; implicit-def: $sgpr47
.LBB7_591:
	s_delay_alu instid0(SALU_CYCLE_1)
	s_and_not1_b32 vcc_lo, exec_lo, s0
	s_cbranch_vccnz .LBB7_593
; %bb.592:
	global_load_b64 v[6:7], v[4:5], off
	s_and_not1_b32 s0, s47, exec_lo
	s_wait_loadcnt 0x0
	v_bitop3_b32 v1, v6, 0x7fffffff, v7 bitop3:0xc8
	s_delay_alu instid0(VALU_DEP_1) | instskip(SKIP_1) | instid1(SALU_CYCLE_1)
	v_cmp_ne_u32_e32 vcc_lo, 0, v1
	s_and_b32 s47, vcc_lo, exec_lo
	s_or_b32 s47, s0, s47
.LBB7_593:
	s_mov_b32 s0, 0
.LBB7_594:
	s_delay_alu instid0(SALU_CYCLE_1)
	s_and_not1_b32 vcc_lo, exec_lo, s0
	s_cbranch_vccnz .LBB7_596
; %bb.595:
	global_load_b32 v1, v[4:5], off
	s_and_not1_b32 s0, s47, exec_lo
	s_wait_loadcnt 0x0
	v_and_b32_e32 v1, 0x7fff7fff, v1
	s_delay_alu instid0(VALU_DEP_1) | instskip(SKIP_1) | instid1(SALU_CYCLE_1)
	v_cmp_ne_u32_e32 vcc_lo, 0, v1
	s_and_b32 s47, vcc_lo, exec_lo
	s_or_b32 s47, s0, s47
.LBB7_596:
	s_mov_b32 s0, 0
.LBB7_597:
	s_delay_alu instid0(SALU_CYCLE_1)
	s_and_not1_b32 vcc_lo, exec_lo, s0
	s_cbranch_vccnz .LBB7_608
; %bb.598:
	s_cmp_lt_i32 s29, 6
	s_cbranch_scc1 .LBB7_601
; %bb.599:
	s_cmp_gt_i32 s29, 6
	s_cbranch_scc0 .LBB7_602
; %bb.600:
	global_load_b64 v[6:7], v[4:5], off
	s_mov_b32 s0, 0
	s_wait_loadcnt 0x0
	v_cmp_neq_f64_e64 s47, 0, v[6:7]
	s_branch .LBB7_603
.LBB7_601:
	s_mov_b32 s0, -1
                                        ; implicit-def: $sgpr47
	s_branch .LBB7_606
.LBB7_602:
	s_mov_b32 s0, -1
                                        ; implicit-def: $sgpr47
.LBB7_603:
	s_delay_alu instid0(SALU_CYCLE_1)
	s_and_not1_b32 vcc_lo, exec_lo, s0
	s_cbranch_vccnz .LBB7_605
; %bb.604:
	global_load_b32 v1, v[4:5], off
	s_and_not1_b32 s0, s47, exec_lo
	s_wait_loadcnt 0x0
	v_cmp_neq_f32_e32 vcc_lo, 0, v1
	s_and_b32 s47, vcc_lo, exec_lo
	s_delay_alu instid0(SALU_CYCLE_1)
	s_or_b32 s47, s0, s47
.LBB7_605:
	s_mov_b32 s0, 0
.LBB7_606:
	s_delay_alu instid0(SALU_CYCLE_1)
	s_and_not1_b32 vcc_lo, exec_lo, s0
	s_cbranch_vccnz .LBB7_608
; %bb.607:
	global_load_u16 v1, v[4:5], off
	s_and_not1_b32 s0, s47, exec_lo
	s_wait_loadcnt 0x0
	v_and_b32_e32 v1, 0x7fff, v1
	s_delay_alu instid0(VALU_DEP_1) | instskip(SKIP_1) | instid1(SALU_CYCLE_1)
	v_cmp_ne_u16_e32 vcc_lo, 0, v1
	s_and_b32 s47, vcc_lo, exec_lo
	s_or_b32 s47, s0, s47
.LBB7_608:
	s_mov_b32 s0, 0
.LBB7_609:
	s_delay_alu instid0(SALU_CYCLE_1)
	s_and_not1_b32 vcc_lo, exec_lo, s0
	s_cbranch_vccnz .LBB7_629
; %bb.610:
	s_cmp_lt_i32 s29, 2
	s_cbranch_scc1 .LBB7_614
; %bb.611:
	s_cmp_lt_i32 s29, 3
	s_cbranch_scc1 .LBB7_615
; %bb.612:
	s_cmp_gt_i32 s29, 3
	s_cbranch_scc0 .LBB7_616
; %bb.613:
	global_load_b64 v[6:7], v[4:5], off
	s_mov_b32 s0, 0
	s_wait_loadcnt 0x0
	v_cmp_ne_u64_e64 s47, 0, v[6:7]
	s_branch .LBB7_617
.LBB7_614:
	s_mov_b32 s0, -1
                                        ; implicit-def: $sgpr47
	s_branch .LBB7_623
.LBB7_615:
	s_mov_b32 s0, -1
                                        ; implicit-def: $sgpr47
	s_branch .LBB7_620
.LBB7_616:
	s_mov_b32 s0, -1
                                        ; implicit-def: $sgpr47
.LBB7_617:
	s_delay_alu instid0(SALU_CYCLE_1)
	s_and_not1_b32 vcc_lo, exec_lo, s0
	s_cbranch_vccnz .LBB7_619
; %bb.618:
	global_load_b32 v1, v[4:5], off
	s_and_not1_b32 s0, s47, exec_lo
	s_wait_loadcnt 0x0
	v_cmp_ne_u32_e32 vcc_lo, 0, v1
	s_and_b32 s47, vcc_lo, exec_lo
	s_delay_alu instid0(SALU_CYCLE_1)
	s_or_b32 s47, s0, s47
.LBB7_619:
	s_mov_b32 s0, 0
.LBB7_620:
	s_delay_alu instid0(SALU_CYCLE_1)
	s_and_not1_b32 vcc_lo, exec_lo, s0
	s_cbranch_vccnz .LBB7_622
; %bb.621:
	global_load_u16 v1, v[4:5], off
	s_and_not1_b32 s0, s47, exec_lo
	s_wait_loadcnt 0x0
	v_cmp_ne_u16_e32 vcc_lo, 0, v1
	s_and_b32 s47, vcc_lo, exec_lo
	s_delay_alu instid0(SALU_CYCLE_1)
	s_or_b32 s47, s0, s47
.LBB7_622:
	s_mov_b32 s0, 0
.LBB7_623:
	s_delay_alu instid0(SALU_CYCLE_1)
	s_and_not1_b32 vcc_lo, exec_lo, s0
	s_cbranch_vccnz .LBB7_629
; %bb.624:
	s_cmp_gt_i32 s29, 0
	s_mov_b32 s0, 0
	s_cbranch_scc0 .LBB7_626
; %bb.625:
	global_load_u8 v1, v[4:5], off
	s_wait_loadcnt 0x0
	v_cmp_ne_u16_e64 s47, 0, v1
	s_branch .LBB7_627
.LBB7_626:
	s_mov_b32 s0, -1
                                        ; implicit-def: $sgpr47
.LBB7_627:
	s_delay_alu instid0(SALU_CYCLE_1)
	s_and_not1_b32 vcc_lo, exec_lo, s0
	s_cbranch_vccnz .LBB7_629
; %bb.628:
	global_load_u8 v1, v[4:5], off
	s_and_not1_b32 s0, s47, exec_lo
	s_wait_loadcnt 0x0
	v_cmp_ne_u16_e32 vcc_lo, 0, v1
	s_and_b32 s29, vcc_lo, exec_lo
	s_delay_alu instid0(SALU_CYCLE_1)
	s_or_b32 s47, s0, s29
.LBB7_629:
	s_mov_b32 s48, -1
.LBB7_630:
	s_mov_b32 s29, 0
	s_and_not1_b32 vcc_lo, exec_lo, s48
	s_mov_b32 s0, s24
	s_cbranch_vccnz .LBB7_753
; %bb.631:
	v_mov_b32_e32 v3, 0
	s_delay_alu instid0(VALU_DEP_2)
	s_and_b32 s0, s30, s47
	s_and_b32 s31, s9, 0xff
	;; [unrolled: 1-line block ×3, first 2 shown]
	s_cmp_lt_i32 s31, 11
	v_add_nc_u64_e32 v[2:3], s[16:17], v[2:3]
	s_cbranch_scc1 .LBB7_638
; %bb.632:
	s_and_b32 s47, 0xffff, s31
	s_delay_alu instid0(SALU_CYCLE_1)
	s_cmp_gt_i32 s47, 25
	s_cbranch_scc0 .LBB7_639
; %bb.633:
	s_cmp_gt_i32 s47, 28
	s_cbranch_scc0 .LBB7_640
; %bb.634:
	;; [unrolled: 3-line block ×4, first 2 shown]
	s_mov_b32 s49, 0
	s_mov_b32 s0, -1
	s_cmp_eq_u32 s47, 46
	s_mov_b32 s48, 0
	s_cbranch_scc0 .LBB7_643
; %bb.637:
	v_cndmask_b32_e64 v1, 0, 1.0, s30
	s_mov_b32 s48, -1
	s_mov_b32 s0, 0
	s_wait_xcnt 0x0
	s_delay_alu instid0(VALU_DEP_1) | instskip(NEXT) | instid1(VALU_DEP_1)
	v_bfe_u32 v4, v1, 16, 1
	v_add3_u32 v1, v1, v4, 0x7fff
	s_delay_alu instid0(VALU_DEP_1)
	v_lshrrev_b32_e32 v1, 16, v1
	global_store_b32 v[2:3], v1, off
	s_branch .LBB7_643
.LBB7_638:
	s_mov_b32 s47, -1
	s_mov_b32 s48, 0
	s_mov_b32 s0, s24
	s_branch .LBB7_712
.LBB7_639:
	s_mov_b32 s49, -1
	s_mov_b32 s48, 0
	s_mov_b32 s0, s24
	s_branch .LBB7_670
.LBB7_640:
	s_mov_b32 s49, -1
	s_mov_b32 s48, 0
	s_mov_b32 s0, s24
	s_branch .LBB7_653
.LBB7_641:
	s_mov_b32 s49, -1
	s_mov_b32 s48, 0
	s_mov_b32 s0, s24
	s_branch .LBB7_649
.LBB7_642:
	s_mov_b32 s49, -1
	s_mov_b32 s48, 0
	s_mov_b32 s0, s24
.LBB7_643:
	s_and_b32 vcc_lo, exec_lo, s49
	s_cbranch_vccz .LBB7_648
; %bb.644:
	s_cmp_eq_u32 s47, 44
	s_mov_b32 s0, -1
	s_cbranch_scc0 .LBB7_648
; %bb.645:
	s_wait_xcnt 0x0
	v_cndmask_b32_e64 v5, 0, 1.0, s30
	s_mov_b32 s48, exec_lo
	s_delay_alu instid0(VALU_DEP_1) | instskip(NEXT) | instid1(VALU_DEP_1)
	v_dual_mov_b32 v4, 0xff :: v_dual_lshrrev_b32 v1, 23, v5
	v_cmpx_ne_u32_e32 0xff, v1
; %bb.646:
	v_and_b32_e32 v4, 0x400000, v5
	v_and_or_b32 v5, 0x3fffff, v5, v1
	s_delay_alu instid0(VALU_DEP_2) | instskip(NEXT) | instid1(VALU_DEP_2)
	v_cmp_ne_u32_e32 vcc_lo, 0, v4
	v_cmp_ne_u32_e64 s0, 0, v5
	s_and_b32 s0, vcc_lo, s0
	s_delay_alu instid0(SALU_CYCLE_1) | instskip(NEXT) | instid1(VALU_DEP_1)
	v_cndmask_b32_e64 v4, 0, 1, s0
	v_add_nc_u32_e32 v4, v1, v4
; %bb.647:
	s_or_b32 exec_lo, exec_lo, s48
	s_mov_b32 s48, -1
	s_mov_b32 s0, 0
	global_store_b8 v[2:3], v4, off
.LBB7_648:
	s_mov_b32 s49, 0
.LBB7_649:
	s_delay_alu instid0(SALU_CYCLE_1)
	s_and_b32 vcc_lo, exec_lo, s49
	s_cbranch_vccz .LBB7_652
; %bb.650:
	s_cmp_eq_u32 s47, 29
	s_mov_b32 s0, -1
	s_cbranch_scc0 .LBB7_652
; %bb.651:
	s_mov_b32 s0, 0
	s_wait_xcnt 0x0
	v_cndmask_b32_e64 v4, 0, 1, s30
	v_mov_b32_e32 v5, s0
	s_mov_b32 s48, -1
	s_mov_b32 s49, 0
	global_store_b64 v[2:3], v[4:5], off
	s_branch .LBB7_653
.LBB7_652:
	s_mov_b32 s49, 0
.LBB7_653:
	s_delay_alu instid0(SALU_CYCLE_1)
	s_and_b32 vcc_lo, exec_lo, s49
	s_cbranch_vccz .LBB7_669
; %bb.654:
	s_cmp_lt_i32 s47, 27
	s_mov_b32 s48, -1
	s_cbranch_scc1 .LBB7_660
; %bb.655:
	s_cmp_gt_i32 s47, 27
	s_cbranch_scc0 .LBB7_657
; %bb.656:
	s_wait_xcnt 0x0
	v_cndmask_b32_e64 v1, 0, 1, s30
	s_mov_b32 s48, 0
	global_store_b32 v[2:3], v1, off
.LBB7_657:
	s_and_not1_b32 vcc_lo, exec_lo, s48
	s_cbranch_vccnz .LBB7_659
; %bb.658:
	s_wait_xcnt 0x0
	v_cndmask_b32_e64 v1, 0, 1, s30
	global_store_b16 v[2:3], v1, off
.LBB7_659:
	s_mov_b32 s48, 0
.LBB7_660:
	s_delay_alu instid0(SALU_CYCLE_1)
	s_and_not1_b32 vcc_lo, exec_lo, s48
	s_cbranch_vccnz .LBB7_668
; %bb.661:
	s_wait_xcnt 0x0
	v_cndmask_b32_e64 v4, 0, 1.0, s30
	v_mov_b32_e32 v5, 0x80
	s_mov_b32 s48, exec_lo
	s_delay_alu instid0(VALU_DEP_2)
	v_cmpx_gt_u32_e32 0x43800000, v4
	s_cbranch_execz .LBB7_667
; %bb.662:
	s_mov_b32 s49, 0
	s_mov_b32 s50, exec_lo
                                        ; implicit-def: $vgpr1
	v_cmpx_lt_u32_e32 0x3bffffff, v4
	s_xor_b32 s50, exec_lo, s50
	s_cbranch_execnz .LBB7_913
; %bb.663:
	s_and_not1_saveexec_b32 s50, s50
	s_cbranch_execnz .LBB7_914
.LBB7_664:
	s_or_b32 exec_lo, exec_lo, s50
	v_mov_b32_e32 v5, 0
	s_and_saveexec_b32 s50, s49
.LBB7_665:
	v_mov_b32_e32 v5, v1
.LBB7_666:
	s_or_b32 exec_lo, exec_lo, s50
.LBB7_667:
	s_delay_alu instid0(SALU_CYCLE_1)
	s_or_b32 exec_lo, exec_lo, s48
	global_store_b8 v[2:3], v5, off
.LBB7_668:
	s_mov_b32 s48, -1
.LBB7_669:
	s_mov_b32 s49, 0
.LBB7_670:
	s_delay_alu instid0(SALU_CYCLE_1)
	s_and_b32 vcc_lo, exec_lo, s49
	s_cbranch_vccz .LBB7_711
; %bb.671:
	s_cmp_gt_i32 s47, 22
	s_mov_b32 s49, -1
	s_cbranch_scc0 .LBB7_703
; %bb.672:
	s_cmp_lt_i32 s47, 24
	s_mov_b32 s48, -1
	s_cbranch_scc1 .LBB7_692
; %bb.673:
	s_cmp_gt_i32 s47, 24
	s_cbranch_scc0 .LBB7_681
; %bb.674:
	s_wait_xcnt 0x0
	v_cndmask_b32_e64 v4, 0, 1.0, s30
	v_mov_b32_e32 v5, 0x80
	s_mov_b32 s48, exec_lo
	s_delay_alu instid0(VALU_DEP_2)
	v_cmpx_gt_u32_e32 0x47800000, v4
	s_cbranch_execz .LBB7_680
; %bb.675:
	s_mov_b32 s49, 0
	s_mov_b32 s50, exec_lo
                                        ; implicit-def: $vgpr1
	v_cmpx_lt_u32_e32 0x37ffffff, v4
	s_xor_b32 s50, exec_lo, s50
	s_cbranch_execnz .LBB7_2084
; %bb.676:
	s_and_not1_saveexec_b32 s50, s50
	s_cbranch_execnz .LBB7_2085
.LBB7_677:
	s_or_b32 exec_lo, exec_lo, s50
	v_mov_b32_e32 v5, 0
	s_and_saveexec_b32 s50, s49
.LBB7_678:
	v_mov_b32_e32 v5, v1
.LBB7_679:
	s_or_b32 exec_lo, exec_lo, s50
.LBB7_680:
	s_delay_alu instid0(SALU_CYCLE_1)
	s_or_b32 exec_lo, exec_lo, s48
	s_mov_b32 s48, 0
	global_store_b8 v[2:3], v5, off
.LBB7_681:
	s_and_b32 vcc_lo, exec_lo, s48
	s_cbranch_vccz .LBB7_691
; %bb.682:
	s_wait_xcnt 0x0
	v_cndmask_b32_e64 v4, 0, 1.0, s30
	s_mov_b32 s48, exec_lo
                                        ; implicit-def: $vgpr1
	s_delay_alu instid0(VALU_DEP_1)
	v_cmpx_gt_u32_e32 0x43f00000, v4
	s_xor_b32 s48, exec_lo, s48
	s_cbranch_execz .LBB7_688
; %bb.683:
	s_mov_b32 s49, exec_lo
                                        ; implicit-def: $vgpr1
	v_cmpx_lt_u32_e32 0x3c7fffff, v4
	s_xor_b32 s49, exec_lo, s49
; %bb.684:
	v_bfe_u32 v1, v4, 20, 1
	s_delay_alu instid0(VALU_DEP_1) | instskip(NEXT) | instid1(VALU_DEP_1)
	v_add3_u32 v1, v4, v1, 0x407ffff
	v_and_b32_e32 v4, 0xff00000, v1
	v_lshrrev_b32_e32 v1, 20, v1
	s_delay_alu instid0(VALU_DEP_2) | instskip(NEXT) | instid1(VALU_DEP_2)
	v_cmp_ne_u32_e32 vcc_lo, 0x7f00000, v4
                                        ; implicit-def: $vgpr4
	v_cndmask_b32_e32 v1, 0x7e, v1, vcc_lo
; %bb.685:
	s_and_not1_saveexec_b32 s49, s49
; %bb.686:
	v_add_f32_e32 v1, 0x46800000, v4
; %bb.687:
	s_or_b32 exec_lo, exec_lo, s49
                                        ; implicit-def: $vgpr4
.LBB7_688:
	s_and_not1_saveexec_b32 s48, s48
; %bb.689:
	v_mov_b32_e32 v1, 0x7f
	v_cmp_lt_u32_e32 vcc_lo, 0x7f800000, v4
	s_delay_alu instid0(VALU_DEP_2)
	v_cndmask_b32_e32 v1, 0x7e, v1, vcc_lo
; %bb.690:
	s_or_b32 exec_lo, exec_lo, s48
	global_store_b8 v[2:3], v1, off
.LBB7_691:
	s_mov_b32 s48, 0
.LBB7_692:
	s_delay_alu instid0(SALU_CYCLE_1)
	s_and_not1_b32 vcc_lo, exec_lo, s48
	s_cbranch_vccnz .LBB7_702
; %bb.693:
	s_wait_xcnt 0x0
	v_cndmask_b32_e64 v4, 0, 1.0, s30
	s_mov_b32 s48, exec_lo
                                        ; implicit-def: $vgpr1
	s_delay_alu instid0(VALU_DEP_1)
	v_cmpx_gt_u32_e32 0x47800000, v4
	s_xor_b32 s48, exec_lo, s48
	s_cbranch_execz .LBB7_699
; %bb.694:
	s_mov_b32 s49, exec_lo
                                        ; implicit-def: $vgpr1
	v_cmpx_lt_u32_e32 0x387fffff, v4
	s_xor_b32 s49, exec_lo, s49
; %bb.695:
	v_bfe_u32 v1, v4, 21, 1
	s_delay_alu instid0(VALU_DEP_1) | instskip(NEXT) | instid1(VALU_DEP_1)
	v_add3_u32 v1, v4, v1, 0x80fffff
                                        ; implicit-def: $vgpr4
	v_lshrrev_b32_e32 v1, 21, v1
; %bb.696:
	s_and_not1_saveexec_b32 s49, s49
; %bb.697:
	v_add_f32_e32 v1, 0x43000000, v4
; %bb.698:
	s_or_b32 exec_lo, exec_lo, s49
                                        ; implicit-def: $vgpr4
.LBB7_699:
	s_and_not1_saveexec_b32 s48, s48
; %bb.700:
	v_mov_b32_e32 v1, 0x7f
	v_cmp_lt_u32_e32 vcc_lo, 0x7f800000, v4
	s_delay_alu instid0(VALU_DEP_2)
	v_cndmask_b32_e32 v1, 0x7c, v1, vcc_lo
; %bb.701:
	s_or_b32 exec_lo, exec_lo, s48
	global_store_b8 v[2:3], v1, off
.LBB7_702:
	s_mov_b32 s49, 0
	s_mov_b32 s48, -1
.LBB7_703:
	s_and_not1_b32 vcc_lo, exec_lo, s49
	s_cbranch_vccnz .LBB7_711
; %bb.704:
	s_cmp_gt_i32 s47, 14
	s_mov_b32 s49, -1
	s_cbranch_scc0 .LBB7_708
; %bb.705:
	s_cmp_eq_u32 s47, 15
	s_mov_b32 s0, -1
	s_cbranch_scc0 .LBB7_707
; %bb.706:
	s_wait_xcnt 0x0
	v_cndmask_b32_e64 v1, 0, 1.0, s30
	s_mov_b32 s48, -1
	s_mov_b32 s0, 0
	s_delay_alu instid0(VALU_DEP_1) | instskip(NEXT) | instid1(VALU_DEP_1)
	v_bfe_u32 v4, v1, 16, 1
	v_add3_u32 v1, v1, v4, 0x7fff
	global_store_d16_hi_b16 v[2:3], v1, off
.LBB7_707:
	s_mov_b32 s49, 0
.LBB7_708:
	s_delay_alu instid0(SALU_CYCLE_1)
	s_and_b32 vcc_lo, exec_lo, s49
	s_cbranch_vccz .LBB7_711
; %bb.709:
	s_cmp_eq_u32 s47, 11
	s_mov_b32 s0, -1
	s_cbranch_scc0 .LBB7_711
; %bb.710:
	s_wait_xcnt 0x0
	v_cndmask_b32_e64 v1, 0, 1, s30
	s_mov_b32 s48, -1
	s_mov_b32 s0, 0
	global_store_b8 v[2:3], v1, off
.LBB7_711:
	s_mov_b32 s47, 0
.LBB7_712:
	s_delay_alu instid0(SALU_CYCLE_1)
	s_and_b32 vcc_lo, exec_lo, s47
	s_cbranch_vccz .LBB7_751
; %bb.713:
	s_and_b32 s31, 0xffff, s31
	s_mov_b32 s47, -1
	s_cmp_lt_i32 s31, 5
	s_cbranch_scc1 .LBB7_734
; %bb.714:
	s_cmp_lt_i32 s31, 8
	s_cbranch_scc1 .LBB7_724
; %bb.715:
	;; [unrolled: 3-line block ×3, first 2 shown]
	s_cmp_gt_i32 s31, 9
	s_cbranch_scc0 .LBB7_718
; %bb.717:
	s_wait_xcnt 0x0
	v_cndmask_b32_e64 v1, 0, 1, s30
	v_mov_b32_e32 v6, 0
	s_mov_b32 s47, 0
	s_delay_alu instid0(VALU_DEP_2) | instskip(NEXT) | instid1(VALU_DEP_2)
	v_cvt_f64_u32_e32 v[4:5], v1
	v_mov_b32_e32 v7, v6
	global_store_b128 v[2:3], v[4:7], off
.LBB7_718:
	s_and_not1_b32 vcc_lo, exec_lo, s47
	s_cbranch_vccnz .LBB7_720
; %bb.719:
	s_wait_xcnt 0x0
	v_cndmask_b32_e64 v4, 0, 1.0, s30
	v_mov_b32_e32 v5, 0
	global_store_b64 v[2:3], v[4:5], off
.LBB7_720:
	s_mov_b32 s47, 0
.LBB7_721:
	s_delay_alu instid0(SALU_CYCLE_1)
	s_and_not1_b32 vcc_lo, exec_lo, s47
	s_cbranch_vccnz .LBB7_723
; %bb.722:
	s_wait_xcnt 0x0
	v_cndmask_b32_e64 v1, 0, 1.0, s30
	s_delay_alu instid0(VALU_DEP_1) | instskip(NEXT) | instid1(VALU_DEP_1)
	v_cvt_f16_f32_e32 v1, v1
	v_and_b32_e32 v1, 0xffff, v1
	global_store_b32 v[2:3], v1, off
.LBB7_723:
	s_mov_b32 s47, 0
.LBB7_724:
	s_delay_alu instid0(SALU_CYCLE_1)
	s_and_not1_b32 vcc_lo, exec_lo, s47
	s_cbranch_vccnz .LBB7_733
; %bb.725:
	s_cmp_lt_i32 s31, 6
	s_mov_b32 s47, -1
	s_cbranch_scc1 .LBB7_731
; %bb.726:
	s_cmp_gt_i32 s31, 6
	s_cbranch_scc0 .LBB7_728
; %bb.727:
	s_wait_xcnt 0x0
	v_cndmask_b32_e64 v1, 0, 1, s30
	s_mov_b32 s47, 0
	s_delay_alu instid0(VALU_DEP_1)
	v_cvt_f64_u32_e32 v[4:5], v1
	global_store_b64 v[2:3], v[4:5], off
.LBB7_728:
	s_and_not1_b32 vcc_lo, exec_lo, s47
	s_cbranch_vccnz .LBB7_730
; %bb.729:
	s_wait_xcnt 0x0
	v_cndmask_b32_e64 v1, 0, 1.0, s30
	global_store_b32 v[2:3], v1, off
.LBB7_730:
	s_mov_b32 s47, 0
.LBB7_731:
	s_delay_alu instid0(SALU_CYCLE_1)
	s_and_not1_b32 vcc_lo, exec_lo, s47
	s_cbranch_vccnz .LBB7_733
; %bb.732:
	s_wait_xcnt 0x0
	v_cndmask_b32_e64 v1, 0, 1.0, s30
	s_delay_alu instid0(VALU_DEP_1)
	v_cvt_f16_f32_e32 v1, v1
	global_store_b16 v[2:3], v1, off
.LBB7_733:
	s_mov_b32 s47, 0
.LBB7_734:
	s_delay_alu instid0(SALU_CYCLE_1)
	s_and_not1_b32 vcc_lo, exec_lo, s47
	s_cbranch_vccnz .LBB7_750
; %bb.735:
	s_cmp_lt_i32 s31, 2
	s_mov_b32 s47, -1
	s_cbranch_scc1 .LBB7_745
; %bb.736:
	s_cmp_lt_i32 s31, 3
	s_cbranch_scc1 .LBB7_742
; %bb.737:
	s_cmp_gt_i32 s31, 3
	s_cbranch_scc0 .LBB7_739
; %bb.738:
	s_mov_b32 s47, 0
	s_wait_xcnt 0x0
	v_cndmask_b32_e64 v4, 0, 1, s30
	v_mov_b32_e32 v5, s47
	global_store_b64 v[2:3], v[4:5], off
.LBB7_739:
	s_and_not1_b32 vcc_lo, exec_lo, s47
	s_cbranch_vccnz .LBB7_741
; %bb.740:
	s_wait_xcnt 0x0
	v_cndmask_b32_e64 v1, 0, 1, s30
	global_store_b32 v[2:3], v1, off
.LBB7_741:
	s_mov_b32 s47, 0
.LBB7_742:
	s_delay_alu instid0(SALU_CYCLE_1)
	s_and_not1_b32 vcc_lo, exec_lo, s47
	s_cbranch_vccnz .LBB7_744
; %bb.743:
	s_wait_xcnt 0x0
	v_cndmask_b32_e64 v1, 0, 1, s30
	global_store_b16 v[2:3], v1, off
.LBB7_744:
	s_mov_b32 s47, 0
.LBB7_745:
	s_delay_alu instid0(SALU_CYCLE_1)
	s_and_not1_b32 vcc_lo, exec_lo, s47
	s_cbranch_vccnz .LBB7_750
; %bb.746:
	s_wait_xcnt 0x0
	v_cndmask_b32_e64 v1, 0, 1, s30
	s_cmp_gt_i32 s31, 0
	s_mov_b32 s30, -1
	s_cbranch_scc0 .LBB7_748
; %bb.747:
	s_mov_b32 s30, 0
	global_store_b8 v[2:3], v1, off
.LBB7_748:
	s_and_not1_b32 vcc_lo, exec_lo, s30
	s_cbranch_vccnz .LBB7_750
; %bb.749:
	global_store_b8 v[2:3], v1, off
.LBB7_750:
	s_mov_b32 s48, -1
.LBB7_751:
	s_mov_b32 s31, 0
	s_and_not1_b32 vcc_lo, exec_lo, s48
	s_mov_b32 s52, 0
	s_cbranch_vccnz .LBB7_753
; %bb.752:
	v_add_nc_u32_e32 v0, 0x80, v0
	s_mov_b32 s52, -1
.LBB7_753:
	s_and_not1_b32 s30, s24, exec_lo
	s_and_b32 s0, s0, exec_lo
	s_and_not1_b32 s47, s43, exec_lo
	s_and_b32 s31, s31, exec_lo
	s_or_b32 s48, s30, s0
	s_and_not1_b32 s0, s44, exec_lo
	s_and_b32 s29, s29, exec_lo
	s_and_not1_b32 s30, s45, exec_lo
	s_and_b32 s28, s28, exec_lo
	s_or_b32 s49, s47, s31
	s_or_b32 s50, s0, s29
	;; [unrolled: 1-line block ×3, first 2 shown]
	s_or_not1_b32 s28, s52, exec_lo
.LBB7_754:
	s_wait_xcnt 0x0
	s_or_b32 exec_lo, exec_lo, s51
	s_mov_b32 s0, 0
                                        ; implicit-def: $vgpr4
                                        ; implicit-def: $vgpr6
                                        ; implicit-def: $vgpr2
	s_and_saveexec_b32 s51, s28
	s_cbranch_execz .LBB7_1172
; %bb.755:
	s_mov_b32 s29, -1
	s_mov_b32 s0, s47
	s_mov_b32 s54, s50
	;; [unrolled: 1-line block ×4, first 2 shown]
	s_mov_b32 s52, exec_lo
	v_cmpx_gt_i32_e64 s41, v0
	s_cbranch_execz .LBB7_1137
; %bb.756:
	s_and_not1_b32 vcc_lo, exec_lo, s35
	s_cbranch_vccnz .LBB7_762
; %bb.757:
	s_and_not1_b32 vcc_lo, exec_lo, s42
	s_cbranch_vccnz .LBB7_763
; %bb.758:
	v_dual_mov_b32 v2, 0 :: v_dual_mov_b32 v1, v0
	v_dual_mov_b32 v6, 0 :: v_dual_mov_b32 v4, 0
	s_add_co_i32 s0, s40, 1
	s_mov_b64 s[28:29], 0xffffffffffffffe0
	s_and_b32 s0, s0, 30
	s_add_nc_u64 s[28:29], s[2:3], s[28:29]
	s_mov_b64 s[30:31], s[2:3]
.LBB7_759:                              ; =>This Inner Loop Header: Depth=1
	s_clause 0x1
	s_load_b128 s[56:59], s[30:31], 0x4
	s_load_b64 s[54:55], s[30:31], 0x14
	s_load_b32 s53, s[28:29], 0xe4
	s_add_co_i32 s0, s0, -2
	s_wait_xcnt 0x0
	s_add_nc_u64 s[30:31], s[30:31], 24
	s_cmp_eq_u32 s0, 0
	s_wait_kmcnt 0x0
	v_mul_hi_u32 v3, s57, v1
	s_delay_alu instid0(VALU_DEP_1) | instskip(NEXT) | instid1(VALU_DEP_1)
	v_add_nc_u32_e32 v3, v1, v3
	v_lshrrev_b32_e32 v3, s58, v3
	s_delay_alu instid0(VALU_DEP_1) | instskip(SKIP_2) | instid1(VALU_DEP_1)
	v_mul_hi_u32 v5, s54, v3
	v_mul_lo_u32 v7, v3, s56
	s_load_b96 s[56:58], s[28:29], 0xec
	v_dual_add_nc_u32 v5, v3, v5 :: v_dual_sub_nc_u32 v7, v1, v7
	s_delay_alu instid0(VALU_DEP_1) | instskip(SKIP_1) | instid1(VALU_DEP_2)
	v_lshrrev_b32_e32 v1, s55, v5
	s_load_b64 s[54:55], s[28:29], 0xfc
	v_mad_u32 v2, v7, s53, v2
	s_wait_xcnt 0x0
	s_add_nc_u64 s[28:29], s[28:29], 32
	v_mul_lo_u32 v5, v1, s59
	s_wait_kmcnt 0x0
	v_mad_u32 v4, v7, s57, v4
	v_mad_u32 v6, v7, s56, v6
	s_delay_alu instid0(VALU_DEP_3) | instskip(NEXT) | instid1(VALU_DEP_1)
	v_sub_nc_u32_e32 v3, v3, v5
	v_mad_u32 v2, v3, s58, v2
	s_delay_alu instid0(VALU_DEP_4) | instskip(NEXT) | instid1(VALU_DEP_4)
	v_mad_u32 v4, v3, s55, v4
	v_mad_u32 v6, v3, s54, v6
	s_cbranch_scc0 .LBB7_759
; %bb.760:
	s_bitcmp1_b32 s40, 0
	s_cselect_b32 s0, -1, 0
	s_delay_alu instid0(SALU_CYCLE_1)
	s_and_b32 vcc_lo, exec_lo, s0
	s_cbranch_vccnz .LBB7_764
; %bb.761:
	s_load_b96 s[56:58], s[30:31], 0x4
	s_load_b32 s0, s[28:29], 0xe4
	s_wait_xcnt 0x0
	s_load_b64 s[30:31], s[28:29], 0xec
	s_wait_kmcnt 0x0
	v_mul_hi_u32 v3, s57, v1
	s_delay_alu instid0(VALU_DEP_1) | instskip(NEXT) | instid1(VALU_DEP_1)
	v_add_nc_u32_e32 v3, v1, v3
	v_lshrrev_b32_e32 v3, s58, v3
	s_delay_alu instid0(VALU_DEP_1) | instskip(NEXT) | instid1(VALU_DEP_1)
	v_mul_lo_u32 v3, v3, s56
	v_sub_nc_u32_e32 v1, v1, v3
	s_delay_alu instid0(VALU_DEP_1)
	v_mad_u32 v2, v1, s0, v2
	v_mad_u32 v6, v1, s30, v6
	;; [unrolled: 1-line block ×3, first 2 shown]
	s_branch .LBB7_764
.LBB7_762:
	s_mov_b32 s0, -1
                                        ; implicit-def: $vgpr4
                                        ; implicit-def: $vgpr6
                                        ; implicit-def: $vgpr2
	s_branch .LBB7_765
.LBB7_763:
	v_dual_mov_b32 v4, 0 :: v_dual_mov_b32 v6, 0
	v_mov_b32_e32 v2, 0
.LBB7_764:
	s_mov_b32 s0, 0
.LBB7_765:
	s_delay_alu instid0(SALU_CYCLE_1)
	s_and_not1_b32 vcc_lo, exec_lo, s0
	s_cbranch_vccnz .LBB7_768
; %bb.766:
	v_mov_b32_e32 v1, 0
	s_and_not1_b32 vcc_lo, exec_lo, s39
	s_delay_alu instid0(VALU_DEP_1) | instskip(NEXT) | instid1(VALU_DEP_1)
	v_mul_u64_e32 v[2:3], s[20:21], v[0:1]
	v_add_nc_u32_e32 v2, v0, v3
	s_delay_alu instid0(VALU_DEP_1) | instskip(NEXT) | instid1(VALU_DEP_1)
	v_lshrrev_b32_e32 v8, s10, v2
	v_mul_lo_u32 v2, v8, s8
	s_delay_alu instid0(VALU_DEP_1) | instskip(NEXT) | instid1(VALU_DEP_1)
	v_sub_nc_u32_e32 v3, v0, v2
	v_mul_lo_u32 v2, v3, s38
	v_mul_lo_u32 v4, v3, s13
	;; [unrolled: 1-line block ×3, first 2 shown]
	s_cbranch_vccnz .LBB7_768
; %bb.767:
	v_mov_b32_e32 v9, v1
	s_delay_alu instid0(VALU_DEP_1) | instskip(NEXT) | instid1(VALU_DEP_1)
	v_mul_u64_e32 v[10:11], s[26:27], v[8:9]
	v_add_nc_u32_e32 v1, v8, v11
	s_delay_alu instid0(VALU_DEP_1) | instskip(NEXT) | instid1(VALU_DEP_1)
	v_lshrrev_b32_e32 v1, s25, v1
	v_mul_lo_u32 v1, v1, s11
	s_delay_alu instid0(VALU_DEP_1) | instskip(NEXT) | instid1(VALU_DEP_1)
	v_sub_nc_u32_e32 v1, v8, v1
	v_mad_u32 v2, v1, s14, v2
	v_mad_u32 v6, v1, s22, v6
	;; [unrolled: 1-line block ×3, first 2 shown]
.LBB7_768:
	s_and_b32 s29, s37, 0xff
	s_delay_alu instid0(SALU_CYCLE_1)
	s_cmp_lt_i32 s29, 23
	s_cbranch_scc1 .LBB7_772
; %bb.769:
	s_and_b32 s30, 0xffff, s29
	s_delay_alu instid0(SALU_CYCLE_1)
	s_cmp_gt_i32 s30, 43
	s_cbranch_scc0 .LBB7_773
; %bb.770:
	s_cmp_gt_i32 s30, 45
	s_cbranch_scc0 .LBB7_774
; %bb.771:
	s_cmp_eq_u32 s30, 46
	s_mov_b32 s31, 0
	s_cselect_b32 s0, -1, 0
	s_or_b32 s28, s47, exec_lo
	s_branch .LBB7_775
.LBB7_772:
	s_mov_b32 s30, -1
	s_mov_b32 s0, 0
	s_mov_b32 s28, s47
	s_branch .LBB7_781
.LBB7_773:
	s_mov_b32 s31, -1
	s_mov_b32 s0, 0
	s_mov_b32 s28, s47
	s_branch .LBB7_778
.LBB7_774:
	s_mov_b32 s31, -1
	s_mov_b32 s0, 0
	s_mov_b32 s28, s47
.LBB7_775:
	s_and_not1_b32 vcc_lo, exec_lo, s31
	s_cbranch_vccnz .LBB7_777
; %bb.776:
	s_cmp_eq_u32 s30, 44
	s_cselect_b32 s0, -1, 0
	s_cmp_lg_u32 s30, 44
	s_cselect_b32 s31, -1, 0
	s_and_not1_b32 s28, s28, exec_lo
	s_and_b32 s31, s31, exec_lo
	s_delay_alu instid0(SALU_CYCLE_1)
	s_or_b32 s28, s28, s31
.LBB7_777:
	s_mov_b32 s31, 0
.LBB7_778:
	s_delay_alu instid0(SALU_CYCLE_1)
	s_and_b32 vcc_lo, exec_lo, s31
	s_cbranch_vccz .LBB7_780
; %bb.779:
	s_cmp_lt_i32 s30, 30
	s_cselect_b32 s0, -1, 0
	s_cmp_gt_i32 s30, 29
	s_cselect_b32 s30, -1, 0
	s_and_not1_b32 s28, s28, exec_lo
	s_and_b32 s30, s30, exec_lo
	s_delay_alu instid0(SALU_CYCLE_1)
	s_or_b32 s28, s28, s30
.LBB7_780:
	s_mov_b32 s30, 0
.LBB7_781:
	s_delay_alu instid0(SALU_CYCLE_1)
	s_and_b32 vcc_lo, exec_lo, s30
	s_cbranch_vccz .LBB7_786
; %bb.782:
	s_and_b32 s29, 0xffff, s29
	s_mov_b32 s30, -1
	s_cmp_gt_i32 s29, 14
	s_cbranch_scc0 .LBB7_784
; %bb.783:
	s_cmp_eq_u32 s29, 15
	s_cselect_b32 s0, -1, 0
	s_cmp_lg_u32 s29, 15
	s_cselect_b32 s30, -1, 0
	s_and_not1_b32 s28, s28, exec_lo
	s_and_b32 s31, s30, exec_lo
	s_mov_b32 s30, 0
	s_or_b32 s28, s28, s31
.LBB7_784:
	s_and_not1_b32 vcc_lo, exec_lo, s30
	s_cbranch_vccnz .LBB7_786
; %bb.785:
	s_cmp_lt_i32 s29, 12
	s_cselect_b32 s0, -1, 0
	s_cmp_gt_i32 s29, 11
	s_cselect_b32 s29, -1, 0
	s_and_not1_b32 s28, s28, exec_lo
	s_and_b32 s29, s29, exec_lo
	s_delay_alu instid0(SALU_CYCLE_1)
	s_or_b32 s28, s28, s29
.LBB7_786:
	s_and_b32 vcc_lo, exec_lo, s0
	s_cbranch_vccz .LBB7_794
; %bb.787:
	v_mov_b32_e32 v7, 0
	s_and_b32 s0, s18, 0xff
	s_delay_alu instid0(SALU_CYCLE_1) | instskip(NEXT) | instid1(VALU_DEP_1)
	s_cmp_lt_i32 s0, 11
	v_add_nc_u64_e32 v[6:7], s[4:5], v[6:7]
	s_cbranch_scc1 .LBB7_795
; %bb.788:
	s_and_b32 s28, 0xffff, s0
	s_delay_alu instid0(SALU_CYCLE_1)
	s_cmp_gt_i32 s28, 25
	s_cbranch_scc0 .LBB7_796
; %bb.789:
	s_cmp_gt_i32 s28, 28
	s_cbranch_scc0 .LBB7_797
; %bb.790:
	;; [unrolled: 3-line block ×4, first 2 shown]
	s_cmp_eq_u32 s28, 46
	s_mov_b32 s53, 0
	s_cbranch_scc0 .LBB7_800
; %bb.793:
	global_load_b32 v1, v[6:7], off
	s_mov_b32 s29, 0
	s_mov_b32 s31, -1
	s_wait_loadcnt 0x0
	v_and_b32_e32 v1, 0x7fff7fff, v1
	s_delay_alu instid0(VALU_DEP_1)
	v_cmp_ne_u32_e64 s30, 0, v1
	s_branch .LBB7_802
.LBB7_794:
	s_mov_b32 s56, 0
	s_mov_b32 s0, s48
	;; [unrolled: 1-line block ×4, first 2 shown]
                                        ; implicit-def: $vgpr0
	s_branch .LBB7_1136
.LBB7_795:
	s_mov_b32 s28, -1
	s_mov_b32 s31, 0
	s_mov_b32 s29, s50
                                        ; implicit-def: $sgpr30
	s_branch .LBB7_849
.LBB7_796:
	s_mov_b32 s53, -1
	s_mov_b32 s31, 0
	s_mov_b32 s29, s50
                                        ; implicit-def: $sgpr30
	s_branch .LBB7_823
.LBB7_797:
	s_mov_b32 s53, -1
	s_mov_b32 s31, 0
	s_mov_b32 s29, s50
                                        ; implicit-def: $sgpr30
	s_branch .LBB7_810
.LBB7_798:
	s_mov_b32 s53, -1
	s_mov_b32 s31, 0
	s_mov_b32 s29, s50
                                        ; implicit-def: $sgpr30
	s_branch .LBB7_805
.LBB7_799:
	s_mov_b32 s53, -1
	s_mov_b32 s31, 0
	s_mov_b32 s29, s50
	s_branch .LBB7_801
.LBB7_800:
	s_mov_b32 s29, -1
	s_mov_b32 s31, 0
.LBB7_801:
                                        ; implicit-def: $sgpr30
.LBB7_802:
	s_and_b32 vcc_lo, exec_lo, s53
	s_cbranch_vccz .LBB7_804
; %bb.803:
	s_cmp_eq_u32 s28, 44
	s_cselect_b32 s31, -1, 0
	s_or_b32 s30, s30, exec_lo
	s_or_b32 s29, s29, exec_lo
.LBB7_804:
	s_mov_b32 s53, 0
.LBB7_805:
	s_delay_alu instid0(SALU_CYCLE_1)
	s_and_b32 vcc_lo, exec_lo, s53
	s_cbranch_vccz .LBB7_809
; %bb.806:
	s_cmp_eq_u32 s28, 29
	s_cbranch_scc0 .LBB7_808
; %bb.807:
	global_load_b64 v[8:9], v[6:7], off
	s_mov_b32 s31, -1
	s_mov_b32 s29, 0
	s_mov_b32 s53, 0
	s_wait_loadcnt 0x0
	v_cmp_ne_u64_e64 s30, 0, v[8:9]
	s_branch .LBB7_810
.LBB7_808:
	s_mov_b32 s29, -1
                                        ; implicit-def: $sgpr30
.LBB7_809:
	s_mov_b32 s53, 0
.LBB7_810:
	s_delay_alu instid0(SALU_CYCLE_1)
	s_and_b32 vcc_lo, exec_lo, s53
	s_cbranch_vccz .LBB7_822
; %bb.811:
	s_cmp_lt_i32 s28, 27
	s_cbranch_scc1 .LBB7_814
; %bb.812:
	s_cmp_gt_i32 s28, 27
	s_cbranch_scc0 .LBB7_815
; %bb.813:
	global_load_b32 v1, v[6:7], off
	s_mov_b32 s31, 0
	s_wait_loadcnt 0x0
	v_cmp_ne_u32_e64 s30, 0, v1
	s_branch .LBB7_816
.LBB7_814:
	s_mov_b32 s31, -1
                                        ; implicit-def: $sgpr30
	s_branch .LBB7_819
.LBB7_815:
	s_mov_b32 s31, -1
                                        ; implicit-def: $sgpr30
.LBB7_816:
	s_delay_alu instid0(SALU_CYCLE_1)
	s_and_not1_b32 vcc_lo, exec_lo, s31
	s_cbranch_vccnz .LBB7_818
; %bb.817:
	global_load_u16 v1, v[6:7], off
	s_and_not1_b32 s30, s30, exec_lo
	s_wait_loadcnt 0x0
	v_cmp_ne_u16_e32 vcc_lo, 0, v1
	s_and_b32 s31, vcc_lo, exec_lo
	s_delay_alu instid0(SALU_CYCLE_1)
	s_or_b32 s30, s30, s31
.LBB7_818:
	s_mov_b32 s31, 0
.LBB7_819:
	s_delay_alu instid0(SALU_CYCLE_1)
	s_and_not1_b32 vcc_lo, exec_lo, s31
	s_cbranch_vccnz .LBB7_821
; %bb.820:
	global_load_u8 v1, v[6:7], off
	s_and_not1_b32 s30, s30, exec_lo
	s_wait_loadcnt 0x0
	v_cmp_ne_u16_e32 vcc_lo, 0, v1
	s_and_b32 s31, vcc_lo, exec_lo
	s_delay_alu instid0(SALU_CYCLE_1)
	s_or_b32 s30, s30, s31
.LBB7_821:
	s_mov_b32 s31, -1
.LBB7_822:
	s_mov_b32 s53, 0
.LBB7_823:
	s_delay_alu instid0(SALU_CYCLE_1)
	s_and_b32 vcc_lo, exec_lo, s53
	s_cbranch_vccz .LBB7_848
; %bb.824:
	s_cmp_gt_i32 s28, 22
	s_cbranch_scc0 .LBB7_828
; %bb.825:
	s_cmp_lt_i32 s28, 24
	s_cbranch_scc1 .LBB7_829
; %bb.826:
	s_cmp_gt_i32 s28, 24
	s_cbranch_scc0 .LBB7_830
; %bb.827:
	global_load_u8 v1, v[6:7], off
	s_mov_b32 s31, 0
	s_wait_loadcnt 0x0
	v_cmp_ne_u16_e64 s30, 0, v1
	s_branch .LBB7_831
.LBB7_828:
	s_mov_b32 s53, -1
                                        ; implicit-def: $sgpr30
	s_branch .LBB7_837
.LBB7_829:
	s_mov_b32 s31, -1
                                        ; implicit-def: $sgpr30
	s_branch .LBB7_834
.LBB7_830:
	s_mov_b32 s31, -1
                                        ; implicit-def: $sgpr30
.LBB7_831:
	s_delay_alu instid0(SALU_CYCLE_1)
	s_and_not1_b32 vcc_lo, exec_lo, s31
	s_cbranch_vccnz .LBB7_833
; %bb.832:
	global_load_u8 v1, v[6:7], off
	s_and_not1_b32 s30, s30, exec_lo
	s_wait_loadcnt 0x0
	v_and_b32_e32 v1, 0x7f, v1
	s_delay_alu instid0(VALU_DEP_1) | instskip(SKIP_1) | instid1(SALU_CYCLE_1)
	v_cmp_ne_u16_e32 vcc_lo, 0, v1
	s_and_b32 s31, vcc_lo, exec_lo
	s_or_b32 s30, s30, s31
.LBB7_833:
	s_mov_b32 s31, 0
.LBB7_834:
	s_delay_alu instid0(SALU_CYCLE_1)
	s_and_not1_b32 vcc_lo, exec_lo, s31
	s_cbranch_vccnz .LBB7_836
; %bb.835:
	global_load_u8 v1, v[6:7], off
	s_and_not1_b32 s30, s30, exec_lo
	s_wait_loadcnt 0x0
	v_dual_lshlrev_b32 v3, 25, v1 :: v_dual_lshlrev_b32 v1, 8, v1
	s_delay_alu instid0(VALU_DEP_1) | instskip(NEXT) | instid1(VALU_DEP_2)
	v_cmp_gt_u32_e32 vcc_lo, 0x8000000, v3
	v_and_or_b32 v1, 0x7f00, v1, 0.5
	s_delay_alu instid0(VALU_DEP_1) | instskip(NEXT) | instid1(VALU_DEP_1)
	v_dual_lshrrev_b32 v5, 4, v3 :: v_dual_add_f32 v1, -0.5, v1
	v_or_b32_e32 v5, 0x70000000, v5
	s_delay_alu instid0(VALU_DEP_1) | instskip(NEXT) | instid1(VALU_DEP_1)
	v_mul_f32_e32 v5, 0x7800000, v5
	v_cndmask_b32_e32 v1, v5, v1, vcc_lo
	s_delay_alu instid0(VALU_DEP_1) | instskip(SKIP_1) | instid1(SALU_CYCLE_1)
	v_cmp_neq_f32_e32 vcc_lo, 0, v1
	s_and_b32 s31, vcc_lo, exec_lo
	s_or_b32 s30, s30, s31
.LBB7_836:
	s_mov_b32 s53, 0
	s_mov_b32 s31, -1
.LBB7_837:
	s_and_not1_b32 vcc_lo, exec_lo, s53
	s_cbranch_vccnz .LBB7_848
; %bb.838:
	s_cmp_gt_i32 s28, 14
	s_cbranch_scc0 .LBB7_841
; %bb.839:
	s_cmp_eq_u32 s28, 15
	s_cbranch_scc0 .LBB7_842
; %bb.840:
	global_load_u16 v1, v[6:7], off
	s_mov_b32 s29, 0
	s_mov_b32 s31, -1
	s_wait_loadcnt 0x0
	v_and_b32_e32 v1, 0x7fff, v1
	s_delay_alu instid0(VALU_DEP_1)
	v_cmp_ne_u16_e64 s30, 0, v1
	s_branch .LBB7_843
.LBB7_841:
	s_mov_b32 s53, -1
                                        ; implicit-def: $sgpr30
	s_branch .LBB7_844
.LBB7_842:
	s_mov_b32 s29, -1
                                        ; implicit-def: $sgpr30
.LBB7_843:
	s_mov_b32 s53, 0
.LBB7_844:
	s_delay_alu instid0(SALU_CYCLE_1)
	s_and_b32 vcc_lo, exec_lo, s53
	s_cbranch_vccz .LBB7_848
; %bb.845:
	s_cmp_eq_u32 s28, 11
	s_cbranch_scc0 .LBB7_847
; %bb.846:
	global_load_u8 v1, v[6:7], off
	s_mov_b32 s29, 0
	s_mov_b32 s31, -1
	s_wait_loadcnt 0x0
	v_cmp_ne_u16_e64 s30, 0, v1
	s_branch .LBB7_848
.LBB7_847:
	s_mov_b32 s29, -1
                                        ; implicit-def: $sgpr30
.LBB7_848:
	s_mov_b32 s28, 0
.LBB7_849:
	s_delay_alu instid0(SALU_CYCLE_1)
	s_and_b32 vcc_lo, exec_lo, s28
	s_cbranch_vccz .LBB7_898
; %bb.850:
	s_and_b32 s28, 0xffff, s0
	s_delay_alu instid0(SALU_CYCLE_1)
	s_cmp_lt_i32 s28, 5
	s_cbranch_scc1 .LBB7_855
; %bb.851:
	s_cmp_lt_i32 s28, 8
	s_cbranch_scc1 .LBB7_856
; %bb.852:
	;; [unrolled: 3-line block ×3, first 2 shown]
	s_cmp_gt_i32 s28, 9
	s_cbranch_scc0 .LBB7_858
; %bb.854:
	global_load_b128 v[8:11], v[6:7], off
	s_wait_loadcnt 0x0
	v_cmp_neq_f64_e32 vcc_lo, 0, v[8:9]
	v_cmp_neq_f64_e64 s0, 0, v[10:11]
	s_or_b32 s30, vcc_lo, s0
	s_mov_b32 s0, 0
	s_branch .LBB7_859
.LBB7_855:
	s_mov_b32 s0, -1
                                        ; implicit-def: $sgpr30
	s_branch .LBB7_877
.LBB7_856:
	s_mov_b32 s0, -1
                                        ; implicit-def: $sgpr30
	s_branch .LBB7_865
.LBB7_857:
	s_mov_b32 s0, -1
                                        ; implicit-def: $sgpr30
	s_branch .LBB7_862
.LBB7_858:
	s_mov_b32 s0, -1
                                        ; implicit-def: $sgpr30
.LBB7_859:
	s_delay_alu instid0(SALU_CYCLE_1)
	s_and_not1_b32 vcc_lo, exec_lo, s0
	s_cbranch_vccnz .LBB7_861
; %bb.860:
	global_load_b64 v[8:9], v[6:7], off
	s_and_not1_b32 s0, s30, exec_lo
	s_wait_loadcnt 0x0
	v_bitop3_b32 v1, v8, 0x7fffffff, v9 bitop3:0xc8
	s_delay_alu instid0(VALU_DEP_1) | instskip(SKIP_1) | instid1(SALU_CYCLE_1)
	v_cmp_ne_u32_e32 vcc_lo, 0, v1
	s_and_b32 s30, vcc_lo, exec_lo
	s_or_b32 s30, s0, s30
.LBB7_861:
	s_mov_b32 s0, 0
.LBB7_862:
	s_delay_alu instid0(SALU_CYCLE_1)
	s_and_not1_b32 vcc_lo, exec_lo, s0
	s_cbranch_vccnz .LBB7_864
; %bb.863:
	global_load_b32 v1, v[6:7], off
	s_and_not1_b32 s0, s30, exec_lo
	s_wait_loadcnt 0x0
	v_and_b32_e32 v1, 0x7fff7fff, v1
	s_delay_alu instid0(VALU_DEP_1) | instskip(SKIP_1) | instid1(SALU_CYCLE_1)
	v_cmp_ne_u32_e32 vcc_lo, 0, v1
	s_and_b32 s30, vcc_lo, exec_lo
	s_or_b32 s30, s0, s30
.LBB7_864:
	s_mov_b32 s0, 0
.LBB7_865:
	s_delay_alu instid0(SALU_CYCLE_1)
	s_and_not1_b32 vcc_lo, exec_lo, s0
	s_cbranch_vccnz .LBB7_876
; %bb.866:
	s_cmp_lt_i32 s28, 6
	s_cbranch_scc1 .LBB7_869
; %bb.867:
	s_cmp_gt_i32 s28, 6
	s_cbranch_scc0 .LBB7_870
; %bb.868:
	global_load_b64 v[8:9], v[6:7], off
	s_mov_b32 s0, 0
	s_wait_loadcnt 0x0
	v_cmp_neq_f64_e64 s30, 0, v[8:9]
	s_branch .LBB7_871
.LBB7_869:
	s_mov_b32 s0, -1
                                        ; implicit-def: $sgpr30
	s_branch .LBB7_874
.LBB7_870:
	s_mov_b32 s0, -1
                                        ; implicit-def: $sgpr30
.LBB7_871:
	s_delay_alu instid0(SALU_CYCLE_1)
	s_and_not1_b32 vcc_lo, exec_lo, s0
	s_cbranch_vccnz .LBB7_873
; %bb.872:
	global_load_b32 v1, v[6:7], off
	s_and_not1_b32 s0, s30, exec_lo
	s_wait_loadcnt 0x0
	v_cmp_neq_f32_e32 vcc_lo, 0, v1
	s_and_b32 s30, vcc_lo, exec_lo
	s_delay_alu instid0(SALU_CYCLE_1)
	s_or_b32 s30, s0, s30
.LBB7_873:
	s_mov_b32 s0, 0
.LBB7_874:
	s_delay_alu instid0(SALU_CYCLE_1)
	s_and_not1_b32 vcc_lo, exec_lo, s0
	s_cbranch_vccnz .LBB7_876
; %bb.875:
	global_load_u16 v1, v[6:7], off
	s_and_not1_b32 s0, s30, exec_lo
	s_wait_loadcnt 0x0
	v_and_b32_e32 v1, 0x7fff, v1
	s_delay_alu instid0(VALU_DEP_1) | instskip(SKIP_1) | instid1(SALU_CYCLE_1)
	v_cmp_ne_u16_e32 vcc_lo, 0, v1
	s_and_b32 s30, vcc_lo, exec_lo
	s_or_b32 s30, s0, s30
.LBB7_876:
	s_mov_b32 s0, 0
.LBB7_877:
	s_delay_alu instid0(SALU_CYCLE_1)
	s_and_not1_b32 vcc_lo, exec_lo, s0
	s_cbranch_vccnz .LBB7_897
; %bb.878:
	s_cmp_lt_i32 s28, 2
	s_cbranch_scc1 .LBB7_882
; %bb.879:
	s_cmp_lt_i32 s28, 3
	s_cbranch_scc1 .LBB7_883
; %bb.880:
	s_cmp_gt_i32 s28, 3
	s_cbranch_scc0 .LBB7_884
; %bb.881:
	global_load_b64 v[8:9], v[6:7], off
	s_mov_b32 s0, 0
	s_wait_loadcnt 0x0
	v_cmp_ne_u64_e64 s30, 0, v[8:9]
	s_branch .LBB7_885
.LBB7_882:
	s_mov_b32 s0, -1
                                        ; implicit-def: $sgpr30
	s_branch .LBB7_891
.LBB7_883:
	s_mov_b32 s0, -1
                                        ; implicit-def: $sgpr30
	s_branch .LBB7_888
.LBB7_884:
	s_mov_b32 s0, -1
                                        ; implicit-def: $sgpr30
.LBB7_885:
	s_delay_alu instid0(SALU_CYCLE_1)
	s_and_not1_b32 vcc_lo, exec_lo, s0
	s_cbranch_vccnz .LBB7_887
; %bb.886:
	global_load_b32 v1, v[6:7], off
	s_and_not1_b32 s0, s30, exec_lo
	s_wait_loadcnt 0x0
	v_cmp_ne_u32_e32 vcc_lo, 0, v1
	s_and_b32 s30, vcc_lo, exec_lo
	s_delay_alu instid0(SALU_CYCLE_1)
	s_or_b32 s30, s0, s30
.LBB7_887:
	s_mov_b32 s0, 0
.LBB7_888:
	s_delay_alu instid0(SALU_CYCLE_1)
	s_and_not1_b32 vcc_lo, exec_lo, s0
	s_cbranch_vccnz .LBB7_890
; %bb.889:
	global_load_u16 v1, v[6:7], off
	s_and_not1_b32 s0, s30, exec_lo
	s_wait_loadcnt 0x0
	v_cmp_ne_u16_e32 vcc_lo, 0, v1
	s_and_b32 s30, vcc_lo, exec_lo
	s_delay_alu instid0(SALU_CYCLE_1)
	s_or_b32 s30, s0, s30
.LBB7_890:
	s_mov_b32 s0, 0
.LBB7_891:
	s_delay_alu instid0(SALU_CYCLE_1)
	s_and_not1_b32 vcc_lo, exec_lo, s0
	s_cbranch_vccnz .LBB7_897
; %bb.892:
	s_cmp_gt_i32 s28, 0
	s_mov_b32 s0, 0
	s_cbranch_scc0 .LBB7_894
; %bb.893:
	global_load_u8 v1, v[6:7], off
	s_wait_loadcnt 0x0
	v_cmp_ne_u16_e64 s30, 0, v1
	s_branch .LBB7_895
.LBB7_894:
	s_mov_b32 s0, -1
                                        ; implicit-def: $sgpr30
.LBB7_895:
	s_delay_alu instid0(SALU_CYCLE_1)
	s_and_not1_b32 vcc_lo, exec_lo, s0
	s_cbranch_vccnz .LBB7_897
; %bb.896:
	global_load_u8 v1, v[6:7], off
	s_and_not1_b32 s0, s30, exec_lo
	s_wait_loadcnt 0x0
	v_cmp_ne_u16_e32 vcc_lo, 0, v1
	s_and_b32 s28, vcc_lo, exec_lo
	s_delay_alu instid0(SALU_CYCLE_1)
	s_or_b32 s30, s0, s28
.LBB7_897:
	s_mov_b32 s31, -1
.LBB7_898:
	s_mov_b32 s28, 0
	s_mov_b32 s0, s48
	s_and_not1_b32 vcc_lo, exec_lo, s31
	s_mov_b32 s31, s49
	s_mov_b32 s56, 0
	s_cbranch_vccnz .LBB7_1136
; %bb.899:
	v_mov_b32_e32 v5, 0
	s_and_b32 s0, s1, 0xff
	s_delay_alu instid0(SALU_CYCLE_1) | instskip(NEXT) | instid1(VALU_DEP_1)
	s_cmp_lt_i32 s0, 11
	v_add_nc_u64_e32 v[4:5], s[6:7], v[4:5]
	s_cbranch_scc1 .LBB7_906
; %bb.900:
	s_and_b32 s29, 0xffff, s0
	s_delay_alu instid0(SALU_CYCLE_1)
	s_cmp_gt_i32 s29, 25
	s_cbranch_scc0 .LBB7_907
; %bb.901:
	s_cmp_gt_i32 s29, 28
	s_cbranch_scc0 .LBB7_908
; %bb.902:
	;; [unrolled: 3-line block ×4, first 2 shown]
	s_cmp_eq_u32 s29, 46
	s_mov_b32 s55, 0
	s_cbranch_scc0 .LBB7_915
; %bb.905:
	global_load_b32 v1, v[4:5], off
	s_mov_b32 s31, 0
	s_mov_b32 s54, -1
	s_wait_loadcnt 0x0
	v_and_b32_e32 v1, 0x7fff7fff, v1
	s_delay_alu instid0(VALU_DEP_1)
	v_cmp_ne_u32_e64 s53, 0, v1
	s_branch .LBB7_917
.LBB7_906:
	s_mov_b32 s29, -1
	s_mov_b32 s54, 0
	s_mov_b32 s31, s49
                                        ; implicit-def: $sgpr53
	s_branch .LBB7_964
.LBB7_907:
	s_mov_b32 s55, -1
	s_mov_b32 s54, 0
	s_mov_b32 s31, s49
                                        ; implicit-def: $sgpr53
	s_branch .LBB7_938
.LBB7_908:
	s_mov_b32 s55, -1
	s_mov_b32 s54, 0
	s_mov_b32 s31, s49
                                        ; implicit-def: $sgpr53
	s_branch .LBB7_925
.LBB7_909:
	s_mov_b32 s55, -1
	s_mov_b32 s54, 0
	s_mov_b32 s31, s49
                                        ; implicit-def: $sgpr53
	s_branch .LBB7_920
.LBB7_910:
	s_mov_b32 s55, -1
	s_mov_b32 s54, 0
	s_mov_b32 s31, s49
	s_branch .LBB7_916
.LBB7_911:
	v_bfe_u32 v1, v4, 21, 1
	s_mov_b32 s44, exec_lo
	s_delay_alu instid0(VALU_DEP_1) | instskip(NEXT) | instid1(VALU_DEP_1)
	v_add3_u32 v1, v4, v1, 0x88fffff
                                        ; implicit-def: $vgpr4
	v_lshrrev_b32_e32 v1, 21, v1
	s_and_not1_saveexec_b32 s45, s45
	s_cbranch_execz .LBB7_298
.LBB7_912:
	v_add_f32_e32 v1, 0x42800000, v4
	s_and_not1_b32 s44, s44, exec_lo
	s_delay_alu instid0(VALU_DEP_1) | instskip(NEXT) | instid1(VALU_DEP_1)
	v_and_b32_e32 v1, 0xff, v1
	v_cmp_ne_u32_e32 vcc_lo, 0, v1
	s_and_b32 s47, vcc_lo, exec_lo
	s_delay_alu instid0(SALU_CYCLE_1)
	s_or_b32 s44, s44, s47
	s_or_b32 exec_lo, exec_lo, s45
	v_mov_b32_e32 v5, 0
	s_and_saveexec_b32 s45, s44
	s_cbranch_execnz .LBB7_299
	s_branch .LBB7_300
.LBB7_913:
	v_bfe_u32 v1, v4, 20, 1
	s_mov_b32 s49, exec_lo
	s_delay_alu instid0(VALU_DEP_1) | instskip(NEXT) | instid1(VALU_DEP_1)
	v_add3_u32 v1, v4, v1, 0x487ffff
                                        ; implicit-def: $vgpr4
	v_lshrrev_b32_e32 v1, 20, v1
	s_and_not1_saveexec_b32 s50, s50
	s_cbranch_execz .LBB7_664
.LBB7_914:
	v_add_f32_e32 v1, 0x46000000, v4
	s_and_not1_b32 s49, s49, exec_lo
	s_delay_alu instid0(VALU_DEP_1) | instskip(NEXT) | instid1(VALU_DEP_1)
	v_and_b32_e32 v1, 0xff, v1
	v_cmp_ne_u32_e32 vcc_lo, 0, v1
	s_and_b32 s52, vcc_lo, exec_lo
	s_delay_alu instid0(SALU_CYCLE_1)
	s_or_b32 s49, s49, s52
	s_or_b32 exec_lo, exec_lo, s50
	v_mov_b32_e32 v5, 0
	s_and_saveexec_b32 s50, s49
	s_cbranch_execnz .LBB7_665
	s_branch .LBB7_666
.LBB7_915:
	s_mov_b32 s31, -1
	s_mov_b32 s54, 0
.LBB7_916:
                                        ; implicit-def: $sgpr53
.LBB7_917:
	s_and_b32 vcc_lo, exec_lo, s55
	s_cbranch_vccz .LBB7_919
; %bb.918:
	s_cmp_eq_u32 s29, 44
	s_cselect_b32 s54, -1, 0
	s_or_b32 s53, s53, exec_lo
	s_or_b32 s31, s31, exec_lo
.LBB7_919:
	s_mov_b32 s55, 0
.LBB7_920:
	s_delay_alu instid0(SALU_CYCLE_1)
	s_and_b32 vcc_lo, exec_lo, s55
	s_cbranch_vccz .LBB7_924
; %bb.921:
	s_cmp_eq_u32 s29, 29
	s_cbranch_scc0 .LBB7_923
; %bb.922:
	global_load_b64 v[6:7], v[4:5], off
	s_mov_b32 s54, -1
	s_mov_b32 s31, 0
	s_mov_b32 s55, 0
	s_wait_loadcnt 0x0
	v_cmp_ne_u64_e64 s53, 0, v[6:7]
	s_branch .LBB7_925
.LBB7_923:
	s_mov_b32 s31, -1
                                        ; implicit-def: $sgpr53
.LBB7_924:
	s_mov_b32 s55, 0
.LBB7_925:
	s_delay_alu instid0(SALU_CYCLE_1)
	s_and_b32 vcc_lo, exec_lo, s55
	s_cbranch_vccz .LBB7_937
; %bb.926:
	s_cmp_lt_i32 s29, 27
	s_cbranch_scc1 .LBB7_929
; %bb.927:
	s_cmp_gt_i32 s29, 27
	s_cbranch_scc0 .LBB7_930
; %bb.928:
	global_load_b32 v1, v[4:5], off
	s_mov_b32 s54, 0
	s_wait_loadcnt 0x0
	v_cmp_ne_u32_e64 s53, 0, v1
	s_branch .LBB7_931
.LBB7_929:
	s_mov_b32 s54, -1
                                        ; implicit-def: $sgpr53
	s_branch .LBB7_934
.LBB7_930:
	s_mov_b32 s54, -1
                                        ; implicit-def: $sgpr53
.LBB7_931:
	s_delay_alu instid0(SALU_CYCLE_1)
	s_and_not1_b32 vcc_lo, exec_lo, s54
	s_cbranch_vccnz .LBB7_933
; %bb.932:
	global_load_u16 v1, v[4:5], off
	s_and_not1_b32 s53, s53, exec_lo
	s_wait_loadcnt 0x0
	v_cmp_ne_u16_e32 vcc_lo, 0, v1
	s_and_b32 s54, vcc_lo, exec_lo
	s_delay_alu instid0(SALU_CYCLE_1)
	s_or_b32 s53, s53, s54
.LBB7_933:
	s_mov_b32 s54, 0
.LBB7_934:
	s_delay_alu instid0(SALU_CYCLE_1)
	s_and_not1_b32 vcc_lo, exec_lo, s54
	s_cbranch_vccnz .LBB7_936
; %bb.935:
	global_load_u8 v1, v[4:5], off
	s_and_not1_b32 s53, s53, exec_lo
	s_wait_loadcnt 0x0
	v_cmp_ne_u16_e32 vcc_lo, 0, v1
	s_and_b32 s54, vcc_lo, exec_lo
	s_delay_alu instid0(SALU_CYCLE_1)
	s_or_b32 s53, s53, s54
.LBB7_936:
	s_mov_b32 s54, -1
.LBB7_937:
	s_mov_b32 s55, 0
.LBB7_938:
	s_delay_alu instid0(SALU_CYCLE_1)
	s_and_b32 vcc_lo, exec_lo, s55
	s_cbranch_vccz .LBB7_963
; %bb.939:
	s_cmp_gt_i32 s29, 22
	s_cbranch_scc0 .LBB7_943
; %bb.940:
	s_cmp_lt_i32 s29, 24
	s_cbranch_scc1 .LBB7_944
; %bb.941:
	s_cmp_gt_i32 s29, 24
	s_cbranch_scc0 .LBB7_945
; %bb.942:
	global_load_u8 v1, v[4:5], off
	s_mov_b32 s54, 0
	s_wait_loadcnt 0x0
	v_cmp_ne_u16_e64 s53, 0, v1
	s_branch .LBB7_946
.LBB7_943:
	s_mov_b32 s55, -1
                                        ; implicit-def: $sgpr53
	s_branch .LBB7_952
.LBB7_944:
	s_mov_b32 s54, -1
                                        ; implicit-def: $sgpr53
	s_branch .LBB7_949
.LBB7_945:
	s_mov_b32 s54, -1
                                        ; implicit-def: $sgpr53
.LBB7_946:
	s_delay_alu instid0(SALU_CYCLE_1)
	s_and_not1_b32 vcc_lo, exec_lo, s54
	s_cbranch_vccnz .LBB7_948
; %bb.947:
	global_load_u8 v1, v[4:5], off
	s_and_not1_b32 s53, s53, exec_lo
	s_wait_loadcnt 0x0
	v_and_b32_e32 v1, 0x7f, v1
	s_delay_alu instid0(VALU_DEP_1) | instskip(SKIP_1) | instid1(SALU_CYCLE_1)
	v_cmp_ne_u16_e32 vcc_lo, 0, v1
	s_and_b32 s54, vcc_lo, exec_lo
	s_or_b32 s53, s53, s54
.LBB7_948:
	s_mov_b32 s54, 0
.LBB7_949:
	s_delay_alu instid0(SALU_CYCLE_1)
	s_and_not1_b32 vcc_lo, exec_lo, s54
	s_cbranch_vccnz .LBB7_951
; %bb.950:
	global_load_u8 v1, v[4:5], off
	s_and_not1_b32 s53, s53, exec_lo
	s_wait_loadcnt 0x0
	v_dual_lshlrev_b32 v3, 25, v1 :: v_dual_lshlrev_b32 v1, 8, v1
	s_delay_alu instid0(VALU_DEP_1) | instskip(NEXT) | instid1(VALU_DEP_2)
	v_cmp_gt_u32_e32 vcc_lo, 0x8000000, v3
	v_and_or_b32 v1, 0x7f00, v1, 0.5
	s_wait_xcnt 0x1
	s_delay_alu instid0(VALU_DEP_1) | instskip(NEXT) | instid1(VALU_DEP_1)
	v_dual_add_f32 v1, -0.5, v1 :: v_dual_lshrrev_b32 v6, 4, v3
	v_or_b32_e32 v6, 0x70000000, v6
	s_delay_alu instid0(VALU_DEP_1) | instskip(NEXT) | instid1(VALU_DEP_1)
	v_mul_f32_e32 v6, 0x7800000, v6
	v_cndmask_b32_e32 v1, v6, v1, vcc_lo
	s_delay_alu instid0(VALU_DEP_1) | instskip(SKIP_1) | instid1(SALU_CYCLE_1)
	v_cmp_neq_f32_e32 vcc_lo, 0, v1
	s_and_b32 s54, vcc_lo, exec_lo
	s_or_b32 s53, s53, s54
.LBB7_951:
	s_mov_b32 s55, 0
	s_mov_b32 s54, -1
.LBB7_952:
	s_and_not1_b32 vcc_lo, exec_lo, s55
	s_cbranch_vccnz .LBB7_963
; %bb.953:
	s_cmp_gt_i32 s29, 14
	s_cbranch_scc0 .LBB7_956
; %bb.954:
	s_cmp_eq_u32 s29, 15
	s_cbranch_scc0 .LBB7_957
; %bb.955:
	global_load_u16 v1, v[4:5], off
	s_mov_b32 s31, 0
	s_mov_b32 s54, -1
	s_wait_loadcnt 0x0
	v_and_b32_e32 v1, 0x7fff, v1
	s_delay_alu instid0(VALU_DEP_1)
	v_cmp_ne_u16_e64 s53, 0, v1
	s_branch .LBB7_958
.LBB7_956:
	s_mov_b32 s55, -1
                                        ; implicit-def: $sgpr53
	s_branch .LBB7_959
.LBB7_957:
	s_mov_b32 s31, -1
                                        ; implicit-def: $sgpr53
.LBB7_958:
	s_mov_b32 s55, 0
.LBB7_959:
	s_delay_alu instid0(SALU_CYCLE_1)
	s_and_b32 vcc_lo, exec_lo, s55
	s_cbranch_vccz .LBB7_963
; %bb.960:
	s_cmp_eq_u32 s29, 11
	s_cbranch_scc0 .LBB7_962
; %bb.961:
	global_load_u8 v1, v[4:5], off
	s_mov_b32 s31, 0
	s_mov_b32 s54, -1
	s_wait_loadcnt 0x0
	v_cmp_ne_u16_e64 s53, 0, v1
	s_branch .LBB7_963
.LBB7_962:
	s_mov_b32 s31, -1
                                        ; implicit-def: $sgpr53
.LBB7_963:
	s_mov_b32 s29, 0
.LBB7_964:
	s_delay_alu instid0(SALU_CYCLE_1)
	s_and_b32 vcc_lo, exec_lo, s29
	s_cbranch_vccz .LBB7_1013
; %bb.965:
	s_and_b32 s29, 0xffff, s0
	s_delay_alu instid0(SALU_CYCLE_1)
	s_cmp_lt_i32 s29, 5
	s_cbranch_scc1 .LBB7_970
; %bb.966:
	s_cmp_lt_i32 s29, 8
	s_cbranch_scc1 .LBB7_971
; %bb.967:
	s_cmp_lt_i32 s29, 9
	s_cbranch_scc1 .LBB7_972
; %bb.968:
	s_cmp_gt_i32 s29, 9
	s_cbranch_scc0 .LBB7_973
; %bb.969:
	global_load_b128 v[6:9], v[4:5], off
	s_wait_loadcnt 0x0
	v_cmp_neq_f64_e32 vcc_lo, 0, v[6:7]
	v_cmp_neq_f64_e64 s0, 0, v[8:9]
	s_or_b32 s53, vcc_lo, s0
	s_mov_b32 s0, 0
	s_branch .LBB7_974
.LBB7_970:
	s_mov_b32 s0, -1
                                        ; implicit-def: $sgpr53
	s_branch .LBB7_992
.LBB7_971:
	s_mov_b32 s0, -1
                                        ; implicit-def: $sgpr53
	s_branch .LBB7_980
.LBB7_972:
	s_mov_b32 s0, -1
                                        ; implicit-def: $sgpr53
	s_branch .LBB7_977
.LBB7_973:
	s_mov_b32 s0, -1
                                        ; implicit-def: $sgpr53
.LBB7_974:
	s_delay_alu instid0(SALU_CYCLE_1)
	s_and_not1_b32 vcc_lo, exec_lo, s0
	s_cbranch_vccnz .LBB7_976
; %bb.975:
	global_load_b64 v[6:7], v[4:5], off
	s_and_not1_b32 s0, s53, exec_lo
	s_wait_loadcnt 0x0
	v_bitop3_b32 v1, v6, 0x7fffffff, v7 bitop3:0xc8
	s_delay_alu instid0(VALU_DEP_1) | instskip(SKIP_1) | instid1(SALU_CYCLE_1)
	v_cmp_ne_u32_e32 vcc_lo, 0, v1
	s_and_b32 s53, vcc_lo, exec_lo
	s_or_b32 s53, s0, s53
.LBB7_976:
	s_mov_b32 s0, 0
.LBB7_977:
	s_delay_alu instid0(SALU_CYCLE_1)
	s_and_not1_b32 vcc_lo, exec_lo, s0
	s_cbranch_vccnz .LBB7_979
; %bb.978:
	global_load_b32 v1, v[4:5], off
	s_and_not1_b32 s0, s53, exec_lo
	s_wait_loadcnt 0x0
	v_and_b32_e32 v1, 0x7fff7fff, v1
	s_delay_alu instid0(VALU_DEP_1) | instskip(SKIP_1) | instid1(SALU_CYCLE_1)
	v_cmp_ne_u32_e32 vcc_lo, 0, v1
	s_and_b32 s53, vcc_lo, exec_lo
	s_or_b32 s53, s0, s53
.LBB7_979:
	s_mov_b32 s0, 0
.LBB7_980:
	s_delay_alu instid0(SALU_CYCLE_1)
	s_and_not1_b32 vcc_lo, exec_lo, s0
	s_cbranch_vccnz .LBB7_991
; %bb.981:
	s_cmp_lt_i32 s29, 6
	s_cbranch_scc1 .LBB7_984
; %bb.982:
	s_cmp_gt_i32 s29, 6
	s_cbranch_scc0 .LBB7_985
; %bb.983:
	global_load_b64 v[6:7], v[4:5], off
	s_mov_b32 s0, 0
	s_wait_loadcnt 0x0
	v_cmp_neq_f64_e64 s53, 0, v[6:7]
	s_branch .LBB7_986
.LBB7_984:
	s_mov_b32 s0, -1
                                        ; implicit-def: $sgpr53
	s_branch .LBB7_989
.LBB7_985:
	s_mov_b32 s0, -1
                                        ; implicit-def: $sgpr53
.LBB7_986:
	s_delay_alu instid0(SALU_CYCLE_1)
	s_and_not1_b32 vcc_lo, exec_lo, s0
	s_cbranch_vccnz .LBB7_988
; %bb.987:
	global_load_b32 v1, v[4:5], off
	s_and_not1_b32 s0, s53, exec_lo
	s_wait_loadcnt 0x0
	v_cmp_neq_f32_e32 vcc_lo, 0, v1
	s_and_b32 s53, vcc_lo, exec_lo
	s_delay_alu instid0(SALU_CYCLE_1)
	s_or_b32 s53, s0, s53
.LBB7_988:
	s_mov_b32 s0, 0
.LBB7_989:
	s_delay_alu instid0(SALU_CYCLE_1)
	s_and_not1_b32 vcc_lo, exec_lo, s0
	s_cbranch_vccnz .LBB7_991
; %bb.990:
	global_load_u16 v1, v[4:5], off
	s_and_not1_b32 s0, s53, exec_lo
	s_wait_loadcnt 0x0
	v_and_b32_e32 v1, 0x7fff, v1
	s_delay_alu instid0(VALU_DEP_1) | instskip(SKIP_1) | instid1(SALU_CYCLE_1)
	v_cmp_ne_u16_e32 vcc_lo, 0, v1
	s_and_b32 s53, vcc_lo, exec_lo
	s_or_b32 s53, s0, s53
.LBB7_991:
	s_mov_b32 s0, 0
.LBB7_992:
	s_delay_alu instid0(SALU_CYCLE_1)
	s_and_not1_b32 vcc_lo, exec_lo, s0
	s_cbranch_vccnz .LBB7_1012
; %bb.993:
	s_cmp_lt_i32 s29, 2
	s_cbranch_scc1 .LBB7_997
; %bb.994:
	s_cmp_lt_i32 s29, 3
	s_cbranch_scc1 .LBB7_998
; %bb.995:
	s_cmp_gt_i32 s29, 3
	s_cbranch_scc0 .LBB7_999
; %bb.996:
	global_load_b64 v[6:7], v[4:5], off
	s_mov_b32 s0, 0
	s_wait_loadcnt 0x0
	v_cmp_ne_u64_e64 s53, 0, v[6:7]
	s_branch .LBB7_1000
.LBB7_997:
	s_mov_b32 s0, -1
                                        ; implicit-def: $sgpr53
	s_branch .LBB7_1006
.LBB7_998:
	s_mov_b32 s0, -1
                                        ; implicit-def: $sgpr53
	s_branch .LBB7_1003
.LBB7_999:
	s_mov_b32 s0, -1
                                        ; implicit-def: $sgpr53
.LBB7_1000:
	s_delay_alu instid0(SALU_CYCLE_1)
	s_and_not1_b32 vcc_lo, exec_lo, s0
	s_cbranch_vccnz .LBB7_1002
; %bb.1001:
	global_load_b32 v1, v[4:5], off
	s_and_not1_b32 s0, s53, exec_lo
	s_wait_loadcnt 0x0
	v_cmp_ne_u32_e32 vcc_lo, 0, v1
	s_and_b32 s53, vcc_lo, exec_lo
	s_delay_alu instid0(SALU_CYCLE_1)
	s_or_b32 s53, s0, s53
.LBB7_1002:
	s_mov_b32 s0, 0
.LBB7_1003:
	s_delay_alu instid0(SALU_CYCLE_1)
	s_and_not1_b32 vcc_lo, exec_lo, s0
	s_cbranch_vccnz .LBB7_1005
; %bb.1004:
	global_load_u16 v1, v[4:5], off
	s_and_not1_b32 s0, s53, exec_lo
	s_wait_loadcnt 0x0
	v_cmp_ne_u16_e32 vcc_lo, 0, v1
	s_and_b32 s53, vcc_lo, exec_lo
	s_delay_alu instid0(SALU_CYCLE_1)
	s_or_b32 s53, s0, s53
.LBB7_1005:
	s_mov_b32 s0, 0
.LBB7_1006:
	s_delay_alu instid0(SALU_CYCLE_1)
	s_and_not1_b32 vcc_lo, exec_lo, s0
	s_cbranch_vccnz .LBB7_1012
; %bb.1007:
	s_cmp_gt_i32 s29, 0
	s_mov_b32 s0, 0
	s_cbranch_scc0 .LBB7_1009
; %bb.1008:
	global_load_u8 v1, v[4:5], off
	s_wait_loadcnt 0x0
	v_cmp_ne_u16_e64 s53, 0, v1
	s_branch .LBB7_1010
.LBB7_1009:
	s_mov_b32 s0, -1
                                        ; implicit-def: $sgpr53
.LBB7_1010:
	s_delay_alu instid0(SALU_CYCLE_1)
	s_and_not1_b32 vcc_lo, exec_lo, s0
	s_cbranch_vccnz .LBB7_1012
; %bb.1011:
	global_load_u8 v1, v[4:5], off
	s_and_not1_b32 s0, s53, exec_lo
	s_wait_loadcnt 0x0
	v_cmp_ne_u16_e32 vcc_lo, 0, v1
	s_and_b32 s29, vcc_lo, exec_lo
	s_delay_alu instid0(SALU_CYCLE_1)
	s_or_b32 s53, s0, s29
.LBB7_1012:
	s_mov_b32 s54, -1
.LBB7_1013:
	s_mov_b32 s29, 0
	s_and_not1_b32 vcc_lo, exec_lo, s54
	s_mov_b32 s0, s48
	s_cbranch_vccnz .LBB7_1136
; %bb.1014:
	v_mov_b32_e32 v3, 0
	s_delay_alu instid0(VALU_DEP_2)
	s_and_b32 s0, s30, s53
	s_and_b32 s31, s9, 0xff
	;; [unrolled: 1-line block ×3, first 2 shown]
	s_cmp_lt_i32 s31, 11
	v_add_nc_u64_e32 v[2:3], s[16:17], v[2:3]
	s_cbranch_scc1 .LBB7_1021
; %bb.1015:
	s_and_b32 s53, 0xffff, s31
	s_delay_alu instid0(SALU_CYCLE_1)
	s_cmp_gt_i32 s53, 25
	s_cbranch_scc0 .LBB7_1022
; %bb.1016:
	s_cmp_gt_i32 s53, 28
	s_cbranch_scc0 .LBB7_1023
; %bb.1017:
	s_cmp_gt_i32 s53, 43
	s_cbranch_scc0 .LBB7_1024
; %bb.1018:
	s_cmp_gt_i32 s53, 45
	s_cbranch_scc0 .LBB7_1025
; %bb.1019:
	s_mov_b32 s55, 0
	s_mov_b32 s0, -1
	s_cmp_eq_u32 s53, 46
	s_mov_b32 s54, 0
	s_cbranch_scc0 .LBB7_1026
; %bb.1020:
	v_cndmask_b32_e64 v1, 0, 1.0, s30
	s_mov_b32 s54, -1
	s_mov_b32 s0, 0
	s_wait_xcnt 0x0
	s_delay_alu instid0(VALU_DEP_1) | instskip(NEXT) | instid1(VALU_DEP_1)
	v_bfe_u32 v4, v1, 16, 1
	v_add3_u32 v1, v1, v4, 0x7fff
	s_delay_alu instid0(VALU_DEP_1)
	v_lshrrev_b32_e32 v1, 16, v1
	global_store_b32 v[2:3], v1, off
	s_branch .LBB7_1026
.LBB7_1021:
	s_mov_b32 s53, -1
	s_mov_b32 s54, 0
	s_mov_b32 s0, s48
	s_branch .LBB7_1095
.LBB7_1022:
	s_mov_b32 s55, -1
	s_mov_b32 s54, 0
	s_mov_b32 s0, s48
	s_branch .LBB7_1053
.LBB7_1023:
	s_mov_b32 s55, -1
	s_mov_b32 s54, 0
	s_mov_b32 s0, s48
	s_branch .LBB7_1036
.LBB7_1024:
	s_mov_b32 s55, -1
	s_mov_b32 s54, 0
	s_mov_b32 s0, s48
	s_branch .LBB7_1032
.LBB7_1025:
	s_mov_b32 s55, -1
	s_mov_b32 s54, 0
	s_mov_b32 s0, s48
.LBB7_1026:
	s_and_b32 vcc_lo, exec_lo, s55
	s_cbranch_vccz .LBB7_1031
; %bb.1027:
	s_cmp_eq_u32 s53, 44
	s_mov_b32 s0, -1
	s_cbranch_scc0 .LBB7_1031
; %bb.1028:
	s_wait_xcnt 0x0
	v_cndmask_b32_e64 v5, 0, 1.0, s30
	s_mov_b32 s54, exec_lo
	s_delay_alu instid0(VALU_DEP_1) | instskip(NEXT) | instid1(VALU_DEP_1)
	v_dual_mov_b32 v4, 0xff :: v_dual_lshrrev_b32 v1, 23, v5
	v_cmpx_ne_u32_e32 0xff, v1
; %bb.1029:
	v_and_b32_e32 v4, 0x400000, v5
	v_and_or_b32 v5, 0x3fffff, v5, v1
	s_delay_alu instid0(VALU_DEP_2) | instskip(NEXT) | instid1(VALU_DEP_2)
	v_cmp_ne_u32_e32 vcc_lo, 0, v4
	v_cmp_ne_u32_e64 s0, 0, v5
	s_and_b32 s0, vcc_lo, s0
	s_delay_alu instid0(SALU_CYCLE_1) | instskip(NEXT) | instid1(VALU_DEP_1)
	v_cndmask_b32_e64 v4, 0, 1, s0
	v_add_nc_u32_e32 v4, v1, v4
; %bb.1030:
	s_or_b32 exec_lo, exec_lo, s54
	s_mov_b32 s54, -1
	s_mov_b32 s0, 0
	global_store_b8 v[2:3], v4, off
.LBB7_1031:
	s_mov_b32 s55, 0
.LBB7_1032:
	s_delay_alu instid0(SALU_CYCLE_1)
	s_and_b32 vcc_lo, exec_lo, s55
	s_cbranch_vccz .LBB7_1035
; %bb.1033:
	s_cmp_eq_u32 s53, 29
	s_mov_b32 s0, -1
	s_cbranch_scc0 .LBB7_1035
; %bb.1034:
	s_mov_b32 s0, 0
	s_wait_xcnt 0x0
	v_cndmask_b32_e64 v4, 0, 1, s30
	v_mov_b32_e32 v5, s0
	s_mov_b32 s54, -1
	s_mov_b32 s55, 0
	global_store_b64 v[2:3], v[4:5], off
	s_branch .LBB7_1036
.LBB7_1035:
	s_mov_b32 s55, 0
.LBB7_1036:
	s_delay_alu instid0(SALU_CYCLE_1)
	s_and_b32 vcc_lo, exec_lo, s55
	s_cbranch_vccz .LBB7_1052
; %bb.1037:
	s_cmp_lt_i32 s53, 27
	s_mov_b32 s54, -1
	s_cbranch_scc1 .LBB7_1043
; %bb.1038:
	s_cmp_gt_i32 s53, 27
	s_cbranch_scc0 .LBB7_1040
; %bb.1039:
	s_wait_xcnt 0x0
	v_cndmask_b32_e64 v1, 0, 1, s30
	s_mov_b32 s54, 0
	global_store_b32 v[2:3], v1, off
.LBB7_1040:
	s_and_not1_b32 vcc_lo, exec_lo, s54
	s_cbranch_vccnz .LBB7_1042
; %bb.1041:
	s_wait_xcnt 0x0
	v_cndmask_b32_e64 v1, 0, 1, s30
	global_store_b16 v[2:3], v1, off
.LBB7_1042:
	s_mov_b32 s54, 0
.LBB7_1043:
	s_delay_alu instid0(SALU_CYCLE_1)
	s_and_not1_b32 vcc_lo, exec_lo, s54
	s_cbranch_vccnz .LBB7_1051
; %bb.1044:
	s_wait_xcnt 0x0
	v_cndmask_b32_e64 v4, 0, 1.0, s30
	v_mov_b32_e32 v5, 0x80
	s_mov_b32 s54, exec_lo
	s_delay_alu instid0(VALU_DEP_2)
	v_cmpx_gt_u32_e32 0x43800000, v4
	s_cbranch_execz .LBB7_1050
; %bb.1045:
	s_mov_b32 s55, 0
	s_mov_b32 s56, exec_lo
                                        ; implicit-def: $vgpr1
	v_cmpx_lt_u32_e32 0x3bffffff, v4
	s_xor_b32 s56, exec_lo, s56
	s_cbranch_execnz .LBB7_2086
; %bb.1046:
	s_and_not1_saveexec_b32 s56, s56
	s_cbranch_execnz .LBB7_2087
.LBB7_1047:
	s_or_b32 exec_lo, exec_lo, s56
	v_mov_b32_e32 v5, 0
	s_and_saveexec_b32 s56, s55
.LBB7_1048:
	v_mov_b32_e32 v5, v1
.LBB7_1049:
	s_or_b32 exec_lo, exec_lo, s56
.LBB7_1050:
	s_delay_alu instid0(SALU_CYCLE_1)
	s_or_b32 exec_lo, exec_lo, s54
	global_store_b8 v[2:3], v5, off
.LBB7_1051:
	s_mov_b32 s54, -1
.LBB7_1052:
	s_mov_b32 s55, 0
.LBB7_1053:
	s_delay_alu instid0(SALU_CYCLE_1)
	s_and_b32 vcc_lo, exec_lo, s55
	s_cbranch_vccz .LBB7_1094
; %bb.1054:
	s_cmp_gt_i32 s53, 22
	s_mov_b32 s55, -1
	s_cbranch_scc0 .LBB7_1086
; %bb.1055:
	s_cmp_lt_i32 s53, 24
	s_mov_b32 s54, -1
	s_cbranch_scc1 .LBB7_1075
; %bb.1056:
	s_cmp_gt_i32 s53, 24
	s_cbranch_scc0 .LBB7_1064
; %bb.1057:
	s_wait_xcnt 0x0
	v_cndmask_b32_e64 v4, 0, 1.0, s30
	v_mov_b32_e32 v5, 0x80
	s_mov_b32 s54, exec_lo
	s_delay_alu instid0(VALU_DEP_2)
	v_cmpx_gt_u32_e32 0x47800000, v4
	s_cbranch_execz .LBB7_1063
; %bb.1058:
	s_mov_b32 s55, 0
	s_mov_b32 s56, exec_lo
                                        ; implicit-def: $vgpr1
	v_cmpx_lt_u32_e32 0x37ffffff, v4
	s_xor_b32 s56, exec_lo, s56
	s_cbranch_execnz .LBB7_2089
; %bb.1059:
	s_and_not1_saveexec_b32 s56, s56
	s_cbranch_execnz .LBB7_2090
.LBB7_1060:
	s_or_b32 exec_lo, exec_lo, s56
	v_mov_b32_e32 v5, 0
	s_and_saveexec_b32 s56, s55
.LBB7_1061:
	v_mov_b32_e32 v5, v1
.LBB7_1062:
	s_or_b32 exec_lo, exec_lo, s56
.LBB7_1063:
	s_delay_alu instid0(SALU_CYCLE_1)
	s_or_b32 exec_lo, exec_lo, s54
	s_mov_b32 s54, 0
	global_store_b8 v[2:3], v5, off
.LBB7_1064:
	s_and_b32 vcc_lo, exec_lo, s54
	s_cbranch_vccz .LBB7_1074
; %bb.1065:
	s_wait_xcnt 0x0
	v_cndmask_b32_e64 v4, 0, 1.0, s30
	s_mov_b32 s54, exec_lo
                                        ; implicit-def: $vgpr1
	s_delay_alu instid0(VALU_DEP_1)
	v_cmpx_gt_u32_e32 0x43f00000, v4
	s_xor_b32 s54, exec_lo, s54
	s_cbranch_execz .LBB7_1071
; %bb.1066:
	s_mov_b32 s55, exec_lo
                                        ; implicit-def: $vgpr1
	v_cmpx_lt_u32_e32 0x3c7fffff, v4
	s_xor_b32 s55, exec_lo, s55
; %bb.1067:
	v_bfe_u32 v1, v4, 20, 1
	s_delay_alu instid0(VALU_DEP_1) | instskip(NEXT) | instid1(VALU_DEP_1)
	v_add3_u32 v1, v4, v1, 0x407ffff
	v_and_b32_e32 v4, 0xff00000, v1
	v_lshrrev_b32_e32 v1, 20, v1
	s_delay_alu instid0(VALU_DEP_2) | instskip(NEXT) | instid1(VALU_DEP_2)
	v_cmp_ne_u32_e32 vcc_lo, 0x7f00000, v4
                                        ; implicit-def: $vgpr4
	v_cndmask_b32_e32 v1, 0x7e, v1, vcc_lo
; %bb.1068:
	s_and_not1_saveexec_b32 s55, s55
; %bb.1069:
	v_add_f32_e32 v1, 0x46800000, v4
; %bb.1070:
	s_or_b32 exec_lo, exec_lo, s55
                                        ; implicit-def: $vgpr4
.LBB7_1071:
	s_and_not1_saveexec_b32 s54, s54
; %bb.1072:
	v_mov_b32_e32 v1, 0x7f
	v_cmp_lt_u32_e32 vcc_lo, 0x7f800000, v4
	s_delay_alu instid0(VALU_DEP_2)
	v_cndmask_b32_e32 v1, 0x7e, v1, vcc_lo
; %bb.1073:
	s_or_b32 exec_lo, exec_lo, s54
	global_store_b8 v[2:3], v1, off
.LBB7_1074:
	s_mov_b32 s54, 0
.LBB7_1075:
	s_delay_alu instid0(SALU_CYCLE_1)
	s_and_not1_b32 vcc_lo, exec_lo, s54
	s_cbranch_vccnz .LBB7_1085
; %bb.1076:
	s_wait_xcnt 0x0
	v_cndmask_b32_e64 v4, 0, 1.0, s30
	s_mov_b32 s54, exec_lo
                                        ; implicit-def: $vgpr1
	s_delay_alu instid0(VALU_DEP_1)
	v_cmpx_gt_u32_e32 0x47800000, v4
	s_xor_b32 s54, exec_lo, s54
	s_cbranch_execz .LBB7_1082
; %bb.1077:
	s_mov_b32 s55, exec_lo
                                        ; implicit-def: $vgpr1
	v_cmpx_lt_u32_e32 0x387fffff, v4
	s_xor_b32 s55, exec_lo, s55
; %bb.1078:
	v_bfe_u32 v1, v4, 21, 1
	s_delay_alu instid0(VALU_DEP_1) | instskip(NEXT) | instid1(VALU_DEP_1)
	v_add3_u32 v1, v4, v1, 0x80fffff
                                        ; implicit-def: $vgpr4
	v_lshrrev_b32_e32 v1, 21, v1
; %bb.1079:
	s_and_not1_saveexec_b32 s55, s55
; %bb.1080:
	v_add_f32_e32 v1, 0x43000000, v4
; %bb.1081:
	s_or_b32 exec_lo, exec_lo, s55
                                        ; implicit-def: $vgpr4
.LBB7_1082:
	s_and_not1_saveexec_b32 s54, s54
; %bb.1083:
	v_mov_b32_e32 v1, 0x7f
	v_cmp_lt_u32_e32 vcc_lo, 0x7f800000, v4
	s_delay_alu instid0(VALU_DEP_2)
	v_cndmask_b32_e32 v1, 0x7c, v1, vcc_lo
; %bb.1084:
	s_or_b32 exec_lo, exec_lo, s54
	global_store_b8 v[2:3], v1, off
.LBB7_1085:
	s_mov_b32 s55, 0
	s_mov_b32 s54, -1
.LBB7_1086:
	s_and_not1_b32 vcc_lo, exec_lo, s55
	s_cbranch_vccnz .LBB7_1094
; %bb.1087:
	s_cmp_gt_i32 s53, 14
	s_mov_b32 s55, -1
	s_cbranch_scc0 .LBB7_1091
; %bb.1088:
	s_cmp_eq_u32 s53, 15
	s_mov_b32 s0, -1
	s_cbranch_scc0 .LBB7_1090
; %bb.1089:
	s_wait_xcnt 0x0
	v_cndmask_b32_e64 v1, 0, 1.0, s30
	s_mov_b32 s54, -1
	s_mov_b32 s0, 0
	s_delay_alu instid0(VALU_DEP_1) | instskip(NEXT) | instid1(VALU_DEP_1)
	v_bfe_u32 v4, v1, 16, 1
	v_add3_u32 v1, v1, v4, 0x7fff
	global_store_d16_hi_b16 v[2:3], v1, off
.LBB7_1090:
	s_mov_b32 s55, 0
.LBB7_1091:
	s_delay_alu instid0(SALU_CYCLE_1)
	s_and_b32 vcc_lo, exec_lo, s55
	s_cbranch_vccz .LBB7_1094
; %bb.1092:
	s_cmp_eq_u32 s53, 11
	s_mov_b32 s0, -1
	s_cbranch_scc0 .LBB7_1094
; %bb.1093:
	s_wait_xcnt 0x0
	v_cndmask_b32_e64 v1, 0, 1, s30
	s_mov_b32 s54, -1
	s_mov_b32 s0, 0
	global_store_b8 v[2:3], v1, off
.LBB7_1094:
	s_mov_b32 s53, 0
.LBB7_1095:
	s_delay_alu instid0(SALU_CYCLE_1)
	s_and_b32 vcc_lo, exec_lo, s53
	s_cbranch_vccz .LBB7_1134
; %bb.1096:
	s_and_b32 s31, 0xffff, s31
	s_mov_b32 s53, -1
	s_cmp_lt_i32 s31, 5
	s_cbranch_scc1 .LBB7_1117
; %bb.1097:
	s_cmp_lt_i32 s31, 8
	s_cbranch_scc1 .LBB7_1107
; %bb.1098:
	s_cmp_lt_i32 s31, 9
	s_cbranch_scc1 .LBB7_1104
; %bb.1099:
	s_cmp_gt_i32 s31, 9
	s_cbranch_scc0 .LBB7_1101
; %bb.1100:
	s_wait_xcnt 0x0
	v_cndmask_b32_e64 v1, 0, 1, s30
	v_mov_b32_e32 v6, 0
	s_mov_b32 s53, 0
	s_delay_alu instid0(VALU_DEP_2) | instskip(NEXT) | instid1(VALU_DEP_2)
	v_cvt_f64_u32_e32 v[4:5], v1
	v_mov_b32_e32 v7, v6
	global_store_b128 v[2:3], v[4:7], off
.LBB7_1101:
	s_and_not1_b32 vcc_lo, exec_lo, s53
	s_cbranch_vccnz .LBB7_1103
; %bb.1102:
	s_wait_xcnt 0x0
	v_cndmask_b32_e64 v4, 0, 1.0, s30
	v_mov_b32_e32 v5, 0
	global_store_b64 v[2:3], v[4:5], off
.LBB7_1103:
	s_mov_b32 s53, 0
.LBB7_1104:
	s_delay_alu instid0(SALU_CYCLE_1)
	s_and_not1_b32 vcc_lo, exec_lo, s53
	s_cbranch_vccnz .LBB7_1106
; %bb.1105:
	s_wait_xcnt 0x0
	v_cndmask_b32_e64 v1, 0, 1.0, s30
	s_delay_alu instid0(VALU_DEP_1) | instskip(NEXT) | instid1(VALU_DEP_1)
	v_cvt_f16_f32_e32 v1, v1
	v_and_b32_e32 v1, 0xffff, v1
	global_store_b32 v[2:3], v1, off
.LBB7_1106:
	s_mov_b32 s53, 0
.LBB7_1107:
	s_delay_alu instid0(SALU_CYCLE_1)
	s_and_not1_b32 vcc_lo, exec_lo, s53
	s_cbranch_vccnz .LBB7_1116
; %bb.1108:
	s_cmp_lt_i32 s31, 6
	s_mov_b32 s53, -1
	s_cbranch_scc1 .LBB7_1114
; %bb.1109:
	s_cmp_gt_i32 s31, 6
	s_cbranch_scc0 .LBB7_1111
; %bb.1110:
	s_wait_xcnt 0x0
	v_cndmask_b32_e64 v1, 0, 1, s30
	s_mov_b32 s53, 0
	s_delay_alu instid0(VALU_DEP_1)
	v_cvt_f64_u32_e32 v[4:5], v1
	global_store_b64 v[2:3], v[4:5], off
.LBB7_1111:
	s_and_not1_b32 vcc_lo, exec_lo, s53
	s_cbranch_vccnz .LBB7_1113
; %bb.1112:
	s_wait_xcnt 0x0
	v_cndmask_b32_e64 v1, 0, 1.0, s30
	global_store_b32 v[2:3], v1, off
.LBB7_1113:
	s_mov_b32 s53, 0
.LBB7_1114:
	s_delay_alu instid0(SALU_CYCLE_1)
	s_and_not1_b32 vcc_lo, exec_lo, s53
	s_cbranch_vccnz .LBB7_1116
; %bb.1115:
	s_wait_xcnt 0x0
	v_cndmask_b32_e64 v1, 0, 1.0, s30
	s_delay_alu instid0(VALU_DEP_1)
	v_cvt_f16_f32_e32 v1, v1
	global_store_b16 v[2:3], v1, off
.LBB7_1116:
	s_mov_b32 s53, 0
.LBB7_1117:
	s_delay_alu instid0(SALU_CYCLE_1)
	s_and_not1_b32 vcc_lo, exec_lo, s53
	s_cbranch_vccnz .LBB7_1133
; %bb.1118:
	s_cmp_lt_i32 s31, 2
	s_mov_b32 s53, -1
	s_cbranch_scc1 .LBB7_1128
; %bb.1119:
	s_cmp_lt_i32 s31, 3
	s_cbranch_scc1 .LBB7_1125
; %bb.1120:
	s_cmp_gt_i32 s31, 3
	s_cbranch_scc0 .LBB7_1122
; %bb.1121:
	s_mov_b32 s53, 0
	s_wait_xcnt 0x0
	v_cndmask_b32_e64 v4, 0, 1, s30
	v_mov_b32_e32 v5, s53
	global_store_b64 v[2:3], v[4:5], off
.LBB7_1122:
	s_and_not1_b32 vcc_lo, exec_lo, s53
	s_cbranch_vccnz .LBB7_1124
; %bb.1123:
	s_wait_xcnt 0x0
	v_cndmask_b32_e64 v1, 0, 1, s30
	global_store_b32 v[2:3], v1, off
.LBB7_1124:
	s_mov_b32 s53, 0
.LBB7_1125:
	s_delay_alu instid0(SALU_CYCLE_1)
	s_and_not1_b32 vcc_lo, exec_lo, s53
	s_cbranch_vccnz .LBB7_1127
; %bb.1126:
	s_wait_xcnt 0x0
	v_cndmask_b32_e64 v1, 0, 1, s30
	global_store_b16 v[2:3], v1, off
.LBB7_1127:
	s_mov_b32 s53, 0
.LBB7_1128:
	s_delay_alu instid0(SALU_CYCLE_1)
	s_and_not1_b32 vcc_lo, exec_lo, s53
	s_cbranch_vccnz .LBB7_1133
; %bb.1129:
	s_cmp_gt_i32 s31, 0
	s_mov_b32 s31, -1
	s_cbranch_scc0 .LBB7_1131
; %bb.1130:
	s_wait_xcnt 0x0
	v_cndmask_b32_e64 v1, 0, 1, s30
	s_mov_b32 s31, 0
	global_store_b8 v[2:3], v1, off
.LBB7_1131:
	s_and_not1_b32 vcc_lo, exec_lo, s31
	s_cbranch_vccnz .LBB7_1133
; %bb.1132:
	s_wait_xcnt 0x0
	v_cndmask_b32_e64 v1, 0, 1, s30
	global_store_b8 v[2:3], v1, off
.LBB7_1133:
	s_mov_b32 s54, -1
.LBB7_1134:
	s_mov_b32 s31, 0
	s_and_not1_b32 vcc_lo, exec_lo, s54
	s_mov_b32 s56, 0
	s_cbranch_vccnz .LBB7_1136
; %bb.1135:
	v_add_nc_u32_e32 v0, 0x80, v0
	s_mov_b32 s56, -1
.LBB7_1136:
	s_and_not1_b32 s30, s48, exec_lo
	s_and_b32 s0, s0, exec_lo
	s_and_not1_b32 s53, s49, exec_lo
	s_and_b32 s31, s31, exec_lo
	s_or_b32 s55, s30, s0
	s_and_not1_b32 s0, s50, exec_lo
	s_and_b32 s29, s29, exec_lo
	s_and_not1_b32 s30, s47, exec_lo
	s_and_b32 s28, s28, exec_lo
	s_or_b32 s53, s53, s31
	s_or_b32 s54, s0, s29
	;; [unrolled: 1-line block ×3, first 2 shown]
	s_or_not1_b32 s29, s56, exec_lo
.LBB7_1137:
	s_wait_xcnt 0x0
	s_or_b32 exec_lo, exec_lo, s52
	s_mov_b32 s28, 0
                                        ; implicit-def: $vgpr4
                                        ; implicit-def: $vgpr6
                                        ; implicit-def: $vgpr2
	s_and_saveexec_b32 s52, s29
	s_cbranch_execz .LBB7_1171
; %bb.1138:
	v_cmp_gt_i32_e32 vcc_lo, s41, v0
	s_mov_b32 s29, s0
                                        ; implicit-def: $vgpr4
                                        ; implicit-def: $vgpr6
                                        ; implicit-def: $vgpr2
	s_and_saveexec_b32 s41, vcc_lo
	s_cbranch_execz .LBB7_1170
; %bb.1139:
	s_and_not1_b32 vcc_lo, exec_lo, s35
	s_cbranch_vccnz .LBB7_1145
; %bb.1140:
	s_and_not1_b32 vcc_lo, exec_lo, s42
	s_cbranch_vccnz .LBB7_1146
; %bb.1141:
	v_dual_mov_b32 v2, 0 :: v_dual_mov_b32 v1, v0
	v_dual_mov_b32 v6, 0 :: v_dual_mov_b32 v4, 0
	s_add_co_i32 s30, s40, 1
	s_mov_b64 s[28:29], 0xffffffffffffffe0
	s_and_b32 s42, s30, 30
	s_add_nc_u64 s[28:29], s[2:3], s[28:29]
	s_mov_b64 s[30:31], s[2:3]
.LBB7_1142:                             ; =>This Inner Loop Header: Depth=1
	s_clause 0x1
	s_load_b128 s[56:59], s[30:31], 0x4
	s_load_b64 s[60:61], s[30:31], 0x14
	s_load_b32 s62, s[28:29], 0xe4
	s_add_co_i32 s42, s42, -2
	s_wait_xcnt 0x0
	s_add_nc_u64 s[30:31], s[30:31], 24
	s_cmp_eq_u32 s42, 0
	s_wait_kmcnt 0x0
	v_mul_hi_u32 v3, s57, v1
	s_delay_alu instid0(VALU_DEP_1) | instskip(NEXT) | instid1(VALU_DEP_1)
	v_add_nc_u32_e32 v3, v1, v3
	v_lshrrev_b32_e32 v3, s58, v3
	s_delay_alu instid0(VALU_DEP_1) | instskip(SKIP_2) | instid1(VALU_DEP_1)
	v_mul_hi_u32 v5, s60, v3
	v_mul_lo_u32 v7, v3, s56
	s_load_b96 s[56:58], s[28:29], 0xec
	v_dual_add_nc_u32 v5, v3, v5 :: v_dual_sub_nc_u32 v7, v1, v7
	s_delay_alu instid0(VALU_DEP_1) | instskip(SKIP_1) | instid1(VALU_DEP_2)
	v_lshrrev_b32_e32 v1, s61, v5
	s_load_b64 s[60:61], s[28:29], 0xfc
	v_mad_u32 v2, v7, s62, v2
	s_wait_xcnt 0x0
	s_add_nc_u64 s[28:29], s[28:29], 32
	v_mul_lo_u32 v5, v1, s59
	s_wait_kmcnt 0x0
	v_mad_u32 v4, v7, s57, v4
	v_mad_u32 v6, v7, s56, v6
	s_delay_alu instid0(VALU_DEP_3) | instskip(NEXT) | instid1(VALU_DEP_1)
	v_sub_nc_u32_e32 v3, v3, v5
	v_mad_u32 v2, v3, s58, v2
	s_delay_alu instid0(VALU_DEP_4) | instskip(NEXT) | instid1(VALU_DEP_4)
	v_mad_u32 v4, v3, s61, v4
	v_mad_u32 v6, v3, s60, v6
	s_cbranch_scc0 .LBB7_1142
; %bb.1143:
	s_bitcmp1_b32 s40, 0
	s_cselect_b32 s40, -1, 0
	s_delay_alu instid0(SALU_CYCLE_1)
	s_and_b32 vcc_lo, exec_lo, s40
	s_cbranch_vccnz .LBB7_1147
; %bb.1144:
	s_load_b96 s[56:58], s[30:31], 0x4
	s_load_b32 s40, s[28:29], 0xe4
	s_wait_xcnt 0x0
	s_load_b64 s[30:31], s[28:29], 0xec
	s_wait_kmcnt 0x0
	v_mul_hi_u32 v3, s57, v1
	s_delay_alu instid0(VALU_DEP_1) | instskip(NEXT) | instid1(VALU_DEP_1)
	v_add_nc_u32_e32 v3, v1, v3
	v_lshrrev_b32_e32 v3, s58, v3
	s_delay_alu instid0(VALU_DEP_1) | instskip(NEXT) | instid1(VALU_DEP_1)
	v_mul_lo_u32 v3, v3, s56
	v_sub_nc_u32_e32 v1, v1, v3
	s_delay_alu instid0(VALU_DEP_1)
	v_mad_u32 v2, v1, s40, v2
	v_mad_u32 v6, v1, s30, v6
	;; [unrolled: 1-line block ×3, first 2 shown]
	s_branch .LBB7_1147
.LBB7_1145:
	s_mov_b32 s28, -1
                                        ; implicit-def: $vgpr4
                                        ; implicit-def: $vgpr6
                                        ; implicit-def: $vgpr2
	s_branch .LBB7_1148
.LBB7_1146:
	v_dual_mov_b32 v4, 0 :: v_dual_mov_b32 v6, 0
	v_mov_b32_e32 v2, 0
.LBB7_1147:
	s_mov_b32 s28, 0
.LBB7_1148:
	s_delay_alu instid0(SALU_CYCLE_1)
	s_and_not1_b32 vcc_lo, exec_lo, s28
	s_cbranch_vccnz .LBB7_1151
; %bb.1149:
	v_mov_b32_e32 v1, 0
	s_and_not1_b32 vcc_lo, exec_lo, s39
	s_delay_alu instid0(VALU_DEP_1) | instskip(NEXT) | instid1(VALU_DEP_1)
	v_mul_u64_e32 v[2:3], s[20:21], v[0:1]
	v_add_nc_u32_e32 v2, v0, v3
	s_delay_alu instid0(VALU_DEP_1) | instskip(NEXT) | instid1(VALU_DEP_1)
	v_lshrrev_b32_e32 v8, s10, v2
	v_mul_lo_u32 v2, v8, s8
	s_delay_alu instid0(VALU_DEP_1) | instskip(NEXT) | instid1(VALU_DEP_1)
	v_sub_nc_u32_e32 v0, v0, v2
	v_mul_lo_u32 v2, v0, s38
	v_mul_lo_u32 v4, v0, s13
	;; [unrolled: 1-line block ×3, first 2 shown]
	s_cbranch_vccnz .LBB7_1151
; %bb.1150:
	v_mov_b32_e32 v9, v1
	s_delay_alu instid0(VALU_DEP_1) | instskip(NEXT) | instid1(VALU_DEP_1)
	v_mul_u64_e32 v[0:1], s[26:27], v[8:9]
	v_add_nc_u32_e32 v0, v8, v1
	s_delay_alu instid0(VALU_DEP_1) | instskip(NEXT) | instid1(VALU_DEP_1)
	v_lshrrev_b32_e32 v0, s25, v0
	v_mul_lo_u32 v0, v0, s11
	s_delay_alu instid0(VALU_DEP_1) | instskip(NEXT) | instid1(VALU_DEP_1)
	v_sub_nc_u32_e32 v0, v8, v0
	v_mad_u32 v2, v0, s14, v2
	v_mad_u32 v6, v0, s22, v6
	;; [unrolled: 1-line block ×3, first 2 shown]
.LBB7_1151:
	s_and_b32 s11, s37, 0xff
	s_delay_alu instid0(SALU_CYCLE_1)
	s_cmp_lt_i32 s11, 23
	s_cbranch_scc1 .LBB7_1155
; %bb.1152:
	s_and_b32 s12, 0xffff, s11
	s_delay_alu instid0(SALU_CYCLE_1)
	s_cmp_gt_i32 s12, 43
	s_cbranch_scc0 .LBB7_1156
; %bb.1153:
	s_cmp_gt_i32 s12, 45
	s_cbranch_scc0 .LBB7_1157
; %bb.1154:
	s_cmp_lg_u32 s12, 46
	s_mov_b32 s13, 0
	s_cselect_b32 s8, -1, 0
	s_and_not1_b32 s10, s0, exec_lo
	s_and_b32 s14, s8, exec_lo
	s_mov_b32 s8, -1
	s_or_b32 s10, s10, s14
	s_branch .LBB7_1158
.LBB7_1155:
	s_mov_b32 s12, -1
	s_mov_b32 s8, 0
	s_mov_b32 s10, s0
	s_branch .LBB7_1164
.LBB7_1156:
	s_mov_b32 s13, -1
	s_mov_b32 s8, 0
	s_mov_b32 s10, s0
	s_branch .LBB7_1161
.LBB7_1157:
	s_mov_b32 s13, -1
	s_mov_b32 s8, 0
	s_mov_b32 s10, s0
.LBB7_1158:
	s_and_not1_b32 vcc_lo, exec_lo, s13
	s_cbranch_vccnz .LBB7_1160
; %bb.1159:
	s_cmp_eq_u32 s12, 44
	s_cselect_b32 s8, -1, 0
	s_cmp_lg_u32 s12, 44
	s_cselect_b32 s13, -1, 0
	s_and_not1_b32 s10, s10, exec_lo
	s_and_b32 s13, s13, exec_lo
	s_delay_alu instid0(SALU_CYCLE_1)
	s_or_b32 s10, s10, s13
.LBB7_1160:
	s_mov_b32 s13, 0
.LBB7_1161:
	s_delay_alu instid0(SALU_CYCLE_1)
	s_and_b32 vcc_lo, exec_lo, s13
	s_cbranch_vccz .LBB7_1163
; %bb.1162:
	s_cmp_lt_i32 s12, 30
	s_cselect_b32 s8, -1, 0
	s_cmp_gt_i32 s12, 29
	s_cselect_b32 s12, -1, 0
	s_and_not1_b32 s10, s10, exec_lo
	s_and_b32 s12, s12, exec_lo
	s_delay_alu instid0(SALU_CYCLE_1)
	s_or_b32 s10, s10, s12
.LBB7_1163:
	s_mov_b32 s12, 0
.LBB7_1164:
	s_delay_alu instid0(SALU_CYCLE_1)
	s_and_b32 vcc_lo, exec_lo, s12
	s_cbranch_vccz .LBB7_1169
; %bb.1165:
	s_and_b32 s11, 0xffff, s11
	s_mov_b32 s12, -1
	s_cmp_gt_i32 s11, 14
	s_cbranch_scc0 .LBB7_1167
; %bb.1166:
	s_cmp_eq_u32 s11, 15
	s_cselect_b32 s8, -1, 0
	s_cmp_lg_u32 s11, 15
	s_cselect_b32 s12, -1, 0
	s_and_not1_b32 s10, s10, exec_lo
	s_and_b32 s13, s12, exec_lo
	s_mov_b32 s12, 0
	s_or_b32 s10, s10, s13
.LBB7_1167:
	s_and_not1_b32 vcc_lo, exec_lo, s12
	s_cbranch_vccnz .LBB7_1169
; %bb.1168:
	s_cmp_lt_i32 s11, 12
	s_cselect_b32 s8, -1, 0
	s_cmp_gt_i32 s11, 11
	s_cselect_b32 s11, -1, 0
	s_and_not1_b32 s10, s10, exec_lo
	s_and_b32 s11, s11, exec_lo
	s_delay_alu instid0(SALU_CYCLE_1)
	s_or_b32 s10, s10, s11
.LBB7_1169:
	s_and_not1_b32 s11, s0, exec_lo
	s_and_b32 s10, s10, exec_lo
	s_and_b32 s28, s8, exec_lo
	s_or_b32 s29, s11, s10
.LBB7_1170:
	s_or_b32 exec_lo, exec_lo, s41
	s_delay_alu instid0(SALU_CYCLE_1)
	s_and_not1_b32 s0, s0, exec_lo
	s_and_b32 s8, s29, exec_lo
	s_and_b32 s28, s28, exec_lo
	s_or_b32 s0, s0, s8
.LBB7_1171:
	s_or_b32 exec_lo, exec_lo, s52
	s_delay_alu instid0(SALU_CYCLE_1)
	s_and_not1_b32 s8, s48, exec_lo
	s_and_b32 s10, s55, exec_lo
	s_and_not1_b32 s11, s50, exec_lo
	s_or_b32 s48, s8, s10
	s_and_not1_b32 s8, s49, exec_lo
	s_and_b32 s10, s53, exec_lo
	s_and_b32 s12, s54, exec_lo
	s_or_b32 s49, s8, s10
	s_and_not1_b32 s8, s47, exec_lo
	s_and_b32 s10, s0, exec_lo
	s_or_b32 s50, s11, s12
	s_and_b32 s0, s28, exec_lo
	s_or_b32 s47, s8, s10
.LBB7_1172:
	s_or_b32 exec_lo, exec_lo, s51
	s_delay_alu instid0(SALU_CYCLE_1)
	s_and_not1_b32 s8, s24, exec_lo
	s_and_b32 s10, s48, exec_lo
	s_and_not1_b32 s11, s44, exec_lo
	s_or_b32 s24, s8, s10
	s_and_not1_b32 s8, s43, exec_lo
	s_and_b32 s10, s49, exec_lo
	s_and_b32 s12, s50, exec_lo
	s_or_b32 s43, s8, s10
	s_and_not1_b32 s8, s45, exec_lo
	s_and_b32 s10, s47, exec_lo
	s_or_b32 s44, s11, s12
	s_and_b32 s21, s0, exec_lo
	s_or_b32 s45, s8, s10
.LBB7_1173:
	s_or_b32 exec_lo, exec_lo, s46
	s_mov_b32 s13, 0
	s_mov_b32 s8, 0
	s_and_saveexec_b32 s0, s45
	s_cbranch_execnz .LBB7_1188
.LBB7_1174:
	s_or_b32 exec_lo, exec_lo, s0
	s_mov_b32 s14, 0
	s_mov_b32 s12, 0
                                        ; implicit-def: $sgpr10
                                        ; implicit-def: $sgpr11
                                        ; implicit-def: $vgpr0_vgpr1
	s_and_saveexec_b32 s0, s21
	s_cbranch_execnz .LBB7_1178
; %bb.1175:
	s_or_b32 exec_lo, exec_lo, s0
	s_and_saveexec_b32 s0, s44
	s_cbranch_execnz .LBB7_1238
.LBB7_1176:
	s_or_b32 exec_lo, exec_lo, s0
	s_and_saveexec_b32 s0, s13
	s_delay_alu instid0(SALU_CYCLE_1)
	s_xor_b32 s0, exec_lo, s0
	s_cbranch_execnz .LBB7_1239
.LBB7_1177:
	s_or_b32 exec_lo, exec_lo, s0
	s_and_saveexec_b32 s4, s14
	s_cbranch_execnz .LBB7_1240
	s_branch .LBB7_1285
.LBB7_1178:
	v_mov_b32_e32 v7, 0
	s_and_b32 s11, s18, 0xff
	s_delay_alu instid0(SALU_CYCLE_1) | instskip(NEXT) | instid1(VALU_DEP_1)
	s_cmp_lt_i32 s11, 11
	v_add_nc_u64_e32 v[0:1], s[4:5], v[6:7]
	s_cbranch_scc1 .LBB7_1185
; %bb.1179:
	s_and_b32 s5, 0xffff, s11
	s_delay_alu instid0(SALU_CYCLE_1)
	s_cmp_gt_i32 s5, 25
	s_cbranch_scc0 .LBB7_1186
; %bb.1180:
	s_cmp_gt_i32 s5, 28
	s_cbranch_scc0 .LBB7_1187
; %bb.1181:
	;; [unrolled: 3-line block ×4, first 2 shown]
	s_cmp_eq_u32 s5, 46
	s_cbranch_scc0 .LBB7_1191
; %bb.1184:
	global_load_b32 v3, v[0:1], off
	s_mov_b32 s4, 0
	s_mov_b32 s12, -1
	s_wait_loadcnt 0x0
	v_and_b32_e32 v3, 0x7fff7fff, v3
	s_delay_alu instid0(VALU_DEP_1)
	v_cmp_ne_u32_e64 s10, 0, v3
	s_branch .LBB7_1193
.LBB7_1185:
	s_mov_b32 s5, -1
	s_mov_b32 s4, s44
                                        ; implicit-def: $sgpr10
	s_branch .LBB7_1237
.LBB7_1186:
	s_mov_b32 s4, s44
                                        ; implicit-def: $sgpr10
	s_cbranch_execnz .LBB7_1214
	s_branch .LBB7_1236
.LBB7_1187:
	s_mov_b32 s14, -1
	s_mov_b32 s4, s44
                                        ; implicit-def: $sgpr10
	s_branch .LBB7_1201
.LBB7_1188:
	s_mov_b32 s8, exec_lo
	s_and_not1_b32 s21, s21, exec_lo
	s_trap 2
	s_branch .LBB7_1174
.LBB7_1189:
	s_mov_b32 s14, -1
	s_mov_b32 s4, s44
                                        ; implicit-def: $sgpr10
	s_branch .LBB7_1196
.LBB7_1190:
	s_mov_b32 s14, -1
	s_mov_b32 s4, s44
	s_branch .LBB7_1192
.LBB7_1191:
	s_mov_b32 s4, -1
.LBB7_1192:
                                        ; implicit-def: $sgpr10
.LBB7_1193:
	s_and_b32 vcc_lo, exec_lo, s14
	s_cbranch_vccz .LBB7_1195
; %bb.1194:
	s_cmp_lg_u32 s5, 44
	s_mov_b32 s12, -1
	s_cselect_b32 s14, -1, 0
	s_and_not1_b32 s4, s4, exec_lo
	s_and_b32 s14, s14, exec_lo
	s_or_b32 s10, s10, exec_lo
	s_or_b32 s4, s4, s14
.LBB7_1195:
	s_mov_b32 s14, 0
.LBB7_1196:
	s_delay_alu instid0(SALU_CYCLE_1)
	s_and_b32 vcc_lo, exec_lo, s14
	s_cbranch_vccz .LBB7_1200
; %bb.1197:
	s_cmp_eq_u32 s5, 29
	s_cbranch_scc0 .LBB7_1199
; %bb.1198:
	global_load_b64 v[6:7], v[0:1], off
	s_mov_b32 s4, 0
	s_mov_b32 s12, -1
	s_mov_b32 s14, 0
	s_wait_loadcnt 0x0
	v_cmp_ne_u64_e64 s10, 0, v[6:7]
	s_branch .LBB7_1201
.LBB7_1199:
	s_mov_b32 s4, -1
                                        ; implicit-def: $sgpr10
.LBB7_1200:
	s_mov_b32 s14, 0
.LBB7_1201:
	s_delay_alu instid0(SALU_CYCLE_1)
	s_and_b32 vcc_lo, exec_lo, s14
	s_cbranch_vccz .LBB7_1213
; %bb.1202:
	s_cmp_lt_i32 s5, 27
	s_cbranch_scc1 .LBB7_1205
; %bb.1203:
	s_cmp_gt_i32 s5, 27
	s_cbranch_scc0 .LBB7_1206
; %bb.1204:
	global_load_b32 v3, v[0:1], off
	s_mov_b32 s12, 0
	s_wait_loadcnt 0x0
	v_cmp_ne_u32_e64 s10, 0, v3
	s_branch .LBB7_1207
.LBB7_1205:
	s_mov_b32 s12, -1
                                        ; implicit-def: $sgpr10
	s_branch .LBB7_1210
.LBB7_1206:
	s_mov_b32 s12, -1
                                        ; implicit-def: $sgpr10
.LBB7_1207:
	s_delay_alu instid0(SALU_CYCLE_1)
	s_and_not1_b32 vcc_lo, exec_lo, s12
	s_cbranch_vccnz .LBB7_1209
; %bb.1208:
	global_load_u16 v3, v[0:1], off
	s_and_not1_b32 s10, s10, exec_lo
	s_wait_loadcnt 0x0
	v_cmp_ne_u16_e32 vcc_lo, 0, v3
	s_and_b32 s12, vcc_lo, exec_lo
	s_delay_alu instid0(SALU_CYCLE_1)
	s_or_b32 s10, s10, s12
.LBB7_1209:
	s_mov_b32 s12, 0
.LBB7_1210:
	s_delay_alu instid0(SALU_CYCLE_1)
	s_and_not1_b32 vcc_lo, exec_lo, s12
	s_cbranch_vccnz .LBB7_1212
; %bb.1211:
	global_load_u8 v3, v[0:1], off
	s_and_not1_b32 s10, s10, exec_lo
	s_wait_loadcnt 0x0
	v_cmp_ne_u16_e32 vcc_lo, 0, v3
	s_and_b32 s12, vcc_lo, exec_lo
	s_delay_alu instid0(SALU_CYCLE_1)
	s_or_b32 s10, s10, s12
.LBB7_1212:
	s_mov_b32 s12, -1
.LBB7_1213:
	s_branch .LBB7_1236
.LBB7_1214:
	s_cmp_gt_i32 s5, 22
	s_cbranch_scc0 .LBB7_1218
; %bb.1215:
	s_cmp_lt_i32 s5, 24
	s_cbranch_scc1 .LBB7_1219
; %bb.1216:
	s_cmp_gt_i32 s5, 24
	s_cbranch_scc0 .LBB7_1220
; %bb.1217:
	global_load_u8 v3, v[0:1], off
	s_mov_b32 s12, 0
	s_wait_loadcnt 0x0
	v_cmp_ne_u16_e64 s10, 0, v3
	s_branch .LBB7_1221
.LBB7_1218:
	s_mov_b32 s13, -1
                                        ; implicit-def: $sgpr10
	s_branch .LBB7_1227
.LBB7_1219:
	s_mov_b32 s12, -1
                                        ; implicit-def: $sgpr10
	s_branch .LBB7_1224
.LBB7_1220:
	s_mov_b32 s12, -1
                                        ; implicit-def: $sgpr10
.LBB7_1221:
	s_delay_alu instid0(SALU_CYCLE_1)
	s_and_not1_b32 vcc_lo, exec_lo, s12
	s_cbranch_vccnz .LBB7_1223
; %bb.1222:
	global_load_u8 v3, v[0:1], off
	s_and_not1_b32 s10, s10, exec_lo
	s_wait_loadcnt 0x0
	v_and_b32_e32 v3, 0x7f, v3
	s_delay_alu instid0(VALU_DEP_1) | instskip(SKIP_1) | instid1(SALU_CYCLE_1)
	v_cmp_ne_u16_e32 vcc_lo, 0, v3
	s_and_b32 s12, vcc_lo, exec_lo
	s_or_b32 s10, s10, s12
.LBB7_1223:
	s_mov_b32 s12, 0
.LBB7_1224:
	s_delay_alu instid0(SALU_CYCLE_1)
	s_and_not1_b32 vcc_lo, exec_lo, s12
	s_cbranch_vccnz .LBB7_1226
; %bb.1225:
	global_load_u8 v3, v[0:1], off
	s_and_not1_b32 s10, s10, exec_lo
	s_wait_loadcnt 0x0
	v_dual_lshlrev_b32 v5, 25, v3 :: v_dual_lshlrev_b32 v3, 8, v3
	s_delay_alu instid0(VALU_DEP_1) | instskip(NEXT) | instid1(VALU_DEP_2)
	v_cmp_gt_u32_e32 vcc_lo, 0x8000000, v5
	v_and_or_b32 v3, 0x7f00, v3, 0.5
	s_delay_alu instid0(VALU_DEP_1) | instskip(NEXT) | instid1(VALU_DEP_1)
	v_dual_add_f32 v3, -0.5, v3 :: v_dual_lshrrev_b32 v6, 4, v5
	v_or_b32_e32 v6, 0x70000000, v6
	s_delay_alu instid0(VALU_DEP_1) | instskip(NEXT) | instid1(VALU_DEP_1)
	v_mul_f32_e32 v6, 0x7800000, v6
	v_cndmask_b32_e32 v3, v6, v3, vcc_lo
	s_delay_alu instid0(VALU_DEP_1) | instskip(SKIP_1) | instid1(SALU_CYCLE_1)
	v_cmp_neq_f32_e32 vcc_lo, 0, v3
	s_and_b32 s12, vcc_lo, exec_lo
	s_or_b32 s10, s10, s12
.LBB7_1226:
	s_mov_b32 s12, -1
.LBB7_1227:
	s_and_not1_b32 vcc_lo, exec_lo, s13
	s_mov_b32 s13, 0
	s_cbranch_vccnz .LBB7_1236
; %bb.1228:
	s_cmp_gt_i32 s5, 14
	s_cbranch_scc0 .LBB7_1231
; %bb.1229:
	s_cmp_eq_u32 s5, 15
	s_cbranch_scc0 .LBB7_1232
; %bb.1230:
	global_load_u16 v3, v[0:1], off
	s_mov_b32 s4, 0
	s_mov_b32 s12, -1
	s_wait_loadcnt 0x0
	v_and_b32_e32 v3, 0x7fff, v3
	s_delay_alu instid0(VALU_DEP_1)
	v_cmp_ne_u16_e64 s10, 0, v3
	s_branch .LBB7_1234
.LBB7_1231:
	s_mov_b32 s13, -1
	s_branch .LBB7_1233
.LBB7_1232:
	s_mov_b32 s4, -1
.LBB7_1233:
                                        ; implicit-def: $sgpr10
.LBB7_1234:
	s_and_b32 vcc_lo, exec_lo, s13
	s_mov_b32 s13, 0
	s_cbranch_vccz .LBB7_1236
; %bb.1235:
	s_cmp_lg_u32 s5, 11
	s_mov_b32 s13, -1
	s_cselect_b32 s5, -1, 0
	s_and_not1_b32 s4, s4, exec_lo
	s_and_b32 s5, s5, exec_lo
	s_delay_alu instid0(SALU_CYCLE_1)
	s_or_b32 s4, s4, s5
.LBB7_1236:
	s_mov_b32 s5, 0
.LBB7_1237:
	s_delay_alu instid0(SALU_CYCLE_1)
	s_and_b32 s14, s5, exec_lo
	s_and_not1_b32 s5, s44, exec_lo
	s_and_b32 s4, s4, exec_lo
	s_and_b32 s12, s12, exec_lo
	;; [unrolled: 1-line block ×3, first 2 shown]
	s_or_b32 s44, s5, s4
	s_wait_xcnt 0x0
	s_or_b32 exec_lo, exec_lo, s0
	s_and_saveexec_b32 s0, s44
	s_cbranch_execz .LBB7_1176
.LBB7_1238:
	s_or_b32 s8, s8, exec_lo
	s_and_not1_b32 s12, s12, exec_lo
	s_and_not1_b32 s13, s13, exec_lo
	s_trap 2
	s_or_b32 exec_lo, exec_lo, s0
	s_and_saveexec_b32 s0, s13
	s_delay_alu instid0(SALU_CYCLE_1)
	s_xor_b32 s0, exec_lo, s0
	s_cbranch_execz .LBB7_1177
.LBB7_1239:
	global_load_u8 v3, v[0:1], off
	s_and_not1_b32 s4, s10, exec_lo
	s_or_b32 s12, s12, exec_lo
	s_wait_loadcnt 0x0
	v_cmp_ne_u16_e32 vcc_lo, 0, v3
	s_and_b32 s5, vcc_lo, exec_lo
	s_delay_alu instid0(SALU_CYCLE_1)
	s_or_b32 s10, s4, s5
	s_wait_xcnt 0x0
	s_or_b32 exec_lo, exec_lo, s0
	s_and_saveexec_b32 s4, s14
	s_cbranch_execz .LBB7_1285
.LBB7_1240:
	s_sext_i32_i16 s0, s11
	s_delay_alu instid0(SALU_CYCLE_1)
	s_cmp_lt_i32 s0, 5
	s_cbranch_scc1 .LBB7_1245
; %bb.1241:
	s_cmp_lt_i32 s0, 8
	s_cbranch_scc1 .LBB7_1246
; %bb.1242:
	;; [unrolled: 3-line block ×3, first 2 shown]
	s_cmp_gt_i32 s0, 9
	s_cbranch_scc0 .LBB7_1248
; %bb.1244:
	global_load_b128 v[6:9], v[0:1], off
	s_mov_b32 s5, 0
	s_wait_loadcnt 0x0
	v_cmp_neq_f64_e32 vcc_lo, 0, v[6:7]
	v_cmp_neq_f64_e64 s0, 0, v[8:9]
	s_or_b32 s0, vcc_lo, s0
	s_branch .LBB7_1249
.LBB7_1245:
                                        ; implicit-def: $sgpr0
	s_branch .LBB7_1266
.LBB7_1246:
                                        ; implicit-def: $sgpr0
	s_branch .LBB7_1255
.LBB7_1247:
	s_mov_b32 s5, -1
                                        ; implicit-def: $sgpr0
	s_branch .LBB7_1252
.LBB7_1248:
	s_mov_b32 s5, -1
                                        ; implicit-def: $sgpr0
.LBB7_1249:
	s_delay_alu instid0(SALU_CYCLE_1)
	s_and_not1_b32 vcc_lo, exec_lo, s5
	s_cbranch_vccnz .LBB7_1251
; %bb.1250:
	global_load_b64 v[6:7], v[0:1], off
	s_and_not1_b32 s0, s0, exec_lo
	s_wait_loadcnt 0x0
	v_bitop3_b32 v3, v6, 0x7fffffff, v7 bitop3:0xc8
	s_delay_alu instid0(VALU_DEP_1) | instskip(SKIP_1) | instid1(SALU_CYCLE_1)
	v_cmp_ne_u32_e32 vcc_lo, 0, v3
	s_and_b32 s5, vcc_lo, exec_lo
	s_or_b32 s0, s0, s5
.LBB7_1251:
	s_mov_b32 s5, 0
.LBB7_1252:
	s_delay_alu instid0(SALU_CYCLE_1)
	s_and_not1_b32 vcc_lo, exec_lo, s5
	s_cbranch_vccnz .LBB7_1254
; %bb.1253:
	global_load_b32 v3, v[0:1], off
	s_and_not1_b32 s0, s0, exec_lo
	s_wait_loadcnt 0x0
	v_and_b32_e32 v3, 0x7fff7fff, v3
	s_delay_alu instid0(VALU_DEP_1) | instskip(SKIP_1) | instid1(SALU_CYCLE_1)
	v_cmp_ne_u32_e32 vcc_lo, 0, v3
	s_and_b32 s5, vcc_lo, exec_lo
	s_or_b32 s0, s0, s5
.LBB7_1254:
	s_cbranch_execnz .LBB7_1265
.LBB7_1255:
	s_sext_i32_i16 s0, s11
	s_delay_alu instid0(SALU_CYCLE_1)
	s_cmp_lt_i32 s0, 6
	s_cbranch_scc1 .LBB7_1258
; %bb.1256:
	s_cmp_gt_i32 s0, 6
	s_cbranch_scc0 .LBB7_1259
; %bb.1257:
	global_load_b64 v[6:7], v[0:1], off
	s_mov_b32 s5, 0
	s_wait_loadcnt 0x0
	v_cmp_neq_f64_e64 s0, 0, v[6:7]
	s_branch .LBB7_1260
.LBB7_1258:
	s_mov_b32 s5, -1
                                        ; implicit-def: $sgpr0
	s_branch .LBB7_1263
.LBB7_1259:
	s_mov_b32 s5, -1
                                        ; implicit-def: $sgpr0
.LBB7_1260:
	s_delay_alu instid0(SALU_CYCLE_1)
	s_and_not1_b32 vcc_lo, exec_lo, s5
	s_cbranch_vccnz .LBB7_1262
; %bb.1261:
	global_load_b32 v3, v[0:1], off
	s_and_not1_b32 s0, s0, exec_lo
	s_wait_loadcnt 0x0
	v_cmp_neq_f32_e32 vcc_lo, 0, v3
	s_and_b32 s5, vcc_lo, exec_lo
	s_delay_alu instid0(SALU_CYCLE_1)
	s_or_b32 s0, s0, s5
.LBB7_1262:
	s_mov_b32 s5, 0
.LBB7_1263:
	s_delay_alu instid0(SALU_CYCLE_1)
	s_and_not1_b32 vcc_lo, exec_lo, s5
	s_cbranch_vccnz .LBB7_1265
; %bb.1264:
	global_load_u16 v3, v[0:1], off
	s_and_not1_b32 s0, s0, exec_lo
	s_wait_loadcnt 0x0
	v_and_b32_e32 v3, 0x7fff, v3
	s_delay_alu instid0(VALU_DEP_1) | instskip(SKIP_1) | instid1(SALU_CYCLE_1)
	v_cmp_ne_u16_e32 vcc_lo, 0, v3
	s_and_b32 s5, vcc_lo, exec_lo
	s_or_b32 s0, s0, s5
.LBB7_1265:
	s_cbranch_execnz .LBB7_1284
.LBB7_1266:
	s_sext_i32_i16 s0, s11
	s_delay_alu instid0(SALU_CYCLE_1)
	s_cmp_lt_i32 s0, 2
	s_cbranch_scc1 .LBB7_1270
; %bb.1267:
	s_cmp_lt_i32 s0, 3
	s_cbranch_scc1 .LBB7_1271
; %bb.1268:
	s_cmp_gt_i32 s0, 3
	s_cbranch_scc0 .LBB7_1272
; %bb.1269:
	global_load_b64 v[6:7], v[0:1], off
	s_mov_b32 s5, 0
	s_wait_loadcnt 0x0
	v_cmp_ne_u64_e64 s0, 0, v[6:7]
	s_branch .LBB7_1273
.LBB7_1270:
                                        ; implicit-def: $sgpr0
	s_branch .LBB7_1279
.LBB7_1271:
	s_mov_b32 s5, -1
                                        ; implicit-def: $sgpr0
	s_branch .LBB7_1276
.LBB7_1272:
	s_mov_b32 s5, -1
                                        ; implicit-def: $sgpr0
.LBB7_1273:
	s_delay_alu instid0(SALU_CYCLE_1)
	s_and_not1_b32 vcc_lo, exec_lo, s5
	s_cbranch_vccnz .LBB7_1275
; %bb.1274:
	global_load_b32 v3, v[0:1], off
	s_and_not1_b32 s0, s0, exec_lo
	s_wait_loadcnt 0x0
	v_cmp_ne_u32_e32 vcc_lo, 0, v3
	s_and_b32 s5, vcc_lo, exec_lo
	s_delay_alu instid0(SALU_CYCLE_1)
	s_or_b32 s0, s0, s5
.LBB7_1275:
	s_mov_b32 s5, 0
.LBB7_1276:
	s_delay_alu instid0(SALU_CYCLE_1)
	s_and_not1_b32 vcc_lo, exec_lo, s5
	s_cbranch_vccnz .LBB7_1278
; %bb.1277:
	global_load_u16 v3, v[0:1], off
	s_and_not1_b32 s0, s0, exec_lo
	s_wait_loadcnt 0x0
	v_cmp_ne_u16_e32 vcc_lo, 0, v3
	s_and_b32 s5, vcc_lo, exec_lo
	s_delay_alu instid0(SALU_CYCLE_1)
	s_or_b32 s0, s0, s5
.LBB7_1278:
	s_cbranch_execnz .LBB7_1284
.LBB7_1279:
	s_sext_i32_i16 s0, s11
	s_mov_b32 s5, 0
	s_cmp_gt_i32 s0, 0
	s_cbranch_scc0 .LBB7_1281
; %bb.1280:
	global_load_u8 v3, v[0:1], off
	s_wait_loadcnt 0x0
	v_cmp_ne_u16_e64 s0, 0, v3
	s_branch .LBB7_1282
.LBB7_1281:
	s_mov_b32 s5, -1
                                        ; implicit-def: $sgpr0
.LBB7_1282:
	s_delay_alu instid0(SALU_CYCLE_1)
	s_and_not1_b32 vcc_lo, exec_lo, s5
	s_cbranch_vccnz .LBB7_1284
; %bb.1283:
	global_load_u8 v0, v[0:1], off
	s_and_not1_b32 s0, s0, exec_lo
	s_wait_loadcnt 0x0
	v_cmp_ne_u16_e32 vcc_lo, 0, v0
	s_and_b32 s5, vcc_lo, exec_lo
	s_delay_alu instid0(SALU_CYCLE_1)
	s_or_b32 s0, s0, s5
.LBB7_1284:
	s_and_not1_b32 s5, s10, exec_lo
	s_delay_alu instid0(VALU_DEP_1)
	s_and_b32 s0, s0, exec_lo
	s_or_b32 s12, s12, exec_lo
	s_or_b32 s10, s5, s0
.LBB7_1285:
	s_wait_xcnt 0x0
	s_or_b32 exec_lo, exec_lo, s4
	s_mov_b32 s14, 0
	s_mov_b32 s13, 0
	;; [unrolled: 1-line block ×3, first 2 shown]
                                        ; implicit-def: $sgpr5
                                        ; implicit-def: $sgpr4
                                        ; implicit-def: $vgpr0_vgpr1
	s_and_saveexec_b32 s0, s12
	s_cbranch_execnz .LBB7_1289
; %bb.1286:
	s_or_b32 exec_lo, exec_lo, s0
	s_and_saveexec_b32 s0, s43
	s_cbranch_execnz .LBB7_1348
.LBB7_1287:
	s_or_b32 exec_lo, exec_lo, s0
	s_and_saveexec_b32 s0, s14
	s_delay_alu instid0(SALU_CYCLE_1)
	s_xor_b32 s0, exec_lo, s0
	s_cbranch_execnz .LBB7_1349
.LBB7_1288:
	s_or_b32 exec_lo, exec_lo, s0
	s_and_saveexec_b32 s1, s13
	s_cbranch_execnz .LBB7_1350
	s_branch .LBB7_1395
.LBB7_1289:
	v_mov_b32_e32 v5, 0
	s_and_b32 s4, s1, 0xff
	s_delay_alu instid0(SALU_CYCLE_1) | instskip(NEXT) | instid1(VALU_DEP_1)
	s_cmp_lt_i32 s4, 11
	v_add_nc_u64_e32 v[0:1], s[6:7], v[4:5]
	s_cbranch_scc1 .LBB7_1296
; %bb.1290:
	s_and_b32 s6, 0xffff, s4
	s_mov_b32 s7, 0
	s_cmp_gt_i32 s6, 25
	s_cbranch_scc0 .LBB7_1297
; %bb.1291:
	s_cmp_gt_i32 s6, 28
	s_cbranch_scc0 .LBB7_1298
; %bb.1292:
	;; [unrolled: 3-line block ×4, first 2 shown]
	s_cmp_eq_u32 s6, 46
	s_mov_b32 s12, 0
	s_cbranch_scc0 .LBB7_1301
; %bb.1295:
	global_load_b32 v3, v[0:1], off
	s_mov_b32 s1, 0
	s_mov_b32 s11, -1
	s_wait_loadcnt 0x0
	v_and_b32_e32 v3, 0x7fff7fff, v3
	s_delay_alu instid0(VALU_DEP_1)
	v_cmp_ne_u32_e64 s5, 0, v3
	s_branch .LBB7_1303
.LBB7_1296:
	s_mov_b32 s6, -1
	s_mov_b32 s7, 0
	s_mov_b32 s1, s43
                                        ; implicit-def: $sgpr5
	s_branch .LBB7_1347
.LBB7_1297:
	s_mov_b32 s1, s43
                                        ; implicit-def: $sgpr5
	s_cbranch_execnz .LBB7_1324
	s_branch .LBB7_1346
.LBB7_1298:
	s_mov_b32 s12, -1
	s_mov_b32 s1, s43
                                        ; implicit-def: $sgpr5
	s_branch .LBB7_1311
.LBB7_1299:
	s_mov_b32 s12, -1
	s_mov_b32 s1, s43
                                        ; implicit-def: $sgpr5
	s_branch .LBB7_1306
.LBB7_1300:
	s_mov_b32 s12, -1
	s_mov_b32 s1, s43
	s_branch .LBB7_1302
.LBB7_1301:
	s_mov_b32 s1, -1
.LBB7_1302:
                                        ; implicit-def: $sgpr5
.LBB7_1303:
	s_and_b32 vcc_lo, exec_lo, s12
	s_cbranch_vccz .LBB7_1305
; %bb.1304:
	s_cmp_lg_u32 s6, 44
	s_mov_b32 s11, -1
	s_cselect_b32 s12, -1, 0
	s_and_not1_b32 s1, s1, exec_lo
	s_and_b32 s12, s12, exec_lo
	s_or_b32 s5, s5, exec_lo
	s_or_b32 s1, s1, s12
.LBB7_1305:
	s_mov_b32 s12, 0
.LBB7_1306:
	s_delay_alu instid0(SALU_CYCLE_1)
	s_and_b32 vcc_lo, exec_lo, s12
	s_cbranch_vccz .LBB7_1310
; %bb.1307:
	s_cmp_eq_u32 s6, 29
	s_cbranch_scc0 .LBB7_1309
; %bb.1308:
	global_load_b64 v[4:5], v[0:1], off
	s_mov_b32 s1, 0
	s_mov_b32 s11, -1
	s_mov_b32 s12, 0
	s_wait_loadcnt 0x0
	v_cmp_ne_u64_e64 s5, 0, v[4:5]
	s_branch .LBB7_1311
.LBB7_1309:
	s_mov_b32 s1, -1
                                        ; implicit-def: $sgpr5
.LBB7_1310:
	s_mov_b32 s12, 0
.LBB7_1311:
	s_delay_alu instid0(SALU_CYCLE_1)
	s_and_b32 vcc_lo, exec_lo, s12
	s_cbranch_vccz .LBB7_1323
; %bb.1312:
	s_cmp_lt_i32 s6, 27
	s_cbranch_scc1 .LBB7_1315
; %bb.1313:
	s_cmp_gt_i32 s6, 27
	s_cbranch_scc0 .LBB7_1316
; %bb.1314:
	global_load_b32 v3, v[0:1], off
	s_mov_b32 s11, 0
	s_wait_loadcnt 0x0
	v_cmp_ne_u32_e64 s5, 0, v3
	s_branch .LBB7_1317
.LBB7_1315:
	s_mov_b32 s11, -1
                                        ; implicit-def: $sgpr5
	s_branch .LBB7_1320
.LBB7_1316:
	s_mov_b32 s11, -1
                                        ; implicit-def: $sgpr5
.LBB7_1317:
	s_delay_alu instid0(SALU_CYCLE_1)
	s_and_not1_b32 vcc_lo, exec_lo, s11
	s_cbranch_vccnz .LBB7_1319
; %bb.1318:
	global_load_u16 v3, v[0:1], off
	s_and_not1_b32 s5, s5, exec_lo
	s_wait_loadcnt 0x0
	v_cmp_ne_u16_e32 vcc_lo, 0, v3
	s_and_b32 s11, vcc_lo, exec_lo
	s_delay_alu instid0(SALU_CYCLE_1)
	s_or_b32 s5, s5, s11
.LBB7_1319:
	s_mov_b32 s11, 0
.LBB7_1320:
	s_delay_alu instid0(SALU_CYCLE_1)
	s_and_not1_b32 vcc_lo, exec_lo, s11
	s_cbranch_vccnz .LBB7_1322
; %bb.1321:
	global_load_u8 v3, v[0:1], off
	s_and_not1_b32 s5, s5, exec_lo
	s_wait_loadcnt 0x0
	v_cmp_ne_u16_e32 vcc_lo, 0, v3
	s_and_b32 s11, vcc_lo, exec_lo
	s_delay_alu instid0(SALU_CYCLE_1)
	s_or_b32 s5, s5, s11
.LBB7_1322:
	s_mov_b32 s11, -1
.LBB7_1323:
	s_branch .LBB7_1346
.LBB7_1324:
	s_cmp_gt_i32 s6, 22
	s_cbranch_scc0 .LBB7_1328
; %bb.1325:
	s_cmp_lt_i32 s6, 24
	s_cbranch_scc1 .LBB7_1329
; %bb.1326:
	s_cmp_gt_i32 s6, 24
	s_cbranch_scc0 .LBB7_1330
; %bb.1327:
	global_load_u8 v3, v[0:1], off
	s_wait_loadcnt 0x0
	v_cmp_ne_u16_e64 s5, 0, v3
	s_branch .LBB7_1331
.LBB7_1328:
	s_mov_b32 s7, -1
                                        ; implicit-def: $sgpr5
	s_branch .LBB7_1337
.LBB7_1329:
	s_mov_b32 s7, -1
                                        ; implicit-def: $sgpr5
	s_branch .LBB7_1334
.LBB7_1330:
	s_mov_b32 s7, -1
                                        ; implicit-def: $sgpr5
.LBB7_1331:
	s_delay_alu instid0(SALU_CYCLE_1)
	s_and_not1_b32 vcc_lo, exec_lo, s7
	s_cbranch_vccnz .LBB7_1333
; %bb.1332:
	global_load_u8 v3, v[0:1], off
	s_and_not1_b32 s5, s5, exec_lo
	s_wait_loadcnt 0x0
	v_and_b32_e32 v3, 0x7f, v3
	s_delay_alu instid0(VALU_DEP_1) | instskip(SKIP_1) | instid1(SALU_CYCLE_1)
	v_cmp_ne_u16_e32 vcc_lo, 0, v3
	s_and_b32 s7, vcc_lo, exec_lo
	s_or_b32 s5, s5, s7
.LBB7_1333:
	s_mov_b32 s7, 0
.LBB7_1334:
	s_delay_alu instid0(SALU_CYCLE_1)
	s_and_not1_b32 vcc_lo, exec_lo, s7
	s_cbranch_vccnz .LBB7_1336
; %bb.1335:
	global_load_u8 v3, v[0:1], off
	s_and_not1_b32 s5, s5, exec_lo
	s_wait_loadcnt 0x0
	v_dual_lshlrev_b32 v4, 25, v3 :: v_dual_lshlrev_b32 v3, 8, v3
	s_delay_alu instid0(VALU_DEP_1) | instskip(NEXT) | instid1(VALU_DEP_2)
	v_cmp_gt_u32_e32 vcc_lo, 0x8000000, v4
	v_and_or_b32 v3, 0x7f00, v3, 0.5
	s_delay_alu instid0(VALU_DEP_1) | instskip(NEXT) | instid1(VALU_DEP_1)
	v_dual_lshrrev_b32 v5, 4, v4 :: v_dual_add_f32 v3, -0.5, v3
	v_or_b32_e32 v5, 0x70000000, v5
	s_delay_alu instid0(VALU_DEP_1) | instskip(NEXT) | instid1(VALU_DEP_1)
	v_mul_f32_e32 v5, 0x7800000, v5
	v_cndmask_b32_e32 v3, v5, v3, vcc_lo
	s_delay_alu instid0(VALU_DEP_1) | instskip(SKIP_1) | instid1(SALU_CYCLE_1)
	v_cmp_neq_f32_e32 vcc_lo, 0, v3
	s_and_b32 s7, vcc_lo, exec_lo
	s_or_b32 s5, s5, s7
.LBB7_1336:
	s_mov_b32 s7, 0
	s_mov_b32 s11, -1
.LBB7_1337:
	s_and_not1_b32 vcc_lo, exec_lo, s7
	s_mov_b32 s7, 0
	s_cbranch_vccnz .LBB7_1346
; %bb.1338:
	s_cmp_gt_i32 s6, 14
	s_cbranch_scc0 .LBB7_1341
; %bb.1339:
	s_cmp_eq_u32 s6, 15
	s_cbranch_scc0 .LBB7_1342
; %bb.1340:
	global_load_u16 v3, v[0:1], off
	s_mov_b32 s1, 0
	s_mov_b32 s11, -1
	s_wait_loadcnt 0x0
	v_and_b32_e32 v3, 0x7fff, v3
	s_delay_alu instid0(VALU_DEP_1)
	v_cmp_ne_u16_e64 s5, 0, v3
	s_branch .LBB7_1344
.LBB7_1341:
	s_mov_b32 s7, -1
	s_branch .LBB7_1343
.LBB7_1342:
	s_mov_b32 s1, -1
.LBB7_1343:
                                        ; implicit-def: $sgpr5
.LBB7_1344:
	s_and_b32 vcc_lo, exec_lo, s7
	s_mov_b32 s7, 0
	s_cbranch_vccz .LBB7_1346
; %bb.1345:
	s_cmp_lg_u32 s6, 11
	s_mov_b32 s7, -1
	s_cselect_b32 s6, -1, 0
	s_and_not1_b32 s1, s1, exec_lo
	s_and_b32 s6, s6, exec_lo
	s_delay_alu instid0(SALU_CYCLE_1)
	s_or_b32 s1, s1, s6
.LBB7_1346:
	s_mov_b32 s6, 0
.LBB7_1347:
	s_delay_alu instid0(SALU_CYCLE_1)
	s_and_b32 s13, s6, exec_lo
	s_and_not1_b32 s6, s43, exec_lo
	s_and_b32 s1, s1, exec_lo
	s_and_b32 s11, s11, exec_lo
	;; [unrolled: 1-line block ×3, first 2 shown]
	s_or_b32 s43, s6, s1
	s_wait_xcnt 0x0
	s_or_b32 exec_lo, exec_lo, s0
	s_and_saveexec_b32 s0, s43
	s_cbranch_execz .LBB7_1287
.LBB7_1348:
	s_or_b32 s8, s8, exec_lo
	s_and_not1_b32 s11, s11, exec_lo
	s_and_not1_b32 s14, s14, exec_lo
	s_trap 2
	s_or_b32 exec_lo, exec_lo, s0
	s_and_saveexec_b32 s0, s14
	s_delay_alu instid0(SALU_CYCLE_1)
	s_xor_b32 s0, exec_lo, s0
	s_cbranch_execz .LBB7_1288
.LBB7_1349:
	global_load_u8 v3, v[0:1], off
	s_and_not1_b32 s1, s5, exec_lo
	s_or_b32 s11, s11, exec_lo
	s_wait_loadcnt 0x0
	v_cmp_ne_u16_e32 vcc_lo, 0, v3
	s_and_b32 s5, vcc_lo, exec_lo
	s_delay_alu instid0(SALU_CYCLE_1)
	s_or_b32 s5, s1, s5
	s_wait_xcnt 0x0
	s_or_b32 exec_lo, exec_lo, s0
	s_and_saveexec_b32 s1, s13
	s_cbranch_execz .LBB7_1395
.LBB7_1350:
	s_sext_i32_i16 s0, s4
	s_delay_alu instid0(SALU_CYCLE_1)
	s_cmp_lt_i32 s0, 5
	s_cbranch_scc1 .LBB7_1355
; %bb.1351:
	s_cmp_lt_i32 s0, 8
	s_cbranch_scc1 .LBB7_1356
; %bb.1352:
	s_cmp_lt_i32 s0, 9
	s_cbranch_scc1 .LBB7_1357
; %bb.1353:
	s_cmp_gt_i32 s0, 9
	s_cbranch_scc0 .LBB7_1358
; %bb.1354:
	global_load_b128 v[4:7], v[0:1], off
	s_mov_b32 s6, 0
	s_wait_loadcnt 0x0
	v_cmp_neq_f64_e32 vcc_lo, 0, v[4:5]
	v_cmp_neq_f64_e64 s0, 0, v[6:7]
	s_or_b32 s0, vcc_lo, s0
	s_branch .LBB7_1359
.LBB7_1355:
                                        ; implicit-def: $sgpr0
	s_branch .LBB7_1376
.LBB7_1356:
                                        ; implicit-def: $sgpr0
	s_branch .LBB7_1365
.LBB7_1357:
	s_mov_b32 s6, -1
                                        ; implicit-def: $sgpr0
	s_branch .LBB7_1362
.LBB7_1358:
	s_mov_b32 s6, -1
                                        ; implicit-def: $sgpr0
.LBB7_1359:
	s_delay_alu instid0(SALU_CYCLE_1)
	s_and_not1_b32 vcc_lo, exec_lo, s6
	s_cbranch_vccnz .LBB7_1361
; %bb.1360:
	global_load_b64 v[4:5], v[0:1], off
	s_and_not1_b32 s0, s0, exec_lo
	s_wait_loadcnt 0x0
	v_bitop3_b32 v3, v4, 0x7fffffff, v5 bitop3:0xc8
	s_delay_alu instid0(VALU_DEP_1) | instskip(SKIP_1) | instid1(SALU_CYCLE_1)
	v_cmp_ne_u32_e32 vcc_lo, 0, v3
	s_and_b32 s6, vcc_lo, exec_lo
	s_or_b32 s0, s0, s6
.LBB7_1361:
	s_mov_b32 s6, 0
.LBB7_1362:
	s_delay_alu instid0(SALU_CYCLE_1)
	s_and_not1_b32 vcc_lo, exec_lo, s6
	s_cbranch_vccnz .LBB7_1364
; %bb.1363:
	global_load_b32 v3, v[0:1], off
	s_and_not1_b32 s0, s0, exec_lo
	s_wait_loadcnt 0x0
	v_and_b32_e32 v3, 0x7fff7fff, v3
	s_delay_alu instid0(VALU_DEP_1) | instskip(SKIP_1) | instid1(SALU_CYCLE_1)
	v_cmp_ne_u32_e32 vcc_lo, 0, v3
	s_and_b32 s6, vcc_lo, exec_lo
	s_or_b32 s0, s0, s6
.LBB7_1364:
	s_cbranch_execnz .LBB7_1375
.LBB7_1365:
	s_sext_i32_i16 s0, s4
	s_delay_alu instid0(SALU_CYCLE_1)
	s_cmp_lt_i32 s0, 6
	s_cbranch_scc1 .LBB7_1368
; %bb.1366:
	s_cmp_gt_i32 s0, 6
	s_cbranch_scc0 .LBB7_1369
; %bb.1367:
	global_load_b64 v[4:5], v[0:1], off
	s_mov_b32 s6, 0
	s_wait_loadcnt 0x0
	v_cmp_neq_f64_e64 s0, 0, v[4:5]
	s_branch .LBB7_1370
.LBB7_1368:
	s_mov_b32 s6, -1
                                        ; implicit-def: $sgpr0
	s_branch .LBB7_1373
.LBB7_1369:
	s_mov_b32 s6, -1
                                        ; implicit-def: $sgpr0
.LBB7_1370:
	s_delay_alu instid0(SALU_CYCLE_1)
	s_and_not1_b32 vcc_lo, exec_lo, s6
	s_cbranch_vccnz .LBB7_1372
; %bb.1371:
	global_load_b32 v3, v[0:1], off
	s_and_not1_b32 s0, s0, exec_lo
	s_wait_loadcnt 0x0
	v_cmp_neq_f32_e32 vcc_lo, 0, v3
	s_and_b32 s6, vcc_lo, exec_lo
	s_delay_alu instid0(SALU_CYCLE_1)
	s_or_b32 s0, s0, s6
.LBB7_1372:
	s_mov_b32 s6, 0
.LBB7_1373:
	s_delay_alu instid0(SALU_CYCLE_1)
	s_and_not1_b32 vcc_lo, exec_lo, s6
	s_cbranch_vccnz .LBB7_1375
; %bb.1374:
	global_load_u16 v3, v[0:1], off
	s_and_not1_b32 s0, s0, exec_lo
	s_wait_loadcnt 0x0
	v_and_b32_e32 v3, 0x7fff, v3
	s_delay_alu instid0(VALU_DEP_1) | instskip(SKIP_1) | instid1(SALU_CYCLE_1)
	v_cmp_ne_u16_e32 vcc_lo, 0, v3
	s_and_b32 s6, vcc_lo, exec_lo
	s_or_b32 s0, s0, s6
.LBB7_1375:
	s_cbranch_execnz .LBB7_1394
.LBB7_1376:
	s_sext_i32_i16 s0, s4
	s_delay_alu instid0(SALU_CYCLE_1)
	s_cmp_lt_i32 s0, 2
	s_cbranch_scc1 .LBB7_1380
; %bb.1377:
	s_cmp_lt_i32 s0, 3
	s_cbranch_scc1 .LBB7_1381
; %bb.1378:
	s_cmp_gt_i32 s0, 3
	s_cbranch_scc0 .LBB7_1382
; %bb.1379:
	global_load_b64 v[4:5], v[0:1], off
	s_mov_b32 s6, 0
	s_wait_loadcnt 0x0
	v_cmp_ne_u64_e64 s0, 0, v[4:5]
	s_branch .LBB7_1383
.LBB7_1380:
                                        ; implicit-def: $sgpr0
	s_branch .LBB7_1389
.LBB7_1381:
	s_mov_b32 s6, -1
                                        ; implicit-def: $sgpr0
	s_branch .LBB7_1386
.LBB7_1382:
	s_mov_b32 s6, -1
                                        ; implicit-def: $sgpr0
.LBB7_1383:
	s_delay_alu instid0(SALU_CYCLE_1)
	s_and_not1_b32 vcc_lo, exec_lo, s6
	s_cbranch_vccnz .LBB7_1385
; %bb.1384:
	global_load_b32 v3, v[0:1], off
	s_and_not1_b32 s0, s0, exec_lo
	s_wait_loadcnt 0x0
	v_cmp_ne_u32_e32 vcc_lo, 0, v3
	s_and_b32 s6, vcc_lo, exec_lo
	s_delay_alu instid0(SALU_CYCLE_1)
	s_or_b32 s0, s0, s6
.LBB7_1385:
	s_mov_b32 s6, 0
.LBB7_1386:
	s_delay_alu instid0(SALU_CYCLE_1)
	s_and_not1_b32 vcc_lo, exec_lo, s6
	s_cbranch_vccnz .LBB7_1388
; %bb.1387:
	global_load_u16 v3, v[0:1], off
	s_and_not1_b32 s0, s0, exec_lo
	s_wait_loadcnt 0x0
	v_cmp_ne_u16_e32 vcc_lo, 0, v3
	s_and_b32 s6, vcc_lo, exec_lo
	s_delay_alu instid0(SALU_CYCLE_1)
	s_or_b32 s0, s0, s6
.LBB7_1388:
	s_cbranch_execnz .LBB7_1394
.LBB7_1389:
	s_sext_i32_i16 s0, s4
	s_mov_b32 s4, 0
	s_cmp_gt_i32 s0, 0
	s_cbranch_scc0 .LBB7_1391
; %bb.1390:
	global_load_u8 v3, v[0:1], off
	s_wait_loadcnt 0x0
	v_cmp_ne_u16_e64 s0, 0, v3
	s_branch .LBB7_1392
.LBB7_1391:
	s_mov_b32 s4, -1
                                        ; implicit-def: $sgpr0
.LBB7_1392:
	s_delay_alu instid0(SALU_CYCLE_1)
	s_and_not1_b32 vcc_lo, exec_lo, s4
	s_cbranch_vccnz .LBB7_1394
; %bb.1393:
	global_load_u8 v0, v[0:1], off
	s_and_not1_b32 s0, s0, exec_lo
	s_wait_loadcnt 0x0
	v_cmp_ne_u16_e32 vcc_lo, 0, v0
	s_and_b32 s4, vcc_lo, exec_lo
	s_delay_alu instid0(SALU_CYCLE_1)
	s_or_b32 s0, s0, s4
.LBB7_1394:
	s_and_not1_b32 s4, s5, exec_lo
	s_delay_alu instid0(VALU_DEP_1)
	s_and_b32 s0, s0, exec_lo
	s_or_b32 s11, s11, exec_lo
	s_or_b32 s5, s4, s0
.LBB7_1395:
	s_wait_xcnt 0x0
	s_or_b32 exec_lo, exec_lo, s1
	s_mov_b32 s0, 0
	s_mov_b32 s7, 0
                                        ; implicit-def: $sgpr1
                                        ; implicit-def: $sgpr4
                                        ; implicit-def: $vgpr0_vgpr1
	s_and_saveexec_b32 s6, s11
	s_cbranch_execnz .LBB7_1399
; %bb.1396:
	s_or_b32 exec_lo, exec_lo, s6
	s_and_saveexec_b32 s5, s24
	s_cbranch_execnz .LBB7_1476
.LBB7_1397:
	s_or_b32 exec_lo, exec_lo, s5
	s_and_saveexec_b32 s5, s0
	s_delay_alu instid0(SALU_CYCLE_1)
	s_xor_b32 s0, exec_lo, s5
	s_cbranch_execnz .LBB7_1477
.LBB7_1398:
	s_or_b32 exec_lo, exec_lo, s0
	s_and_saveexec_b32 s0, s7
	s_delay_alu instid0(SALU_CYCLE_1)
	s_xor_b32 s0, exec_lo, s0
	s_cbranch_execnz .LBB7_1478
	s_branch .LBB7_1515
.LBB7_1399:
	v_mov_b32_e32 v3, 0
	s_and_b32 s0, s10, s5
	s_and_b32 s4, s9, 0xff
	;; [unrolled: 1-line block ×3, first 2 shown]
	s_cmp_lt_i32 s4, 11
	v_add_nc_u64_e32 v[0:1], s[16:17], v[2:3]
	s_cbranch_scc1 .LBB7_1406
; %bb.1400:
	s_and_b32 s5, 0xffff, s4
	s_mov_b32 s7, -1
	s_cmp_gt_i32 s5, 25
	s_mov_b32 s0, s24
	s_cbranch_scc0 .LBB7_1434
; %bb.1401:
	s_cmp_gt_i32 s5, 28
	s_mov_b32 s0, s24
	s_cbranch_scc0 .LBB7_1418
; %bb.1402:
	;; [unrolled: 4-line block ×4, first 2 shown]
	s_cmp_eq_u32 s5, 46
	s_mov_b32 s0, -1
	s_cbranch_scc0 .LBB7_1407
; %bb.1405:
	v_cndmask_b32_e64 v2, 0, 1.0, s1
	s_mov_b32 s0, 0
	s_mov_b32 s7, 0
	s_delay_alu instid0(VALU_DEP_1) | instskip(NEXT) | instid1(VALU_DEP_1)
	v_bfe_u32 v3, v2, 16, 1
	v_add3_u32 v2, v2, v3, 0x7fff
	s_delay_alu instid0(VALU_DEP_1)
	v_lshrrev_b32_e32 v2, 16, v2
	global_store_b32 v[0:1], v2, off
	s_branch .LBB7_1408
.LBB7_1406:
	s_mov_b32 s9, 0
	s_mov_b32 s7, -1
	s_mov_b32 s0, s24
	s_branch .LBB7_1475
.LBB7_1407:
	s_mov_b32 s7, 0
.LBB7_1408:
	s_delay_alu instid0(SALU_CYCLE_1)
	s_and_b32 vcc_lo, exec_lo, s7
	s_cbranch_vccz .LBB7_1413
; %bb.1409:
	s_cmp_eq_u32 s5, 44
	s_mov_b32 s0, -1
	s_cbranch_scc0 .LBB7_1413
; %bb.1410:
	v_cndmask_b32_e64 v4, 0, 1.0, s1
	s_mov_b32 s7, exec_lo
	s_wait_xcnt 0x0
	s_delay_alu instid0(VALU_DEP_1) | instskip(NEXT) | instid1(VALU_DEP_1)
	v_dual_mov_b32 v3, 0xff :: v_dual_lshrrev_b32 v2, 23, v4
	v_cmpx_ne_u32_e32 0xff, v2
; %bb.1411:
	v_and_b32_e32 v3, 0x400000, v4
	v_and_or_b32 v4, 0x3fffff, v4, v2
	s_delay_alu instid0(VALU_DEP_2) | instskip(NEXT) | instid1(VALU_DEP_2)
	v_cmp_ne_u32_e32 vcc_lo, 0, v3
	v_cmp_ne_u32_e64 s0, 0, v4
	s_and_b32 s0, vcc_lo, s0
	s_delay_alu instid0(SALU_CYCLE_1) | instskip(NEXT) | instid1(VALU_DEP_1)
	v_cndmask_b32_e64 v3, 0, 1, s0
	v_add_nc_u32_e32 v3, v2, v3
; %bb.1412:
	s_or_b32 exec_lo, exec_lo, s7
	s_mov_b32 s0, 0
	global_store_b8 v[0:1], v3, off
.LBB7_1413:
	s_mov_b32 s7, 0
.LBB7_1414:
	s_delay_alu instid0(SALU_CYCLE_1)
	s_and_b32 vcc_lo, exec_lo, s7
	s_cbranch_vccz .LBB7_1417
; %bb.1415:
	s_cmp_eq_u32 s5, 29
	s_mov_b32 s0, -1
	s_cbranch_scc0 .LBB7_1417
; %bb.1416:
	s_mov_b32 s0, 0
	s_wait_xcnt 0x0
	v_cndmask_b32_e64 v2, 0, 1, s1
	v_mov_b32_e32 v3, s0
	s_mov_b32 s7, 0
	global_store_b64 v[0:1], v[2:3], off
	s_branch .LBB7_1418
.LBB7_1417:
	s_mov_b32 s7, 0
.LBB7_1418:
	s_delay_alu instid0(SALU_CYCLE_1)
	s_and_b32 vcc_lo, exec_lo, s7
	s_cbranch_vccz .LBB7_1433
; %bb.1419:
	s_cmp_lt_i32 s5, 27
	s_mov_b32 s7, -1
	s_cbranch_scc1 .LBB7_1425
; %bb.1420:
	s_cmp_gt_i32 s5, 27
	s_cbranch_scc0 .LBB7_1422
; %bb.1421:
	s_wait_xcnt 0x0
	v_cndmask_b32_e64 v2, 0, 1, s1
	s_mov_b32 s7, 0
	global_store_b32 v[0:1], v2, off
.LBB7_1422:
	s_and_not1_b32 vcc_lo, exec_lo, s7
	s_cbranch_vccnz .LBB7_1424
; %bb.1423:
	s_wait_xcnt 0x0
	v_cndmask_b32_e64 v2, 0, 1, s1
	global_store_b16 v[0:1], v2, off
.LBB7_1424:
	s_mov_b32 s7, 0
.LBB7_1425:
	s_delay_alu instid0(SALU_CYCLE_1)
	s_and_not1_b32 vcc_lo, exec_lo, s7
	s_cbranch_vccnz .LBB7_1433
; %bb.1426:
	s_wait_xcnt 0x0
	v_cndmask_b32_e64 v3, 0, 1.0, s1
	v_mov_b32_e32 v4, 0x80
	s_mov_b32 s7, exec_lo
	s_delay_alu instid0(VALU_DEP_2)
	v_cmpx_gt_u32_e32 0x43800000, v3
	s_cbranch_execz .LBB7_1432
; %bb.1427:
	s_mov_b32 s9, 0
	s_mov_b32 s10, exec_lo
                                        ; implicit-def: $vgpr2
	v_cmpx_lt_u32_e32 0x3bffffff, v3
	s_xor_b32 s10, exec_lo, s10
	s_cbranch_execnz .LBB7_1592
; %bb.1428:
	s_and_not1_saveexec_b32 s10, s10
	s_cbranch_execnz .LBB7_1593
.LBB7_1429:
	s_or_b32 exec_lo, exec_lo, s10
	v_mov_b32_e32 v4, 0
	s_and_saveexec_b32 s10, s9
.LBB7_1430:
	v_mov_b32_e32 v4, v2
.LBB7_1431:
	s_or_b32 exec_lo, exec_lo, s10
.LBB7_1432:
	s_delay_alu instid0(SALU_CYCLE_1)
	s_or_b32 exec_lo, exec_lo, s7
	global_store_b8 v[0:1], v4, off
.LBB7_1433:
	s_mov_b32 s7, 0
.LBB7_1434:
	s_delay_alu instid0(SALU_CYCLE_1)
	s_and_b32 vcc_lo, exec_lo, s7
	s_mov_b32 s7, 0
	s_cbranch_vccz .LBB7_1474
; %bb.1435:
	s_cmp_gt_i32 s5, 22
	s_mov_b32 s9, -1
	s_cbranch_scc0 .LBB7_1467
; %bb.1436:
	s_cmp_lt_i32 s5, 24
	s_cbranch_scc1 .LBB7_1456
; %bb.1437:
	s_cmp_gt_i32 s5, 24
	s_cbranch_scc0 .LBB7_1445
; %bb.1438:
	s_wait_xcnt 0x0
	v_cndmask_b32_e64 v3, 0, 1.0, s1
	v_mov_b32_e32 v4, 0x80
	s_mov_b32 s9, exec_lo
	s_delay_alu instid0(VALU_DEP_2)
	v_cmpx_gt_u32_e32 0x47800000, v3
	s_cbranch_execz .LBB7_1444
; %bb.1439:
	s_mov_b32 s10, 0
	s_mov_b32 s11, exec_lo
                                        ; implicit-def: $vgpr2
	v_cmpx_lt_u32_e32 0x37ffffff, v3
	s_xor_b32 s11, exec_lo, s11
	s_cbranch_execnz .LBB7_1704
; %bb.1440:
	s_and_not1_saveexec_b32 s11, s11
	s_cbranch_execnz .LBB7_1705
.LBB7_1441:
	s_or_b32 exec_lo, exec_lo, s11
	v_mov_b32_e32 v4, 0
	s_and_saveexec_b32 s11, s10
.LBB7_1442:
	v_mov_b32_e32 v4, v2
.LBB7_1443:
	s_or_b32 exec_lo, exec_lo, s11
.LBB7_1444:
	s_delay_alu instid0(SALU_CYCLE_1)
	s_or_b32 exec_lo, exec_lo, s9
	s_mov_b32 s9, 0
	global_store_b8 v[0:1], v4, off
.LBB7_1445:
	s_and_b32 vcc_lo, exec_lo, s9
	s_cbranch_vccz .LBB7_1455
; %bb.1446:
	s_wait_xcnt 0x0
	v_cndmask_b32_e64 v3, 0, 1.0, s1
	s_mov_b32 s9, exec_lo
                                        ; implicit-def: $vgpr2
	s_delay_alu instid0(VALU_DEP_1)
	v_cmpx_gt_u32_e32 0x43f00000, v3
	s_xor_b32 s9, exec_lo, s9
	s_cbranch_execz .LBB7_1452
; %bb.1447:
	s_mov_b32 s10, exec_lo
                                        ; implicit-def: $vgpr2
	v_cmpx_lt_u32_e32 0x3c7fffff, v3
	s_xor_b32 s10, exec_lo, s10
; %bb.1448:
	v_bfe_u32 v2, v3, 20, 1
	s_delay_alu instid0(VALU_DEP_1) | instskip(NEXT) | instid1(VALU_DEP_1)
	v_add3_u32 v2, v3, v2, 0x407ffff
	v_and_b32_e32 v3, 0xff00000, v2
	v_lshrrev_b32_e32 v2, 20, v2
	s_delay_alu instid0(VALU_DEP_2) | instskip(NEXT) | instid1(VALU_DEP_2)
	v_cmp_ne_u32_e32 vcc_lo, 0x7f00000, v3
                                        ; implicit-def: $vgpr3
	v_cndmask_b32_e32 v2, 0x7e, v2, vcc_lo
; %bb.1449:
	s_and_not1_saveexec_b32 s10, s10
; %bb.1450:
	v_add_f32_e32 v2, 0x46800000, v3
; %bb.1451:
	s_or_b32 exec_lo, exec_lo, s10
                                        ; implicit-def: $vgpr3
.LBB7_1452:
	s_and_not1_saveexec_b32 s9, s9
; %bb.1453:
	v_mov_b32_e32 v2, 0x7f
	v_cmp_lt_u32_e32 vcc_lo, 0x7f800000, v3
	s_delay_alu instid0(VALU_DEP_2)
	v_cndmask_b32_e32 v2, 0x7e, v2, vcc_lo
; %bb.1454:
	s_or_b32 exec_lo, exec_lo, s9
	global_store_b8 v[0:1], v2, off
.LBB7_1455:
	s_mov_b32 s9, 0
.LBB7_1456:
	s_delay_alu instid0(SALU_CYCLE_1)
	s_and_not1_b32 vcc_lo, exec_lo, s9
	s_cbranch_vccnz .LBB7_1466
; %bb.1457:
	s_wait_xcnt 0x0
	v_cndmask_b32_e64 v3, 0, 1.0, s1
	s_mov_b32 s9, exec_lo
                                        ; implicit-def: $vgpr2
	s_delay_alu instid0(VALU_DEP_1)
	v_cmpx_gt_u32_e32 0x47800000, v3
	s_xor_b32 s9, exec_lo, s9
	s_cbranch_execz .LBB7_1463
; %bb.1458:
	s_mov_b32 s10, exec_lo
                                        ; implicit-def: $vgpr2
	v_cmpx_lt_u32_e32 0x387fffff, v3
	s_xor_b32 s10, exec_lo, s10
; %bb.1459:
	v_bfe_u32 v2, v3, 21, 1
	s_delay_alu instid0(VALU_DEP_1) | instskip(NEXT) | instid1(VALU_DEP_1)
	v_add3_u32 v2, v3, v2, 0x80fffff
                                        ; implicit-def: $vgpr3
	v_lshrrev_b32_e32 v2, 21, v2
; %bb.1460:
	s_and_not1_saveexec_b32 s10, s10
; %bb.1461:
	v_add_f32_e32 v2, 0x43000000, v3
; %bb.1462:
	s_or_b32 exec_lo, exec_lo, s10
                                        ; implicit-def: $vgpr3
.LBB7_1463:
	s_and_not1_saveexec_b32 s9, s9
; %bb.1464:
	v_mov_b32_e32 v2, 0x7f
	v_cmp_lt_u32_e32 vcc_lo, 0x7f800000, v3
	s_delay_alu instid0(VALU_DEP_2)
	v_cndmask_b32_e32 v2, 0x7c, v2, vcc_lo
; %bb.1465:
	s_or_b32 exec_lo, exec_lo, s9
	global_store_b8 v[0:1], v2, off
.LBB7_1466:
	s_mov_b32 s9, 0
.LBB7_1467:
	s_delay_alu instid0(SALU_CYCLE_1)
	s_and_not1_b32 vcc_lo, exec_lo, s9
	s_mov_b32 s9, 0
	s_cbranch_vccnz .LBB7_1475
; %bb.1468:
	s_cmp_gt_i32 s5, 14
	s_mov_b32 s9, -1
	s_cbranch_scc0 .LBB7_1472
; %bb.1469:
	s_cmp_eq_u32 s5, 15
	s_mov_b32 s0, -1
	s_cbranch_scc0 .LBB7_1471
; %bb.1470:
	s_wait_xcnt 0x0
	v_cndmask_b32_e64 v2, 0, 1.0, s1
	s_mov_b32 s0, 0
	s_delay_alu instid0(VALU_DEP_1) | instskip(NEXT) | instid1(VALU_DEP_1)
	v_bfe_u32 v3, v2, 16, 1
	v_add3_u32 v2, v2, v3, 0x7fff
	global_store_d16_hi_b16 v[0:1], v2, off
.LBB7_1471:
	s_mov_b32 s9, 0
.LBB7_1472:
	s_delay_alu instid0(SALU_CYCLE_1)
	s_and_b32 vcc_lo, exec_lo, s9
	s_mov_b32 s9, 0
	s_cbranch_vccz .LBB7_1475
; %bb.1473:
	s_cmp_lg_u32 s5, 11
	s_mov_b32 s9, -1
	s_cselect_b32 s5, -1, 0
	s_and_not1_b32 s0, s0, exec_lo
	s_and_b32 s5, s5, exec_lo
	s_delay_alu instid0(SALU_CYCLE_1)
	s_or_b32 s0, s0, s5
	s_branch .LBB7_1475
.LBB7_1474:
	s_mov_b32 s9, 0
.LBB7_1475:
	s_and_not1_b32 s5, s24, exec_lo
	s_and_b32 s10, s0, exec_lo
	s_and_b32 s7, s7, exec_lo
	;; [unrolled: 1-line block ×3, first 2 shown]
	s_or_b32 s24, s5, s10
	s_wait_xcnt 0x0
	s_or_b32 exec_lo, exec_lo, s6
	s_and_saveexec_b32 s5, s24
	s_cbranch_execz .LBB7_1397
.LBB7_1476:
	s_or_b32 s8, s8, exec_lo
	s_and_not1_b32 s0, s0, exec_lo
	s_trap 2
	s_or_b32 exec_lo, exec_lo, s5
	s_and_saveexec_b32 s5, s0
	s_delay_alu instid0(SALU_CYCLE_1)
	s_xor_b32 s0, exec_lo, s5
	s_cbranch_execz .LBB7_1398
.LBB7_1477:
	v_cndmask_b32_e64 v2, 0, 1, s1
	global_store_b8 v[0:1], v2, off
	s_wait_xcnt 0x0
	s_or_b32 exec_lo, exec_lo, s0
	s_and_saveexec_b32 s0, s7
	s_delay_alu instid0(SALU_CYCLE_1)
	s_xor_b32 s0, exec_lo, s0
	s_cbranch_execz .LBB7_1515
.LBB7_1478:
	s_sext_i32_i16 s6, s4
	s_mov_b32 s5, -1
	s_cmp_lt_i32 s6, 5
	s_cbranch_scc1 .LBB7_1499
; %bb.1479:
	s_cmp_lt_i32 s6, 8
	s_cbranch_scc1 .LBB7_1489
; %bb.1480:
	;; [unrolled: 3-line block ×3, first 2 shown]
	s_cmp_gt_i32 s6, 9
	s_cbranch_scc0 .LBB7_1483
; %bb.1482:
	v_cndmask_b32_e64 v2, 0, 1, s1
	v_mov_b32_e32 v4, 0
	s_mov_b32 s5, 0
	s_delay_alu instid0(VALU_DEP_2) | instskip(NEXT) | instid1(VALU_DEP_2)
	v_cvt_f64_u32_e32 v[2:3], v2
	v_mov_b32_e32 v5, v4
	global_store_b128 v[0:1], v[2:5], off
.LBB7_1483:
	s_and_not1_b32 vcc_lo, exec_lo, s5
	s_cbranch_vccnz .LBB7_1485
; %bb.1484:
	s_wait_xcnt 0x0
	v_cndmask_b32_e64 v2, 0, 1.0, s1
	v_mov_b32_e32 v3, 0
	global_store_b64 v[0:1], v[2:3], off
.LBB7_1485:
	s_mov_b32 s5, 0
.LBB7_1486:
	s_delay_alu instid0(SALU_CYCLE_1)
	s_and_not1_b32 vcc_lo, exec_lo, s5
	s_cbranch_vccnz .LBB7_1488
; %bb.1487:
	s_wait_xcnt 0x0
	v_cndmask_b32_e64 v2, 0, 1.0, s1
	s_delay_alu instid0(VALU_DEP_1) | instskip(NEXT) | instid1(VALU_DEP_1)
	v_cvt_f16_f32_e32 v2, v2
	v_and_b32_e32 v2, 0xffff, v2
	global_store_b32 v[0:1], v2, off
.LBB7_1488:
	s_mov_b32 s5, 0
.LBB7_1489:
	s_delay_alu instid0(SALU_CYCLE_1)
	s_and_not1_b32 vcc_lo, exec_lo, s5
	s_cbranch_vccnz .LBB7_1498
; %bb.1490:
	s_sext_i32_i16 s6, s4
	s_mov_b32 s5, -1
	s_cmp_lt_i32 s6, 6
	s_cbranch_scc1 .LBB7_1496
; %bb.1491:
	s_cmp_gt_i32 s6, 6
	s_cbranch_scc0 .LBB7_1493
; %bb.1492:
	s_wait_xcnt 0x0
	v_cndmask_b32_e64 v2, 0, 1, s1
	s_mov_b32 s5, 0
	s_delay_alu instid0(VALU_DEP_1)
	v_cvt_f64_u32_e32 v[2:3], v2
	global_store_b64 v[0:1], v[2:3], off
.LBB7_1493:
	s_and_not1_b32 vcc_lo, exec_lo, s5
	s_cbranch_vccnz .LBB7_1495
; %bb.1494:
	s_wait_xcnt 0x0
	v_cndmask_b32_e64 v2, 0, 1.0, s1
	global_store_b32 v[0:1], v2, off
.LBB7_1495:
	s_mov_b32 s5, 0
.LBB7_1496:
	s_delay_alu instid0(SALU_CYCLE_1)
	s_and_not1_b32 vcc_lo, exec_lo, s5
	s_cbranch_vccnz .LBB7_1498
; %bb.1497:
	s_wait_xcnt 0x0
	v_cndmask_b32_e64 v2, 0, 1.0, s1
	s_delay_alu instid0(VALU_DEP_1)
	v_cvt_f16_f32_e32 v2, v2
	global_store_b16 v[0:1], v2, off
.LBB7_1498:
	s_mov_b32 s5, 0
.LBB7_1499:
	s_delay_alu instid0(SALU_CYCLE_1)
	s_and_not1_b32 vcc_lo, exec_lo, s5
	s_cbranch_vccnz .LBB7_1515
; %bb.1500:
	s_sext_i32_i16 s6, s4
	s_mov_b32 s5, -1
	s_cmp_lt_i32 s6, 2
	s_cbranch_scc1 .LBB7_1510
; %bb.1501:
	s_cmp_lt_i32 s6, 3
	s_cbranch_scc1 .LBB7_1507
; %bb.1502:
	s_cmp_gt_i32 s6, 3
	s_cbranch_scc0 .LBB7_1504
; %bb.1503:
	s_mov_b32 s5, 0
	s_wait_xcnt 0x0
	v_cndmask_b32_e64 v2, 0, 1, s1
	v_mov_b32_e32 v3, s5
	global_store_b64 v[0:1], v[2:3], off
.LBB7_1504:
	s_and_not1_b32 vcc_lo, exec_lo, s5
	s_cbranch_vccnz .LBB7_1506
; %bb.1505:
	s_wait_xcnt 0x0
	v_cndmask_b32_e64 v2, 0, 1, s1
	global_store_b32 v[0:1], v2, off
.LBB7_1506:
	s_mov_b32 s5, 0
.LBB7_1507:
	s_delay_alu instid0(SALU_CYCLE_1)
	s_and_not1_b32 vcc_lo, exec_lo, s5
	s_cbranch_vccnz .LBB7_1509
; %bb.1508:
	s_wait_xcnt 0x0
	v_cndmask_b32_e64 v2, 0, 1, s1
	global_store_b16 v[0:1], v2, off
.LBB7_1509:
	s_mov_b32 s5, 0
.LBB7_1510:
	s_delay_alu instid0(SALU_CYCLE_1)
	s_and_not1_b32 vcc_lo, exec_lo, s5
	s_cbranch_vccnz .LBB7_1515
; %bb.1511:
	s_wait_xcnt 0x0
	v_cndmask_b32_e64 v2, 0, 1, s1
	s_sext_i32_i16 s4, s4
	s_mov_b32 s1, -1
	s_cmp_gt_i32 s4, 0
	s_cbranch_scc0 .LBB7_1513
; %bb.1512:
	s_mov_b32 s1, 0
	global_store_b8 v[0:1], v2, off
.LBB7_1513:
	s_and_not1_b32 vcc_lo, exec_lo, s1
	s_cbranch_vccnz .LBB7_1515
; %bb.1514:
	global_store_b8 v[0:1], v2, off
.LBB7_1515:
	s_wait_xcnt 0x0
	s_or_b32 exec_lo, exec_lo, s0
	s_delay_alu instid0(SALU_CYCLE_1)
	s_and_b32 s8, s8, exec_lo
                                        ; implicit-def: $vgpr1
                                        ; implicit-def: $vgpr0
.LBB7_1516:
	s_or_saveexec_b32 s9, s36
	s_mov_b32 s0, 0
                                        ; implicit-def: $sgpr4
                                        ; implicit-def: $vgpr2_vgpr3
                                        ; implicit-def: $sgpr6
	s_xor_b32 exec_lo, exec_lo, s9
	s_cbranch_execz .LBB7_2986
; %bb.1517:
	v_cndmask_b32_e64 v3, 0, 1, s35
	s_and_not1_b32 vcc_lo, exec_lo, s35
	s_cbranch_vccnz .LBB7_1523
; %bb.1518:
	s_cmp_lg_u32 s15, 0
	s_mov_b32 s6, 0
	s_cbranch_scc0 .LBB7_1527
; %bb.1519:
	s_min_u32 s7, s33, 15
	v_dual_mov_b32 v6, 0 :: v_dual_mov_b32 v2, v0
	v_dual_mov_b32 v22, 0 :: v_dual_mov_b32 v20, 0
	s_add_co_i32 s4, s7, 1
	s_mov_b64 s[0:1], 0xffffffffffffffe0
	s_and_b32 s10, s4, 30
	s_add_nc_u64 s[0:1], s[2:3], s[0:1]
	s_mov_b64 s[4:5], s[2:3]
.LBB7_1520:                             ; =>This Inner Loop Header: Depth=1
	s_clause 0x1
	s_load_b128 s[16:19], s[4:5], 0x4
	s_load_b64 s[20:21], s[4:5], 0x14
	s_clause 0x1
	s_load_b32 s11, s[0:1], 0xe4
	s_load_b96 s[12:14], s[0:1], 0xec
	s_add_co_i32 s10, s10, -2
	s_wait_xcnt 0x0
	s_add_nc_u64 s[4:5], s[4:5], 24
	s_cmp_lg_u32 s10, 0
	s_wait_kmcnt 0x0
	v_mul_hi_u32 v4, s17, v2
	s_delay_alu instid0(VALU_DEP_1) | instskip(NEXT) | instid1(VALU_DEP_1)
	v_add_nc_u32_e32 v4, v2, v4
	v_lshrrev_b32_e32 v4, s18, v4
	s_delay_alu instid0(VALU_DEP_1) | instskip(SKIP_4) | instid1(VALU_DEP_1)
	v_mul_hi_u32 v5, s20, v4
	v_mul_lo_u32 v7, v4, s16
	s_load_b64 s[16:17], s[0:1], 0xfc
	s_wait_xcnt 0x0
	s_add_nc_u64 s[0:1], s[0:1], 32
	v_dual_add_nc_u32 v5, v4, v5 :: v_dual_sub_nc_u32 v7, v2, v7
	s_delay_alu instid0(VALU_DEP_1) | instskip(NEXT) | instid1(VALU_DEP_2)
	v_lshrrev_b32_e32 v2, s21, v5
	v_mad_u32 v6, v7, s11, v6
	v_mad_u32 v8, v7, s13, v20
	;; [unrolled: 1-line block ×3, first 2 shown]
	s_delay_alu instid0(VALU_DEP_4) | instskip(NEXT) | instid1(VALU_DEP_1)
	v_mul_lo_u32 v5, v2, s19
	v_sub_nc_u32_e32 v4, v4, v5
	s_delay_alu instid0(VALU_DEP_1)
	v_mad_u32 v6, v4, s14, v6
	s_wait_kmcnt 0x0
	v_mad_u32 v20, v4, s17, v8
	v_mad_u32 v22, v4, s16, v7
	s_cbranch_scc1 .LBB7_1520
; %bb.1521:
	s_bitcmp1_b32 s7, 0
	s_cselect_b32 s7, -1, 0
	s_delay_alu instid0(SALU_CYCLE_1)
	s_and_b32 vcc_lo, exec_lo, s7
	s_cbranch_vccnz .LBB7_1524
; %bb.1522:
	s_load_b96 s[12:14], s[4:5], 0x4
	s_load_b32 s7, s[0:1], 0xe4
	s_wait_xcnt 0x0
	s_load_b64 s[4:5], s[0:1], 0xec
	s_wait_kmcnt 0x0
	v_mul_hi_u32 v4, s13, v2
	s_delay_alu instid0(VALU_DEP_1) | instskip(NEXT) | instid1(VALU_DEP_1)
	v_add_nc_u32_e32 v4, v2, v4
	v_lshrrev_b32_e32 v4, s14, v4
	s_delay_alu instid0(VALU_DEP_1) | instskip(NEXT) | instid1(VALU_DEP_1)
	v_mul_lo_u32 v4, v4, s12
	v_sub_nc_u32_e32 v2, v2, v4
	s_delay_alu instid0(VALU_DEP_1)
	v_mad_u32 v6, v2, s7, v6
	v_mad_u32 v22, v2, s4, v22
	;; [unrolled: 1-line block ×3, first 2 shown]
	s_and_not1_b32 vcc_lo, exec_lo, s6
	s_cbranch_vccz .LBB7_1525
	s_branch .LBB7_1528
.LBB7_1523:
	s_mov_b32 s6, -1
                                        ; implicit-def: $vgpr20
                                        ; implicit-def: $vgpr22
                                        ; implicit-def: $vgpr6
.LBB7_1524:
	s_delay_alu instid0(SALU_CYCLE_1)
	s_and_not1_b32 vcc_lo, exec_lo, s6
	s_cbranch_vccnz .LBB7_1528
.LBB7_1525:
	s_clause 0x2
	s_load_b96 s[4:6], s[2:3], 0x4
	s_load_b32 s7, s[2:3], 0xc4
	s_load_b64 s[0:1], s[2:3], 0xcc
	s_cmp_lt_u32 s15, 2
	s_wait_kmcnt 0x0
	v_mul_hi_u32 v2, s5, v0
	s_delay_alu instid0(VALU_DEP_1) | instskip(NEXT) | instid1(VALU_DEP_1)
	v_add_nc_u32_e32 v2, v0, v2
	v_lshrrev_b32_e32 v2, s6, v2
	s_delay_alu instid0(VALU_DEP_1) | instskip(NEXT) | instid1(VALU_DEP_1)
	v_mul_lo_u32 v4, v2, s4
	v_sub_nc_u32_e32 v4, v0, v4
	s_delay_alu instid0(VALU_DEP_1)
	v_mul_lo_u32 v6, v4, s7
	v_mul_lo_u32 v20, v4, s1
	;; [unrolled: 1-line block ×3, first 2 shown]
	s_cbranch_scc1 .LBB7_1528
; %bb.1526:
	s_clause 0x2
	s_load_b96 s[4:6], s[2:3], 0x10
	s_load_b32 s7, s[2:3], 0xd4
	s_load_b64 s[0:1], s[2:3], 0xdc
	s_wait_kmcnt 0x0
	v_mul_hi_u32 v4, s5, v2
	s_delay_alu instid0(VALU_DEP_1) | instskip(NEXT) | instid1(VALU_DEP_1)
	v_add_nc_u32_e32 v4, v2, v4
	v_lshrrev_b32_e32 v4, s6, v4
	s_delay_alu instid0(VALU_DEP_1) | instskip(NEXT) | instid1(VALU_DEP_1)
	v_mul_lo_u32 v4, v4, s4
	v_sub_nc_u32_e32 v2, v2, v4
	s_delay_alu instid0(VALU_DEP_1)
	v_mad_u32 v6, v2, s7, v6
	v_mad_u32 v22, v2, s0, v22
	;; [unrolled: 1-line block ×3, first 2 shown]
	s_branch .LBB7_1528
.LBB7_1527:
	v_dual_mov_b32 v20, 0 :: v_dual_mov_b32 v22, 0
	v_mov_b32_e32 v6, 0
	s_and_not1_b32 vcc_lo, exec_lo, s6
	s_cbranch_vccz .LBB7_1525
.LBB7_1528:
	v_cmp_ne_u32_e32 vcc_lo, 1, v3
	v_add_nc_u32_e32 v2, 0x80, v0
	s_cbranch_vccnz .LBB7_1534
; %bb.1529:
	s_cmp_lg_u32 s15, 0
	s_mov_b32 s6, 0
	s_cbranch_scc0 .LBB7_1538
; %bb.1530:
	s_min_u32 s7, s33, 15
	v_dual_mov_b32 v4, 0 :: v_dual_mov_b32 v5, v2
	v_dual_mov_b32 v18, 0 :: v_dual_mov_b32 v16, 0
	s_add_co_i32 s4, s7, 1
	s_mov_b64 s[0:1], 0xffffffffffffffe0
	s_and_b32 s10, s4, 30
	s_add_nc_u64 s[0:1], s[2:3], s[0:1]
	s_mov_b64 s[4:5], s[2:3]
.LBB7_1531:                             ; =>This Inner Loop Header: Depth=1
	s_clause 0x1
	s_load_b128 s[16:19], s[4:5], 0x4
	s_load_b64 s[20:21], s[4:5], 0x14
	s_clause 0x1
	s_load_b32 s11, s[0:1], 0xe4
	s_load_b96 s[12:14], s[0:1], 0xec
	s_add_co_i32 s10, s10, -2
	s_wait_xcnt 0x0
	s_add_nc_u64 s[4:5], s[4:5], 24
	s_cmp_lg_u32 s10, 0
	s_wait_kmcnt 0x0
	v_mul_hi_u32 v7, s17, v5
	s_delay_alu instid0(VALU_DEP_1) | instskip(NEXT) | instid1(VALU_DEP_1)
	v_add_nc_u32_e32 v7, v5, v7
	v_lshrrev_b32_e32 v7, s18, v7
	s_delay_alu instid0(VALU_DEP_1) | instskip(SKIP_4) | instid1(VALU_DEP_1)
	v_mul_hi_u32 v8, s20, v7
	v_mul_lo_u32 v9, v7, s16
	s_load_b64 s[16:17], s[0:1], 0xfc
	s_wait_xcnt 0x0
	s_add_nc_u64 s[0:1], s[0:1], 32
	v_dual_add_nc_u32 v8, v7, v8 :: v_dual_sub_nc_u32 v9, v5, v9
	s_delay_alu instid0(VALU_DEP_1) | instskip(NEXT) | instid1(VALU_DEP_2)
	v_lshrrev_b32_e32 v5, s21, v8
	v_mad_u32 v4, v9, s11, v4
	v_mad_u32 v10, v9, s13, v16
	;; [unrolled: 1-line block ×3, first 2 shown]
	s_delay_alu instid0(VALU_DEP_4) | instskip(NEXT) | instid1(VALU_DEP_1)
	v_mul_lo_u32 v8, v5, s19
	v_sub_nc_u32_e32 v7, v7, v8
	s_delay_alu instid0(VALU_DEP_1)
	v_mad_u32 v4, v7, s14, v4
	s_wait_kmcnt 0x0
	v_mad_u32 v16, v7, s17, v10
	v_mad_u32 v18, v7, s16, v9
	s_cbranch_scc1 .LBB7_1531
; %bb.1532:
	s_bitcmp1_b32 s7, 0
	s_cselect_b32 s7, -1, 0
	s_delay_alu instid0(SALU_CYCLE_1)
	s_and_b32 vcc_lo, exec_lo, s7
	s_cbranch_vccnz .LBB7_1535
; %bb.1533:
	s_load_b96 s[12:14], s[4:5], 0x4
	s_load_b32 s7, s[0:1], 0xe4
	s_wait_xcnt 0x0
	s_load_b64 s[4:5], s[0:1], 0xec
	s_wait_kmcnt 0x0
	v_mul_hi_u32 v7, s13, v5
	s_delay_alu instid0(VALU_DEP_1) | instskip(NEXT) | instid1(VALU_DEP_1)
	v_add_nc_u32_e32 v7, v5, v7
	v_lshrrev_b32_e32 v7, s14, v7
	s_delay_alu instid0(VALU_DEP_1) | instskip(NEXT) | instid1(VALU_DEP_1)
	v_mul_lo_u32 v7, v7, s12
	v_sub_nc_u32_e32 v5, v5, v7
	s_delay_alu instid0(VALU_DEP_1)
	v_mad_u32 v4, v5, s7, v4
	v_mad_u32 v18, v5, s4, v18
	;; [unrolled: 1-line block ×3, first 2 shown]
	s_and_not1_b32 vcc_lo, exec_lo, s6
	s_cbranch_vccz .LBB7_1536
	s_branch .LBB7_1539
.LBB7_1534:
	s_mov_b32 s6, -1
                                        ; implicit-def: $vgpr16
                                        ; implicit-def: $vgpr18
                                        ; implicit-def: $vgpr4
.LBB7_1535:
	s_delay_alu instid0(SALU_CYCLE_1)
	s_and_not1_b32 vcc_lo, exec_lo, s6
	s_cbranch_vccnz .LBB7_1539
.LBB7_1536:
	s_clause 0x2
	s_load_b96 s[4:6], s[2:3], 0x4
	s_load_b32 s7, s[2:3], 0xc4
	s_load_b64 s[0:1], s[2:3], 0xcc
	s_cmp_lt_u32 s15, 2
	s_wait_kmcnt 0x0
	v_mul_hi_u32 v4, s5, v2
	s_delay_alu instid0(VALU_DEP_1) | instskip(NEXT) | instid1(VALU_DEP_1)
	v_add_nc_u32_e32 v4, v2, v4
	v_lshrrev_b32_e32 v5, s6, v4
	s_delay_alu instid0(VALU_DEP_1) | instskip(NEXT) | instid1(VALU_DEP_1)
	v_mul_lo_u32 v4, v5, s4
	v_sub_nc_u32_e32 v2, v2, v4
	s_delay_alu instid0(VALU_DEP_1)
	v_mul_lo_u32 v4, v2, s7
	v_mul_lo_u32 v16, v2, s1
	;; [unrolled: 1-line block ×3, first 2 shown]
	s_cbranch_scc1 .LBB7_1539
; %bb.1537:
	s_clause 0x2
	s_load_b96 s[4:6], s[2:3], 0x10
	s_load_b32 s7, s[2:3], 0xd4
	s_load_b64 s[0:1], s[2:3], 0xdc
	s_wait_kmcnt 0x0
	v_mul_hi_u32 v2, s5, v5
	s_delay_alu instid0(VALU_DEP_1) | instskip(NEXT) | instid1(VALU_DEP_1)
	v_add_nc_u32_e32 v2, v5, v2
	v_lshrrev_b32_e32 v2, s6, v2
	s_delay_alu instid0(VALU_DEP_1) | instskip(NEXT) | instid1(VALU_DEP_1)
	v_mul_lo_u32 v2, v2, s4
	v_sub_nc_u32_e32 v2, v5, v2
	s_delay_alu instid0(VALU_DEP_1)
	v_mad_u32 v4, v2, s7, v4
	v_mad_u32 v18, v2, s0, v18
	;; [unrolled: 1-line block ×3, first 2 shown]
	s_branch .LBB7_1539
.LBB7_1538:
	v_dual_mov_b32 v16, 0 :: v_dual_mov_b32 v18, 0
	v_mov_b32_e32 v4, 0
	s_and_not1_b32 vcc_lo, exec_lo, s6
	s_cbranch_vccz .LBB7_1536
.LBB7_1539:
	v_cmp_ne_u32_e32 vcc_lo, 1, v3
	v_add_nc_u32_e32 v0, 0x100, v0
	s_cbranch_vccnz .LBB7_1545
; %bb.1540:
	s_cmp_lg_u32 s15, 0
	s_mov_b32 s6, 0
	s_cbranch_scc0 .LBB7_1549
; %bb.1541:
	s_min_u32 s7, s33, 15
	v_dual_mov_b32 v2, 0 :: v_dual_mov_b32 v5, v0
	v_dual_mov_b32 v14, 0 :: v_dual_mov_b32 v12, 0
	s_add_co_i32 s4, s7, 1
	s_mov_b64 s[0:1], 0xffffffffffffffe0
	s_and_b32 s10, s4, 30
	s_add_nc_u64 s[0:1], s[2:3], s[0:1]
	s_mov_b64 s[4:5], s[2:3]
.LBB7_1542:                             ; =>This Inner Loop Header: Depth=1
	s_clause 0x1
	s_load_b128 s[16:19], s[4:5], 0x4
	s_load_b64 s[20:21], s[4:5], 0x14
	s_clause 0x1
	s_load_b32 s11, s[0:1], 0xe4
	s_load_b96 s[12:14], s[0:1], 0xec
	s_add_co_i32 s10, s10, -2
	s_wait_xcnt 0x0
	s_add_nc_u64 s[4:5], s[4:5], 24
	s_cmp_lg_u32 s10, 0
	s_wait_kmcnt 0x0
	v_mul_hi_u32 v7, s17, v5
	s_delay_alu instid0(VALU_DEP_1) | instskip(NEXT) | instid1(VALU_DEP_1)
	v_add_nc_u32_e32 v7, v5, v7
	v_lshrrev_b32_e32 v7, s18, v7
	s_delay_alu instid0(VALU_DEP_1) | instskip(SKIP_4) | instid1(VALU_DEP_1)
	v_mul_hi_u32 v8, s20, v7
	v_mul_lo_u32 v9, v7, s16
	s_load_b64 s[16:17], s[0:1], 0xfc
	s_wait_xcnt 0x0
	s_add_nc_u64 s[0:1], s[0:1], 32
	v_dual_add_nc_u32 v8, v7, v8 :: v_dual_sub_nc_u32 v9, v5, v9
	s_delay_alu instid0(VALU_DEP_1) | instskip(NEXT) | instid1(VALU_DEP_2)
	v_lshrrev_b32_e32 v5, s21, v8
	v_mad_u32 v2, v9, s11, v2
	v_mad_u32 v10, v9, s13, v12
	;; [unrolled: 1-line block ×3, first 2 shown]
	s_delay_alu instid0(VALU_DEP_4) | instskip(NEXT) | instid1(VALU_DEP_1)
	v_mul_lo_u32 v8, v5, s19
	v_sub_nc_u32_e32 v7, v7, v8
	s_delay_alu instid0(VALU_DEP_1)
	v_mad_u32 v2, v7, s14, v2
	s_wait_kmcnt 0x0
	v_mad_u32 v12, v7, s17, v10
	v_mad_u32 v14, v7, s16, v9
	s_cbranch_scc1 .LBB7_1542
; %bb.1543:
	s_bitcmp1_b32 s7, 0
	s_cselect_b32 s7, -1, 0
	s_delay_alu instid0(SALU_CYCLE_1)
	s_and_b32 vcc_lo, exec_lo, s7
	s_cbranch_vccnz .LBB7_1546
; %bb.1544:
	s_load_b96 s[12:14], s[4:5], 0x4
	s_load_b32 s7, s[0:1], 0xe4
	s_wait_xcnt 0x0
	s_load_b64 s[4:5], s[0:1], 0xec
	s_wait_kmcnt 0x0
	v_mul_hi_u32 v7, s13, v5
	s_delay_alu instid0(VALU_DEP_1) | instskip(NEXT) | instid1(VALU_DEP_1)
	v_add_nc_u32_e32 v7, v5, v7
	v_lshrrev_b32_e32 v7, s14, v7
	s_delay_alu instid0(VALU_DEP_1) | instskip(NEXT) | instid1(VALU_DEP_1)
	v_mul_lo_u32 v7, v7, s12
	v_sub_nc_u32_e32 v5, v5, v7
	s_delay_alu instid0(VALU_DEP_1)
	v_mad_u32 v2, v5, s7, v2
	v_mad_u32 v14, v5, s4, v14
	v_mad_u32 v12, v5, s5, v12
	s_and_not1_b32 vcc_lo, exec_lo, s6
	s_cbranch_vccz .LBB7_1547
	s_branch .LBB7_1550
.LBB7_1545:
	s_mov_b32 s6, -1
                                        ; implicit-def: $vgpr12
                                        ; implicit-def: $vgpr14
                                        ; implicit-def: $vgpr2
.LBB7_1546:
	s_delay_alu instid0(SALU_CYCLE_1)
	s_and_not1_b32 vcc_lo, exec_lo, s6
	s_cbranch_vccnz .LBB7_1550
.LBB7_1547:
	s_clause 0x2
	s_load_b96 s[4:6], s[2:3], 0x4
	s_load_b32 s7, s[2:3], 0xc4
	s_load_b64 s[0:1], s[2:3], 0xcc
	s_cmp_lt_u32 s15, 2
	s_wait_kmcnt 0x0
	v_mul_hi_u32 v2, s5, v0
	s_delay_alu instid0(VALU_DEP_1) | instskip(NEXT) | instid1(VALU_DEP_1)
	v_add_nc_u32_e32 v2, v0, v2
	v_lshrrev_b32_e32 v5, s6, v2
	s_delay_alu instid0(VALU_DEP_1) | instskip(NEXT) | instid1(VALU_DEP_1)
	v_mul_lo_u32 v2, v5, s4
	v_sub_nc_u32_e32 v0, v0, v2
	s_delay_alu instid0(VALU_DEP_1)
	v_mul_lo_u32 v2, v0, s7
	v_mul_lo_u32 v12, v0, s1
	;; [unrolled: 1-line block ×3, first 2 shown]
	s_cbranch_scc1 .LBB7_1550
; %bb.1548:
	s_clause 0x2
	s_load_b96 s[4:6], s[2:3], 0x10
	s_load_b32 s7, s[2:3], 0xd4
	s_load_b64 s[0:1], s[2:3], 0xdc
	s_wait_kmcnt 0x0
	v_mul_hi_u32 v0, s5, v5
	s_delay_alu instid0(VALU_DEP_1) | instskip(NEXT) | instid1(VALU_DEP_1)
	v_add_nc_u32_e32 v0, v5, v0
	v_lshrrev_b32_e32 v0, s6, v0
	s_delay_alu instid0(VALU_DEP_1) | instskip(NEXT) | instid1(VALU_DEP_1)
	v_mul_lo_u32 v0, v0, s4
	v_sub_nc_u32_e32 v0, v5, v0
	s_delay_alu instid0(VALU_DEP_1)
	v_mad_u32 v2, v0, s7, v2
	v_mad_u32 v14, v0, s0, v14
	;; [unrolled: 1-line block ×3, first 2 shown]
	s_branch .LBB7_1550
.LBB7_1549:
	v_dual_mov_b32 v12, 0 :: v_dual_mov_b32 v14, 0
	v_mov_b32_e32 v2, 0
	s_and_not1_b32 vcc_lo, exec_lo, s6
	s_cbranch_vccz .LBB7_1547
.LBB7_1550:
	v_cmp_ne_u32_e32 vcc_lo, 1, v3
	s_cbranch_vccnz .LBB7_1556
; %bb.1551:
	s_cmp_lg_u32 s15, 0
	s_mov_b32 s6, 0
	s_cbranch_scc0 .LBB7_1560
; %bb.1552:
	s_min_u32 s7, s33, 15
	v_dual_mov_b32 v0, 0 :: v_dual_mov_b32 v3, v1
	v_dual_mov_b32 v10, 0 :: v_dual_mov_b32 v8, 0
	s_add_co_i32 s4, s7, 1
	s_mov_b64 s[0:1], 0xffffffffffffffe0
	s_and_b32 s10, s4, 30
	s_add_nc_u64 s[0:1], s[2:3], s[0:1]
	s_mov_b64 s[4:5], s[2:3]
.LBB7_1553:                             ; =>This Inner Loop Header: Depth=1
	s_clause 0x1
	s_load_b128 s[16:19], s[4:5], 0x4
	s_load_b64 s[20:21], s[4:5], 0x14
	s_clause 0x1
	s_load_b32 s11, s[0:1], 0xe4
	s_load_b96 s[12:14], s[0:1], 0xec
	s_add_co_i32 s10, s10, -2
	s_wait_xcnt 0x0
	s_add_nc_u64 s[4:5], s[4:5], 24
	s_cmp_lg_u32 s10, 0
	s_wait_kmcnt 0x0
	v_mul_hi_u32 v5, s17, v3
	s_delay_alu instid0(VALU_DEP_1) | instskip(NEXT) | instid1(VALU_DEP_1)
	v_add_nc_u32_e32 v5, v3, v5
	v_lshrrev_b32_e32 v5, s18, v5
	s_delay_alu instid0(VALU_DEP_1) | instskip(SKIP_4) | instid1(VALU_DEP_1)
	v_mul_hi_u32 v7, s20, v5
	v_mul_lo_u32 v9, v5, s16
	s_load_b64 s[16:17], s[0:1], 0xfc
	s_wait_xcnt 0x0
	s_add_nc_u64 s[0:1], s[0:1], 32
	v_dual_add_nc_u32 v7, v5, v7 :: v_dual_sub_nc_u32 v9, v3, v9
	s_delay_alu instid0(VALU_DEP_1) | instskip(NEXT) | instid1(VALU_DEP_2)
	v_lshrrev_b32_e32 v3, s21, v7
	v_mad_u32 v0, v9, s11, v0
	v_mad_u32 v8, v9, s13, v8
	;; [unrolled: 1-line block ×3, first 2 shown]
	s_delay_alu instid0(VALU_DEP_4) | instskip(NEXT) | instid1(VALU_DEP_1)
	v_mul_lo_u32 v7, v3, s19
	v_sub_nc_u32_e32 v5, v5, v7
	s_delay_alu instid0(VALU_DEP_1)
	v_mad_u32 v0, v5, s14, v0
	s_wait_kmcnt 0x0
	v_mad_u32 v8, v5, s17, v8
	v_mad_u32 v10, v5, s16, v9
	s_cbranch_scc1 .LBB7_1553
; %bb.1554:
	s_bitcmp1_b32 s7, 0
	s_cselect_b32 s7, -1, 0
	s_delay_alu instid0(SALU_CYCLE_1)
	s_and_b32 vcc_lo, exec_lo, s7
	s_cbranch_vccnz .LBB7_1557
; %bb.1555:
	s_load_b96 s[12:14], s[4:5], 0x4
	s_load_b32 s7, s[0:1], 0xe4
	s_wait_xcnt 0x0
	s_load_b64 s[4:5], s[0:1], 0xec
	s_wait_kmcnt 0x0
	v_mul_hi_u32 v5, s13, v3
	s_delay_alu instid0(VALU_DEP_1) | instskip(NEXT) | instid1(VALU_DEP_1)
	v_add_nc_u32_e32 v5, v3, v5
	v_lshrrev_b32_e32 v5, s14, v5
	s_delay_alu instid0(VALU_DEP_1) | instskip(NEXT) | instid1(VALU_DEP_1)
	v_mul_lo_u32 v5, v5, s12
	v_sub_nc_u32_e32 v3, v3, v5
	s_delay_alu instid0(VALU_DEP_1)
	v_mad_u32 v0, v3, s7, v0
	v_mad_u32 v10, v3, s4, v10
	v_mad_u32 v8, v3, s5, v8
	s_and_not1_b32 vcc_lo, exec_lo, s6
	s_cbranch_vccz .LBB7_1558
	s_branch .LBB7_1561
.LBB7_1556:
	s_mov_b32 s6, -1
                                        ; implicit-def: $vgpr8
                                        ; implicit-def: $vgpr10
                                        ; implicit-def: $vgpr0
.LBB7_1557:
	s_delay_alu instid0(SALU_CYCLE_1)
	s_and_not1_b32 vcc_lo, exec_lo, s6
	s_cbranch_vccnz .LBB7_1561
.LBB7_1558:
	s_clause 0x2
	s_load_b96 s[4:6], s[2:3], 0x4
	s_load_b32 s7, s[2:3], 0xc4
	s_load_b64 s[0:1], s[2:3], 0xcc
	s_cmp_lt_u32 s15, 2
	s_wait_kmcnt 0x0
	v_mul_hi_u32 v0, s5, v1
	s_delay_alu instid0(VALU_DEP_1) | instskip(NEXT) | instid1(VALU_DEP_1)
	v_add_nc_u32_e32 v0, v1, v0
	v_lshrrev_b32_e32 v3, s6, v0
	s_delay_alu instid0(VALU_DEP_1) | instskip(NEXT) | instid1(VALU_DEP_1)
	v_mul_lo_u32 v0, v3, s4
	v_sub_nc_u32_e32 v1, v1, v0
	s_delay_alu instid0(VALU_DEP_1)
	v_mul_lo_u32 v0, v1, s7
	v_mul_lo_u32 v8, v1, s1
	;; [unrolled: 1-line block ×3, first 2 shown]
	s_cbranch_scc1 .LBB7_1561
; %bb.1559:
	s_clause 0x2
	s_load_b96 s[4:6], s[2:3], 0x10
	s_load_b32 s7, s[2:3], 0xd4
	s_load_b64 s[0:1], s[2:3], 0xdc
	s_wait_kmcnt 0x0
	v_mul_hi_u32 v1, s5, v3
	s_delay_alu instid0(VALU_DEP_1) | instskip(NEXT) | instid1(VALU_DEP_1)
	v_add_nc_u32_e32 v1, v3, v1
	v_lshrrev_b32_e32 v1, s6, v1
	s_delay_alu instid0(VALU_DEP_1) | instskip(NEXT) | instid1(VALU_DEP_1)
	v_mul_lo_u32 v1, v1, s4
	v_sub_nc_u32_e32 v1, v3, v1
	s_delay_alu instid0(VALU_DEP_1)
	v_mad_u32 v0, v1, s7, v0
	v_mad_u32 v10, v1, s0, v10
	;; [unrolled: 1-line block ×3, first 2 shown]
	s_branch .LBB7_1561
.LBB7_1560:
	v_dual_mov_b32 v8, 0 :: v_dual_mov_b32 v10, 0
	v_mov_b32_e32 v0, 0
	s_and_not1_b32 vcc_lo, exec_lo, s6
	s_cbranch_vccz .LBB7_1558
.LBB7_1561:
	v_mov_b32_e32 v1, 0
	global_load_u8 v1, v1, s[2:3] offset:490
	s_wait_loadcnt 0x0
	v_and_b32_e32 v3, 0xffff, v1
	v_readfirstlane_b32 s12, v1
	s_delay_alu instid0(VALU_DEP_2)
	v_cmp_gt_i32_e32 vcc_lo, 23, v3
	s_cbranch_vccnz .LBB7_1565
; %bb.1562:
	s_and_b32 s4, 0xffff, s12
	s_delay_alu instid0(SALU_CYCLE_1)
	s_cmp_gt_i32 s4, 43
	s_cbranch_scc0 .LBB7_1566
; %bb.1563:
	s_cmp_gt_i32 s4, 45
	s_cbranch_scc0 .LBB7_1567
; %bb.1564:
	s_cmp_lg_u32 s4, 46
	s_mov_b32 s0, -1
	s_cselect_b32 s1, -1, 0
	s_cbranch_execz .LBB7_1568
	s_branch .LBB7_1569
.LBB7_1565:
	s_mov_b32 s0, 0
	s_mov_b32 s1, 0
	s_cbranch_execnz .LBB7_1572
	s_branch .LBB7_1576
.LBB7_1566:
	s_mov_b32 s0, 0
	s_mov_b32 s1, 0
	s_cbranch_execnz .LBB7_1570
	s_branch .LBB7_1571
.LBB7_1567:
	s_mov_b32 s0, 0
	s_mov_b32 s1, 0
.LBB7_1568:
	s_cmp_eq_u32 s4, 44
	s_cselect_b32 s0, -1, 0
	s_cmp_lg_u32 s4, 44
	s_cselect_b32 s1, -1, 0
.LBB7_1569:
	s_branch .LBB7_1571
.LBB7_1570:
	s_cmp_lt_i32 s4, 30
	s_cselect_b32 s0, -1, 0
	s_cmp_gt_i32 s4, 29
	s_cselect_b32 s1, -1, 0
.LBB7_1571:
	s_branch .LBB7_1576
.LBB7_1572:
	s_and_b32 s4, 0xffff, s12
	s_mov_b32 s5, -1
	s_cmp_gt_i32 s4, 14
	s_cbranch_scc0 .LBB7_1574
; %bb.1573:
	s_cmp_eq_u32 s4, 15
	s_mov_b32 s5, 0
	s_cselect_b32 s0, -1, 0
	s_cmp_lg_u32 s4, 15
	s_cselect_b32 s1, -1, 0
.LBB7_1574:
	s_and_not1_b32 vcc_lo, exec_lo, s5
	s_cbranch_vccnz .LBB7_1576
; %bb.1575:
	s_cmp_lt_i32 s4, 12
	s_cselect_b32 s0, -1, 0
	s_cmp_gt_i32 s4, 11
	s_cselect_b32 s1, -1, 0
.LBB7_1576:
	s_delay_alu instid0(SALU_CYCLE_1)
	s_and_b32 vcc_lo, exec_lo, s1
	s_mov_b32 s1, s8
	s_cbranch_vccnz .LBB7_1589
; %bb.1577:
	s_and_not1_b32 vcc_lo, exec_lo, s0
	s_cbranch_vccnz .LBB7_2984
.LBB7_1578:
	v_mov_b32_e32 v23, 0
	s_load_b64 s[4:5], s[2:3], 0x1d8
	global_load_u8 v1, v23, s[2:3] offset:491
	s_wait_kmcnt 0x0
	v_add_nc_u64_e32 v[22:23], s[4:5], v[22:23]
	s_wait_loadcnt 0x0
	v_and_b32_e32 v3, 0xffff, v1
	v_readfirstlane_b32 s13, v1
	s_delay_alu instid0(VALU_DEP_2)
	v_cmp_gt_i32_e32 vcc_lo, 11, v3
	s_cbranch_vccnz .LBB7_1585
; %bb.1579:
	s_and_b32 s0, 0xffff, s13
	s_mov_b32 s11, 0
	s_cmp_gt_i32 s0, 25
	s_cbranch_scc0 .LBB7_1587
; %bb.1580:
	s_cmp_gt_i32 s0, 28
	s_cbranch_scc0 .LBB7_1588
; %bb.1581:
	;; [unrolled: 3-line block ×4, first 2 shown]
	s_cmp_eq_u32 s0, 46
	s_mov_b32 s14, 0
	s_cbranch_scc0 .LBB7_1594
; %bb.1584:
	global_load_b32 v1, v[22:23], off
	s_mov_b32 s6, 0
	s_mov_b32 s7, -1
	s_wait_loadcnt 0x0
	v_and_b32_e32 v1, 0x7fff7fff, v1
	s_delay_alu instid0(VALU_DEP_1)
	v_cmp_ne_u32_e64 s10, 0, v1
	s_branch .LBB7_1596
.LBB7_1585:
	s_mov_b32 s7, 0
                                        ; implicit-def: $sgpr10
	s_cbranch_execnz .LBB7_1643
.LBB7_1586:
	s_and_not1_b32 vcc_lo, exec_lo, s7
	s_cbranch_vccz .LBB7_1690
	s_branch .LBB7_2984
.LBB7_1587:
	s_mov_b32 s7, 0
	s_mov_b32 s6, 0
                                        ; implicit-def: $sgpr10
	s_cbranch_execnz .LBB7_1617
	s_branch .LBB7_1639
.LBB7_1588:
	s_mov_b32 s14, -1
	s_mov_b32 s7, 0
	s_mov_b32 s6, 0
                                        ; implicit-def: $sgpr10
	s_branch .LBB7_1604
.LBB7_1589:
	s_or_b32 s1, s8, exec_lo
	s_trap 2
	s_cbranch_execz .LBB7_1578
	s_branch .LBB7_2984
.LBB7_1590:
	s_mov_b32 s14, -1
	s_mov_b32 s7, 0
	s_mov_b32 s6, 0
                                        ; implicit-def: $sgpr10
	s_branch .LBB7_1599
.LBB7_1591:
	s_mov_b32 s14, -1
	s_mov_b32 s7, 0
	s_mov_b32 s6, 0
	s_branch .LBB7_1595
.LBB7_1592:
	v_bfe_u32 v2, v3, 20, 1
	s_mov_b32 s9, exec_lo
	s_delay_alu instid0(VALU_DEP_1) | instskip(NEXT) | instid1(VALU_DEP_1)
	v_add3_u32 v2, v3, v2, 0x487ffff
                                        ; implicit-def: $vgpr3
	v_lshrrev_b32_e32 v2, 20, v2
	s_and_not1_saveexec_b32 s10, s10
	s_cbranch_execz .LBB7_1429
.LBB7_1593:
	v_add_f32_e32 v2, 0x46000000, v3
	s_and_not1_b32 s9, s9, exec_lo
	s_delay_alu instid0(VALU_DEP_1) | instskip(NEXT) | instid1(VALU_DEP_1)
	v_and_b32_e32 v2, 0xff, v2
	v_cmp_ne_u32_e32 vcc_lo, 0, v2
	s_and_b32 s11, vcc_lo, exec_lo
	s_delay_alu instid0(SALU_CYCLE_1)
	s_or_b32 s9, s9, s11
	s_or_b32 exec_lo, exec_lo, s10
	v_mov_b32_e32 v4, 0
	s_and_saveexec_b32 s10, s9
	s_cbranch_execnz .LBB7_1430
	s_branch .LBB7_1431
.LBB7_1594:
	s_mov_b32 s6, -1
	s_mov_b32 s7, 0
.LBB7_1595:
                                        ; implicit-def: $sgpr10
.LBB7_1596:
	s_and_b32 vcc_lo, exec_lo, s14
	s_cbranch_vccz .LBB7_1598
; %bb.1597:
	s_cmp_lg_u32 s0, 44
	s_mov_b32 s7, -1
	s_cselect_b32 s6, -1, 0
	s_or_b32 s10, s10, exec_lo
.LBB7_1598:
	s_mov_b32 s14, 0
.LBB7_1599:
	s_delay_alu instid0(SALU_CYCLE_1)
	s_and_b32 vcc_lo, exec_lo, s14
	s_cbranch_vccz .LBB7_1603
; %bb.1600:
	s_cmp_eq_u32 s0, 29
	s_cbranch_scc0 .LBB7_1602
; %bb.1601:
	global_load_b64 v[24:25], v[22:23], off
	s_mov_b32 s6, 0
	s_mov_b32 s7, -1
	s_mov_b32 s14, 0
	s_wait_loadcnt 0x0
	v_cmp_ne_u64_e64 s10, 0, v[24:25]
	s_branch .LBB7_1604
.LBB7_1602:
	s_mov_b32 s6, -1
                                        ; implicit-def: $sgpr10
.LBB7_1603:
	s_mov_b32 s14, 0
.LBB7_1604:
	s_delay_alu instid0(SALU_CYCLE_1)
	s_and_b32 vcc_lo, exec_lo, s14
	s_cbranch_vccz .LBB7_1616
; %bb.1605:
	s_cmp_lt_i32 s0, 27
	s_cbranch_scc1 .LBB7_1608
; %bb.1606:
	s_cmp_gt_i32 s0, 27
	s_cbranch_scc0 .LBB7_1609
; %bb.1607:
	global_load_b32 v1, v[22:23], off
	s_mov_b32 s7, 0
	s_wait_loadcnt 0x0
	v_cmp_ne_u32_e64 s10, 0, v1
	s_branch .LBB7_1610
.LBB7_1608:
	s_mov_b32 s7, -1
                                        ; implicit-def: $sgpr10
	s_branch .LBB7_1613
.LBB7_1609:
	s_mov_b32 s7, -1
                                        ; implicit-def: $sgpr10
.LBB7_1610:
	s_delay_alu instid0(SALU_CYCLE_1)
	s_and_not1_b32 vcc_lo, exec_lo, s7
	s_cbranch_vccnz .LBB7_1612
; %bb.1611:
	global_load_u16 v1, v[22:23], off
	s_and_not1_b32 s7, s10, exec_lo
	s_wait_loadcnt 0x0
	v_cmp_ne_u16_e32 vcc_lo, 0, v1
	s_and_b32 s10, vcc_lo, exec_lo
	s_delay_alu instid0(SALU_CYCLE_1)
	s_or_b32 s10, s7, s10
.LBB7_1612:
	s_mov_b32 s7, 0
.LBB7_1613:
	s_delay_alu instid0(SALU_CYCLE_1)
	s_and_not1_b32 vcc_lo, exec_lo, s7
	s_cbranch_vccnz .LBB7_1615
; %bb.1614:
	global_load_u8 v1, v[22:23], off
	s_and_not1_b32 s7, s10, exec_lo
	s_wait_loadcnt 0x0
	v_cmp_ne_u16_e32 vcc_lo, 0, v1
	s_and_b32 s10, vcc_lo, exec_lo
	s_delay_alu instid0(SALU_CYCLE_1)
	s_or_b32 s10, s7, s10
.LBB7_1615:
	s_mov_b32 s7, -1
.LBB7_1616:
	s_branch .LBB7_1639
.LBB7_1617:
	s_cmp_gt_i32 s0, 22
	s_cbranch_scc0 .LBB7_1621
; %bb.1618:
	s_cmp_lt_i32 s0, 24
	s_cbranch_scc1 .LBB7_1622
; %bb.1619:
	s_cmp_gt_i32 s0, 24
	s_cbranch_scc0 .LBB7_1623
; %bb.1620:
	global_load_u8 v1, v[22:23], off
	s_mov_b32 s7, 0
	s_wait_loadcnt 0x0
	v_cmp_ne_u16_e64 s10, 0, v1
	s_branch .LBB7_1624
.LBB7_1621:
	s_mov_b32 s11, -1
                                        ; implicit-def: $sgpr10
	s_branch .LBB7_1630
.LBB7_1622:
	s_mov_b32 s7, -1
                                        ; implicit-def: $sgpr10
	s_branch .LBB7_1627
.LBB7_1623:
	s_mov_b32 s7, -1
                                        ; implicit-def: $sgpr10
.LBB7_1624:
	s_delay_alu instid0(SALU_CYCLE_1)
	s_and_not1_b32 vcc_lo, exec_lo, s7
	s_cbranch_vccnz .LBB7_1626
; %bb.1625:
	global_load_u8 v1, v[22:23], off
	s_and_not1_b32 s7, s10, exec_lo
	s_wait_loadcnt 0x0
	v_and_b32_e32 v1, 0x7f, v1
	s_delay_alu instid0(VALU_DEP_1) | instskip(SKIP_1) | instid1(SALU_CYCLE_1)
	v_cmp_ne_u16_e32 vcc_lo, 0, v1
	s_and_b32 s10, vcc_lo, exec_lo
	s_or_b32 s10, s7, s10
.LBB7_1626:
	s_mov_b32 s7, 0
.LBB7_1627:
	s_delay_alu instid0(SALU_CYCLE_1)
	s_and_not1_b32 vcc_lo, exec_lo, s7
	s_cbranch_vccnz .LBB7_1629
; %bb.1628:
	global_load_u8 v1, v[22:23], off
	s_and_not1_b32 s7, s10, exec_lo
	s_wait_loadcnt 0x0
	v_dual_lshlrev_b32 v3, 25, v1 :: v_dual_lshlrev_b32 v1, 8, v1
	s_delay_alu instid0(VALU_DEP_1) | instskip(NEXT) | instid1(VALU_DEP_2)
	v_cmp_gt_u32_e32 vcc_lo, 0x8000000, v3
	v_and_or_b32 v1, 0x7f00, v1, 0.5
	s_delay_alu instid0(VALU_DEP_1) | instskip(NEXT) | instid1(VALU_DEP_1)
	v_dual_lshrrev_b32 v5, 4, v3 :: v_dual_add_f32 v1, -0.5, v1
	v_or_b32_e32 v5, 0x70000000, v5
	s_delay_alu instid0(VALU_DEP_1) | instskip(NEXT) | instid1(VALU_DEP_1)
	v_mul_f32_e32 v5, 0x7800000, v5
	v_cndmask_b32_e32 v1, v5, v1, vcc_lo
	s_delay_alu instid0(VALU_DEP_1) | instskip(SKIP_1) | instid1(SALU_CYCLE_1)
	v_cmp_neq_f32_e32 vcc_lo, 0, v1
	s_and_b32 s10, vcc_lo, exec_lo
	s_or_b32 s10, s7, s10
.LBB7_1629:
	s_mov_b32 s7, -1
.LBB7_1630:
	s_and_not1_b32 vcc_lo, exec_lo, s11
	s_mov_b32 s11, 0
	s_cbranch_vccnz .LBB7_1639
; %bb.1631:
	s_cmp_gt_i32 s0, 14
	s_cbranch_scc0 .LBB7_1634
; %bb.1632:
	s_cmp_eq_u32 s0, 15
	s_cbranch_scc0 .LBB7_1635
; %bb.1633:
	global_load_u16 v1, v[22:23], off
	s_mov_b32 s6, 0
	s_mov_b32 s7, -1
	s_wait_loadcnt 0x0
	v_and_b32_e32 v1, 0x7fff, v1
	s_delay_alu instid0(VALU_DEP_1)
	v_cmp_ne_u16_e64 s10, 0, v1
	s_branch .LBB7_1637
.LBB7_1634:
	s_mov_b32 s11, -1
	s_branch .LBB7_1636
.LBB7_1635:
	s_mov_b32 s6, -1
.LBB7_1636:
                                        ; implicit-def: $sgpr10
.LBB7_1637:
	s_and_b32 vcc_lo, exec_lo, s11
	s_mov_b32 s11, 0
	s_cbranch_vccz .LBB7_1639
; %bb.1638:
	s_cmp_lg_u32 s0, 11
	s_mov_b32 s11, -1
	s_cselect_b32 s6, -1, 0
.LBB7_1639:
	s_delay_alu instid0(SALU_CYCLE_1)
	s_and_b32 vcc_lo, exec_lo, s6
	s_cbranch_vccnz .LBB7_1702
; %bb.1640:
	s_and_not1_b32 vcc_lo, exec_lo, s11
	s_cbranch_vccnz .LBB7_1642
.LBB7_1641:
	global_load_u8 v1, v[22:23], off
	s_and_not1_b32 s0, s10, exec_lo
	s_mov_b32 s7, -1
	s_wait_loadcnt 0x0
	v_cmp_ne_u16_e32 vcc_lo, 0, v1
	s_and_b32 s6, vcc_lo, exec_lo
	s_delay_alu instid0(SALU_CYCLE_1)
	s_or_b32 s10, s0, s6
.LBB7_1642:
	s_branch .LBB7_1586
.LBB7_1643:
	s_and_b32 s6, 0xffff, s13
	s_delay_alu instid0(SALU_CYCLE_1)
	s_cmp_lt_i32 s6, 5
	s_cbranch_scc1 .LBB7_1648
; %bb.1644:
	s_cmp_lt_i32 s6, 8
	s_cbranch_scc1 .LBB7_1649
; %bb.1645:
	;; [unrolled: 3-line block ×3, first 2 shown]
	s_cmp_gt_i32 s6, 9
	s_cbranch_scc0 .LBB7_1651
; %bb.1647:
	global_load_b128 v[24:27], v[22:23], off
	s_wait_loadcnt 0x0
	v_cmp_neq_f64_e32 vcc_lo, 0, v[24:25]
	v_cmp_neq_f64_e64 s0, 0, v[26:27]
	s_or_b32 s10, vcc_lo, s0
	s_mov_b32 s0, 0
	s_branch .LBB7_1652
.LBB7_1648:
                                        ; implicit-def: $sgpr10
	s_branch .LBB7_1670
.LBB7_1649:
	s_mov_b32 s0, -1
                                        ; implicit-def: $sgpr10
	s_branch .LBB7_1658
.LBB7_1650:
	s_mov_b32 s0, -1
                                        ; implicit-def: $sgpr10
	s_branch .LBB7_1655
.LBB7_1651:
	s_mov_b32 s0, -1
                                        ; implicit-def: $sgpr10
.LBB7_1652:
	s_delay_alu instid0(SALU_CYCLE_1)
	s_and_not1_b32 vcc_lo, exec_lo, s0
	s_cbranch_vccnz .LBB7_1654
; %bb.1653:
	global_load_b64 v[24:25], v[22:23], off
	s_and_not1_b32 s0, s10, exec_lo
	s_wait_loadcnt 0x0
	v_bitop3_b32 v1, v24, 0x7fffffff, v25 bitop3:0xc8
	s_delay_alu instid0(VALU_DEP_1) | instskip(SKIP_1) | instid1(SALU_CYCLE_1)
	v_cmp_ne_u32_e32 vcc_lo, 0, v1
	s_and_b32 s7, vcc_lo, exec_lo
	s_or_b32 s10, s0, s7
.LBB7_1654:
	s_mov_b32 s0, 0
.LBB7_1655:
	s_delay_alu instid0(SALU_CYCLE_1)
	s_and_not1_b32 vcc_lo, exec_lo, s0
	s_cbranch_vccnz .LBB7_1657
; %bb.1656:
	global_load_b32 v1, v[22:23], off
	s_and_not1_b32 s0, s10, exec_lo
	s_wait_loadcnt 0x0
	v_and_b32_e32 v1, 0x7fff7fff, v1
	s_delay_alu instid0(VALU_DEP_1) | instskip(SKIP_1) | instid1(SALU_CYCLE_1)
	v_cmp_ne_u32_e32 vcc_lo, 0, v1
	s_and_b32 s7, vcc_lo, exec_lo
	s_or_b32 s10, s0, s7
.LBB7_1657:
	s_mov_b32 s0, 0
.LBB7_1658:
	s_delay_alu instid0(SALU_CYCLE_1)
	s_and_not1_b32 vcc_lo, exec_lo, s0
	s_cbranch_vccnz .LBB7_1669
; %bb.1659:
	s_cmp_lt_i32 s6, 6
	s_cbranch_scc1 .LBB7_1662
; %bb.1660:
	s_cmp_gt_i32 s6, 6
	s_cbranch_scc0 .LBB7_1663
; %bb.1661:
	global_load_b64 v[24:25], v[22:23], off
	s_mov_b32 s0, 0
	s_wait_loadcnt 0x0
	v_cmp_neq_f64_e64 s10, 0, v[24:25]
	s_branch .LBB7_1664
.LBB7_1662:
	s_mov_b32 s0, -1
                                        ; implicit-def: $sgpr10
	s_branch .LBB7_1667
.LBB7_1663:
	s_mov_b32 s0, -1
                                        ; implicit-def: $sgpr10
.LBB7_1664:
	s_delay_alu instid0(SALU_CYCLE_1)
	s_and_not1_b32 vcc_lo, exec_lo, s0
	s_cbranch_vccnz .LBB7_1666
; %bb.1665:
	global_load_b32 v1, v[22:23], off
	s_and_not1_b32 s0, s10, exec_lo
	s_wait_loadcnt 0x0
	v_cmp_neq_f32_e32 vcc_lo, 0, v1
	s_and_b32 s7, vcc_lo, exec_lo
	s_delay_alu instid0(SALU_CYCLE_1)
	s_or_b32 s10, s0, s7
.LBB7_1666:
	s_mov_b32 s0, 0
.LBB7_1667:
	s_delay_alu instid0(SALU_CYCLE_1)
	s_and_not1_b32 vcc_lo, exec_lo, s0
	s_cbranch_vccnz .LBB7_1669
; %bb.1668:
	global_load_u16 v1, v[22:23], off
	s_and_not1_b32 s0, s10, exec_lo
	s_wait_loadcnt 0x0
	v_and_b32_e32 v1, 0x7fff, v1
	s_delay_alu instid0(VALU_DEP_1) | instskip(SKIP_1) | instid1(SALU_CYCLE_1)
	v_cmp_ne_u16_e32 vcc_lo, 0, v1
	s_and_b32 s7, vcc_lo, exec_lo
	s_or_b32 s10, s0, s7
.LBB7_1669:
	s_cbranch_execnz .LBB7_1689
.LBB7_1670:
	s_cmp_lt_i32 s6, 2
	s_cbranch_scc1 .LBB7_1674
; %bb.1671:
	s_cmp_lt_i32 s6, 3
	s_cbranch_scc1 .LBB7_1675
; %bb.1672:
	s_cmp_gt_i32 s6, 3
	s_cbranch_scc0 .LBB7_1676
; %bb.1673:
	global_load_b64 v[24:25], v[22:23], off
	s_mov_b32 s0, 0
	s_wait_loadcnt 0x0
	v_cmp_ne_u64_e64 s10, 0, v[24:25]
	s_branch .LBB7_1677
.LBB7_1674:
	s_mov_b32 s0, -1
                                        ; implicit-def: $sgpr10
	s_branch .LBB7_1683
.LBB7_1675:
	s_mov_b32 s0, -1
                                        ; implicit-def: $sgpr10
	s_branch .LBB7_1680
.LBB7_1676:
	s_mov_b32 s0, -1
                                        ; implicit-def: $sgpr10
.LBB7_1677:
	s_delay_alu instid0(SALU_CYCLE_1)
	s_and_not1_b32 vcc_lo, exec_lo, s0
	s_cbranch_vccnz .LBB7_1679
; %bb.1678:
	global_load_b32 v1, v[22:23], off
	s_and_not1_b32 s0, s10, exec_lo
	s_wait_loadcnt 0x0
	v_cmp_ne_u32_e32 vcc_lo, 0, v1
	s_and_b32 s7, vcc_lo, exec_lo
	s_delay_alu instid0(SALU_CYCLE_1)
	s_or_b32 s10, s0, s7
.LBB7_1679:
	s_mov_b32 s0, 0
.LBB7_1680:
	s_delay_alu instid0(SALU_CYCLE_1)
	s_and_not1_b32 vcc_lo, exec_lo, s0
	s_cbranch_vccnz .LBB7_1682
; %bb.1681:
	global_load_u16 v1, v[22:23], off
	s_and_not1_b32 s0, s10, exec_lo
	s_wait_loadcnt 0x0
	v_cmp_ne_u16_e32 vcc_lo, 0, v1
	s_and_b32 s7, vcc_lo, exec_lo
	s_delay_alu instid0(SALU_CYCLE_1)
	s_or_b32 s10, s0, s7
.LBB7_1682:
	s_mov_b32 s0, 0
.LBB7_1683:
	s_delay_alu instid0(SALU_CYCLE_1)
	s_and_not1_b32 vcc_lo, exec_lo, s0
	s_cbranch_vccnz .LBB7_1689
; %bb.1684:
	s_cmp_gt_i32 s6, 0
	s_mov_b32 s0, 0
	s_cbranch_scc0 .LBB7_1686
; %bb.1685:
	global_load_u8 v1, v[22:23], off
	s_wait_loadcnt 0x0
	v_cmp_ne_u16_e64 s10, 0, v1
	s_branch .LBB7_1687
.LBB7_1686:
	s_mov_b32 s0, -1
                                        ; implicit-def: $sgpr10
.LBB7_1687:
	s_delay_alu instid0(SALU_CYCLE_1)
	s_and_not1_b32 vcc_lo, exec_lo, s0
	s_cbranch_vccnz .LBB7_1689
; %bb.1688:
	global_load_u8 v1, v[22:23], off
	s_and_not1_b32 s0, s10, exec_lo
	s_wait_loadcnt 0x0
	v_cmp_ne_u16_e32 vcc_lo, 0, v1
	s_and_b32 s6, vcc_lo, exec_lo
	s_delay_alu instid0(SALU_CYCLE_1)
	s_or_b32 s10, s0, s6
.LBB7_1689:
.LBB7_1690:
	s_clause 0x1
	s_load_b64 s[6:7], s[2:3], 0x1e0
	s_load_b32 s0, s[2:3], 0x1ec
	v_mov_b32_e32 v21, 0
	s_wait_kmcnt 0x0
	s_delay_alu instid0(VALU_DEP_1) | instskip(SKIP_1) | instid1(SALU_CYCLE_1)
	v_add_nc_u64_e32 v[20:21], s[6:7], v[20:21]
	s_and_b32 s14, s0, 0xff
	s_cmp_lt_i32 s14, 11
	s_cbranch_scc1 .LBB7_1697
; %bb.1691:
	s_and_b32 s0, 0xffff, s14
	s_mov_b32 s17, 0
	s_cmp_gt_i32 s0, 25
	s_cbranch_scc0 .LBB7_1699
; %bb.1692:
	s_cmp_gt_i32 s0, 28
	s_cbranch_scc0 .LBB7_1700
; %bb.1693:
	s_cmp_gt_i32 s0, 43
	s_cbranch_scc0 .LBB7_1701
; %bb.1694:
	s_cmp_gt_i32 s0, 45
	s_cbranch_scc0 .LBB7_1703
; %bb.1695:
	s_cmp_eq_u32 s0, 46
	s_mov_b32 s18, 0
	s_cbranch_scc0 .LBB7_1706
; %bb.1696:
	global_load_b32 v1, v[20:21], off
	s_mov_b32 s15, 0
	s_mov_b32 s16, -1
	s_wait_loadcnt 0x0
	v_and_b32_e32 v1, 0x7fff7fff, v1
	s_delay_alu instid0(VALU_DEP_1)
	v_cmp_ne_u32_e64 s11, 0, v1
	s_branch .LBB7_1708
.LBB7_1697:
	s_mov_b32 s16, 0
                                        ; implicit-def: $sgpr11
	s_cbranch_execnz .LBB7_1756
.LBB7_1698:
	s_and_not1_b32 vcc_lo, exec_lo, s16
	s_cbranch_vccz .LBB7_1804
	s_branch .LBB7_2984
.LBB7_1699:
	s_mov_b32 s18, -1
	s_mov_b32 s16, 0
	s_mov_b32 s15, 0
                                        ; implicit-def: $sgpr11
	s_branch .LBB7_1729
.LBB7_1700:
	s_mov_b32 s18, -1
	s_mov_b32 s16, 0
	s_mov_b32 s15, 0
                                        ; implicit-def: $sgpr11
	s_branch .LBB7_1716
.LBB7_1701:
	s_mov_b32 s18, -1
	s_mov_b32 s16, 0
	s_mov_b32 s15, 0
                                        ; implicit-def: $sgpr11
	s_branch .LBB7_1711
.LBB7_1702:
	s_mov_b32 s7, 0
	s_or_b32 s1, s1, exec_lo
	s_trap 2
	s_cbranch_execz .LBB7_1641
	s_branch .LBB7_1642
.LBB7_1703:
	s_mov_b32 s18, -1
	s_mov_b32 s16, 0
	s_mov_b32 s15, 0
	s_branch .LBB7_1707
.LBB7_1704:
	v_bfe_u32 v2, v3, 21, 1
	s_mov_b32 s10, exec_lo
	s_delay_alu instid0(VALU_DEP_1) | instskip(NEXT) | instid1(VALU_DEP_1)
	v_add3_u32 v2, v3, v2, 0x88fffff
                                        ; implicit-def: $vgpr3
	v_lshrrev_b32_e32 v2, 21, v2
	s_and_not1_saveexec_b32 s11, s11
	s_cbranch_execz .LBB7_1441
.LBB7_1705:
	v_add_f32_e32 v2, 0x42800000, v3
	s_and_not1_b32 s10, s10, exec_lo
	s_delay_alu instid0(VALU_DEP_1) | instskip(NEXT) | instid1(VALU_DEP_1)
	v_and_b32_e32 v2, 0xff, v2
	v_cmp_ne_u32_e32 vcc_lo, 0, v2
	s_and_b32 s12, vcc_lo, exec_lo
	s_delay_alu instid0(SALU_CYCLE_1)
	s_or_b32 s10, s10, s12
	s_or_b32 exec_lo, exec_lo, s11
	v_mov_b32_e32 v4, 0
	s_and_saveexec_b32 s11, s10
	s_cbranch_execnz .LBB7_1442
	s_branch .LBB7_1443
.LBB7_1706:
	s_mov_b32 s15, -1
	s_mov_b32 s16, 0
.LBB7_1707:
                                        ; implicit-def: $sgpr11
.LBB7_1708:
	s_and_b32 vcc_lo, exec_lo, s18
	s_cbranch_vccz .LBB7_1710
; %bb.1709:
	s_cmp_lg_u32 s0, 44
	s_mov_b32 s16, -1
	s_cselect_b32 s15, -1, 0
	s_or_b32 s11, s11, exec_lo
.LBB7_1710:
	s_mov_b32 s18, 0
.LBB7_1711:
	s_delay_alu instid0(SALU_CYCLE_1)
	s_and_b32 vcc_lo, exec_lo, s18
	s_cbranch_vccz .LBB7_1715
; %bb.1712:
	s_cmp_eq_u32 s0, 29
	s_cbranch_scc0 .LBB7_1714
; %bb.1713:
	global_load_b64 v[22:23], v[20:21], off
	s_mov_b32 s15, 0
	s_mov_b32 s16, -1
	s_mov_b32 s18, 0
	s_wait_loadcnt 0x0
	v_cmp_ne_u64_e64 s11, 0, v[22:23]
	s_branch .LBB7_1716
.LBB7_1714:
	s_mov_b32 s15, -1
                                        ; implicit-def: $sgpr11
.LBB7_1715:
	s_mov_b32 s18, 0
.LBB7_1716:
	s_delay_alu instid0(SALU_CYCLE_1)
	s_and_b32 vcc_lo, exec_lo, s18
	s_cbranch_vccz .LBB7_1728
; %bb.1717:
	s_cmp_lt_i32 s0, 27
	s_cbranch_scc1 .LBB7_1720
; %bb.1718:
	s_cmp_gt_i32 s0, 27
	s_cbranch_scc0 .LBB7_1721
; %bb.1719:
	global_load_b32 v1, v[20:21], off
	s_mov_b32 s16, 0
	s_wait_loadcnt 0x0
	v_cmp_ne_u32_e64 s11, 0, v1
	s_branch .LBB7_1722
.LBB7_1720:
	s_mov_b32 s16, -1
                                        ; implicit-def: $sgpr11
	s_branch .LBB7_1725
.LBB7_1721:
	s_mov_b32 s16, -1
                                        ; implicit-def: $sgpr11
.LBB7_1722:
	s_delay_alu instid0(SALU_CYCLE_1)
	s_and_not1_b32 vcc_lo, exec_lo, s16
	s_cbranch_vccnz .LBB7_1724
; %bb.1723:
	global_load_u16 v1, v[20:21], off
	s_and_not1_b32 s11, s11, exec_lo
	s_wait_loadcnt 0x0
	v_cmp_ne_u16_e32 vcc_lo, 0, v1
	s_and_b32 s16, vcc_lo, exec_lo
	s_delay_alu instid0(SALU_CYCLE_1)
	s_or_b32 s11, s11, s16
.LBB7_1724:
	s_mov_b32 s16, 0
.LBB7_1725:
	s_delay_alu instid0(SALU_CYCLE_1)
	s_and_not1_b32 vcc_lo, exec_lo, s16
	s_cbranch_vccnz .LBB7_1727
; %bb.1726:
	global_load_u8 v1, v[20:21], off
	s_and_not1_b32 s11, s11, exec_lo
	s_wait_loadcnt 0x0
	v_cmp_ne_u16_e32 vcc_lo, 0, v1
	s_and_b32 s16, vcc_lo, exec_lo
	s_delay_alu instid0(SALU_CYCLE_1)
	s_or_b32 s11, s11, s16
.LBB7_1727:
	s_mov_b32 s16, -1
.LBB7_1728:
	s_mov_b32 s18, 0
.LBB7_1729:
	s_delay_alu instid0(SALU_CYCLE_1)
	s_and_b32 vcc_lo, exec_lo, s18
	s_cbranch_vccz .LBB7_1752
; %bb.1730:
	s_cmp_gt_i32 s0, 22
	s_cbranch_scc0 .LBB7_1734
; %bb.1731:
	s_cmp_lt_i32 s0, 24
	s_cbranch_scc1 .LBB7_1735
; %bb.1732:
	s_cmp_gt_i32 s0, 24
	s_cbranch_scc0 .LBB7_1736
; %bb.1733:
	global_load_u8 v1, v[20:21], off
	s_mov_b32 s16, 0
	s_wait_loadcnt 0x0
	v_cmp_ne_u16_e64 s11, 0, v1
	s_branch .LBB7_1737
.LBB7_1734:
	s_mov_b32 s17, -1
                                        ; implicit-def: $sgpr11
	s_branch .LBB7_1743
.LBB7_1735:
	s_mov_b32 s16, -1
                                        ; implicit-def: $sgpr11
	s_branch .LBB7_1740
.LBB7_1736:
	s_mov_b32 s16, -1
                                        ; implicit-def: $sgpr11
.LBB7_1737:
	s_delay_alu instid0(SALU_CYCLE_1)
	s_and_not1_b32 vcc_lo, exec_lo, s16
	s_cbranch_vccnz .LBB7_1739
; %bb.1738:
	global_load_u8 v1, v[20:21], off
	s_and_not1_b32 s11, s11, exec_lo
	s_wait_loadcnt 0x0
	v_and_b32_e32 v1, 0x7f, v1
	s_delay_alu instid0(VALU_DEP_1) | instskip(SKIP_1) | instid1(SALU_CYCLE_1)
	v_cmp_ne_u16_e32 vcc_lo, 0, v1
	s_and_b32 s16, vcc_lo, exec_lo
	s_or_b32 s11, s11, s16
.LBB7_1739:
	s_mov_b32 s16, 0
.LBB7_1740:
	s_delay_alu instid0(SALU_CYCLE_1)
	s_and_not1_b32 vcc_lo, exec_lo, s16
	s_cbranch_vccnz .LBB7_1742
; %bb.1741:
	global_load_u8 v1, v[20:21], off
	s_and_not1_b32 s11, s11, exec_lo
	s_wait_loadcnt 0x0
	v_dual_lshlrev_b32 v3, 25, v1 :: v_dual_lshlrev_b32 v1, 8, v1
	s_delay_alu instid0(VALU_DEP_1) | instskip(NEXT) | instid1(VALU_DEP_2)
	v_cmp_gt_u32_e32 vcc_lo, 0x8000000, v3
	v_and_or_b32 v1, 0x7f00, v1, 0.5
	s_delay_alu instid0(VALU_DEP_1) | instskip(NEXT) | instid1(VALU_DEP_1)
	v_dual_lshrrev_b32 v5, 4, v3 :: v_dual_add_f32 v1, -0.5, v1
	v_or_b32_e32 v5, 0x70000000, v5
	s_delay_alu instid0(VALU_DEP_1) | instskip(NEXT) | instid1(VALU_DEP_1)
	v_mul_f32_e32 v5, 0x7800000, v5
	v_cndmask_b32_e32 v1, v5, v1, vcc_lo
	s_delay_alu instid0(VALU_DEP_1) | instskip(SKIP_1) | instid1(SALU_CYCLE_1)
	v_cmp_neq_f32_e32 vcc_lo, 0, v1
	s_and_b32 s16, vcc_lo, exec_lo
	s_or_b32 s11, s11, s16
.LBB7_1742:
	s_mov_b32 s16, -1
.LBB7_1743:
	s_and_not1_b32 vcc_lo, exec_lo, s17
	s_mov_b32 s17, 0
	s_cbranch_vccnz .LBB7_1752
; %bb.1744:
	s_cmp_gt_i32 s0, 14
	s_cbranch_scc0 .LBB7_1747
; %bb.1745:
	s_cmp_eq_u32 s0, 15
	s_cbranch_scc0 .LBB7_1748
; %bb.1746:
	global_load_u16 v1, v[20:21], off
	s_mov_b32 s15, 0
	s_mov_b32 s16, -1
	s_wait_loadcnt 0x0
	v_and_b32_e32 v1, 0x7fff, v1
	s_delay_alu instid0(VALU_DEP_1)
	v_cmp_ne_u16_e64 s11, 0, v1
	s_branch .LBB7_1750
.LBB7_1747:
	s_mov_b32 s17, -1
	s_branch .LBB7_1749
.LBB7_1748:
	s_mov_b32 s15, -1
.LBB7_1749:
                                        ; implicit-def: $sgpr11
.LBB7_1750:
	s_and_b32 vcc_lo, exec_lo, s17
	s_mov_b32 s17, 0
	s_cbranch_vccz .LBB7_1752
; %bb.1751:
	s_cmp_lg_u32 s0, 11
	s_mov_b32 s17, -1
	s_cselect_b32 s15, -1, 0
.LBB7_1752:
	s_delay_alu instid0(SALU_CYCLE_1)
	s_and_b32 vcc_lo, exec_lo, s15
	s_cbranch_vccnz .LBB7_1834
; %bb.1753:
	s_and_not1_b32 vcc_lo, exec_lo, s17
	s_cbranch_vccnz .LBB7_1755
.LBB7_1754:
	global_load_u8 v1, v[20:21], off
	s_and_not1_b32 s0, s11, exec_lo
	s_mov_b32 s16, -1
	s_wait_loadcnt 0x0
	v_cmp_ne_u16_e32 vcc_lo, 0, v1
	s_and_b32 s11, vcc_lo, exec_lo
	s_delay_alu instid0(SALU_CYCLE_1)
	s_or_b32 s11, s0, s11
.LBB7_1755:
	s_branch .LBB7_1698
.LBB7_1756:
	s_and_b32 s15, 0xffff, s14
	s_delay_alu instid0(SALU_CYCLE_1)
	s_cmp_lt_i32 s15, 5
	s_cbranch_scc1 .LBB7_1761
; %bb.1757:
	s_cmp_lt_i32 s15, 8
	s_cbranch_scc1 .LBB7_1762
; %bb.1758:
	s_cmp_lt_i32 s15, 9
	s_cbranch_scc1 .LBB7_1763
; %bb.1759:
	s_cmp_gt_i32 s15, 9
	s_cbranch_scc0 .LBB7_1764
; %bb.1760:
	global_load_b128 v[22:25], v[20:21], off
	s_wait_loadcnt 0x0
	v_cmp_neq_f64_e32 vcc_lo, 0, v[22:23]
	v_cmp_neq_f64_e64 s0, 0, v[24:25]
	s_or_b32 s11, vcc_lo, s0
	s_mov_b32 s0, 0
	s_branch .LBB7_1765
.LBB7_1761:
	s_mov_b32 s0, -1
                                        ; implicit-def: $sgpr11
	s_branch .LBB7_1783
.LBB7_1762:
	s_mov_b32 s0, -1
                                        ; implicit-def: $sgpr11
	s_branch .LBB7_1771
.LBB7_1763:
	s_mov_b32 s0, -1
                                        ; implicit-def: $sgpr11
	s_branch .LBB7_1768
.LBB7_1764:
	s_mov_b32 s0, -1
                                        ; implicit-def: $sgpr11
.LBB7_1765:
	s_delay_alu instid0(SALU_CYCLE_1)
	s_and_not1_b32 vcc_lo, exec_lo, s0
	s_cbranch_vccnz .LBB7_1767
; %bb.1766:
	global_load_b64 v[22:23], v[20:21], off
	s_and_not1_b32 s0, s11, exec_lo
	s_wait_loadcnt 0x0
	v_bitop3_b32 v1, v22, 0x7fffffff, v23 bitop3:0xc8
	s_delay_alu instid0(VALU_DEP_1) | instskip(SKIP_1) | instid1(SALU_CYCLE_1)
	v_cmp_ne_u32_e32 vcc_lo, 0, v1
	s_and_b32 s11, vcc_lo, exec_lo
	s_or_b32 s11, s0, s11
.LBB7_1767:
	s_mov_b32 s0, 0
.LBB7_1768:
	s_delay_alu instid0(SALU_CYCLE_1)
	s_and_not1_b32 vcc_lo, exec_lo, s0
	s_cbranch_vccnz .LBB7_1770
; %bb.1769:
	global_load_b32 v1, v[20:21], off
	s_and_not1_b32 s0, s11, exec_lo
	s_wait_loadcnt 0x0
	v_and_b32_e32 v1, 0x7fff7fff, v1
	s_delay_alu instid0(VALU_DEP_1) | instskip(SKIP_1) | instid1(SALU_CYCLE_1)
	v_cmp_ne_u32_e32 vcc_lo, 0, v1
	s_and_b32 s11, vcc_lo, exec_lo
	s_or_b32 s11, s0, s11
.LBB7_1770:
	s_mov_b32 s0, 0
.LBB7_1771:
	s_delay_alu instid0(SALU_CYCLE_1)
	s_and_not1_b32 vcc_lo, exec_lo, s0
	s_cbranch_vccnz .LBB7_1782
; %bb.1772:
	s_cmp_lt_i32 s15, 6
	s_cbranch_scc1 .LBB7_1775
; %bb.1773:
	s_cmp_gt_i32 s15, 6
	s_cbranch_scc0 .LBB7_1776
; %bb.1774:
	global_load_b64 v[22:23], v[20:21], off
	s_mov_b32 s0, 0
	s_wait_loadcnt 0x0
	v_cmp_neq_f64_e64 s11, 0, v[22:23]
	s_branch .LBB7_1777
.LBB7_1775:
	s_mov_b32 s0, -1
                                        ; implicit-def: $sgpr11
	s_branch .LBB7_1780
.LBB7_1776:
	s_mov_b32 s0, -1
                                        ; implicit-def: $sgpr11
.LBB7_1777:
	s_delay_alu instid0(SALU_CYCLE_1)
	s_and_not1_b32 vcc_lo, exec_lo, s0
	s_cbranch_vccnz .LBB7_1779
; %bb.1778:
	global_load_b32 v1, v[20:21], off
	s_and_not1_b32 s0, s11, exec_lo
	s_wait_loadcnt 0x0
	v_cmp_neq_f32_e32 vcc_lo, 0, v1
	s_and_b32 s11, vcc_lo, exec_lo
	s_delay_alu instid0(SALU_CYCLE_1)
	s_or_b32 s11, s0, s11
.LBB7_1779:
	s_mov_b32 s0, 0
.LBB7_1780:
	s_delay_alu instid0(SALU_CYCLE_1)
	s_and_not1_b32 vcc_lo, exec_lo, s0
	s_cbranch_vccnz .LBB7_1782
; %bb.1781:
	global_load_u16 v1, v[20:21], off
	s_and_not1_b32 s0, s11, exec_lo
	s_wait_loadcnt 0x0
	v_and_b32_e32 v1, 0x7fff, v1
	s_delay_alu instid0(VALU_DEP_1) | instskip(SKIP_1) | instid1(SALU_CYCLE_1)
	v_cmp_ne_u16_e32 vcc_lo, 0, v1
	s_and_b32 s11, vcc_lo, exec_lo
	s_or_b32 s11, s0, s11
.LBB7_1782:
	s_mov_b32 s0, 0
.LBB7_1783:
	s_delay_alu instid0(SALU_CYCLE_1)
	s_and_not1_b32 vcc_lo, exec_lo, s0
	s_cbranch_vccnz .LBB7_1803
; %bb.1784:
	s_cmp_lt_i32 s15, 2
	s_cbranch_scc1 .LBB7_1788
; %bb.1785:
	s_cmp_lt_i32 s15, 3
	s_cbranch_scc1 .LBB7_1789
; %bb.1786:
	s_cmp_gt_i32 s15, 3
	s_cbranch_scc0 .LBB7_1790
; %bb.1787:
	global_load_b64 v[22:23], v[20:21], off
	s_mov_b32 s0, 0
	s_wait_loadcnt 0x0
	v_cmp_ne_u64_e64 s11, 0, v[22:23]
	s_branch .LBB7_1791
.LBB7_1788:
	s_mov_b32 s0, -1
                                        ; implicit-def: $sgpr11
	s_branch .LBB7_1797
.LBB7_1789:
	s_mov_b32 s0, -1
                                        ; implicit-def: $sgpr11
	s_branch .LBB7_1794
.LBB7_1790:
	s_mov_b32 s0, -1
                                        ; implicit-def: $sgpr11
.LBB7_1791:
	s_delay_alu instid0(SALU_CYCLE_1)
	s_and_not1_b32 vcc_lo, exec_lo, s0
	s_cbranch_vccnz .LBB7_1793
; %bb.1792:
	global_load_b32 v1, v[20:21], off
	s_and_not1_b32 s0, s11, exec_lo
	s_wait_loadcnt 0x0
	v_cmp_ne_u32_e32 vcc_lo, 0, v1
	s_and_b32 s11, vcc_lo, exec_lo
	s_delay_alu instid0(SALU_CYCLE_1)
	s_or_b32 s11, s0, s11
.LBB7_1793:
	s_mov_b32 s0, 0
.LBB7_1794:
	s_delay_alu instid0(SALU_CYCLE_1)
	s_and_not1_b32 vcc_lo, exec_lo, s0
	s_cbranch_vccnz .LBB7_1796
; %bb.1795:
	global_load_u16 v1, v[20:21], off
	s_and_not1_b32 s0, s11, exec_lo
	s_wait_loadcnt 0x0
	v_cmp_ne_u16_e32 vcc_lo, 0, v1
	s_and_b32 s11, vcc_lo, exec_lo
	s_delay_alu instid0(SALU_CYCLE_1)
	s_or_b32 s11, s0, s11
.LBB7_1796:
	s_mov_b32 s0, 0
.LBB7_1797:
	s_delay_alu instid0(SALU_CYCLE_1)
	s_and_not1_b32 vcc_lo, exec_lo, s0
	s_cbranch_vccnz .LBB7_1803
; %bb.1798:
	s_cmp_gt_i32 s15, 0
	s_mov_b32 s0, 0
	s_cbranch_scc0 .LBB7_1800
; %bb.1799:
	global_load_u8 v1, v[20:21], off
	s_wait_loadcnt 0x0
	v_cmp_ne_u16_e64 s11, 0, v1
	s_branch .LBB7_1801
.LBB7_1800:
	s_mov_b32 s0, -1
                                        ; implicit-def: $sgpr11
.LBB7_1801:
	s_delay_alu instid0(SALU_CYCLE_1)
	s_and_not1_b32 vcc_lo, exec_lo, s0
	s_cbranch_vccnz .LBB7_1803
; %bb.1802:
	global_load_u8 v1, v[20:21], off
	s_and_not1_b32 s0, s11, exec_lo
	s_wait_loadcnt 0x0
	v_cmp_ne_u16_e32 vcc_lo, 0, v1
	s_and_b32 s11, vcc_lo, exec_lo
	s_delay_alu instid0(SALU_CYCLE_1)
	s_or_b32 s11, s0, s11
.LBB7_1803:
.LBB7_1804:
	s_and_b32 s18, 0xffff, s12
	s_delay_alu instid0(SALU_CYCLE_1)
	s_cmp_lt_i32 s18, 23
	s_cbranch_scc1 .LBB7_1808
; %bb.1805:
	s_cmp_gt_i32 s18, 43
	s_cbranch_scc0 .LBB7_1809
; %bb.1806:
	s_cmp_gt_i32 s18, 45
	s_cbranch_scc0 .LBB7_1810
; %bb.1807:
	s_cmp_lg_u32 s18, 46
	s_mov_b32 s15, 0
	s_mov_b32 s0, -1
	s_cselect_b32 s12, -1, 0
	s_branch .LBB7_1811
.LBB7_1808:
	s_mov_b32 s15, -1
	s_mov_b32 s0, 0
	s_mov_b32 s12, 0
	s_branch .LBB7_1817
.LBB7_1809:
	s_mov_b32 s15, -1
	s_mov_b32 s0, 0
	s_mov_b32 s12, 0
	s_branch .LBB7_1814
.LBB7_1810:
	s_mov_b32 s15, -1
	s_mov_b32 s0, 0
	s_mov_b32 s12, 0
.LBB7_1811:
	s_and_not1_b32 vcc_lo, exec_lo, s15
	s_cbranch_vccnz .LBB7_1813
; %bb.1812:
	s_cmp_eq_u32 s18, 44
	s_cselect_b32 s0, -1, 0
	s_cmp_lg_u32 s18, 44
	s_cselect_b32 s12, -1, 0
.LBB7_1813:
	s_mov_b32 s15, 0
.LBB7_1814:
	s_delay_alu instid0(SALU_CYCLE_1)
	s_and_b32 vcc_lo, exec_lo, s15
	s_cbranch_vccz .LBB7_1816
; %bb.1815:
	s_cmp_lt_i32 s18, 30
	s_cselect_b32 s0, -1, 0
	s_cmp_gt_i32 s18, 29
	s_cselect_b32 s12, -1, 0
.LBB7_1816:
	s_mov_b32 s15, 0
.LBB7_1817:
	s_delay_alu instid0(SALU_CYCLE_1)
	s_and_b32 vcc_lo, exec_lo, s15
	s_cbranch_vccz .LBB7_1822
; %bb.1818:
	s_cmp_gt_i32 s18, 14
	s_mov_b32 s15, -1
	s_cbranch_scc0 .LBB7_1820
; %bb.1819:
	s_cmp_eq_u32 s18, 15
	s_mov_b32 s15, 0
	s_cselect_b32 s0, -1, 0
	s_cmp_lg_u32 s18, 15
	s_cselect_b32 s12, -1, 0
.LBB7_1820:
	s_and_not1_b32 vcc_lo, exec_lo, s15
	s_cbranch_vccnz .LBB7_1822
; %bb.1821:
	s_cmp_lt_i32 s18, 12
	s_cselect_b32 s0, -1, 0
	s_cmp_gt_i32 s18, 11
	s_cselect_b32 s12, -1, 0
.LBB7_1822:
	s_delay_alu instid0(SALU_CYCLE_1)
	s_and_b32 vcc_lo, exec_lo, s12
	s_cbranch_vccnz .LBB7_1835
; %bb.1823:
	s_and_not1_b32 vcc_lo, exec_lo, s0
	s_cbranch_vccnz .LBB7_2984
.LBB7_1824:
	v_mov_b32_e32 v19, 0
	s_and_b32 s15, 0xffff, s13
	s_delay_alu instid0(SALU_CYCLE_1) | instskip(NEXT) | instid1(VALU_DEP_1)
	s_cmp_lt_i32 s15, 11
	v_add_nc_u64_e32 v[18:19], s[4:5], v[18:19]
	s_cbranch_scc1 .LBB7_1831
; %bb.1825:
	s_cmp_gt_i32 s15, 25
	s_mov_b32 s16, 0
	s_cbranch_scc0 .LBB7_1832
; %bb.1826:
	s_cmp_gt_i32 s15, 28
	s_cbranch_scc0 .LBB7_1833
; %bb.1827:
	s_cmp_gt_i32 s15, 43
	;; [unrolled: 3-line block ×3, first 2 shown]
	s_cbranch_scc0 .LBB7_1837
; %bb.1829:
	s_cmp_eq_u32 s15, 46
	s_mov_b32 s17, 0
	s_cbranch_scc0 .LBB7_1838
; %bb.1830:
	global_load_b32 v1, v[18:19], off
	s_mov_b32 s0, 0
	s_mov_b32 s13, -1
	s_wait_loadcnt 0x0
	v_and_b32_e32 v1, 0x7fff7fff, v1
	s_delay_alu instid0(VALU_DEP_1)
	v_cmp_ne_u32_e64 s12, 0, v1
	s_branch .LBB7_1840
.LBB7_1831:
	s_mov_b32 s0, -1
	s_mov_b32 s13, 0
                                        ; implicit-def: $sgpr12
	s_branch .LBB7_1888
.LBB7_1832:
	s_mov_b32 s17, -1
	s_mov_b32 s13, 0
	s_mov_b32 s0, 0
                                        ; implicit-def: $sgpr12
	s_branch .LBB7_1861
.LBB7_1833:
	s_mov_b32 s17, -1
	s_mov_b32 s13, 0
	s_mov_b32 s0, 0
                                        ; implicit-def: $sgpr12
	s_branch .LBB7_1848
.LBB7_1834:
	s_mov_b32 s16, 0
	s_or_b32 s1, s1, exec_lo
	s_trap 2
	s_cbranch_execz .LBB7_1754
	s_branch .LBB7_1755
.LBB7_1835:
	s_or_b32 s1, s1, exec_lo
	s_trap 2
	s_cbranch_execz .LBB7_1824
	s_branch .LBB7_2984
.LBB7_1836:
	s_mov_b32 s17, -1
	s_mov_b32 s13, 0
	s_mov_b32 s0, 0
                                        ; implicit-def: $sgpr12
	s_branch .LBB7_1843
.LBB7_1837:
	s_mov_b32 s17, -1
	s_mov_b32 s13, 0
	s_mov_b32 s0, 0
	s_branch .LBB7_1839
.LBB7_1838:
	s_mov_b32 s0, -1
	s_mov_b32 s13, 0
.LBB7_1839:
                                        ; implicit-def: $sgpr12
.LBB7_1840:
	s_and_b32 vcc_lo, exec_lo, s17
	s_cbranch_vccz .LBB7_1842
; %bb.1841:
	s_cmp_lg_u32 s15, 44
	s_mov_b32 s13, -1
	s_cselect_b32 s0, -1, 0
	s_or_b32 s12, s12, exec_lo
.LBB7_1842:
	s_mov_b32 s17, 0
.LBB7_1843:
	s_delay_alu instid0(SALU_CYCLE_1)
	s_and_b32 vcc_lo, exec_lo, s17
	s_cbranch_vccz .LBB7_1847
; %bb.1844:
	s_cmp_eq_u32 s15, 29
	s_cbranch_scc0 .LBB7_1846
; %bb.1845:
	global_load_b64 v[20:21], v[18:19], off
	s_mov_b32 s0, 0
	s_mov_b32 s13, -1
	s_mov_b32 s17, 0
	s_wait_loadcnt 0x0
	v_cmp_ne_u64_e64 s12, 0, v[20:21]
	s_branch .LBB7_1848
.LBB7_1846:
	s_mov_b32 s0, -1
                                        ; implicit-def: $sgpr12
.LBB7_1847:
	s_mov_b32 s17, 0
.LBB7_1848:
	s_delay_alu instid0(SALU_CYCLE_1)
	s_and_b32 vcc_lo, exec_lo, s17
	s_cbranch_vccz .LBB7_1860
; %bb.1849:
	s_cmp_lt_i32 s15, 27
	s_cbranch_scc1 .LBB7_1852
; %bb.1850:
	s_cmp_gt_i32 s15, 27
	s_cbranch_scc0 .LBB7_1853
; %bb.1851:
	global_load_b32 v1, v[18:19], off
	s_mov_b32 s13, 0
	s_wait_loadcnt 0x0
	v_cmp_ne_u32_e64 s12, 0, v1
	s_branch .LBB7_1854
.LBB7_1852:
	s_mov_b32 s13, -1
                                        ; implicit-def: $sgpr12
	s_branch .LBB7_1857
.LBB7_1853:
	s_mov_b32 s13, -1
                                        ; implicit-def: $sgpr12
.LBB7_1854:
	s_delay_alu instid0(SALU_CYCLE_1)
	s_and_not1_b32 vcc_lo, exec_lo, s13
	s_cbranch_vccnz .LBB7_1856
; %bb.1855:
	global_load_u16 v1, v[18:19], off
	s_and_not1_b32 s12, s12, exec_lo
	s_wait_loadcnt 0x0
	v_cmp_ne_u16_e32 vcc_lo, 0, v1
	s_and_b32 s13, vcc_lo, exec_lo
	s_delay_alu instid0(SALU_CYCLE_1)
	s_or_b32 s12, s12, s13
.LBB7_1856:
	s_mov_b32 s13, 0
.LBB7_1857:
	s_delay_alu instid0(SALU_CYCLE_1)
	s_and_not1_b32 vcc_lo, exec_lo, s13
	s_cbranch_vccnz .LBB7_1859
; %bb.1858:
	global_load_u8 v1, v[18:19], off
	s_and_not1_b32 s12, s12, exec_lo
	s_wait_loadcnt 0x0
	v_cmp_ne_u16_e32 vcc_lo, 0, v1
	s_and_b32 s13, vcc_lo, exec_lo
	s_delay_alu instid0(SALU_CYCLE_1)
	s_or_b32 s12, s12, s13
.LBB7_1859:
	s_mov_b32 s13, -1
.LBB7_1860:
	s_mov_b32 s17, 0
.LBB7_1861:
	s_delay_alu instid0(SALU_CYCLE_1)
	s_and_b32 vcc_lo, exec_lo, s17
	s_cbranch_vccz .LBB7_1884
; %bb.1862:
	s_cmp_gt_i32 s15, 22
	s_cbranch_scc0 .LBB7_1866
; %bb.1863:
	s_cmp_lt_i32 s15, 24
	s_cbranch_scc1 .LBB7_1867
; %bb.1864:
	s_cmp_gt_i32 s15, 24
	s_cbranch_scc0 .LBB7_1868
; %bb.1865:
	global_load_u8 v1, v[18:19], off
	s_mov_b32 s13, 0
	s_wait_loadcnt 0x0
	v_cmp_ne_u16_e64 s12, 0, v1
	s_branch .LBB7_1869
.LBB7_1866:
	s_mov_b32 s16, -1
                                        ; implicit-def: $sgpr12
	s_branch .LBB7_1875
.LBB7_1867:
	s_mov_b32 s13, -1
                                        ; implicit-def: $sgpr12
	s_branch .LBB7_1872
.LBB7_1868:
	s_mov_b32 s13, -1
                                        ; implicit-def: $sgpr12
.LBB7_1869:
	s_delay_alu instid0(SALU_CYCLE_1)
	s_and_not1_b32 vcc_lo, exec_lo, s13
	s_cbranch_vccnz .LBB7_1871
; %bb.1870:
	global_load_u8 v1, v[18:19], off
	s_and_not1_b32 s12, s12, exec_lo
	s_wait_loadcnt 0x0
	v_and_b32_e32 v1, 0x7f, v1
	s_delay_alu instid0(VALU_DEP_1) | instskip(SKIP_1) | instid1(SALU_CYCLE_1)
	v_cmp_ne_u16_e32 vcc_lo, 0, v1
	s_and_b32 s13, vcc_lo, exec_lo
	s_or_b32 s12, s12, s13
.LBB7_1871:
	s_mov_b32 s13, 0
.LBB7_1872:
	s_delay_alu instid0(SALU_CYCLE_1)
	s_and_not1_b32 vcc_lo, exec_lo, s13
	s_cbranch_vccnz .LBB7_1874
; %bb.1873:
	global_load_u8 v1, v[18:19], off
	s_and_not1_b32 s12, s12, exec_lo
	s_wait_loadcnt 0x0
	v_dual_lshlrev_b32 v3, 25, v1 :: v_dual_lshlrev_b32 v1, 8, v1
	s_delay_alu instid0(VALU_DEP_1) | instskip(NEXT) | instid1(VALU_DEP_2)
	v_cmp_gt_u32_e32 vcc_lo, 0x8000000, v3
	v_and_or_b32 v1, 0x7f00, v1, 0.5
	s_delay_alu instid0(VALU_DEP_1) | instskip(NEXT) | instid1(VALU_DEP_1)
	v_dual_lshrrev_b32 v5, 4, v3 :: v_dual_add_f32 v1, -0.5, v1
	v_or_b32_e32 v5, 0x70000000, v5
	s_delay_alu instid0(VALU_DEP_1) | instskip(NEXT) | instid1(VALU_DEP_1)
	v_mul_f32_e32 v5, 0x7800000, v5
	v_cndmask_b32_e32 v1, v5, v1, vcc_lo
	s_delay_alu instid0(VALU_DEP_1) | instskip(SKIP_1) | instid1(SALU_CYCLE_1)
	v_cmp_neq_f32_e32 vcc_lo, 0, v1
	s_and_b32 s13, vcc_lo, exec_lo
	s_or_b32 s12, s12, s13
.LBB7_1874:
	s_mov_b32 s13, -1
.LBB7_1875:
	s_and_not1_b32 vcc_lo, exec_lo, s16
	s_mov_b32 s16, 0
	s_cbranch_vccnz .LBB7_1884
; %bb.1876:
	s_cmp_gt_i32 s15, 14
	s_cbranch_scc0 .LBB7_1879
; %bb.1877:
	s_cmp_eq_u32 s15, 15
	s_cbranch_scc0 .LBB7_1880
; %bb.1878:
	global_load_u16 v1, v[18:19], off
	s_mov_b32 s0, 0
	s_mov_b32 s13, -1
	s_wait_loadcnt 0x0
	v_and_b32_e32 v1, 0x7fff, v1
	s_delay_alu instid0(VALU_DEP_1)
	v_cmp_ne_u16_e64 s12, 0, v1
	s_branch .LBB7_1882
.LBB7_1879:
	s_mov_b32 s16, -1
	s_branch .LBB7_1881
.LBB7_1880:
	s_mov_b32 s0, -1
.LBB7_1881:
                                        ; implicit-def: $sgpr12
.LBB7_1882:
	s_and_b32 vcc_lo, exec_lo, s16
	s_mov_b32 s16, 0
	s_cbranch_vccz .LBB7_1884
; %bb.1883:
	s_cmp_lg_u32 s15, 11
	s_mov_b32 s16, -1
	s_cselect_b32 s0, -1, 0
.LBB7_1884:
	s_delay_alu instid0(SALU_CYCLE_1)
	s_and_b32 vcc_lo, exec_lo, s0
	s_cbranch_vccnz .LBB7_1949
; %bb.1885:
	s_and_not1_b32 vcc_lo, exec_lo, s16
	s_cbranch_vccnz .LBB7_1887
.LBB7_1886:
	global_load_u8 v1, v[18:19], off
	s_and_not1_b32 s0, s12, exec_lo
	s_mov_b32 s13, -1
	s_wait_loadcnt 0x0
	v_cmp_ne_u16_e32 vcc_lo, 0, v1
	s_and_b32 s12, vcc_lo, exec_lo
	s_delay_alu instid0(SALU_CYCLE_1)
	s_or_b32 s12, s0, s12
.LBB7_1887:
	s_mov_b32 s0, 0
.LBB7_1888:
	s_delay_alu instid0(SALU_CYCLE_1)
	s_and_b32 vcc_lo, exec_lo, s0
	s_cbranch_vccz .LBB7_1937
; %bb.1889:
	s_cmp_lt_i32 s15, 5
	s_cbranch_scc1 .LBB7_1894
; %bb.1890:
	s_cmp_lt_i32 s15, 8
	s_cbranch_scc1 .LBB7_1895
	;; [unrolled: 3-line block ×3, first 2 shown]
; %bb.1892:
	s_cmp_gt_i32 s15, 9
	s_cbranch_scc0 .LBB7_1897
; %bb.1893:
	global_load_b128 v[20:23], v[18:19], off
	s_wait_loadcnt 0x0
	v_cmp_neq_f64_e32 vcc_lo, 0, v[20:21]
	v_cmp_neq_f64_e64 s0, 0, v[22:23]
	s_or_b32 s12, vcc_lo, s0
	s_mov_b32 s0, 0
	s_branch .LBB7_1898
.LBB7_1894:
	s_mov_b32 s0, -1
                                        ; implicit-def: $sgpr12
	s_branch .LBB7_1916
.LBB7_1895:
	s_mov_b32 s0, -1
                                        ; implicit-def: $sgpr12
	s_branch .LBB7_1904
.LBB7_1896:
	s_mov_b32 s0, -1
                                        ; implicit-def: $sgpr12
	s_branch .LBB7_1901
.LBB7_1897:
	s_mov_b32 s0, -1
                                        ; implicit-def: $sgpr12
.LBB7_1898:
	s_delay_alu instid0(SALU_CYCLE_1)
	s_and_not1_b32 vcc_lo, exec_lo, s0
	s_cbranch_vccnz .LBB7_1900
; %bb.1899:
	global_load_b64 v[20:21], v[18:19], off
	s_and_not1_b32 s0, s12, exec_lo
	s_wait_loadcnt 0x0
	v_bitop3_b32 v1, v20, 0x7fffffff, v21 bitop3:0xc8
	s_delay_alu instid0(VALU_DEP_1) | instskip(SKIP_1) | instid1(SALU_CYCLE_1)
	v_cmp_ne_u32_e32 vcc_lo, 0, v1
	s_and_b32 s12, vcc_lo, exec_lo
	s_or_b32 s12, s0, s12
.LBB7_1900:
	s_mov_b32 s0, 0
.LBB7_1901:
	s_delay_alu instid0(SALU_CYCLE_1)
	s_and_not1_b32 vcc_lo, exec_lo, s0
	s_cbranch_vccnz .LBB7_1903
; %bb.1902:
	global_load_b32 v1, v[18:19], off
	s_and_not1_b32 s0, s12, exec_lo
	s_wait_loadcnt 0x0
	v_and_b32_e32 v1, 0x7fff7fff, v1
	s_delay_alu instid0(VALU_DEP_1) | instskip(SKIP_1) | instid1(SALU_CYCLE_1)
	v_cmp_ne_u32_e32 vcc_lo, 0, v1
	s_and_b32 s12, vcc_lo, exec_lo
	s_or_b32 s12, s0, s12
.LBB7_1903:
	s_mov_b32 s0, 0
.LBB7_1904:
	s_delay_alu instid0(SALU_CYCLE_1)
	s_and_not1_b32 vcc_lo, exec_lo, s0
	s_cbranch_vccnz .LBB7_1915
; %bb.1905:
	s_cmp_lt_i32 s15, 6
	s_cbranch_scc1 .LBB7_1908
; %bb.1906:
	s_cmp_gt_i32 s15, 6
	s_cbranch_scc0 .LBB7_1909
; %bb.1907:
	global_load_b64 v[20:21], v[18:19], off
	s_mov_b32 s0, 0
	s_wait_loadcnt 0x0
	v_cmp_neq_f64_e64 s12, 0, v[20:21]
	s_branch .LBB7_1910
.LBB7_1908:
	s_mov_b32 s0, -1
                                        ; implicit-def: $sgpr12
	s_branch .LBB7_1913
.LBB7_1909:
	s_mov_b32 s0, -1
                                        ; implicit-def: $sgpr12
.LBB7_1910:
	s_delay_alu instid0(SALU_CYCLE_1)
	s_and_not1_b32 vcc_lo, exec_lo, s0
	s_cbranch_vccnz .LBB7_1912
; %bb.1911:
	global_load_b32 v1, v[18:19], off
	s_and_not1_b32 s0, s12, exec_lo
	s_wait_loadcnt 0x0
	v_cmp_neq_f32_e32 vcc_lo, 0, v1
	s_and_b32 s12, vcc_lo, exec_lo
	s_delay_alu instid0(SALU_CYCLE_1)
	s_or_b32 s12, s0, s12
.LBB7_1912:
	s_mov_b32 s0, 0
.LBB7_1913:
	s_delay_alu instid0(SALU_CYCLE_1)
	s_and_not1_b32 vcc_lo, exec_lo, s0
	s_cbranch_vccnz .LBB7_1915
; %bb.1914:
	global_load_u16 v1, v[18:19], off
	s_and_not1_b32 s0, s12, exec_lo
	s_wait_loadcnt 0x0
	v_and_b32_e32 v1, 0x7fff, v1
	s_delay_alu instid0(VALU_DEP_1) | instskip(SKIP_1) | instid1(SALU_CYCLE_1)
	v_cmp_ne_u16_e32 vcc_lo, 0, v1
	s_and_b32 s12, vcc_lo, exec_lo
	s_or_b32 s12, s0, s12
.LBB7_1915:
	s_mov_b32 s0, 0
.LBB7_1916:
	s_delay_alu instid0(SALU_CYCLE_1)
	s_and_not1_b32 vcc_lo, exec_lo, s0
	s_cbranch_vccnz .LBB7_1936
; %bb.1917:
	s_cmp_lt_i32 s15, 2
	s_cbranch_scc1 .LBB7_1921
; %bb.1918:
	s_cmp_lt_i32 s15, 3
	s_cbranch_scc1 .LBB7_1922
; %bb.1919:
	s_cmp_gt_i32 s15, 3
	s_cbranch_scc0 .LBB7_1923
; %bb.1920:
	global_load_b64 v[20:21], v[18:19], off
	s_mov_b32 s0, 0
	s_wait_loadcnt 0x0
	v_cmp_ne_u64_e64 s12, 0, v[20:21]
	s_branch .LBB7_1924
.LBB7_1921:
	s_mov_b32 s0, -1
                                        ; implicit-def: $sgpr12
	s_branch .LBB7_1930
.LBB7_1922:
	s_mov_b32 s0, -1
                                        ; implicit-def: $sgpr12
	s_branch .LBB7_1927
.LBB7_1923:
	s_mov_b32 s0, -1
                                        ; implicit-def: $sgpr12
.LBB7_1924:
	s_delay_alu instid0(SALU_CYCLE_1)
	s_and_not1_b32 vcc_lo, exec_lo, s0
	s_cbranch_vccnz .LBB7_1926
; %bb.1925:
	global_load_b32 v1, v[18:19], off
	s_and_not1_b32 s0, s12, exec_lo
	s_wait_loadcnt 0x0
	v_cmp_ne_u32_e32 vcc_lo, 0, v1
	s_and_b32 s12, vcc_lo, exec_lo
	s_delay_alu instid0(SALU_CYCLE_1)
	s_or_b32 s12, s0, s12
.LBB7_1926:
	s_mov_b32 s0, 0
.LBB7_1927:
	s_delay_alu instid0(SALU_CYCLE_1)
	s_and_not1_b32 vcc_lo, exec_lo, s0
	s_cbranch_vccnz .LBB7_1929
; %bb.1928:
	global_load_u16 v1, v[18:19], off
	s_and_not1_b32 s0, s12, exec_lo
	s_wait_loadcnt 0x0
	v_cmp_ne_u16_e32 vcc_lo, 0, v1
	s_and_b32 s12, vcc_lo, exec_lo
	s_delay_alu instid0(SALU_CYCLE_1)
	s_or_b32 s12, s0, s12
.LBB7_1929:
	s_mov_b32 s0, 0
.LBB7_1930:
	s_delay_alu instid0(SALU_CYCLE_1)
	s_and_not1_b32 vcc_lo, exec_lo, s0
	s_cbranch_vccnz .LBB7_1936
; %bb.1931:
	s_cmp_gt_i32 s15, 0
	s_mov_b32 s0, 0
	s_cbranch_scc0 .LBB7_1933
; %bb.1932:
	global_load_u8 v1, v[18:19], off
	s_wait_loadcnt 0x0
	v_cmp_ne_u16_e64 s12, 0, v1
	s_branch .LBB7_1934
.LBB7_1933:
	s_mov_b32 s0, -1
                                        ; implicit-def: $sgpr12
.LBB7_1934:
	s_delay_alu instid0(SALU_CYCLE_1)
	s_and_not1_b32 vcc_lo, exec_lo, s0
	s_cbranch_vccnz .LBB7_1936
; %bb.1935:
	global_load_u8 v1, v[18:19], off
	s_and_not1_b32 s0, s12, exec_lo
	s_wait_loadcnt 0x0
	v_cmp_ne_u16_e32 vcc_lo, 0, v1
	s_and_b32 s12, vcc_lo, exec_lo
	s_delay_alu instid0(SALU_CYCLE_1)
	s_or_b32 s12, s0, s12
.LBB7_1936:
	s_mov_b32 s13, -1
.LBB7_1937:
	s_delay_alu instid0(SALU_CYCLE_1)
	s_and_not1_b32 vcc_lo, exec_lo, s13
	s_cbranch_vccnz .LBB7_2984
; %bb.1938:
	v_mov_b32_e32 v17, 0
	s_and_b32 s16, 0xffff, s14
	s_delay_alu instid0(SALU_CYCLE_1) | instskip(NEXT) | instid1(VALU_DEP_1)
	s_cmp_lt_i32 s16, 11
	v_add_nc_u64_e32 v[16:17], s[6:7], v[16:17]
	s_cbranch_scc1 .LBB7_1945
; %bb.1939:
	s_cmp_gt_i32 s16, 25
	s_mov_b32 s17, 0
	s_cbranch_scc0 .LBB7_1946
; %bb.1940:
	s_cmp_gt_i32 s16, 28
	s_cbranch_scc0 .LBB7_1947
; %bb.1941:
	s_cmp_gt_i32 s16, 43
	;; [unrolled: 3-line block ×3, first 2 shown]
	s_cbranch_scc0 .LBB7_1950
; %bb.1943:
	s_cmp_eq_u32 s16, 46
	s_mov_b32 s19, 0
	s_cbranch_scc0 .LBB7_1951
; %bb.1944:
	global_load_b32 v1, v[16:17], off
	s_mov_b32 s0, 0
	s_mov_b32 s14, -1
	s_wait_loadcnt 0x0
	v_and_b32_e32 v1, 0x7fff7fff, v1
	s_delay_alu instid0(VALU_DEP_1)
	v_cmp_ne_u32_e64 s13, 0, v1
	s_branch .LBB7_1953
.LBB7_1945:
	s_mov_b32 s0, -1
	s_mov_b32 s14, 0
                                        ; implicit-def: $sgpr13
	s_branch .LBB7_2001
.LBB7_1946:
	s_mov_b32 s19, -1
	s_mov_b32 s14, 0
	s_mov_b32 s0, 0
                                        ; implicit-def: $sgpr13
	s_branch .LBB7_1974
.LBB7_1947:
	s_mov_b32 s19, -1
	s_mov_b32 s14, 0
	s_mov_b32 s0, 0
                                        ; implicit-def: $sgpr13
	s_branch .LBB7_1961
.LBB7_1948:
	s_mov_b32 s19, -1
	s_mov_b32 s14, 0
	s_mov_b32 s0, 0
                                        ; implicit-def: $sgpr13
	s_branch .LBB7_1956
.LBB7_1949:
	s_mov_b32 s13, 0
	s_or_b32 s1, s1, exec_lo
	s_trap 2
	s_cbranch_execz .LBB7_1886
	s_branch .LBB7_1887
.LBB7_1950:
	s_mov_b32 s19, -1
	s_mov_b32 s14, 0
	s_mov_b32 s0, 0
	s_branch .LBB7_1952
.LBB7_1951:
	s_mov_b32 s0, -1
	s_mov_b32 s14, 0
.LBB7_1952:
                                        ; implicit-def: $sgpr13
.LBB7_1953:
	s_and_b32 vcc_lo, exec_lo, s19
	s_cbranch_vccz .LBB7_1955
; %bb.1954:
	s_cmp_lg_u32 s16, 44
	s_mov_b32 s14, -1
	s_cselect_b32 s0, -1, 0
	s_or_b32 s13, s13, exec_lo
.LBB7_1955:
	s_mov_b32 s19, 0
.LBB7_1956:
	s_delay_alu instid0(SALU_CYCLE_1)
	s_and_b32 vcc_lo, exec_lo, s19
	s_cbranch_vccz .LBB7_1960
; %bb.1957:
	s_cmp_eq_u32 s16, 29
	s_cbranch_scc0 .LBB7_1959
; %bb.1958:
	global_load_b64 v[18:19], v[16:17], off
	s_mov_b32 s0, 0
	s_mov_b32 s14, -1
	s_mov_b32 s19, 0
	s_wait_loadcnt 0x0
	v_cmp_ne_u64_e64 s13, 0, v[18:19]
	s_branch .LBB7_1961
.LBB7_1959:
	s_mov_b32 s0, -1
                                        ; implicit-def: $sgpr13
.LBB7_1960:
	s_mov_b32 s19, 0
.LBB7_1961:
	s_delay_alu instid0(SALU_CYCLE_1)
	s_and_b32 vcc_lo, exec_lo, s19
	s_cbranch_vccz .LBB7_1973
; %bb.1962:
	s_cmp_lt_i32 s16, 27
	s_cbranch_scc1 .LBB7_1965
; %bb.1963:
	s_cmp_gt_i32 s16, 27
	s_cbranch_scc0 .LBB7_1966
; %bb.1964:
	global_load_b32 v1, v[16:17], off
	s_mov_b32 s14, 0
	s_wait_loadcnt 0x0
	v_cmp_ne_u32_e64 s13, 0, v1
	s_branch .LBB7_1967
.LBB7_1965:
	s_mov_b32 s14, -1
                                        ; implicit-def: $sgpr13
	s_branch .LBB7_1970
.LBB7_1966:
	s_mov_b32 s14, -1
                                        ; implicit-def: $sgpr13
.LBB7_1967:
	s_delay_alu instid0(SALU_CYCLE_1)
	s_and_not1_b32 vcc_lo, exec_lo, s14
	s_cbranch_vccnz .LBB7_1969
; %bb.1968:
	global_load_u16 v1, v[16:17], off
	s_and_not1_b32 s13, s13, exec_lo
	s_wait_loadcnt 0x0
	v_cmp_ne_u16_e32 vcc_lo, 0, v1
	s_and_b32 s14, vcc_lo, exec_lo
	s_delay_alu instid0(SALU_CYCLE_1)
	s_or_b32 s13, s13, s14
.LBB7_1969:
	s_mov_b32 s14, 0
.LBB7_1970:
	s_delay_alu instid0(SALU_CYCLE_1)
	s_and_not1_b32 vcc_lo, exec_lo, s14
	s_cbranch_vccnz .LBB7_1972
; %bb.1971:
	global_load_u8 v1, v[16:17], off
	s_and_not1_b32 s13, s13, exec_lo
	s_wait_loadcnt 0x0
	v_cmp_ne_u16_e32 vcc_lo, 0, v1
	s_and_b32 s14, vcc_lo, exec_lo
	s_delay_alu instid0(SALU_CYCLE_1)
	s_or_b32 s13, s13, s14
.LBB7_1972:
	s_mov_b32 s14, -1
.LBB7_1973:
	s_mov_b32 s19, 0
.LBB7_1974:
	s_delay_alu instid0(SALU_CYCLE_1)
	s_and_b32 vcc_lo, exec_lo, s19
	s_cbranch_vccz .LBB7_1997
; %bb.1975:
	s_cmp_gt_i32 s16, 22
	s_cbranch_scc0 .LBB7_1979
; %bb.1976:
	s_cmp_lt_i32 s16, 24
	s_cbranch_scc1 .LBB7_1980
; %bb.1977:
	s_cmp_gt_i32 s16, 24
	s_cbranch_scc0 .LBB7_1981
; %bb.1978:
	global_load_u8 v1, v[16:17], off
	s_mov_b32 s14, 0
	s_wait_loadcnt 0x0
	v_cmp_ne_u16_e64 s13, 0, v1
	s_branch .LBB7_1982
.LBB7_1979:
	s_mov_b32 s17, -1
                                        ; implicit-def: $sgpr13
	s_branch .LBB7_1988
.LBB7_1980:
	s_mov_b32 s14, -1
                                        ; implicit-def: $sgpr13
	s_branch .LBB7_1985
.LBB7_1981:
	s_mov_b32 s14, -1
                                        ; implicit-def: $sgpr13
.LBB7_1982:
	s_delay_alu instid0(SALU_CYCLE_1)
	s_and_not1_b32 vcc_lo, exec_lo, s14
	s_cbranch_vccnz .LBB7_1984
; %bb.1983:
	global_load_u8 v1, v[16:17], off
	s_and_not1_b32 s13, s13, exec_lo
	s_wait_loadcnt 0x0
	v_and_b32_e32 v1, 0x7f, v1
	s_delay_alu instid0(VALU_DEP_1) | instskip(SKIP_1) | instid1(SALU_CYCLE_1)
	v_cmp_ne_u16_e32 vcc_lo, 0, v1
	s_and_b32 s14, vcc_lo, exec_lo
	s_or_b32 s13, s13, s14
.LBB7_1984:
	s_mov_b32 s14, 0
.LBB7_1985:
	s_delay_alu instid0(SALU_CYCLE_1)
	s_and_not1_b32 vcc_lo, exec_lo, s14
	s_cbranch_vccnz .LBB7_1987
; %bb.1986:
	global_load_u8 v1, v[16:17], off
	s_and_not1_b32 s13, s13, exec_lo
	s_wait_loadcnt 0x0
	v_dual_lshlrev_b32 v3, 25, v1 :: v_dual_lshlrev_b32 v1, 8, v1
	s_delay_alu instid0(VALU_DEP_1) | instskip(NEXT) | instid1(VALU_DEP_2)
	v_cmp_gt_u32_e32 vcc_lo, 0x8000000, v3
	v_and_or_b32 v1, 0x7f00, v1, 0.5
	s_delay_alu instid0(VALU_DEP_1) | instskip(NEXT) | instid1(VALU_DEP_1)
	v_dual_lshrrev_b32 v5, 4, v3 :: v_dual_add_f32 v1, -0.5, v1
	v_or_b32_e32 v5, 0x70000000, v5
	s_delay_alu instid0(VALU_DEP_1) | instskip(NEXT) | instid1(VALU_DEP_1)
	v_mul_f32_e32 v5, 0x7800000, v5
	v_cndmask_b32_e32 v1, v5, v1, vcc_lo
	s_delay_alu instid0(VALU_DEP_1) | instskip(SKIP_1) | instid1(SALU_CYCLE_1)
	v_cmp_neq_f32_e32 vcc_lo, 0, v1
	s_and_b32 s14, vcc_lo, exec_lo
	s_or_b32 s13, s13, s14
.LBB7_1987:
	s_mov_b32 s14, -1
.LBB7_1988:
	s_and_not1_b32 vcc_lo, exec_lo, s17
	s_mov_b32 s17, 0
	s_cbranch_vccnz .LBB7_1997
; %bb.1989:
	s_cmp_gt_i32 s16, 14
	s_cbranch_scc0 .LBB7_1992
; %bb.1990:
	s_cmp_eq_u32 s16, 15
	s_cbranch_scc0 .LBB7_1993
; %bb.1991:
	global_load_u16 v1, v[16:17], off
	s_mov_b32 s0, 0
	s_mov_b32 s14, -1
	s_wait_loadcnt 0x0
	v_and_b32_e32 v1, 0x7fff, v1
	s_delay_alu instid0(VALU_DEP_1)
	v_cmp_ne_u16_e64 s13, 0, v1
	s_branch .LBB7_1995
.LBB7_1992:
	s_mov_b32 s17, -1
	s_branch .LBB7_1994
.LBB7_1993:
	s_mov_b32 s0, -1
.LBB7_1994:
                                        ; implicit-def: $sgpr13
.LBB7_1995:
	s_and_b32 vcc_lo, exec_lo, s17
	s_mov_b32 s17, 0
	s_cbranch_vccz .LBB7_1997
; %bb.1996:
	s_cmp_lg_u32 s16, 11
	s_mov_b32 s17, -1
	s_cselect_b32 s0, -1, 0
.LBB7_1997:
	s_delay_alu instid0(SALU_CYCLE_1)
	s_and_b32 vcc_lo, exec_lo, s0
	s_cbranch_vccnz .LBB7_2081
; %bb.1998:
	s_and_not1_b32 vcc_lo, exec_lo, s17
	s_cbranch_vccnz .LBB7_2000
.LBB7_1999:
	global_load_u8 v1, v[16:17], off
	s_and_not1_b32 s0, s13, exec_lo
	s_mov_b32 s14, -1
	s_wait_loadcnt 0x0
	v_cmp_ne_u16_e32 vcc_lo, 0, v1
	s_and_b32 s13, vcc_lo, exec_lo
	s_delay_alu instid0(SALU_CYCLE_1)
	s_or_b32 s13, s0, s13
.LBB7_2000:
	s_mov_b32 s0, 0
.LBB7_2001:
	s_delay_alu instid0(SALU_CYCLE_1)
	s_and_b32 vcc_lo, exec_lo, s0
	s_cbranch_vccz .LBB7_2050
; %bb.2002:
	s_cmp_lt_i32 s16, 5
	s_cbranch_scc1 .LBB7_2007
; %bb.2003:
	s_cmp_lt_i32 s16, 8
	s_cbranch_scc1 .LBB7_2008
	;; [unrolled: 3-line block ×3, first 2 shown]
; %bb.2005:
	s_cmp_gt_i32 s16, 9
	s_cbranch_scc0 .LBB7_2010
; %bb.2006:
	global_load_b128 v[18:21], v[16:17], off
	s_wait_loadcnt 0x0
	v_cmp_neq_f64_e32 vcc_lo, 0, v[18:19]
	v_cmp_neq_f64_e64 s0, 0, v[20:21]
	s_or_b32 s13, vcc_lo, s0
	s_mov_b32 s0, 0
	s_branch .LBB7_2011
.LBB7_2007:
	s_mov_b32 s0, -1
                                        ; implicit-def: $sgpr13
	s_branch .LBB7_2029
.LBB7_2008:
	s_mov_b32 s0, -1
                                        ; implicit-def: $sgpr13
	s_branch .LBB7_2017
.LBB7_2009:
	s_mov_b32 s0, -1
                                        ; implicit-def: $sgpr13
	s_branch .LBB7_2014
.LBB7_2010:
	s_mov_b32 s0, -1
                                        ; implicit-def: $sgpr13
.LBB7_2011:
	s_delay_alu instid0(SALU_CYCLE_1)
	s_and_not1_b32 vcc_lo, exec_lo, s0
	s_cbranch_vccnz .LBB7_2013
; %bb.2012:
	global_load_b64 v[18:19], v[16:17], off
	s_and_not1_b32 s0, s13, exec_lo
	s_wait_loadcnt 0x0
	v_bitop3_b32 v1, v18, 0x7fffffff, v19 bitop3:0xc8
	s_delay_alu instid0(VALU_DEP_1) | instskip(SKIP_1) | instid1(SALU_CYCLE_1)
	v_cmp_ne_u32_e32 vcc_lo, 0, v1
	s_and_b32 s13, vcc_lo, exec_lo
	s_or_b32 s13, s0, s13
.LBB7_2013:
	s_mov_b32 s0, 0
.LBB7_2014:
	s_delay_alu instid0(SALU_CYCLE_1)
	s_and_not1_b32 vcc_lo, exec_lo, s0
	s_cbranch_vccnz .LBB7_2016
; %bb.2015:
	global_load_b32 v1, v[16:17], off
	s_and_not1_b32 s0, s13, exec_lo
	s_wait_loadcnt 0x0
	v_and_b32_e32 v1, 0x7fff7fff, v1
	s_delay_alu instid0(VALU_DEP_1) | instskip(SKIP_1) | instid1(SALU_CYCLE_1)
	v_cmp_ne_u32_e32 vcc_lo, 0, v1
	s_and_b32 s13, vcc_lo, exec_lo
	s_or_b32 s13, s0, s13
.LBB7_2016:
	s_mov_b32 s0, 0
.LBB7_2017:
	s_delay_alu instid0(SALU_CYCLE_1)
	s_and_not1_b32 vcc_lo, exec_lo, s0
	s_cbranch_vccnz .LBB7_2028
; %bb.2018:
	s_cmp_lt_i32 s16, 6
	s_cbranch_scc1 .LBB7_2021
; %bb.2019:
	s_cmp_gt_i32 s16, 6
	s_cbranch_scc0 .LBB7_2022
; %bb.2020:
	global_load_b64 v[18:19], v[16:17], off
	s_mov_b32 s0, 0
	s_wait_loadcnt 0x0
	v_cmp_neq_f64_e64 s13, 0, v[18:19]
	s_branch .LBB7_2023
.LBB7_2021:
	s_mov_b32 s0, -1
                                        ; implicit-def: $sgpr13
	s_branch .LBB7_2026
.LBB7_2022:
	s_mov_b32 s0, -1
                                        ; implicit-def: $sgpr13
.LBB7_2023:
	s_delay_alu instid0(SALU_CYCLE_1)
	s_and_not1_b32 vcc_lo, exec_lo, s0
	s_cbranch_vccnz .LBB7_2025
; %bb.2024:
	global_load_b32 v1, v[16:17], off
	s_and_not1_b32 s0, s13, exec_lo
	s_wait_loadcnt 0x0
	v_cmp_neq_f32_e32 vcc_lo, 0, v1
	s_and_b32 s13, vcc_lo, exec_lo
	s_delay_alu instid0(SALU_CYCLE_1)
	s_or_b32 s13, s0, s13
.LBB7_2025:
	s_mov_b32 s0, 0
.LBB7_2026:
	s_delay_alu instid0(SALU_CYCLE_1)
	s_and_not1_b32 vcc_lo, exec_lo, s0
	s_cbranch_vccnz .LBB7_2028
; %bb.2027:
	global_load_u16 v1, v[16:17], off
	s_and_not1_b32 s0, s13, exec_lo
	s_wait_loadcnt 0x0
	v_and_b32_e32 v1, 0x7fff, v1
	s_delay_alu instid0(VALU_DEP_1) | instskip(SKIP_1) | instid1(SALU_CYCLE_1)
	v_cmp_ne_u16_e32 vcc_lo, 0, v1
	s_and_b32 s13, vcc_lo, exec_lo
	s_or_b32 s13, s0, s13
.LBB7_2028:
	s_mov_b32 s0, 0
.LBB7_2029:
	s_delay_alu instid0(SALU_CYCLE_1)
	s_and_not1_b32 vcc_lo, exec_lo, s0
	s_cbranch_vccnz .LBB7_2049
; %bb.2030:
	s_cmp_lt_i32 s16, 2
	s_cbranch_scc1 .LBB7_2034
; %bb.2031:
	s_cmp_lt_i32 s16, 3
	s_cbranch_scc1 .LBB7_2035
; %bb.2032:
	s_cmp_gt_i32 s16, 3
	s_cbranch_scc0 .LBB7_2036
; %bb.2033:
	global_load_b64 v[18:19], v[16:17], off
	s_mov_b32 s0, 0
	s_wait_loadcnt 0x0
	v_cmp_ne_u64_e64 s13, 0, v[18:19]
	s_branch .LBB7_2037
.LBB7_2034:
	s_mov_b32 s0, -1
                                        ; implicit-def: $sgpr13
	s_branch .LBB7_2043
.LBB7_2035:
	s_mov_b32 s0, -1
                                        ; implicit-def: $sgpr13
	s_branch .LBB7_2040
.LBB7_2036:
	s_mov_b32 s0, -1
                                        ; implicit-def: $sgpr13
.LBB7_2037:
	s_delay_alu instid0(SALU_CYCLE_1)
	s_and_not1_b32 vcc_lo, exec_lo, s0
	s_cbranch_vccnz .LBB7_2039
; %bb.2038:
	global_load_b32 v1, v[16:17], off
	s_and_not1_b32 s0, s13, exec_lo
	s_wait_loadcnt 0x0
	v_cmp_ne_u32_e32 vcc_lo, 0, v1
	s_and_b32 s13, vcc_lo, exec_lo
	s_delay_alu instid0(SALU_CYCLE_1)
	s_or_b32 s13, s0, s13
.LBB7_2039:
	s_mov_b32 s0, 0
.LBB7_2040:
	s_delay_alu instid0(SALU_CYCLE_1)
	s_and_not1_b32 vcc_lo, exec_lo, s0
	s_cbranch_vccnz .LBB7_2042
; %bb.2041:
	global_load_u16 v1, v[16:17], off
	s_and_not1_b32 s0, s13, exec_lo
	s_wait_loadcnt 0x0
	v_cmp_ne_u16_e32 vcc_lo, 0, v1
	s_and_b32 s13, vcc_lo, exec_lo
	s_delay_alu instid0(SALU_CYCLE_1)
	s_or_b32 s13, s0, s13
.LBB7_2042:
	s_mov_b32 s0, 0
.LBB7_2043:
	s_delay_alu instid0(SALU_CYCLE_1)
	s_and_not1_b32 vcc_lo, exec_lo, s0
	s_cbranch_vccnz .LBB7_2049
; %bb.2044:
	s_cmp_gt_i32 s16, 0
	s_mov_b32 s0, 0
	s_cbranch_scc0 .LBB7_2046
; %bb.2045:
	global_load_u8 v1, v[16:17], off
	s_wait_loadcnt 0x0
	v_cmp_ne_u16_e64 s13, 0, v1
	s_branch .LBB7_2047
.LBB7_2046:
	s_mov_b32 s0, -1
                                        ; implicit-def: $sgpr13
.LBB7_2047:
	s_delay_alu instid0(SALU_CYCLE_1)
	s_and_not1_b32 vcc_lo, exec_lo, s0
	s_cbranch_vccnz .LBB7_2049
; %bb.2048:
	global_load_u8 v1, v[16:17], off
	s_and_not1_b32 s0, s13, exec_lo
	s_wait_loadcnt 0x0
	v_cmp_ne_u16_e32 vcc_lo, 0, v1
	s_and_b32 s13, vcc_lo, exec_lo
	s_delay_alu instid0(SALU_CYCLE_1)
	s_or_b32 s13, s0, s13
.LBB7_2049:
	s_mov_b32 s14, -1
.LBB7_2050:
	s_delay_alu instid0(SALU_CYCLE_1)
	s_and_not1_b32 vcc_lo, exec_lo, s14
	s_cbranch_vccnz .LBB7_2984
; %bb.2051:
	s_cmp_lt_i32 s18, 23
	s_cbranch_scc1 .LBB7_2055
; %bb.2052:
	s_cmp_gt_i32 s18, 43
	s_cbranch_scc0 .LBB7_2056
; %bb.2053:
	s_cmp_gt_i32 s18, 45
	s_cbranch_scc0 .LBB7_2057
; %bb.2054:
	s_cmp_lg_u32 s18, 46
	s_mov_b32 s17, 0
	s_mov_b32 s0, -1
	s_cselect_b32 s14, -1, 0
	s_branch .LBB7_2058
.LBB7_2055:
	s_mov_b32 s17, -1
	s_mov_b32 s0, 0
	s_mov_b32 s14, 0
	s_branch .LBB7_2064
.LBB7_2056:
	s_mov_b32 s17, -1
	s_mov_b32 s0, 0
	s_mov_b32 s14, 0
	s_branch .LBB7_2061
.LBB7_2057:
	s_mov_b32 s17, -1
	s_mov_b32 s0, 0
	s_mov_b32 s14, 0
.LBB7_2058:
	s_and_not1_b32 vcc_lo, exec_lo, s17
	s_cbranch_vccnz .LBB7_2060
; %bb.2059:
	s_cmp_eq_u32 s18, 44
	s_cselect_b32 s0, -1, 0
	s_cmp_lg_u32 s18, 44
	s_cselect_b32 s14, -1, 0
.LBB7_2060:
	s_mov_b32 s17, 0
.LBB7_2061:
	s_delay_alu instid0(SALU_CYCLE_1)
	s_and_b32 vcc_lo, exec_lo, s17
	s_cbranch_vccz .LBB7_2063
; %bb.2062:
	s_cmp_lt_i32 s18, 30
	s_cselect_b32 s0, -1, 0
	s_cmp_gt_i32 s18, 29
	s_cselect_b32 s14, -1, 0
.LBB7_2063:
	s_mov_b32 s17, 0
.LBB7_2064:
	s_delay_alu instid0(SALU_CYCLE_1)
	s_and_b32 vcc_lo, exec_lo, s17
	s_cbranch_vccz .LBB7_2069
; %bb.2065:
	s_cmp_gt_i32 s18, 14
	s_mov_b32 s17, -1
	s_cbranch_scc0 .LBB7_2067
; %bb.2066:
	s_cmp_eq_u32 s18, 15
	s_mov_b32 s17, 0
	s_cselect_b32 s0, -1, 0
	s_cmp_lg_u32 s18, 15
	s_cselect_b32 s14, -1, 0
.LBB7_2067:
	s_and_not1_b32 vcc_lo, exec_lo, s17
	s_cbranch_vccnz .LBB7_2069
; %bb.2068:
	s_cmp_lt_i32 s18, 12
	s_cselect_b32 s0, -1, 0
	s_cmp_gt_i32 s18, 11
	s_cselect_b32 s14, -1, 0
.LBB7_2069:
	s_delay_alu instid0(SALU_CYCLE_1)
	s_and_b32 vcc_lo, exec_lo, s14
	s_cbranch_vccnz .LBB7_2082
; %bb.2070:
	s_and_not1_b32 vcc_lo, exec_lo, s0
	s_cbranch_vccnz .LBB7_2984
.LBB7_2071:
	v_mov_b32_e32 v15, 0
	s_cmp_lt_i32 s15, 11
	s_delay_alu instid0(VALU_DEP_1)
	v_add_nc_u64_e32 v[14:15], s[4:5], v[14:15]
	s_cbranch_scc1 .LBB7_2078
; %bb.2072:
	s_cmp_gt_i32 s15, 25
	s_mov_b32 s19, 0
	s_cbranch_scc0 .LBB7_2079
; %bb.2073:
	s_cmp_gt_i32 s15, 28
	s_cbranch_scc0 .LBB7_2080
; %bb.2074:
	s_cmp_gt_i32 s15, 43
	;; [unrolled: 3-line block ×3, first 2 shown]
	s_cbranch_scc0 .LBB7_2088
; %bb.2076:
	s_cmp_eq_u32 s15, 46
	s_mov_b32 s20, 0
	s_cbranch_scc0 .LBB7_2091
; %bb.2077:
	global_load_b32 v1, v[14:15], off
	s_mov_b32 s0, 0
	s_mov_b32 s17, -1
	s_wait_loadcnt 0x0
	v_and_b32_e32 v1, 0x7fff7fff, v1
	s_delay_alu instid0(VALU_DEP_1)
	v_cmp_ne_u32_e64 s14, 0, v1
	s_branch .LBB7_2093
.LBB7_2078:
	s_mov_b32 s0, -1
	s_mov_b32 s17, 0
                                        ; implicit-def: $sgpr14
	s_branch .LBB7_2141
.LBB7_2079:
	s_mov_b32 s20, -1
	s_mov_b32 s17, 0
	s_mov_b32 s0, 0
                                        ; implicit-def: $sgpr14
	s_branch .LBB7_2114
.LBB7_2080:
	s_mov_b32 s20, -1
	s_mov_b32 s17, 0
	s_mov_b32 s0, 0
                                        ; implicit-def: $sgpr14
	s_branch .LBB7_2101
.LBB7_2081:
	s_mov_b32 s14, 0
	s_or_b32 s1, s1, exec_lo
	s_trap 2
	s_cbranch_execz .LBB7_1999
	s_branch .LBB7_2000
.LBB7_2082:
	s_or_b32 s1, s1, exec_lo
	s_trap 2
	s_cbranch_execz .LBB7_2071
	s_branch .LBB7_2984
.LBB7_2083:
	s_mov_b32 s20, -1
	s_mov_b32 s17, 0
	s_mov_b32 s0, 0
                                        ; implicit-def: $sgpr14
	s_branch .LBB7_2096
.LBB7_2084:
	v_bfe_u32 v1, v4, 21, 1
	s_mov_b32 s49, exec_lo
	s_delay_alu instid0(VALU_DEP_1) | instskip(NEXT) | instid1(VALU_DEP_1)
	v_add3_u32 v1, v4, v1, 0x88fffff
                                        ; implicit-def: $vgpr4
	v_lshrrev_b32_e32 v1, 21, v1
	s_and_not1_saveexec_b32 s50, s50
	s_cbranch_execz .LBB7_677
.LBB7_2085:
	v_add_f32_e32 v1, 0x42800000, v4
	s_and_not1_b32 s49, s49, exec_lo
	s_delay_alu instid0(VALU_DEP_1) | instskip(NEXT) | instid1(VALU_DEP_1)
	v_and_b32_e32 v1, 0xff, v1
	v_cmp_ne_u32_e32 vcc_lo, 0, v1
	s_and_b32 s52, vcc_lo, exec_lo
	s_delay_alu instid0(SALU_CYCLE_1)
	s_or_b32 s49, s49, s52
	s_or_b32 exec_lo, exec_lo, s50
	v_mov_b32_e32 v5, 0
	s_and_saveexec_b32 s50, s49
	s_cbranch_execnz .LBB7_678
	s_branch .LBB7_679
.LBB7_2086:
	v_bfe_u32 v1, v4, 20, 1
	s_mov_b32 s55, exec_lo
	s_delay_alu instid0(VALU_DEP_1) | instskip(NEXT) | instid1(VALU_DEP_1)
	v_add3_u32 v1, v4, v1, 0x487ffff
                                        ; implicit-def: $vgpr4
	v_lshrrev_b32_e32 v1, 20, v1
	s_and_not1_saveexec_b32 s56, s56
	s_cbranch_execz .LBB7_1047
.LBB7_2087:
	v_add_f32_e32 v1, 0x46000000, v4
	s_and_not1_b32 s55, s55, exec_lo
	s_delay_alu instid0(VALU_DEP_1) | instskip(NEXT) | instid1(VALU_DEP_1)
	v_and_b32_e32 v1, 0xff, v1
	v_cmp_ne_u32_e32 vcc_lo, 0, v1
	s_and_b32 s57, vcc_lo, exec_lo
	s_delay_alu instid0(SALU_CYCLE_1)
	s_or_b32 s55, s55, s57
	s_or_b32 exec_lo, exec_lo, s56
	v_mov_b32_e32 v5, 0
	s_and_saveexec_b32 s56, s55
	s_cbranch_execnz .LBB7_1048
	s_branch .LBB7_1049
.LBB7_2088:
	s_mov_b32 s20, -1
	s_mov_b32 s17, 0
	s_mov_b32 s0, 0
	s_branch .LBB7_2092
.LBB7_2089:
	v_bfe_u32 v1, v4, 21, 1
	s_mov_b32 s55, exec_lo
	s_delay_alu instid0(VALU_DEP_1) | instskip(NEXT) | instid1(VALU_DEP_1)
	v_add3_u32 v1, v4, v1, 0x88fffff
                                        ; implicit-def: $vgpr4
	v_lshrrev_b32_e32 v1, 21, v1
	s_and_not1_saveexec_b32 s56, s56
	s_cbranch_execz .LBB7_1060
.LBB7_2090:
	v_add_f32_e32 v1, 0x42800000, v4
	s_and_not1_b32 s55, s55, exec_lo
	s_delay_alu instid0(VALU_DEP_1) | instskip(NEXT) | instid1(VALU_DEP_1)
	v_and_b32_e32 v1, 0xff, v1
	v_cmp_ne_u32_e32 vcc_lo, 0, v1
	s_and_b32 s57, vcc_lo, exec_lo
	s_delay_alu instid0(SALU_CYCLE_1)
	s_or_b32 s55, s55, s57
	s_or_b32 exec_lo, exec_lo, s56
	v_mov_b32_e32 v5, 0
	s_and_saveexec_b32 s56, s55
	s_cbranch_execnz .LBB7_1061
	s_branch .LBB7_1062
.LBB7_2091:
	s_mov_b32 s0, -1
	s_mov_b32 s17, 0
.LBB7_2092:
                                        ; implicit-def: $sgpr14
.LBB7_2093:
	s_and_b32 vcc_lo, exec_lo, s20
	s_cbranch_vccz .LBB7_2095
; %bb.2094:
	s_cmp_lg_u32 s15, 44
	s_mov_b32 s17, -1
	s_cselect_b32 s0, -1, 0
	s_or_b32 s14, s14, exec_lo
.LBB7_2095:
	s_mov_b32 s20, 0
.LBB7_2096:
	s_delay_alu instid0(SALU_CYCLE_1)
	s_and_b32 vcc_lo, exec_lo, s20
	s_cbranch_vccz .LBB7_2100
; %bb.2097:
	s_cmp_eq_u32 s15, 29
	s_cbranch_scc0 .LBB7_2099
; %bb.2098:
	global_load_b64 v[16:17], v[14:15], off
	s_mov_b32 s0, 0
	s_mov_b32 s17, -1
	s_mov_b32 s20, 0
	s_wait_loadcnt 0x0
	v_cmp_ne_u64_e64 s14, 0, v[16:17]
	s_branch .LBB7_2101
.LBB7_2099:
	s_mov_b32 s0, -1
                                        ; implicit-def: $sgpr14
.LBB7_2100:
	s_mov_b32 s20, 0
.LBB7_2101:
	s_delay_alu instid0(SALU_CYCLE_1)
	s_and_b32 vcc_lo, exec_lo, s20
	s_cbranch_vccz .LBB7_2113
; %bb.2102:
	s_cmp_lt_i32 s15, 27
	s_cbranch_scc1 .LBB7_2105
; %bb.2103:
	s_cmp_gt_i32 s15, 27
	s_cbranch_scc0 .LBB7_2106
; %bb.2104:
	global_load_b32 v1, v[14:15], off
	s_mov_b32 s17, 0
	s_wait_loadcnt 0x0
	v_cmp_ne_u32_e64 s14, 0, v1
	s_branch .LBB7_2107
.LBB7_2105:
	s_mov_b32 s17, -1
                                        ; implicit-def: $sgpr14
	s_branch .LBB7_2110
.LBB7_2106:
	s_mov_b32 s17, -1
                                        ; implicit-def: $sgpr14
.LBB7_2107:
	s_delay_alu instid0(SALU_CYCLE_1)
	s_and_not1_b32 vcc_lo, exec_lo, s17
	s_cbranch_vccnz .LBB7_2109
; %bb.2108:
	global_load_u16 v1, v[14:15], off
	s_and_not1_b32 s14, s14, exec_lo
	s_wait_loadcnt 0x0
	v_cmp_ne_u16_e32 vcc_lo, 0, v1
	s_and_b32 s17, vcc_lo, exec_lo
	s_delay_alu instid0(SALU_CYCLE_1)
	s_or_b32 s14, s14, s17
.LBB7_2109:
	s_mov_b32 s17, 0
.LBB7_2110:
	s_delay_alu instid0(SALU_CYCLE_1)
	s_and_not1_b32 vcc_lo, exec_lo, s17
	s_cbranch_vccnz .LBB7_2112
; %bb.2111:
	global_load_u8 v1, v[14:15], off
	s_and_not1_b32 s14, s14, exec_lo
	s_wait_loadcnt 0x0
	v_cmp_ne_u16_e32 vcc_lo, 0, v1
	s_and_b32 s17, vcc_lo, exec_lo
	s_delay_alu instid0(SALU_CYCLE_1)
	s_or_b32 s14, s14, s17
.LBB7_2112:
	s_mov_b32 s17, -1
.LBB7_2113:
	s_mov_b32 s20, 0
.LBB7_2114:
	s_delay_alu instid0(SALU_CYCLE_1)
	s_and_b32 vcc_lo, exec_lo, s20
	s_cbranch_vccz .LBB7_2137
; %bb.2115:
	s_cmp_gt_i32 s15, 22
	s_cbranch_scc0 .LBB7_2119
; %bb.2116:
	s_cmp_lt_i32 s15, 24
	s_cbranch_scc1 .LBB7_2120
; %bb.2117:
	s_cmp_gt_i32 s15, 24
	s_cbranch_scc0 .LBB7_2121
; %bb.2118:
	global_load_u8 v1, v[14:15], off
	s_mov_b32 s17, 0
	s_wait_loadcnt 0x0
	v_cmp_ne_u16_e64 s14, 0, v1
	s_branch .LBB7_2122
.LBB7_2119:
	s_mov_b32 s19, -1
                                        ; implicit-def: $sgpr14
	s_branch .LBB7_2128
.LBB7_2120:
	s_mov_b32 s17, -1
                                        ; implicit-def: $sgpr14
	s_branch .LBB7_2125
.LBB7_2121:
	s_mov_b32 s17, -1
                                        ; implicit-def: $sgpr14
.LBB7_2122:
	s_delay_alu instid0(SALU_CYCLE_1)
	s_and_not1_b32 vcc_lo, exec_lo, s17
	s_cbranch_vccnz .LBB7_2124
; %bb.2123:
	global_load_u8 v1, v[14:15], off
	s_and_not1_b32 s14, s14, exec_lo
	s_wait_loadcnt 0x0
	v_and_b32_e32 v1, 0x7f, v1
	s_delay_alu instid0(VALU_DEP_1) | instskip(SKIP_1) | instid1(SALU_CYCLE_1)
	v_cmp_ne_u16_e32 vcc_lo, 0, v1
	s_and_b32 s17, vcc_lo, exec_lo
	s_or_b32 s14, s14, s17
.LBB7_2124:
	s_mov_b32 s17, 0
.LBB7_2125:
	s_delay_alu instid0(SALU_CYCLE_1)
	s_and_not1_b32 vcc_lo, exec_lo, s17
	s_cbranch_vccnz .LBB7_2127
; %bb.2126:
	global_load_u8 v1, v[14:15], off
	s_and_not1_b32 s14, s14, exec_lo
	s_wait_loadcnt 0x0
	v_dual_lshlrev_b32 v3, 25, v1 :: v_dual_lshlrev_b32 v1, 8, v1
	s_delay_alu instid0(VALU_DEP_1) | instskip(NEXT) | instid1(VALU_DEP_2)
	v_cmp_gt_u32_e32 vcc_lo, 0x8000000, v3
	v_and_or_b32 v1, 0x7f00, v1, 0.5
	s_delay_alu instid0(VALU_DEP_1) | instskip(NEXT) | instid1(VALU_DEP_1)
	v_dual_lshrrev_b32 v5, 4, v3 :: v_dual_add_f32 v1, -0.5, v1
	v_or_b32_e32 v5, 0x70000000, v5
	s_delay_alu instid0(VALU_DEP_1) | instskip(NEXT) | instid1(VALU_DEP_1)
	v_mul_f32_e32 v5, 0x7800000, v5
	v_cndmask_b32_e32 v1, v5, v1, vcc_lo
	s_delay_alu instid0(VALU_DEP_1) | instskip(SKIP_1) | instid1(SALU_CYCLE_1)
	v_cmp_neq_f32_e32 vcc_lo, 0, v1
	s_and_b32 s17, vcc_lo, exec_lo
	s_or_b32 s14, s14, s17
.LBB7_2127:
	s_mov_b32 s17, -1
.LBB7_2128:
	s_and_not1_b32 vcc_lo, exec_lo, s19
	s_mov_b32 s19, 0
	s_cbranch_vccnz .LBB7_2137
; %bb.2129:
	s_cmp_gt_i32 s15, 14
	s_cbranch_scc0 .LBB7_2132
; %bb.2130:
	s_cmp_eq_u32 s15, 15
	s_cbranch_scc0 .LBB7_2133
; %bb.2131:
	global_load_u16 v1, v[14:15], off
	s_mov_b32 s0, 0
	s_mov_b32 s17, -1
	s_wait_loadcnt 0x0
	v_and_b32_e32 v1, 0x7fff, v1
	s_delay_alu instid0(VALU_DEP_1)
	v_cmp_ne_u16_e64 s14, 0, v1
	s_branch .LBB7_2135
.LBB7_2132:
	s_mov_b32 s19, -1
	s_branch .LBB7_2134
.LBB7_2133:
	s_mov_b32 s0, -1
.LBB7_2134:
                                        ; implicit-def: $sgpr14
.LBB7_2135:
	s_and_b32 vcc_lo, exec_lo, s19
	s_mov_b32 s19, 0
	s_cbranch_vccz .LBB7_2137
; %bb.2136:
	s_cmp_lg_u32 s15, 11
	s_mov_b32 s19, -1
	s_cselect_b32 s0, -1, 0
.LBB7_2137:
	s_delay_alu instid0(SALU_CYCLE_1)
	s_and_b32 vcc_lo, exec_lo, s0
	s_cbranch_vccnz .LBB7_2202
; %bb.2138:
	s_and_not1_b32 vcc_lo, exec_lo, s19
	s_cbranch_vccnz .LBB7_2140
.LBB7_2139:
	global_load_u8 v1, v[14:15], off
	s_and_not1_b32 s0, s14, exec_lo
	s_mov_b32 s17, -1
	s_wait_loadcnt 0x0
	v_cmp_ne_u16_e32 vcc_lo, 0, v1
	s_and_b32 s14, vcc_lo, exec_lo
	s_delay_alu instid0(SALU_CYCLE_1)
	s_or_b32 s14, s0, s14
.LBB7_2140:
	s_mov_b32 s0, 0
.LBB7_2141:
	s_delay_alu instid0(SALU_CYCLE_1)
	s_and_b32 vcc_lo, exec_lo, s0
	s_cbranch_vccz .LBB7_2190
; %bb.2142:
	s_cmp_lt_i32 s15, 5
	s_cbranch_scc1 .LBB7_2147
; %bb.2143:
	s_cmp_lt_i32 s15, 8
	s_cbranch_scc1 .LBB7_2148
	;; [unrolled: 3-line block ×3, first 2 shown]
; %bb.2145:
	s_cmp_gt_i32 s15, 9
	s_cbranch_scc0 .LBB7_2150
; %bb.2146:
	global_load_b128 v[16:19], v[14:15], off
	s_wait_loadcnt 0x0
	v_cmp_neq_f64_e32 vcc_lo, 0, v[16:17]
	v_cmp_neq_f64_e64 s0, 0, v[18:19]
	s_or_b32 s14, vcc_lo, s0
	s_mov_b32 s0, 0
	s_branch .LBB7_2151
.LBB7_2147:
	s_mov_b32 s0, -1
                                        ; implicit-def: $sgpr14
	s_branch .LBB7_2169
.LBB7_2148:
	s_mov_b32 s0, -1
                                        ; implicit-def: $sgpr14
	s_branch .LBB7_2157
.LBB7_2149:
	s_mov_b32 s0, -1
                                        ; implicit-def: $sgpr14
	s_branch .LBB7_2154
.LBB7_2150:
	s_mov_b32 s0, -1
                                        ; implicit-def: $sgpr14
.LBB7_2151:
	s_delay_alu instid0(SALU_CYCLE_1)
	s_and_not1_b32 vcc_lo, exec_lo, s0
	s_cbranch_vccnz .LBB7_2153
; %bb.2152:
	global_load_b64 v[16:17], v[14:15], off
	s_and_not1_b32 s0, s14, exec_lo
	s_wait_loadcnt 0x0
	v_bitop3_b32 v1, v16, 0x7fffffff, v17 bitop3:0xc8
	s_delay_alu instid0(VALU_DEP_1) | instskip(SKIP_1) | instid1(SALU_CYCLE_1)
	v_cmp_ne_u32_e32 vcc_lo, 0, v1
	s_and_b32 s14, vcc_lo, exec_lo
	s_or_b32 s14, s0, s14
.LBB7_2153:
	s_mov_b32 s0, 0
.LBB7_2154:
	s_delay_alu instid0(SALU_CYCLE_1)
	s_and_not1_b32 vcc_lo, exec_lo, s0
	s_cbranch_vccnz .LBB7_2156
; %bb.2155:
	global_load_b32 v1, v[14:15], off
	s_and_not1_b32 s0, s14, exec_lo
	s_wait_loadcnt 0x0
	v_and_b32_e32 v1, 0x7fff7fff, v1
	s_delay_alu instid0(VALU_DEP_1) | instskip(SKIP_1) | instid1(SALU_CYCLE_1)
	v_cmp_ne_u32_e32 vcc_lo, 0, v1
	s_and_b32 s14, vcc_lo, exec_lo
	s_or_b32 s14, s0, s14
.LBB7_2156:
	s_mov_b32 s0, 0
.LBB7_2157:
	s_delay_alu instid0(SALU_CYCLE_1)
	s_and_not1_b32 vcc_lo, exec_lo, s0
	s_cbranch_vccnz .LBB7_2168
; %bb.2158:
	s_cmp_lt_i32 s15, 6
	s_cbranch_scc1 .LBB7_2161
; %bb.2159:
	s_cmp_gt_i32 s15, 6
	s_cbranch_scc0 .LBB7_2162
; %bb.2160:
	global_load_b64 v[16:17], v[14:15], off
	s_mov_b32 s0, 0
	s_wait_loadcnt 0x0
	v_cmp_neq_f64_e64 s14, 0, v[16:17]
	s_branch .LBB7_2163
.LBB7_2161:
	s_mov_b32 s0, -1
                                        ; implicit-def: $sgpr14
	s_branch .LBB7_2166
.LBB7_2162:
	s_mov_b32 s0, -1
                                        ; implicit-def: $sgpr14
.LBB7_2163:
	s_delay_alu instid0(SALU_CYCLE_1)
	s_and_not1_b32 vcc_lo, exec_lo, s0
	s_cbranch_vccnz .LBB7_2165
; %bb.2164:
	global_load_b32 v1, v[14:15], off
	s_and_not1_b32 s0, s14, exec_lo
	s_wait_loadcnt 0x0
	v_cmp_neq_f32_e32 vcc_lo, 0, v1
	s_and_b32 s14, vcc_lo, exec_lo
	s_delay_alu instid0(SALU_CYCLE_1)
	s_or_b32 s14, s0, s14
.LBB7_2165:
	s_mov_b32 s0, 0
.LBB7_2166:
	s_delay_alu instid0(SALU_CYCLE_1)
	s_and_not1_b32 vcc_lo, exec_lo, s0
	s_cbranch_vccnz .LBB7_2168
; %bb.2167:
	global_load_u16 v1, v[14:15], off
	s_and_not1_b32 s0, s14, exec_lo
	s_wait_loadcnt 0x0
	v_and_b32_e32 v1, 0x7fff, v1
	s_delay_alu instid0(VALU_DEP_1) | instskip(SKIP_1) | instid1(SALU_CYCLE_1)
	v_cmp_ne_u16_e32 vcc_lo, 0, v1
	s_and_b32 s14, vcc_lo, exec_lo
	s_or_b32 s14, s0, s14
.LBB7_2168:
	s_mov_b32 s0, 0
.LBB7_2169:
	s_delay_alu instid0(SALU_CYCLE_1)
	s_and_not1_b32 vcc_lo, exec_lo, s0
	s_cbranch_vccnz .LBB7_2189
; %bb.2170:
	s_cmp_lt_i32 s15, 2
	s_cbranch_scc1 .LBB7_2174
; %bb.2171:
	s_cmp_lt_i32 s15, 3
	s_cbranch_scc1 .LBB7_2175
; %bb.2172:
	s_cmp_gt_i32 s15, 3
	s_cbranch_scc0 .LBB7_2176
; %bb.2173:
	global_load_b64 v[16:17], v[14:15], off
	s_mov_b32 s0, 0
	s_wait_loadcnt 0x0
	v_cmp_ne_u64_e64 s14, 0, v[16:17]
	s_branch .LBB7_2177
.LBB7_2174:
	s_mov_b32 s0, -1
                                        ; implicit-def: $sgpr14
	s_branch .LBB7_2183
.LBB7_2175:
	s_mov_b32 s0, -1
                                        ; implicit-def: $sgpr14
	s_branch .LBB7_2180
.LBB7_2176:
	s_mov_b32 s0, -1
                                        ; implicit-def: $sgpr14
.LBB7_2177:
	s_delay_alu instid0(SALU_CYCLE_1)
	s_and_not1_b32 vcc_lo, exec_lo, s0
	s_cbranch_vccnz .LBB7_2179
; %bb.2178:
	global_load_b32 v1, v[14:15], off
	s_and_not1_b32 s0, s14, exec_lo
	s_wait_loadcnt 0x0
	v_cmp_ne_u32_e32 vcc_lo, 0, v1
	s_and_b32 s14, vcc_lo, exec_lo
	s_delay_alu instid0(SALU_CYCLE_1)
	s_or_b32 s14, s0, s14
.LBB7_2179:
	s_mov_b32 s0, 0
.LBB7_2180:
	s_delay_alu instid0(SALU_CYCLE_1)
	s_and_not1_b32 vcc_lo, exec_lo, s0
	s_cbranch_vccnz .LBB7_2182
; %bb.2181:
	global_load_u16 v1, v[14:15], off
	s_and_not1_b32 s0, s14, exec_lo
	s_wait_loadcnt 0x0
	v_cmp_ne_u16_e32 vcc_lo, 0, v1
	s_and_b32 s14, vcc_lo, exec_lo
	s_delay_alu instid0(SALU_CYCLE_1)
	s_or_b32 s14, s0, s14
.LBB7_2182:
	s_mov_b32 s0, 0
.LBB7_2183:
	s_delay_alu instid0(SALU_CYCLE_1)
	s_and_not1_b32 vcc_lo, exec_lo, s0
	s_cbranch_vccnz .LBB7_2189
; %bb.2184:
	s_cmp_gt_i32 s15, 0
	s_mov_b32 s0, 0
	s_cbranch_scc0 .LBB7_2186
; %bb.2185:
	global_load_u8 v1, v[14:15], off
	s_wait_loadcnt 0x0
	v_cmp_ne_u16_e64 s14, 0, v1
	s_branch .LBB7_2187
.LBB7_2186:
	s_mov_b32 s0, -1
                                        ; implicit-def: $sgpr14
.LBB7_2187:
	s_delay_alu instid0(SALU_CYCLE_1)
	s_and_not1_b32 vcc_lo, exec_lo, s0
	s_cbranch_vccnz .LBB7_2189
; %bb.2188:
	global_load_u8 v1, v[14:15], off
	s_and_not1_b32 s0, s14, exec_lo
	s_wait_loadcnt 0x0
	v_cmp_ne_u16_e32 vcc_lo, 0, v1
	s_and_b32 s14, vcc_lo, exec_lo
	s_delay_alu instid0(SALU_CYCLE_1)
	s_or_b32 s14, s0, s14
.LBB7_2189:
	s_mov_b32 s17, -1
.LBB7_2190:
	s_delay_alu instid0(SALU_CYCLE_1)
	s_and_not1_b32 vcc_lo, exec_lo, s17
	s_cbranch_vccnz .LBB7_2984
; %bb.2191:
	v_mov_b32_e32 v13, 0
	s_cmp_lt_i32 s16, 11
	s_delay_alu instid0(VALU_DEP_1)
	v_add_nc_u64_e32 v[12:13], s[6:7], v[12:13]
	s_cbranch_scc1 .LBB7_2198
; %bb.2192:
	s_cmp_gt_i32 s16, 25
	s_mov_b32 s20, 0
	s_cbranch_scc0 .LBB7_2199
; %bb.2193:
	s_cmp_gt_i32 s16, 28
	s_cbranch_scc0 .LBB7_2200
; %bb.2194:
	s_cmp_gt_i32 s16, 43
	s_cbranch_scc0 .LBB7_2201
; %bb.2195:
	s_cmp_gt_i32 s16, 45
	s_cbranch_scc0 .LBB7_2203
; %bb.2196:
	s_cmp_eq_u32 s16, 46
	s_mov_b32 s21, 0
	s_cbranch_scc0 .LBB7_2204
; %bb.2197:
	global_load_b32 v1, v[12:13], off
	s_mov_b32 s0, 0
	s_mov_b32 s19, -1
	s_wait_loadcnt 0x0
	v_and_b32_e32 v1, 0x7fff7fff, v1
	s_delay_alu instid0(VALU_DEP_1)
	v_cmp_ne_u32_e64 s17, 0, v1
	s_branch .LBB7_2206
.LBB7_2198:
	s_mov_b32 s0, -1
	s_mov_b32 s19, 0
                                        ; implicit-def: $sgpr17
	s_branch .LBB7_2254
.LBB7_2199:
	s_mov_b32 s21, -1
	s_mov_b32 s19, 0
	s_mov_b32 s0, 0
                                        ; implicit-def: $sgpr17
	s_branch .LBB7_2227
.LBB7_2200:
	s_mov_b32 s21, -1
	s_mov_b32 s19, 0
	s_mov_b32 s0, 0
                                        ; implicit-def: $sgpr17
	s_branch .LBB7_2214
.LBB7_2201:
	s_mov_b32 s21, -1
	s_mov_b32 s19, 0
	s_mov_b32 s0, 0
                                        ; implicit-def: $sgpr17
	s_branch .LBB7_2209
.LBB7_2202:
	s_mov_b32 s17, 0
	s_or_b32 s1, s1, exec_lo
	s_trap 2
	s_cbranch_execz .LBB7_2139
	s_branch .LBB7_2140
.LBB7_2203:
	s_mov_b32 s21, -1
	s_mov_b32 s19, 0
	s_mov_b32 s0, 0
	s_branch .LBB7_2205
.LBB7_2204:
	s_mov_b32 s0, -1
	s_mov_b32 s19, 0
.LBB7_2205:
                                        ; implicit-def: $sgpr17
.LBB7_2206:
	s_and_b32 vcc_lo, exec_lo, s21
	s_cbranch_vccz .LBB7_2208
; %bb.2207:
	s_cmp_lg_u32 s16, 44
	s_mov_b32 s19, -1
	s_cselect_b32 s0, -1, 0
	s_or_b32 s17, s17, exec_lo
.LBB7_2208:
	s_mov_b32 s21, 0
.LBB7_2209:
	s_delay_alu instid0(SALU_CYCLE_1)
	s_and_b32 vcc_lo, exec_lo, s21
	s_cbranch_vccz .LBB7_2213
; %bb.2210:
	s_cmp_eq_u32 s16, 29
	s_cbranch_scc0 .LBB7_2212
; %bb.2211:
	global_load_b64 v[14:15], v[12:13], off
	s_mov_b32 s0, 0
	s_mov_b32 s19, -1
	s_mov_b32 s21, 0
	s_wait_loadcnt 0x0
	v_cmp_ne_u64_e64 s17, 0, v[14:15]
	s_branch .LBB7_2214
.LBB7_2212:
	s_mov_b32 s0, -1
                                        ; implicit-def: $sgpr17
.LBB7_2213:
	s_mov_b32 s21, 0
.LBB7_2214:
	s_delay_alu instid0(SALU_CYCLE_1)
	s_and_b32 vcc_lo, exec_lo, s21
	s_cbranch_vccz .LBB7_2226
; %bb.2215:
	s_cmp_lt_i32 s16, 27
	s_cbranch_scc1 .LBB7_2218
; %bb.2216:
	s_cmp_gt_i32 s16, 27
	s_cbranch_scc0 .LBB7_2219
; %bb.2217:
	global_load_b32 v1, v[12:13], off
	s_mov_b32 s19, 0
	s_wait_loadcnt 0x0
	v_cmp_ne_u32_e64 s17, 0, v1
	s_branch .LBB7_2220
.LBB7_2218:
	s_mov_b32 s19, -1
                                        ; implicit-def: $sgpr17
	s_branch .LBB7_2223
.LBB7_2219:
	s_mov_b32 s19, -1
                                        ; implicit-def: $sgpr17
.LBB7_2220:
	s_delay_alu instid0(SALU_CYCLE_1)
	s_and_not1_b32 vcc_lo, exec_lo, s19
	s_cbranch_vccnz .LBB7_2222
; %bb.2221:
	global_load_u16 v1, v[12:13], off
	s_and_not1_b32 s17, s17, exec_lo
	s_wait_loadcnt 0x0
	v_cmp_ne_u16_e32 vcc_lo, 0, v1
	s_and_b32 s19, vcc_lo, exec_lo
	s_delay_alu instid0(SALU_CYCLE_1)
	s_or_b32 s17, s17, s19
.LBB7_2222:
	s_mov_b32 s19, 0
.LBB7_2223:
	s_delay_alu instid0(SALU_CYCLE_1)
	s_and_not1_b32 vcc_lo, exec_lo, s19
	s_cbranch_vccnz .LBB7_2225
; %bb.2224:
	global_load_u8 v1, v[12:13], off
	s_and_not1_b32 s17, s17, exec_lo
	s_wait_loadcnt 0x0
	v_cmp_ne_u16_e32 vcc_lo, 0, v1
	s_and_b32 s19, vcc_lo, exec_lo
	s_delay_alu instid0(SALU_CYCLE_1)
	s_or_b32 s17, s17, s19
.LBB7_2225:
	s_mov_b32 s19, -1
.LBB7_2226:
	s_mov_b32 s21, 0
.LBB7_2227:
	s_delay_alu instid0(SALU_CYCLE_1)
	s_and_b32 vcc_lo, exec_lo, s21
	s_cbranch_vccz .LBB7_2250
; %bb.2228:
	s_cmp_gt_i32 s16, 22
	s_cbranch_scc0 .LBB7_2232
; %bb.2229:
	s_cmp_lt_i32 s16, 24
	s_cbranch_scc1 .LBB7_2233
; %bb.2230:
	s_cmp_gt_i32 s16, 24
	s_cbranch_scc0 .LBB7_2234
; %bb.2231:
	global_load_u8 v1, v[12:13], off
	s_mov_b32 s19, 0
	s_wait_loadcnt 0x0
	v_cmp_ne_u16_e64 s17, 0, v1
	s_branch .LBB7_2235
.LBB7_2232:
	s_mov_b32 s20, -1
                                        ; implicit-def: $sgpr17
	s_branch .LBB7_2241
.LBB7_2233:
	s_mov_b32 s19, -1
                                        ; implicit-def: $sgpr17
	s_branch .LBB7_2238
.LBB7_2234:
	s_mov_b32 s19, -1
                                        ; implicit-def: $sgpr17
.LBB7_2235:
	s_delay_alu instid0(SALU_CYCLE_1)
	s_and_not1_b32 vcc_lo, exec_lo, s19
	s_cbranch_vccnz .LBB7_2237
; %bb.2236:
	global_load_u8 v1, v[12:13], off
	s_and_not1_b32 s17, s17, exec_lo
	s_wait_loadcnt 0x0
	v_and_b32_e32 v1, 0x7f, v1
	s_delay_alu instid0(VALU_DEP_1) | instskip(SKIP_1) | instid1(SALU_CYCLE_1)
	v_cmp_ne_u16_e32 vcc_lo, 0, v1
	s_and_b32 s19, vcc_lo, exec_lo
	s_or_b32 s17, s17, s19
.LBB7_2237:
	s_mov_b32 s19, 0
.LBB7_2238:
	s_delay_alu instid0(SALU_CYCLE_1)
	s_and_not1_b32 vcc_lo, exec_lo, s19
	s_cbranch_vccnz .LBB7_2240
; %bb.2239:
	global_load_u8 v1, v[12:13], off
	s_and_not1_b32 s17, s17, exec_lo
	s_wait_loadcnt 0x0
	v_dual_lshlrev_b32 v3, 25, v1 :: v_dual_lshlrev_b32 v1, 8, v1
	s_delay_alu instid0(VALU_DEP_1) | instskip(NEXT) | instid1(VALU_DEP_2)
	v_cmp_gt_u32_e32 vcc_lo, 0x8000000, v3
	v_and_or_b32 v1, 0x7f00, v1, 0.5
	s_delay_alu instid0(VALU_DEP_1) | instskip(NEXT) | instid1(VALU_DEP_1)
	v_dual_lshrrev_b32 v5, 4, v3 :: v_dual_add_f32 v1, -0.5, v1
	v_or_b32_e32 v5, 0x70000000, v5
	s_delay_alu instid0(VALU_DEP_1) | instskip(NEXT) | instid1(VALU_DEP_1)
	v_mul_f32_e32 v5, 0x7800000, v5
	v_cndmask_b32_e32 v1, v5, v1, vcc_lo
	s_delay_alu instid0(VALU_DEP_1) | instskip(SKIP_1) | instid1(SALU_CYCLE_1)
	v_cmp_neq_f32_e32 vcc_lo, 0, v1
	s_and_b32 s19, vcc_lo, exec_lo
	s_or_b32 s17, s17, s19
.LBB7_2240:
	s_mov_b32 s19, -1
.LBB7_2241:
	s_and_not1_b32 vcc_lo, exec_lo, s20
	s_mov_b32 s20, 0
	s_cbranch_vccnz .LBB7_2250
; %bb.2242:
	s_cmp_gt_i32 s16, 14
	s_cbranch_scc0 .LBB7_2245
; %bb.2243:
	s_cmp_eq_u32 s16, 15
	s_cbranch_scc0 .LBB7_2246
; %bb.2244:
	global_load_u16 v1, v[12:13], off
	s_mov_b32 s0, 0
	s_mov_b32 s19, -1
	s_wait_loadcnt 0x0
	v_and_b32_e32 v1, 0x7fff, v1
	s_delay_alu instid0(VALU_DEP_1)
	v_cmp_ne_u16_e64 s17, 0, v1
	s_branch .LBB7_2248
.LBB7_2245:
	s_mov_b32 s20, -1
	s_branch .LBB7_2247
.LBB7_2246:
	s_mov_b32 s0, -1
.LBB7_2247:
                                        ; implicit-def: $sgpr17
.LBB7_2248:
	s_and_b32 vcc_lo, exec_lo, s20
	s_mov_b32 s20, 0
	s_cbranch_vccz .LBB7_2250
; %bb.2249:
	s_cmp_lg_u32 s16, 11
	s_mov_b32 s20, -1
	s_cselect_b32 s0, -1, 0
.LBB7_2250:
	s_delay_alu instid0(SALU_CYCLE_1)
	s_and_b32 vcc_lo, exec_lo, s0
	s_cbranch_vccnz .LBB7_2334
; %bb.2251:
	s_and_not1_b32 vcc_lo, exec_lo, s20
	s_cbranch_vccnz .LBB7_2253
.LBB7_2252:
	global_load_u8 v1, v[12:13], off
	s_and_not1_b32 s0, s17, exec_lo
	s_mov_b32 s19, -1
	s_wait_loadcnt 0x0
	v_cmp_ne_u16_e32 vcc_lo, 0, v1
	s_and_b32 s17, vcc_lo, exec_lo
	s_delay_alu instid0(SALU_CYCLE_1)
	s_or_b32 s17, s0, s17
.LBB7_2253:
	s_mov_b32 s0, 0
.LBB7_2254:
	s_delay_alu instid0(SALU_CYCLE_1)
	s_and_b32 vcc_lo, exec_lo, s0
	s_cbranch_vccz .LBB7_2303
; %bb.2255:
	s_cmp_lt_i32 s16, 5
	s_cbranch_scc1 .LBB7_2260
; %bb.2256:
	s_cmp_lt_i32 s16, 8
	s_cbranch_scc1 .LBB7_2261
	;; [unrolled: 3-line block ×3, first 2 shown]
; %bb.2258:
	s_cmp_gt_i32 s16, 9
	s_cbranch_scc0 .LBB7_2263
; %bb.2259:
	global_load_b128 v[14:17], v[12:13], off
	s_wait_loadcnt 0x0
	v_cmp_neq_f64_e32 vcc_lo, 0, v[14:15]
	v_cmp_neq_f64_e64 s0, 0, v[16:17]
	s_or_b32 s17, vcc_lo, s0
	s_mov_b32 s0, 0
	s_branch .LBB7_2264
.LBB7_2260:
	s_mov_b32 s0, -1
                                        ; implicit-def: $sgpr17
	s_branch .LBB7_2282
.LBB7_2261:
	s_mov_b32 s0, -1
                                        ; implicit-def: $sgpr17
	s_branch .LBB7_2270
.LBB7_2262:
	s_mov_b32 s0, -1
                                        ; implicit-def: $sgpr17
	s_branch .LBB7_2267
.LBB7_2263:
	s_mov_b32 s0, -1
                                        ; implicit-def: $sgpr17
.LBB7_2264:
	s_delay_alu instid0(SALU_CYCLE_1)
	s_and_not1_b32 vcc_lo, exec_lo, s0
	s_cbranch_vccnz .LBB7_2266
; %bb.2265:
	global_load_b64 v[14:15], v[12:13], off
	s_and_not1_b32 s0, s17, exec_lo
	s_wait_loadcnt 0x0
	v_bitop3_b32 v1, v14, 0x7fffffff, v15 bitop3:0xc8
	s_delay_alu instid0(VALU_DEP_1) | instskip(SKIP_1) | instid1(SALU_CYCLE_1)
	v_cmp_ne_u32_e32 vcc_lo, 0, v1
	s_and_b32 s17, vcc_lo, exec_lo
	s_or_b32 s17, s0, s17
.LBB7_2266:
	s_mov_b32 s0, 0
.LBB7_2267:
	s_delay_alu instid0(SALU_CYCLE_1)
	s_and_not1_b32 vcc_lo, exec_lo, s0
	s_cbranch_vccnz .LBB7_2269
; %bb.2268:
	global_load_b32 v1, v[12:13], off
	s_and_not1_b32 s0, s17, exec_lo
	s_wait_loadcnt 0x0
	v_and_b32_e32 v1, 0x7fff7fff, v1
	s_delay_alu instid0(VALU_DEP_1) | instskip(SKIP_1) | instid1(SALU_CYCLE_1)
	v_cmp_ne_u32_e32 vcc_lo, 0, v1
	s_and_b32 s17, vcc_lo, exec_lo
	s_or_b32 s17, s0, s17
.LBB7_2269:
	s_mov_b32 s0, 0
.LBB7_2270:
	s_delay_alu instid0(SALU_CYCLE_1)
	s_and_not1_b32 vcc_lo, exec_lo, s0
	s_cbranch_vccnz .LBB7_2281
; %bb.2271:
	s_cmp_lt_i32 s16, 6
	s_cbranch_scc1 .LBB7_2274
; %bb.2272:
	s_cmp_gt_i32 s16, 6
	s_cbranch_scc0 .LBB7_2275
; %bb.2273:
	global_load_b64 v[14:15], v[12:13], off
	s_mov_b32 s0, 0
	s_wait_loadcnt 0x0
	v_cmp_neq_f64_e64 s17, 0, v[14:15]
	s_branch .LBB7_2276
.LBB7_2274:
	s_mov_b32 s0, -1
                                        ; implicit-def: $sgpr17
	s_branch .LBB7_2279
.LBB7_2275:
	s_mov_b32 s0, -1
                                        ; implicit-def: $sgpr17
.LBB7_2276:
	s_delay_alu instid0(SALU_CYCLE_1)
	s_and_not1_b32 vcc_lo, exec_lo, s0
	s_cbranch_vccnz .LBB7_2278
; %bb.2277:
	global_load_b32 v1, v[12:13], off
	s_and_not1_b32 s0, s17, exec_lo
	s_wait_loadcnt 0x0
	v_cmp_neq_f32_e32 vcc_lo, 0, v1
	s_and_b32 s17, vcc_lo, exec_lo
	s_delay_alu instid0(SALU_CYCLE_1)
	s_or_b32 s17, s0, s17
.LBB7_2278:
	s_mov_b32 s0, 0
.LBB7_2279:
	s_delay_alu instid0(SALU_CYCLE_1)
	s_and_not1_b32 vcc_lo, exec_lo, s0
	s_cbranch_vccnz .LBB7_2281
; %bb.2280:
	global_load_u16 v1, v[12:13], off
	s_and_not1_b32 s0, s17, exec_lo
	s_wait_loadcnt 0x0
	v_and_b32_e32 v1, 0x7fff, v1
	s_delay_alu instid0(VALU_DEP_1) | instskip(SKIP_1) | instid1(SALU_CYCLE_1)
	v_cmp_ne_u16_e32 vcc_lo, 0, v1
	s_and_b32 s17, vcc_lo, exec_lo
	s_or_b32 s17, s0, s17
.LBB7_2281:
	s_mov_b32 s0, 0
.LBB7_2282:
	s_delay_alu instid0(SALU_CYCLE_1)
	s_and_not1_b32 vcc_lo, exec_lo, s0
	s_cbranch_vccnz .LBB7_2302
; %bb.2283:
	s_cmp_lt_i32 s16, 2
	s_cbranch_scc1 .LBB7_2287
; %bb.2284:
	s_cmp_lt_i32 s16, 3
	s_cbranch_scc1 .LBB7_2288
; %bb.2285:
	s_cmp_gt_i32 s16, 3
	s_cbranch_scc0 .LBB7_2289
; %bb.2286:
	global_load_b64 v[14:15], v[12:13], off
	s_mov_b32 s0, 0
	s_wait_loadcnt 0x0
	v_cmp_ne_u64_e64 s17, 0, v[14:15]
	s_branch .LBB7_2290
.LBB7_2287:
	s_mov_b32 s0, -1
                                        ; implicit-def: $sgpr17
	s_branch .LBB7_2296
.LBB7_2288:
	s_mov_b32 s0, -1
                                        ; implicit-def: $sgpr17
	s_branch .LBB7_2293
.LBB7_2289:
	s_mov_b32 s0, -1
                                        ; implicit-def: $sgpr17
.LBB7_2290:
	s_delay_alu instid0(SALU_CYCLE_1)
	s_and_not1_b32 vcc_lo, exec_lo, s0
	s_cbranch_vccnz .LBB7_2292
; %bb.2291:
	global_load_b32 v1, v[12:13], off
	s_and_not1_b32 s0, s17, exec_lo
	s_wait_loadcnt 0x0
	v_cmp_ne_u32_e32 vcc_lo, 0, v1
	s_and_b32 s17, vcc_lo, exec_lo
	s_delay_alu instid0(SALU_CYCLE_1)
	s_or_b32 s17, s0, s17
.LBB7_2292:
	s_mov_b32 s0, 0
.LBB7_2293:
	s_delay_alu instid0(SALU_CYCLE_1)
	s_and_not1_b32 vcc_lo, exec_lo, s0
	s_cbranch_vccnz .LBB7_2295
; %bb.2294:
	global_load_u16 v1, v[12:13], off
	s_and_not1_b32 s0, s17, exec_lo
	s_wait_loadcnt 0x0
	v_cmp_ne_u16_e32 vcc_lo, 0, v1
	s_and_b32 s17, vcc_lo, exec_lo
	s_delay_alu instid0(SALU_CYCLE_1)
	s_or_b32 s17, s0, s17
.LBB7_2295:
	s_mov_b32 s0, 0
.LBB7_2296:
	s_delay_alu instid0(SALU_CYCLE_1)
	s_and_not1_b32 vcc_lo, exec_lo, s0
	s_cbranch_vccnz .LBB7_2302
; %bb.2297:
	s_cmp_gt_i32 s16, 0
	s_mov_b32 s0, 0
	s_cbranch_scc0 .LBB7_2299
; %bb.2298:
	global_load_u8 v1, v[12:13], off
	s_wait_loadcnt 0x0
	v_cmp_ne_u16_e64 s17, 0, v1
	s_branch .LBB7_2300
.LBB7_2299:
	s_mov_b32 s0, -1
                                        ; implicit-def: $sgpr17
.LBB7_2300:
	s_delay_alu instid0(SALU_CYCLE_1)
	s_and_not1_b32 vcc_lo, exec_lo, s0
	s_cbranch_vccnz .LBB7_2302
; %bb.2301:
	global_load_u8 v1, v[12:13], off
	s_and_not1_b32 s0, s17, exec_lo
	s_wait_loadcnt 0x0
	v_cmp_ne_u16_e32 vcc_lo, 0, v1
	s_and_b32 s17, vcc_lo, exec_lo
	s_delay_alu instid0(SALU_CYCLE_1)
	s_or_b32 s17, s0, s17
.LBB7_2302:
	s_mov_b32 s19, -1
.LBB7_2303:
	s_delay_alu instid0(SALU_CYCLE_1)
	s_and_not1_b32 vcc_lo, exec_lo, s19
	s_cbranch_vccnz .LBB7_2984
; %bb.2304:
	s_cmp_lt_i32 s18, 23
	s_cbranch_scc1 .LBB7_2308
; %bb.2305:
	s_cmp_gt_i32 s18, 43
	s_cbranch_scc0 .LBB7_2309
; %bb.2306:
	s_cmp_gt_i32 s18, 45
	s_cbranch_scc0 .LBB7_2310
; %bb.2307:
	s_cmp_lg_u32 s18, 46
	s_mov_b32 s20, 0
	s_mov_b32 s0, -1
	s_cselect_b32 s19, -1, 0
	s_branch .LBB7_2311
.LBB7_2308:
	s_mov_b32 s20, -1
	s_mov_b32 s0, 0
	s_mov_b32 s19, 0
	s_branch .LBB7_2317
.LBB7_2309:
	s_mov_b32 s20, -1
	s_mov_b32 s0, 0
	s_mov_b32 s19, 0
	s_branch .LBB7_2314
.LBB7_2310:
	s_mov_b32 s20, -1
	s_mov_b32 s0, 0
	s_mov_b32 s19, 0
.LBB7_2311:
	s_and_not1_b32 vcc_lo, exec_lo, s20
	s_cbranch_vccnz .LBB7_2313
; %bb.2312:
	s_cmp_eq_u32 s18, 44
	s_cselect_b32 s0, -1, 0
	s_cmp_lg_u32 s18, 44
	s_cselect_b32 s19, -1, 0
.LBB7_2313:
	s_mov_b32 s20, 0
.LBB7_2314:
	s_delay_alu instid0(SALU_CYCLE_1)
	s_and_b32 vcc_lo, exec_lo, s20
	s_cbranch_vccz .LBB7_2316
; %bb.2315:
	s_cmp_lt_i32 s18, 30
	s_cselect_b32 s0, -1, 0
	s_cmp_gt_i32 s18, 29
	s_cselect_b32 s19, -1, 0
.LBB7_2316:
	s_mov_b32 s20, 0
.LBB7_2317:
	s_delay_alu instid0(SALU_CYCLE_1)
	s_and_b32 vcc_lo, exec_lo, s20
	s_cbranch_vccz .LBB7_2322
; %bb.2318:
	s_cmp_gt_i32 s18, 14
	s_mov_b32 s20, -1
	s_cbranch_scc0 .LBB7_2320
; %bb.2319:
	s_cmp_eq_u32 s18, 15
	s_mov_b32 s20, 0
	s_cselect_b32 s0, -1, 0
	s_cmp_lg_u32 s18, 15
	s_cselect_b32 s19, -1, 0
.LBB7_2320:
	s_and_not1_b32 vcc_lo, exec_lo, s20
	s_cbranch_vccnz .LBB7_2322
; %bb.2321:
	s_cmp_lt_i32 s18, 12
	s_cselect_b32 s0, -1, 0
	s_cmp_gt_i32 s18, 11
	s_cselect_b32 s19, -1, 0
.LBB7_2322:
	s_delay_alu instid0(SALU_CYCLE_1)
	s_and_b32 vcc_lo, exec_lo, s19
	s_cbranch_vccnz .LBB7_2335
; %bb.2323:
	s_and_not1_b32 vcc_lo, exec_lo, s0
	s_cbranch_vccnz .LBB7_2984
.LBB7_2324:
	v_mov_b32_e32 v11, 0
	s_cmp_lt_i32 s15, 11
	s_delay_alu instid0(VALU_DEP_1)
	v_add_nc_u64_e32 v[10:11], s[4:5], v[10:11]
	s_cbranch_scc1 .LBB7_2331
; %bb.2325:
	s_cmp_gt_i32 s15, 25
	s_mov_b32 s5, 0
	s_cbranch_scc0 .LBB7_2332
; %bb.2326:
	s_cmp_gt_i32 s15, 28
	s_cbranch_scc0 .LBB7_2333
; %bb.2327:
	s_cmp_gt_i32 s15, 43
	;; [unrolled: 3-line block ×3, first 2 shown]
	s_cbranch_scc0 .LBB7_2337
; %bb.2329:
	s_cmp_eq_u32 s15, 46
	s_mov_b32 s19, 0
	s_cbranch_scc0 .LBB7_2338
; %bb.2330:
	global_load_b32 v1, v[10:11], off
	s_mov_b32 s0, 0
	s_mov_b32 s4, -1
	s_wait_loadcnt 0x0
	v_and_b32_e32 v1, 0x7fff7fff, v1
	s_delay_alu instid0(VALU_DEP_1)
	v_cmp_ne_u32_e64 s18, 0, v1
	s_branch .LBB7_2340
.LBB7_2331:
	s_mov_b32 s0, -1
	s_mov_b32 s4, 0
                                        ; implicit-def: $sgpr18
	s_branch .LBB7_2388
.LBB7_2332:
	s_mov_b32 s19, -1
	s_mov_b32 s4, 0
	s_mov_b32 s0, 0
                                        ; implicit-def: $sgpr18
	s_branch .LBB7_2361
.LBB7_2333:
	s_mov_b32 s19, -1
	s_mov_b32 s4, 0
	s_mov_b32 s0, 0
                                        ; implicit-def: $sgpr18
	s_branch .LBB7_2348
.LBB7_2334:
	s_mov_b32 s19, 0
	s_or_b32 s1, s1, exec_lo
	s_trap 2
	s_cbranch_execz .LBB7_2252
	s_branch .LBB7_2253
.LBB7_2335:
	s_or_b32 s1, s1, exec_lo
	s_trap 2
	s_cbranch_execz .LBB7_2324
	s_branch .LBB7_2984
.LBB7_2336:
	s_mov_b32 s19, -1
	s_mov_b32 s4, 0
	s_mov_b32 s0, 0
                                        ; implicit-def: $sgpr18
	s_branch .LBB7_2343
.LBB7_2337:
	s_mov_b32 s19, -1
	s_mov_b32 s4, 0
	s_mov_b32 s0, 0
	s_branch .LBB7_2339
.LBB7_2338:
	s_mov_b32 s0, -1
	s_mov_b32 s4, 0
.LBB7_2339:
                                        ; implicit-def: $sgpr18
.LBB7_2340:
	s_and_b32 vcc_lo, exec_lo, s19
	s_cbranch_vccz .LBB7_2342
; %bb.2341:
	s_cmp_lg_u32 s15, 44
	s_mov_b32 s4, -1
	s_cselect_b32 s0, -1, 0
	s_or_b32 s18, s18, exec_lo
.LBB7_2342:
	s_mov_b32 s19, 0
.LBB7_2343:
	s_delay_alu instid0(SALU_CYCLE_1)
	s_and_b32 vcc_lo, exec_lo, s19
	s_cbranch_vccz .LBB7_2347
; %bb.2344:
	s_cmp_eq_u32 s15, 29
	s_cbranch_scc0 .LBB7_2346
; %bb.2345:
	global_load_b64 v[12:13], v[10:11], off
	s_mov_b32 s0, 0
	s_mov_b32 s4, -1
	s_mov_b32 s19, 0
	s_wait_loadcnt 0x0
	v_cmp_ne_u64_e64 s18, 0, v[12:13]
	s_branch .LBB7_2348
.LBB7_2346:
	s_mov_b32 s0, -1
                                        ; implicit-def: $sgpr18
.LBB7_2347:
	s_mov_b32 s19, 0
.LBB7_2348:
	s_delay_alu instid0(SALU_CYCLE_1)
	s_and_b32 vcc_lo, exec_lo, s19
	s_cbranch_vccz .LBB7_2360
; %bb.2349:
	s_cmp_lt_i32 s15, 27
	s_cbranch_scc1 .LBB7_2352
; %bb.2350:
	s_cmp_gt_i32 s15, 27
	s_cbranch_scc0 .LBB7_2353
; %bb.2351:
	global_load_b32 v1, v[10:11], off
	s_mov_b32 s4, 0
	s_wait_loadcnt 0x0
	v_cmp_ne_u32_e64 s18, 0, v1
	s_branch .LBB7_2354
.LBB7_2352:
	s_mov_b32 s4, -1
                                        ; implicit-def: $sgpr18
	s_branch .LBB7_2357
.LBB7_2353:
	s_mov_b32 s4, -1
                                        ; implicit-def: $sgpr18
.LBB7_2354:
	s_delay_alu instid0(SALU_CYCLE_1)
	s_and_not1_b32 vcc_lo, exec_lo, s4
	s_cbranch_vccnz .LBB7_2356
; %bb.2355:
	global_load_u16 v1, v[10:11], off
	s_and_not1_b32 s4, s18, exec_lo
	s_wait_loadcnt 0x0
	v_cmp_ne_u16_e32 vcc_lo, 0, v1
	s_and_b32 s18, vcc_lo, exec_lo
	s_delay_alu instid0(SALU_CYCLE_1)
	s_or_b32 s18, s4, s18
.LBB7_2356:
	s_mov_b32 s4, 0
.LBB7_2357:
	s_delay_alu instid0(SALU_CYCLE_1)
	s_and_not1_b32 vcc_lo, exec_lo, s4
	s_cbranch_vccnz .LBB7_2359
; %bb.2358:
	global_load_u8 v1, v[10:11], off
	s_and_not1_b32 s4, s18, exec_lo
	s_wait_loadcnt 0x0
	v_cmp_ne_u16_e32 vcc_lo, 0, v1
	s_and_b32 s18, vcc_lo, exec_lo
	s_delay_alu instid0(SALU_CYCLE_1)
	s_or_b32 s18, s4, s18
.LBB7_2359:
	s_mov_b32 s4, -1
.LBB7_2360:
	s_mov_b32 s19, 0
.LBB7_2361:
	s_delay_alu instid0(SALU_CYCLE_1)
	s_and_b32 vcc_lo, exec_lo, s19
	s_cbranch_vccz .LBB7_2384
; %bb.2362:
	s_cmp_gt_i32 s15, 22
	s_cbranch_scc0 .LBB7_2366
; %bb.2363:
	s_cmp_lt_i32 s15, 24
	s_cbranch_scc1 .LBB7_2367
; %bb.2364:
	s_cmp_gt_i32 s15, 24
	s_cbranch_scc0 .LBB7_2368
; %bb.2365:
	global_load_u8 v1, v[10:11], off
	s_mov_b32 s4, 0
	s_wait_loadcnt 0x0
	v_cmp_ne_u16_e64 s18, 0, v1
	s_branch .LBB7_2369
.LBB7_2366:
	s_mov_b32 s5, -1
                                        ; implicit-def: $sgpr18
	s_branch .LBB7_2375
.LBB7_2367:
	s_mov_b32 s4, -1
                                        ; implicit-def: $sgpr18
	s_branch .LBB7_2372
.LBB7_2368:
	s_mov_b32 s4, -1
                                        ; implicit-def: $sgpr18
.LBB7_2369:
	s_delay_alu instid0(SALU_CYCLE_1)
	s_and_not1_b32 vcc_lo, exec_lo, s4
	s_cbranch_vccnz .LBB7_2371
; %bb.2370:
	global_load_u8 v1, v[10:11], off
	s_and_not1_b32 s4, s18, exec_lo
	s_wait_loadcnt 0x0
	v_and_b32_e32 v1, 0x7f, v1
	s_delay_alu instid0(VALU_DEP_1) | instskip(SKIP_1) | instid1(SALU_CYCLE_1)
	v_cmp_ne_u16_e32 vcc_lo, 0, v1
	s_and_b32 s5, vcc_lo, exec_lo
	s_or_b32 s18, s4, s5
.LBB7_2371:
	s_mov_b32 s4, 0
.LBB7_2372:
	s_delay_alu instid0(SALU_CYCLE_1)
	s_and_not1_b32 vcc_lo, exec_lo, s4
	s_cbranch_vccnz .LBB7_2374
; %bb.2373:
	global_load_u8 v1, v[10:11], off
	s_and_not1_b32 s4, s18, exec_lo
	s_wait_loadcnt 0x0
	v_dual_lshlrev_b32 v3, 25, v1 :: v_dual_lshlrev_b32 v1, 8, v1
	s_delay_alu instid0(VALU_DEP_1) | instskip(NEXT) | instid1(VALU_DEP_2)
	v_cmp_gt_u32_e32 vcc_lo, 0x8000000, v3
	v_and_or_b32 v1, 0x7f00, v1, 0.5
	s_delay_alu instid0(VALU_DEP_1) | instskip(NEXT) | instid1(VALU_DEP_1)
	v_dual_lshrrev_b32 v5, 4, v3 :: v_dual_add_f32 v1, -0.5, v1
	v_or_b32_e32 v5, 0x70000000, v5
	s_delay_alu instid0(VALU_DEP_1) | instskip(NEXT) | instid1(VALU_DEP_1)
	v_mul_f32_e32 v5, 0x7800000, v5
	v_cndmask_b32_e32 v1, v5, v1, vcc_lo
	s_delay_alu instid0(VALU_DEP_1) | instskip(SKIP_1) | instid1(SALU_CYCLE_1)
	v_cmp_neq_f32_e32 vcc_lo, 0, v1
	s_and_b32 s5, vcc_lo, exec_lo
	s_or_b32 s18, s4, s5
.LBB7_2374:
	s_mov_b32 s5, 0
	s_mov_b32 s4, -1
.LBB7_2375:
	s_and_not1_b32 vcc_lo, exec_lo, s5
	s_mov_b32 s5, 0
	s_cbranch_vccnz .LBB7_2384
; %bb.2376:
	s_cmp_gt_i32 s15, 14
	s_cbranch_scc0 .LBB7_2379
; %bb.2377:
	s_cmp_eq_u32 s15, 15
	s_cbranch_scc0 .LBB7_2380
; %bb.2378:
	global_load_u16 v1, v[10:11], off
	s_mov_b32 s0, 0
	s_mov_b32 s4, -1
	s_wait_loadcnt 0x0
	v_and_b32_e32 v1, 0x7fff, v1
	s_delay_alu instid0(VALU_DEP_1)
	v_cmp_ne_u16_e64 s18, 0, v1
	s_branch .LBB7_2382
.LBB7_2379:
	s_mov_b32 s5, -1
	s_branch .LBB7_2381
.LBB7_2380:
	s_mov_b32 s0, -1
.LBB7_2381:
                                        ; implicit-def: $sgpr18
.LBB7_2382:
	s_and_b32 vcc_lo, exec_lo, s5
	s_mov_b32 s5, 0
	s_cbranch_vccz .LBB7_2384
; %bb.2383:
	s_cmp_lg_u32 s15, 11
	s_mov_b32 s5, -1
	s_cselect_b32 s0, -1, 0
.LBB7_2384:
	s_delay_alu instid0(SALU_CYCLE_1)
	s_and_b32 vcc_lo, exec_lo, s0
	s_cbranch_vccnz .LBB7_2449
; %bb.2385:
	s_and_not1_b32 vcc_lo, exec_lo, s5
	s_cbranch_vccnz .LBB7_2387
.LBB7_2386:
	global_load_u8 v1, v[10:11], off
	s_and_not1_b32 s0, s18, exec_lo
	s_mov_b32 s4, -1
	s_wait_loadcnt 0x0
	v_cmp_ne_u16_e32 vcc_lo, 0, v1
	s_and_b32 s5, vcc_lo, exec_lo
	s_delay_alu instid0(SALU_CYCLE_1)
	s_or_b32 s18, s0, s5
.LBB7_2387:
	s_mov_b32 s0, 0
.LBB7_2388:
	s_delay_alu instid0(SALU_CYCLE_1)
	s_and_b32 vcc_lo, exec_lo, s0
	s_cbranch_vccz .LBB7_2437
; %bb.2389:
	s_cmp_lt_i32 s15, 5
	s_cbranch_scc1 .LBB7_2394
; %bb.2390:
	s_cmp_lt_i32 s15, 8
	s_cbranch_scc1 .LBB7_2395
	;; [unrolled: 3-line block ×3, first 2 shown]
; %bb.2392:
	s_cmp_gt_i32 s15, 9
	s_cbranch_scc0 .LBB7_2397
; %bb.2393:
	global_load_b128 v[12:15], v[10:11], off
	s_wait_loadcnt 0x0
	v_cmp_neq_f64_e32 vcc_lo, 0, v[12:13]
	v_cmp_neq_f64_e64 s0, 0, v[14:15]
	s_or_b32 s18, vcc_lo, s0
	s_mov_b32 s0, 0
	s_branch .LBB7_2398
.LBB7_2394:
	s_mov_b32 s0, -1
                                        ; implicit-def: $sgpr18
	s_branch .LBB7_2416
.LBB7_2395:
	s_mov_b32 s0, -1
                                        ; implicit-def: $sgpr18
	s_branch .LBB7_2404
.LBB7_2396:
	s_mov_b32 s0, -1
                                        ; implicit-def: $sgpr18
	s_branch .LBB7_2401
.LBB7_2397:
	s_mov_b32 s0, -1
                                        ; implicit-def: $sgpr18
.LBB7_2398:
	s_delay_alu instid0(SALU_CYCLE_1)
	s_and_not1_b32 vcc_lo, exec_lo, s0
	s_cbranch_vccnz .LBB7_2400
; %bb.2399:
	global_load_b64 v[12:13], v[10:11], off
	s_and_not1_b32 s0, s18, exec_lo
	s_wait_loadcnt 0x0
	v_bitop3_b32 v1, v12, 0x7fffffff, v13 bitop3:0xc8
	s_delay_alu instid0(VALU_DEP_1) | instskip(SKIP_1) | instid1(SALU_CYCLE_1)
	v_cmp_ne_u32_e32 vcc_lo, 0, v1
	s_and_b32 s4, vcc_lo, exec_lo
	s_or_b32 s18, s0, s4
.LBB7_2400:
	s_mov_b32 s0, 0
.LBB7_2401:
	s_delay_alu instid0(SALU_CYCLE_1)
	s_and_not1_b32 vcc_lo, exec_lo, s0
	s_cbranch_vccnz .LBB7_2403
; %bb.2402:
	global_load_b32 v1, v[10:11], off
	s_and_not1_b32 s0, s18, exec_lo
	s_wait_loadcnt 0x0
	v_and_b32_e32 v1, 0x7fff7fff, v1
	s_delay_alu instid0(VALU_DEP_1) | instskip(SKIP_1) | instid1(SALU_CYCLE_1)
	v_cmp_ne_u32_e32 vcc_lo, 0, v1
	s_and_b32 s4, vcc_lo, exec_lo
	s_or_b32 s18, s0, s4
.LBB7_2403:
	s_mov_b32 s0, 0
.LBB7_2404:
	s_delay_alu instid0(SALU_CYCLE_1)
	s_and_not1_b32 vcc_lo, exec_lo, s0
	s_cbranch_vccnz .LBB7_2415
; %bb.2405:
	s_cmp_lt_i32 s15, 6
	s_cbranch_scc1 .LBB7_2408
; %bb.2406:
	s_cmp_gt_i32 s15, 6
	s_cbranch_scc0 .LBB7_2409
; %bb.2407:
	global_load_b64 v[12:13], v[10:11], off
	s_mov_b32 s0, 0
	s_wait_loadcnt 0x0
	v_cmp_neq_f64_e64 s18, 0, v[12:13]
	s_branch .LBB7_2410
.LBB7_2408:
	s_mov_b32 s0, -1
                                        ; implicit-def: $sgpr18
	s_branch .LBB7_2413
.LBB7_2409:
	s_mov_b32 s0, -1
                                        ; implicit-def: $sgpr18
.LBB7_2410:
	s_delay_alu instid0(SALU_CYCLE_1)
	s_and_not1_b32 vcc_lo, exec_lo, s0
	s_cbranch_vccnz .LBB7_2412
; %bb.2411:
	global_load_b32 v1, v[10:11], off
	s_and_not1_b32 s0, s18, exec_lo
	s_wait_loadcnt 0x0
	v_cmp_neq_f32_e32 vcc_lo, 0, v1
	s_and_b32 s4, vcc_lo, exec_lo
	s_delay_alu instid0(SALU_CYCLE_1)
	s_or_b32 s18, s0, s4
.LBB7_2412:
	s_mov_b32 s0, 0
.LBB7_2413:
	s_delay_alu instid0(SALU_CYCLE_1)
	s_and_not1_b32 vcc_lo, exec_lo, s0
	s_cbranch_vccnz .LBB7_2415
; %bb.2414:
	global_load_u16 v1, v[10:11], off
	s_and_not1_b32 s0, s18, exec_lo
	s_wait_loadcnt 0x0
	v_and_b32_e32 v1, 0x7fff, v1
	s_delay_alu instid0(VALU_DEP_1) | instskip(SKIP_1) | instid1(SALU_CYCLE_1)
	v_cmp_ne_u16_e32 vcc_lo, 0, v1
	s_and_b32 s4, vcc_lo, exec_lo
	s_or_b32 s18, s0, s4
.LBB7_2415:
	s_mov_b32 s0, 0
.LBB7_2416:
	s_delay_alu instid0(SALU_CYCLE_1)
	s_and_not1_b32 vcc_lo, exec_lo, s0
	s_cbranch_vccnz .LBB7_2436
; %bb.2417:
	s_cmp_lt_i32 s15, 2
	s_cbranch_scc1 .LBB7_2421
; %bb.2418:
	s_cmp_lt_i32 s15, 3
	s_cbranch_scc1 .LBB7_2422
; %bb.2419:
	s_cmp_gt_i32 s15, 3
	s_cbranch_scc0 .LBB7_2423
; %bb.2420:
	global_load_b64 v[12:13], v[10:11], off
	s_mov_b32 s0, 0
	s_wait_loadcnt 0x0
	v_cmp_ne_u64_e64 s18, 0, v[12:13]
	s_branch .LBB7_2424
.LBB7_2421:
	s_mov_b32 s0, -1
                                        ; implicit-def: $sgpr18
	s_branch .LBB7_2430
.LBB7_2422:
	s_mov_b32 s0, -1
                                        ; implicit-def: $sgpr18
	s_branch .LBB7_2427
.LBB7_2423:
	s_mov_b32 s0, -1
                                        ; implicit-def: $sgpr18
.LBB7_2424:
	s_delay_alu instid0(SALU_CYCLE_1)
	s_and_not1_b32 vcc_lo, exec_lo, s0
	s_cbranch_vccnz .LBB7_2426
; %bb.2425:
	global_load_b32 v1, v[10:11], off
	s_and_not1_b32 s0, s18, exec_lo
	s_wait_loadcnt 0x0
	v_cmp_ne_u32_e32 vcc_lo, 0, v1
	s_and_b32 s4, vcc_lo, exec_lo
	s_delay_alu instid0(SALU_CYCLE_1)
	s_or_b32 s18, s0, s4
.LBB7_2426:
	s_mov_b32 s0, 0
.LBB7_2427:
	s_delay_alu instid0(SALU_CYCLE_1)
	s_and_not1_b32 vcc_lo, exec_lo, s0
	s_cbranch_vccnz .LBB7_2429
; %bb.2428:
	global_load_u16 v1, v[10:11], off
	s_and_not1_b32 s0, s18, exec_lo
	s_wait_loadcnt 0x0
	v_cmp_ne_u16_e32 vcc_lo, 0, v1
	s_and_b32 s4, vcc_lo, exec_lo
	s_delay_alu instid0(SALU_CYCLE_1)
	s_or_b32 s18, s0, s4
.LBB7_2429:
	s_mov_b32 s0, 0
.LBB7_2430:
	s_delay_alu instid0(SALU_CYCLE_1)
	s_and_not1_b32 vcc_lo, exec_lo, s0
	s_cbranch_vccnz .LBB7_2436
; %bb.2431:
	s_cmp_gt_i32 s15, 0
	s_mov_b32 s0, 0
	s_cbranch_scc0 .LBB7_2433
; %bb.2432:
	global_load_u8 v1, v[10:11], off
	s_wait_loadcnt 0x0
	v_cmp_ne_u16_e64 s18, 0, v1
	s_branch .LBB7_2434
.LBB7_2433:
	s_mov_b32 s0, -1
                                        ; implicit-def: $sgpr18
.LBB7_2434:
	s_delay_alu instid0(SALU_CYCLE_1)
	s_and_not1_b32 vcc_lo, exec_lo, s0
	s_cbranch_vccnz .LBB7_2436
; %bb.2435:
	global_load_u8 v1, v[10:11], off
	s_and_not1_b32 s0, s18, exec_lo
	s_wait_loadcnt 0x0
	v_cmp_ne_u16_e32 vcc_lo, 0, v1
	s_and_b32 s4, vcc_lo, exec_lo
	s_delay_alu instid0(SALU_CYCLE_1)
	s_or_b32 s18, s0, s4
.LBB7_2436:
	s_mov_b32 s4, -1
.LBB7_2437:
	s_delay_alu instid0(SALU_CYCLE_1)
	s_and_not1_b32 vcc_lo, exec_lo, s4
	s_cbranch_vccnz .LBB7_2984
; %bb.2438:
	v_mov_b32_e32 v9, 0
	s_cmp_lt_i32 s16, 11
	s_delay_alu instid0(VALU_DEP_1)
	v_add_nc_u64_e32 v[8:9], s[6:7], v[8:9]
	s_cbranch_scc1 .LBB7_2445
; %bb.2439:
	s_cmp_gt_i32 s16, 25
	s_mov_b32 s5, 0
	s_cbranch_scc0 .LBB7_2446
; %bb.2440:
	s_cmp_gt_i32 s16, 28
	s_cbranch_scc0 .LBB7_2447
; %bb.2441:
	s_cmp_gt_i32 s16, 43
	;; [unrolled: 3-line block ×3, first 2 shown]
	s_cbranch_scc0 .LBB7_2450
; %bb.2443:
	s_cmp_eq_u32 s16, 46
	s_mov_b32 s6, 0
	s_cbranch_scc0 .LBB7_2451
; %bb.2444:
	global_load_b32 v1, v[8:9], off
	s_mov_b32 s0, 0
	s_mov_b32 s4, -1
	s_wait_loadcnt 0x0
	v_and_b32_e32 v1, 0x7fff7fff, v1
	s_delay_alu instid0(VALU_DEP_1)
	v_cmp_ne_u32_e64 s7, 0, v1
	s_branch .LBB7_2453
.LBB7_2445:
	s_mov_b32 s0, -1
	s_mov_b32 s4, 0
                                        ; implicit-def: $sgpr7
	s_branch .LBB7_2501
.LBB7_2446:
	s_mov_b32 s6, -1
	s_mov_b32 s4, 0
	s_mov_b32 s0, 0
                                        ; implicit-def: $sgpr7
	s_branch .LBB7_2474
.LBB7_2447:
	s_mov_b32 s6, -1
	s_mov_b32 s4, 0
	s_mov_b32 s0, 0
                                        ; implicit-def: $sgpr7
	s_branch .LBB7_2461
.LBB7_2448:
	s_mov_b32 s6, -1
	s_mov_b32 s4, 0
	s_mov_b32 s0, 0
                                        ; implicit-def: $sgpr7
	s_branch .LBB7_2456
.LBB7_2449:
	s_mov_b32 s4, 0
	s_or_b32 s1, s1, exec_lo
	s_trap 2
	s_cbranch_execz .LBB7_2386
	s_branch .LBB7_2387
.LBB7_2450:
	s_mov_b32 s6, -1
	s_mov_b32 s4, 0
	s_mov_b32 s0, 0
	s_branch .LBB7_2452
.LBB7_2451:
	s_mov_b32 s0, -1
	s_mov_b32 s4, 0
.LBB7_2452:
                                        ; implicit-def: $sgpr7
.LBB7_2453:
	s_and_b32 vcc_lo, exec_lo, s6
	s_cbranch_vccz .LBB7_2455
; %bb.2454:
	s_cmp_lg_u32 s16, 44
	s_mov_b32 s4, -1
	s_cselect_b32 s0, -1, 0
	s_or_b32 s7, s7, exec_lo
.LBB7_2455:
	s_mov_b32 s6, 0
.LBB7_2456:
	s_delay_alu instid0(SALU_CYCLE_1)
	s_and_b32 vcc_lo, exec_lo, s6
	s_cbranch_vccz .LBB7_2460
; %bb.2457:
	s_cmp_eq_u32 s16, 29
	s_cbranch_scc0 .LBB7_2459
; %bb.2458:
	global_load_b64 v[10:11], v[8:9], off
	s_mov_b32 s0, 0
	s_mov_b32 s4, -1
	s_mov_b32 s6, 0
	s_wait_loadcnt 0x0
	v_cmp_ne_u64_e64 s7, 0, v[10:11]
	s_branch .LBB7_2461
.LBB7_2459:
	s_mov_b32 s0, -1
                                        ; implicit-def: $sgpr7
.LBB7_2460:
	s_mov_b32 s6, 0
.LBB7_2461:
	s_delay_alu instid0(SALU_CYCLE_1)
	s_and_b32 vcc_lo, exec_lo, s6
	s_cbranch_vccz .LBB7_2473
; %bb.2462:
	s_cmp_lt_i32 s16, 27
	s_cbranch_scc1 .LBB7_2465
; %bb.2463:
	s_cmp_gt_i32 s16, 27
	s_cbranch_scc0 .LBB7_2466
; %bb.2464:
	global_load_b32 v1, v[8:9], off
	s_mov_b32 s4, 0
	s_wait_loadcnt 0x0
	v_cmp_ne_u32_e64 s7, 0, v1
	s_branch .LBB7_2467
.LBB7_2465:
	s_mov_b32 s4, -1
                                        ; implicit-def: $sgpr7
	s_branch .LBB7_2470
.LBB7_2466:
	s_mov_b32 s4, -1
                                        ; implicit-def: $sgpr7
.LBB7_2467:
	s_delay_alu instid0(SALU_CYCLE_1)
	s_and_not1_b32 vcc_lo, exec_lo, s4
	s_cbranch_vccnz .LBB7_2469
; %bb.2468:
	global_load_u16 v1, v[8:9], off
	s_and_not1_b32 s4, s7, exec_lo
	s_wait_loadcnt 0x0
	v_cmp_ne_u16_e32 vcc_lo, 0, v1
	s_and_b32 s6, vcc_lo, exec_lo
	s_delay_alu instid0(SALU_CYCLE_1)
	s_or_b32 s7, s4, s6
.LBB7_2469:
	s_mov_b32 s4, 0
.LBB7_2470:
	s_delay_alu instid0(SALU_CYCLE_1)
	s_and_not1_b32 vcc_lo, exec_lo, s4
	s_cbranch_vccnz .LBB7_2472
; %bb.2471:
	global_load_u8 v1, v[8:9], off
	s_and_not1_b32 s4, s7, exec_lo
	s_wait_loadcnt 0x0
	v_cmp_ne_u16_e32 vcc_lo, 0, v1
	s_and_b32 s6, vcc_lo, exec_lo
	s_delay_alu instid0(SALU_CYCLE_1)
	s_or_b32 s7, s4, s6
.LBB7_2472:
	s_mov_b32 s4, -1
.LBB7_2473:
	s_mov_b32 s6, 0
.LBB7_2474:
	s_delay_alu instid0(SALU_CYCLE_1)
	s_and_b32 vcc_lo, exec_lo, s6
	s_cbranch_vccz .LBB7_2497
; %bb.2475:
	s_cmp_gt_i32 s16, 22
	s_cbranch_scc0 .LBB7_2479
; %bb.2476:
	s_cmp_lt_i32 s16, 24
	s_cbranch_scc1 .LBB7_2480
; %bb.2477:
	s_cmp_gt_i32 s16, 24
	s_cbranch_scc0 .LBB7_2481
; %bb.2478:
	global_load_u8 v1, v[8:9], off
	s_mov_b32 s4, 0
	s_wait_loadcnt 0x0
	v_cmp_ne_u16_e64 s7, 0, v1
	s_branch .LBB7_2482
.LBB7_2479:
	s_mov_b32 s5, -1
                                        ; implicit-def: $sgpr7
	s_branch .LBB7_2488
.LBB7_2480:
	s_mov_b32 s4, -1
                                        ; implicit-def: $sgpr7
	s_branch .LBB7_2485
.LBB7_2481:
	s_mov_b32 s4, -1
                                        ; implicit-def: $sgpr7
.LBB7_2482:
	s_delay_alu instid0(SALU_CYCLE_1)
	s_and_not1_b32 vcc_lo, exec_lo, s4
	s_cbranch_vccnz .LBB7_2484
; %bb.2483:
	global_load_u8 v1, v[8:9], off
	s_and_not1_b32 s4, s7, exec_lo
	s_wait_loadcnt 0x0
	v_and_b32_e32 v1, 0x7f, v1
	s_delay_alu instid0(VALU_DEP_1) | instskip(SKIP_1) | instid1(SALU_CYCLE_1)
	v_cmp_ne_u16_e32 vcc_lo, 0, v1
	s_and_b32 s5, vcc_lo, exec_lo
	s_or_b32 s7, s4, s5
.LBB7_2484:
	s_mov_b32 s4, 0
.LBB7_2485:
	s_delay_alu instid0(SALU_CYCLE_1)
	s_and_not1_b32 vcc_lo, exec_lo, s4
	s_cbranch_vccnz .LBB7_2487
; %bb.2486:
	global_load_u8 v1, v[8:9], off
	s_and_not1_b32 s4, s7, exec_lo
	s_wait_loadcnt 0x0
	v_dual_lshlrev_b32 v3, 25, v1 :: v_dual_lshlrev_b32 v1, 8, v1
	s_delay_alu instid0(VALU_DEP_1) | instskip(NEXT) | instid1(VALU_DEP_2)
	v_cmp_gt_u32_e32 vcc_lo, 0x8000000, v3
	v_and_or_b32 v1, 0x7f00, v1, 0.5
	s_delay_alu instid0(VALU_DEP_1) | instskip(NEXT) | instid1(VALU_DEP_1)
	v_dual_lshrrev_b32 v5, 4, v3 :: v_dual_add_f32 v1, -0.5, v1
	v_or_b32_e32 v5, 0x70000000, v5
	s_delay_alu instid0(VALU_DEP_1) | instskip(NEXT) | instid1(VALU_DEP_1)
	v_mul_f32_e32 v5, 0x7800000, v5
	v_cndmask_b32_e32 v1, v5, v1, vcc_lo
	s_delay_alu instid0(VALU_DEP_1) | instskip(SKIP_1) | instid1(SALU_CYCLE_1)
	v_cmp_neq_f32_e32 vcc_lo, 0, v1
	s_and_b32 s5, vcc_lo, exec_lo
	s_or_b32 s7, s4, s5
.LBB7_2487:
	s_mov_b32 s5, 0
	s_mov_b32 s4, -1
.LBB7_2488:
	s_and_not1_b32 vcc_lo, exec_lo, s5
	s_mov_b32 s5, 0
	s_cbranch_vccnz .LBB7_2497
; %bb.2489:
	s_cmp_gt_i32 s16, 14
	s_cbranch_scc0 .LBB7_2492
; %bb.2490:
	s_cmp_eq_u32 s16, 15
	s_cbranch_scc0 .LBB7_2493
; %bb.2491:
	global_load_u16 v1, v[8:9], off
	s_mov_b32 s0, 0
	s_mov_b32 s4, -1
	s_wait_loadcnt 0x0
	v_and_b32_e32 v1, 0x7fff, v1
	s_delay_alu instid0(VALU_DEP_1)
	v_cmp_ne_u16_e64 s7, 0, v1
	s_branch .LBB7_2495
.LBB7_2492:
	s_mov_b32 s5, -1
	s_branch .LBB7_2494
.LBB7_2493:
	s_mov_b32 s0, -1
.LBB7_2494:
                                        ; implicit-def: $sgpr7
.LBB7_2495:
	s_and_b32 vcc_lo, exec_lo, s5
	s_mov_b32 s5, 0
	s_cbranch_vccz .LBB7_2497
; %bb.2496:
	s_cmp_lg_u32 s16, 11
	s_mov_b32 s5, -1
	s_cselect_b32 s0, -1, 0
.LBB7_2497:
	s_delay_alu instid0(SALU_CYCLE_1)
	s_and_b32 vcc_lo, exec_lo, s0
	s_cbranch_vccnz .LBB7_3030
; %bb.2498:
	s_and_not1_b32 vcc_lo, exec_lo, s5
	s_cbranch_vccnz .LBB7_2500
.LBB7_2499:
	global_load_u8 v1, v[8:9], off
	s_and_not1_b32 s0, s7, exec_lo
	s_mov_b32 s4, -1
	s_wait_loadcnt 0x0
	v_cmp_ne_u16_e32 vcc_lo, 0, v1
	s_and_b32 s5, vcc_lo, exec_lo
	s_delay_alu instid0(SALU_CYCLE_1)
	s_or_b32 s7, s0, s5
.LBB7_2500:
	s_mov_b32 s0, 0
.LBB7_2501:
	s_delay_alu instid0(SALU_CYCLE_1)
	s_and_b32 vcc_lo, exec_lo, s0
	s_cbranch_vccz .LBB7_2550
; %bb.2502:
	s_cmp_lt_i32 s16, 5
	s_cbranch_scc1 .LBB7_2507
; %bb.2503:
	s_cmp_lt_i32 s16, 8
	s_cbranch_scc1 .LBB7_2508
	;; [unrolled: 3-line block ×3, first 2 shown]
; %bb.2505:
	s_cmp_gt_i32 s16, 9
	s_cbranch_scc0 .LBB7_2510
; %bb.2506:
	global_load_b128 v[10:13], v[8:9], off
	s_wait_loadcnt 0x0
	v_cmp_neq_f64_e32 vcc_lo, 0, v[10:11]
	v_cmp_neq_f64_e64 s0, 0, v[12:13]
	s_or_b32 s7, vcc_lo, s0
	s_mov_b32 s0, 0
	s_branch .LBB7_2511
.LBB7_2507:
	s_mov_b32 s0, -1
                                        ; implicit-def: $sgpr7
	s_branch .LBB7_2529
.LBB7_2508:
	s_mov_b32 s0, -1
                                        ; implicit-def: $sgpr7
	s_branch .LBB7_2517
.LBB7_2509:
	s_mov_b32 s0, -1
                                        ; implicit-def: $sgpr7
	s_branch .LBB7_2514
.LBB7_2510:
	s_mov_b32 s0, -1
                                        ; implicit-def: $sgpr7
.LBB7_2511:
	s_delay_alu instid0(SALU_CYCLE_1)
	s_and_not1_b32 vcc_lo, exec_lo, s0
	s_cbranch_vccnz .LBB7_2513
; %bb.2512:
	global_load_b64 v[10:11], v[8:9], off
	s_and_not1_b32 s0, s7, exec_lo
	s_wait_loadcnt 0x0
	v_bitop3_b32 v1, v10, 0x7fffffff, v11 bitop3:0xc8
	s_delay_alu instid0(VALU_DEP_1) | instskip(SKIP_1) | instid1(SALU_CYCLE_1)
	v_cmp_ne_u32_e32 vcc_lo, 0, v1
	s_and_b32 s4, vcc_lo, exec_lo
	s_or_b32 s7, s0, s4
.LBB7_2513:
	s_mov_b32 s0, 0
.LBB7_2514:
	s_delay_alu instid0(SALU_CYCLE_1)
	s_and_not1_b32 vcc_lo, exec_lo, s0
	s_cbranch_vccnz .LBB7_2516
; %bb.2515:
	global_load_b32 v1, v[8:9], off
	s_and_not1_b32 s0, s7, exec_lo
	s_wait_loadcnt 0x0
	v_and_b32_e32 v1, 0x7fff7fff, v1
	s_delay_alu instid0(VALU_DEP_1) | instskip(SKIP_1) | instid1(SALU_CYCLE_1)
	v_cmp_ne_u32_e32 vcc_lo, 0, v1
	s_and_b32 s4, vcc_lo, exec_lo
	s_or_b32 s7, s0, s4
.LBB7_2516:
	s_mov_b32 s0, 0
.LBB7_2517:
	s_delay_alu instid0(SALU_CYCLE_1)
	s_and_not1_b32 vcc_lo, exec_lo, s0
	s_cbranch_vccnz .LBB7_2528
; %bb.2518:
	s_cmp_lt_i32 s16, 6
	s_cbranch_scc1 .LBB7_2521
; %bb.2519:
	s_cmp_gt_i32 s16, 6
	s_cbranch_scc0 .LBB7_2522
; %bb.2520:
	global_load_b64 v[10:11], v[8:9], off
	s_mov_b32 s0, 0
	s_wait_loadcnt 0x0
	v_cmp_neq_f64_e64 s7, 0, v[10:11]
	s_branch .LBB7_2523
.LBB7_2521:
	s_mov_b32 s0, -1
                                        ; implicit-def: $sgpr7
	s_branch .LBB7_2526
.LBB7_2522:
	s_mov_b32 s0, -1
                                        ; implicit-def: $sgpr7
.LBB7_2523:
	s_delay_alu instid0(SALU_CYCLE_1)
	s_and_not1_b32 vcc_lo, exec_lo, s0
	s_cbranch_vccnz .LBB7_2525
; %bb.2524:
	global_load_b32 v1, v[8:9], off
	s_and_not1_b32 s0, s7, exec_lo
	s_wait_loadcnt 0x0
	v_cmp_neq_f32_e32 vcc_lo, 0, v1
	s_and_b32 s4, vcc_lo, exec_lo
	s_delay_alu instid0(SALU_CYCLE_1)
	s_or_b32 s7, s0, s4
.LBB7_2525:
	s_mov_b32 s0, 0
.LBB7_2526:
	s_delay_alu instid0(SALU_CYCLE_1)
	s_and_not1_b32 vcc_lo, exec_lo, s0
	s_cbranch_vccnz .LBB7_2528
; %bb.2527:
	global_load_u16 v1, v[8:9], off
	s_and_not1_b32 s0, s7, exec_lo
	s_wait_loadcnt 0x0
	v_and_b32_e32 v1, 0x7fff, v1
	s_delay_alu instid0(VALU_DEP_1) | instskip(SKIP_1) | instid1(SALU_CYCLE_1)
	v_cmp_ne_u16_e32 vcc_lo, 0, v1
	s_and_b32 s4, vcc_lo, exec_lo
	s_or_b32 s7, s0, s4
.LBB7_2528:
	s_mov_b32 s0, 0
.LBB7_2529:
	s_delay_alu instid0(SALU_CYCLE_1)
	s_and_not1_b32 vcc_lo, exec_lo, s0
	s_cbranch_vccnz .LBB7_2549
; %bb.2530:
	s_cmp_lt_i32 s16, 2
	s_cbranch_scc1 .LBB7_2534
; %bb.2531:
	s_cmp_lt_i32 s16, 3
	s_cbranch_scc1 .LBB7_2535
; %bb.2532:
	s_cmp_gt_i32 s16, 3
	s_cbranch_scc0 .LBB7_2536
; %bb.2533:
	global_load_b64 v[10:11], v[8:9], off
	s_mov_b32 s0, 0
	s_wait_loadcnt 0x0
	v_cmp_ne_u64_e64 s7, 0, v[10:11]
	s_branch .LBB7_2537
.LBB7_2534:
	s_mov_b32 s0, -1
                                        ; implicit-def: $sgpr7
	s_branch .LBB7_2543
.LBB7_2535:
	s_mov_b32 s0, -1
                                        ; implicit-def: $sgpr7
	s_branch .LBB7_2540
.LBB7_2536:
	s_mov_b32 s0, -1
                                        ; implicit-def: $sgpr7
.LBB7_2537:
	s_delay_alu instid0(SALU_CYCLE_1)
	s_and_not1_b32 vcc_lo, exec_lo, s0
	s_cbranch_vccnz .LBB7_2539
; %bb.2538:
	global_load_b32 v1, v[8:9], off
	s_and_not1_b32 s0, s7, exec_lo
	s_wait_loadcnt 0x0
	v_cmp_ne_u32_e32 vcc_lo, 0, v1
	s_and_b32 s4, vcc_lo, exec_lo
	s_delay_alu instid0(SALU_CYCLE_1)
	s_or_b32 s7, s0, s4
.LBB7_2539:
	s_mov_b32 s0, 0
.LBB7_2540:
	s_delay_alu instid0(SALU_CYCLE_1)
	s_and_not1_b32 vcc_lo, exec_lo, s0
	s_cbranch_vccnz .LBB7_2542
; %bb.2541:
	global_load_u16 v1, v[8:9], off
	s_and_not1_b32 s0, s7, exec_lo
	s_wait_loadcnt 0x0
	v_cmp_ne_u16_e32 vcc_lo, 0, v1
	s_and_b32 s4, vcc_lo, exec_lo
	s_delay_alu instid0(SALU_CYCLE_1)
	s_or_b32 s7, s0, s4
.LBB7_2542:
	s_mov_b32 s0, 0
.LBB7_2543:
	s_delay_alu instid0(SALU_CYCLE_1)
	s_and_not1_b32 vcc_lo, exec_lo, s0
	s_cbranch_vccnz .LBB7_2549
; %bb.2544:
	s_cmp_gt_i32 s16, 0
	s_mov_b32 s0, 0
	s_cbranch_scc0 .LBB7_2546
; %bb.2545:
	global_load_u8 v1, v[8:9], off
	s_wait_loadcnt 0x0
	v_cmp_ne_u16_e64 s7, 0, v1
	s_branch .LBB7_2547
.LBB7_2546:
	s_mov_b32 s0, -1
                                        ; implicit-def: $sgpr7
.LBB7_2547:
	s_delay_alu instid0(SALU_CYCLE_1)
	s_and_not1_b32 vcc_lo, exec_lo, s0
	s_cbranch_vccnz .LBB7_2549
; %bb.2548:
	global_load_u8 v1, v[8:9], off
	s_and_not1_b32 s0, s7, exec_lo
	s_wait_loadcnt 0x0
	v_cmp_ne_u16_e32 vcc_lo, 0, v1
	s_and_b32 s4, vcc_lo, exec_lo
	s_delay_alu instid0(SALU_CYCLE_1)
	s_or_b32 s7, s0, s4
.LBB7_2549:
	s_mov_b32 s4, -1
.LBB7_2550:
	s_delay_alu instid0(SALU_CYCLE_1)
	s_and_not1_b32 vcc_lo, exec_lo, s4
	s_cbranch_vccnz .LBB7_2984
; %bb.2551:
	v_mov_b32_e32 v7, 0
	s_clause 0x1
	s_load_b32 s0, s[2:3], 0x1e8
	s_load_b64 s[4:5], s[2:3], 0x1c8
	global_load_u8 v1, v7, s[2:3] offset:489
	s_wait_kmcnt 0x0
	s_bitcmp1_b32 s0, 0
	s_wait_xcnt 0x0
	v_add_nc_u64_e32 v[6:7], s[4:5], v[6:7]
	s_cselect_b32 s2, -1, 0
	s_and_b32 s0, s10, s11
	s_delay_alu instid0(SALU_CYCLE_1) | instskip(SKIP_3) | instid1(VALU_DEP_2)
	s_and_b32 s3, s0, s2
	s_wait_loadcnt 0x0
	v_and_b32_e32 v3, 0xffff, v1
	v_readfirstlane_b32 s6, v1
	v_cmp_gt_i32_e32 vcc_lo, 11, v3
	s_cbranch_vccnz .LBB7_2629
; %bb.2552:
	s_and_b32 s10, 0xffff, s6
	s_mov_b32 s16, -1
	s_mov_b32 s11, 0
	s_cmp_gt_i32 s10, 25
	s_mov_b32 s15, 0
	s_mov_b32 s0, 0
	s_cbranch_scc0 .LBB7_2585
; %bb.2553:
	s_cmp_gt_i32 s10, 28
	s_cbranch_scc0 .LBB7_2568
; %bb.2554:
	s_cmp_gt_i32 s10, 43
	;; [unrolled: 3-line block ×3, first 2 shown]
	s_cbranch_scc0 .LBB7_2558
; %bb.2556:
	s_mov_b32 s0, -1
	s_mov_b32 s16, 0
	s_cmp_eq_u32 s10, 46
	s_cbranch_scc0 .LBB7_2558
; %bb.2557:
	v_cndmask_b32_e64 v1, 0, 1.0, s3
	s_mov_b32 s0, 0
	s_mov_b32 s15, -1
	s_delay_alu instid0(VALU_DEP_1) | instskip(NEXT) | instid1(VALU_DEP_1)
	v_bfe_u32 v3, v1, 16, 1
	v_add3_u32 v1, v1, v3, 0x7fff
	s_delay_alu instid0(VALU_DEP_1)
	v_lshrrev_b32_e32 v1, 16, v1
	global_store_b32 v[6:7], v1, off
.LBB7_2558:
	s_and_b32 vcc_lo, exec_lo, s16
	s_cbranch_vccz .LBB7_2563
; %bb.2559:
	s_cmp_eq_u32 s10, 44
	s_mov_b32 s0, -1
	s_cbranch_scc0 .LBB7_2563
; %bb.2560:
	v_cndmask_b32_e64 v5, 0, 1.0, s3
	v_mov_b32_e32 v3, 0xff
	s_mov_b32 s15, exec_lo
	s_wait_xcnt 0x0
	s_delay_alu instid0(VALU_DEP_2) | instskip(NEXT) | instid1(VALU_DEP_1)
	v_lshrrev_b32_e32 v1, 23, v5
	v_cmpx_ne_u32_e32 0xff, v1
; %bb.2561:
	v_and_b32_e32 v3, 0x400000, v5
	v_and_or_b32 v5, 0x3fffff, v5, v1
	s_delay_alu instid0(VALU_DEP_2) | instskip(NEXT) | instid1(VALU_DEP_2)
	v_cmp_ne_u32_e32 vcc_lo, 0, v3
	v_cmp_ne_u32_e64 s0, 0, v5
	s_and_b32 s0, vcc_lo, s0
	s_delay_alu instid0(SALU_CYCLE_1) | instskip(NEXT) | instid1(VALU_DEP_1)
	v_cndmask_b32_e64 v3, 0, 1, s0
	v_add_nc_u32_e32 v3, v1, v3
; %bb.2562:
	s_or_b32 exec_lo, exec_lo, s15
	s_mov_b32 s0, 0
	s_mov_b32 s15, -1
	global_store_b8 v[6:7], v3, off
.LBB7_2563:
	s_mov_b32 s16, 0
.LBB7_2564:
	s_delay_alu instid0(SALU_CYCLE_1)
	s_and_b32 vcc_lo, exec_lo, s16
	s_cbranch_vccz .LBB7_2567
; %bb.2565:
	s_cmp_eq_u32 s10, 29
	s_mov_b32 s0, -1
	s_cbranch_scc0 .LBB7_2567
; %bb.2566:
	s_mov_b32 s0, 0
	v_cndmask_b32_e64 v8, 0, 1, s3
	v_mov_b32_e32 v9, s0
	s_mov_b32 s15, -1
	global_store_b64 v[6:7], v[8:9], off
.LBB7_2567:
	s_mov_b32 s16, 0
.LBB7_2568:
	s_delay_alu instid0(SALU_CYCLE_1)
	s_and_b32 vcc_lo, exec_lo, s16
	s_cbranch_vccz .LBB7_2584
; %bb.2569:
	s_cmp_lt_i32 s10, 27
	s_mov_b32 s15, -1
	s_cbranch_scc1 .LBB7_2575
; %bb.2570:
	s_cmp_gt_i32 s10, 27
	s_cbranch_scc0 .LBB7_2572
; %bb.2571:
	s_wait_xcnt 0x0
	v_cndmask_b32_e64 v1, 0, 1, s3
	s_mov_b32 s15, 0
	global_store_b32 v[6:7], v1, off
.LBB7_2572:
	s_and_not1_b32 vcc_lo, exec_lo, s15
	s_cbranch_vccnz .LBB7_2574
; %bb.2573:
	s_wait_xcnt 0x0
	v_cndmask_b32_e64 v1, 0, 1, s3
	global_store_b16 v[6:7], v1, off
.LBB7_2574:
	s_mov_b32 s15, 0
.LBB7_2575:
	s_delay_alu instid0(SALU_CYCLE_1)
	s_and_not1_b32 vcc_lo, exec_lo, s15
	s_cbranch_vccnz .LBB7_2583
; %bb.2576:
	s_wait_xcnt 0x0
	v_cndmask_b32_e64 v3, 0, 1.0, s3
	v_mov_b32_e32 v5, 0x80
	s_mov_b32 s15, exec_lo
	s_delay_alu instid0(VALU_DEP_2)
	v_cmpx_gt_u32_e32 0x43800000, v3
	s_cbranch_execz .LBB7_2582
; %bb.2577:
	s_mov_b32 s16, 0
	s_mov_b32 s19, exec_lo
                                        ; implicit-def: $vgpr1
	v_cmpx_lt_u32_e32 0x3bffffff, v3
	s_xor_b32 s19, exec_lo, s19
	s_cbranch_execnz .LBB7_3032
; %bb.2578:
	s_and_not1_saveexec_b32 s19, s19
	s_cbranch_execnz .LBB7_3033
.LBB7_2579:
	s_or_b32 exec_lo, exec_lo, s19
	v_mov_b32_e32 v5, 0
	s_and_saveexec_b32 s19, s16
.LBB7_2580:
	v_mov_b32_e32 v5, v1
.LBB7_2581:
	s_or_b32 exec_lo, exec_lo, s19
.LBB7_2582:
	s_delay_alu instid0(SALU_CYCLE_1)
	s_or_b32 exec_lo, exec_lo, s15
	global_store_b8 v[6:7], v5, off
.LBB7_2583:
	s_mov_b32 s15, -1
.LBB7_2584:
	s_mov_b32 s16, 0
.LBB7_2585:
	s_delay_alu instid0(SALU_CYCLE_1)
	s_and_b32 vcc_lo, exec_lo, s16
	s_cbranch_vccz .LBB7_2625
; %bb.2586:
	s_cmp_gt_i32 s10, 22
	s_mov_b32 s11, -1
	s_cbranch_scc0 .LBB7_2618
; %bb.2587:
	s_cmp_lt_i32 s10, 24
	s_cbranch_scc1 .LBB7_2607
; %bb.2588:
	s_cmp_gt_i32 s10, 24
	s_cbranch_scc0 .LBB7_2596
; %bb.2589:
	s_wait_xcnt 0x0
	v_cndmask_b32_e64 v3, 0, 1.0, s3
	v_mov_b32_e32 v5, 0x80
	s_mov_b32 s11, exec_lo
	s_delay_alu instid0(VALU_DEP_2)
	v_cmpx_gt_u32_e32 0x47800000, v3
	s_cbranch_execz .LBB7_2595
; %bb.2590:
	s_mov_b32 s15, 0
	s_mov_b32 s16, exec_lo
                                        ; implicit-def: $vgpr1
	v_cmpx_lt_u32_e32 0x37ffffff, v3
	s_xor_b32 s16, exec_lo, s16
	s_cbranch_execnz .LBB7_3035
; %bb.2591:
	s_and_not1_saveexec_b32 s16, s16
	s_cbranch_execnz .LBB7_3036
.LBB7_2592:
	s_or_b32 exec_lo, exec_lo, s16
	v_mov_b32_e32 v5, 0
	s_and_saveexec_b32 s16, s15
.LBB7_2593:
	v_mov_b32_e32 v5, v1
.LBB7_2594:
	s_or_b32 exec_lo, exec_lo, s16
.LBB7_2595:
	s_delay_alu instid0(SALU_CYCLE_1)
	s_or_b32 exec_lo, exec_lo, s11
	s_mov_b32 s11, 0
	global_store_b8 v[6:7], v5, off
.LBB7_2596:
	s_and_b32 vcc_lo, exec_lo, s11
	s_cbranch_vccz .LBB7_2606
; %bb.2597:
	s_wait_xcnt 0x0
	v_cndmask_b32_e64 v3, 0, 1.0, s3
	s_mov_b32 s11, exec_lo
                                        ; implicit-def: $vgpr1
	s_delay_alu instid0(VALU_DEP_1)
	v_cmpx_gt_u32_e32 0x43f00000, v3
	s_xor_b32 s11, exec_lo, s11
	s_cbranch_execz .LBB7_2603
; %bb.2598:
	s_mov_b32 s15, exec_lo
                                        ; implicit-def: $vgpr1
	v_cmpx_lt_u32_e32 0x3c7fffff, v3
	s_xor_b32 s15, exec_lo, s15
; %bb.2599:
	v_bfe_u32 v1, v3, 20, 1
	s_delay_alu instid0(VALU_DEP_1) | instskip(NEXT) | instid1(VALU_DEP_1)
	v_add3_u32 v1, v3, v1, 0x407ffff
	v_and_b32_e32 v3, 0xff00000, v1
	v_lshrrev_b32_e32 v1, 20, v1
	s_delay_alu instid0(VALU_DEP_2) | instskip(NEXT) | instid1(VALU_DEP_2)
	v_cmp_ne_u32_e32 vcc_lo, 0x7f00000, v3
                                        ; implicit-def: $vgpr3
	v_cndmask_b32_e32 v1, 0x7e, v1, vcc_lo
; %bb.2600:
	s_and_not1_saveexec_b32 s15, s15
; %bb.2601:
	v_add_f32_e32 v1, 0x46800000, v3
; %bb.2602:
	s_or_b32 exec_lo, exec_lo, s15
                                        ; implicit-def: $vgpr3
.LBB7_2603:
	s_and_not1_saveexec_b32 s11, s11
; %bb.2604:
	v_mov_b32_e32 v1, 0x7f
	v_cmp_lt_u32_e32 vcc_lo, 0x7f800000, v3
	s_delay_alu instid0(VALU_DEP_2)
	v_cndmask_b32_e32 v1, 0x7e, v1, vcc_lo
; %bb.2605:
	s_or_b32 exec_lo, exec_lo, s11
	global_store_b8 v[6:7], v1, off
.LBB7_2606:
	s_mov_b32 s11, 0
.LBB7_2607:
	s_delay_alu instid0(SALU_CYCLE_1)
	s_and_not1_b32 vcc_lo, exec_lo, s11
	s_cbranch_vccnz .LBB7_2617
; %bb.2608:
	s_wait_xcnt 0x0
	v_cndmask_b32_e64 v3, 0, 1.0, s3
	s_mov_b32 s11, exec_lo
                                        ; implicit-def: $vgpr1
	s_delay_alu instid0(VALU_DEP_1)
	v_cmpx_gt_u32_e32 0x47800000, v3
	s_xor_b32 s11, exec_lo, s11
	s_cbranch_execz .LBB7_2614
; %bb.2609:
	s_mov_b32 s15, exec_lo
                                        ; implicit-def: $vgpr1
	v_cmpx_lt_u32_e32 0x387fffff, v3
	s_xor_b32 s15, exec_lo, s15
; %bb.2610:
	v_bfe_u32 v1, v3, 21, 1
	s_delay_alu instid0(VALU_DEP_1) | instskip(NEXT) | instid1(VALU_DEP_1)
	v_add3_u32 v1, v3, v1, 0x80fffff
                                        ; implicit-def: $vgpr3
	v_lshrrev_b32_e32 v1, 21, v1
; %bb.2611:
	s_and_not1_saveexec_b32 s15, s15
; %bb.2612:
	v_add_f32_e32 v1, 0x43000000, v3
; %bb.2613:
	s_or_b32 exec_lo, exec_lo, s15
                                        ; implicit-def: $vgpr3
.LBB7_2614:
	s_and_not1_saveexec_b32 s11, s11
; %bb.2615:
	v_mov_b32_e32 v1, 0x7f
	v_cmp_lt_u32_e32 vcc_lo, 0x7f800000, v3
	s_delay_alu instid0(VALU_DEP_2)
	v_cndmask_b32_e32 v1, 0x7c, v1, vcc_lo
; %bb.2616:
	s_or_b32 exec_lo, exec_lo, s11
	global_store_b8 v[6:7], v1, off
.LBB7_2617:
	s_mov_b32 s11, 0
	s_mov_b32 s15, -1
.LBB7_2618:
	s_and_not1_b32 vcc_lo, exec_lo, s11
	s_mov_b32 s11, 0
	s_cbranch_vccnz .LBB7_2625
; %bb.2619:
	s_cmp_gt_i32 s10, 14
	s_mov_b32 s11, -1
	s_cbranch_scc0 .LBB7_2623
; %bb.2620:
	s_cmp_eq_u32 s10, 15
	s_mov_b32 s0, -1
	s_cbranch_scc0 .LBB7_2622
; %bb.2621:
	s_wait_xcnt 0x0
	v_cndmask_b32_e64 v1, 0, 1.0, s3
	s_mov_b32 s0, 0
	s_mov_b32 s15, -1
	s_delay_alu instid0(VALU_DEP_1) | instskip(NEXT) | instid1(VALU_DEP_1)
	v_bfe_u32 v3, v1, 16, 1
	v_add3_u32 v1, v1, v3, 0x7fff
	global_store_d16_hi_b16 v[6:7], v1, off
.LBB7_2622:
	s_mov_b32 s11, 0
.LBB7_2623:
	s_delay_alu instid0(SALU_CYCLE_1)
	s_and_b32 vcc_lo, exec_lo, s11
	s_mov_b32 s11, 0
	s_cbranch_vccz .LBB7_2625
; %bb.2624:
	s_cmp_lg_u32 s10, 11
	s_mov_b32 s11, -1
	s_cselect_b32 s0, -1, 0
.LBB7_2625:
	s_delay_alu instid0(SALU_CYCLE_1)
	s_and_b32 vcc_lo, exec_lo, s0
	s_cbranch_vccnz .LBB7_3031
; %bb.2626:
	s_and_not1_b32 vcc_lo, exec_lo, s11
	s_cbranch_vccnz .LBB7_2628
.LBB7_2627:
	s_wait_xcnt 0x0
	v_cndmask_b32_e64 v1, 0, 1, s3
	s_mov_b32 s15, -1
	global_store_b8 v[6:7], v1, off
.LBB7_2628:
	s_mov_b32 s0, 0
	s_branch .LBB7_2630
.LBB7_2629:
	s_mov_b32 s0, -1
	s_mov_b32 s15, 0
.LBB7_2630:
	s_and_b32 vcc_lo, exec_lo, s0
	s_cbranch_vccz .LBB7_2669
; %bb.2631:
	s_and_b32 s0, 0xffff, s6
	s_mov_b32 s10, -1
	s_cmp_lt_i32 s0, 5
	s_cbranch_scc1 .LBB7_2652
; %bb.2632:
	s_cmp_lt_i32 s0, 8
	s_cbranch_scc1 .LBB7_2642
; %bb.2633:
	;; [unrolled: 3-line block ×3, first 2 shown]
	s_cmp_gt_i32 s0, 9
	s_cbranch_scc0 .LBB7_2636
; %bb.2635:
	s_wait_xcnt 0x0
	v_cndmask_b32_e64 v1, 0, 1, s3
	v_mov_b32_e32 v10, 0
	s_mov_b32 s10, 0
	s_delay_alu instid0(VALU_DEP_2) | instskip(NEXT) | instid1(VALU_DEP_2)
	v_cvt_f64_u32_e32 v[8:9], v1
	v_mov_b32_e32 v11, v10
	global_store_b128 v[6:7], v[8:11], off
.LBB7_2636:
	s_and_not1_b32 vcc_lo, exec_lo, s10
	s_cbranch_vccnz .LBB7_2638
; %bb.2637:
	s_wait_xcnt 0x0
	v_cndmask_b32_e64 v8, 0, 1.0, s3
	v_mov_b32_e32 v9, 0
	global_store_b64 v[6:7], v[8:9], off
.LBB7_2638:
	s_mov_b32 s10, 0
.LBB7_2639:
	s_delay_alu instid0(SALU_CYCLE_1)
	s_and_not1_b32 vcc_lo, exec_lo, s10
	s_cbranch_vccnz .LBB7_2641
; %bb.2640:
	s_wait_xcnt 0x0
	v_cndmask_b32_e64 v1, 0, 1.0, s3
	s_delay_alu instid0(VALU_DEP_1) | instskip(NEXT) | instid1(VALU_DEP_1)
	v_cvt_f16_f32_e32 v1, v1
	v_and_b32_e32 v1, 0xffff, v1
	global_store_b32 v[6:7], v1, off
.LBB7_2641:
	s_mov_b32 s10, 0
.LBB7_2642:
	s_delay_alu instid0(SALU_CYCLE_1)
	s_and_not1_b32 vcc_lo, exec_lo, s10
	s_cbranch_vccnz .LBB7_2651
; %bb.2643:
	s_cmp_lt_i32 s0, 6
	s_mov_b32 s10, -1
	s_cbranch_scc1 .LBB7_2649
; %bb.2644:
	s_cmp_gt_i32 s0, 6
	s_cbranch_scc0 .LBB7_2646
; %bb.2645:
	s_wait_xcnt 0x0
	v_cndmask_b32_e64 v1, 0, 1, s3
	s_mov_b32 s10, 0
	s_delay_alu instid0(VALU_DEP_1)
	v_cvt_f64_u32_e32 v[8:9], v1
	global_store_b64 v[6:7], v[8:9], off
.LBB7_2646:
	s_and_not1_b32 vcc_lo, exec_lo, s10
	s_cbranch_vccnz .LBB7_2648
; %bb.2647:
	s_wait_xcnt 0x0
	v_cndmask_b32_e64 v1, 0, 1.0, s3
	global_store_b32 v[6:7], v1, off
.LBB7_2648:
	s_mov_b32 s10, 0
.LBB7_2649:
	s_delay_alu instid0(SALU_CYCLE_1)
	s_and_not1_b32 vcc_lo, exec_lo, s10
	s_cbranch_vccnz .LBB7_2651
; %bb.2650:
	s_wait_xcnt 0x0
	v_cndmask_b32_e64 v1, 0, 1.0, s3
	s_delay_alu instid0(VALU_DEP_1)
	v_cvt_f16_f32_e32 v1, v1
	global_store_b16 v[6:7], v1, off
.LBB7_2651:
	s_mov_b32 s10, 0
.LBB7_2652:
	s_delay_alu instid0(SALU_CYCLE_1)
	s_and_not1_b32 vcc_lo, exec_lo, s10
	s_cbranch_vccnz .LBB7_2668
; %bb.2653:
	s_cmp_lt_i32 s0, 2
	s_mov_b32 s10, -1
	s_cbranch_scc1 .LBB7_2663
; %bb.2654:
	s_cmp_lt_i32 s0, 3
	s_cbranch_scc1 .LBB7_2660
; %bb.2655:
	s_cmp_gt_i32 s0, 3
	s_cbranch_scc0 .LBB7_2657
; %bb.2656:
	s_mov_b32 s10, 0
	s_wait_xcnt 0x0
	v_cndmask_b32_e64 v8, 0, 1, s3
	v_mov_b32_e32 v9, s10
	global_store_b64 v[6:7], v[8:9], off
.LBB7_2657:
	s_and_not1_b32 vcc_lo, exec_lo, s10
	s_cbranch_vccnz .LBB7_2659
; %bb.2658:
	s_wait_xcnt 0x0
	v_cndmask_b32_e64 v1, 0, 1, s3
	global_store_b32 v[6:7], v1, off
.LBB7_2659:
	s_mov_b32 s10, 0
.LBB7_2660:
	s_delay_alu instid0(SALU_CYCLE_1)
	s_and_not1_b32 vcc_lo, exec_lo, s10
	s_cbranch_vccnz .LBB7_2662
; %bb.2661:
	s_wait_xcnt 0x0
	v_cndmask_b32_e64 v1, 0, 1, s3
	global_store_b16 v[6:7], v1, off
.LBB7_2662:
	s_mov_b32 s10, 0
.LBB7_2663:
	s_delay_alu instid0(SALU_CYCLE_1)
	s_and_not1_b32 vcc_lo, exec_lo, s10
	s_cbranch_vccnz .LBB7_2668
; %bb.2664:
	s_wait_xcnt 0x0
	v_cndmask_b32_e64 v1, 0, 1, s3
	s_cmp_gt_i32 s0, 0
	s_mov_b32 s0, -1
	s_cbranch_scc0 .LBB7_2666
; %bb.2665:
	s_mov_b32 s0, 0
	global_store_b8 v[6:7], v1, off
.LBB7_2666:
	s_and_not1_b32 vcc_lo, exec_lo, s0
	s_cbranch_vccnz .LBB7_2668
; %bb.2667:
	global_store_b8 v[6:7], v1, off
.LBB7_2668:
	s_mov_b32 s15, -1
.LBB7_2669:
	s_delay_alu instid0(SALU_CYCLE_1)
	s_and_not1_b32 vcc_lo, exec_lo, s15
	s_cbranch_vccnz .LBB7_2984
; %bb.2670:
	s_wait_xcnt 0x0
	v_mov_b32_e32 v5, 0
	s_and_b32 s0, s12, s13
	s_and_b32 s3, 0xffff, s6
	;; [unrolled: 1-line block ×3, first 2 shown]
	s_cmp_lt_i32 s3, 11
	v_add_nc_u64_e32 v[4:5], s[4:5], v[4:5]
	s_cbranch_scc1 .LBB7_2748
; %bb.2671:
	s_mov_b32 s13, -1
	s_mov_b32 s11, 0
	s_cmp_gt_i32 s3, 25
	s_mov_b32 s12, 0
	s_mov_b32 s0, 0
	s_cbranch_scc0 .LBB7_2704
; %bb.2672:
	s_cmp_gt_i32 s3, 28
	s_cbranch_scc0 .LBB7_2687
; %bb.2673:
	s_cmp_gt_i32 s3, 43
	;; [unrolled: 3-line block ×3, first 2 shown]
	s_cbranch_scc0 .LBB7_2677
; %bb.2675:
	s_mov_b32 s0, -1
	s_mov_b32 s13, 0
	s_cmp_eq_u32 s3, 46
	s_cbranch_scc0 .LBB7_2677
; %bb.2676:
	v_cndmask_b32_e64 v1, 0, 1.0, s10
	s_mov_b32 s0, 0
	s_mov_b32 s12, -1
	s_delay_alu instid0(VALU_DEP_1) | instskip(NEXT) | instid1(VALU_DEP_1)
	v_bfe_u32 v3, v1, 16, 1
	v_add3_u32 v1, v1, v3, 0x7fff
	s_delay_alu instid0(VALU_DEP_1)
	v_lshrrev_b32_e32 v1, 16, v1
	global_store_b32 v[4:5], v1, off
.LBB7_2677:
	s_and_b32 vcc_lo, exec_lo, s13
	s_cbranch_vccz .LBB7_2682
; %bb.2678:
	s_cmp_eq_u32 s3, 44
	s_mov_b32 s0, -1
	s_cbranch_scc0 .LBB7_2682
; %bb.2679:
	v_cndmask_b32_e64 v6, 0, 1.0, s10
	v_mov_b32_e32 v3, 0xff
	s_mov_b32 s12, exec_lo
	s_wait_xcnt 0x0
	s_delay_alu instid0(VALU_DEP_2) | instskip(NEXT) | instid1(VALU_DEP_1)
	v_lshrrev_b32_e32 v1, 23, v6
	v_cmpx_ne_u32_e32 0xff, v1
; %bb.2680:
	v_and_b32_e32 v3, 0x400000, v6
	v_and_or_b32 v6, 0x3fffff, v6, v1
	s_delay_alu instid0(VALU_DEP_2) | instskip(NEXT) | instid1(VALU_DEP_2)
	v_cmp_ne_u32_e32 vcc_lo, 0, v3
	v_cmp_ne_u32_e64 s0, 0, v6
	s_and_b32 s0, vcc_lo, s0
	s_delay_alu instid0(SALU_CYCLE_1) | instskip(NEXT) | instid1(VALU_DEP_1)
	v_cndmask_b32_e64 v3, 0, 1, s0
	v_add_nc_u32_e32 v3, v1, v3
; %bb.2681:
	s_or_b32 exec_lo, exec_lo, s12
	s_mov_b32 s0, 0
	s_mov_b32 s12, -1
	global_store_b8 v[4:5], v3, off
.LBB7_2682:
	s_mov_b32 s13, 0
.LBB7_2683:
	s_delay_alu instid0(SALU_CYCLE_1)
	s_and_b32 vcc_lo, exec_lo, s13
	s_cbranch_vccz .LBB7_2686
; %bb.2684:
	s_cmp_eq_u32 s3, 29
	s_mov_b32 s0, -1
	s_cbranch_scc0 .LBB7_2686
; %bb.2685:
	s_mov_b32 s0, 0
	v_cndmask_b32_e64 v6, 0, 1, s10
	v_mov_b32_e32 v7, s0
	s_mov_b32 s12, -1
	global_store_b64 v[4:5], v[6:7], off
.LBB7_2686:
	s_mov_b32 s13, 0
.LBB7_2687:
	s_delay_alu instid0(SALU_CYCLE_1)
	s_and_b32 vcc_lo, exec_lo, s13
	s_cbranch_vccz .LBB7_2703
; %bb.2688:
	s_cmp_lt_i32 s3, 27
	s_mov_b32 s12, -1
	s_cbranch_scc1 .LBB7_2694
; %bb.2689:
	s_cmp_gt_i32 s3, 27
	s_cbranch_scc0 .LBB7_2691
; %bb.2690:
	s_wait_xcnt 0x0
	v_cndmask_b32_e64 v1, 0, 1, s10
	s_mov_b32 s12, 0
	global_store_b32 v[4:5], v1, off
.LBB7_2691:
	s_and_not1_b32 vcc_lo, exec_lo, s12
	s_cbranch_vccnz .LBB7_2693
; %bb.2692:
	s_wait_xcnt 0x0
	v_cndmask_b32_e64 v1, 0, 1, s10
	global_store_b16 v[4:5], v1, off
.LBB7_2693:
	s_mov_b32 s12, 0
.LBB7_2694:
	s_delay_alu instid0(SALU_CYCLE_1)
	s_and_not1_b32 vcc_lo, exec_lo, s12
	s_cbranch_vccnz .LBB7_2702
; %bb.2695:
	s_wait_xcnt 0x0
	v_cndmask_b32_e64 v3, 0, 1.0, s10
	v_mov_b32_e32 v6, 0x80
	s_mov_b32 s12, exec_lo
	s_delay_alu instid0(VALU_DEP_2)
	v_cmpx_gt_u32_e32 0x43800000, v3
	s_cbranch_execz .LBB7_2701
; %bb.2696:
	s_mov_b32 s13, 0
	s_mov_b32 s15, exec_lo
                                        ; implicit-def: $vgpr1
	v_cmpx_lt_u32_e32 0x3bffffff, v3
	s_xor_b32 s15, exec_lo, s15
	s_cbranch_execnz .LBB7_3037
; %bb.2697:
	s_and_not1_saveexec_b32 s15, s15
	s_cbranch_execnz .LBB7_3038
.LBB7_2698:
	s_or_b32 exec_lo, exec_lo, s15
	v_mov_b32_e32 v6, 0
	s_and_saveexec_b32 s15, s13
.LBB7_2699:
	v_mov_b32_e32 v6, v1
.LBB7_2700:
	s_or_b32 exec_lo, exec_lo, s15
.LBB7_2701:
	s_delay_alu instid0(SALU_CYCLE_1)
	s_or_b32 exec_lo, exec_lo, s12
	global_store_b8 v[4:5], v6, off
.LBB7_2702:
	s_mov_b32 s12, -1
.LBB7_2703:
	s_mov_b32 s13, 0
.LBB7_2704:
	s_delay_alu instid0(SALU_CYCLE_1)
	s_and_b32 vcc_lo, exec_lo, s13
	s_cbranch_vccz .LBB7_2744
; %bb.2705:
	s_cmp_gt_i32 s3, 22
	s_mov_b32 s11, -1
	s_cbranch_scc0 .LBB7_2737
; %bb.2706:
	s_cmp_lt_i32 s3, 24
	s_cbranch_scc1 .LBB7_2726
; %bb.2707:
	s_cmp_gt_i32 s3, 24
	s_cbranch_scc0 .LBB7_2715
; %bb.2708:
	s_wait_xcnt 0x0
	v_cndmask_b32_e64 v3, 0, 1.0, s10
	v_mov_b32_e32 v6, 0x80
	s_mov_b32 s11, exec_lo
	s_delay_alu instid0(VALU_DEP_2)
	v_cmpx_gt_u32_e32 0x47800000, v3
	s_cbranch_execz .LBB7_2714
; %bb.2709:
	s_mov_b32 s12, 0
	s_mov_b32 s13, exec_lo
                                        ; implicit-def: $vgpr1
	v_cmpx_lt_u32_e32 0x37ffffff, v3
	s_xor_b32 s13, exec_lo, s13
	s_cbranch_execnz .LBB7_3040
; %bb.2710:
	s_and_not1_saveexec_b32 s13, s13
	s_cbranch_execnz .LBB7_3041
.LBB7_2711:
	s_or_b32 exec_lo, exec_lo, s13
	v_mov_b32_e32 v6, 0
	s_and_saveexec_b32 s13, s12
.LBB7_2712:
	v_mov_b32_e32 v6, v1
.LBB7_2713:
	s_or_b32 exec_lo, exec_lo, s13
.LBB7_2714:
	s_delay_alu instid0(SALU_CYCLE_1)
	s_or_b32 exec_lo, exec_lo, s11
	s_mov_b32 s11, 0
	global_store_b8 v[4:5], v6, off
.LBB7_2715:
	s_and_b32 vcc_lo, exec_lo, s11
	s_cbranch_vccz .LBB7_2725
; %bb.2716:
	s_wait_xcnt 0x0
	v_cndmask_b32_e64 v3, 0, 1.0, s10
	s_mov_b32 s11, exec_lo
                                        ; implicit-def: $vgpr1
	s_delay_alu instid0(VALU_DEP_1)
	v_cmpx_gt_u32_e32 0x43f00000, v3
	s_xor_b32 s11, exec_lo, s11
	s_cbranch_execz .LBB7_2722
; %bb.2717:
	s_mov_b32 s12, exec_lo
                                        ; implicit-def: $vgpr1
	v_cmpx_lt_u32_e32 0x3c7fffff, v3
	s_xor_b32 s12, exec_lo, s12
; %bb.2718:
	v_bfe_u32 v1, v3, 20, 1
	s_delay_alu instid0(VALU_DEP_1) | instskip(NEXT) | instid1(VALU_DEP_1)
	v_add3_u32 v1, v3, v1, 0x407ffff
	v_and_b32_e32 v3, 0xff00000, v1
	v_lshrrev_b32_e32 v1, 20, v1
	s_delay_alu instid0(VALU_DEP_2) | instskip(NEXT) | instid1(VALU_DEP_2)
	v_cmp_ne_u32_e32 vcc_lo, 0x7f00000, v3
                                        ; implicit-def: $vgpr3
	v_cndmask_b32_e32 v1, 0x7e, v1, vcc_lo
; %bb.2719:
	s_and_not1_saveexec_b32 s12, s12
; %bb.2720:
	v_add_f32_e32 v1, 0x46800000, v3
; %bb.2721:
	s_or_b32 exec_lo, exec_lo, s12
                                        ; implicit-def: $vgpr3
.LBB7_2722:
	s_and_not1_saveexec_b32 s11, s11
; %bb.2723:
	v_mov_b32_e32 v1, 0x7f
	v_cmp_lt_u32_e32 vcc_lo, 0x7f800000, v3
	s_delay_alu instid0(VALU_DEP_2)
	v_cndmask_b32_e32 v1, 0x7e, v1, vcc_lo
; %bb.2724:
	s_or_b32 exec_lo, exec_lo, s11
	global_store_b8 v[4:5], v1, off
.LBB7_2725:
	s_mov_b32 s11, 0
.LBB7_2726:
	s_delay_alu instid0(SALU_CYCLE_1)
	s_and_not1_b32 vcc_lo, exec_lo, s11
	s_cbranch_vccnz .LBB7_2736
; %bb.2727:
	s_wait_xcnt 0x0
	v_cndmask_b32_e64 v3, 0, 1.0, s10
	s_mov_b32 s11, exec_lo
                                        ; implicit-def: $vgpr1
	s_delay_alu instid0(VALU_DEP_1)
	v_cmpx_gt_u32_e32 0x47800000, v3
	s_xor_b32 s11, exec_lo, s11
	s_cbranch_execz .LBB7_2733
; %bb.2728:
	s_mov_b32 s12, exec_lo
                                        ; implicit-def: $vgpr1
	v_cmpx_lt_u32_e32 0x387fffff, v3
	s_xor_b32 s12, exec_lo, s12
; %bb.2729:
	v_bfe_u32 v1, v3, 21, 1
	s_delay_alu instid0(VALU_DEP_1) | instskip(NEXT) | instid1(VALU_DEP_1)
	v_add3_u32 v1, v3, v1, 0x80fffff
                                        ; implicit-def: $vgpr3
	v_lshrrev_b32_e32 v1, 21, v1
; %bb.2730:
	s_and_not1_saveexec_b32 s12, s12
; %bb.2731:
	v_add_f32_e32 v1, 0x43000000, v3
; %bb.2732:
	s_or_b32 exec_lo, exec_lo, s12
                                        ; implicit-def: $vgpr3
.LBB7_2733:
	s_and_not1_saveexec_b32 s11, s11
; %bb.2734:
	v_mov_b32_e32 v1, 0x7f
	v_cmp_lt_u32_e32 vcc_lo, 0x7f800000, v3
	s_delay_alu instid0(VALU_DEP_2)
	v_cndmask_b32_e32 v1, 0x7c, v1, vcc_lo
; %bb.2735:
	s_or_b32 exec_lo, exec_lo, s11
	global_store_b8 v[4:5], v1, off
.LBB7_2736:
	s_mov_b32 s11, 0
	s_mov_b32 s12, -1
.LBB7_2737:
	s_and_not1_b32 vcc_lo, exec_lo, s11
	s_mov_b32 s11, 0
	s_cbranch_vccnz .LBB7_2744
; %bb.2738:
	s_cmp_gt_i32 s3, 14
	s_mov_b32 s11, -1
	s_cbranch_scc0 .LBB7_2742
; %bb.2739:
	s_cmp_eq_u32 s3, 15
	s_mov_b32 s0, -1
	s_cbranch_scc0 .LBB7_2741
; %bb.2740:
	s_wait_xcnt 0x0
	v_cndmask_b32_e64 v1, 0, 1.0, s10
	s_mov_b32 s0, 0
	s_mov_b32 s12, -1
	s_delay_alu instid0(VALU_DEP_1) | instskip(NEXT) | instid1(VALU_DEP_1)
	v_bfe_u32 v3, v1, 16, 1
	v_add3_u32 v1, v1, v3, 0x7fff
	global_store_d16_hi_b16 v[4:5], v1, off
.LBB7_2741:
	s_mov_b32 s11, 0
.LBB7_2742:
	s_delay_alu instid0(SALU_CYCLE_1)
	s_and_b32 vcc_lo, exec_lo, s11
	s_mov_b32 s11, 0
	s_cbranch_vccz .LBB7_2744
; %bb.2743:
	s_cmp_lg_u32 s3, 11
	s_mov_b32 s11, -1
	s_cselect_b32 s0, -1, 0
.LBB7_2744:
	s_delay_alu instid0(SALU_CYCLE_1)
	s_and_b32 vcc_lo, exec_lo, s0
	s_cbranch_vccnz .LBB7_3034
; %bb.2745:
	s_and_not1_b32 vcc_lo, exec_lo, s11
	s_cbranch_vccnz .LBB7_2747
.LBB7_2746:
	s_wait_xcnt 0x0
	v_cndmask_b32_e64 v1, 0, 1, s10
	s_mov_b32 s12, -1
	global_store_b8 v[4:5], v1, off
.LBB7_2747:
	s_mov_b32 s0, 0
	s_branch .LBB7_2749
.LBB7_2748:
	s_mov_b32 s0, -1
	s_mov_b32 s12, 0
.LBB7_2749:
	s_and_b32 vcc_lo, exec_lo, s0
	s_cbranch_vccz .LBB7_2788
; %bb.2750:
	s_cmp_lt_i32 s3, 5
	s_mov_b32 s0, -1
	s_cbranch_scc1 .LBB7_2771
; %bb.2751:
	s_cmp_lt_i32 s3, 8
	s_cbranch_scc1 .LBB7_2761
; %bb.2752:
	s_cmp_lt_i32 s3, 9
	s_cbranch_scc1 .LBB7_2758
; %bb.2753:
	s_cmp_gt_i32 s3, 9
	s_cbranch_scc0 .LBB7_2755
; %bb.2754:
	s_wait_xcnt 0x0
	v_cndmask_b32_e64 v1, 0, 1, s10
	v_mov_b32_e32 v8, 0
	s_mov_b32 s0, 0
	s_delay_alu instid0(VALU_DEP_2) | instskip(NEXT) | instid1(VALU_DEP_2)
	v_cvt_f64_u32_e32 v[6:7], v1
	v_mov_b32_e32 v9, v8
	global_store_b128 v[4:5], v[6:9], off
.LBB7_2755:
	s_and_not1_b32 vcc_lo, exec_lo, s0
	s_cbranch_vccnz .LBB7_2757
; %bb.2756:
	s_wait_xcnt 0x0
	v_cndmask_b32_e64 v6, 0, 1.0, s10
	v_mov_b32_e32 v7, 0
	global_store_b64 v[4:5], v[6:7], off
.LBB7_2757:
	s_mov_b32 s0, 0
.LBB7_2758:
	s_delay_alu instid0(SALU_CYCLE_1)
	s_and_not1_b32 vcc_lo, exec_lo, s0
	s_cbranch_vccnz .LBB7_2760
; %bb.2759:
	s_wait_xcnt 0x0
	v_cndmask_b32_e64 v1, 0, 1.0, s10
	s_delay_alu instid0(VALU_DEP_1) | instskip(NEXT) | instid1(VALU_DEP_1)
	v_cvt_f16_f32_e32 v1, v1
	v_and_b32_e32 v1, 0xffff, v1
	global_store_b32 v[4:5], v1, off
.LBB7_2760:
	s_mov_b32 s0, 0
.LBB7_2761:
	s_delay_alu instid0(SALU_CYCLE_1)
	s_and_not1_b32 vcc_lo, exec_lo, s0
	s_cbranch_vccnz .LBB7_2770
; %bb.2762:
	s_cmp_lt_i32 s3, 6
	s_mov_b32 s0, -1
	s_cbranch_scc1 .LBB7_2768
; %bb.2763:
	s_cmp_gt_i32 s3, 6
	s_cbranch_scc0 .LBB7_2765
; %bb.2764:
	s_wait_xcnt 0x0
	v_cndmask_b32_e64 v1, 0, 1, s10
	s_mov_b32 s0, 0
	s_delay_alu instid0(VALU_DEP_1)
	v_cvt_f64_u32_e32 v[6:7], v1
	global_store_b64 v[4:5], v[6:7], off
.LBB7_2765:
	s_and_not1_b32 vcc_lo, exec_lo, s0
	s_cbranch_vccnz .LBB7_2767
; %bb.2766:
	s_wait_xcnt 0x0
	v_cndmask_b32_e64 v1, 0, 1.0, s10
	global_store_b32 v[4:5], v1, off
.LBB7_2767:
	s_mov_b32 s0, 0
.LBB7_2768:
	s_delay_alu instid0(SALU_CYCLE_1)
	s_and_not1_b32 vcc_lo, exec_lo, s0
	s_cbranch_vccnz .LBB7_2770
; %bb.2769:
	s_wait_xcnt 0x0
	v_cndmask_b32_e64 v1, 0, 1.0, s10
	s_delay_alu instid0(VALU_DEP_1)
	v_cvt_f16_f32_e32 v1, v1
	global_store_b16 v[4:5], v1, off
.LBB7_2770:
	s_mov_b32 s0, 0
.LBB7_2771:
	s_delay_alu instid0(SALU_CYCLE_1)
	s_and_not1_b32 vcc_lo, exec_lo, s0
	s_cbranch_vccnz .LBB7_2787
; %bb.2772:
	s_cmp_lt_i32 s3, 2
	s_mov_b32 s0, -1
	s_cbranch_scc1 .LBB7_2782
; %bb.2773:
	s_cmp_lt_i32 s3, 3
	s_cbranch_scc1 .LBB7_2779
; %bb.2774:
	s_cmp_gt_i32 s3, 3
	s_cbranch_scc0 .LBB7_2776
; %bb.2775:
	s_mov_b32 s0, 0
	s_wait_xcnt 0x0
	v_cndmask_b32_e64 v6, 0, 1, s10
	v_mov_b32_e32 v7, s0
	global_store_b64 v[4:5], v[6:7], off
.LBB7_2776:
	s_and_not1_b32 vcc_lo, exec_lo, s0
	s_cbranch_vccnz .LBB7_2778
; %bb.2777:
	s_wait_xcnt 0x0
	v_cndmask_b32_e64 v1, 0, 1, s10
	global_store_b32 v[4:5], v1, off
.LBB7_2778:
	s_mov_b32 s0, 0
.LBB7_2779:
	s_delay_alu instid0(SALU_CYCLE_1)
	s_and_not1_b32 vcc_lo, exec_lo, s0
	s_cbranch_vccnz .LBB7_2781
; %bb.2780:
	s_wait_xcnt 0x0
	v_cndmask_b32_e64 v1, 0, 1, s10
	global_store_b16 v[4:5], v1, off
.LBB7_2781:
	s_mov_b32 s0, 0
.LBB7_2782:
	s_delay_alu instid0(SALU_CYCLE_1)
	s_and_not1_b32 vcc_lo, exec_lo, s0
	s_cbranch_vccnz .LBB7_2787
; %bb.2783:
	s_wait_xcnt 0x0
	v_cndmask_b32_e64 v1, 0, 1, s10
	s_cmp_gt_i32 s3, 0
	s_mov_b32 s0, -1
	s_cbranch_scc0 .LBB7_2785
; %bb.2784:
	s_mov_b32 s0, 0
	global_store_b8 v[4:5], v1, off
.LBB7_2785:
	s_and_not1_b32 vcc_lo, exec_lo, s0
	s_cbranch_vccnz .LBB7_2787
; %bb.2786:
	global_store_b8 v[4:5], v1, off
.LBB7_2787:
	s_mov_b32 s12, -1
.LBB7_2788:
	s_delay_alu instid0(SALU_CYCLE_1)
	s_and_not1_b32 vcc_lo, exec_lo, s12
	s_cbranch_vccnz .LBB7_2984
; %bb.2789:
	s_wait_xcnt 0x0
	v_mov_b32_e32 v3, 0
	s_and_b32 s0, s14, s17
	s_delay_alu instid0(SALU_CYCLE_1) | instskip(SKIP_1) | instid1(VALU_DEP_1)
	s_and_b32 s10, s0, s2
	s_cmp_lt_i32 s3, 11
	v_add_nc_u64_e32 v[2:3], s[4:5], v[2:3]
	s_cbranch_scc1 .LBB7_2867
; %bb.2790:
	s_mov_b32 s13, -1
	s_mov_b32 s11, 0
	s_cmp_gt_i32 s3, 25
	s_mov_b32 s12, 0
	s_mov_b32 s0, 0
	s_cbranch_scc0 .LBB7_2823
; %bb.2791:
	s_cmp_gt_i32 s3, 28
	s_cbranch_scc0 .LBB7_2806
; %bb.2792:
	s_cmp_gt_i32 s3, 43
	;; [unrolled: 3-line block ×3, first 2 shown]
	s_cbranch_scc0 .LBB7_2796
; %bb.2794:
	s_mov_b32 s0, -1
	s_mov_b32 s13, 0
	s_cmp_eq_u32 s3, 46
	s_cbranch_scc0 .LBB7_2796
; %bb.2795:
	v_cndmask_b32_e64 v1, 0, 1.0, s10
	s_mov_b32 s0, 0
	s_mov_b32 s12, -1
	s_delay_alu instid0(VALU_DEP_1) | instskip(NEXT) | instid1(VALU_DEP_1)
	v_bfe_u32 v4, v1, 16, 1
	v_add3_u32 v1, v1, v4, 0x7fff
	s_delay_alu instid0(VALU_DEP_1)
	v_lshrrev_b32_e32 v1, 16, v1
	global_store_b32 v[2:3], v1, off
.LBB7_2796:
	s_and_b32 vcc_lo, exec_lo, s13
	s_cbranch_vccz .LBB7_2801
; %bb.2797:
	s_cmp_eq_u32 s3, 44
	s_mov_b32 s0, -1
	s_cbranch_scc0 .LBB7_2801
; %bb.2798:
	v_cndmask_b32_e64 v5, 0, 1.0, s10
	s_mov_b32 s12, exec_lo
	s_wait_xcnt 0x0
	s_delay_alu instid0(VALU_DEP_1) | instskip(NEXT) | instid1(VALU_DEP_1)
	v_dual_mov_b32 v4, 0xff :: v_dual_lshrrev_b32 v1, 23, v5
	v_cmpx_ne_u32_e32 0xff, v1
; %bb.2799:
	v_and_b32_e32 v4, 0x400000, v5
	v_and_or_b32 v5, 0x3fffff, v5, v1
	s_delay_alu instid0(VALU_DEP_2) | instskip(NEXT) | instid1(VALU_DEP_2)
	v_cmp_ne_u32_e32 vcc_lo, 0, v4
	v_cmp_ne_u32_e64 s0, 0, v5
	s_and_b32 s0, vcc_lo, s0
	s_delay_alu instid0(SALU_CYCLE_1) | instskip(NEXT) | instid1(VALU_DEP_1)
	v_cndmask_b32_e64 v4, 0, 1, s0
	v_add_nc_u32_e32 v4, v1, v4
; %bb.2800:
	s_or_b32 exec_lo, exec_lo, s12
	s_mov_b32 s0, 0
	s_mov_b32 s12, -1
	global_store_b8 v[2:3], v4, off
.LBB7_2801:
	s_mov_b32 s13, 0
.LBB7_2802:
	s_delay_alu instid0(SALU_CYCLE_1)
	s_and_b32 vcc_lo, exec_lo, s13
	s_cbranch_vccz .LBB7_2805
; %bb.2803:
	s_cmp_eq_u32 s3, 29
	s_mov_b32 s0, -1
	s_cbranch_scc0 .LBB7_2805
; %bb.2804:
	s_mov_b32 s0, 0
	s_wait_xcnt 0x0
	v_cndmask_b32_e64 v4, 0, 1, s10
	v_mov_b32_e32 v5, s0
	s_mov_b32 s12, -1
	global_store_b64 v[2:3], v[4:5], off
.LBB7_2805:
	s_mov_b32 s13, 0
.LBB7_2806:
	s_delay_alu instid0(SALU_CYCLE_1)
	s_and_b32 vcc_lo, exec_lo, s13
	s_cbranch_vccz .LBB7_2822
; %bb.2807:
	s_cmp_lt_i32 s3, 27
	s_mov_b32 s12, -1
	s_cbranch_scc1 .LBB7_2813
; %bb.2808:
	s_cmp_gt_i32 s3, 27
	s_cbranch_scc0 .LBB7_2810
; %bb.2809:
	s_wait_xcnt 0x0
	v_cndmask_b32_e64 v1, 0, 1, s10
	s_mov_b32 s12, 0
	global_store_b32 v[2:3], v1, off
.LBB7_2810:
	s_and_not1_b32 vcc_lo, exec_lo, s12
	s_cbranch_vccnz .LBB7_2812
; %bb.2811:
	s_wait_xcnt 0x0
	v_cndmask_b32_e64 v1, 0, 1, s10
	global_store_b16 v[2:3], v1, off
.LBB7_2812:
	s_mov_b32 s12, 0
.LBB7_2813:
	s_delay_alu instid0(SALU_CYCLE_1)
	s_and_not1_b32 vcc_lo, exec_lo, s12
	s_cbranch_vccnz .LBB7_2821
; %bb.2814:
	s_wait_xcnt 0x0
	v_cndmask_b32_e64 v4, 0, 1.0, s10
	v_mov_b32_e32 v5, 0x80
	s_mov_b32 s12, exec_lo
	s_delay_alu instid0(VALU_DEP_2)
	v_cmpx_gt_u32_e32 0x43800000, v4
	s_cbranch_execz .LBB7_2820
; %bb.2815:
	s_mov_b32 s13, 0
	s_mov_b32 s14, exec_lo
                                        ; implicit-def: $vgpr1
	v_cmpx_lt_u32_e32 0x3bffffff, v4
	s_xor_b32 s14, exec_lo, s14
	s_cbranch_execnz .LBB7_3042
; %bb.2816:
	s_and_not1_saveexec_b32 s14, s14
	s_cbranch_execnz .LBB7_3043
.LBB7_2817:
	s_or_b32 exec_lo, exec_lo, s14
	v_mov_b32_e32 v5, 0
	s_and_saveexec_b32 s14, s13
.LBB7_2818:
	v_mov_b32_e32 v5, v1
.LBB7_2819:
	s_or_b32 exec_lo, exec_lo, s14
.LBB7_2820:
	s_delay_alu instid0(SALU_CYCLE_1)
	s_or_b32 exec_lo, exec_lo, s12
	global_store_b8 v[2:3], v5, off
.LBB7_2821:
	s_mov_b32 s12, -1
.LBB7_2822:
	s_mov_b32 s13, 0
.LBB7_2823:
	s_delay_alu instid0(SALU_CYCLE_1)
	s_and_b32 vcc_lo, exec_lo, s13
	s_cbranch_vccz .LBB7_2863
; %bb.2824:
	s_cmp_gt_i32 s3, 22
	s_mov_b32 s11, -1
	s_cbranch_scc0 .LBB7_2856
; %bb.2825:
	s_cmp_lt_i32 s3, 24
	s_cbranch_scc1 .LBB7_2845
; %bb.2826:
	s_cmp_gt_i32 s3, 24
	s_cbranch_scc0 .LBB7_2834
; %bb.2827:
	s_wait_xcnt 0x0
	v_cndmask_b32_e64 v4, 0, 1.0, s10
	v_mov_b32_e32 v5, 0x80
	s_mov_b32 s11, exec_lo
	s_delay_alu instid0(VALU_DEP_2)
	v_cmpx_gt_u32_e32 0x47800000, v4
	s_cbranch_execz .LBB7_2833
; %bb.2828:
	s_mov_b32 s12, 0
	s_mov_b32 s13, exec_lo
                                        ; implicit-def: $vgpr1
	v_cmpx_lt_u32_e32 0x37ffffff, v4
	s_xor_b32 s13, exec_lo, s13
	s_cbranch_execnz .LBB7_3045
; %bb.2829:
	s_and_not1_saveexec_b32 s13, s13
	s_cbranch_execnz .LBB7_3046
.LBB7_2830:
	s_or_b32 exec_lo, exec_lo, s13
	v_mov_b32_e32 v5, 0
	s_and_saveexec_b32 s13, s12
.LBB7_2831:
	v_mov_b32_e32 v5, v1
.LBB7_2832:
	s_or_b32 exec_lo, exec_lo, s13
.LBB7_2833:
	s_delay_alu instid0(SALU_CYCLE_1)
	s_or_b32 exec_lo, exec_lo, s11
	s_mov_b32 s11, 0
	global_store_b8 v[2:3], v5, off
.LBB7_2834:
	s_and_b32 vcc_lo, exec_lo, s11
	s_cbranch_vccz .LBB7_2844
; %bb.2835:
	s_wait_xcnt 0x0
	v_cndmask_b32_e64 v4, 0, 1.0, s10
	s_mov_b32 s11, exec_lo
                                        ; implicit-def: $vgpr1
	s_delay_alu instid0(VALU_DEP_1)
	v_cmpx_gt_u32_e32 0x43f00000, v4
	s_xor_b32 s11, exec_lo, s11
	s_cbranch_execz .LBB7_2841
; %bb.2836:
	s_mov_b32 s12, exec_lo
                                        ; implicit-def: $vgpr1
	v_cmpx_lt_u32_e32 0x3c7fffff, v4
	s_xor_b32 s12, exec_lo, s12
; %bb.2837:
	v_bfe_u32 v1, v4, 20, 1
	s_delay_alu instid0(VALU_DEP_1) | instskip(NEXT) | instid1(VALU_DEP_1)
	v_add3_u32 v1, v4, v1, 0x407ffff
	v_and_b32_e32 v4, 0xff00000, v1
	v_lshrrev_b32_e32 v1, 20, v1
	s_delay_alu instid0(VALU_DEP_2) | instskip(NEXT) | instid1(VALU_DEP_2)
	v_cmp_ne_u32_e32 vcc_lo, 0x7f00000, v4
                                        ; implicit-def: $vgpr4
	v_cndmask_b32_e32 v1, 0x7e, v1, vcc_lo
; %bb.2838:
	s_and_not1_saveexec_b32 s12, s12
; %bb.2839:
	v_add_f32_e32 v1, 0x46800000, v4
; %bb.2840:
	s_or_b32 exec_lo, exec_lo, s12
                                        ; implicit-def: $vgpr4
.LBB7_2841:
	s_and_not1_saveexec_b32 s11, s11
; %bb.2842:
	v_mov_b32_e32 v1, 0x7f
	v_cmp_lt_u32_e32 vcc_lo, 0x7f800000, v4
	s_delay_alu instid0(VALU_DEP_2)
	v_cndmask_b32_e32 v1, 0x7e, v1, vcc_lo
; %bb.2843:
	s_or_b32 exec_lo, exec_lo, s11
	global_store_b8 v[2:3], v1, off
.LBB7_2844:
	s_mov_b32 s11, 0
.LBB7_2845:
	s_delay_alu instid0(SALU_CYCLE_1)
	s_and_not1_b32 vcc_lo, exec_lo, s11
	s_cbranch_vccnz .LBB7_2855
; %bb.2846:
	s_wait_xcnt 0x0
	v_cndmask_b32_e64 v4, 0, 1.0, s10
	s_mov_b32 s11, exec_lo
                                        ; implicit-def: $vgpr1
	s_delay_alu instid0(VALU_DEP_1)
	v_cmpx_gt_u32_e32 0x47800000, v4
	s_xor_b32 s11, exec_lo, s11
	s_cbranch_execz .LBB7_2852
; %bb.2847:
	s_mov_b32 s12, exec_lo
                                        ; implicit-def: $vgpr1
	v_cmpx_lt_u32_e32 0x387fffff, v4
	s_xor_b32 s12, exec_lo, s12
; %bb.2848:
	v_bfe_u32 v1, v4, 21, 1
	s_delay_alu instid0(VALU_DEP_1) | instskip(NEXT) | instid1(VALU_DEP_1)
	v_add3_u32 v1, v4, v1, 0x80fffff
                                        ; implicit-def: $vgpr4
	v_lshrrev_b32_e32 v1, 21, v1
; %bb.2849:
	s_and_not1_saveexec_b32 s12, s12
; %bb.2850:
	v_add_f32_e32 v1, 0x43000000, v4
; %bb.2851:
	s_or_b32 exec_lo, exec_lo, s12
                                        ; implicit-def: $vgpr4
.LBB7_2852:
	s_and_not1_saveexec_b32 s11, s11
; %bb.2853:
	v_mov_b32_e32 v1, 0x7f
	v_cmp_lt_u32_e32 vcc_lo, 0x7f800000, v4
	s_delay_alu instid0(VALU_DEP_2)
	v_cndmask_b32_e32 v1, 0x7c, v1, vcc_lo
; %bb.2854:
	s_or_b32 exec_lo, exec_lo, s11
	global_store_b8 v[2:3], v1, off
.LBB7_2855:
	s_mov_b32 s11, 0
	s_mov_b32 s12, -1
.LBB7_2856:
	s_and_not1_b32 vcc_lo, exec_lo, s11
	s_mov_b32 s11, 0
	s_cbranch_vccnz .LBB7_2863
; %bb.2857:
	s_cmp_gt_i32 s3, 14
	s_mov_b32 s11, -1
	s_cbranch_scc0 .LBB7_2861
; %bb.2858:
	s_cmp_eq_u32 s3, 15
	s_mov_b32 s0, -1
	s_cbranch_scc0 .LBB7_2860
; %bb.2859:
	s_wait_xcnt 0x0
	v_cndmask_b32_e64 v1, 0, 1.0, s10
	s_mov_b32 s0, 0
	s_mov_b32 s12, -1
	s_delay_alu instid0(VALU_DEP_1) | instskip(NEXT) | instid1(VALU_DEP_1)
	v_bfe_u32 v4, v1, 16, 1
	v_add3_u32 v1, v1, v4, 0x7fff
	global_store_d16_hi_b16 v[2:3], v1, off
.LBB7_2860:
	s_mov_b32 s11, 0
.LBB7_2861:
	s_delay_alu instid0(SALU_CYCLE_1)
	s_and_b32 vcc_lo, exec_lo, s11
	s_mov_b32 s11, 0
	s_cbranch_vccz .LBB7_2863
; %bb.2862:
	s_cmp_lg_u32 s3, 11
	s_mov_b32 s11, -1
	s_cselect_b32 s0, -1, 0
.LBB7_2863:
	s_delay_alu instid0(SALU_CYCLE_1)
	s_and_b32 vcc_lo, exec_lo, s0
	s_cbranch_vccnz .LBB7_3039
; %bb.2864:
	s_and_not1_b32 vcc_lo, exec_lo, s11
	s_cbranch_vccnz .LBB7_2866
.LBB7_2865:
	s_wait_xcnt 0x0
	v_cndmask_b32_e64 v1, 0, 1, s10
	s_mov_b32 s12, -1
	global_store_b8 v[2:3], v1, off
.LBB7_2866:
	s_mov_b32 s0, 0
	s_branch .LBB7_2868
.LBB7_2867:
	s_mov_b32 s0, -1
	s_mov_b32 s12, 0
.LBB7_2868:
	s_and_b32 vcc_lo, exec_lo, s0
	s_cbranch_vccz .LBB7_2907
; %bb.2869:
	s_cmp_lt_i32 s3, 5
	s_mov_b32 s0, -1
	s_cbranch_scc1 .LBB7_2890
; %bb.2870:
	s_cmp_lt_i32 s3, 8
	s_cbranch_scc1 .LBB7_2880
; %bb.2871:
	s_cmp_lt_i32 s3, 9
	s_cbranch_scc1 .LBB7_2877
; %bb.2872:
	s_cmp_gt_i32 s3, 9
	s_cbranch_scc0 .LBB7_2874
; %bb.2873:
	s_wait_xcnt 0x0
	v_cndmask_b32_e64 v1, 0, 1, s10
	v_mov_b32_e32 v6, 0
	s_mov_b32 s0, 0
	s_delay_alu instid0(VALU_DEP_2) | instskip(NEXT) | instid1(VALU_DEP_2)
	v_cvt_f64_u32_e32 v[4:5], v1
	v_mov_b32_e32 v7, v6
	global_store_b128 v[2:3], v[4:7], off
.LBB7_2874:
	s_and_not1_b32 vcc_lo, exec_lo, s0
	s_cbranch_vccnz .LBB7_2876
; %bb.2875:
	s_wait_xcnt 0x0
	v_cndmask_b32_e64 v4, 0, 1.0, s10
	v_mov_b32_e32 v5, 0
	global_store_b64 v[2:3], v[4:5], off
.LBB7_2876:
	s_mov_b32 s0, 0
.LBB7_2877:
	s_delay_alu instid0(SALU_CYCLE_1)
	s_and_not1_b32 vcc_lo, exec_lo, s0
	s_cbranch_vccnz .LBB7_2879
; %bb.2878:
	s_wait_xcnt 0x0
	v_cndmask_b32_e64 v1, 0, 1.0, s10
	s_delay_alu instid0(VALU_DEP_1) | instskip(NEXT) | instid1(VALU_DEP_1)
	v_cvt_f16_f32_e32 v1, v1
	v_and_b32_e32 v1, 0xffff, v1
	global_store_b32 v[2:3], v1, off
.LBB7_2879:
	s_mov_b32 s0, 0
.LBB7_2880:
	s_delay_alu instid0(SALU_CYCLE_1)
	s_and_not1_b32 vcc_lo, exec_lo, s0
	s_cbranch_vccnz .LBB7_2889
; %bb.2881:
	s_cmp_lt_i32 s3, 6
	s_mov_b32 s0, -1
	s_cbranch_scc1 .LBB7_2887
; %bb.2882:
	s_cmp_gt_i32 s3, 6
	s_cbranch_scc0 .LBB7_2884
; %bb.2883:
	s_wait_xcnt 0x0
	v_cndmask_b32_e64 v1, 0, 1, s10
	s_mov_b32 s0, 0
	s_delay_alu instid0(VALU_DEP_1)
	v_cvt_f64_u32_e32 v[4:5], v1
	global_store_b64 v[2:3], v[4:5], off
.LBB7_2884:
	s_and_not1_b32 vcc_lo, exec_lo, s0
	s_cbranch_vccnz .LBB7_2886
; %bb.2885:
	s_wait_xcnt 0x0
	v_cndmask_b32_e64 v1, 0, 1.0, s10
	global_store_b32 v[2:3], v1, off
.LBB7_2886:
	s_mov_b32 s0, 0
.LBB7_2887:
	s_delay_alu instid0(SALU_CYCLE_1)
	s_and_not1_b32 vcc_lo, exec_lo, s0
	s_cbranch_vccnz .LBB7_2889
; %bb.2888:
	s_wait_xcnt 0x0
	v_cndmask_b32_e64 v1, 0, 1.0, s10
	s_delay_alu instid0(VALU_DEP_1)
	v_cvt_f16_f32_e32 v1, v1
	global_store_b16 v[2:3], v1, off
.LBB7_2889:
	s_mov_b32 s0, 0
.LBB7_2890:
	s_delay_alu instid0(SALU_CYCLE_1)
	s_and_not1_b32 vcc_lo, exec_lo, s0
	s_cbranch_vccnz .LBB7_2906
; %bb.2891:
	s_cmp_lt_i32 s3, 2
	s_mov_b32 s0, -1
	s_cbranch_scc1 .LBB7_2901
; %bb.2892:
	s_cmp_lt_i32 s3, 3
	s_cbranch_scc1 .LBB7_2898
; %bb.2893:
	s_cmp_gt_i32 s3, 3
	s_cbranch_scc0 .LBB7_2895
; %bb.2894:
	s_mov_b32 s0, 0
	s_wait_xcnt 0x0
	v_cndmask_b32_e64 v4, 0, 1, s10
	v_mov_b32_e32 v5, s0
	global_store_b64 v[2:3], v[4:5], off
.LBB7_2895:
	s_and_not1_b32 vcc_lo, exec_lo, s0
	s_cbranch_vccnz .LBB7_2897
; %bb.2896:
	s_wait_xcnt 0x0
	v_cndmask_b32_e64 v1, 0, 1, s10
	global_store_b32 v[2:3], v1, off
.LBB7_2897:
	s_mov_b32 s0, 0
.LBB7_2898:
	s_delay_alu instid0(SALU_CYCLE_1)
	s_and_not1_b32 vcc_lo, exec_lo, s0
	s_cbranch_vccnz .LBB7_2900
; %bb.2899:
	s_wait_xcnt 0x0
	v_cndmask_b32_e64 v1, 0, 1, s10
	global_store_b16 v[2:3], v1, off
.LBB7_2900:
	s_mov_b32 s0, 0
.LBB7_2901:
	s_delay_alu instid0(SALU_CYCLE_1)
	s_and_not1_b32 vcc_lo, exec_lo, s0
	s_cbranch_vccnz .LBB7_2906
; %bb.2902:
	s_cmp_gt_i32 s3, 0
	s_mov_b32 s0, -1
	s_cbranch_scc0 .LBB7_2904
; %bb.2903:
	s_wait_xcnt 0x0
	v_cndmask_b32_e64 v1, 0, 1, s10
	s_mov_b32 s0, 0
	global_store_b8 v[2:3], v1, off
.LBB7_2904:
	s_and_not1_b32 vcc_lo, exec_lo, s0
	s_cbranch_vccnz .LBB7_2906
; %bb.2905:
	s_wait_xcnt 0x0
	v_cndmask_b32_e64 v1, 0, 1, s10
	global_store_b8 v[2:3], v1, off
.LBB7_2906:
	s_mov_b32 s12, -1
.LBB7_2907:
	s_delay_alu instid0(SALU_CYCLE_1)
	s_and_not1_b32 vcc_lo, exec_lo, s12
	s_cbranch_vccnz .LBB7_2984
; %bb.2908:
	s_wait_xcnt 0x0
	v_mov_b32_e32 v1, 0
	s_and_b32 s0, s18, s7
	s_delay_alu instid0(VALU_DEP_1)
	v_add_nc_u64_e32 v[2:3], s[4:5], v[0:1]
	s_and_b32 s4, s0, s2
	s_cmp_lt_i32 s3, 11
	s_cbranch_scc1 .LBB7_3029
; %bb.2909:
	s_mov_b32 s5, -1
	s_mov_b32 s2, 0
	s_cmp_gt_i32 s3, 25
	s_mov_b32 s0, 0
	s_cbranch_scc0 .LBB7_2942
; %bb.2910:
	s_cmp_gt_i32 s3, 28
	s_cbranch_scc0 .LBB7_2926
; %bb.2911:
	s_cmp_gt_i32 s3, 43
	;; [unrolled: 3-line block ×3, first 2 shown]
	s_cbranch_scc0 .LBB7_2916
; %bb.2913:
	s_cmp_eq_u32 s3, 46
	s_mov_b32 s0, -1
	s_cbranch_scc0 .LBB7_2915
; %bb.2914:
	v_cndmask_b32_e64 v0, 0, 1.0, s4
	s_mov_b32 s0, 0
	s_delay_alu instid0(VALU_DEP_1) | instskip(NEXT) | instid1(VALU_DEP_1)
	v_bfe_u32 v1, v0, 16, 1
	v_add3_u32 v0, v0, v1, 0x7fff
	s_delay_alu instid0(VALU_DEP_1)
	v_lshrrev_b32_e32 v0, 16, v0
	global_store_b32 v[2:3], v0, off
.LBB7_2915:
	s_mov_b32 s5, 0
.LBB7_2916:
	s_delay_alu instid0(SALU_CYCLE_1)
	s_and_b32 vcc_lo, exec_lo, s5
	s_cbranch_vccz .LBB7_2921
; %bb.2917:
	s_cmp_eq_u32 s3, 44
	s_mov_b32 s0, -1
	s_cbranch_scc0 .LBB7_2921
; %bb.2918:
	v_cndmask_b32_e64 v4, 0, 1.0, s4
	s_mov_b32 s5, exec_lo
	s_wait_xcnt 0x0
	s_delay_alu instid0(VALU_DEP_1) | instskip(NEXT) | instid1(VALU_DEP_1)
	v_dual_mov_b32 v1, 0xff :: v_dual_lshrrev_b32 v0, 23, v4
	v_cmpx_ne_u32_e32 0xff, v0
; %bb.2919:
	v_and_b32_e32 v1, 0x400000, v4
	v_and_or_b32 v4, 0x3fffff, v4, v0
	s_delay_alu instid0(VALU_DEP_2) | instskip(NEXT) | instid1(VALU_DEP_2)
	v_cmp_ne_u32_e32 vcc_lo, 0, v1
	v_cmp_ne_u32_e64 s0, 0, v4
	s_and_b32 s0, vcc_lo, s0
	s_delay_alu instid0(SALU_CYCLE_1) | instskip(NEXT) | instid1(VALU_DEP_1)
	v_cndmask_b32_e64 v1, 0, 1, s0
	v_add_nc_u32_e32 v1, v0, v1
; %bb.2920:
	s_or_b32 exec_lo, exec_lo, s5
	s_mov_b32 s0, 0
	global_store_b8 v[2:3], v1, off
.LBB7_2921:
	s_mov_b32 s5, 0
.LBB7_2922:
	s_delay_alu instid0(SALU_CYCLE_1)
	s_and_b32 vcc_lo, exec_lo, s5
	s_cbranch_vccz .LBB7_2925
; %bb.2923:
	s_cmp_eq_u32 s3, 29
	s_mov_b32 s0, -1
	s_cbranch_scc0 .LBB7_2925
; %bb.2924:
	s_mov_b32 s0, 0
	s_wait_xcnt 0x0
	v_cndmask_b32_e64 v0, 0, 1, s4
	v_mov_b32_e32 v1, s0
	global_store_b64 v[2:3], v[0:1], off
.LBB7_2925:
	s_mov_b32 s5, 0
.LBB7_2926:
	s_delay_alu instid0(SALU_CYCLE_1)
	s_and_b32 vcc_lo, exec_lo, s5
	s_cbranch_vccz .LBB7_2941
; %bb.2927:
	s_cmp_lt_i32 s3, 27
	s_mov_b32 s5, -1
	s_cbranch_scc1 .LBB7_2933
; %bb.2928:
	s_wait_xcnt 0x0
	v_cndmask_b32_e64 v0, 0, 1, s4
	s_cmp_gt_i32 s3, 27
	s_cbranch_scc0 .LBB7_2930
; %bb.2929:
	s_mov_b32 s5, 0
	global_store_b32 v[2:3], v0, off
.LBB7_2930:
	s_and_not1_b32 vcc_lo, exec_lo, s5
	s_cbranch_vccnz .LBB7_2932
; %bb.2931:
	global_store_b16 v[2:3], v0, off
.LBB7_2932:
	s_mov_b32 s5, 0
.LBB7_2933:
	s_delay_alu instid0(SALU_CYCLE_1)
	s_and_not1_b32 vcc_lo, exec_lo, s5
	s_cbranch_vccnz .LBB7_2941
; %bb.2934:
	s_wait_xcnt 0x0
	v_cndmask_b32_e64 v1, 0, 1.0, s4
	v_mov_b32_e32 v4, 0x80
	s_mov_b32 s5, exec_lo
	s_delay_alu instid0(VALU_DEP_2)
	v_cmpx_gt_u32_e32 0x43800000, v1
	s_cbranch_execz .LBB7_2940
; %bb.2935:
	s_mov_b32 s7, 0
	s_mov_b32 s10, exec_lo
                                        ; implicit-def: $vgpr0
	v_cmpx_lt_u32_e32 0x3bffffff, v1
	s_xor_b32 s10, exec_lo, s10
	s_cbranch_execnz .LBB7_3047
; %bb.2936:
	s_and_not1_saveexec_b32 s10, s10
	s_cbranch_execnz .LBB7_3048
.LBB7_2937:
	s_or_b32 exec_lo, exec_lo, s10
	v_mov_b32_e32 v4, 0
	s_and_saveexec_b32 s10, s7
.LBB7_2938:
	v_mov_b32_e32 v4, v0
.LBB7_2939:
	s_or_b32 exec_lo, exec_lo, s10
.LBB7_2940:
	s_delay_alu instid0(SALU_CYCLE_1)
	s_or_b32 exec_lo, exec_lo, s5
	global_store_b8 v[2:3], v4, off
.LBB7_2941:
	s_mov_b32 s5, 0
.LBB7_2942:
	s_delay_alu instid0(SALU_CYCLE_1)
	s_and_b32 vcc_lo, exec_lo, s5
	s_cbranch_vccz .LBB7_2982
; %bb.2943:
	s_cmp_gt_i32 s3, 22
	s_mov_b32 s2, -1
	s_cbranch_scc0 .LBB7_2975
; %bb.2944:
	s_cmp_lt_i32 s3, 24
	s_cbranch_scc1 .LBB7_2964
; %bb.2945:
	s_cmp_gt_i32 s3, 24
	s_cbranch_scc0 .LBB7_2953
; %bb.2946:
	s_wait_xcnt 0x0
	v_cndmask_b32_e64 v1, 0, 1.0, s4
	v_mov_b32_e32 v4, 0x80
	s_mov_b32 s2, exec_lo
	s_delay_alu instid0(VALU_DEP_2)
	v_cmpx_gt_u32_e32 0x47800000, v1
	s_cbranch_execz .LBB7_2952
; %bb.2947:
	s_mov_b32 s5, 0
	s_mov_b32 s7, exec_lo
                                        ; implicit-def: $vgpr0
	v_cmpx_lt_u32_e32 0x37ffffff, v1
	s_xor_b32 s7, exec_lo, s7
	s_cbranch_execnz .LBB7_3049
; %bb.2948:
	s_and_not1_saveexec_b32 s7, s7
	s_cbranch_execnz .LBB7_3050
.LBB7_2949:
	s_or_b32 exec_lo, exec_lo, s7
	v_mov_b32_e32 v4, 0
	s_and_saveexec_b32 s7, s5
.LBB7_2950:
	v_mov_b32_e32 v4, v0
.LBB7_2951:
	s_or_b32 exec_lo, exec_lo, s7
.LBB7_2952:
	s_delay_alu instid0(SALU_CYCLE_1)
	s_or_b32 exec_lo, exec_lo, s2
	s_mov_b32 s2, 0
	global_store_b8 v[2:3], v4, off
.LBB7_2953:
	s_and_b32 vcc_lo, exec_lo, s2
	s_cbranch_vccz .LBB7_2963
; %bb.2954:
	s_wait_xcnt 0x0
	v_cndmask_b32_e64 v1, 0, 1.0, s4
	s_mov_b32 s2, exec_lo
                                        ; implicit-def: $vgpr0
	s_delay_alu instid0(VALU_DEP_1)
	v_cmpx_gt_u32_e32 0x43f00000, v1
	s_xor_b32 s2, exec_lo, s2
	s_cbranch_execz .LBB7_2960
; %bb.2955:
	s_mov_b32 s5, exec_lo
                                        ; implicit-def: $vgpr0
	v_cmpx_lt_u32_e32 0x3c7fffff, v1
	s_xor_b32 s5, exec_lo, s5
; %bb.2956:
	v_bfe_u32 v0, v1, 20, 1
	s_delay_alu instid0(VALU_DEP_1) | instskip(NEXT) | instid1(VALU_DEP_1)
	v_add3_u32 v0, v1, v0, 0x407ffff
	v_and_b32_e32 v1, 0xff00000, v0
	v_lshrrev_b32_e32 v0, 20, v0
	s_delay_alu instid0(VALU_DEP_2) | instskip(NEXT) | instid1(VALU_DEP_2)
	v_cmp_ne_u32_e32 vcc_lo, 0x7f00000, v1
                                        ; implicit-def: $vgpr1
	v_cndmask_b32_e32 v0, 0x7e, v0, vcc_lo
; %bb.2957:
	s_and_not1_saveexec_b32 s5, s5
; %bb.2958:
	v_add_f32_e32 v0, 0x46800000, v1
; %bb.2959:
	s_or_b32 exec_lo, exec_lo, s5
                                        ; implicit-def: $vgpr1
.LBB7_2960:
	s_and_not1_saveexec_b32 s2, s2
; %bb.2961:
	v_mov_b32_e32 v0, 0x7f
	v_cmp_lt_u32_e32 vcc_lo, 0x7f800000, v1
	s_delay_alu instid0(VALU_DEP_2)
	v_cndmask_b32_e32 v0, 0x7e, v0, vcc_lo
; %bb.2962:
	s_or_b32 exec_lo, exec_lo, s2
	global_store_b8 v[2:3], v0, off
.LBB7_2963:
	s_mov_b32 s2, 0
.LBB7_2964:
	s_delay_alu instid0(SALU_CYCLE_1)
	s_and_not1_b32 vcc_lo, exec_lo, s2
	s_cbranch_vccnz .LBB7_2974
; %bb.2965:
	s_wait_xcnt 0x0
	v_cndmask_b32_e64 v1, 0, 1.0, s4
	s_mov_b32 s2, exec_lo
                                        ; implicit-def: $vgpr0
	s_delay_alu instid0(VALU_DEP_1)
	v_cmpx_gt_u32_e32 0x47800000, v1
	s_xor_b32 s2, exec_lo, s2
	s_cbranch_execz .LBB7_2971
; %bb.2966:
	s_mov_b32 s5, exec_lo
                                        ; implicit-def: $vgpr0
	v_cmpx_lt_u32_e32 0x387fffff, v1
	s_xor_b32 s5, exec_lo, s5
; %bb.2967:
	v_bfe_u32 v0, v1, 21, 1
	s_delay_alu instid0(VALU_DEP_1) | instskip(NEXT) | instid1(VALU_DEP_1)
	v_add3_u32 v0, v1, v0, 0x80fffff
                                        ; implicit-def: $vgpr1
	v_lshrrev_b32_e32 v0, 21, v0
; %bb.2968:
	s_and_not1_saveexec_b32 s5, s5
; %bb.2969:
	v_add_f32_e32 v0, 0x43000000, v1
; %bb.2970:
	s_or_b32 exec_lo, exec_lo, s5
                                        ; implicit-def: $vgpr1
.LBB7_2971:
	s_and_not1_saveexec_b32 s2, s2
; %bb.2972:
	v_mov_b32_e32 v0, 0x7f
	v_cmp_lt_u32_e32 vcc_lo, 0x7f800000, v1
	s_delay_alu instid0(VALU_DEP_2)
	v_cndmask_b32_e32 v0, 0x7c, v0, vcc_lo
; %bb.2973:
	s_or_b32 exec_lo, exec_lo, s2
	global_store_b8 v[2:3], v0, off
.LBB7_2974:
	s_mov_b32 s2, 0
.LBB7_2975:
	s_delay_alu instid0(SALU_CYCLE_1)
	s_and_not1_b32 vcc_lo, exec_lo, s2
	s_mov_b32 s2, 0
	s_cbranch_vccnz .LBB7_2982
; %bb.2976:
	s_cmp_gt_i32 s3, 14
	s_mov_b32 s2, -1
	s_cbranch_scc0 .LBB7_2980
; %bb.2977:
	s_cmp_eq_u32 s3, 15
	s_mov_b32 s0, -1
	s_cbranch_scc0 .LBB7_2979
; %bb.2978:
	s_wait_xcnt 0x0
	v_cndmask_b32_e64 v0, 0, 1.0, s4
	s_mov_b32 s0, 0
	s_delay_alu instid0(VALU_DEP_1) | instskip(NEXT) | instid1(VALU_DEP_1)
	v_bfe_u32 v1, v0, 16, 1
	v_add3_u32 v0, v0, v1, 0x7fff
	global_store_d16_hi_b16 v[2:3], v0, off
.LBB7_2979:
	s_mov_b32 s2, 0
.LBB7_2980:
	s_delay_alu instid0(SALU_CYCLE_1)
	s_and_b32 vcc_lo, exec_lo, s2
	s_mov_b32 s2, 0
	s_cbranch_vccz .LBB7_2982
; %bb.2981:
	s_cmp_lg_u32 s3, 11
	s_mov_b32 s2, -1
	s_cselect_b32 s0, -1, 0
.LBB7_2982:
	s_delay_alu instid0(SALU_CYCLE_1)
	s_and_b32 vcc_lo, exec_lo, s0
	s_cbranch_vccnz .LBB7_3044
.LBB7_2983:
	s_mov_b32 s0, 0
	s_branch .LBB7_2985
.LBB7_2984:
	s_mov_b32 s0, 0
	s_wait_xcnt 0x0
	s_mov_b32 s2, 0
                                        ; implicit-def: $sgpr4
                                        ; implicit-def: $vgpr2_vgpr3
                                        ; implicit-def: $sgpr6
.LBB7_2985:
	s_and_not1_b32 s3, s8, exec_lo
	s_and_b32 s1, s1, exec_lo
	s_and_b32 s0, s0, exec_lo
	;; [unrolled: 1-line block ×3, first 2 shown]
	s_or_b32 s8, s3, s1
.LBB7_2986:
	s_wait_xcnt 0x0
	s_or_b32 exec_lo, exec_lo, s9
	s_and_saveexec_b32 s1, s8
	s_cbranch_execnz .LBB7_2990
; %bb.2987:
	s_or_b32 exec_lo, exec_lo, s1
	s_and_saveexec_b32 s1, s34
	s_delay_alu instid0(SALU_CYCLE_1)
	s_xor_b32 s1, exec_lo, s1
	s_cbranch_execnz .LBB7_2991
.LBB7_2988:
	s_or_b32 exec_lo, exec_lo, s1
	s_and_saveexec_b32 s1, s0
	s_cbranch_execnz .LBB7_2992
.LBB7_2989:
	s_endpgm
.LBB7_2990:
	; divergent unreachable
	s_or_b32 exec_lo, exec_lo, s1
	s_and_saveexec_b32 s1, s34
	s_delay_alu instid0(SALU_CYCLE_1)
	s_xor_b32 s1, exec_lo, s1
	s_cbranch_execz .LBB7_2988
.LBB7_2991:
	v_cndmask_b32_e64 v0, 0, 1, s4
	global_store_b8 v[2:3], v0, off
	s_wait_xcnt 0x0
	s_or_b32 exec_lo, exec_lo, s1
	s_and_saveexec_b32 s1, s0
	s_cbranch_execz .LBB7_2989
.LBB7_2992:
	s_sext_i32_i16 s1, s6
	s_mov_b32 s0, -1
	s_cmp_lt_i32 s1, 5
	s_cbranch_scc1 .LBB7_3013
; %bb.2993:
	s_cmp_lt_i32 s1, 8
	s_cbranch_scc1 .LBB7_3003
; %bb.2994:
	;; [unrolled: 3-line block ×3, first 2 shown]
	s_cmp_gt_i32 s1, 9
	s_cbranch_scc0 .LBB7_2997
; %bb.2996:
	v_cndmask_b32_e64 v0, 0, 1, s4
	v_mov_b32_e32 v6, 0
	s_mov_b32 s0, 0
	s_delay_alu instid0(VALU_DEP_2) | instskip(NEXT) | instid1(VALU_DEP_2)
	v_cvt_f64_u32_e32 v[4:5], v0
	v_mov_b32_e32 v7, v6
	global_store_b128 v[2:3], v[4:7], off
.LBB7_2997:
	s_and_not1_b32 vcc_lo, exec_lo, s0
	s_cbranch_vccnz .LBB7_2999
; %bb.2998:
	v_cndmask_b32_e64 v0, 0, 1.0, s4
	v_mov_b32_e32 v1, 0
	global_store_b64 v[2:3], v[0:1], off
.LBB7_2999:
	s_mov_b32 s0, 0
.LBB7_3000:
	s_delay_alu instid0(SALU_CYCLE_1)
	s_and_not1_b32 vcc_lo, exec_lo, s0
	s_cbranch_vccnz .LBB7_3002
; %bb.3001:
	s_wait_xcnt 0x0
	v_cndmask_b32_e64 v0, 0, 1.0, s4
	s_delay_alu instid0(VALU_DEP_1) | instskip(NEXT) | instid1(VALU_DEP_1)
	v_cvt_f16_f32_e32 v0, v0
	v_and_b32_e32 v0, 0xffff, v0
	global_store_b32 v[2:3], v0, off
.LBB7_3002:
	s_mov_b32 s0, 0
.LBB7_3003:
	s_delay_alu instid0(SALU_CYCLE_1)
	s_and_not1_b32 vcc_lo, exec_lo, s0
	s_cbranch_vccnz .LBB7_3012
; %bb.3004:
	s_sext_i32_i16 s1, s6
	s_mov_b32 s0, -1
	s_cmp_lt_i32 s1, 6
	s_cbranch_scc1 .LBB7_3010
; %bb.3005:
	s_cmp_gt_i32 s1, 6
	s_cbranch_scc0 .LBB7_3007
; %bb.3006:
	s_wait_xcnt 0x0
	v_cndmask_b32_e64 v0, 0, 1, s4
	s_mov_b32 s0, 0
	s_delay_alu instid0(VALU_DEP_1)
	v_cvt_f64_u32_e32 v[0:1], v0
	global_store_b64 v[2:3], v[0:1], off
.LBB7_3007:
	s_and_not1_b32 vcc_lo, exec_lo, s0
	s_cbranch_vccnz .LBB7_3009
; %bb.3008:
	s_wait_xcnt 0x0
	v_cndmask_b32_e64 v0, 0, 1.0, s4
	global_store_b32 v[2:3], v0, off
.LBB7_3009:
	s_mov_b32 s0, 0
.LBB7_3010:
	s_delay_alu instid0(SALU_CYCLE_1)
	s_and_not1_b32 vcc_lo, exec_lo, s0
	s_cbranch_vccnz .LBB7_3012
; %bb.3011:
	s_wait_xcnt 0x0
	v_cndmask_b32_e64 v0, 0, 1.0, s4
	s_delay_alu instid0(VALU_DEP_1)
	v_cvt_f16_f32_e32 v0, v0
	global_store_b16 v[2:3], v0, off
.LBB7_3012:
	s_mov_b32 s0, 0
.LBB7_3013:
	s_delay_alu instid0(SALU_CYCLE_1)
	s_and_not1_b32 vcc_lo, exec_lo, s0
	s_cbranch_vccnz .LBB7_2989
; %bb.3014:
	s_sext_i32_i16 s1, s6
	s_mov_b32 s0, -1
	s_cmp_lt_i32 s1, 2
	s_cbranch_scc1 .LBB7_3024
; %bb.3015:
	s_cmp_lt_i32 s1, 3
	s_cbranch_scc1 .LBB7_3021
; %bb.3016:
	s_cmp_gt_i32 s1, 3
	s_cbranch_scc0 .LBB7_3018
; %bb.3017:
	s_mov_b32 s0, 0
	s_wait_xcnt 0x0
	v_cndmask_b32_e64 v0, 0, 1, s4
	v_mov_b32_e32 v1, s0
	global_store_b64 v[2:3], v[0:1], off
.LBB7_3018:
	s_and_not1_b32 vcc_lo, exec_lo, s0
	s_cbranch_vccnz .LBB7_3020
; %bb.3019:
	s_wait_xcnt 0x0
	v_cndmask_b32_e64 v0, 0, 1, s4
	global_store_b32 v[2:3], v0, off
.LBB7_3020:
	s_mov_b32 s0, 0
.LBB7_3021:
	s_delay_alu instid0(SALU_CYCLE_1)
	s_and_not1_b32 vcc_lo, exec_lo, s0
	s_cbranch_vccnz .LBB7_3023
; %bb.3022:
	s_wait_xcnt 0x0
	v_cndmask_b32_e64 v0, 0, 1, s4
	global_store_b16 v[2:3], v0, off
.LBB7_3023:
	s_mov_b32 s0, 0
.LBB7_3024:
	s_delay_alu instid0(SALU_CYCLE_1)
	s_and_not1_b32 vcc_lo, exec_lo, s0
	s_cbranch_vccnz .LBB7_2989
; %bb.3025:
	s_sext_i32_i16 s0, s6
	s_delay_alu instid0(SALU_CYCLE_1)
	s_cmp_gt_i32 s0, 0
	s_mov_b32 s0, -1
	s_cbranch_scc0 .LBB7_3027
; %bb.3026:
	s_wait_xcnt 0x0
	v_cndmask_b32_e64 v0, 0, 1, s4
	s_mov_b32 s0, 0
	global_store_b8 v[2:3], v0, off
.LBB7_3027:
	s_and_not1_b32 vcc_lo, exec_lo, s0
	s_cbranch_vccnz .LBB7_2989
; %bb.3028:
	s_wait_xcnt 0x0
	v_cndmask_b32_e64 v0, 0, 1, s4
	global_store_b8 v[2:3], v0, off
	s_endpgm
.LBB7_3029:
	s_mov_b32 s2, 0
	s_mov_b32 s0, -1
	s_branch .LBB7_2985
.LBB7_3030:
	s_mov_b32 s4, 0
	s_or_b32 s1, s1, exec_lo
	s_trap 2
	s_cbranch_execz .LBB7_2499
	s_branch .LBB7_2500
.LBB7_3031:
	s_or_b32 s1, s1, exec_lo
	s_trap 2
	s_cbranch_execz .LBB7_2627
	s_branch .LBB7_2628
.LBB7_3032:
	v_bfe_u32 v1, v3, 20, 1
	s_mov_b32 s16, exec_lo
	s_delay_alu instid0(VALU_DEP_1) | instskip(NEXT) | instid1(VALU_DEP_1)
	v_add3_u32 v1, v3, v1, 0x487ffff
                                        ; implicit-def: $vgpr3
	v_lshrrev_b32_e32 v1, 20, v1
	s_and_not1_saveexec_b32 s19, s19
	s_cbranch_execz .LBB7_2579
.LBB7_3033:
	v_add_f32_e32 v1, 0x46000000, v3
	s_and_not1_b32 s16, s16, exec_lo
	s_delay_alu instid0(VALU_DEP_1) | instskip(NEXT) | instid1(VALU_DEP_1)
	v_and_b32_e32 v1, 0xff, v1
	v_cmp_ne_u32_e32 vcc_lo, 0, v1
	s_and_b32 s20, vcc_lo, exec_lo
	s_delay_alu instid0(SALU_CYCLE_1)
	s_or_b32 s16, s16, s20
	s_or_b32 exec_lo, exec_lo, s19
	v_mov_b32_e32 v5, 0
	s_and_saveexec_b32 s19, s16
	s_cbranch_execnz .LBB7_2580
	s_branch .LBB7_2581
.LBB7_3034:
	s_or_b32 s1, s1, exec_lo
	s_trap 2
	s_cbranch_execz .LBB7_2746
	s_branch .LBB7_2747
.LBB7_3035:
	v_bfe_u32 v1, v3, 21, 1
	s_mov_b32 s15, exec_lo
	s_delay_alu instid0(VALU_DEP_1) | instskip(NEXT) | instid1(VALU_DEP_1)
	v_add3_u32 v1, v3, v1, 0x88fffff
                                        ; implicit-def: $vgpr3
	v_lshrrev_b32_e32 v1, 21, v1
	s_and_not1_saveexec_b32 s16, s16
	s_cbranch_execz .LBB7_2592
.LBB7_3036:
	v_add_f32_e32 v1, 0x42800000, v3
	s_and_not1_b32 s15, s15, exec_lo
	s_delay_alu instid0(VALU_DEP_1) | instskip(NEXT) | instid1(VALU_DEP_1)
	v_and_b32_e32 v1, 0xff, v1
	v_cmp_ne_u32_e32 vcc_lo, 0, v1
	s_and_b32 s19, vcc_lo, exec_lo
	s_delay_alu instid0(SALU_CYCLE_1)
	s_or_b32 s15, s15, s19
	s_or_b32 exec_lo, exec_lo, s16
	v_mov_b32_e32 v5, 0
	s_and_saveexec_b32 s16, s15
	s_cbranch_execnz .LBB7_2593
	s_branch .LBB7_2594
.LBB7_3037:
	v_bfe_u32 v1, v3, 20, 1
	s_mov_b32 s13, exec_lo
	s_delay_alu instid0(VALU_DEP_1) | instskip(NEXT) | instid1(VALU_DEP_1)
	v_add3_u32 v1, v3, v1, 0x487ffff
                                        ; implicit-def: $vgpr3
	v_lshrrev_b32_e32 v1, 20, v1
	s_and_not1_saveexec_b32 s15, s15
	s_cbranch_execz .LBB7_2698
.LBB7_3038:
	v_add_f32_e32 v1, 0x46000000, v3
	s_and_not1_b32 s13, s13, exec_lo
	s_delay_alu instid0(VALU_DEP_1) | instskip(NEXT) | instid1(VALU_DEP_1)
	v_and_b32_e32 v1, 0xff, v1
	v_cmp_ne_u32_e32 vcc_lo, 0, v1
	s_and_b32 s16, vcc_lo, exec_lo
	s_delay_alu instid0(SALU_CYCLE_1)
	s_or_b32 s13, s13, s16
	s_or_b32 exec_lo, exec_lo, s15
	v_mov_b32_e32 v6, 0
	s_and_saveexec_b32 s15, s13
	s_cbranch_execnz .LBB7_2699
	s_branch .LBB7_2700
.LBB7_3039:
	s_or_b32 s1, s1, exec_lo
	s_trap 2
	s_cbranch_execz .LBB7_2865
	s_branch .LBB7_2866
.LBB7_3040:
	v_bfe_u32 v1, v3, 21, 1
	s_mov_b32 s12, exec_lo
	s_delay_alu instid0(VALU_DEP_1) | instskip(NEXT) | instid1(VALU_DEP_1)
	v_add3_u32 v1, v3, v1, 0x88fffff
                                        ; implicit-def: $vgpr3
	v_lshrrev_b32_e32 v1, 21, v1
	s_and_not1_saveexec_b32 s13, s13
	s_cbranch_execz .LBB7_2711
.LBB7_3041:
	v_add_f32_e32 v1, 0x42800000, v3
	s_and_not1_b32 s12, s12, exec_lo
	s_delay_alu instid0(VALU_DEP_1) | instskip(NEXT) | instid1(VALU_DEP_1)
	v_and_b32_e32 v1, 0xff, v1
	v_cmp_ne_u32_e32 vcc_lo, 0, v1
	s_and_b32 s15, vcc_lo, exec_lo
	s_delay_alu instid0(SALU_CYCLE_1)
	s_or_b32 s12, s12, s15
	s_or_b32 exec_lo, exec_lo, s13
	v_mov_b32_e32 v6, 0
	s_and_saveexec_b32 s13, s12
	s_cbranch_execnz .LBB7_2712
	s_branch .LBB7_2713
.LBB7_3042:
	v_bfe_u32 v1, v4, 20, 1
	s_mov_b32 s13, exec_lo
	s_delay_alu instid0(VALU_DEP_1) | instskip(NEXT) | instid1(VALU_DEP_1)
	v_add3_u32 v1, v4, v1, 0x487ffff
                                        ; implicit-def: $vgpr4
	v_lshrrev_b32_e32 v1, 20, v1
	s_and_not1_saveexec_b32 s14, s14
	s_cbranch_execz .LBB7_2817
.LBB7_3043:
	v_add_f32_e32 v1, 0x46000000, v4
	s_and_not1_b32 s13, s13, exec_lo
	s_delay_alu instid0(VALU_DEP_1) | instskip(NEXT) | instid1(VALU_DEP_1)
	v_and_b32_e32 v1, 0xff, v1
	v_cmp_ne_u32_e32 vcc_lo, 0, v1
	s_and_b32 s15, vcc_lo, exec_lo
	s_delay_alu instid0(SALU_CYCLE_1)
	s_or_b32 s13, s13, s15
	s_or_b32 exec_lo, exec_lo, s14
	v_mov_b32_e32 v5, 0
	s_and_saveexec_b32 s14, s13
	s_cbranch_execnz .LBB7_2818
	s_branch .LBB7_2819
.LBB7_3044:
	s_mov_b32 s2, 0
	s_or_b32 s1, s1, exec_lo
	s_trap 2
	s_branch .LBB7_2983
.LBB7_3045:
	v_bfe_u32 v1, v4, 21, 1
	s_mov_b32 s12, exec_lo
	s_delay_alu instid0(VALU_DEP_1) | instskip(NEXT) | instid1(VALU_DEP_1)
	v_add3_u32 v1, v4, v1, 0x88fffff
                                        ; implicit-def: $vgpr4
	v_lshrrev_b32_e32 v1, 21, v1
	s_and_not1_saveexec_b32 s13, s13
	s_cbranch_execz .LBB7_2830
.LBB7_3046:
	v_add_f32_e32 v1, 0x42800000, v4
	s_and_not1_b32 s12, s12, exec_lo
	s_delay_alu instid0(VALU_DEP_1) | instskip(NEXT) | instid1(VALU_DEP_1)
	v_and_b32_e32 v1, 0xff, v1
	v_cmp_ne_u32_e32 vcc_lo, 0, v1
	s_and_b32 s14, vcc_lo, exec_lo
	s_delay_alu instid0(SALU_CYCLE_1)
	s_or_b32 s12, s12, s14
	s_or_b32 exec_lo, exec_lo, s13
	v_mov_b32_e32 v5, 0
	s_and_saveexec_b32 s13, s12
	s_cbranch_execnz .LBB7_2831
	s_branch .LBB7_2832
.LBB7_3047:
	v_bfe_u32 v0, v1, 20, 1
	s_mov_b32 s7, exec_lo
	s_delay_alu instid0(VALU_DEP_1) | instskip(NEXT) | instid1(VALU_DEP_1)
	v_add3_u32 v0, v1, v0, 0x487ffff
                                        ; implicit-def: $vgpr1
	v_lshrrev_b32_e32 v0, 20, v0
	s_and_not1_saveexec_b32 s10, s10
	s_cbranch_execz .LBB7_2937
.LBB7_3048:
	v_add_f32_e32 v0, 0x46000000, v1
	s_and_not1_b32 s7, s7, exec_lo
	s_delay_alu instid0(VALU_DEP_1) | instskip(NEXT) | instid1(VALU_DEP_1)
	v_and_b32_e32 v0, 0xff, v0
	v_cmp_ne_u32_e32 vcc_lo, 0, v0
	s_and_b32 s11, vcc_lo, exec_lo
	s_delay_alu instid0(SALU_CYCLE_1)
	s_or_b32 s7, s7, s11
	s_or_b32 exec_lo, exec_lo, s10
	v_mov_b32_e32 v4, 0
	s_and_saveexec_b32 s10, s7
	s_cbranch_execnz .LBB7_2938
	s_branch .LBB7_2939
.LBB7_3049:
	v_bfe_u32 v0, v1, 21, 1
	s_mov_b32 s5, exec_lo
	s_delay_alu instid0(VALU_DEP_1) | instskip(NEXT) | instid1(VALU_DEP_1)
	v_add3_u32 v0, v1, v0, 0x88fffff
                                        ; implicit-def: $vgpr1
	v_lshrrev_b32_e32 v0, 21, v0
	s_and_not1_saveexec_b32 s7, s7
	s_cbranch_execz .LBB7_2949
.LBB7_3050:
	v_add_f32_e32 v0, 0x42800000, v1
	s_and_not1_b32 s5, s5, exec_lo
	s_delay_alu instid0(VALU_DEP_1) | instskip(NEXT) | instid1(VALU_DEP_1)
	v_and_b32_e32 v0, 0xff, v0
	v_cmp_ne_u32_e32 vcc_lo, 0, v0
	s_and_b32 s10, vcc_lo, exec_lo
	s_delay_alu instid0(SALU_CYCLE_1)
	s_or_b32 s5, s5, s10
	s_or_b32 exec_lo, exec_lo, s7
	v_mov_b32_e32 v4, 0
	s_and_saveexec_b32 s7, s5
	s_cbranch_execnz .LBB7_2950
	s_branch .LBB7_2951
	.section	.rodata,"a",@progbits
	.p2align	6, 0x0
	.amdhsa_kernel _ZN2at6native32elementwise_kernel_manual_unrollILi128ELi4EZNS0_15gpu_kernel_implIZNS0_12_GLOBAL__N_116addr_kernel_cudaERNS_14TensorIteratorERKN3c106ScalarES9_EUlbbbE_EEvRNS_18TensorIteratorBaseERKT_EUlibE0_EEviT1_
		.amdhsa_group_segment_fixed_size 0
		.amdhsa_private_segment_fixed_size 0
		.amdhsa_kernarg_size 504
		.amdhsa_user_sgpr_count 2
		.amdhsa_user_sgpr_dispatch_ptr 0
		.amdhsa_user_sgpr_queue_ptr 0
		.amdhsa_user_sgpr_kernarg_segment_ptr 1
		.amdhsa_user_sgpr_dispatch_id 0
		.amdhsa_user_sgpr_kernarg_preload_length 0
		.amdhsa_user_sgpr_kernarg_preload_offset 0
		.amdhsa_user_sgpr_private_segment_size 0
		.amdhsa_wavefront_size32 1
		.amdhsa_uses_dynamic_stack 0
		.amdhsa_enable_private_segment 0
		.amdhsa_system_sgpr_workgroup_id_x 1
		.amdhsa_system_sgpr_workgroup_id_y 0
		.amdhsa_system_sgpr_workgroup_id_z 0
		.amdhsa_system_sgpr_workgroup_info 0
		.amdhsa_system_vgpr_workitem_id 0
		.amdhsa_next_free_vgpr 28
		.amdhsa_next_free_sgpr 63
		.amdhsa_named_barrier_count 0
		.amdhsa_reserve_vcc 1
		.amdhsa_float_round_mode_32 0
		.amdhsa_float_round_mode_16_64 0
		.amdhsa_float_denorm_mode_32 3
		.amdhsa_float_denorm_mode_16_64 3
		.amdhsa_fp16_overflow 0
		.amdhsa_memory_ordered 1
		.amdhsa_forward_progress 1
		.amdhsa_inst_pref_size 255
		.amdhsa_round_robin_scheduling 0
		.amdhsa_exception_fp_ieee_invalid_op 0
		.amdhsa_exception_fp_denorm_src 0
		.amdhsa_exception_fp_ieee_div_zero 0
		.amdhsa_exception_fp_ieee_overflow 0
		.amdhsa_exception_fp_ieee_underflow 0
		.amdhsa_exception_fp_ieee_inexact 0
		.amdhsa_exception_int_div_zero 0
	.end_amdhsa_kernel
	.section	.text._ZN2at6native32elementwise_kernel_manual_unrollILi128ELi4EZNS0_15gpu_kernel_implIZNS0_12_GLOBAL__N_116addr_kernel_cudaERNS_14TensorIteratorERKN3c106ScalarES9_EUlbbbE_EEvRNS_18TensorIteratorBaseERKT_EUlibE0_EEviT1_,"axG",@progbits,_ZN2at6native32elementwise_kernel_manual_unrollILi128ELi4EZNS0_15gpu_kernel_implIZNS0_12_GLOBAL__N_116addr_kernel_cudaERNS_14TensorIteratorERKN3c106ScalarES9_EUlbbbE_EEvRNS_18TensorIteratorBaseERKT_EUlibE0_EEviT1_,comdat
.Lfunc_end7:
	.size	_ZN2at6native32elementwise_kernel_manual_unrollILi128ELi4EZNS0_15gpu_kernel_implIZNS0_12_GLOBAL__N_116addr_kernel_cudaERNS_14TensorIteratorERKN3c106ScalarES9_EUlbbbE_EEvRNS_18TensorIteratorBaseERKT_EUlibE0_EEviT1_, .Lfunc_end7-_ZN2at6native32elementwise_kernel_manual_unrollILi128ELi4EZNS0_15gpu_kernel_implIZNS0_12_GLOBAL__N_116addr_kernel_cudaERNS_14TensorIteratorERKN3c106ScalarES9_EUlbbbE_EEvRNS_18TensorIteratorBaseERKT_EUlibE0_EEviT1_
                                        ; -- End function
	.set _ZN2at6native32elementwise_kernel_manual_unrollILi128ELi4EZNS0_15gpu_kernel_implIZNS0_12_GLOBAL__N_116addr_kernel_cudaERNS_14TensorIteratorERKN3c106ScalarES9_EUlbbbE_EEvRNS_18TensorIteratorBaseERKT_EUlibE0_EEviT1_.num_vgpr, 28
	.set _ZN2at6native32elementwise_kernel_manual_unrollILi128ELi4EZNS0_15gpu_kernel_implIZNS0_12_GLOBAL__N_116addr_kernel_cudaERNS_14TensorIteratorERKN3c106ScalarES9_EUlbbbE_EEvRNS_18TensorIteratorBaseERKT_EUlibE0_EEviT1_.num_agpr, 0
	.set _ZN2at6native32elementwise_kernel_manual_unrollILi128ELi4EZNS0_15gpu_kernel_implIZNS0_12_GLOBAL__N_116addr_kernel_cudaERNS_14TensorIteratorERKN3c106ScalarES9_EUlbbbE_EEvRNS_18TensorIteratorBaseERKT_EUlibE0_EEviT1_.numbered_sgpr, 63
	.set _ZN2at6native32elementwise_kernel_manual_unrollILi128ELi4EZNS0_15gpu_kernel_implIZNS0_12_GLOBAL__N_116addr_kernel_cudaERNS_14TensorIteratorERKN3c106ScalarES9_EUlbbbE_EEvRNS_18TensorIteratorBaseERKT_EUlibE0_EEviT1_.num_named_barrier, 0
	.set _ZN2at6native32elementwise_kernel_manual_unrollILi128ELi4EZNS0_15gpu_kernel_implIZNS0_12_GLOBAL__N_116addr_kernel_cudaERNS_14TensorIteratorERKN3c106ScalarES9_EUlbbbE_EEvRNS_18TensorIteratorBaseERKT_EUlibE0_EEviT1_.private_seg_size, 0
	.set _ZN2at6native32elementwise_kernel_manual_unrollILi128ELi4EZNS0_15gpu_kernel_implIZNS0_12_GLOBAL__N_116addr_kernel_cudaERNS_14TensorIteratorERKN3c106ScalarES9_EUlbbbE_EEvRNS_18TensorIteratorBaseERKT_EUlibE0_EEviT1_.uses_vcc, 1
	.set _ZN2at6native32elementwise_kernel_manual_unrollILi128ELi4EZNS0_15gpu_kernel_implIZNS0_12_GLOBAL__N_116addr_kernel_cudaERNS_14TensorIteratorERKN3c106ScalarES9_EUlbbbE_EEvRNS_18TensorIteratorBaseERKT_EUlibE0_EEviT1_.uses_flat_scratch, 0
	.set _ZN2at6native32elementwise_kernel_manual_unrollILi128ELi4EZNS0_15gpu_kernel_implIZNS0_12_GLOBAL__N_116addr_kernel_cudaERNS_14TensorIteratorERKN3c106ScalarES9_EUlbbbE_EEvRNS_18TensorIteratorBaseERKT_EUlibE0_EEviT1_.has_dyn_sized_stack, 0
	.set _ZN2at6native32elementwise_kernel_manual_unrollILi128ELi4EZNS0_15gpu_kernel_implIZNS0_12_GLOBAL__N_116addr_kernel_cudaERNS_14TensorIteratorERKN3c106ScalarES9_EUlbbbE_EEvRNS_18TensorIteratorBaseERKT_EUlibE0_EEviT1_.has_recursion, 0
	.set _ZN2at6native32elementwise_kernel_manual_unrollILi128ELi4EZNS0_15gpu_kernel_implIZNS0_12_GLOBAL__N_116addr_kernel_cudaERNS_14TensorIteratorERKN3c106ScalarES9_EUlbbbE_EEvRNS_18TensorIteratorBaseERKT_EUlibE0_EEviT1_.has_indirect_call, 0
	.section	.AMDGPU.csdata,"",@progbits
; Kernel info:
; codeLenInByte = 52184
; TotalNumSgprs: 65
; NumVgprs: 28
; ScratchSize: 0
; MemoryBound: 1
; FloatMode: 240
; IeeeMode: 1
; LDSByteSize: 0 bytes/workgroup (compile time only)
; SGPRBlocks: 0
; VGPRBlocks: 1
; NumSGPRsForWavesPerEU: 65
; NumVGPRsForWavesPerEU: 28
; NamedBarCnt: 0
; Occupancy: 16
; WaveLimiterHint : 1
; COMPUTE_PGM_RSRC2:SCRATCH_EN: 0
; COMPUTE_PGM_RSRC2:USER_SGPR: 2
; COMPUTE_PGM_RSRC2:TRAP_HANDLER: 0
; COMPUTE_PGM_RSRC2:TGID_X_EN: 1
; COMPUTE_PGM_RSRC2:TGID_Y_EN: 0
; COMPUTE_PGM_RSRC2:TGID_Z_EN: 0
; COMPUTE_PGM_RSRC2:TIDIG_COMP_CNT: 0
	.section	.text._ZN2at6native29vectorized_elementwise_kernelILi16EZNS0_12_GLOBAL__N_116addr_kernel_cudaERNS_14TensorIteratorERKN3c106ScalarES8_EUlbbbE0_St5arrayIPcLm4EEEEviT0_T1_,"axG",@progbits,_ZN2at6native29vectorized_elementwise_kernelILi16EZNS0_12_GLOBAL__N_116addr_kernel_cudaERNS_14TensorIteratorERKN3c106ScalarES8_EUlbbbE0_St5arrayIPcLm4EEEEviT0_T1_,comdat
	.globl	_ZN2at6native29vectorized_elementwise_kernelILi16EZNS0_12_GLOBAL__N_116addr_kernel_cudaERNS_14TensorIteratorERKN3c106ScalarES8_EUlbbbE0_St5arrayIPcLm4EEEEviT0_T1_ ; -- Begin function _ZN2at6native29vectorized_elementwise_kernelILi16EZNS0_12_GLOBAL__N_116addr_kernel_cudaERNS_14TensorIteratorERKN3c106ScalarES8_EUlbbbE0_St5arrayIPcLm4EEEEviT0_T1_
	.p2align	8
	.type	_ZN2at6native29vectorized_elementwise_kernelILi16EZNS0_12_GLOBAL__N_116addr_kernel_cudaERNS_14TensorIteratorERKN3c106ScalarES8_EUlbbbE0_St5arrayIPcLm4EEEEviT0_T1_,@function
_ZN2at6native29vectorized_elementwise_kernelILi16EZNS0_12_GLOBAL__N_116addr_kernel_cudaERNS_14TensorIteratorERKN3c106ScalarES8_EUlbbbE0_St5arrayIPcLm4EEEEviT0_T1_: ; @_ZN2at6native29vectorized_elementwise_kernelILi16EZNS0_12_GLOBAL__N_116addr_kernel_cudaERNS_14TensorIteratorERKN3c106ScalarES8_EUlbbbE0_St5arrayIPcLm4EEEEviT0_T1_
; %bb.0:
	v_mov_b32_e32 v1, 0
	s_clause 0x1
	s_load_b32 s2, s[0:1], 0x0
	s_load_b256 s[48:55], s[0:1], 0x8
	s_getreg_b32 s3, hwreg(HW_REG_IB_STS2, 6, 4)
	global_load_u16 v1, v1, s[0:1] offset:4
	s_wait_xcnt 0x0
	s_bfe_u32 s0, ttmp6, 0x4000c
	s_and_b32 s1, ttmp6, 15
	s_add_co_i32 s0, s0, 1
	s_delay_alu instid0(SALU_CYCLE_1) | instskip(NEXT) | instid1(SALU_CYCLE_1)
	s_mul_i32 s0, ttmp9, s0
	s_add_co_i32 s1, s1, s0
	s_cmp_eq_u32 s3, 0
	s_cselect_b32 s0, ttmp9, s1
	s_delay_alu instid0(SALU_CYCLE_1) | instskip(SKIP_3) | instid1(SALU_CYCLE_1)
	s_lshl_b32 s56, s0, 12
	s_mov_b32 s0, -1
	s_wait_kmcnt 0x0
	s_sub_co_i32 s58, s2, s56
	s_cmp_gt_i32 s58, 0xfff
	s_wait_loadcnt 0x0
	v_readfirstlane_b32 s47, v1
	s_cbranch_scc0 .LBB8_2
; %bb.1:
	s_ashr_i32 s57, s56, 31
	s_bitcmp1_b32 s47, 0
	s_add_nc_u64 s[0:1], s[50:51], s[56:57]
	s_cselect_b32 s59, -1, 0
	global_load_b128 v[2:5], v0, s[0:1] scale_offset
	s_wait_xcnt 0x0
	s_add_nc_u64 s[0:1], s[52:53], s[56:57]
	global_load_b128 v[6:9], v0, s[0:1] scale_offset
	s_wait_xcnt 0x0
	s_add_nc_u64 s[0:1], s[54:55], s[56:57]
	global_load_b128 v[10:13], v0, s[0:1] scale_offset
	s_wait_loadcnt 0x2
	v_and_b32_e32 v1, 0xff, v2
	v_dual_lshrrev_b32 v14, 8, v2 :: v_dual_lshrrev_b32 v15, 16, v2
	v_dual_lshrrev_b32 v2, 24, v2 :: v_dual_lshrrev_b32 v17, 8, v3
	v_and_b32_e32 v16, 0xff, v3
	v_dual_lshrrev_b32 v18, 16, v3 :: v_dual_lshrrev_b32 v3, 24, v3
	s_wait_loadcnt 0x1
	v_and_b32_e32 v25, 0xff, v6
	v_dual_lshrrev_b32 v26, 8, v6 :: v_dual_lshrrev_b32 v27, 16, v6
	v_dual_lshrrev_b32 v6, 24, v6 :: v_dual_lshrrev_b32 v29, 8, v7
	v_cmp_ne_u16_e32 vcc_lo, 0, v1
	v_and_b32_e32 v19, 0xff, v4
	v_dual_lshrrev_b32 v20, 8, v4 :: v_dual_lshrrev_b32 v21, 16, v4
	v_dual_lshrrev_b32 v4, 24, v4 :: v_dual_lshrrev_b32 v23, 8, v5
	v_lshrrev_b32_e32 v30, 16, v7
	v_and_b32_e32 v31, 0xff, v8
	v_dual_lshrrev_b32 v32, 8, v8 :: v_dual_lshrrev_b32 v33, 16, v8
	v_dual_lshrrev_b32 v8, 24, v8 :: v_dual_lshrrev_b32 v35, 8, v9
	s_wait_loadcnt 0x0
	v_and_b32_e32 v37, 0xff, v10
	v_dual_lshrrev_b32 v38, 8, v10 :: v_dual_lshrrev_b32 v39, 16, v10
	v_dual_lshrrev_b32 v10, 24, v10 :: v_dual_lshrrev_b32 v41, 8, v11
	v_and_b32_e32 v28, 0xff, v7
	v_and_b32_e32 v34, 0xff, v9
	v_dual_lshrrev_b32 v36, 16, v9 :: v_dual_lshrrev_b32 v9, 24, v9
	v_lshrrev_b32_e32 v42, 16, v11
	v_and_b32_e32 v40, 0xff, v11
	v_cmp_ne_u16_e64 s2, 0, v3
	v_and_b32_e32 v3, 0xff, v29
	v_cmp_ne_u16_e64 s8, 0, v6
	s_and_b32 s60, vcc_lo, s59
	v_lshrrev_b32_e32 v7, 24, v7
	v_and_b32_e32 v17, 0xff, v17
	v_cmp_ne_u16_e64 s4, 0, v4
	v_and_b32_e32 v4, 0xff, v30
	v_cmp_ne_u16_e64 s12, 0, v8
	v_and_b32_e32 v8, 0xff, v41
	s_bitcmp1_b32 s47, 8
	v_and_b32_e32 v22, 0xff, v5
	v_dual_lshrrev_b32 v24, 16, v5 :: v_dual_lshrrev_b32 v5, 24, v5
	v_cmp_ne_u16_e64 s0, 0, v2
	v_cmp_ne_u16_e64 s9, 0, v28
	;; [unrolled: 1-line block ×3, first 2 shown]
	v_lshrrev_b32_e32 v11, 24, v11
	v_and_b32_e32 v18, 0xff, v18
	v_cmp_ne_u16_e64 s14, 0, v9
	v_and_b32_e32 v9, 0xff, v42
	s_cselect_b32 s61, -1, 0
	v_dual_lshrrev_b32 v44, 8, v12 :: v_dual_lshrrev_b32 v45, 16, v12
	v_cmp_ne_u16_e64 s1, 0, v16
	v_cmp_ne_u16_e64 s17, 0, v40
	;; [unrolled: 1-line block ×3, first 2 shown]
	s_and_b32 s8, s8, s61
	v_cmp_ne_u16_e64 s25, 0, v17
	v_cmp_ne_u16_e64 s35, 0, v4
	;; [unrolled: 1-line block ×3, first 2 shown]
	v_and_b32_e32 v43, 0xff, v12
	v_cmp_ne_u16_e64 s6, 0, v5
	v_and_b32_e32 v5, 0xff, v32
	s_and_b32 s0, s0, s59
	s_and_b32 s9, s9, s61
	;; [unrolled: 1-line block ×3, first 2 shown]
	v_cmp_ne_u16_e64 s10, 0, v7
	v_cmp_ne_u16_e64 s26, 0, v18
	;; [unrolled: 1-line block ×3, first 2 shown]
	v_and_b32_e32 v20, 0xff, v20
	v_and_b32_e32 v16, 0xff, v33
	v_cmp_ne_u16_e64 s7, 0, v25
	v_and_b32_e32 v25, 0xff, v44
	s_and_b32 s1, s1, s59
	s_and_b32 s34, s34, s61
	;; [unrolled: 1-line block ×3, first 2 shown]
	s_or_b32 s0, s0, s8
	v_dual_lshrrev_b32 v12, 24, v12 :: v_dual_lshrrev_b32 v47, 8, v13
	v_and_b32_e32 v1, 0xff, v26
	v_cmp_ne_u16_e64 s11, 0, v31
	v_and_b32_e32 v6, 0xff, v38
	v_cmp_ne_u16_e64 s18, 0, v11
	v_and_b32_e32 v21, 0xff, v21
	v_and_b32_e32 v26, 0xff, v45
	s_and_b32 s25, s25, s59
	s_and_b32 s35, s35, s61
	;; [unrolled: 1-line block ×3, first 2 shown]
	v_cndmask_b32_e64 v4, 0, 1, s0
	s_or_b32 s0, s1, s9
	v_and_b32_e32 v14, 0xff, v14
	v_cmp_ne_u16_e64 s3, 0, v19
	v_and_b32_e32 v7, 0xff, v39
	v_cmp_ne_u16_e64 s19, 0, v43
	v_cmp_ne_u16_e64 s36, 0, v5
	v_and_b32_e32 v19, 0xff, v35
	s_and_b32 s26, s26, s59
	s_and_b32 s10, s10, s61
	;; [unrolled: 1-line block ×3, first 2 shown]
	v_cndmask_b32_e64 v5, 0, 1, s0
	s_or_b32 s0, s25, s16
	v_cmp_ne_u16_e64 s27, 0, v20
	v_cmp_ne_u16_e64 s37, 0, v16
	;; [unrolled: 1-line block ×3, first 2 shown]
	v_and_b32_e32 v23, 0xff, v23
	v_and_b32_e32 v2, 0xff, v27
	v_and_b32_e32 v27, 0xff, v47
	v_cmp_ne_u16_e64 s15, 0, v37
	v_cmp_ne_u16_e64 s31, 0, v1
	;; [unrolled: 1-line block ×3, first 2 shown]
	s_and_b32 s2, s2, s59
	s_and_b32 s11, s11, s61
	;; [unrolled: 1-line block ×3, first 2 shown]
	v_cndmask_b32_e64 v6, 0, 1, s0
	s_or_b32 s0, s26, s17
	v_cmp_ne_u16_e64 s28, 0, v21
	v_cmp_ne_u16_e64 s45, 0, v26
	v_and_b32_e32 v46, 0xff, v13
	v_dual_lshrrev_b32 v48, 16, v13 :: v_dual_lshrrev_b32 v13, 24, v13
	v_and_b32_e32 v15, 0xff, v15
	v_cmp_ne_u16_e64 s23, 0, v14
	v_cmp_ne_u16_e64 s41, 0, v7
	s_and_b32 s3, s3, s59
	s_and_b32 s36, s36, s61
	;; [unrolled: 1-line block ×3, first 2 shown]
	v_cndmask_b32_e64 v7, 0, 1, s0
	s_or_b32 s0, s2, s10
	v_cmp_ne_u16_e64 s20, 0, v12
	v_cmp_ne_u16_e64 s38, 0, v19
	s_and_b32 s7, s7, s61
	s_and_b32 s27, s27, s59
	;; [unrolled: 1-line block ×4, first 2 shown]
	v_cndmask_b32_e64 v8, 0, 1, s0
	s_or_b32 s0, s3, s11
	v_cmp_ne_u16_e64 s5, 0, v22
	v_and_b32_e32 v22, 0xff, v36
	v_cmp_ne_u16_e64 s29, 0, v23
	v_cmp_ne_u16_e64 s33, 0, v2
	;; [unrolled: 1-line block ×3, first 2 shown]
	s_and_b32 s31, s31, s61
	s_and_b32 s7, s7, s15
	;; [unrolled: 1-line block ×5, first 2 shown]
	v_cndmask_b32_e64 v9, 0, 1, s0
	s_or_b32 s0, s27, s18
	v_and_b32_e32 v24, 0xff, v24
	v_and_b32_e32 v28, 0xff, v48
	v_cmp_ne_u16_e64 s22, 0, v13
	v_cmp_ne_u16_e64 s24, 0, v15
	s_and_b32 s23, s23, s59
	s_and_b32 s15, s31, s40
	s_or_b32 s7, s60, s7
	v_cmp_ne_u16_e64 s13, 0, v34
	s_and_b32 s4, s4, s59
	s_and_b32 s38, s38, s61
	;; [unrolled: 1-line block ×3, first 2 shown]
	v_cndmask_b32_e64 v10, 0, 1, s0
	s_or_b32 s0, s28, s19
	v_cndmask_b32_e64 v1, 0, 1, s7
	s_or_b32 s7, s23, s15
	v_cmp_ne_u16_e64 s21, 0, v46
	v_cmp_ne_u16_e64 s39, 0, v22
	s_and_b32 s33, s33, s61
	s_and_b32 s29, s29, s59
	;; [unrolled: 1-line block ×4, first 2 shown]
	v_cndmask_b32_e64 v11, 0, 1, s0
	s_or_b32 s0, s4, s12
	v_cndmask_b32_e64 v2, 0, 1, s7
	v_cmp_ne_u16_e64 s30, 0, v24
	v_cmp_ne_u16_e32 vcc_lo, 0, v28
	s_and_b32 s6, s6, s59
	s_and_b32 s24, s24, s59
	;; [unrolled: 1-line block ×4, first 2 shown]
	v_cndmask_b32_e64 v12, 0, 1, s0
	s_or_b32 s0, s29, s20
	s_and_b32 s13, s13, s61
	s_or_b32 s7, s24, s31
	v_cndmask_b32_e64 v13, 0, 1, s0
	s_or_b32 s0, s6, s14
	s_and_b32 s5, s5, s59
	s_and_b32 s39, s39, s61
	;; [unrolled: 1-line block ×3, first 2 shown]
	v_cndmask_b32_e64 v3, 0, 1, s7
	v_cndmask_b32_e64 v14, 0, 1, s0
	v_lshlrev_b16 v2, 8, v2
	v_lshlrev_b16 v4, 8, v4
	s_and_b32 s30, s30, s59
	s_and_b32 s21, s39, vcc_lo
	s_or_b32 s0, s5, s13
	v_lshlrev_b16 v13, 8, v13
	v_cndmask_b32_e64 v15, 0, 1, s0
	s_or_b32 s0, s30, s21
	v_lshlrev_b16 v14, 8, v14
	v_cndmask_b32_e64 v16, 0, 1, s0
	v_lshlrev_b16 v10, 8, v10
	v_lshlrev_b16 v12, 8, v12
	;; [unrolled: 1-line block ×4, first 2 shown]
	v_or_b32_e32 v1, v1, v2
	v_or_b32_e32 v2, v3, v4
	;; [unrolled: 1-line block ×6, first 2 shown]
	v_dual_lshlrev_b32 v2, 16, v2 :: v_dual_bitop2_b32 v6, v7, v8 bitop3:0x54
	v_dual_lshlrev_b32 v4, 16, v14 :: v_dual_bitop2_b32 v10, v11, v12 bitop3:0x54
	v_and_b32_e32 v3, 0xffff, v13
	s_delay_alu instid0(VALU_DEP_3) | instskip(SKIP_1) | instid1(VALU_DEP_4)
	v_lshlrev_b32_e32 v6, 16, v6
	v_and_b32_e32 v1, 0xffff, v1
	v_lshlrev_b32_e32 v8, 16, v10
	v_and_b32_e32 v7, 0xffff, v9
	v_and_b32_e32 v9, 0xffff, v5
	v_or_b32_e32 v5, v3, v4
	v_or_b32_e32 v2, v1, v2
	s_add_nc_u64 s[2:3], s[48:49], s[56:57]
	v_or_b32_e32 v4, v7, v8
	v_or_b32_e32 v3, v9, v6
	s_mov_b32 s0, 0
	global_store_b128 v0, v[2:5], s[2:3] scale_offset
.LBB8_2:
	s_and_not1_b32 vcc_lo, exec_lo, s0
	s_cbranch_vccnz .LBB8_53
; %bb.3:
	v_cmp_gt_i32_e32 vcc_lo, s58, v0
	s_wait_xcnt 0x0
	v_dual_mov_b32 v1, 0 :: v_dual_bitop2_b32 v2, s56, v0 bitop3:0x54
	v_or_b32_e32 v3, 0x100, v0
	v_dual_mov_b32 v5, 0 :: v_dual_mov_b32 v6, 0
	v_mov_b32_e32 v11, v0
	s_mov_b32 s2, 0
	s_mov_b32 s4, 0
	s_and_saveexec_b32 s3, vcc_lo
	s_cbranch_execz .LBB8_5
; %bb.4:
	s_clause 0x2
	global_load_u8 v4, v2, s[50:51]
	global_load_u8 v6, v2, s[54:55]
	;; [unrolled: 1-line block ×3, first 2 shown]
	v_or_b32_e32 v11, 0x100, v0
	s_wait_loadcnt 0x2
	v_cmp_ne_u16_e64 s0, 0, v4
	s_wait_loadcnt 0x0
	v_cmp_ne_u16_e64 s1, 0, v7
	s_delay_alu instid0(VALU_DEP_2) | instskip(SKIP_1) | instid1(VALU_DEP_3)
	v_cndmask_b32_e64 v5, 0, 1, s0
	v_cmp_ne_u16_e64 s0, 0, v6
	v_cndmask_b32_e64 v6, 0, 1, s1
	s_and_b32 s4, s0, exec_lo
.LBB8_5:
	s_wait_xcnt 0x0
	s_or_b32 exec_lo, exec_lo, s3
	v_mov_b32_e32 v7, 0
	s_mov_b32 s3, exec_lo
	v_cmpx_gt_i32_e64 s58, v11
	s_cbranch_execz .LBB8_7
; %bb.6:
	v_add_nc_u32_e32 v1, s56, v11
	v_add_nc_u32_e32 v11, 0x100, v11
	s_clause 0x2
	global_load_u8 v4, v1, s[50:51]
	global_load_u8 v7, v1, s[54:55]
	global_load_u8 v8, v1, s[52:53]
	s_wait_loadcnt 0x2
	v_cmp_ne_u16_e64 s0, 0, v4
	s_wait_loadcnt 0x0
	v_cmp_ne_u16_e64 s1, 0, v8
	s_wait_xcnt 0x0
	s_delay_alu instid0(VALU_DEP_2) | instskip(SKIP_1) | instid1(VALU_DEP_3)
	v_cndmask_b32_e64 v1, 0, 1, s0
	v_cmp_ne_u16_e64 s0, 0, v7
	v_cndmask_b32_e64 v7, 0, 1, s1
	s_and_b32 s2, s0, exec_lo
.LBB8_7:
	s_or_b32 exec_lo, exec_lo, s3
	v_dual_mov_b32 v4, 0 :: v_dual_mov_b32 v9, 0
	v_mov_b32_e32 v10, 0
	s_mov_b32 s3, 0
	s_mov_b32 s5, 0
	s_mov_b32 s6, exec_lo
	v_cmpx_gt_i32_e64 s58, v11
	s_cbranch_execz .LBB8_9
; %bb.8:
	v_add_nc_u32_e32 v8, s56, v11
	v_add_nc_u32_e32 v11, 0x100, v11
	s_clause 0x2
	global_load_u8 v9, v8, s[50:51]
	global_load_u8 v10, v8, s[54:55]
	global_load_u8 v12, v8, s[52:53]
	s_wait_loadcnt 0x2
	v_cmp_ne_u16_e64 s0, 0, v9
	s_wait_loadcnt 0x0
	v_cmp_ne_u16_e64 s1, 0, v12
	s_delay_alu instid0(VALU_DEP_2) | instskip(SKIP_1) | instid1(VALU_DEP_3)
	v_cndmask_b32_e64 v9, 0, 1, s0
	v_cmp_ne_u16_e64 s0, 0, v10
	v_cndmask_b32_e64 v10, 0, 1, s1
	s_and_b32 s5, s0, exec_lo
.LBB8_9:
	s_wait_xcnt 0x0
	s_or_b32 exec_lo, exec_lo, s6
	v_mov_b32_e32 v12, 0
	s_mov_b32 s6, exec_lo
	v_cmpx_gt_i32_e64 s58, v11
	s_cbranch_execz .LBB8_11
; %bb.10:
	v_add_nc_u32_e32 v4, s56, v11
	v_add_nc_u32_e32 v11, 0x100, v11
	s_clause 0x2
	global_load_u8 v8, v4, s[50:51]
	global_load_u8 v12, v4, s[54:55]
	global_load_u8 v13, v4, s[52:53]
	s_wait_loadcnt 0x2
	v_cmp_ne_u16_e64 s0, 0, v8
	s_wait_loadcnt 0x0
	v_cmp_ne_u16_e64 s1, 0, v13
	s_wait_xcnt 0x0
	s_delay_alu instid0(VALU_DEP_2) | instskip(SKIP_1) | instid1(VALU_DEP_3)
	v_cndmask_b32_e64 v4, 0, 1, s0
	v_cmp_ne_u16_e64 s0, 0, v12
	v_cndmask_b32_e64 v12, 0, 1, s1
	s_and_b32 s3, s0, exec_lo
.LBB8_11:
	s_or_b32 exec_lo, exec_lo, s6
	v_dual_mov_b32 v8, 0 :: v_dual_mov_b32 v14, 0
	v_mov_b32_e32 v15, 0
	s_mov_b32 s6, 0
	s_mov_b32 s7, 0
	s_mov_b32 s8, exec_lo
	v_cmpx_gt_i32_e64 s58, v11
	s_cbranch_execz .LBB8_13
; %bb.12:
	v_add_nc_u32_e32 v13, s56, v11
	v_add_nc_u32_e32 v11, 0x100, v11
	s_clause 0x2
	global_load_u8 v14, v13, s[50:51]
	global_load_u8 v15, v13, s[54:55]
	global_load_u8 v16, v13, s[52:53]
	s_wait_loadcnt 0x2
	v_cmp_ne_u16_e64 s0, 0, v14
	s_wait_loadcnt 0x0
	v_cmp_ne_u16_e64 s1, 0, v16
	s_delay_alu instid0(VALU_DEP_2) | instskip(SKIP_1) | instid1(VALU_DEP_3)
	v_cndmask_b32_e64 v14, 0, 1, s0
	v_cmp_ne_u16_e64 s0, 0, v15
	v_cndmask_b32_e64 v15, 0, 1, s1
	s_and_b32 s7, s0, exec_lo
.LBB8_13:
	s_wait_xcnt 0x0
	s_or_b32 exec_lo, exec_lo, s8
	v_mov_b32_e32 v16, 0
	s_mov_b32 s8, exec_lo
	v_cmpx_gt_i32_e64 s58, v11
	s_cbranch_execz .LBB8_15
; %bb.14:
	v_add_nc_u32_e32 v8, s56, v11
	v_add_nc_u32_e32 v11, 0x100, v11
	s_clause 0x2
	global_load_u8 v13, v8, s[50:51]
	global_load_u8 v16, v8, s[54:55]
	global_load_u8 v17, v8, s[52:53]
	s_wait_loadcnt 0x2
	v_cmp_ne_u16_e64 s0, 0, v13
	s_wait_loadcnt 0x0
	v_cmp_ne_u16_e64 s1, 0, v17
	s_wait_xcnt 0x0
	s_delay_alu instid0(VALU_DEP_2) | instskip(SKIP_1) | instid1(VALU_DEP_3)
	v_cndmask_b32_e64 v8, 0, 1, s0
	v_cmp_ne_u16_e64 s0, 0, v16
	v_cndmask_b32_e64 v16, 0, 1, s1
	s_and_b32 s6, s0, exec_lo
.LBB8_15:
	s_or_b32 exec_lo, exec_lo, s8
	v_dual_mov_b32 v13, 0 :: v_dual_mov_b32 v18, 0
	v_mov_b32_e32 v19, 0
	s_mov_b32 s8, 0
	s_mov_b32 s9, 0
	s_mov_b32 s10, exec_lo
	v_cmpx_gt_i32_e64 s58, v11
	s_cbranch_execz .LBB8_17
; %bb.16:
	v_add_nc_u32_e32 v17, s56, v11
	v_add_nc_u32_e32 v11, 0x100, v11
	s_clause 0x2
	global_load_u8 v18, v17, s[50:51]
	global_load_u8 v19, v17, s[54:55]
	global_load_u8 v20, v17, s[52:53]
	s_wait_loadcnt 0x2
	v_cmp_ne_u16_e64 s0, 0, v18
	s_wait_loadcnt 0x0
	v_cmp_ne_u16_e64 s1, 0, v20
	s_delay_alu instid0(VALU_DEP_2) | instskip(SKIP_1) | instid1(VALU_DEP_3)
	v_cndmask_b32_e64 v18, 0, 1, s0
	v_cmp_ne_u16_e64 s0, 0, v19
	v_cndmask_b32_e64 v19, 0, 1, s1
	s_and_b32 s9, s0, exec_lo
.LBB8_17:
	s_wait_xcnt 0x0
	s_or_b32 exec_lo, exec_lo, s10
	v_mov_b32_e32 v20, 0
	s_mov_b32 s10, exec_lo
	v_cmpx_gt_i32_e64 s58, v11
	s_cbranch_execz .LBB8_19
; %bb.18:
	v_add_nc_u32_e32 v13, s56, v11
	v_add_nc_u32_e32 v11, 0x100, v11
	s_clause 0x2
	global_load_u8 v17, v13, s[50:51]
	global_load_u8 v20, v13, s[54:55]
	global_load_u8 v21, v13, s[52:53]
	s_wait_loadcnt 0x2
	v_cmp_ne_u16_e64 s0, 0, v17
	s_wait_loadcnt 0x0
	v_cmp_ne_u16_e64 s1, 0, v21
	s_wait_xcnt 0x0
	s_delay_alu instid0(VALU_DEP_2) | instskip(SKIP_1) | instid1(VALU_DEP_3)
	v_cndmask_b32_e64 v13, 0, 1, s0
	v_cmp_ne_u16_e64 s0, 0, v20
	v_cndmask_b32_e64 v20, 0, 1, s1
	s_and_b32 s8, s0, exec_lo
.LBB8_19:
	s_or_b32 exec_lo, exec_lo, s10
	v_dual_mov_b32 v17, 0 :: v_dual_mov_b32 v22, 0
	v_mov_b32_e32 v23, 0
	s_mov_b32 s10, 0
	s_mov_b32 s11, 0
	s_mov_b32 s12, exec_lo
	v_cmpx_gt_i32_e64 s58, v11
	s_cbranch_execz .LBB8_21
; %bb.20:
	v_add_nc_u32_e32 v21, s56, v11
	v_add_nc_u32_e32 v11, 0x100, v11
	s_clause 0x2
	global_load_u8 v22, v21, s[50:51]
	global_load_u8 v23, v21, s[54:55]
	global_load_u8 v24, v21, s[52:53]
	s_wait_loadcnt 0x2
	v_cmp_ne_u16_e64 s0, 0, v22
	s_wait_loadcnt 0x0
	v_cmp_ne_u16_e64 s1, 0, v24
	s_delay_alu instid0(VALU_DEP_2) | instskip(SKIP_1) | instid1(VALU_DEP_3)
	v_cndmask_b32_e64 v22, 0, 1, s0
	v_cmp_ne_u16_e64 s0, 0, v23
	v_cndmask_b32_e64 v23, 0, 1, s1
	s_and_b32 s11, s0, exec_lo
.LBB8_21:
	s_wait_xcnt 0x0
	s_or_b32 exec_lo, exec_lo, s12
	v_mov_b32_e32 v24, 0
	s_mov_b32 s12, exec_lo
	v_cmpx_gt_i32_e64 s58, v11
	s_cbranch_execz .LBB8_23
; %bb.22:
	v_add_nc_u32_e32 v17, s56, v11
	v_add_nc_u32_e32 v11, 0x100, v11
	s_clause 0x2
	global_load_u8 v21, v17, s[50:51]
	global_load_u8 v24, v17, s[54:55]
	global_load_u8 v25, v17, s[52:53]
	s_wait_loadcnt 0x2
	v_cmp_ne_u16_e64 s0, 0, v21
	s_wait_loadcnt 0x0
	v_cmp_ne_u16_e64 s1, 0, v25
	s_wait_xcnt 0x0
	s_delay_alu instid0(VALU_DEP_2) | instskip(SKIP_1) | instid1(VALU_DEP_3)
	v_cndmask_b32_e64 v17, 0, 1, s0
	v_cmp_ne_u16_e64 s0, 0, v24
	v_cndmask_b32_e64 v24, 0, 1, s1
	s_and_b32 s10, s0, exec_lo
.LBB8_23:
	s_or_b32 exec_lo, exec_lo, s12
	v_dual_mov_b32 v21, 0 :: v_dual_mov_b32 v26, 0
	v_mov_b32_e32 v27, 0
	s_mov_b32 s12, 0
	s_mov_b32 s13, 0
	s_mov_b32 s14, exec_lo
	v_cmpx_gt_i32_e64 s58, v11
	s_cbranch_execz .LBB8_25
; %bb.24:
	v_add_nc_u32_e32 v25, s56, v11
	v_add_nc_u32_e32 v11, 0x100, v11
	s_clause 0x2
	global_load_u8 v26, v25, s[50:51]
	global_load_u8 v27, v25, s[54:55]
	global_load_u8 v28, v25, s[52:53]
	s_wait_loadcnt 0x2
	v_cmp_ne_u16_e64 s0, 0, v26
	s_wait_loadcnt 0x0
	v_cmp_ne_u16_e64 s1, 0, v28
	s_delay_alu instid0(VALU_DEP_2) | instskip(SKIP_1) | instid1(VALU_DEP_3)
	v_cndmask_b32_e64 v26, 0, 1, s0
	v_cmp_ne_u16_e64 s0, 0, v27
	v_cndmask_b32_e64 v27, 0, 1, s1
	s_and_b32 s13, s0, exec_lo
.LBB8_25:
	s_wait_xcnt 0x0
	s_or_b32 exec_lo, exec_lo, s14
	v_mov_b32_e32 v28, 0
	s_mov_b32 s14, exec_lo
	v_cmpx_gt_i32_e64 s58, v11
	s_cbranch_execz .LBB8_27
; %bb.26:
	v_add_nc_u32_e32 v21, s56, v11
	v_add_nc_u32_e32 v11, 0x100, v11
	s_clause 0x2
	global_load_u8 v25, v21, s[50:51]
	global_load_u8 v28, v21, s[54:55]
	;; [unrolled: 1-line block ×3, first 2 shown]
	s_wait_loadcnt 0x2
	v_cmp_ne_u16_e64 s0, 0, v25
	s_wait_loadcnt 0x0
	v_cmp_ne_u16_e64 s1, 0, v29
	s_wait_xcnt 0x0
	s_delay_alu instid0(VALU_DEP_2) | instskip(SKIP_1) | instid1(VALU_DEP_3)
	v_cndmask_b32_e64 v21, 0, 1, s0
	v_cmp_ne_u16_e64 s0, 0, v28
	v_cndmask_b32_e64 v28, 0, 1, s1
	s_and_b32 s12, s0, exec_lo
.LBB8_27:
	s_or_b32 exec_lo, exec_lo, s14
	v_dual_mov_b32 v25, 0 :: v_dual_mov_b32 v29, 0
	v_mov_b32_e32 v30, 0
	s_mov_b32 s14, 0
	s_mov_b32 s15, 0
	s_mov_b32 s16, exec_lo
	v_cmpx_gt_i32_e64 s58, v11
	s_cbranch_execz .LBB8_29
; %bb.28:
	v_add_nc_u32_e32 v29, s56, v11
	v_add_nc_u32_e32 v11, 0x100, v11
	s_clause 0x2
	global_load_u8 v30, v29, s[50:51]
	global_load_u8 v31, v29, s[54:55]
	;; [unrolled: 1-line block ×3, first 2 shown]
	s_wait_loadcnt 0x2
	v_cmp_ne_u16_e64 s0, 0, v30
	s_wait_loadcnt 0x0
	v_cmp_ne_u16_e64 s1, 0, v32
	s_wait_xcnt 0x0
	s_delay_alu instid0(VALU_DEP_2) | instskip(SKIP_1) | instid1(VALU_DEP_3)
	v_cndmask_b32_e64 v29, 0, 1, s0
	v_cmp_ne_u16_e64 s0, 0, v31
	v_cndmask_b32_e64 v30, 0, 1, s1
	s_and_b32 s15, s0, exec_lo
.LBB8_29:
	s_or_b32 exec_lo, exec_lo, s16
	v_mov_b32_e32 v32, 0
	s_mov_b32 s16, exec_lo
	v_cmpx_gt_i32_e64 s58, v11
	s_cbranch_execz .LBB8_31
; %bb.30:
	v_add_nc_u32_e32 v25, s56, v11
	v_add_nc_u32_e32 v11, 0x100, v11
	s_clause 0x2
	global_load_u8 v31, v25, s[50:51]
	global_load_u8 v32, v25, s[54:55]
	;; [unrolled: 1-line block ×3, first 2 shown]
	s_wait_loadcnt 0x2
	v_cmp_ne_u16_e64 s0, 0, v31
	s_wait_loadcnt 0x0
	v_cmp_ne_u16_e64 s1, 0, v33
	s_wait_xcnt 0x0
	s_delay_alu instid0(VALU_DEP_2) | instskip(SKIP_1) | instid1(VALU_DEP_3)
	v_cndmask_b32_e64 v25, 0, 1, s0
	v_cmp_ne_u16_e64 s0, 0, v32
	v_cndmask_b32_e64 v32, 0, 1, s1
	s_and_b32 s14, s0, exec_lo
.LBB8_31:
	s_or_b32 exec_lo, exec_lo, s16
	v_dual_mov_b32 v31, 0 :: v_dual_mov_b32 v33, 0
	v_mov_b32_e32 v34, 0
	s_mov_b32 s16, 0
	s_mov_b32 s17, 0
	s_mov_b32 s18, exec_lo
	v_cmpx_gt_i32_e64 s58, v11
	s_cbranch_execz .LBB8_33
; %bb.32:
	v_add_nc_u32_e32 v33, s56, v11
	v_add_nc_u32_e32 v11, 0x100, v11
	s_clause 0x2
	global_load_u8 v34, v33, s[50:51]
	global_load_u8 v35, v33, s[54:55]
	;; [unrolled: 1-line block ×3, first 2 shown]
	s_wait_loadcnt 0x2
	v_cmp_ne_u16_e64 s0, 0, v34
	s_wait_loadcnt 0x0
	v_cmp_ne_u16_e64 s1, 0, v36
	s_wait_xcnt 0x0
	s_delay_alu instid0(VALU_DEP_2) | instskip(SKIP_1) | instid1(VALU_DEP_3)
	v_cndmask_b32_e64 v33, 0, 1, s0
	v_cmp_ne_u16_e64 s0, 0, v35
	v_cndmask_b32_e64 v34, 0, 1, s1
	s_and_b32 s17, s0, exec_lo
.LBB8_33:
	s_or_b32 exec_lo, exec_lo, s18
	v_mov_b32_e32 v35, 0
	s_mov_b32 s18, exec_lo
	v_cmpx_gt_i32_e64 s58, v11
	s_cbranch_execz .LBB8_35
; %bb.34:
	v_add_nc_u32_e32 v11, s56, v11
	s_clause 0x2
	global_load_u8 v31, v11, s[50:51]
	global_load_u8 v35, v11, s[54:55]
	;; [unrolled: 1-line block ×3, first 2 shown]
	s_wait_loadcnt 0x2
	v_cmp_ne_u16_e64 s0, 0, v31
	s_wait_loadcnt 0x0
	v_cmp_ne_u16_e64 s1, 0, v36
	s_delay_alu instid0(VALU_DEP_2) | instskip(SKIP_1) | instid1(VALU_DEP_3)
	v_cndmask_b32_e64 v31, 0, 1, s0
	v_cmp_ne_u16_e64 s0, 0, v35
	v_cndmask_b32_e64 v35, 0, 1, s1
	s_and_b32 s16, s0, exec_lo
.LBB8_35:
	s_wait_xcnt 0x0
	s_or_b32 exec_lo, exec_lo, s18
	s_and_saveexec_b32 s1, vcc_lo
	s_cbranch_execz .LBB8_37
; %bb.36:
	v_and_b32_e32 v0, s47, v5
	s_and_b32 s0, 0xffff, s47
	s_delay_alu instid0(SALU_CYCLE_1) | instskip(NEXT) | instid1(SALU_CYCLE_1)
	s_lshr_b32 s0, s0, 8
	v_and_b32_e32 v5, s0, v6
	s_delay_alu instid0(VALU_DEP_2) | instskip(NEXT) | instid1(VALU_DEP_1)
	v_and_b32_e32 v0, 1, v0
	v_cmp_eq_u32_e64 s0, 1, v0
	v_mov_b32_e32 v0, v3
	s_delay_alu instid0(VALU_DEP_4) | instskip(SKIP_1) | instid1(SALU_CYCLE_1)
	v_cmp_ne_u16_e32 vcc_lo, 0, v5
	s_and_b32 s4, s4, vcc_lo
	s_or_b32 s0, s0, s4
	s_delay_alu instid0(SALU_CYCLE_1)
	v_cndmask_b32_e64 v5, 0, 1, s0
	global_store_b8 v2, v5, s[48:49]
.LBB8_37:
	s_wait_xcnt 0x0
	s_or_b32 exec_lo, exec_lo, s1
	s_and_b32 s0, 0xffff, s47
	s_mov_b32 s4, exec_lo
	s_lshr_b32 s1, s0, 8
	v_cmpx_gt_i32_e64 s58, v0
	s_cbranch_execnz .LBB8_54
; %bb.38:
	s_or_b32 exec_lo, exec_lo, s4
	s_delay_alu instid0(SALU_CYCLE_1)
	s_mov_b32 s2, exec_lo
	v_cmpx_gt_i32_e64 s58, v0
	s_cbranch_execnz .LBB8_55
.LBB8_39:
	s_or_b32 exec_lo, exec_lo, s2
	s_delay_alu instid0(SALU_CYCLE_1)
	s_mov_b32 s2, exec_lo
	v_cmpx_gt_i32_e64 s58, v0
	s_cbranch_execnz .LBB8_56
.LBB8_40:
	s_or_b32 exec_lo, exec_lo, s2
	s_delay_alu instid0(SALU_CYCLE_1)
	s_mov_b32 s2, exec_lo
	v_cmpx_gt_i32_e64 s58, v0
	s_cbranch_execnz .LBB8_57
.LBB8_41:
	s_or_b32 exec_lo, exec_lo, s2
	s_delay_alu instid0(SALU_CYCLE_1)
	s_mov_b32 s2, exec_lo
	v_cmpx_gt_i32_e64 s58, v0
	s_cbranch_execnz .LBB8_58
.LBB8_42:
	s_or_b32 exec_lo, exec_lo, s2
	s_delay_alu instid0(SALU_CYCLE_1)
	s_mov_b32 s2, exec_lo
	v_cmpx_gt_i32_e64 s58, v0
	s_cbranch_execnz .LBB8_59
.LBB8_43:
	s_or_b32 exec_lo, exec_lo, s2
	s_delay_alu instid0(SALU_CYCLE_1)
	s_mov_b32 s2, exec_lo
	v_cmpx_gt_i32_e64 s58, v0
	s_cbranch_execnz .LBB8_60
.LBB8_44:
	s_or_b32 exec_lo, exec_lo, s2
	s_delay_alu instid0(SALU_CYCLE_1)
	s_mov_b32 s2, exec_lo
	v_cmpx_gt_i32_e64 s58, v0
	s_cbranch_execnz .LBB8_61
.LBB8_45:
	s_or_b32 exec_lo, exec_lo, s2
	s_delay_alu instid0(SALU_CYCLE_1)
	s_mov_b32 s2, exec_lo
	v_cmpx_gt_i32_e64 s58, v0
	s_cbranch_execnz .LBB8_62
.LBB8_46:
	s_or_b32 exec_lo, exec_lo, s2
	s_delay_alu instid0(SALU_CYCLE_1)
	s_mov_b32 s2, exec_lo
	v_cmpx_gt_i32_e64 s58, v0
	s_cbranch_execnz .LBB8_63
.LBB8_47:
	s_or_b32 exec_lo, exec_lo, s2
	s_delay_alu instid0(SALU_CYCLE_1)
	s_mov_b32 s2, exec_lo
	v_cmpx_gt_i32_e64 s58, v0
	s_cbranch_execnz .LBB8_64
.LBB8_48:
	s_or_b32 exec_lo, exec_lo, s2
	s_delay_alu instid0(SALU_CYCLE_1)
	s_mov_b32 s2, exec_lo
	v_cmpx_gt_i32_e64 s58, v0
	s_cbranch_execnz .LBB8_65
.LBB8_49:
	s_or_b32 exec_lo, exec_lo, s2
	s_delay_alu instid0(SALU_CYCLE_1)
	s_mov_b32 s2, exec_lo
	v_cmpx_gt_i32_e64 s58, v0
	s_cbranch_execnz .LBB8_66
.LBB8_50:
	s_or_b32 exec_lo, exec_lo, s2
	s_delay_alu instid0(SALU_CYCLE_1)
	s_mov_b32 s2, exec_lo
	v_cmpx_gt_i32_e64 s58, v0
	s_cbranch_execnz .LBB8_67
.LBB8_51:
	s_or_b32 exec_lo, exec_lo, s2
	s_delay_alu instid0(SALU_CYCLE_1)
	s_mov_b32 s0, exec_lo
	v_cmpx_gt_i32_e64 s58, v0
	s_cbranch_execz .LBB8_53
.LBB8_52:
	v_dual_add_nc_u32 v0, s56, v0 :: v_dual_bitop2_b32 v1, s47, v31 bitop3:0x40
	v_and_b32_e32 v2, s1, v35
	s_delay_alu instid0(VALU_DEP_2) | instskip(NEXT) | instid1(VALU_DEP_2)
	v_and_b32_e32 v1, 1, v1
	v_cmp_ne_u16_e32 vcc_lo, 0, v2
	s_delay_alu instid0(VALU_DEP_2) | instskip(SKIP_1) | instid1(SALU_CYCLE_1)
	v_cmp_eq_u32_e64 s0, 1, v1
	s_and_b32 s1, s16, vcc_lo
	s_or_b32 s0, s0, s1
	s_delay_alu instid0(SALU_CYCLE_1)
	v_cndmask_b32_e64 v1, 0, 1, s0
	global_store_b8 v0, v1, s[48:49]
.LBB8_53:
	s_endpgm
.LBB8_54:
	v_and_b32_e32 v2, s1, v7
	v_and_b32_e32 v1, s47, v1
	s_delay_alu instid0(VALU_DEP_2) | instskip(NEXT) | instid1(VALU_DEP_1)
	v_and_b32_e32 v2, 0xff, v2
	v_cmp_ne_u16_e32 vcc_lo, 0, v2
	s_delay_alu instid0(VALU_DEP_3) | instskip(SKIP_2) | instid1(VALU_DEP_2)
	v_dual_add_nc_u32 v2, s56, v0 :: v_dual_bitop2_b32 v1, 1, v1 bitop3:0x40
	v_add_nc_u32_e32 v0, 0x100, v0
	s_and_b32 s2, s2, vcc_lo
	v_cmp_eq_u32_e64 s0, 1, v1
	s_or_b32 s0, s0, s2
	s_delay_alu instid0(SALU_CYCLE_1) | instskip(SKIP_3) | instid1(SALU_CYCLE_1)
	v_cndmask_b32_e64 v1, 0, 1, s0
	global_store_b8 v2, v1, s[48:49]
	s_wait_xcnt 0x0
	s_or_b32 exec_lo, exec_lo, s4
	s_mov_b32 s2, exec_lo
	v_cmpx_gt_i32_e64 s58, v0
	s_cbranch_execz .LBB8_39
.LBB8_55:
	v_and_b32_e32 v2, s47, v9
	v_and_b32_e32 v1, s1, v10
	s_delay_alu instid0(VALU_DEP_2) | instskip(NEXT) | instid1(VALU_DEP_1)
	v_and_b32_e32 v2, 1, v2
	v_cmp_eq_u32_e64 s0, 1, v2
	v_add_nc_u32_e32 v2, s56, v0
	s_delay_alu instid0(VALU_DEP_4) | instskip(SKIP_1) | instid1(VALU_DEP_2)
	v_and_b32_e32 v1, 0xff, v1
	v_add_nc_u32_e32 v0, 0x100, v0
	v_cmp_ne_u16_e32 vcc_lo, 0, v1
	s_and_b32 s4, s5, vcc_lo
	s_delay_alu instid0(SALU_CYCLE_1) | instskip(NEXT) | instid1(SALU_CYCLE_1)
	s_or_b32 s0, s0, s4
	v_cndmask_b32_e64 v1, 0, 1, s0
	global_store_b8 v2, v1, s[48:49]
	s_wait_xcnt 0x0
	s_or_b32 exec_lo, exec_lo, s2
	s_delay_alu instid0(SALU_CYCLE_1)
	s_mov_b32 s2, exec_lo
	v_cmpx_gt_i32_e64 s58, v0
	s_cbranch_execz .LBB8_40
.LBB8_56:
	v_and_b32_e32 v1, s1, v12
	v_and_b32_e32 v2, s47, v4
	s_delay_alu instid0(VALU_DEP_2) | instskip(NEXT) | instid1(VALU_DEP_2)
	v_and_b32_e32 v1, 0xff, v1
	v_and_b32_e32 v2, 1, v2
	s_delay_alu instid0(VALU_DEP_2) | instskip(NEXT) | instid1(VALU_DEP_2)
	v_cmp_ne_u16_e32 vcc_lo, 0, v1
	v_cmp_eq_u32_e64 s0, 1, v2
	v_add_nc_u32_e32 v2, s56, v0
	v_add_nc_u32_e32 v0, 0x100, v0
	s_and_b32 s3, s3, vcc_lo
	s_delay_alu instid0(SALU_CYCLE_1) | instskip(NEXT) | instid1(SALU_CYCLE_1)
	s_or_b32 s0, s0, s3
	v_cndmask_b32_e64 v1, 0, 1, s0
	global_store_b8 v2, v1, s[48:49]
	s_wait_xcnt 0x0
	s_or_b32 exec_lo, exec_lo, s2
	s_delay_alu instid0(SALU_CYCLE_1)
	s_mov_b32 s2, exec_lo
	v_cmpx_gt_i32_e64 s58, v0
	s_cbranch_execz .LBB8_41
.LBB8_57:
	v_and_b32_e32 v2, s47, v14
	v_and_b32_e32 v1, s1, v15
	s_delay_alu instid0(VALU_DEP_2) | instskip(NEXT) | instid1(VALU_DEP_1)
	v_and_b32_e32 v2, 1, v2
	v_cmp_eq_u32_e64 s0, 1, v2
	v_add_nc_u32_e32 v2, s56, v0
	s_delay_alu instid0(VALU_DEP_4) | instskip(SKIP_1) | instid1(VALU_DEP_2)
	v_and_b32_e32 v1, 0xff, v1
	v_add_nc_u32_e32 v0, 0x100, v0
	v_cmp_ne_u16_e32 vcc_lo, 0, v1
	s_and_b32 s3, s7, vcc_lo
	s_delay_alu instid0(SALU_CYCLE_1) | instskip(NEXT) | instid1(SALU_CYCLE_1)
	s_or_b32 s0, s0, s3
	v_cndmask_b32_e64 v1, 0, 1, s0
	global_store_b8 v2, v1, s[48:49]
	s_wait_xcnt 0x0
	s_or_b32 exec_lo, exec_lo, s2
	s_delay_alu instid0(SALU_CYCLE_1)
	s_mov_b32 s2, exec_lo
	v_cmpx_gt_i32_e64 s58, v0
	s_cbranch_execz .LBB8_42
.LBB8_58:
	v_and_b32_e32 v1, s1, v16
	v_and_b32_e32 v2, s47, v8
	s_delay_alu instid0(VALU_DEP_2) | instskip(NEXT) | instid1(VALU_DEP_2)
	v_and_b32_e32 v1, 0xff, v1
	v_and_b32_e32 v2, 1, v2
	s_delay_alu instid0(VALU_DEP_2) | instskip(NEXT) | instid1(VALU_DEP_2)
	v_cmp_ne_u16_e32 vcc_lo, 0, v1
	v_cmp_eq_u32_e64 s0, 1, v2
	v_add_nc_u32_e32 v2, s56, v0
	v_add_nc_u32_e32 v0, 0x100, v0
	s_and_b32 s3, s6, vcc_lo
	s_delay_alu instid0(SALU_CYCLE_1) | instskip(NEXT) | instid1(SALU_CYCLE_1)
	s_or_b32 s0, s0, s3
	v_cndmask_b32_e64 v1, 0, 1, s0
	global_store_b8 v2, v1, s[48:49]
	s_wait_xcnt 0x0
	s_or_b32 exec_lo, exec_lo, s2
	s_delay_alu instid0(SALU_CYCLE_1)
	s_mov_b32 s2, exec_lo
	v_cmpx_gt_i32_e64 s58, v0
	s_cbranch_execz .LBB8_43
.LBB8_59:
	v_and_b32_e32 v2, s47, v18
	v_and_b32_e32 v1, s1, v19
	s_delay_alu instid0(VALU_DEP_2) | instskip(NEXT) | instid1(VALU_DEP_1)
	v_and_b32_e32 v2, 1, v2
	v_cmp_eq_u32_e64 s0, 1, v2
	v_add_nc_u32_e32 v2, s56, v0
	s_delay_alu instid0(VALU_DEP_4) | instskip(SKIP_1) | instid1(VALU_DEP_2)
	v_and_b32_e32 v1, 0xff, v1
	v_add_nc_u32_e32 v0, 0x100, v0
	v_cmp_ne_u16_e32 vcc_lo, 0, v1
	s_and_b32 s3, s9, vcc_lo
	s_delay_alu instid0(SALU_CYCLE_1) | instskip(NEXT) | instid1(SALU_CYCLE_1)
	s_or_b32 s0, s0, s3
	v_cndmask_b32_e64 v1, 0, 1, s0
	global_store_b8 v2, v1, s[48:49]
	s_wait_xcnt 0x0
	s_or_b32 exec_lo, exec_lo, s2
	s_delay_alu instid0(SALU_CYCLE_1)
	s_mov_b32 s2, exec_lo
	v_cmpx_gt_i32_e64 s58, v0
	s_cbranch_execz .LBB8_44
.LBB8_60:
	v_and_b32_e32 v1, s1, v20
	v_and_b32_e32 v2, s47, v13
	s_delay_alu instid0(VALU_DEP_2) | instskip(NEXT) | instid1(VALU_DEP_2)
	v_and_b32_e32 v1, 0xff, v1
	v_and_b32_e32 v2, 1, v2
	s_delay_alu instid0(VALU_DEP_2) | instskip(NEXT) | instid1(VALU_DEP_2)
	v_cmp_ne_u16_e32 vcc_lo, 0, v1
	v_cmp_eq_u32_e64 s0, 1, v2
	v_add_nc_u32_e32 v2, s56, v0
	v_add_nc_u32_e32 v0, 0x100, v0
	s_and_b32 s3, s8, vcc_lo
	s_delay_alu instid0(SALU_CYCLE_1) | instskip(NEXT) | instid1(SALU_CYCLE_1)
	s_or_b32 s0, s0, s3
	v_cndmask_b32_e64 v1, 0, 1, s0
	global_store_b8 v2, v1, s[48:49]
	s_wait_xcnt 0x0
	s_or_b32 exec_lo, exec_lo, s2
	s_delay_alu instid0(SALU_CYCLE_1)
	s_mov_b32 s2, exec_lo
	v_cmpx_gt_i32_e64 s58, v0
	s_cbranch_execz .LBB8_45
.LBB8_61:
	v_and_b32_e32 v2, s47, v22
	v_and_b32_e32 v1, s1, v23
	s_delay_alu instid0(VALU_DEP_2) | instskip(NEXT) | instid1(VALU_DEP_1)
	v_and_b32_e32 v2, 1, v2
	v_cmp_eq_u32_e64 s0, 1, v2
	v_add_nc_u32_e32 v2, s56, v0
	s_delay_alu instid0(VALU_DEP_4) | instskip(SKIP_1) | instid1(VALU_DEP_2)
	v_and_b32_e32 v1, 0xff, v1
	v_add_nc_u32_e32 v0, 0x100, v0
	v_cmp_ne_u16_e32 vcc_lo, 0, v1
	s_and_b32 s3, s11, vcc_lo
	s_delay_alu instid0(SALU_CYCLE_1) | instskip(NEXT) | instid1(SALU_CYCLE_1)
	s_or_b32 s0, s0, s3
	v_cndmask_b32_e64 v1, 0, 1, s0
	global_store_b8 v2, v1, s[48:49]
	s_wait_xcnt 0x0
	s_or_b32 exec_lo, exec_lo, s2
	s_delay_alu instid0(SALU_CYCLE_1)
	s_mov_b32 s2, exec_lo
	v_cmpx_gt_i32_e64 s58, v0
	s_cbranch_execz .LBB8_46
.LBB8_62:
	v_and_b32_e32 v1, s1, v24
	v_and_b32_e32 v2, s47, v17
	s_delay_alu instid0(VALU_DEP_2) | instskip(NEXT) | instid1(VALU_DEP_2)
	v_and_b32_e32 v1, 0xff, v1
	v_and_b32_e32 v2, 1, v2
	s_delay_alu instid0(VALU_DEP_2) | instskip(NEXT) | instid1(VALU_DEP_2)
	v_cmp_ne_u16_e32 vcc_lo, 0, v1
	v_cmp_eq_u32_e64 s0, 1, v2
	v_add_nc_u32_e32 v2, s56, v0
	v_add_nc_u32_e32 v0, 0x100, v0
	s_and_b32 s3, s10, vcc_lo
	s_delay_alu instid0(SALU_CYCLE_1) | instskip(NEXT) | instid1(SALU_CYCLE_1)
	s_or_b32 s0, s0, s3
	v_cndmask_b32_e64 v1, 0, 1, s0
	global_store_b8 v2, v1, s[48:49]
	s_wait_xcnt 0x0
	s_or_b32 exec_lo, exec_lo, s2
	s_delay_alu instid0(SALU_CYCLE_1)
	s_mov_b32 s2, exec_lo
	v_cmpx_gt_i32_e64 s58, v0
	s_cbranch_execz .LBB8_47
.LBB8_63:
	v_and_b32_e32 v2, s47, v26
	v_and_b32_e32 v1, s1, v27
	s_delay_alu instid0(VALU_DEP_2) | instskip(NEXT) | instid1(VALU_DEP_1)
	v_and_b32_e32 v2, 1, v2
	v_cmp_eq_u32_e64 s0, 1, v2
	v_add_nc_u32_e32 v2, s56, v0
	s_delay_alu instid0(VALU_DEP_4) | instskip(SKIP_1) | instid1(VALU_DEP_2)
	v_and_b32_e32 v1, 0xff, v1
	v_add_nc_u32_e32 v0, 0x100, v0
	v_cmp_ne_u16_e32 vcc_lo, 0, v1
	s_and_b32 s3, s13, vcc_lo
	s_delay_alu instid0(SALU_CYCLE_1) | instskip(NEXT) | instid1(SALU_CYCLE_1)
	s_or_b32 s0, s0, s3
	v_cndmask_b32_e64 v1, 0, 1, s0
	global_store_b8 v2, v1, s[48:49]
	s_wait_xcnt 0x0
	s_or_b32 exec_lo, exec_lo, s2
	s_delay_alu instid0(SALU_CYCLE_1)
	s_mov_b32 s2, exec_lo
	v_cmpx_gt_i32_e64 s58, v0
	s_cbranch_execz .LBB8_48
.LBB8_64:
	v_and_b32_e32 v1, s1, v28
	v_and_b32_e32 v2, s47, v21
	s_delay_alu instid0(VALU_DEP_2) | instskip(NEXT) | instid1(VALU_DEP_2)
	v_and_b32_e32 v1, 0xff, v1
	v_and_b32_e32 v2, 1, v2
	s_delay_alu instid0(VALU_DEP_2) | instskip(NEXT) | instid1(VALU_DEP_2)
	v_cmp_ne_u16_e32 vcc_lo, 0, v1
	v_cmp_eq_u32_e64 s0, 1, v2
	v_add_nc_u32_e32 v2, s56, v0
	v_add_nc_u32_e32 v0, 0x100, v0
	s_and_b32 s3, s12, vcc_lo
	s_delay_alu instid0(SALU_CYCLE_1) | instskip(NEXT) | instid1(SALU_CYCLE_1)
	s_or_b32 s0, s0, s3
	v_cndmask_b32_e64 v1, 0, 1, s0
	global_store_b8 v2, v1, s[48:49]
	s_wait_xcnt 0x0
	s_or_b32 exec_lo, exec_lo, s2
	s_delay_alu instid0(SALU_CYCLE_1)
	s_mov_b32 s2, exec_lo
	v_cmpx_gt_i32_e64 s58, v0
	s_cbranch_execz .LBB8_49
.LBB8_65:
	v_and_b32_e32 v2, s47, v29
	v_and_b32_e32 v1, s1, v30
	s_delay_alu instid0(VALU_DEP_2) | instskip(NEXT) | instid1(VALU_DEP_1)
	v_and_b32_e32 v2, 1, v2
	v_cmp_eq_u32_e64 s0, 1, v2
	v_add_nc_u32_e32 v2, s56, v0
	s_delay_alu instid0(VALU_DEP_4) | instskip(SKIP_1) | instid1(VALU_DEP_2)
	v_and_b32_e32 v1, 0xff, v1
	v_add_nc_u32_e32 v0, 0x100, v0
	v_cmp_ne_u16_e32 vcc_lo, 0, v1
	s_and_b32 s3, s15, vcc_lo
	s_delay_alu instid0(SALU_CYCLE_1) | instskip(NEXT) | instid1(SALU_CYCLE_1)
	s_or_b32 s0, s0, s3
	v_cndmask_b32_e64 v1, 0, 1, s0
	global_store_b8 v2, v1, s[48:49]
	s_wait_xcnt 0x0
	s_or_b32 exec_lo, exec_lo, s2
	s_delay_alu instid0(SALU_CYCLE_1)
	s_mov_b32 s2, exec_lo
	v_cmpx_gt_i32_e64 s58, v0
	s_cbranch_execz .LBB8_50
.LBB8_66:
	v_and_b32_e32 v1, s1, v32
	v_and_b32_e32 v2, s47, v25
	s_delay_alu instid0(VALU_DEP_2) | instskip(NEXT) | instid1(VALU_DEP_2)
	v_and_b32_e32 v1, 0xff, v1
	v_and_b32_e32 v2, 1, v2
	s_delay_alu instid0(VALU_DEP_2) | instskip(NEXT) | instid1(VALU_DEP_2)
	v_cmp_ne_u16_e32 vcc_lo, 0, v1
	v_cmp_eq_u32_e64 s0, 1, v2
	v_add_nc_u32_e32 v2, s56, v0
	v_add_nc_u32_e32 v0, 0x100, v0
	s_and_b32 s3, s14, vcc_lo
	s_delay_alu instid0(SALU_CYCLE_1) | instskip(NEXT) | instid1(SALU_CYCLE_1)
	s_or_b32 s0, s0, s3
	v_cndmask_b32_e64 v1, 0, 1, s0
	global_store_b8 v2, v1, s[48:49]
	s_wait_xcnt 0x0
	s_or_b32 exec_lo, exec_lo, s2
	s_delay_alu instid0(SALU_CYCLE_1)
	s_mov_b32 s2, exec_lo
	v_cmpx_gt_i32_e64 s58, v0
	s_cbranch_execz .LBB8_51
.LBB8_67:
	v_and_b32_e32 v2, s47, v33
	v_and_b32_e32 v1, s1, v34
	s_delay_alu instid0(VALU_DEP_2) | instskip(NEXT) | instid1(VALU_DEP_1)
	v_and_b32_e32 v2, 1, v2
	v_cmp_eq_u32_e64 s0, 1, v2
	v_add_nc_u32_e32 v2, s56, v0
	s_delay_alu instid0(VALU_DEP_4) | instskip(SKIP_1) | instid1(VALU_DEP_2)
	v_and_b32_e32 v1, 0xff, v1
	v_add_nc_u32_e32 v0, 0x100, v0
	v_cmp_ne_u16_e32 vcc_lo, 0, v1
	s_and_b32 s3, s17, vcc_lo
	s_delay_alu instid0(SALU_CYCLE_1) | instskip(NEXT) | instid1(SALU_CYCLE_1)
	s_or_b32 s0, s0, s3
	v_cndmask_b32_e64 v1, 0, 1, s0
	global_store_b8 v2, v1, s[48:49]
	s_wait_xcnt 0x0
	s_or_b32 exec_lo, exec_lo, s2
	s_delay_alu instid0(SALU_CYCLE_1)
	s_mov_b32 s0, exec_lo
	v_cmpx_gt_i32_e64 s58, v0
	s_cbranch_execnz .LBB8_52
	s_branch .LBB8_53
	.section	.rodata,"a",@progbits
	.p2align	6, 0x0
	.amdhsa_kernel _ZN2at6native29vectorized_elementwise_kernelILi16EZNS0_12_GLOBAL__N_116addr_kernel_cudaERNS_14TensorIteratorERKN3c106ScalarES8_EUlbbbE0_St5arrayIPcLm4EEEEviT0_T1_
		.amdhsa_group_segment_fixed_size 0
		.amdhsa_private_segment_fixed_size 0
		.amdhsa_kernarg_size 40
		.amdhsa_user_sgpr_count 2
		.amdhsa_user_sgpr_dispatch_ptr 0
		.amdhsa_user_sgpr_queue_ptr 0
		.amdhsa_user_sgpr_kernarg_segment_ptr 1
		.amdhsa_user_sgpr_dispatch_id 0
		.amdhsa_user_sgpr_kernarg_preload_length 0
		.amdhsa_user_sgpr_kernarg_preload_offset 0
		.amdhsa_user_sgpr_private_segment_size 0
		.amdhsa_wavefront_size32 1
		.amdhsa_uses_dynamic_stack 0
		.amdhsa_enable_private_segment 0
		.amdhsa_system_sgpr_workgroup_id_x 1
		.amdhsa_system_sgpr_workgroup_id_y 0
		.amdhsa_system_sgpr_workgroup_id_z 0
		.amdhsa_system_sgpr_workgroup_info 0
		.amdhsa_system_vgpr_workitem_id 0
		.amdhsa_next_free_vgpr 49
		.amdhsa_next_free_sgpr 62
		.amdhsa_named_barrier_count 0
		.amdhsa_reserve_vcc 1
		.amdhsa_float_round_mode_32 0
		.amdhsa_float_round_mode_16_64 0
		.amdhsa_float_denorm_mode_32 3
		.amdhsa_float_denorm_mode_16_64 3
		.amdhsa_fp16_overflow 0
		.amdhsa_memory_ordered 1
		.amdhsa_forward_progress 1
		.amdhsa_inst_pref_size 48
		.amdhsa_round_robin_scheduling 0
		.amdhsa_exception_fp_ieee_invalid_op 0
		.amdhsa_exception_fp_denorm_src 0
		.amdhsa_exception_fp_ieee_div_zero 0
		.amdhsa_exception_fp_ieee_overflow 0
		.amdhsa_exception_fp_ieee_underflow 0
		.amdhsa_exception_fp_ieee_inexact 0
		.amdhsa_exception_int_div_zero 0
	.end_amdhsa_kernel
	.section	.text._ZN2at6native29vectorized_elementwise_kernelILi16EZNS0_12_GLOBAL__N_116addr_kernel_cudaERNS_14TensorIteratorERKN3c106ScalarES8_EUlbbbE0_St5arrayIPcLm4EEEEviT0_T1_,"axG",@progbits,_ZN2at6native29vectorized_elementwise_kernelILi16EZNS0_12_GLOBAL__N_116addr_kernel_cudaERNS_14TensorIteratorERKN3c106ScalarES8_EUlbbbE0_St5arrayIPcLm4EEEEviT0_T1_,comdat
.Lfunc_end8:
	.size	_ZN2at6native29vectorized_elementwise_kernelILi16EZNS0_12_GLOBAL__N_116addr_kernel_cudaERNS_14TensorIteratorERKN3c106ScalarES8_EUlbbbE0_St5arrayIPcLm4EEEEviT0_T1_, .Lfunc_end8-_ZN2at6native29vectorized_elementwise_kernelILi16EZNS0_12_GLOBAL__N_116addr_kernel_cudaERNS_14TensorIteratorERKN3c106ScalarES8_EUlbbbE0_St5arrayIPcLm4EEEEviT0_T1_
                                        ; -- End function
	.set _ZN2at6native29vectorized_elementwise_kernelILi16EZNS0_12_GLOBAL__N_116addr_kernel_cudaERNS_14TensorIteratorERKN3c106ScalarES8_EUlbbbE0_St5arrayIPcLm4EEEEviT0_T1_.num_vgpr, 49
	.set _ZN2at6native29vectorized_elementwise_kernelILi16EZNS0_12_GLOBAL__N_116addr_kernel_cudaERNS_14TensorIteratorERKN3c106ScalarES8_EUlbbbE0_St5arrayIPcLm4EEEEviT0_T1_.num_agpr, 0
	.set _ZN2at6native29vectorized_elementwise_kernelILi16EZNS0_12_GLOBAL__N_116addr_kernel_cudaERNS_14TensorIteratorERKN3c106ScalarES8_EUlbbbE0_St5arrayIPcLm4EEEEviT0_T1_.numbered_sgpr, 62
	.set _ZN2at6native29vectorized_elementwise_kernelILi16EZNS0_12_GLOBAL__N_116addr_kernel_cudaERNS_14TensorIteratorERKN3c106ScalarES8_EUlbbbE0_St5arrayIPcLm4EEEEviT0_T1_.num_named_barrier, 0
	.set _ZN2at6native29vectorized_elementwise_kernelILi16EZNS0_12_GLOBAL__N_116addr_kernel_cudaERNS_14TensorIteratorERKN3c106ScalarES8_EUlbbbE0_St5arrayIPcLm4EEEEviT0_T1_.private_seg_size, 0
	.set _ZN2at6native29vectorized_elementwise_kernelILi16EZNS0_12_GLOBAL__N_116addr_kernel_cudaERNS_14TensorIteratorERKN3c106ScalarES8_EUlbbbE0_St5arrayIPcLm4EEEEviT0_T1_.uses_vcc, 1
	.set _ZN2at6native29vectorized_elementwise_kernelILi16EZNS0_12_GLOBAL__N_116addr_kernel_cudaERNS_14TensorIteratorERKN3c106ScalarES8_EUlbbbE0_St5arrayIPcLm4EEEEviT0_T1_.uses_flat_scratch, 0
	.set _ZN2at6native29vectorized_elementwise_kernelILi16EZNS0_12_GLOBAL__N_116addr_kernel_cudaERNS_14TensorIteratorERKN3c106ScalarES8_EUlbbbE0_St5arrayIPcLm4EEEEviT0_T1_.has_dyn_sized_stack, 0
	.set _ZN2at6native29vectorized_elementwise_kernelILi16EZNS0_12_GLOBAL__N_116addr_kernel_cudaERNS_14TensorIteratorERKN3c106ScalarES8_EUlbbbE0_St5arrayIPcLm4EEEEviT0_T1_.has_recursion, 0
	.set _ZN2at6native29vectorized_elementwise_kernelILi16EZNS0_12_GLOBAL__N_116addr_kernel_cudaERNS_14TensorIteratorERKN3c106ScalarES8_EUlbbbE0_St5arrayIPcLm4EEEEviT0_T1_.has_indirect_call, 0
	.section	.AMDGPU.csdata,"",@progbits
; Kernel info:
; codeLenInByte = 6100
; TotalNumSgprs: 64
; NumVgprs: 49
; ScratchSize: 0
; MemoryBound: 0
; FloatMode: 240
; IeeeMode: 1
; LDSByteSize: 0 bytes/workgroup (compile time only)
; SGPRBlocks: 0
; VGPRBlocks: 3
; NumSGPRsForWavesPerEU: 64
; NumVGPRsForWavesPerEU: 49
; NamedBarCnt: 0
; Occupancy: 16
; WaveLimiterHint : 0
; COMPUTE_PGM_RSRC2:SCRATCH_EN: 0
; COMPUTE_PGM_RSRC2:USER_SGPR: 2
; COMPUTE_PGM_RSRC2:TRAP_HANDLER: 0
; COMPUTE_PGM_RSRC2:TGID_X_EN: 1
; COMPUTE_PGM_RSRC2:TGID_Y_EN: 0
; COMPUTE_PGM_RSRC2:TGID_Z_EN: 0
; COMPUTE_PGM_RSRC2:TIDIG_COMP_CNT: 0
	.section	.text._ZN2at6native29vectorized_elementwise_kernelILi8EZNS0_12_GLOBAL__N_116addr_kernel_cudaERNS_14TensorIteratorERKN3c106ScalarES8_EUlbbbE0_St5arrayIPcLm4EEEEviT0_T1_,"axG",@progbits,_ZN2at6native29vectorized_elementwise_kernelILi8EZNS0_12_GLOBAL__N_116addr_kernel_cudaERNS_14TensorIteratorERKN3c106ScalarES8_EUlbbbE0_St5arrayIPcLm4EEEEviT0_T1_,comdat
	.globl	_ZN2at6native29vectorized_elementwise_kernelILi8EZNS0_12_GLOBAL__N_116addr_kernel_cudaERNS_14TensorIteratorERKN3c106ScalarES8_EUlbbbE0_St5arrayIPcLm4EEEEviT0_T1_ ; -- Begin function _ZN2at6native29vectorized_elementwise_kernelILi8EZNS0_12_GLOBAL__N_116addr_kernel_cudaERNS_14TensorIteratorERKN3c106ScalarES8_EUlbbbE0_St5arrayIPcLm4EEEEviT0_T1_
	.p2align	8
	.type	_ZN2at6native29vectorized_elementwise_kernelILi8EZNS0_12_GLOBAL__N_116addr_kernel_cudaERNS_14TensorIteratorERKN3c106ScalarES8_EUlbbbE0_St5arrayIPcLm4EEEEviT0_T1_,@function
_ZN2at6native29vectorized_elementwise_kernelILi8EZNS0_12_GLOBAL__N_116addr_kernel_cudaERNS_14TensorIteratorERKN3c106ScalarES8_EUlbbbE0_St5arrayIPcLm4EEEEviT0_T1_: ; @_ZN2at6native29vectorized_elementwise_kernelILi8EZNS0_12_GLOBAL__N_116addr_kernel_cudaERNS_14TensorIteratorERKN3c106ScalarES8_EUlbbbE0_St5arrayIPcLm4EEEEviT0_T1_
; %bb.0:
	v_mov_b32_e32 v1, 0
	s_clause 0x1
	s_load_b32 s2, s[0:1], 0x0
	s_load_b256 s[44:51], s[0:1], 0x8
	s_getreg_b32 s3, hwreg(HW_REG_IB_STS2, 6, 4)
	global_load_u16 v1, v1, s[0:1] offset:4
	s_wait_xcnt 0x0
	s_bfe_u32 s0, ttmp6, 0x4000c
	s_and_b32 s1, ttmp6, 15
	s_add_co_i32 s0, s0, 1
	s_delay_alu instid0(SALU_CYCLE_1) | instskip(NEXT) | instid1(SALU_CYCLE_1)
	s_mul_i32 s0, ttmp9, s0
	s_add_co_i32 s1, s1, s0
	s_cmp_eq_u32 s3, 0
	s_cselect_b32 s0, ttmp9, s1
	s_delay_alu instid0(SALU_CYCLE_1) | instskip(SKIP_3) | instid1(SALU_CYCLE_1)
	s_lshl_b32 s52, s0, 12
	s_mov_b32 s0, -1
	s_wait_kmcnt 0x0
	s_sub_co_i32 s54, s2, s52
	s_cmp_gt_i32 s54, 0xfff
	s_wait_loadcnt 0x0
	v_readfirstlane_b32 s43, v1
	s_cbranch_scc0 .LBB9_2
; %bb.1:
	s_ashr_i32 s53, s52, 31
	s_bitcmp1_b32 s43, 0
	s_add_nc_u64 s[0:1], s[46:47], s[52:53]
	s_cselect_b32 s55, -1, 0
	s_clause 0x1
	global_load_b64 v[2:3], v0, s[0:1] scale_offset
	global_load_b64 v[4:5], v0, s[0:1] offset:2048 scale_offset
	s_wait_xcnt 0x0
	s_add_nc_u64 s[0:1], s[48:49], s[52:53]
	s_clause 0x1
	global_load_b64 v[6:7], v0, s[0:1] scale_offset
	global_load_b64 v[8:9], v0, s[0:1] offset:2048 scale_offset
	s_wait_xcnt 0x0
	s_add_nc_u64 s[0:1], s[50:51], s[52:53]
	s_clause 0x1
	global_load_b64 v[10:11], v0, s[0:1] scale_offset
	global_load_b64 v[12:13], v0, s[0:1] offset:2048 scale_offset
	v_or3_b32 v1, 0, 0, 0
	s_wait_loadcnt 0x5
	v_and_b32_e32 v14, 0xff, v2
	v_and_b32_e32 v15, 0xff00, v2
	;; [unrolled: 1-line block ×3, first 2 shown]
	s_wait_loadcnt 0x3
	v_and_b32_e32 v25, 0xff, v7
	v_and_b32_e32 v26, 0xff00, v7
	;; [unrolled: 1-line block ×3, first 2 shown]
	s_wait_loadcnt 0x1
	v_min_u32_e32 v7, v7, v11
	v_cmp_ne_u32_e64 s3, 0, v14
	v_and_b32_e32 v17, 0xff, v3
	v_and_b32_e32 v18, 0xff00, v3
	;; [unrolled: 1-line block ×3, first 2 shown]
	v_cmp_lt_u32_e32 vcc_lo, 0xffffff, v2
	s_wait_xcnt 0x0
	v_cmp_lt_u32_e64 s0, 0xffffff, v3
	v_and_b32_e32 v2, 0xff, v4
	v_and_b32_e32 v3, 0xff00, v4
	;; [unrolled: 1-line block ×3, first 2 shown]
	v_cmp_lt_u32_e64 s1, 0xffffff, v4
	v_and_b32_e32 v4, 0xff, v6
	v_and_b32_e32 v31, 0xff, v9
	;; [unrolled: 1-line block ×4, first 2 shown]
	s_wait_loadcnt 0x0
	v_min_u32_e32 v9, v9, v13
	v_and_b32_e32 v28, 0xff, v8
	v_and_b32_e32 v21, 0xff, v5
	;; [unrolled: 1-line block ×4, first 2 shown]
	v_cmp_lt_u32_e64 s2, 0xffffff, v5
	v_and_b32_e32 v5, 0xff00, v6
	v_and_b32_e32 v24, 0xff0000, v6
	;; [unrolled: 1-line block ×3, first 2 shown]
	v_min_u32_e32 v6, v6, v10
	v_and_b32_e32 v29, 0xff00, v8
	v_and_b32_e32 v30, 0xff0000, v8
	;; [unrolled: 1-line block ×3, first 2 shown]
	v_min_u32_e32 v8, v8, v12
	v_cmp_lt_u32_e64 s41, 0xffffff, v7
	s_and_b32 s56, s3, s55
	v_and_b32_e32 v35, 0xff00, v10
	v_cmp_ne_u32_e64 s15, 0, v4
	s_bitcmp1_b32 s43, 8
	v_cmp_lt_u32_e64 s3, 0xffffff, v9
	v_and_b32_e32 v41, 0xff00, v12
	v_cmp_ne_u32_e64 s21, 0, v28
	v_and_b32_e32 v36, 0xff0000, v10
	v_cmp_ne_u32_e64 s27, 0, v34
	v_cmp_lt_u32_e64 s40, 0xffffff, v6
	s_cselect_b32 s57, -1, 0
	v_and_b32_e32 v42, 0xff0000, v12
	v_cmp_ne_u32_e64 s9, 0, v2
	v_cmp_ne_u32_e64 s16, 0, v5
	;; [unrolled: 1-line block ×3, first 2 shown]
	v_cmp_lt_u32_e64 s42, 0xffffff, v8
	v_cmp_ne_u32_e64 s22, 0, v29
	s_and_b32 s0, s0, s55
	s_and_b32 s41, s41, s57
	v_cmp_ne_u32_e64 s4, 0, v15
	v_cmp_ne_u32_e64 s17, 0, v24
	;; [unrolled: 1-line block ×3, first 2 shown]
	s_and_b32 s2, s2, s55
	s_and_b32 s15, s15, s57
	;; [unrolled: 1-line block ×3, first 2 shown]
	v_cmp_ne_u32_e64 s10, 0, v3
	v_cmp_ne_u32_e64 s23, 0, v30
	;; [unrolled: 1-line block ×3, first 2 shown]
	s_and_b32 s21, s21, s57
	s_or_b32 s0, s0, s41
	v_and_b32_e32 v37, 0xff, v11
	v_cmp_ne_u32_e64 s5, 0, v16
	v_cmp_ne_u32_e64 s29, 0, v36
	s_and_b32 s58, vcc_lo, s55
	s_and_b32 s40, s40, s57
	s_and_b32 s15, s15, s27
	s_or_b32 s2, s2, s3
	v_and_b32_e32 v43, 0xff, v13
	v_cmp_ne_u32_e64 s11, 0, v20
	v_cmp_ne_u32_e64 s36, 0, v42
	s_and_b32 s9, s9, s55
	s_and_b32 s1, s1, s55
	s_and_b32 s16, s16, s57
	s_and_b32 s42, s42, s57
	v_cndmask_b32_e64 v3, 0, 0x1000000, s0
	s_and_b32 s0, s21, s34
	s_and_b32 s22, s22, s57
	s_or_b32 s27, s58, s40
	v_cndmask_b32_e64 v5, 0, 0x1000000, s2
	s_or_b32 s2, s56, s15
	v_and_b32_e32 v38, 0xff00, v11
	v_cmp_ne_u32_e64 s18, 0, v25
	s_and_b32 s4, s4, s55
	s_and_b32 s17, s17, s57
	;; [unrolled: 1-line block ×3, first 2 shown]
	s_or_b32 s1, s1, s42
	s_or_b32 s0, s9, s0
	v_and_b32_e32 v44, 0xff00, v13
	v_cmp_ne_u32_e64 s24, 0, v31
	s_and_b32 s10, s10, s55
	s_and_b32 s23, s23, s57
	v_cndmask_b32_e64 v2, 0, 0x1000000, s27
	s_and_b32 s21, s22, s35
	v_cndmask_b32_e64 v6, 0, 1, s2
	v_and_b32_e32 v39, 0xff0000, v11
	v_cmp_ne_u32_e64 s6, 0, v17
	v_cmp_ne_u32_e64 s30, 0, v37
	s_and_b32 s5, s5, s55
	s_and_b32 s17, s17, s29
	v_cndmask_b32_e64 v4, 0, 0x1000000, s1
	s_or_b32 s2, s4, s16
	v_cndmask_b32_e64 v12, 0, 1, s0
	v_and_b32_e32 v45, 0xff0000, v13
	v_cmp_ne_u32_e64 s12, 0, v21
	v_cmp_ne_u32_e64 s19, 0, v26
	;; [unrolled: 1-line block ×3, first 2 shown]
	s_and_b32 s11, s11, s55
	s_and_b32 s22, s23, s36
	s_or_b32 s0, s10, s21
	v_cmp_ne_u32_e64 s25, 0, v32
	v_cndmask_b32_e64 v7, 0, 0x100, s2
	s_or_b32 s2, s5, s17
	v_cmp_ne_u32_e64 s7, 0, v18
	v_cmp_ne_u32_e64 s20, 0, v27
	;; [unrolled: 1-line block ×3, first 2 shown]
	s_and_b32 s18, s18, s57
	v_cndmask_b32_e64 v13, 0, 0x100, s0
	s_or_b32 s0, s11, s22
	v_cmp_ne_u32_e64 s13, 0, v22
	v_cmp_ne_u32_e64 s26, 0, v33
	;; [unrolled: 1-line block ×3, first 2 shown]
	s_and_b32 s24, s24, s57
	v_cndmask_b32_e64 v8, 0, 0x10000, s2
	v_or_b32_e32 v2, v2, v6
	v_cmp_ne_u32_e64 s8, 0, v19
	v_cmp_ne_u32_e64 s33, 0, v39
	s_and_b32 s6, s6, s55
	s_and_b32 s18, s18, s30
	v_cndmask_b32_e64 v14, 0, 0x10000, s0
	v_or_b32_e32 v4, v4, v12
	v_cmp_ne_u32_e64 s14, 0, v23
	v_cmp_ne_u32_e64 s39, 0, v45
	s_and_b32 s12, s12, s55
	s_and_b32 s19, s19, s57
	;; [unrolled: 1-line block ×4, first 2 shown]
	s_or_b32 s2, s6, s18
	s_and_b32 s7, s7, s55
	s_and_b32 s20, s20, s57
	;; [unrolled: 1-line block ×3, first 2 shown]
	s_or_b32 s0, s12, s1
	s_and_b32 s13, s13, s55
	s_and_b32 s26, s26, s57
	;; [unrolled: 1-line block ×3, first 2 shown]
	v_cndmask_b32_e64 v9, 0, 1, s2
	v_or3_b32 v2, v2, v7, v8
	s_and_b32 s8, s8, s55
	s_and_b32 s20, s20, s33
	s_or_b32 s2, s7, s19
	v_cndmask_b32_e64 v6, 0, 1, s0
	v_or3_b32 v4, v4, v13, v14
	s_and_b32 s14, s14, s55
	s_and_b32 s24, s26, s39
	s_or_b32 s0, s13, s23
	v_cndmask_b32_e64 v10, 0, 0x100, s2
	s_or_b32 s2, s8, s20
	v_cndmask_b32_e64 v12, 0, 0x100, s0
	;; [unrolled: 2-line block ×3, first 2 shown]
	v_or3_b32 v3, v1, v3, v9
	v_or3_b32 v2, v2, 0, 0
	v_cndmask_b32_e64 v7, 0, 0x10000, s0
	v_or3_b32 v1, v1, v5, v6
	v_or3_b32 v4, v4, 0, 0
	;; [unrolled: 1-line block ×4, first 2 shown]
	s_add_nc_u64 s[2:3], s[44:45], s[52:53]
	v_or3_b32 v5, v1, v12, v7
	v_or3_b32 v4, v4, 0, 0
	s_mov_b32 s0, 0
	s_clause 0x1
	global_store_b64 v0, v[2:3], s[2:3] scale_offset
	global_store_b64 v0, v[4:5], s[2:3] offset:2048 scale_offset
.LBB9_2:
	s_and_not1_b32 vcc_lo, exec_lo, s0
	s_cbranch_vccnz .LBB9_53
; %bb.3:
	v_cmp_gt_i32_e32 vcc_lo, s54, v0
	s_wait_xcnt 0x1
	v_dual_mov_b32 v1, 0 :: v_dual_bitop2_b32 v2, s52, v0 bitop3:0x54
	v_or_b32_e32 v3, 0x100, v0
	s_wait_xcnt 0x0
	v_dual_mov_b32 v5, 0 :: v_dual_mov_b32 v6, 0
	v_mov_b32_e32 v11, v0
	s_mov_b32 s2, 0
	s_mov_b32 s4, 0
	s_and_saveexec_b32 s3, vcc_lo
	s_cbranch_execz .LBB9_5
; %bb.4:
	s_clause 0x2
	global_load_u8 v4, v2, s[46:47]
	global_load_u8 v6, v2, s[50:51]
	;; [unrolled: 1-line block ×3, first 2 shown]
	v_or_b32_e32 v11, 0x100, v0
	s_wait_loadcnt 0x2
	v_cmp_ne_u16_e64 s0, 0, v4
	s_wait_loadcnt 0x0
	v_cmp_ne_u16_e64 s1, 0, v7
	s_delay_alu instid0(VALU_DEP_2) | instskip(SKIP_1) | instid1(VALU_DEP_3)
	v_cndmask_b32_e64 v5, 0, 1, s0
	v_cmp_ne_u16_e64 s0, 0, v6
	v_cndmask_b32_e64 v6, 0, 1, s1
	s_and_b32 s4, s0, exec_lo
.LBB9_5:
	s_wait_xcnt 0x0
	s_or_b32 exec_lo, exec_lo, s3
	v_mov_b32_e32 v7, 0
	s_mov_b32 s3, exec_lo
	v_cmpx_gt_i32_e64 s54, v11
	s_cbranch_execz .LBB9_7
; %bb.6:
	v_add_nc_u32_e32 v1, s52, v11
	v_add_nc_u32_e32 v11, 0x100, v11
	s_clause 0x2
	global_load_u8 v4, v1, s[46:47]
	global_load_u8 v7, v1, s[50:51]
	global_load_u8 v8, v1, s[48:49]
	s_wait_loadcnt 0x2
	v_cmp_ne_u16_e64 s0, 0, v4
	s_wait_loadcnt 0x0
	v_cmp_ne_u16_e64 s1, 0, v8
	s_wait_xcnt 0x0
	s_delay_alu instid0(VALU_DEP_2) | instskip(SKIP_1) | instid1(VALU_DEP_3)
	v_cndmask_b32_e64 v1, 0, 1, s0
	v_cmp_ne_u16_e64 s0, 0, v7
	v_cndmask_b32_e64 v7, 0, 1, s1
	s_and_b32 s2, s0, exec_lo
.LBB9_7:
	s_or_b32 exec_lo, exec_lo, s3
	v_dual_mov_b32 v4, 0 :: v_dual_mov_b32 v9, 0
	v_mov_b32_e32 v10, 0
	s_mov_b32 s3, 0
	s_mov_b32 s5, 0
	s_mov_b32 s6, exec_lo
	v_cmpx_gt_i32_e64 s54, v11
	s_cbranch_execz .LBB9_9
; %bb.8:
	v_add_nc_u32_e32 v8, s52, v11
	v_add_nc_u32_e32 v11, 0x100, v11
	s_clause 0x2
	global_load_u8 v9, v8, s[46:47]
	global_load_u8 v10, v8, s[50:51]
	global_load_u8 v12, v8, s[48:49]
	s_wait_loadcnt 0x2
	v_cmp_ne_u16_e64 s0, 0, v9
	s_wait_loadcnt 0x0
	v_cmp_ne_u16_e64 s1, 0, v12
	s_delay_alu instid0(VALU_DEP_2) | instskip(SKIP_1) | instid1(VALU_DEP_3)
	v_cndmask_b32_e64 v9, 0, 1, s0
	v_cmp_ne_u16_e64 s0, 0, v10
	v_cndmask_b32_e64 v10, 0, 1, s1
	s_and_b32 s5, s0, exec_lo
.LBB9_9:
	s_wait_xcnt 0x0
	s_or_b32 exec_lo, exec_lo, s6
	v_mov_b32_e32 v12, 0
	s_mov_b32 s6, exec_lo
	v_cmpx_gt_i32_e64 s54, v11
	s_cbranch_execz .LBB9_11
; %bb.10:
	v_add_nc_u32_e32 v4, s52, v11
	v_add_nc_u32_e32 v11, 0x100, v11
	s_clause 0x2
	global_load_u8 v8, v4, s[46:47]
	global_load_u8 v12, v4, s[50:51]
	global_load_u8 v13, v4, s[48:49]
	s_wait_loadcnt 0x2
	v_cmp_ne_u16_e64 s0, 0, v8
	s_wait_loadcnt 0x0
	v_cmp_ne_u16_e64 s1, 0, v13
	s_wait_xcnt 0x0
	s_delay_alu instid0(VALU_DEP_2) | instskip(SKIP_1) | instid1(VALU_DEP_3)
	v_cndmask_b32_e64 v4, 0, 1, s0
	v_cmp_ne_u16_e64 s0, 0, v12
	v_cndmask_b32_e64 v12, 0, 1, s1
	s_and_b32 s3, s0, exec_lo
.LBB9_11:
	s_or_b32 exec_lo, exec_lo, s6
	v_dual_mov_b32 v8, 0 :: v_dual_mov_b32 v14, 0
	v_mov_b32_e32 v15, 0
	s_mov_b32 s6, 0
	s_mov_b32 s7, 0
	s_mov_b32 s8, exec_lo
	v_cmpx_gt_i32_e64 s54, v11
	s_cbranch_execz .LBB9_13
; %bb.12:
	v_add_nc_u32_e32 v13, s52, v11
	v_add_nc_u32_e32 v11, 0x100, v11
	s_clause 0x2
	global_load_u8 v14, v13, s[46:47]
	global_load_u8 v15, v13, s[50:51]
	global_load_u8 v16, v13, s[48:49]
	s_wait_loadcnt 0x2
	v_cmp_ne_u16_e64 s0, 0, v14
	s_wait_loadcnt 0x0
	v_cmp_ne_u16_e64 s1, 0, v16
	s_delay_alu instid0(VALU_DEP_2) | instskip(SKIP_1) | instid1(VALU_DEP_3)
	v_cndmask_b32_e64 v14, 0, 1, s0
	v_cmp_ne_u16_e64 s0, 0, v15
	v_cndmask_b32_e64 v15, 0, 1, s1
	s_and_b32 s7, s0, exec_lo
.LBB9_13:
	;; [unrolled: 49-line block ×5, first 2 shown]
	s_wait_xcnt 0x0
	s_or_b32 exec_lo, exec_lo, s14
	v_mov_b32_e32 v28, 0
	s_mov_b32 s14, exec_lo
	v_cmpx_gt_i32_e64 s54, v11
	s_cbranch_execz .LBB9_27
; %bb.26:
	v_add_nc_u32_e32 v21, s52, v11
	v_add_nc_u32_e32 v11, 0x100, v11
	s_clause 0x2
	global_load_u8 v25, v21, s[46:47]
	global_load_u8 v28, v21, s[50:51]
	;; [unrolled: 1-line block ×3, first 2 shown]
	s_wait_loadcnt 0x2
	v_cmp_ne_u16_e64 s0, 0, v25
	s_wait_loadcnt 0x0
	v_cmp_ne_u16_e64 s1, 0, v29
	s_wait_xcnt 0x0
	s_delay_alu instid0(VALU_DEP_2) | instskip(SKIP_1) | instid1(VALU_DEP_3)
	v_cndmask_b32_e64 v21, 0, 1, s0
	v_cmp_ne_u16_e64 s0, 0, v28
	v_cndmask_b32_e64 v28, 0, 1, s1
	s_and_b32 s12, s0, exec_lo
.LBB9_27:
	s_or_b32 exec_lo, exec_lo, s14
	v_dual_mov_b32 v25, 0 :: v_dual_mov_b32 v29, 0
	v_mov_b32_e32 v30, 0
	s_mov_b32 s14, 0
	s_mov_b32 s15, 0
	s_mov_b32 s16, exec_lo
	v_cmpx_gt_i32_e64 s54, v11
	s_cbranch_execz .LBB9_29
; %bb.28:
	v_add_nc_u32_e32 v29, s52, v11
	v_add_nc_u32_e32 v11, 0x100, v11
	s_clause 0x2
	global_load_u8 v30, v29, s[46:47]
	global_load_u8 v31, v29, s[50:51]
	;; [unrolled: 1-line block ×3, first 2 shown]
	s_wait_loadcnt 0x2
	v_cmp_ne_u16_e64 s0, 0, v30
	s_wait_loadcnt 0x0
	v_cmp_ne_u16_e64 s1, 0, v32
	s_wait_xcnt 0x0
	s_delay_alu instid0(VALU_DEP_2) | instskip(SKIP_1) | instid1(VALU_DEP_3)
	v_cndmask_b32_e64 v29, 0, 1, s0
	v_cmp_ne_u16_e64 s0, 0, v31
	v_cndmask_b32_e64 v30, 0, 1, s1
	s_and_b32 s15, s0, exec_lo
.LBB9_29:
	s_or_b32 exec_lo, exec_lo, s16
	v_mov_b32_e32 v32, 0
	s_mov_b32 s16, exec_lo
	v_cmpx_gt_i32_e64 s54, v11
	s_cbranch_execz .LBB9_31
; %bb.30:
	v_add_nc_u32_e32 v25, s52, v11
	v_add_nc_u32_e32 v11, 0x100, v11
	s_clause 0x2
	global_load_u8 v31, v25, s[46:47]
	global_load_u8 v32, v25, s[50:51]
	;; [unrolled: 1-line block ×3, first 2 shown]
	s_wait_loadcnt 0x2
	v_cmp_ne_u16_e64 s0, 0, v31
	s_wait_loadcnt 0x0
	v_cmp_ne_u16_e64 s1, 0, v33
	s_wait_xcnt 0x0
	s_delay_alu instid0(VALU_DEP_2) | instskip(SKIP_1) | instid1(VALU_DEP_3)
	v_cndmask_b32_e64 v25, 0, 1, s0
	v_cmp_ne_u16_e64 s0, 0, v32
	v_cndmask_b32_e64 v32, 0, 1, s1
	s_and_b32 s14, s0, exec_lo
.LBB9_31:
	s_or_b32 exec_lo, exec_lo, s16
	v_dual_mov_b32 v31, 0 :: v_dual_mov_b32 v33, 0
	v_mov_b32_e32 v34, 0
	s_mov_b32 s16, 0
	s_mov_b32 s17, 0
	s_mov_b32 s18, exec_lo
	v_cmpx_gt_i32_e64 s54, v11
	s_cbranch_execz .LBB9_33
; %bb.32:
	v_add_nc_u32_e32 v33, s52, v11
	v_add_nc_u32_e32 v11, 0x100, v11
	s_clause 0x2
	global_load_u8 v34, v33, s[46:47]
	global_load_u8 v35, v33, s[50:51]
	global_load_u8 v36, v33, s[48:49]
	s_wait_loadcnt 0x2
	v_cmp_ne_u16_e64 s0, 0, v34
	s_wait_loadcnt 0x0
	v_cmp_ne_u16_e64 s1, 0, v36
	s_wait_xcnt 0x0
	s_delay_alu instid0(VALU_DEP_2) | instskip(SKIP_1) | instid1(VALU_DEP_3)
	v_cndmask_b32_e64 v33, 0, 1, s0
	v_cmp_ne_u16_e64 s0, 0, v35
	v_cndmask_b32_e64 v34, 0, 1, s1
	s_and_b32 s17, s0, exec_lo
.LBB9_33:
	s_or_b32 exec_lo, exec_lo, s18
	v_mov_b32_e32 v35, 0
	s_mov_b32 s18, exec_lo
	v_cmpx_gt_i32_e64 s54, v11
	s_cbranch_execz .LBB9_35
; %bb.34:
	v_add_nc_u32_e32 v11, s52, v11
	s_clause 0x2
	global_load_u8 v31, v11, s[46:47]
	global_load_u8 v35, v11, s[50:51]
	;; [unrolled: 1-line block ×3, first 2 shown]
	s_wait_loadcnt 0x2
	v_cmp_ne_u16_e64 s0, 0, v31
	s_wait_loadcnt 0x0
	v_cmp_ne_u16_e64 s1, 0, v36
	s_delay_alu instid0(VALU_DEP_2) | instskip(SKIP_1) | instid1(VALU_DEP_3)
	v_cndmask_b32_e64 v31, 0, 1, s0
	v_cmp_ne_u16_e64 s0, 0, v35
	v_cndmask_b32_e64 v35, 0, 1, s1
	s_and_b32 s16, s0, exec_lo
.LBB9_35:
	s_wait_xcnt 0x0
	s_or_b32 exec_lo, exec_lo, s18
	s_and_saveexec_b32 s1, vcc_lo
	s_cbranch_execz .LBB9_37
; %bb.36:
	v_and_b32_e32 v0, s43, v5
	s_and_b32 s0, 0xffff, s43
	s_delay_alu instid0(SALU_CYCLE_1) | instskip(NEXT) | instid1(SALU_CYCLE_1)
	s_lshr_b32 s0, s0, 8
	v_and_b32_e32 v5, s0, v6
	s_delay_alu instid0(VALU_DEP_2) | instskip(NEXT) | instid1(VALU_DEP_1)
	v_and_b32_e32 v0, 1, v0
	v_cmp_eq_u32_e64 s0, 1, v0
	v_mov_b32_e32 v0, v3
	s_delay_alu instid0(VALU_DEP_4) | instskip(SKIP_1) | instid1(SALU_CYCLE_1)
	v_cmp_ne_u16_e32 vcc_lo, 0, v5
	s_and_b32 s4, s4, vcc_lo
	s_or_b32 s0, s0, s4
	s_delay_alu instid0(SALU_CYCLE_1)
	v_cndmask_b32_e64 v5, 0, 1, s0
	global_store_b8 v2, v5, s[44:45]
.LBB9_37:
	s_wait_xcnt 0x0
	s_or_b32 exec_lo, exec_lo, s1
	s_and_b32 s0, 0xffff, s43
	s_mov_b32 s4, exec_lo
	s_lshr_b32 s1, s0, 8
	v_cmpx_gt_i32_e64 s54, v0
	s_cbranch_execnz .LBB9_54
; %bb.38:
	s_or_b32 exec_lo, exec_lo, s4
	s_delay_alu instid0(SALU_CYCLE_1)
	s_mov_b32 s2, exec_lo
	v_cmpx_gt_i32_e64 s54, v0
	s_cbranch_execnz .LBB9_55
.LBB9_39:
	s_or_b32 exec_lo, exec_lo, s2
	s_delay_alu instid0(SALU_CYCLE_1)
	s_mov_b32 s2, exec_lo
	v_cmpx_gt_i32_e64 s54, v0
	s_cbranch_execnz .LBB9_56
.LBB9_40:
	s_or_b32 exec_lo, exec_lo, s2
	s_delay_alu instid0(SALU_CYCLE_1)
	s_mov_b32 s2, exec_lo
	v_cmpx_gt_i32_e64 s54, v0
	s_cbranch_execnz .LBB9_57
.LBB9_41:
	s_or_b32 exec_lo, exec_lo, s2
	s_delay_alu instid0(SALU_CYCLE_1)
	s_mov_b32 s2, exec_lo
	v_cmpx_gt_i32_e64 s54, v0
	s_cbranch_execnz .LBB9_58
.LBB9_42:
	s_or_b32 exec_lo, exec_lo, s2
	s_delay_alu instid0(SALU_CYCLE_1)
	s_mov_b32 s2, exec_lo
	v_cmpx_gt_i32_e64 s54, v0
	s_cbranch_execnz .LBB9_59
.LBB9_43:
	s_or_b32 exec_lo, exec_lo, s2
	s_delay_alu instid0(SALU_CYCLE_1)
	s_mov_b32 s2, exec_lo
	v_cmpx_gt_i32_e64 s54, v0
	s_cbranch_execnz .LBB9_60
.LBB9_44:
	s_or_b32 exec_lo, exec_lo, s2
	s_delay_alu instid0(SALU_CYCLE_1)
	s_mov_b32 s2, exec_lo
	v_cmpx_gt_i32_e64 s54, v0
	s_cbranch_execnz .LBB9_61
.LBB9_45:
	s_or_b32 exec_lo, exec_lo, s2
	s_delay_alu instid0(SALU_CYCLE_1)
	s_mov_b32 s2, exec_lo
	v_cmpx_gt_i32_e64 s54, v0
	s_cbranch_execnz .LBB9_62
.LBB9_46:
	s_or_b32 exec_lo, exec_lo, s2
	s_delay_alu instid0(SALU_CYCLE_1)
	s_mov_b32 s2, exec_lo
	v_cmpx_gt_i32_e64 s54, v0
	s_cbranch_execnz .LBB9_63
.LBB9_47:
	s_or_b32 exec_lo, exec_lo, s2
	s_delay_alu instid0(SALU_CYCLE_1)
	s_mov_b32 s2, exec_lo
	v_cmpx_gt_i32_e64 s54, v0
	s_cbranch_execnz .LBB9_64
.LBB9_48:
	s_or_b32 exec_lo, exec_lo, s2
	s_delay_alu instid0(SALU_CYCLE_1)
	s_mov_b32 s2, exec_lo
	v_cmpx_gt_i32_e64 s54, v0
	s_cbranch_execnz .LBB9_65
.LBB9_49:
	s_or_b32 exec_lo, exec_lo, s2
	s_delay_alu instid0(SALU_CYCLE_1)
	s_mov_b32 s2, exec_lo
	v_cmpx_gt_i32_e64 s54, v0
	s_cbranch_execnz .LBB9_66
.LBB9_50:
	s_or_b32 exec_lo, exec_lo, s2
	s_delay_alu instid0(SALU_CYCLE_1)
	s_mov_b32 s2, exec_lo
	v_cmpx_gt_i32_e64 s54, v0
	s_cbranch_execnz .LBB9_67
.LBB9_51:
	s_or_b32 exec_lo, exec_lo, s2
	s_delay_alu instid0(SALU_CYCLE_1)
	s_mov_b32 s0, exec_lo
	v_cmpx_gt_i32_e64 s54, v0
	s_cbranch_execz .LBB9_53
.LBB9_52:
	v_dual_add_nc_u32 v0, s52, v0 :: v_dual_bitop2_b32 v1, s43, v31 bitop3:0x40
	v_and_b32_e32 v2, s1, v35
	s_delay_alu instid0(VALU_DEP_2) | instskip(NEXT) | instid1(VALU_DEP_2)
	v_and_b32_e32 v1, 1, v1
	v_cmp_ne_u16_e32 vcc_lo, 0, v2
	s_delay_alu instid0(VALU_DEP_2) | instskip(SKIP_1) | instid1(SALU_CYCLE_1)
	v_cmp_eq_u32_e64 s0, 1, v1
	s_and_b32 s1, s16, vcc_lo
	s_or_b32 s0, s0, s1
	s_delay_alu instid0(SALU_CYCLE_1)
	v_cndmask_b32_e64 v1, 0, 1, s0
	global_store_b8 v0, v1, s[44:45]
.LBB9_53:
	s_endpgm
.LBB9_54:
	v_and_b32_e32 v2, s1, v7
	v_and_b32_e32 v1, s43, v1
	s_delay_alu instid0(VALU_DEP_2) | instskip(NEXT) | instid1(VALU_DEP_1)
	v_and_b32_e32 v2, 0xff, v2
	v_cmp_ne_u16_e32 vcc_lo, 0, v2
	s_delay_alu instid0(VALU_DEP_3) | instskip(SKIP_2) | instid1(VALU_DEP_2)
	v_dual_add_nc_u32 v2, s52, v0 :: v_dual_bitop2_b32 v1, 1, v1 bitop3:0x40
	v_add_nc_u32_e32 v0, 0x100, v0
	s_and_b32 s2, s2, vcc_lo
	v_cmp_eq_u32_e64 s0, 1, v1
	s_or_b32 s0, s0, s2
	s_delay_alu instid0(SALU_CYCLE_1) | instskip(SKIP_3) | instid1(SALU_CYCLE_1)
	v_cndmask_b32_e64 v1, 0, 1, s0
	global_store_b8 v2, v1, s[44:45]
	s_wait_xcnt 0x0
	s_or_b32 exec_lo, exec_lo, s4
	s_mov_b32 s2, exec_lo
	v_cmpx_gt_i32_e64 s54, v0
	s_cbranch_execz .LBB9_39
.LBB9_55:
	v_and_b32_e32 v2, s43, v9
	v_and_b32_e32 v1, s1, v10
	s_delay_alu instid0(VALU_DEP_2) | instskip(NEXT) | instid1(VALU_DEP_1)
	v_and_b32_e32 v2, 1, v2
	v_cmp_eq_u32_e64 s0, 1, v2
	v_add_nc_u32_e32 v2, s52, v0
	s_delay_alu instid0(VALU_DEP_4) | instskip(SKIP_1) | instid1(VALU_DEP_2)
	v_and_b32_e32 v1, 0xff, v1
	v_add_nc_u32_e32 v0, 0x100, v0
	v_cmp_ne_u16_e32 vcc_lo, 0, v1
	s_and_b32 s4, s5, vcc_lo
	s_delay_alu instid0(SALU_CYCLE_1) | instskip(NEXT) | instid1(SALU_CYCLE_1)
	s_or_b32 s0, s0, s4
	v_cndmask_b32_e64 v1, 0, 1, s0
	global_store_b8 v2, v1, s[44:45]
	s_wait_xcnt 0x0
	s_or_b32 exec_lo, exec_lo, s2
	s_delay_alu instid0(SALU_CYCLE_1)
	s_mov_b32 s2, exec_lo
	v_cmpx_gt_i32_e64 s54, v0
	s_cbranch_execz .LBB9_40
.LBB9_56:
	v_and_b32_e32 v1, s1, v12
	v_and_b32_e32 v2, s43, v4
	s_delay_alu instid0(VALU_DEP_2) | instskip(NEXT) | instid1(VALU_DEP_2)
	v_and_b32_e32 v1, 0xff, v1
	v_and_b32_e32 v2, 1, v2
	s_delay_alu instid0(VALU_DEP_2) | instskip(NEXT) | instid1(VALU_DEP_2)
	v_cmp_ne_u16_e32 vcc_lo, 0, v1
	v_cmp_eq_u32_e64 s0, 1, v2
	v_add_nc_u32_e32 v2, s52, v0
	v_add_nc_u32_e32 v0, 0x100, v0
	s_and_b32 s3, s3, vcc_lo
	s_delay_alu instid0(SALU_CYCLE_1) | instskip(NEXT) | instid1(SALU_CYCLE_1)
	s_or_b32 s0, s0, s3
	v_cndmask_b32_e64 v1, 0, 1, s0
	global_store_b8 v2, v1, s[44:45]
	s_wait_xcnt 0x0
	s_or_b32 exec_lo, exec_lo, s2
	s_delay_alu instid0(SALU_CYCLE_1)
	s_mov_b32 s2, exec_lo
	v_cmpx_gt_i32_e64 s54, v0
	s_cbranch_execz .LBB9_41
.LBB9_57:
	v_and_b32_e32 v2, s43, v14
	v_and_b32_e32 v1, s1, v15
	s_delay_alu instid0(VALU_DEP_2) | instskip(NEXT) | instid1(VALU_DEP_1)
	v_and_b32_e32 v2, 1, v2
	v_cmp_eq_u32_e64 s0, 1, v2
	v_add_nc_u32_e32 v2, s52, v0
	s_delay_alu instid0(VALU_DEP_4) | instskip(SKIP_1) | instid1(VALU_DEP_2)
	v_and_b32_e32 v1, 0xff, v1
	v_add_nc_u32_e32 v0, 0x100, v0
	v_cmp_ne_u16_e32 vcc_lo, 0, v1
	s_and_b32 s3, s7, vcc_lo
	s_delay_alu instid0(SALU_CYCLE_1) | instskip(NEXT) | instid1(SALU_CYCLE_1)
	s_or_b32 s0, s0, s3
	v_cndmask_b32_e64 v1, 0, 1, s0
	global_store_b8 v2, v1, s[44:45]
	s_wait_xcnt 0x0
	s_or_b32 exec_lo, exec_lo, s2
	s_delay_alu instid0(SALU_CYCLE_1)
	s_mov_b32 s2, exec_lo
	v_cmpx_gt_i32_e64 s54, v0
	s_cbranch_execz .LBB9_42
.LBB9_58:
	v_and_b32_e32 v1, s1, v16
	v_and_b32_e32 v2, s43, v8
	s_delay_alu instid0(VALU_DEP_2) | instskip(NEXT) | instid1(VALU_DEP_2)
	v_and_b32_e32 v1, 0xff, v1
	v_and_b32_e32 v2, 1, v2
	s_delay_alu instid0(VALU_DEP_2) | instskip(NEXT) | instid1(VALU_DEP_2)
	v_cmp_ne_u16_e32 vcc_lo, 0, v1
	v_cmp_eq_u32_e64 s0, 1, v2
	v_add_nc_u32_e32 v2, s52, v0
	v_add_nc_u32_e32 v0, 0x100, v0
	s_and_b32 s3, s6, vcc_lo
	s_delay_alu instid0(SALU_CYCLE_1) | instskip(NEXT) | instid1(SALU_CYCLE_1)
	s_or_b32 s0, s0, s3
	v_cndmask_b32_e64 v1, 0, 1, s0
	global_store_b8 v2, v1, s[44:45]
	s_wait_xcnt 0x0
	s_or_b32 exec_lo, exec_lo, s2
	s_delay_alu instid0(SALU_CYCLE_1)
	s_mov_b32 s2, exec_lo
	v_cmpx_gt_i32_e64 s54, v0
	s_cbranch_execz .LBB9_43
.LBB9_59:
	v_and_b32_e32 v2, s43, v18
	v_and_b32_e32 v1, s1, v19
	s_delay_alu instid0(VALU_DEP_2) | instskip(NEXT) | instid1(VALU_DEP_1)
	v_and_b32_e32 v2, 1, v2
	v_cmp_eq_u32_e64 s0, 1, v2
	v_add_nc_u32_e32 v2, s52, v0
	s_delay_alu instid0(VALU_DEP_4) | instskip(SKIP_1) | instid1(VALU_DEP_2)
	v_and_b32_e32 v1, 0xff, v1
	v_add_nc_u32_e32 v0, 0x100, v0
	v_cmp_ne_u16_e32 vcc_lo, 0, v1
	s_and_b32 s3, s9, vcc_lo
	s_delay_alu instid0(SALU_CYCLE_1) | instskip(NEXT) | instid1(SALU_CYCLE_1)
	s_or_b32 s0, s0, s3
	v_cndmask_b32_e64 v1, 0, 1, s0
	global_store_b8 v2, v1, s[44:45]
	s_wait_xcnt 0x0
	s_or_b32 exec_lo, exec_lo, s2
	s_delay_alu instid0(SALU_CYCLE_1)
	s_mov_b32 s2, exec_lo
	v_cmpx_gt_i32_e64 s54, v0
	s_cbranch_execz .LBB9_44
.LBB9_60:
	v_and_b32_e32 v1, s1, v20
	v_and_b32_e32 v2, s43, v13
	s_delay_alu instid0(VALU_DEP_2) | instskip(NEXT) | instid1(VALU_DEP_2)
	v_and_b32_e32 v1, 0xff, v1
	v_and_b32_e32 v2, 1, v2
	s_delay_alu instid0(VALU_DEP_2) | instskip(NEXT) | instid1(VALU_DEP_2)
	v_cmp_ne_u16_e32 vcc_lo, 0, v1
	v_cmp_eq_u32_e64 s0, 1, v2
	v_add_nc_u32_e32 v2, s52, v0
	v_add_nc_u32_e32 v0, 0x100, v0
	s_and_b32 s3, s8, vcc_lo
	s_delay_alu instid0(SALU_CYCLE_1) | instskip(NEXT) | instid1(SALU_CYCLE_1)
	s_or_b32 s0, s0, s3
	v_cndmask_b32_e64 v1, 0, 1, s0
	global_store_b8 v2, v1, s[44:45]
	s_wait_xcnt 0x0
	s_or_b32 exec_lo, exec_lo, s2
	s_delay_alu instid0(SALU_CYCLE_1)
	s_mov_b32 s2, exec_lo
	v_cmpx_gt_i32_e64 s54, v0
	s_cbranch_execz .LBB9_45
.LBB9_61:
	v_and_b32_e32 v2, s43, v22
	v_and_b32_e32 v1, s1, v23
	s_delay_alu instid0(VALU_DEP_2) | instskip(NEXT) | instid1(VALU_DEP_1)
	v_and_b32_e32 v2, 1, v2
	v_cmp_eq_u32_e64 s0, 1, v2
	v_add_nc_u32_e32 v2, s52, v0
	s_delay_alu instid0(VALU_DEP_4) | instskip(SKIP_1) | instid1(VALU_DEP_2)
	v_and_b32_e32 v1, 0xff, v1
	v_add_nc_u32_e32 v0, 0x100, v0
	v_cmp_ne_u16_e32 vcc_lo, 0, v1
	s_and_b32 s3, s11, vcc_lo
	s_delay_alu instid0(SALU_CYCLE_1) | instskip(NEXT) | instid1(SALU_CYCLE_1)
	s_or_b32 s0, s0, s3
	v_cndmask_b32_e64 v1, 0, 1, s0
	global_store_b8 v2, v1, s[44:45]
	s_wait_xcnt 0x0
	s_or_b32 exec_lo, exec_lo, s2
	s_delay_alu instid0(SALU_CYCLE_1)
	s_mov_b32 s2, exec_lo
	v_cmpx_gt_i32_e64 s54, v0
	s_cbranch_execz .LBB9_46
.LBB9_62:
	v_and_b32_e32 v1, s1, v24
	v_and_b32_e32 v2, s43, v17
	s_delay_alu instid0(VALU_DEP_2) | instskip(NEXT) | instid1(VALU_DEP_2)
	v_and_b32_e32 v1, 0xff, v1
	v_and_b32_e32 v2, 1, v2
	s_delay_alu instid0(VALU_DEP_2) | instskip(NEXT) | instid1(VALU_DEP_2)
	v_cmp_ne_u16_e32 vcc_lo, 0, v1
	v_cmp_eq_u32_e64 s0, 1, v2
	v_add_nc_u32_e32 v2, s52, v0
	v_add_nc_u32_e32 v0, 0x100, v0
	s_and_b32 s3, s10, vcc_lo
	s_delay_alu instid0(SALU_CYCLE_1) | instskip(NEXT) | instid1(SALU_CYCLE_1)
	s_or_b32 s0, s0, s3
	v_cndmask_b32_e64 v1, 0, 1, s0
	global_store_b8 v2, v1, s[44:45]
	s_wait_xcnt 0x0
	s_or_b32 exec_lo, exec_lo, s2
	s_delay_alu instid0(SALU_CYCLE_1)
	s_mov_b32 s2, exec_lo
	v_cmpx_gt_i32_e64 s54, v0
	s_cbranch_execz .LBB9_47
.LBB9_63:
	v_and_b32_e32 v2, s43, v26
	v_and_b32_e32 v1, s1, v27
	s_delay_alu instid0(VALU_DEP_2) | instskip(NEXT) | instid1(VALU_DEP_1)
	v_and_b32_e32 v2, 1, v2
	v_cmp_eq_u32_e64 s0, 1, v2
	v_add_nc_u32_e32 v2, s52, v0
	s_delay_alu instid0(VALU_DEP_4) | instskip(SKIP_1) | instid1(VALU_DEP_2)
	v_and_b32_e32 v1, 0xff, v1
	v_add_nc_u32_e32 v0, 0x100, v0
	v_cmp_ne_u16_e32 vcc_lo, 0, v1
	s_and_b32 s3, s13, vcc_lo
	s_delay_alu instid0(SALU_CYCLE_1) | instskip(NEXT) | instid1(SALU_CYCLE_1)
	s_or_b32 s0, s0, s3
	v_cndmask_b32_e64 v1, 0, 1, s0
	global_store_b8 v2, v1, s[44:45]
	s_wait_xcnt 0x0
	s_or_b32 exec_lo, exec_lo, s2
	s_delay_alu instid0(SALU_CYCLE_1)
	s_mov_b32 s2, exec_lo
	v_cmpx_gt_i32_e64 s54, v0
	s_cbranch_execz .LBB9_48
.LBB9_64:
	v_and_b32_e32 v1, s1, v28
	v_and_b32_e32 v2, s43, v21
	s_delay_alu instid0(VALU_DEP_2) | instskip(NEXT) | instid1(VALU_DEP_2)
	v_and_b32_e32 v1, 0xff, v1
	v_and_b32_e32 v2, 1, v2
	s_delay_alu instid0(VALU_DEP_2) | instskip(NEXT) | instid1(VALU_DEP_2)
	v_cmp_ne_u16_e32 vcc_lo, 0, v1
	v_cmp_eq_u32_e64 s0, 1, v2
	v_add_nc_u32_e32 v2, s52, v0
	v_add_nc_u32_e32 v0, 0x100, v0
	s_and_b32 s3, s12, vcc_lo
	s_delay_alu instid0(SALU_CYCLE_1) | instskip(NEXT) | instid1(SALU_CYCLE_1)
	s_or_b32 s0, s0, s3
	v_cndmask_b32_e64 v1, 0, 1, s0
	global_store_b8 v2, v1, s[44:45]
	s_wait_xcnt 0x0
	s_or_b32 exec_lo, exec_lo, s2
	s_delay_alu instid0(SALU_CYCLE_1)
	s_mov_b32 s2, exec_lo
	v_cmpx_gt_i32_e64 s54, v0
	s_cbranch_execz .LBB9_49
.LBB9_65:
	v_and_b32_e32 v2, s43, v29
	v_and_b32_e32 v1, s1, v30
	s_delay_alu instid0(VALU_DEP_2) | instskip(NEXT) | instid1(VALU_DEP_1)
	v_and_b32_e32 v2, 1, v2
	v_cmp_eq_u32_e64 s0, 1, v2
	v_add_nc_u32_e32 v2, s52, v0
	s_delay_alu instid0(VALU_DEP_4) | instskip(SKIP_1) | instid1(VALU_DEP_2)
	v_and_b32_e32 v1, 0xff, v1
	v_add_nc_u32_e32 v0, 0x100, v0
	v_cmp_ne_u16_e32 vcc_lo, 0, v1
	s_and_b32 s3, s15, vcc_lo
	s_delay_alu instid0(SALU_CYCLE_1) | instskip(NEXT) | instid1(SALU_CYCLE_1)
	s_or_b32 s0, s0, s3
	v_cndmask_b32_e64 v1, 0, 1, s0
	global_store_b8 v2, v1, s[44:45]
	s_wait_xcnt 0x0
	s_or_b32 exec_lo, exec_lo, s2
	s_delay_alu instid0(SALU_CYCLE_1)
	s_mov_b32 s2, exec_lo
	v_cmpx_gt_i32_e64 s54, v0
	s_cbranch_execz .LBB9_50
.LBB9_66:
	v_and_b32_e32 v1, s1, v32
	v_and_b32_e32 v2, s43, v25
	s_delay_alu instid0(VALU_DEP_2) | instskip(NEXT) | instid1(VALU_DEP_2)
	v_and_b32_e32 v1, 0xff, v1
	v_and_b32_e32 v2, 1, v2
	s_delay_alu instid0(VALU_DEP_2) | instskip(NEXT) | instid1(VALU_DEP_2)
	v_cmp_ne_u16_e32 vcc_lo, 0, v1
	v_cmp_eq_u32_e64 s0, 1, v2
	v_add_nc_u32_e32 v2, s52, v0
	v_add_nc_u32_e32 v0, 0x100, v0
	s_and_b32 s3, s14, vcc_lo
	s_delay_alu instid0(SALU_CYCLE_1) | instskip(NEXT) | instid1(SALU_CYCLE_1)
	s_or_b32 s0, s0, s3
	v_cndmask_b32_e64 v1, 0, 1, s0
	global_store_b8 v2, v1, s[44:45]
	s_wait_xcnt 0x0
	s_or_b32 exec_lo, exec_lo, s2
	s_delay_alu instid0(SALU_CYCLE_1)
	s_mov_b32 s2, exec_lo
	v_cmpx_gt_i32_e64 s54, v0
	s_cbranch_execz .LBB9_51
.LBB9_67:
	v_and_b32_e32 v2, s43, v33
	v_and_b32_e32 v1, s1, v34
	s_delay_alu instid0(VALU_DEP_2) | instskip(NEXT) | instid1(VALU_DEP_1)
	v_and_b32_e32 v2, 1, v2
	v_cmp_eq_u32_e64 s0, 1, v2
	v_add_nc_u32_e32 v2, s52, v0
	s_delay_alu instid0(VALU_DEP_4) | instskip(SKIP_1) | instid1(VALU_DEP_2)
	v_and_b32_e32 v1, 0xff, v1
	v_add_nc_u32_e32 v0, 0x100, v0
	v_cmp_ne_u16_e32 vcc_lo, 0, v1
	s_and_b32 s3, s17, vcc_lo
	s_delay_alu instid0(SALU_CYCLE_1) | instskip(NEXT) | instid1(SALU_CYCLE_1)
	s_or_b32 s0, s0, s3
	v_cndmask_b32_e64 v1, 0, 1, s0
	global_store_b8 v2, v1, s[44:45]
	s_wait_xcnt 0x0
	s_or_b32 exec_lo, exec_lo, s2
	s_delay_alu instid0(SALU_CYCLE_1)
	s_mov_b32 s0, exec_lo
	v_cmpx_gt_i32_e64 s54, v0
	s_cbranch_execnz .LBB9_52
	s_branch .LBB9_53
	.section	.rodata,"a",@progbits
	.p2align	6, 0x0
	.amdhsa_kernel _ZN2at6native29vectorized_elementwise_kernelILi8EZNS0_12_GLOBAL__N_116addr_kernel_cudaERNS_14TensorIteratorERKN3c106ScalarES8_EUlbbbE0_St5arrayIPcLm4EEEEviT0_T1_
		.amdhsa_group_segment_fixed_size 0
		.amdhsa_private_segment_fixed_size 0
		.amdhsa_kernarg_size 40
		.amdhsa_user_sgpr_count 2
		.amdhsa_user_sgpr_dispatch_ptr 0
		.amdhsa_user_sgpr_queue_ptr 0
		.amdhsa_user_sgpr_kernarg_segment_ptr 1
		.amdhsa_user_sgpr_dispatch_id 0
		.amdhsa_user_sgpr_kernarg_preload_length 0
		.amdhsa_user_sgpr_kernarg_preload_offset 0
		.amdhsa_user_sgpr_private_segment_size 0
		.amdhsa_wavefront_size32 1
		.amdhsa_uses_dynamic_stack 0
		.amdhsa_enable_private_segment 0
		.amdhsa_system_sgpr_workgroup_id_x 1
		.amdhsa_system_sgpr_workgroup_id_y 0
		.amdhsa_system_sgpr_workgroup_id_z 0
		.amdhsa_system_sgpr_workgroup_info 0
		.amdhsa_system_vgpr_workitem_id 0
		.amdhsa_next_free_vgpr 46
		.amdhsa_next_free_sgpr 59
		.amdhsa_named_barrier_count 0
		.amdhsa_reserve_vcc 1
		.amdhsa_float_round_mode_32 0
		.amdhsa_float_round_mode_16_64 0
		.amdhsa_float_denorm_mode_32 3
		.amdhsa_float_denorm_mode_16_64 3
		.amdhsa_fp16_overflow 0
		.amdhsa_memory_ordered 1
		.amdhsa_forward_progress 1
		.amdhsa_inst_pref_size 47
		.amdhsa_round_robin_scheduling 0
		.amdhsa_exception_fp_ieee_invalid_op 0
		.amdhsa_exception_fp_denorm_src 0
		.amdhsa_exception_fp_ieee_div_zero 0
		.amdhsa_exception_fp_ieee_overflow 0
		.amdhsa_exception_fp_ieee_underflow 0
		.amdhsa_exception_fp_ieee_inexact 0
		.amdhsa_exception_int_div_zero 0
	.end_amdhsa_kernel
	.section	.text._ZN2at6native29vectorized_elementwise_kernelILi8EZNS0_12_GLOBAL__N_116addr_kernel_cudaERNS_14TensorIteratorERKN3c106ScalarES8_EUlbbbE0_St5arrayIPcLm4EEEEviT0_T1_,"axG",@progbits,_ZN2at6native29vectorized_elementwise_kernelILi8EZNS0_12_GLOBAL__N_116addr_kernel_cudaERNS_14TensorIteratorERKN3c106ScalarES8_EUlbbbE0_St5arrayIPcLm4EEEEviT0_T1_,comdat
.Lfunc_end9:
	.size	_ZN2at6native29vectorized_elementwise_kernelILi8EZNS0_12_GLOBAL__N_116addr_kernel_cudaERNS_14TensorIteratorERKN3c106ScalarES8_EUlbbbE0_St5arrayIPcLm4EEEEviT0_T1_, .Lfunc_end9-_ZN2at6native29vectorized_elementwise_kernelILi8EZNS0_12_GLOBAL__N_116addr_kernel_cudaERNS_14TensorIteratorERKN3c106ScalarES8_EUlbbbE0_St5arrayIPcLm4EEEEviT0_T1_
                                        ; -- End function
	.set _ZN2at6native29vectorized_elementwise_kernelILi8EZNS0_12_GLOBAL__N_116addr_kernel_cudaERNS_14TensorIteratorERKN3c106ScalarES8_EUlbbbE0_St5arrayIPcLm4EEEEviT0_T1_.num_vgpr, 46
	.set _ZN2at6native29vectorized_elementwise_kernelILi8EZNS0_12_GLOBAL__N_116addr_kernel_cudaERNS_14TensorIteratorERKN3c106ScalarES8_EUlbbbE0_St5arrayIPcLm4EEEEviT0_T1_.num_agpr, 0
	.set _ZN2at6native29vectorized_elementwise_kernelILi8EZNS0_12_GLOBAL__N_116addr_kernel_cudaERNS_14TensorIteratorERKN3c106ScalarES8_EUlbbbE0_St5arrayIPcLm4EEEEviT0_T1_.numbered_sgpr, 59
	.set _ZN2at6native29vectorized_elementwise_kernelILi8EZNS0_12_GLOBAL__N_116addr_kernel_cudaERNS_14TensorIteratorERKN3c106ScalarES8_EUlbbbE0_St5arrayIPcLm4EEEEviT0_T1_.num_named_barrier, 0
	.set _ZN2at6native29vectorized_elementwise_kernelILi8EZNS0_12_GLOBAL__N_116addr_kernel_cudaERNS_14TensorIteratorERKN3c106ScalarES8_EUlbbbE0_St5arrayIPcLm4EEEEviT0_T1_.private_seg_size, 0
	.set _ZN2at6native29vectorized_elementwise_kernelILi8EZNS0_12_GLOBAL__N_116addr_kernel_cudaERNS_14TensorIteratorERKN3c106ScalarES8_EUlbbbE0_St5arrayIPcLm4EEEEviT0_T1_.uses_vcc, 1
	.set _ZN2at6native29vectorized_elementwise_kernelILi8EZNS0_12_GLOBAL__N_116addr_kernel_cudaERNS_14TensorIteratorERKN3c106ScalarES8_EUlbbbE0_St5arrayIPcLm4EEEEviT0_T1_.uses_flat_scratch, 0
	.set _ZN2at6native29vectorized_elementwise_kernelILi8EZNS0_12_GLOBAL__N_116addr_kernel_cudaERNS_14TensorIteratorERKN3c106ScalarES8_EUlbbbE0_St5arrayIPcLm4EEEEviT0_T1_.has_dyn_sized_stack, 0
	.set _ZN2at6native29vectorized_elementwise_kernelILi8EZNS0_12_GLOBAL__N_116addr_kernel_cudaERNS_14TensorIteratorERKN3c106ScalarES8_EUlbbbE0_St5arrayIPcLm4EEEEviT0_T1_.has_recursion, 0
	.set _ZN2at6native29vectorized_elementwise_kernelILi8EZNS0_12_GLOBAL__N_116addr_kernel_cudaERNS_14TensorIteratorERKN3c106ScalarES8_EUlbbbE0_St5arrayIPcLm4EEEEviT0_T1_.has_indirect_call, 0
	.section	.AMDGPU.csdata,"",@progbits
; Kernel info:
; codeLenInByte = 5944
; TotalNumSgprs: 61
; NumVgprs: 46
; ScratchSize: 0
; MemoryBound: 0
; FloatMode: 240
; IeeeMode: 1
; LDSByteSize: 0 bytes/workgroup (compile time only)
; SGPRBlocks: 0
; VGPRBlocks: 2
; NumSGPRsForWavesPerEU: 61
; NumVGPRsForWavesPerEU: 46
; NamedBarCnt: 0
; Occupancy: 16
; WaveLimiterHint : 1
; COMPUTE_PGM_RSRC2:SCRATCH_EN: 0
; COMPUTE_PGM_RSRC2:USER_SGPR: 2
; COMPUTE_PGM_RSRC2:TRAP_HANDLER: 0
; COMPUTE_PGM_RSRC2:TGID_X_EN: 1
; COMPUTE_PGM_RSRC2:TGID_Y_EN: 0
; COMPUTE_PGM_RSRC2:TGID_Z_EN: 0
; COMPUTE_PGM_RSRC2:TIDIG_COMP_CNT: 0
	.section	.text._ZN2at6native29vectorized_elementwise_kernelILi4EZNS0_12_GLOBAL__N_116addr_kernel_cudaERNS_14TensorIteratorERKN3c106ScalarES8_EUlbbbE0_St5arrayIPcLm4EEEEviT0_T1_,"axG",@progbits,_ZN2at6native29vectorized_elementwise_kernelILi4EZNS0_12_GLOBAL__N_116addr_kernel_cudaERNS_14TensorIteratorERKN3c106ScalarES8_EUlbbbE0_St5arrayIPcLm4EEEEviT0_T1_,comdat
	.globl	_ZN2at6native29vectorized_elementwise_kernelILi4EZNS0_12_GLOBAL__N_116addr_kernel_cudaERNS_14TensorIteratorERKN3c106ScalarES8_EUlbbbE0_St5arrayIPcLm4EEEEviT0_T1_ ; -- Begin function _ZN2at6native29vectorized_elementwise_kernelILi4EZNS0_12_GLOBAL__N_116addr_kernel_cudaERNS_14TensorIteratorERKN3c106ScalarES8_EUlbbbE0_St5arrayIPcLm4EEEEviT0_T1_
	.p2align	8
	.type	_ZN2at6native29vectorized_elementwise_kernelILi4EZNS0_12_GLOBAL__N_116addr_kernel_cudaERNS_14TensorIteratorERKN3c106ScalarES8_EUlbbbE0_St5arrayIPcLm4EEEEviT0_T1_,@function
_ZN2at6native29vectorized_elementwise_kernelILi4EZNS0_12_GLOBAL__N_116addr_kernel_cudaERNS_14TensorIteratorERKN3c106ScalarES8_EUlbbbE0_St5arrayIPcLm4EEEEviT0_T1_: ; @_ZN2at6native29vectorized_elementwise_kernelILi4EZNS0_12_GLOBAL__N_116addr_kernel_cudaERNS_14TensorIteratorERKN3c106ScalarES8_EUlbbbE0_St5arrayIPcLm4EEEEviT0_T1_
; %bb.0:
	v_mov_b32_e32 v1, 0
	s_clause 0x1
	s_load_b32 s2, s[0:1], 0x0
	s_load_b256 s[44:51], s[0:1], 0x8
	s_getreg_b32 s3, hwreg(HW_REG_IB_STS2, 6, 4)
	global_load_u16 v1, v1, s[0:1] offset:4
	s_wait_xcnt 0x0
	s_bfe_u32 s0, ttmp6, 0x4000c
	s_and_b32 s1, ttmp6, 15
	s_add_co_i32 s0, s0, 1
	s_delay_alu instid0(SALU_CYCLE_1) | instskip(NEXT) | instid1(SALU_CYCLE_1)
	s_mul_i32 s0, ttmp9, s0
	s_add_co_i32 s1, s1, s0
	s_cmp_eq_u32 s3, 0
	s_cselect_b32 s0, ttmp9, s1
	s_delay_alu instid0(SALU_CYCLE_1) | instskip(SKIP_3) | instid1(SALU_CYCLE_1)
	s_lshl_b32 s52, s0, 12
	s_mov_b32 s0, -1
	s_wait_kmcnt 0x0
	s_sub_co_i32 s54, s2, s52
	s_cmp_gt_i32 s54, 0xfff
	s_wait_loadcnt 0x0
	v_readfirstlane_b32 s43, v1
	s_cbranch_scc0 .LBB10_2
; %bb.1:
	s_ashr_i32 s53, s52, 31
	s_bitcmp1_b32 s43, 0
	s_add_nc_u64 s[0:1], s[46:47], s[52:53]
	s_cselect_b32 s55, -1, 0
	s_clause 0x3
	global_load_b32 v1, v0, s[0:1] scale_offset
	global_load_b32 v2, v0, s[0:1] offset:1024 scale_offset
	global_load_b32 v3, v0, s[0:1] offset:2048 scale_offset
	;; [unrolled: 1-line block ×3, first 2 shown]
	s_wait_xcnt 0x0
	s_add_nc_u64 s[0:1], s[48:49], s[52:53]
	s_clause 0x3
	global_load_b32 v5, v0, s[0:1] scale_offset
	global_load_b32 v6, v0, s[0:1] offset:1024 scale_offset
	global_load_b32 v7, v0, s[0:1] offset:2048 scale_offset
	;; [unrolled: 1-line block ×3, first 2 shown]
	s_wait_xcnt 0x0
	s_add_nc_u64 s[0:1], s[50:51], s[52:53]
	s_clause 0x3
	global_load_b32 v9, v0, s[0:1] scale_offset
	global_load_b32 v10, v0, s[0:1] offset:1024 scale_offset
	global_load_b32 v11, v0, s[0:1] offset:2048 scale_offset
	;; [unrolled: 1-line block ×3, first 2 shown]
	s_wait_loadcnt 0xb
	v_and_b32_e32 v13, 0xff, v1
	v_and_b32_e32 v14, 0xff00, v1
	;; [unrolled: 1-line block ×3, first 2 shown]
	v_cmp_lt_u32_e32 vcc_lo, 0xffffff, v1
	s_wait_loadcnt 0xa
	v_and_b32_e32 v1, 0xff, v2
	v_and_b32_e32 v16, 0xff00, v2
	;; [unrolled: 1-line block ×3, first 2 shown]
	s_wait_xcnt 0x0
	v_cmp_lt_u32_e64 s0, 0xffffff, v2
	s_wait_loadcnt 0x9
	v_and_b32_e32 v2, 0xff, v3
	v_and_b32_e32 v18, 0xff00, v3
	;; [unrolled: 1-line block ×3, first 2 shown]
	v_cmp_lt_u32_e64 s1, 0xffffff, v3
	s_wait_loadcnt 0x8
	v_and_b32_e32 v3, 0xff, v4
	v_and_b32_e32 v20, 0xff00, v4
	v_and_b32_e32 v21, 0xff0000, v4
	v_cmp_lt_u32_e64 s2, 0xffffff, v4
	s_wait_loadcnt 0x7
	v_and_b32_e32 v4, 0xff, v5
	s_wait_loadcnt 0x6
	v_and_b32_e32 v24, 0xff, v6
	v_and_b32_e32 v25, 0xff00, v6
	v_and_b32_e32 v26, 0xff0000, v6
	s_wait_loadcnt 0x4
	v_and_b32_e32 v30, 0xff, v8
	v_and_b32_e32 v31, 0xff00, v8
	;; [unrolled: 1-line block ×3, first 2 shown]
	s_wait_loadcnt 0x2
	v_min_u32_e32 v6, v6, v10
	s_wait_loadcnt 0x0
	v_min_u32_e32 v8, v8, v12
	v_cmp_ne_u32_e64 s3, 0, v13
	v_and_b32_e32 v22, 0xff00, v5
	v_and_b32_e32 v27, 0xff, v7
	;; [unrolled: 1-line block ×7, first 2 shown]
	v_cmp_ne_u32_e64 s15, 0, v4
	v_cmp_lt_u32_e64 s41, 0xffffff, v6
	s_and_b32 s56, s3, s55
	v_cmp_lt_u32_e64 s3, 0xffffff, v8
	v_and_b32_e32 v29, 0xff0000, v7
	v_and_b32_e32 v35, 0xff0000, v9
	;; [unrolled: 1-line block ×3, first 2 shown]
	v_min_u32_e32 v7, v7, v11
	s_bitcmp1_b32 s43, 8
	v_min_u32_e32 v5, v5, v9
	v_cmp_ne_u32_e64 s16, 0, v22
	v_cmp_ne_u32_e64 s21, 0, v27
	;; [unrolled: 1-line block ×3, first 2 shown]
	v_and_b32_e32 v36, 0xff, v10
	v_and_b32_e32 v41, 0xff0000, v11
	s_cselect_b32 s57, -1, 0
	v_cmp_ne_u32_e64 s4, 0, v14
	v_cmp_ne_u32_e64 s9, 0, v2
	;; [unrolled: 1-line block ×6, first 2 shown]
	v_and_b32_e32 v42, 0xff, v12
	s_and_b32 s0, s0, s55
	s_and_b32 s2, s2, s55
	;; [unrolled: 1-line block ×5, first 2 shown]
	v_and_b32_e32 v37, 0xff00, v10
	v_cmp_ne_u32_e64 s5, 0, v15
	v_cmp_ne_u32_e64 s10, 0, v18
	;; [unrolled: 1-line block ×6, first 2 shown]
	v_cmp_lt_u32_e64 s42, 0xffffff, v7
	v_cmp_lt_u32_e64 s40, 0xffffff, v5
	s_and_b32 s16, s16, s57
	s_and_b32 s21, s21, s57
	;; [unrolled: 1-line block ×3, first 2 shown]
	s_or_b32 s0, s0, s41
	s_or_b32 s2, s2, s3
	v_and_b32_e32 v38, 0xff0000, v10
	v_and_b32_e32 v43, 0xff00, v12
	v_cmp_ne_u32_e64 s6, 0, v1
	v_cmp_ne_u32_e64 s11, 0, v19
	;; [unrolled: 1-line block ×6, first 2 shown]
	s_and_b32 s4, s4, s55
	s_and_b32 s9, s9, s55
	;; [unrolled: 1-line block ×5, first 2 shown]
	v_cndmask_b32_e64 v2, 0, 0x1000000, s0
	s_and_b32 s0, s21, s34
	v_cndmask_b32_e64 v4, 0, 0x1000000, s2
	s_or_b32 s2, s56, s15
	v_and_b32_e32 v44, 0xff0000, v12
	v_cmp_ne_u32_e64 s12, 0, v3
	v_cmp_ne_u32_e64 s37, 0, v42
	;; [unrolled: 1-line block ×6, first 2 shown]
	s_and_b32 s5, s5, s55
	s_and_b32 s10, s10, s55
	;; [unrolled: 1-line block ×8, first 2 shown]
	v_cndmask_b32_e64 v5, 0, 1, s2
	s_or_b32 s2, s4, s16
	s_or_b32 s0, s9, s0
	s_and_b32 s58, vcc_lo, s55
	s_and_b32 s40, s40, s57
	v_cmp_ne_u32_e64 s8, 0, v17
	v_cmp_ne_u32_e64 s13, 0, v20
	;; [unrolled: 1-line block ×5, first 2 shown]
	s_and_b32 s6, s6, s55
	s_and_b32 s11, s11, s55
	;; [unrolled: 1-line block ×5, first 2 shown]
	s_or_b32 s1, s1, s42
	v_cndmask_b32_e64 v6, 0, 0x100, s2
	s_or_b32 s2, s5, s17
	v_cndmask_b32_e64 v11, 0, 1, s0
	s_or_b32 s0, s10, s21
	s_and_b32 s19, s19, s57
	s_or_b32 s27, s58, s40
	v_cmp_ne_u32_e64 s14, 0, v21
	v_cmp_ne_u32_e64 s39, 0, v44
	s_and_b32 s12, s12, s55
	v_cndmask_b32_e64 v3, 0, 0x1000000, s1
	s_and_b32 s1, s24, s37
	v_cndmask_b32_e64 v7, 0, 0x10000, s2
	s_or_b32 s2, s6, s18
	v_cndmask_b32_e64 v12, 0, 0x100, s0
	s_or_b32 s0, s11, s22
	s_and_b32 s7, s7, s55
	s_and_b32 s20, s20, s57
	;; [unrolled: 1-line block ×3, first 2 shown]
	v_cndmask_b32_e64 v1, 0, 0x1000000, s27
	s_and_b32 s19, s19, s31
	v_cndmask_b32_e64 v8, 0, 1, s2
	v_cndmask_b32_e64 v13, 0, 0x10000, s0
	s_or_b32 s0, s12, s1
	s_and_b32 s8, s8, s55
	s_and_b32 s13, s13, s55
	;; [unrolled: 1-line block ×5, first 2 shown]
	s_or_b32 s2, s7, s19
	v_cndmask_b32_e64 v14, 0, 1, s0
	s_and_b32 s14, s14, s55
	s_and_b32 s24, s26, s39
	v_cndmask_b32_e64 v9, 0, 0x100, s2
	s_or_b32 s2, s8, s20
	s_or_b32 s0, s13, s23
	v_or_b32_e32 v1, v1, v5
	v_cndmask_b32_e64 v10, 0, 0x10000, s2
	v_cndmask_b32_e64 v15, 0, 0x100, s0
	s_or_b32 s0, s14, s24
	v_or_b32_e32 v2, v2, v8
	v_or_b32_e32 v3, v3, v11
	v_cndmask_b32_e64 v16, 0, 0x10000, s0
	v_or_b32_e32 v4, v4, v14
	v_or3_b32 v1, v1, v6, v7
	v_or3_b32 v2, v2, v9, v10
	;; [unrolled: 1-line block ×3, first 2 shown]
	s_add_nc_u64 s[2:3], s[44:45], s[52:53]
	v_or3_b32 v4, v4, v15, v16
	s_mov_b32 s0, 0
	s_clause 0x3
	global_store_b32 v0, v1, s[2:3] scale_offset
	global_store_b32 v0, v2, s[2:3] offset:1024 scale_offset
	global_store_b32 v0, v3, s[2:3] offset:2048 scale_offset
	;; [unrolled: 1-line block ×3, first 2 shown]
.LBB10_2:
	s_and_not1_b32 vcc_lo, exec_lo, s0
	s_cbranch_vccnz .LBB10_53
; %bb.3:
	v_cmp_gt_i32_e32 vcc_lo, s54, v0
	s_wait_xcnt 0x2
	v_dual_mov_b32 v1, 0 :: v_dual_bitop2_b32 v2, s52, v0 bitop3:0x54
	s_wait_xcnt 0x1
	v_or_b32_e32 v3, 0x100, v0
	v_dual_mov_b32 v5, 0 :: v_dual_mov_b32 v6, 0
	v_mov_b32_e32 v11, v0
	s_wait_xcnt 0x0
	s_mov_b32 s2, 0
	s_mov_b32 s4, 0
	s_and_saveexec_b32 s3, vcc_lo
	s_cbranch_execz .LBB10_5
; %bb.4:
	s_clause 0x2
	global_load_u8 v4, v2, s[46:47]
	global_load_u8 v6, v2, s[50:51]
	;; [unrolled: 1-line block ×3, first 2 shown]
	v_or_b32_e32 v11, 0x100, v0
	s_wait_loadcnt 0x2
	v_cmp_ne_u16_e64 s0, 0, v4
	s_wait_loadcnt 0x0
	v_cmp_ne_u16_e64 s1, 0, v7
	s_delay_alu instid0(VALU_DEP_2) | instskip(SKIP_1) | instid1(VALU_DEP_3)
	v_cndmask_b32_e64 v5, 0, 1, s0
	v_cmp_ne_u16_e64 s0, 0, v6
	v_cndmask_b32_e64 v6, 0, 1, s1
	s_and_b32 s4, s0, exec_lo
.LBB10_5:
	s_wait_xcnt 0x0
	s_or_b32 exec_lo, exec_lo, s3
	v_mov_b32_e32 v7, 0
	s_mov_b32 s3, exec_lo
	v_cmpx_gt_i32_e64 s54, v11
	s_cbranch_execz .LBB10_7
; %bb.6:
	v_add_nc_u32_e32 v1, s52, v11
	v_add_nc_u32_e32 v11, 0x100, v11
	s_clause 0x2
	global_load_u8 v4, v1, s[46:47]
	global_load_u8 v7, v1, s[50:51]
	global_load_u8 v8, v1, s[48:49]
	s_wait_loadcnt 0x2
	v_cmp_ne_u16_e64 s0, 0, v4
	s_wait_loadcnt 0x0
	v_cmp_ne_u16_e64 s1, 0, v8
	s_wait_xcnt 0x0
	s_delay_alu instid0(VALU_DEP_2) | instskip(SKIP_1) | instid1(VALU_DEP_3)
	v_cndmask_b32_e64 v1, 0, 1, s0
	v_cmp_ne_u16_e64 s0, 0, v7
	v_cndmask_b32_e64 v7, 0, 1, s1
	s_and_b32 s2, s0, exec_lo
.LBB10_7:
	s_or_b32 exec_lo, exec_lo, s3
	v_dual_mov_b32 v4, 0 :: v_dual_mov_b32 v9, 0
	v_mov_b32_e32 v10, 0
	s_mov_b32 s3, 0
	s_mov_b32 s5, 0
	s_mov_b32 s6, exec_lo
	v_cmpx_gt_i32_e64 s54, v11
	s_cbranch_execz .LBB10_9
; %bb.8:
	v_add_nc_u32_e32 v8, s52, v11
	v_add_nc_u32_e32 v11, 0x100, v11
	s_clause 0x2
	global_load_u8 v9, v8, s[46:47]
	global_load_u8 v10, v8, s[50:51]
	global_load_u8 v12, v8, s[48:49]
	s_wait_loadcnt 0x2
	v_cmp_ne_u16_e64 s0, 0, v9
	s_wait_loadcnt 0x0
	v_cmp_ne_u16_e64 s1, 0, v12
	s_delay_alu instid0(VALU_DEP_2) | instskip(SKIP_1) | instid1(VALU_DEP_3)
	v_cndmask_b32_e64 v9, 0, 1, s0
	v_cmp_ne_u16_e64 s0, 0, v10
	v_cndmask_b32_e64 v10, 0, 1, s1
	s_and_b32 s5, s0, exec_lo
.LBB10_9:
	s_wait_xcnt 0x0
	s_or_b32 exec_lo, exec_lo, s6
	v_mov_b32_e32 v12, 0
	s_mov_b32 s6, exec_lo
	v_cmpx_gt_i32_e64 s54, v11
	s_cbranch_execz .LBB10_11
; %bb.10:
	v_add_nc_u32_e32 v4, s52, v11
	v_add_nc_u32_e32 v11, 0x100, v11
	s_clause 0x2
	global_load_u8 v8, v4, s[46:47]
	global_load_u8 v12, v4, s[50:51]
	global_load_u8 v13, v4, s[48:49]
	s_wait_loadcnt 0x2
	v_cmp_ne_u16_e64 s0, 0, v8
	s_wait_loadcnt 0x0
	v_cmp_ne_u16_e64 s1, 0, v13
	s_wait_xcnt 0x0
	s_delay_alu instid0(VALU_DEP_2) | instskip(SKIP_1) | instid1(VALU_DEP_3)
	v_cndmask_b32_e64 v4, 0, 1, s0
	v_cmp_ne_u16_e64 s0, 0, v12
	v_cndmask_b32_e64 v12, 0, 1, s1
	s_and_b32 s3, s0, exec_lo
.LBB10_11:
	s_or_b32 exec_lo, exec_lo, s6
	v_dual_mov_b32 v8, 0 :: v_dual_mov_b32 v14, 0
	v_mov_b32_e32 v15, 0
	s_mov_b32 s6, 0
	s_mov_b32 s7, 0
	s_mov_b32 s8, exec_lo
	v_cmpx_gt_i32_e64 s54, v11
	s_cbranch_execz .LBB10_13
; %bb.12:
	v_add_nc_u32_e32 v13, s52, v11
	v_add_nc_u32_e32 v11, 0x100, v11
	s_clause 0x2
	global_load_u8 v14, v13, s[46:47]
	global_load_u8 v15, v13, s[50:51]
	global_load_u8 v16, v13, s[48:49]
	s_wait_loadcnt 0x2
	v_cmp_ne_u16_e64 s0, 0, v14
	s_wait_loadcnt 0x0
	v_cmp_ne_u16_e64 s1, 0, v16
	s_delay_alu instid0(VALU_DEP_2) | instskip(SKIP_1) | instid1(VALU_DEP_3)
	v_cndmask_b32_e64 v14, 0, 1, s0
	v_cmp_ne_u16_e64 s0, 0, v15
	v_cndmask_b32_e64 v15, 0, 1, s1
	s_and_b32 s7, s0, exec_lo
.LBB10_13:
	;; [unrolled: 49-line block ×5, first 2 shown]
	s_wait_xcnt 0x0
	s_or_b32 exec_lo, exec_lo, s14
	v_mov_b32_e32 v28, 0
	s_mov_b32 s14, exec_lo
	v_cmpx_gt_i32_e64 s54, v11
	s_cbranch_execz .LBB10_27
; %bb.26:
	v_add_nc_u32_e32 v21, s52, v11
	v_add_nc_u32_e32 v11, 0x100, v11
	s_clause 0x2
	global_load_u8 v25, v21, s[46:47]
	global_load_u8 v28, v21, s[50:51]
	;; [unrolled: 1-line block ×3, first 2 shown]
	s_wait_loadcnt 0x2
	v_cmp_ne_u16_e64 s0, 0, v25
	s_wait_loadcnt 0x0
	v_cmp_ne_u16_e64 s1, 0, v29
	s_wait_xcnt 0x0
	s_delay_alu instid0(VALU_DEP_2) | instskip(SKIP_1) | instid1(VALU_DEP_3)
	v_cndmask_b32_e64 v21, 0, 1, s0
	v_cmp_ne_u16_e64 s0, 0, v28
	v_cndmask_b32_e64 v28, 0, 1, s1
	s_and_b32 s12, s0, exec_lo
.LBB10_27:
	s_or_b32 exec_lo, exec_lo, s14
	v_dual_mov_b32 v25, 0 :: v_dual_mov_b32 v29, 0
	v_mov_b32_e32 v30, 0
	s_mov_b32 s14, 0
	s_mov_b32 s15, 0
	s_mov_b32 s16, exec_lo
	v_cmpx_gt_i32_e64 s54, v11
	s_cbranch_execz .LBB10_29
; %bb.28:
	v_add_nc_u32_e32 v29, s52, v11
	v_add_nc_u32_e32 v11, 0x100, v11
	s_clause 0x2
	global_load_u8 v30, v29, s[46:47]
	global_load_u8 v31, v29, s[50:51]
	;; [unrolled: 1-line block ×3, first 2 shown]
	s_wait_loadcnt 0x2
	v_cmp_ne_u16_e64 s0, 0, v30
	s_wait_loadcnt 0x0
	v_cmp_ne_u16_e64 s1, 0, v32
	s_wait_xcnt 0x0
	s_delay_alu instid0(VALU_DEP_2) | instskip(SKIP_1) | instid1(VALU_DEP_3)
	v_cndmask_b32_e64 v29, 0, 1, s0
	v_cmp_ne_u16_e64 s0, 0, v31
	v_cndmask_b32_e64 v30, 0, 1, s1
	s_and_b32 s15, s0, exec_lo
.LBB10_29:
	s_or_b32 exec_lo, exec_lo, s16
	v_mov_b32_e32 v32, 0
	s_mov_b32 s16, exec_lo
	v_cmpx_gt_i32_e64 s54, v11
	s_cbranch_execz .LBB10_31
; %bb.30:
	v_add_nc_u32_e32 v25, s52, v11
	v_add_nc_u32_e32 v11, 0x100, v11
	s_clause 0x2
	global_load_u8 v31, v25, s[46:47]
	global_load_u8 v32, v25, s[50:51]
	;; [unrolled: 1-line block ×3, first 2 shown]
	s_wait_loadcnt 0x2
	v_cmp_ne_u16_e64 s0, 0, v31
	s_wait_loadcnt 0x0
	v_cmp_ne_u16_e64 s1, 0, v33
	s_wait_xcnt 0x0
	s_delay_alu instid0(VALU_DEP_2) | instskip(SKIP_1) | instid1(VALU_DEP_3)
	v_cndmask_b32_e64 v25, 0, 1, s0
	v_cmp_ne_u16_e64 s0, 0, v32
	v_cndmask_b32_e64 v32, 0, 1, s1
	s_and_b32 s14, s0, exec_lo
.LBB10_31:
	s_or_b32 exec_lo, exec_lo, s16
	v_dual_mov_b32 v31, 0 :: v_dual_mov_b32 v33, 0
	v_mov_b32_e32 v34, 0
	s_mov_b32 s16, 0
	s_mov_b32 s17, 0
	s_mov_b32 s18, exec_lo
	v_cmpx_gt_i32_e64 s54, v11
	s_cbranch_execz .LBB10_33
; %bb.32:
	v_add_nc_u32_e32 v33, s52, v11
	v_add_nc_u32_e32 v11, 0x100, v11
	s_clause 0x2
	global_load_u8 v34, v33, s[46:47]
	global_load_u8 v35, v33, s[50:51]
	;; [unrolled: 1-line block ×3, first 2 shown]
	s_wait_loadcnt 0x2
	v_cmp_ne_u16_e64 s0, 0, v34
	s_wait_loadcnt 0x0
	v_cmp_ne_u16_e64 s1, 0, v36
	s_wait_xcnt 0x0
	s_delay_alu instid0(VALU_DEP_2) | instskip(SKIP_1) | instid1(VALU_DEP_3)
	v_cndmask_b32_e64 v33, 0, 1, s0
	v_cmp_ne_u16_e64 s0, 0, v35
	v_cndmask_b32_e64 v34, 0, 1, s1
	s_and_b32 s17, s0, exec_lo
.LBB10_33:
	s_or_b32 exec_lo, exec_lo, s18
	v_mov_b32_e32 v35, 0
	s_mov_b32 s18, exec_lo
	v_cmpx_gt_i32_e64 s54, v11
	s_cbranch_execz .LBB10_35
; %bb.34:
	v_add_nc_u32_e32 v11, s52, v11
	s_clause 0x2
	global_load_u8 v31, v11, s[46:47]
	global_load_u8 v35, v11, s[50:51]
	;; [unrolled: 1-line block ×3, first 2 shown]
	s_wait_loadcnt 0x2
	v_cmp_ne_u16_e64 s0, 0, v31
	s_wait_loadcnt 0x0
	v_cmp_ne_u16_e64 s1, 0, v36
	s_delay_alu instid0(VALU_DEP_2) | instskip(SKIP_1) | instid1(VALU_DEP_3)
	v_cndmask_b32_e64 v31, 0, 1, s0
	v_cmp_ne_u16_e64 s0, 0, v35
	v_cndmask_b32_e64 v35, 0, 1, s1
	s_and_b32 s16, s0, exec_lo
.LBB10_35:
	s_wait_xcnt 0x0
	s_or_b32 exec_lo, exec_lo, s18
	s_and_saveexec_b32 s1, vcc_lo
	s_cbranch_execz .LBB10_37
; %bb.36:
	v_and_b32_e32 v0, s43, v5
	s_and_b32 s0, 0xffff, s43
	s_delay_alu instid0(SALU_CYCLE_1) | instskip(NEXT) | instid1(SALU_CYCLE_1)
	s_lshr_b32 s0, s0, 8
	v_and_b32_e32 v5, s0, v6
	s_delay_alu instid0(VALU_DEP_2) | instskip(NEXT) | instid1(VALU_DEP_1)
	v_and_b32_e32 v0, 1, v0
	v_cmp_eq_u32_e64 s0, 1, v0
	v_mov_b32_e32 v0, v3
	s_delay_alu instid0(VALU_DEP_4) | instskip(SKIP_1) | instid1(SALU_CYCLE_1)
	v_cmp_ne_u16_e32 vcc_lo, 0, v5
	s_and_b32 s4, s4, vcc_lo
	s_or_b32 s0, s0, s4
	s_delay_alu instid0(SALU_CYCLE_1)
	v_cndmask_b32_e64 v5, 0, 1, s0
	global_store_b8 v2, v5, s[44:45]
.LBB10_37:
	s_wait_xcnt 0x0
	s_or_b32 exec_lo, exec_lo, s1
	s_and_b32 s0, 0xffff, s43
	s_mov_b32 s4, exec_lo
	s_lshr_b32 s1, s0, 8
	v_cmpx_gt_i32_e64 s54, v0
	s_cbranch_execnz .LBB10_54
; %bb.38:
	s_or_b32 exec_lo, exec_lo, s4
	s_delay_alu instid0(SALU_CYCLE_1)
	s_mov_b32 s2, exec_lo
	v_cmpx_gt_i32_e64 s54, v0
	s_cbranch_execnz .LBB10_55
.LBB10_39:
	s_or_b32 exec_lo, exec_lo, s2
	s_delay_alu instid0(SALU_CYCLE_1)
	s_mov_b32 s2, exec_lo
	v_cmpx_gt_i32_e64 s54, v0
	s_cbranch_execnz .LBB10_56
.LBB10_40:
	s_or_b32 exec_lo, exec_lo, s2
	s_delay_alu instid0(SALU_CYCLE_1)
	s_mov_b32 s2, exec_lo
	v_cmpx_gt_i32_e64 s54, v0
	s_cbranch_execnz .LBB10_57
.LBB10_41:
	s_or_b32 exec_lo, exec_lo, s2
	s_delay_alu instid0(SALU_CYCLE_1)
	s_mov_b32 s2, exec_lo
	v_cmpx_gt_i32_e64 s54, v0
	s_cbranch_execnz .LBB10_58
.LBB10_42:
	s_or_b32 exec_lo, exec_lo, s2
	s_delay_alu instid0(SALU_CYCLE_1)
	s_mov_b32 s2, exec_lo
	v_cmpx_gt_i32_e64 s54, v0
	s_cbranch_execnz .LBB10_59
.LBB10_43:
	s_or_b32 exec_lo, exec_lo, s2
	s_delay_alu instid0(SALU_CYCLE_1)
	s_mov_b32 s2, exec_lo
	v_cmpx_gt_i32_e64 s54, v0
	s_cbranch_execnz .LBB10_60
.LBB10_44:
	s_or_b32 exec_lo, exec_lo, s2
	s_delay_alu instid0(SALU_CYCLE_1)
	s_mov_b32 s2, exec_lo
	v_cmpx_gt_i32_e64 s54, v0
	s_cbranch_execnz .LBB10_61
.LBB10_45:
	s_or_b32 exec_lo, exec_lo, s2
	s_delay_alu instid0(SALU_CYCLE_1)
	s_mov_b32 s2, exec_lo
	v_cmpx_gt_i32_e64 s54, v0
	s_cbranch_execnz .LBB10_62
.LBB10_46:
	s_or_b32 exec_lo, exec_lo, s2
	s_delay_alu instid0(SALU_CYCLE_1)
	s_mov_b32 s2, exec_lo
	v_cmpx_gt_i32_e64 s54, v0
	s_cbranch_execnz .LBB10_63
.LBB10_47:
	s_or_b32 exec_lo, exec_lo, s2
	s_delay_alu instid0(SALU_CYCLE_1)
	s_mov_b32 s2, exec_lo
	v_cmpx_gt_i32_e64 s54, v0
	s_cbranch_execnz .LBB10_64
.LBB10_48:
	s_or_b32 exec_lo, exec_lo, s2
	s_delay_alu instid0(SALU_CYCLE_1)
	s_mov_b32 s2, exec_lo
	v_cmpx_gt_i32_e64 s54, v0
	s_cbranch_execnz .LBB10_65
.LBB10_49:
	s_or_b32 exec_lo, exec_lo, s2
	s_delay_alu instid0(SALU_CYCLE_1)
	s_mov_b32 s2, exec_lo
	v_cmpx_gt_i32_e64 s54, v0
	s_cbranch_execnz .LBB10_66
.LBB10_50:
	s_or_b32 exec_lo, exec_lo, s2
	s_delay_alu instid0(SALU_CYCLE_1)
	s_mov_b32 s2, exec_lo
	v_cmpx_gt_i32_e64 s54, v0
	s_cbranch_execnz .LBB10_67
.LBB10_51:
	s_or_b32 exec_lo, exec_lo, s2
	s_delay_alu instid0(SALU_CYCLE_1)
	s_mov_b32 s0, exec_lo
	v_cmpx_gt_i32_e64 s54, v0
	s_cbranch_execz .LBB10_53
.LBB10_52:
	v_dual_add_nc_u32 v0, s52, v0 :: v_dual_bitop2_b32 v1, s43, v31 bitop3:0x40
	v_and_b32_e32 v2, s1, v35
	s_delay_alu instid0(VALU_DEP_2) | instskip(NEXT) | instid1(VALU_DEP_2)
	v_and_b32_e32 v1, 1, v1
	v_cmp_ne_u16_e32 vcc_lo, 0, v2
	s_delay_alu instid0(VALU_DEP_2) | instskip(SKIP_1) | instid1(SALU_CYCLE_1)
	v_cmp_eq_u32_e64 s0, 1, v1
	s_and_b32 s1, s16, vcc_lo
	s_or_b32 s0, s0, s1
	s_delay_alu instid0(SALU_CYCLE_1)
	v_cndmask_b32_e64 v1, 0, 1, s0
	global_store_b8 v0, v1, s[44:45]
.LBB10_53:
	s_endpgm
.LBB10_54:
	v_and_b32_e32 v2, s1, v7
	v_and_b32_e32 v1, s43, v1
	s_delay_alu instid0(VALU_DEP_2) | instskip(NEXT) | instid1(VALU_DEP_1)
	v_and_b32_e32 v2, 0xff, v2
	v_cmp_ne_u16_e32 vcc_lo, 0, v2
	s_delay_alu instid0(VALU_DEP_3) | instskip(SKIP_2) | instid1(VALU_DEP_2)
	v_dual_add_nc_u32 v2, s52, v0 :: v_dual_bitop2_b32 v1, 1, v1 bitop3:0x40
	v_add_nc_u32_e32 v0, 0x100, v0
	s_and_b32 s2, s2, vcc_lo
	v_cmp_eq_u32_e64 s0, 1, v1
	s_or_b32 s0, s0, s2
	s_delay_alu instid0(SALU_CYCLE_1) | instskip(SKIP_3) | instid1(SALU_CYCLE_1)
	v_cndmask_b32_e64 v1, 0, 1, s0
	global_store_b8 v2, v1, s[44:45]
	s_wait_xcnt 0x0
	s_or_b32 exec_lo, exec_lo, s4
	s_mov_b32 s2, exec_lo
	v_cmpx_gt_i32_e64 s54, v0
	s_cbranch_execz .LBB10_39
.LBB10_55:
	v_and_b32_e32 v2, s43, v9
	v_and_b32_e32 v1, s1, v10
	s_delay_alu instid0(VALU_DEP_2) | instskip(NEXT) | instid1(VALU_DEP_1)
	v_and_b32_e32 v2, 1, v2
	v_cmp_eq_u32_e64 s0, 1, v2
	v_add_nc_u32_e32 v2, s52, v0
	s_delay_alu instid0(VALU_DEP_4) | instskip(SKIP_1) | instid1(VALU_DEP_2)
	v_and_b32_e32 v1, 0xff, v1
	v_add_nc_u32_e32 v0, 0x100, v0
	v_cmp_ne_u16_e32 vcc_lo, 0, v1
	s_and_b32 s4, s5, vcc_lo
	s_delay_alu instid0(SALU_CYCLE_1) | instskip(NEXT) | instid1(SALU_CYCLE_1)
	s_or_b32 s0, s0, s4
	v_cndmask_b32_e64 v1, 0, 1, s0
	global_store_b8 v2, v1, s[44:45]
	s_wait_xcnt 0x0
	s_or_b32 exec_lo, exec_lo, s2
	s_delay_alu instid0(SALU_CYCLE_1)
	s_mov_b32 s2, exec_lo
	v_cmpx_gt_i32_e64 s54, v0
	s_cbranch_execz .LBB10_40
.LBB10_56:
	v_and_b32_e32 v1, s1, v12
	v_and_b32_e32 v2, s43, v4
	s_delay_alu instid0(VALU_DEP_2) | instskip(NEXT) | instid1(VALU_DEP_2)
	v_and_b32_e32 v1, 0xff, v1
	v_and_b32_e32 v2, 1, v2
	s_delay_alu instid0(VALU_DEP_2) | instskip(NEXT) | instid1(VALU_DEP_2)
	v_cmp_ne_u16_e32 vcc_lo, 0, v1
	v_cmp_eq_u32_e64 s0, 1, v2
	v_add_nc_u32_e32 v2, s52, v0
	v_add_nc_u32_e32 v0, 0x100, v0
	s_and_b32 s3, s3, vcc_lo
	s_delay_alu instid0(SALU_CYCLE_1) | instskip(NEXT) | instid1(SALU_CYCLE_1)
	s_or_b32 s0, s0, s3
	v_cndmask_b32_e64 v1, 0, 1, s0
	global_store_b8 v2, v1, s[44:45]
	s_wait_xcnt 0x0
	s_or_b32 exec_lo, exec_lo, s2
	s_delay_alu instid0(SALU_CYCLE_1)
	s_mov_b32 s2, exec_lo
	v_cmpx_gt_i32_e64 s54, v0
	s_cbranch_execz .LBB10_41
.LBB10_57:
	v_and_b32_e32 v2, s43, v14
	v_and_b32_e32 v1, s1, v15
	s_delay_alu instid0(VALU_DEP_2) | instskip(NEXT) | instid1(VALU_DEP_1)
	v_and_b32_e32 v2, 1, v2
	v_cmp_eq_u32_e64 s0, 1, v2
	v_add_nc_u32_e32 v2, s52, v0
	s_delay_alu instid0(VALU_DEP_4) | instskip(SKIP_1) | instid1(VALU_DEP_2)
	v_and_b32_e32 v1, 0xff, v1
	v_add_nc_u32_e32 v0, 0x100, v0
	v_cmp_ne_u16_e32 vcc_lo, 0, v1
	s_and_b32 s3, s7, vcc_lo
	s_delay_alu instid0(SALU_CYCLE_1) | instskip(NEXT) | instid1(SALU_CYCLE_1)
	s_or_b32 s0, s0, s3
	v_cndmask_b32_e64 v1, 0, 1, s0
	global_store_b8 v2, v1, s[44:45]
	s_wait_xcnt 0x0
	s_or_b32 exec_lo, exec_lo, s2
	s_delay_alu instid0(SALU_CYCLE_1)
	s_mov_b32 s2, exec_lo
	v_cmpx_gt_i32_e64 s54, v0
	s_cbranch_execz .LBB10_42
.LBB10_58:
	v_and_b32_e32 v1, s1, v16
	v_and_b32_e32 v2, s43, v8
	s_delay_alu instid0(VALU_DEP_2) | instskip(NEXT) | instid1(VALU_DEP_2)
	v_and_b32_e32 v1, 0xff, v1
	v_and_b32_e32 v2, 1, v2
	s_delay_alu instid0(VALU_DEP_2) | instskip(NEXT) | instid1(VALU_DEP_2)
	v_cmp_ne_u16_e32 vcc_lo, 0, v1
	v_cmp_eq_u32_e64 s0, 1, v2
	v_add_nc_u32_e32 v2, s52, v0
	v_add_nc_u32_e32 v0, 0x100, v0
	s_and_b32 s3, s6, vcc_lo
	s_delay_alu instid0(SALU_CYCLE_1) | instskip(NEXT) | instid1(SALU_CYCLE_1)
	s_or_b32 s0, s0, s3
	v_cndmask_b32_e64 v1, 0, 1, s0
	global_store_b8 v2, v1, s[44:45]
	s_wait_xcnt 0x0
	s_or_b32 exec_lo, exec_lo, s2
	s_delay_alu instid0(SALU_CYCLE_1)
	s_mov_b32 s2, exec_lo
	v_cmpx_gt_i32_e64 s54, v0
	s_cbranch_execz .LBB10_43
.LBB10_59:
	v_and_b32_e32 v2, s43, v18
	v_and_b32_e32 v1, s1, v19
	s_delay_alu instid0(VALU_DEP_2) | instskip(NEXT) | instid1(VALU_DEP_1)
	v_and_b32_e32 v2, 1, v2
	v_cmp_eq_u32_e64 s0, 1, v2
	v_add_nc_u32_e32 v2, s52, v0
	s_delay_alu instid0(VALU_DEP_4) | instskip(SKIP_1) | instid1(VALU_DEP_2)
	v_and_b32_e32 v1, 0xff, v1
	v_add_nc_u32_e32 v0, 0x100, v0
	v_cmp_ne_u16_e32 vcc_lo, 0, v1
	s_and_b32 s3, s9, vcc_lo
	s_delay_alu instid0(SALU_CYCLE_1) | instskip(NEXT) | instid1(SALU_CYCLE_1)
	s_or_b32 s0, s0, s3
	v_cndmask_b32_e64 v1, 0, 1, s0
	global_store_b8 v2, v1, s[44:45]
	s_wait_xcnt 0x0
	s_or_b32 exec_lo, exec_lo, s2
	s_delay_alu instid0(SALU_CYCLE_1)
	s_mov_b32 s2, exec_lo
	v_cmpx_gt_i32_e64 s54, v0
	s_cbranch_execz .LBB10_44
.LBB10_60:
	v_and_b32_e32 v1, s1, v20
	v_and_b32_e32 v2, s43, v13
	s_delay_alu instid0(VALU_DEP_2) | instskip(NEXT) | instid1(VALU_DEP_2)
	v_and_b32_e32 v1, 0xff, v1
	v_and_b32_e32 v2, 1, v2
	s_delay_alu instid0(VALU_DEP_2) | instskip(NEXT) | instid1(VALU_DEP_2)
	v_cmp_ne_u16_e32 vcc_lo, 0, v1
	v_cmp_eq_u32_e64 s0, 1, v2
	v_add_nc_u32_e32 v2, s52, v0
	v_add_nc_u32_e32 v0, 0x100, v0
	s_and_b32 s3, s8, vcc_lo
	s_delay_alu instid0(SALU_CYCLE_1) | instskip(NEXT) | instid1(SALU_CYCLE_1)
	s_or_b32 s0, s0, s3
	v_cndmask_b32_e64 v1, 0, 1, s0
	global_store_b8 v2, v1, s[44:45]
	s_wait_xcnt 0x0
	s_or_b32 exec_lo, exec_lo, s2
	s_delay_alu instid0(SALU_CYCLE_1)
	s_mov_b32 s2, exec_lo
	v_cmpx_gt_i32_e64 s54, v0
	s_cbranch_execz .LBB10_45
.LBB10_61:
	v_and_b32_e32 v2, s43, v22
	v_and_b32_e32 v1, s1, v23
	s_delay_alu instid0(VALU_DEP_2) | instskip(NEXT) | instid1(VALU_DEP_1)
	v_and_b32_e32 v2, 1, v2
	v_cmp_eq_u32_e64 s0, 1, v2
	v_add_nc_u32_e32 v2, s52, v0
	s_delay_alu instid0(VALU_DEP_4) | instskip(SKIP_1) | instid1(VALU_DEP_2)
	v_and_b32_e32 v1, 0xff, v1
	v_add_nc_u32_e32 v0, 0x100, v0
	v_cmp_ne_u16_e32 vcc_lo, 0, v1
	s_and_b32 s3, s11, vcc_lo
	s_delay_alu instid0(SALU_CYCLE_1) | instskip(NEXT) | instid1(SALU_CYCLE_1)
	s_or_b32 s0, s0, s3
	v_cndmask_b32_e64 v1, 0, 1, s0
	global_store_b8 v2, v1, s[44:45]
	s_wait_xcnt 0x0
	s_or_b32 exec_lo, exec_lo, s2
	s_delay_alu instid0(SALU_CYCLE_1)
	s_mov_b32 s2, exec_lo
	v_cmpx_gt_i32_e64 s54, v0
	s_cbranch_execz .LBB10_46
.LBB10_62:
	v_and_b32_e32 v1, s1, v24
	v_and_b32_e32 v2, s43, v17
	s_delay_alu instid0(VALU_DEP_2) | instskip(NEXT) | instid1(VALU_DEP_2)
	v_and_b32_e32 v1, 0xff, v1
	v_and_b32_e32 v2, 1, v2
	s_delay_alu instid0(VALU_DEP_2) | instskip(NEXT) | instid1(VALU_DEP_2)
	v_cmp_ne_u16_e32 vcc_lo, 0, v1
	v_cmp_eq_u32_e64 s0, 1, v2
	v_add_nc_u32_e32 v2, s52, v0
	v_add_nc_u32_e32 v0, 0x100, v0
	s_and_b32 s3, s10, vcc_lo
	s_delay_alu instid0(SALU_CYCLE_1) | instskip(NEXT) | instid1(SALU_CYCLE_1)
	s_or_b32 s0, s0, s3
	v_cndmask_b32_e64 v1, 0, 1, s0
	global_store_b8 v2, v1, s[44:45]
	s_wait_xcnt 0x0
	s_or_b32 exec_lo, exec_lo, s2
	s_delay_alu instid0(SALU_CYCLE_1)
	s_mov_b32 s2, exec_lo
	v_cmpx_gt_i32_e64 s54, v0
	s_cbranch_execz .LBB10_47
.LBB10_63:
	v_and_b32_e32 v2, s43, v26
	v_and_b32_e32 v1, s1, v27
	s_delay_alu instid0(VALU_DEP_2) | instskip(NEXT) | instid1(VALU_DEP_1)
	v_and_b32_e32 v2, 1, v2
	v_cmp_eq_u32_e64 s0, 1, v2
	v_add_nc_u32_e32 v2, s52, v0
	s_delay_alu instid0(VALU_DEP_4) | instskip(SKIP_1) | instid1(VALU_DEP_2)
	v_and_b32_e32 v1, 0xff, v1
	v_add_nc_u32_e32 v0, 0x100, v0
	v_cmp_ne_u16_e32 vcc_lo, 0, v1
	s_and_b32 s3, s13, vcc_lo
	s_delay_alu instid0(SALU_CYCLE_1) | instskip(NEXT) | instid1(SALU_CYCLE_1)
	s_or_b32 s0, s0, s3
	v_cndmask_b32_e64 v1, 0, 1, s0
	global_store_b8 v2, v1, s[44:45]
	s_wait_xcnt 0x0
	s_or_b32 exec_lo, exec_lo, s2
	s_delay_alu instid0(SALU_CYCLE_1)
	s_mov_b32 s2, exec_lo
	v_cmpx_gt_i32_e64 s54, v0
	s_cbranch_execz .LBB10_48
.LBB10_64:
	v_and_b32_e32 v1, s1, v28
	v_and_b32_e32 v2, s43, v21
	s_delay_alu instid0(VALU_DEP_2) | instskip(NEXT) | instid1(VALU_DEP_2)
	v_and_b32_e32 v1, 0xff, v1
	v_and_b32_e32 v2, 1, v2
	s_delay_alu instid0(VALU_DEP_2) | instskip(NEXT) | instid1(VALU_DEP_2)
	v_cmp_ne_u16_e32 vcc_lo, 0, v1
	v_cmp_eq_u32_e64 s0, 1, v2
	v_add_nc_u32_e32 v2, s52, v0
	v_add_nc_u32_e32 v0, 0x100, v0
	s_and_b32 s3, s12, vcc_lo
	s_delay_alu instid0(SALU_CYCLE_1) | instskip(NEXT) | instid1(SALU_CYCLE_1)
	s_or_b32 s0, s0, s3
	v_cndmask_b32_e64 v1, 0, 1, s0
	global_store_b8 v2, v1, s[44:45]
	s_wait_xcnt 0x0
	s_or_b32 exec_lo, exec_lo, s2
	s_delay_alu instid0(SALU_CYCLE_1)
	s_mov_b32 s2, exec_lo
	v_cmpx_gt_i32_e64 s54, v0
	s_cbranch_execz .LBB10_49
.LBB10_65:
	v_and_b32_e32 v2, s43, v29
	v_and_b32_e32 v1, s1, v30
	s_delay_alu instid0(VALU_DEP_2) | instskip(NEXT) | instid1(VALU_DEP_1)
	v_and_b32_e32 v2, 1, v2
	v_cmp_eq_u32_e64 s0, 1, v2
	v_add_nc_u32_e32 v2, s52, v0
	s_delay_alu instid0(VALU_DEP_4) | instskip(SKIP_1) | instid1(VALU_DEP_2)
	v_and_b32_e32 v1, 0xff, v1
	v_add_nc_u32_e32 v0, 0x100, v0
	v_cmp_ne_u16_e32 vcc_lo, 0, v1
	s_and_b32 s3, s15, vcc_lo
	s_delay_alu instid0(SALU_CYCLE_1) | instskip(NEXT) | instid1(SALU_CYCLE_1)
	s_or_b32 s0, s0, s3
	v_cndmask_b32_e64 v1, 0, 1, s0
	global_store_b8 v2, v1, s[44:45]
	s_wait_xcnt 0x0
	s_or_b32 exec_lo, exec_lo, s2
	s_delay_alu instid0(SALU_CYCLE_1)
	s_mov_b32 s2, exec_lo
	v_cmpx_gt_i32_e64 s54, v0
	s_cbranch_execz .LBB10_50
.LBB10_66:
	v_and_b32_e32 v1, s1, v32
	v_and_b32_e32 v2, s43, v25
	s_delay_alu instid0(VALU_DEP_2) | instskip(NEXT) | instid1(VALU_DEP_2)
	v_and_b32_e32 v1, 0xff, v1
	v_and_b32_e32 v2, 1, v2
	s_delay_alu instid0(VALU_DEP_2) | instskip(NEXT) | instid1(VALU_DEP_2)
	v_cmp_ne_u16_e32 vcc_lo, 0, v1
	v_cmp_eq_u32_e64 s0, 1, v2
	v_add_nc_u32_e32 v2, s52, v0
	v_add_nc_u32_e32 v0, 0x100, v0
	s_and_b32 s3, s14, vcc_lo
	s_delay_alu instid0(SALU_CYCLE_1) | instskip(NEXT) | instid1(SALU_CYCLE_1)
	s_or_b32 s0, s0, s3
	v_cndmask_b32_e64 v1, 0, 1, s0
	global_store_b8 v2, v1, s[44:45]
	s_wait_xcnt 0x0
	s_or_b32 exec_lo, exec_lo, s2
	s_delay_alu instid0(SALU_CYCLE_1)
	s_mov_b32 s2, exec_lo
	v_cmpx_gt_i32_e64 s54, v0
	s_cbranch_execz .LBB10_51
.LBB10_67:
	v_and_b32_e32 v2, s43, v33
	v_and_b32_e32 v1, s1, v34
	s_delay_alu instid0(VALU_DEP_2) | instskip(NEXT) | instid1(VALU_DEP_1)
	v_and_b32_e32 v2, 1, v2
	v_cmp_eq_u32_e64 s0, 1, v2
	v_add_nc_u32_e32 v2, s52, v0
	s_delay_alu instid0(VALU_DEP_4) | instskip(SKIP_1) | instid1(VALU_DEP_2)
	v_and_b32_e32 v1, 0xff, v1
	v_add_nc_u32_e32 v0, 0x100, v0
	v_cmp_ne_u16_e32 vcc_lo, 0, v1
	s_and_b32 s3, s17, vcc_lo
	s_delay_alu instid0(SALU_CYCLE_1) | instskip(NEXT) | instid1(SALU_CYCLE_1)
	s_or_b32 s0, s0, s3
	v_cndmask_b32_e64 v1, 0, 1, s0
	global_store_b8 v2, v1, s[44:45]
	s_wait_xcnt 0x0
	s_or_b32 exec_lo, exec_lo, s2
	s_delay_alu instid0(SALU_CYCLE_1)
	s_mov_b32 s0, exec_lo
	v_cmpx_gt_i32_e64 s54, v0
	s_cbranch_execnz .LBB10_52
	s_branch .LBB10_53
	.section	.rodata,"a",@progbits
	.p2align	6, 0x0
	.amdhsa_kernel _ZN2at6native29vectorized_elementwise_kernelILi4EZNS0_12_GLOBAL__N_116addr_kernel_cudaERNS_14TensorIteratorERKN3c106ScalarES8_EUlbbbE0_St5arrayIPcLm4EEEEviT0_T1_
		.amdhsa_group_segment_fixed_size 0
		.amdhsa_private_segment_fixed_size 0
		.amdhsa_kernarg_size 40
		.amdhsa_user_sgpr_count 2
		.amdhsa_user_sgpr_dispatch_ptr 0
		.amdhsa_user_sgpr_queue_ptr 0
		.amdhsa_user_sgpr_kernarg_segment_ptr 1
		.amdhsa_user_sgpr_dispatch_id 0
		.amdhsa_user_sgpr_kernarg_preload_length 0
		.amdhsa_user_sgpr_kernarg_preload_offset 0
		.amdhsa_user_sgpr_private_segment_size 0
		.amdhsa_wavefront_size32 1
		.amdhsa_uses_dynamic_stack 0
		.amdhsa_enable_private_segment 0
		.amdhsa_system_sgpr_workgroup_id_x 1
		.amdhsa_system_sgpr_workgroup_id_y 0
		.amdhsa_system_sgpr_workgroup_id_z 0
		.amdhsa_system_sgpr_workgroup_info 0
		.amdhsa_system_vgpr_workitem_id 0
		.amdhsa_next_free_vgpr 45
		.amdhsa_next_free_sgpr 59
		.amdhsa_named_barrier_count 0
		.amdhsa_reserve_vcc 1
		.amdhsa_float_round_mode_32 0
		.amdhsa_float_round_mode_16_64 0
		.amdhsa_float_denorm_mode_32 3
		.amdhsa_float_denorm_mode_16_64 3
		.amdhsa_fp16_overflow 0
		.amdhsa_memory_ordered 1
		.amdhsa_forward_progress 1
		.amdhsa_inst_pref_size 47
		.amdhsa_round_robin_scheduling 0
		.amdhsa_exception_fp_ieee_invalid_op 0
		.amdhsa_exception_fp_denorm_src 0
		.amdhsa_exception_fp_ieee_div_zero 0
		.amdhsa_exception_fp_ieee_overflow 0
		.amdhsa_exception_fp_ieee_underflow 0
		.amdhsa_exception_fp_ieee_inexact 0
		.amdhsa_exception_int_div_zero 0
	.end_amdhsa_kernel
	.section	.text._ZN2at6native29vectorized_elementwise_kernelILi4EZNS0_12_GLOBAL__N_116addr_kernel_cudaERNS_14TensorIteratorERKN3c106ScalarES8_EUlbbbE0_St5arrayIPcLm4EEEEviT0_T1_,"axG",@progbits,_ZN2at6native29vectorized_elementwise_kernelILi4EZNS0_12_GLOBAL__N_116addr_kernel_cudaERNS_14TensorIteratorERKN3c106ScalarES8_EUlbbbE0_St5arrayIPcLm4EEEEviT0_T1_,comdat
.Lfunc_end10:
	.size	_ZN2at6native29vectorized_elementwise_kernelILi4EZNS0_12_GLOBAL__N_116addr_kernel_cudaERNS_14TensorIteratorERKN3c106ScalarES8_EUlbbbE0_St5arrayIPcLm4EEEEviT0_T1_, .Lfunc_end10-_ZN2at6native29vectorized_elementwise_kernelILi4EZNS0_12_GLOBAL__N_116addr_kernel_cudaERNS_14TensorIteratorERKN3c106ScalarES8_EUlbbbE0_St5arrayIPcLm4EEEEviT0_T1_
                                        ; -- End function
	.set _ZN2at6native29vectorized_elementwise_kernelILi4EZNS0_12_GLOBAL__N_116addr_kernel_cudaERNS_14TensorIteratorERKN3c106ScalarES8_EUlbbbE0_St5arrayIPcLm4EEEEviT0_T1_.num_vgpr, 45
	.set _ZN2at6native29vectorized_elementwise_kernelILi4EZNS0_12_GLOBAL__N_116addr_kernel_cudaERNS_14TensorIteratorERKN3c106ScalarES8_EUlbbbE0_St5arrayIPcLm4EEEEviT0_T1_.num_agpr, 0
	.set _ZN2at6native29vectorized_elementwise_kernelILi4EZNS0_12_GLOBAL__N_116addr_kernel_cudaERNS_14TensorIteratorERKN3c106ScalarES8_EUlbbbE0_St5arrayIPcLm4EEEEviT0_T1_.numbered_sgpr, 59
	.set _ZN2at6native29vectorized_elementwise_kernelILi4EZNS0_12_GLOBAL__N_116addr_kernel_cudaERNS_14TensorIteratorERKN3c106ScalarES8_EUlbbbE0_St5arrayIPcLm4EEEEviT0_T1_.num_named_barrier, 0
	.set _ZN2at6native29vectorized_elementwise_kernelILi4EZNS0_12_GLOBAL__N_116addr_kernel_cudaERNS_14TensorIteratorERKN3c106ScalarES8_EUlbbbE0_St5arrayIPcLm4EEEEviT0_T1_.private_seg_size, 0
	.set _ZN2at6native29vectorized_elementwise_kernelILi4EZNS0_12_GLOBAL__N_116addr_kernel_cudaERNS_14TensorIteratorERKN3c106ScalarES8_EUlbbbE0_St5arrayIPcLm4EEEEviT0_T1_.uses_vcc, 1
	.set _ZN2at6native29vectorized_elementwise_kernelILi4EZNS0_12_GLOBAL__N_116addr_kernel_cudaERNS_14TensorIteratorERKN3c106ScalarES8_EUlbbbE0_St5arrayIPcLm4EEEEviT0_T1_.uses_flat_scratch, 0
	.set _ZN2at6native29vectorized_elementwise_kernelILi4EZNS0_12_GLOBAL__N_116addr_kernel_cudaERNS_14TensorIteratorERKN3c106ScalarES8_EUlbbbE0_St5arrayIPcLm4EEEEviT0_T1_.has_dyn_sized_stack, 0
	.set _ZN2at6native29vectorized_elementwise_kernelILi4EZNS0_12_GLOBAL__N_116addr_kernel_cudaERNS_14TensorIteratorERKN3c106ScalarES8_EUlbbbE0_St5arrayIPcLm4EEEEviT0_T1_.has_recursion, 0
	.set _ZN2at6native29vectorized_elementwise_kernelILi4EZNS0_12_GLOBAL__N_116addr_kernel_cudaERNS_14TensorIteratorERKN3c106ScalarES8_EUlbbbE0_St5arrayIPcLm4EEEEviT0_T1_.has_indirect_call, 0
	.section	.AMDGPU.csdata,"",@progbits
; Kernel info:
; codeLenInByte = 6016
; TotalNumSgprs: 61
; NumVgprs: 45
; ScratchSize: 0
; MemoryBound: 0
; FloatMode: 240
; IeeeMode: 1
; LDSByteSize: 0 bytes/workgroup (compile time only)
; SGPRBlocks: 0
; VGPRBlocks: 2
; NumSGPRsForWavesPerEU: 61
; NumVGPRsForWavesPerEU: 45
; NamedBarCnt: 0
; Occupancy: 16
; WaveLimiterHint : 1
; COMPUTE_PGM_RSRC2:SCRATCH_EN: 0
; COMPUTE_PGM_RSRC2:USER_SGPR: 2
; COMPUTE_PGM_RSRC2:TRAP_HANDLER: 0
; COMPUTE_PGM_RSRC2:TGID_X_EN: 1
; COMPUTE_PGM_RSRC2:TGID_Y_EN: 0
; COMPUTE_PGM_RSRC2:TGID_Z_EN: 0
; COMPUTE_PGM_RSRC2:TIDIG_COMP_CNT: 0
	.section	.text._ZN2at6native29vectorized_elementwise_kernelILi2EZNS0_12_GLOBAL__N_116addr_kernel_cudaERNS_14TensorIteratorERKN3c106ScalarES8_EUlbbbE0_St5arrayIPcLm4EEEEviT0_T1_,"axG",@progbits,_ZN2at6native29vectorized_elementwise_kernelILi2EZNS0_12_GLOBAL__N_116addr_kernel_cudaERNS_14TensorIteratorERKN3c106ScalarES8_EUlbbbE0_St5arrayIPcLm4EEEEviT0_T1_,comdat
	.globl	_ZN2at6native29vectorized_elementwise_kernelILi2EZNS0_12_GLOBAL__N_116addr_kernel_cudaERNS_14TensorIteratorERKN3c106ScalarES8_EUlbbbE0_St5arrayIPcLm4EEEEviT0_T1_ ; -- Begin function _ZN2at6native29vectorized_elementwise_kernelILi2EZNS0_12_GLOBAL__N_116addr_kernel_cudaERNS_14TensorIteratorERKN3c106ScalarES8_EUlbbbE0_St5arrayIPcLm4EEEEviT0_T1_
	.p2align	8
	.type	_ZN2at6native29vectorized_elementwise_kernelILi2EZNS0_12_GLOBAL__N_116addr_kernel_cudaERNS_14TensorIteratorERKN3c106ScalarES8_EUlbbbE0_St5arrayIPcLm4EEEEviT0_T1_,@function
_ZN2at6native29vectorized_elementwise_kernelILi2EZNS0_12_GLOBAL__N_116addr_kernel_cudaERNS_14TensorIteratorERKN3c106ScalarES8_EUlbbbE0_St5arrayIPcLm4EEEEviT0_T1_: ; @_ZN2at6native29vectorized_elementwise_kernelILi2EZNS0_12_GLOBAL__N_116addr_kernel_cudaERNS_14TensorIteratorERKN3c106ScalarES8_EUlbbbE0_St5arrayIPcLm4EEEEviT0_T1_
; %bb.0:
	v_mov_b32_e32 v1, 0
	s_clause 0x1
	s_load_b32 s2, s[0:1], 0x0
	s_load_b256 s[40:47], s[0:1], 0x8
	s_getreg_b32 s3, hwreg(HW_REG_IB_STS2, 6, 4)
	s_mov_b32 s53, -1
	global_load_u16 v1, v1, s[0:1] offset:4
	s_wait_xcnt 0x0
	s_bfe_u32 s0, ttmp6, 0x4000c
	s_and_b32 s1, ttmp6, 15
	s_add_co_i32 s0, s0, 1
	s_delay_alu instid0(SALU_CYCLE_1) | instskip(NEXT) | instid1(SALU_CYCLE_1)
	s_mul_i32 s0, ttmp9, s0
	s_add_co_i32 s1, s1, s0
	s_cmp_eq_u32 s3, 0
	s_cselect_b32 s0, ttmp9, s1
	s_delay_alu instid0(SALU_CYCLE_1) | instskip(SKIP_2) | instid1(SALU_CYCLE_1)
	s_lshl_b32 s48, s0, 12
	s_wait_kmcnt 0x0
	s_sub_co_i32 s52, s2, s48
	s_cmp_gt_i32 s52, 0xfff
	s_wait_loadcnt 0x0
	v_readfirstlane_b32 s39, v1
	s_cbranch_scc0 .LBB11_2
; %bb.1:
	s_ashr_i32 s49, s48, 31
	s_bitcmp1_b32 s39, 0
	s_add_nc_u64 s[0:1], s[42:43], s[48:49]
	s_add_nc_u64 s[2:3], s[44:45], s[48:49]
	s_clause 0x7
	global_load_u16 v1, v0, s[0:1] scale_offset
	global_load_u16 v2, v0, s[0:1] offset:512 scale_offset
	global_load_u16 v3, v0, s[0:1] offset:1024 scale_offset
	;; [unrolled: 1-line block ×7, first 2 shown]
	s_wait_xcnt 0x0
	s_add_nc_u64 s[0:1], s[46:47], s[48:49]
	s_clause 0xf
	global_load_u16 v9, v0, s[2:3] scale_offset
	global_load_u16 v10, v0, s[2:3] offset:512 scale_offset
	global_load_u16 v11, v0, s[2:3] offset:1024 scale_offset
	;; [unrolled: 1-line block ×7, first 2 shown]
	global_load_u16 v17, v0, s[0:1] scale_offset
	global_load_u16 v18, v0, s[0:1] offset:512 scale_offset
	global_load_u16 v19, v0, s[0:1] offset:1024 scale_offset
	;; [unrolled: 1-line block ×6, first 2 shown]
	; meta instruction
	global_load_u16 v24, v0, s[0:1] offset:3584 scale_offset
	s_add_nc_u64 s[50:51], s[40:41], s[48:49]
	s_cselect_b32 s49, -1, 0
	s_mov_b32 s53, 0
	s_wait_loadcnt 0xe
	v_and_b32_e32 v26, 0xff, v10
	s_wait_loadcnt 0xd
	v_and_b32_e32 v27, 0xff, v11
	;; [unrolled: 2-line block ×6, first 2 shown]
	v_and_b32_e32 v25, 0xff, v1
	v_cmp_lt_u16_e32 vcc_lo, 0xff, v1
	s_wait_loadcnt 0x6
	v_min_u16 v10, v10, v18
	s_wait_loadcnt 0x5
	v_min_u16 v11, v11, v19
	v_and_b32_e32 v1, 0xff, v2
	v_cmp_ne_u16_e64 s7, 0, v25
	s_wait_xcnt 0x0
	v_cmp_lt_u16_e64 s0, 0xff, v2
	v_and_b32_e32 v2, 0xff, v3
	v_and_b32_e32 v35, 0xff, v19
	s_wait_loadcnt 0x4
	v_min_u16 v12, v12, v20
	v_cmp_lt_u16_e64 s33, 0xff, v10
	s_and_b32 s54, s7, s49
	v_cmp_lt_u16_e64 s1, 0xff, v3
	v_and_b32_e32 v3, 0xff, v4
	v_cmp_lt_u16_e64 s2, 0xff, v4
	v_and_b32_e32 v4, 0xff, v5
	;; [unrolled: 2-line block ×6, first 2 shown]
	v_and_b32_e32 v32, 0xff, v16
	v_and_b32_e32 v36, 0xff, v20
	s_wait_loadcnt 0x3
	v_min_u16 v13, v13, v21
	s_wait_loadcnt 0x0
	v_min_u16 v16, v16, v24
	s_bitcmp1_b32 s39, 8
	v_cmp_ne_u16_e64 s17, 0, v27
	v_cmp_lt_u16_e64 s34, 0xff, v11
	v_and_b32_e32 v33, 0xff, v17
	v_and_b32_e32 v37, 0xff, v21
	v_min_u16 v14, v14, v22
	s_cselect_b32 s55, -1, 0
	v_min_u16 v9, v9, v17
	v_cmp_ne_u16_e64 s9, 0, v2
	v_cmp_ne_u16_e64 s18, 0, v28
	;; [unrolled: 1-line block ×3, first 2 shown]
	v_cmp_lt_u16_e64 s35, 0xff, v12
	v_and_b32_e32 v34, 0xff, v18
	v_and_b32_e32 v38, 0xff, v22
	v_min_u16 v15, v15, v23
	s_and_b32 s0, s0, s49
	s_and_b32 s33, s33, s55
	v_cmp_ne_u16_e64 s10, 0, v3
	v_cmp_ne_u16_e64 s15, 0, v8
	;; [unrolled: 1-line block ×4, first 2 shown]
	v_cmp_lt_u16_e64 s36, 0xff, v13
	v_cmp_lt_u16_e64 s7, 0xff, v16
	v_and_b32_e32 v39, 0xff, v23
	s_and_b32 s1, s1, s49
	s_and_b32 s17, s17, s55
	;; [unrolled: 1-line block ×3, first 2 shown]
	s_or_b32 s0, s0, s33
	v_cmp_ne_u16_e64 s11, 0, v4
	v_cmp_ne_u16_e64 s16, 0, v26
	;; [unrolled: 1-line block ×5, first 2 shown]
	v_cmp_lt_u16_e64 s37, 0xff, v14
	v_and_b32_e32 v40, 0xff, v24
	v_cmp_lt_u16_e64 s31, 0xff, v9
	s_and_b32 s9, s9, s49
	s_and_b32 s2, s2, s49
	;; [unrolled: 1-line block ×4, first 2 shown]
	v_cndmask_b32_e64 v2, 0, 0x100, s0
	s_and_b32 s0, s17, s25
	s_or_b32 s1, s1, s34
	v_cmp_ne_u16_e64 s8, 0, v1
	v_cmp_ne_u16_e64 s12, 0, v5
	;; [unrolled: 1-line block ×5, first 2 shown]
	v_cmp_lt_u16_e64 s38, 0xff, v15
	s_and_b32 s10, s10, s49
	s_and_b32 s3, s3, s49
	;; [unrolled: 1-line block ×7, first 2 shown]
	v_cndmask_b32_e64 v3, 0, 0x100, s1
	s_and_b32 s1, s18, s26
	s_or_b32 s2, s2, s35
	s_or_b32 s0, s9, s0
	v_cmp_ne_u16_e64 s13, 0, v6
	v_cmp_ne_u16_e64 s22, 0, v32
	;; [unrolled: 1-line block ×3, first 2 shown]
	s_and_b32 s11, s11, s49
	s_and_b32 s4, s4, s49
	;; [unrolled: 1-line block ×6, first 2 shown]
	v_cndmask_b32_e64 v4, 0, 0x100, s2
	s_and_b32 s2, s19, s27
	s_or_b32 s3, s3, s36
	s_or_b32 s6, s6, s7
	v_cndmask_b32_e64 v11, 0, 1, s0
	s_or_b32 s0, s10, s1
	v_cmp_ne_u16_e64 s14, 0, v7
	v_cmp_ne_u16_e64 s30, 0, v40
	s_and_b32 s56, vcc_lo, s49
	s_and_b32 s31, s31, s55
	s_and_b32 s8, s8, s49
	;; [unrolled: 1-line block ×7, first 2 shown]
	v_cndmask_b32_e64 v5, 0, 0x100, s3
	s_and_b32 s3, s20, s28
	s_or_b32 s4, s4, s37
	v_cndmask_b32_e64 v8, 0, 0x100, s6
	s_or_b32 s6, s54, s15
	v_cndmask_b32_e64 v12, 0, 1, s0
	s_or_b32 s0, s11, s2
	s_or_b32 s23, s56, s31
	s_and_b32 s13, s13, s49
	s_and_b32 s22, s22, s55
	v_cndmask_b32_e64 v6, 0, 0x100, s4
	s_and_b32 s4, s21, s29
	s_or_b32 s5, s5, s38
	v_cndmask_b32_e64 v9, 0, 1, s6
	s_or_b32 s6, s8, s16
	v_cndmask_b32_e64 v13, 0, 1, s0
	;; [unrolled: 2-line block ×3, first 2 shown]
	s_and_b32 s14, s14, s49
	v_cndmask_b32_e64 v7, 0, 0x100, s5
	s_and_b32 s5, s22, s30
	v_cndmask_b32_e64 v10, 0, 1, s6
	v_cndmask_b32_e64 v14, 0, 1, s0
	s_or_b32 s0, s13, s4
	v_or_b32_e32 v1, v1, v9
	v_cndmask_b32_e64 v15, 0, 1, s0
	s_or_b32 s0, s14, s5
	v_or_b32_e32 v2, v2, v10
	v_cndmask_b32_e64 v16, 0, 1, s0
	v_or_b32_e32 v3, v3, v11
	v_or_b32_e32 v4, v4, v12
	;; [unrolled: 1-line block ×6, first 2 shown]
	s_clause 0x7
	global_store_b16 v0, v1, s[50:51] scale_offset
	global_store_b16 v0, v2, s[50:51] offset:512 scale_offset
	global_store_b16 v0, v3, s[50:51] offset:1024 scale_offset
	;; [unrolled: 1-line block ×7, first 2 shown]
.LBB11_2:
	s_and_not1_b32 vcc_lo, exec_lo, s53
	s_cbranch_vccnz .LBB11_53
; %bb.3:
	v_cmp_gt_i32_e32 vcc_lo, s52, v0
	s_wait_xcnt 0x6
	v_dual_mov_b32 v1, 0 :: v_dual_bitop2_b32 v2, s48, v0 bitop3:0x54
	s_wait_xcnt 0x5
	v_or_b32_e32 v3, 0x100, v0
	s_wait_xcnt 0x2
	v_dual_mov_b32 v5, 0 :: v_dual_mov_b32 v6, 0
	v_mov_b32_e32 v11, v0
	s_mov_b32 s2, 0
	s_mov_b32 s4, 0
	s_wait_xcnt 0x0
	s_and_saveexec_b32 s3, vcc_lo
	s_cbranch_execz .LBB11_5
; %bb.4:
	s_clause 0x2
	global_load_u8 v4, v2, s[42:43]
	global_load_u8 v6, v2, s[46:47]
	;; [unrolled: 1-line block ×3, first 2 shown]
	v_or_b32_e32 v11, 0x100, v0
	s_wait_loadcnt 0x2
	v_cmp_ne_u16_e64 s0, 0, v4
	s_wait_loadcnt 0x0
	v_cmp_ne_u16_e64 s1, 0, v7
	s_delay_alu instid0(VALU_DEP_2) | instskip(SKIP_1) | instid1(VALU_DEP_3)
	v_cndmask_b32_e64 v5, 0, 1, s0
	v_cmp_ne_u16_e64 s0, 0, v6
	v_cndmask_b32_e64 v6, 0, 1, s1
	s_and_b32 s4, s0, exec_lo
.LBB11_5:
	s_wait_xcnt 0x0
	s_or_b32 exec_lo, exec_lo, s3
	v_mov_b32_e32 v7, 0
	s_mov_b32 s3, exec_lo
	v_cmpx_gt_i32_e64 s52, v11
	s_cbranch_execz .LBB11_7
; %bb.6:
	v_add_nc_u32_e32 v1, s48, v11
	v_add_nc_u32_e32 v11, 0x100, v11
	s_clause 0x2
	global_load_u8 v4, v1, s[42:43]
	global_load_u8 v7, v1, s[46:47]
	global_load_u8 v8, v1, s[44:45]
	s_wait_loadcnt 0x2
	v_cmp_ne_u16_e64 s0, 0, v4
	s_wait_loadcnt 0x0
	v_cmp_ne_u16_e64 s1, 0, v8
	s_wait_xcnt 0x0
	s_delay_alu instid0(VALU_DEP_2) | instskip(SKIP_1) | instid1(VALU_DEP_3)
	v_cndmask_b32_e64 v1, 0, 1, s0
	v_cmp_ne_u16_e64 s0, 0, v7
	v_cndmask_b32_e64 v7, 0, 1, s1
	s_and_b32 s2, s0, exec_lo
.LBB11_7:
	s_or_b32 exec_lo, exec_lo, s3
	v_dual_mov_b32 v4, 0 :: v_dual_mov_b32 v9, 0
	v_mov_b32_e32 v10, 0
	s_mov_b32 s3, 0
	s_mov_b32 s5, 0
	s_mov_b32 s6, exec_lo
	v_cmpx_gt_i32_e64 s52, v11
	s_cbranch_execz .LBB11_9
; %bb.8:
	v_add_nc_u32_e32 v8, s48, v11
	v_add_nc_u32_e32 v11, 0x100, v11
	s_clause 0x2
	global_load_u8 v9, v8, s[42:43]
	global_load_u8 v10, v8, s[46:47]
	global_load_u8 v12, v8, s[44:45]
	s_wait_loadcnt 0x2
	v_cmp_ne_u16_e64 s0, 0, v9
	s_wait_loadcnt 0x0
	v_cmp_ne_u16_e64 s1, 0, v12
	s_delay_alu instid0(VALU_DEP_2) | instskip(SKIP_1) | instid1(VALU_DEP_3)
	v_cndmask_b32_e64 v9, 0, 1, s0
	v_cmp_ne_u16_e64 s0, 0, v10
	v_cndmask_b32_e64 v10, 0, 1, s1
	s_and_b32 s5, s0, exec_lo
.LBB11_9:
	s_wait_xcnt 0x0
	s_or_b32 exec_lo, exec_lo, s6
	v_mov_b32_e32 v12, 0
	s_mov_b32 s6, exec_lo
	v_cmpx_gt_i32_e64 s52, v11
	s_cbranch_execz .LBB11_11
; %bb.10:
	v_add_nc_u32_e32 v4, s48, v11
	v_add_nc_u32_e32 v11, 0x100, v11
	s_clause 0x2
	global_load_u8 v8, v4, s[42:43]
	global_load_u8 v12, v4, s[46:47]
	global_load_u8 v13, v4, s[44:45]
	s_wait_loadcnt 0x2
	v_cmp_ne_u16_e64 s0, 0, v8
	s_wait_loadcnt 0x0
	v_cmp_ne_u16_e64 s1, 0, v13
	s_wait_xcnt 0x0
	s_delay_alu instid0(VALU_DEP_2) | instskip(SKIP_1) | instid1(VALU_DEP_3)
	v_cndmask_b32_e64 v4, 0, 1, s0
	v_cmp_ne_u16_e64 s0, 0, v12
	v_cndmask_b32_e64 v12, 0, 1, s1
	s_and_b32 s3, s0, exec_lo
.LBB11_11:
	s_or_b32 exec_lo, exec_lo, s6
	v_dual_mov_b32 v8, 0 :: v_dual_mov_b32 v14, 0
	v_mov_b32_e32 v15, 0
	s_mov_b32 s6, 0
	s_mov_b32 s7, 0
	s_mov_b32 s8, exec_lo
	v_cmpx_gt_i32_e64 s52, v11
	s_cbranch_execz .LBB11_13
; %bb.12:
	v_add_nc_u32_e32 v13, s48, v11
	v_add_nc_u32_e32 v11, 0x100, v11
	s_clause 0x2
	global_load_u8 v14, v13, s[42:43]
	global_load_u8 v15, v13, s[46:47]
	global_load_u8 v16, v13, s[44:45]
	s_wait_loadcnt 0x2
	v_cmp_ne_u16_e64 s0, 0, v14
	s_wait_loadcnt 0x0
	v_cmp_ne_u16_e64 s1, 0, v16
	s_delay_alu instid0(VALU_DEP_2) | instskip(SKIP_1) | instid1(VALU_DEP_3)
	v_cndmask_b32_e64 v14, 0, 1, s0
	v_cmp_ne_u16_e64 s0, 0, v15
	v_cndmask_b32_e64 v15, 0, 1, s1
	s_and_b32 s7, s0, exec_lo
.LBB11_13:
	;; [unrolled: 49-line block ×5, first 2 shown]
	s_wait_xcnt 0x0
	s_or_b32 exec_lo, exec_lo, s14
	v_mov_b32_e32 v28, 0
	s_mov_b32 s14, exec_lo
	v_cmpx_gt_i32_e64 s52, v11
	s_cbranch_execz .LBB11_27
; %bb.26:
	v_add_nc_u32_e32 v21, s48, v11
	v_add_nc_u32_e32 v11, 0x100, v11
	s_clause 0x2
	global_load_u8 v25, v21, s[42:43]
	global_load_u8 v28, v21, s[46:47]
	;; [unrolled: 1-line block ×3, first 2 shown]
	s_wait_loadcnt 0x2
	v_cmp_ne_u16_e64 s0, 0, v25
	s_wait_loadcnt 0x0
	v_cmp_ne_u16_e64 s1, 0, v29
	s_wait_xcnt 0x0
	s_delay_alu instid0(VALU_DEP_2) | instskip(SKIP_1) | instid1(VALU_DEP_3)
	v_cndmask_b32_e64 v21, 0, 1, s0
	v_cmp_ne_u16_e64 s0, 0, v28
	v_cndmask_b32_e64 v28, 0, 1, s1
	s_and_b32 s12, s0, exec_lo
.LBB11_27:
	s_or_b32 exec_lo, exec_lo, s14
	v_dual_mov_b32 v25, 0 :: v_dual_mov_b32 v29, 0
	v_mov_b32_e32 v30, 0
	s_mov_b32 s14, 0
	s_mov_b32 s15, 0
	s_mov_b32 s16, exec_lo
	v_cmpx_gt_i32_e64 s52, v11
	s_cbranch_execz .LBB11_29
; %bb.28:
	v_add_nc_u32_e32 v29, s48, v11
	v_add_nc_u32_e32 v11, 0x100, v11
	s_clause 0x2
	global_load_u8 v30, v29, s[42:43]
	global_load_u8 v31, v29, s[46:47]
	;; [unrolled: 1-line block ×3, first 2 shown]
	s_wait_loadcnt 0x2
	v_cmp_ne_u16_e64 s0, 0, v30
	s_wait_loadcnt 0x0
	v_cmp_ne_u16_e64 s1, 0, v32
	s_wait_xcnt 0x0
	s_delay_alu instid0(VALU_DEP_2) | instskip(SKIP_1) | instid1(VALU_DEP_3)
	v_cndmask_b32_e64 v29, 0, 1, s0
	v_cmp_ne_u16_e64 s0, 0, v31
	v_cndmask_b32_e64 v30, 0, 1, s1
	s_and_b32 s15, s0, exec_lo
.LBB11_29:
	s_or_b32 exec_lo, exec_lo, s16
	v_mov_b32_e32 v32, 0
	s_mov_b32 s16, exec_lo
	v_cmpx_gt_i32_e64 s52, v11
	s_cbranch_execz .LBB11_31
; %bb.30:
	v_add_nc_u32_e32 v25, s48, v11
	v_add_nc_u32_e32 v11, 0x100, v11
	s_clause 0x2
	global_load_u8 v31, v25, s[42:43]
	global_load_u8 v32, v25, s[46:47]
	;; [unrolled: 1-line block ×3, first 2 shown]
	s_wait_loadcnt 0x2
	v_cmp_ne_u16_e64 s0, 0, v31
	s_wait_loadcnt 0x0
	v_cmp_ne_u16_e64 s1, 0, v33
	s_wait_xcnt 0x0
	s_delay_alu instid0(VALU_DEP_2) | instskip(SKIP_1) | instid1(VALU_DEP_3)
	v_cndmask_b32_e64 v25, 0, 1, s0
	v_cmp_ne_u16_e64 s0, 0, v32
	v_cndmask_b32_e64 v32, 0, 1, s1
	s_and_b32 s14, s0, exec_lo
.LBB11_31:
	s_or_b32 exec_lo, exec_lo, s16
	v_dual_mov_b32 v31, 0 :: v_dual_mov_b32 v33, 0
	v_mov_b32_e32 v34, 0
	s_mov_b32 s16, 0
	s_mov_b32 s17, 0
	s_mov_b32 s18, exec_lo
	v_cmpx_gt_i32_e64 s52, v11
	s_cbranch_execz .LBB11_33
; %bb.32:
	v_add_nc_u32_e32 v33, s48, v11
	v_add_nc_u32_e32 v11, 0x100, v11
	s_clause 0x2
	global_load_u8 v34, v33, s[42:43]
	global_load_u8 v35, v33, s[46:47]
	;; [unrolled: 1-line block ×3, first 2 shown]
	s_wait_loadcnt 0x2
	v_cmp_ne_u16_e64 s0, 0, v34
	s_wait_loadcnt 0x0
	v_cmp_ne_u16_e64 s1, 0, v36
	s_wait_xcnt 0x0
	s_delay_alu instid0(VALU_DEP_2) | instskip(SKIP_1) | instid1(VALU_DEP_3)
	v_cndmask_b32_e64 v33, 0, 1, s0
	v_cmp_ne_u16_e64 s0, 0, v35
	v_cndmask_b32_e64 v34, 0, 1, s1
	s_and_b32 s17, s0, exec_lo
.LBB11_33:
	s_or_b32 exec_lo, exec_lo, s18
	v_mov_b32_e32 v35, 0
	s_mov_b32 s18, exec_lo
	v_cmpx_gt_i32_e64 s52, v11
	s_cbranch_execz .LBB11_35
; %bb.34:
	v_add_nc_u32_e32 v11, s48, v11
	s_clause 0x2
	global_load_u8 v31, v11, s[42:43]
	global_load_u8 v35, v11, s[46:47]
	;; [unrolled: 1-line block ×3, first 2 shown]
	s_wait_loadcnt 0x2
	v_cmp_ne_u16_e64 s0, 0, v31
	s_wait_loadcnt 0x0
	v_cmp_ne_u16_e64 s1, 0, v36
	s_delay_alu instid0(VALU_DEP_2) | instskip(SKIP_1) | instid1(VALU_DEP_3)
	v_cndmask_b32_e64 v31, 0, 1, s0
	v_cmp_ne_u16_e64 s0, 0, v35
	v_cndmask_b32_e64 v35, 0, 1, s1
	s_and_b32 s16, s0, exec_lo
.LBB11_35:
	s_wait_xcnt 0x0
	s_or_b32 exec_lo, exec_lo, s18
	s_and_saveexec_b32 s1, vcc_lo
	s_cbranch_execz .LBB11_37
; %bb.36:
	v_and_b32_e32 v0, s39, v5
	s_and_b32 s0, 0xffff, s39
	s_delay_alu instid0(SALU_CYCLE_1) | instskip(NEXT) | instid1(SALU_CYCLE_1)
	s_lshr_b32 s0, s0, 8
	v_and_b32_e32 v5, s0, v6
	s_delay_alu instid0(VALU_DEP_2) | instskip(NEXT) | instid1(VALU_DEP_1)
	v_and_b32_e32 v0, 1, v0
	v_cmp_eq_u32_e64 s0, 1, v0
	v_mov_b32_e32 v0, v3
	s_delay_alu instid0(VALU_DEP_4) | instskip(SKIP_1) | instid1(SALU_CYCLE_1)
	v_cmp_ne_u16_e32 vcc_lo, 0, v5
	s_and_b32 s4, s4, vcc_lo
	s_or_b32 s0, s0, s4
	s_delay_alu instid0(SALU_CYCLE_1)
	v_cndmask_b32_e64 v5, 0, 1, s0
	global_store_b8 v2, v5, s[40:41]
.LBB11_37:
	s_wait_xcnt 0x0
	s_or_b32 exec_lo, exec_lo, s1
	s_and_b32 s0, 0xffff, s39
	s_mov_b32 s4, exec_lo
	s_lshr_b32 s1, s0, 8
	v_cmpx_gt_i32_e64 s52, v0
	s_cbranch_execnz .LBB11_54
; %bb.38:
	s_or_b32 exec_lo, exec_lo, s4
	s_delay_alu instid0(SALU_CYCLE_1)
	s_mov_b32 s2, exec_lo
	v_cmpx_gt_i32_e64 s52, v0
	s_cbranch_execnz .LBB11_55
.LBB11_39:
	s_or_b32 exec_lo, exec_lo, s2
	s_delay_alu instid0(SALU_CYCLE_1)
	s_mov_b32 s2, exec_lo
	v_cmpx_gt_i32_e64 s52, v0
	s_cbranch_execnz .LBB11_56
.LBB11_40:
	s_or_b32 exec_lo, exec_lo, s2
	s_delay_alu instid0(SALU_CYCLE_1)
	s_mov_b32 s2, exec_lo
	v_cmpx_gt_i32_e64 s52, v0
	s_cbranch_execnz .LBB11_57
.LBB11_41:
	s_or_b32 exec_lo, exec_lo, s2
	s_delay_alu instid0(SALU_CYCLE_1)
	s_mov_b32 s2, exec_lo
	v_cmpx_gt_i32_e64 s52, v0
	s_cbranch_execnz .LBB11_58
.LBB11_42:
	s_or_b32 exec_lo, exec_lo, s2
	s_delay_alu instid0(SALU_CYCLE_1)
	s_mov_b32 s2, exec_lo
	v_cmpx_gt_i32_e64 s52, v0
	s_cbranch_execnz .LBB11_59
.LBB11_43:
	s_or_b32 exec_lo, exec_lo, s2
	s_delay_alu instid0(SALU_CYCLE_1)
	s_mov_b32 s2, exec_lo
	v_cmpx_gt_i32_e64 s52, v0
	s_cbranch_execnz .LBB11_60
.LBB11_44:
	s_or_b32 exec_lo, exec_lo, s2
	s_delay_alu instid0(SALU_CYCLE_1)
	s_mov_b32 s2, exec_lo
	v_cmpx_gt_i32_e64 s52, v0
	s_cbranch_execnz .LBB11_61
.LBB11_45:
	s_or_b32 exec_lo, exec_lo, s2
	s_delay_alu instid0(SALU_CYCLE_1)
	s_mov_b32 s2, exec_lo
	v_cmpx_gt_i32_e64 s52, v0
	s_cbranch_execnz .LBB11_62
.LBB11_46:
	s_or_b32 exec_lo, exec_lo, s2
	s_delay_alu instid0(SALU_CYCLE_1)
	s_mov_b32 s2, exec_lo
	v_cmpx_gt_i32_e64 s52, v0
	s_cbranch_execnz .LBB11_63
.LBB11_47:
	s_or_b32 exec_lo, exec_lo, s2
	s_delay_alu instid0(SALU_CYCLE_1)
	s_mov_b32 s2, exec_lo
	v_cmpx_gt_i32_e64 s52, v0
	s_cbranch_execnz .LBB11_64
.LBB11_48:
	s_or_b32 exec_lo, exec_lo, s2
	s_delay_alu instid0(SALU_CYCLE_1)
	s_mov_b32 s2, exec_lo
	v_cmpx_gt_i32_e64 s52, v0
	s_cbranch_execnz .LBB11_65
.LBB11_49:
	s_or_b32 exec_lo, exec_lo, s2
	s_delay_alu instid0(SALU_CYCLE_1)
	s_mov_b32 s2, exec_lo
	v_cmpx_gt_i32_e64 s52, v0
	s_cbranch_execnz .LBB11_66
.LBB11_50:
	s_or_b32 exec_lo, exec_lo, s2
	s_delay_alu instid0(SALU_CYCLE_1)
	s_mov_b32 s2, exec_lo
	v_cmpx_gt_i32_e64 s52, v0
	s_cbranch_execnz .LBB11_67
.LBB11_51:
	s_or_b32 exec_lo, exec_lo, s2
	s_delay_alu instid0(SALU_CYCLE_1)
	s_mov_b32 s0, exec_lo
	v_cmpx_gt_i32_e64 s52, v0
	s_cbranch_execz .LBB11_53
.LBB11_52:
	v_dual_add_nc_u32 v0, s48, v0 :: v_dual_bitop2_b32 v1, s39, v31 bitop3:0x40
	v_and_b32_e32 v2, s1, v35
	s_delay_alu instid0(VALU_DEP_2) | instskip(NEXT) | instid1(VALU_DEP_2)
	v_and_b32_e32 v1, 1, v1
	v_cmp_ne_u16_e32 vcc_lo, 0, v2
	s_delay_alu instid0(VALU_DEP_2) | instskip(SKIP_1) | instid1(SALU_CYCLE_1)
	v_cmp_eq_u32_e64 s0, 1, v1
	s_and_b32 s1, s16, vcc_lo
	s_or_b32 s0, s0, s1
	s_delay_alu instid0(SALU_CYCLE_1)
	v_cndmask_b32_e64 v1, 0, 1, s0
	global_store_b8 v0, v1, s[40:41]
.LBB11_53:
	s_endpgm
.LBB11_54:
	v_and_b32_e32 v2, s1, v7
	v_and_b32_e32 v1, s39, v1
	s_delay_alu instid0(VALU_DEP_2) | instskip(NEXT) | instid1(VALU_DEP_1)
	v_and_b32_e32 v2, 0xff, v2
	v_cmp_ne_u16_e32 vcc_lo, 0, v2
	s_delay_alu instid0(VALU_DEP_3) | instskip(SKIP_2) | instid1(VALU_DEP_2)
	v_dual_add_nc_u32 v2, s48, v0 :: v_dual_bitop2_b32 v1, 1, v1 bitop3:0x40
	v_add_nc_u32_e32 v0, 0x100, v0
	s_and_b32 s2, s2, vcc_lo
	v_cmp_eq_u32_e64 s0, 1, v1
	s_or_b32 s0, s0, s2
	s_delay_alu instid0(SALU_CYCLE_1) | instskip(SKIP_3) | instid1(SALU_CYCLE_1)
	v_cndmask_b32_e64 v1, 0, 1, s0
	global_store_b8 v2, v1, s[40:41]
	s_wait_xcnt 0x0
	s_or_b32 exec_lo, exec_lo, s4
	s_mov_b32 s2, exec_lo
	v_cmpx_gt_i32_e64 s52, v0
	s_cbranch_execz .LBB11_39
.LBB11_55:
	v_and_b32_e32 v2, s39, v9
	v_and_b32_e32 v1, s1, v10
	s_delay_alu instid0(VALU_DEP_2) | instskip(NEXT) | instid1(VALU_DEP_1)
	v_and_b32_e32 v2, 1, v2
	v_cmp_eq_u32_e64 s0, 1, v2
	v_add_nc_u32_e32 v2, s48, v0
	s_delay_alu instid0(VALU_DEP_4) | instskip(SKIP_1) | instid1(VALU_DEP_2)
	v_and_b32_e32 v1, 0xff, v1
	v_add_nc_u32_e32 v0, 0x100, v0
	v_cmp_ne_u16_e32 vcc_lo, 0, v1
	s_and_b32 s4, s5, vcc_lo
	s_delay_alu instid0(SALU_CYCLE_1) | instskip(NEXT) | instid1(SALU_CYCLE_1)
	s_or_b32 s0, s0, s4
	v_cndmask_b32_e64 v1, 0, 1, s0
	global_store_b8 v2, v1, s[40:41]
	s_wait_xcnt 0x0
	s_or_b32 exec_lo, exec_lo, s2
	s_delay_alu instid0(SALU_CYCLE_1)
	s_mov_b32 s2, exec_lo
	v_cmpx_gt_i32_e64 s52, v0
	s_cbranch_execz .LBB11_40
.LBB11_56:
	v_and_b32_e32 v1, s1, v12
	v_and_b32_e32 v2, s39, v4
	s_delay_alu instid0(VALU_DEP_2) | instskip(NEXT) | instid1(VALU_DEP_2)
	v_and_b32_e32 v1, 0xff, v1
	v_and_b32_e32 v2, 1, v2
	s_delay_alu instid0(VALU_DEP_2) | instskip(NEXT) | instid1(VALU_DEP_2)
	v_cmp_ne_u16_e32 vcc_lo, 0, v1
	v_cmp_eq_u32_e64 s0, 1, v2
	v_add_nc_u32_e32 v2, s48, v0
	v_add_nc_u32_e32 v0, 0x100, v0
	s_and_b32 s3, s3, vcc_lo
	s_delay_alu instid0(SALU_CYCLE_1) | instskip(NEXT) | instid1(SALU_CYCLE_1)
	s_or_b32 s0, s0, s3
	v_cndmask_b32_e64 v1, 0, 1, s0
	global_store_b8 v2, v1, s[40:41]
	s_wait_xcnt 0x0
	s_or_b32 exec_lo, exec_lo, s2
	s_delay_alu instid0(SALU_CYCLE_1)
	s_mov_b32 s2, exec_lo
	v_cmpx_gt_i32_e64 s52, v0
	s_cbranch_execz .LBB11_41
.LBB11_57:
	v_and_b32_e32 v2, s39, v14
	v_and_b32_e32 v1, s1, v15
	s_delay_alu instid0(VALU_DEP_2) | instskip(NEXT) | instid1(VALU_DEP_1)
	v_and_b32_e32 v2, 1, v2
	v_cmp_eq_u32_e64 s0, 1, v2
	v_add_nc_u32_e32 v2, s48, v0
	s_delay_alu instid0(VALU_DEP_4) | instskip(SKIP_1) | instid1(VALU_DEP_2)
	v_and_b32_e32 v1, 0xff, v1
	v_add_nc_u32_e32 v0, 0x100, v0
	v_cmp_ne_u16_e32 vcc_lo, 0, v1
	s_and_b32 s3, s7, vcc_lo
	s_delay_alu instid0(SALU_CYCLE_1) | instskip(NEXT) | instid1(SALU_CYCLE_1)
	s_or_b32 s0, s0, s3
	v_cndmask_b32_e64 v1, 0, 1, s0
	global_store_b8 v2, v1, s[40:41]
	s_wait_xcnt 0x0
	s_or_b32 exec_lo, exec_lo, s2
	s_delay_alu instid0(SALU_CYCLE_1)
	s_mov_b32 s2, exec_lo
	v_cmpx_gt_i32_e64 s52, v0
	s_cbranch_execz .LBB11_42
.LBB11_58:
	v_and_b32_e32 v1, s1, v16
	v_and_b32_e32 v2, s39, v8
	s_delay_alu instid0(VALU_DEP_2) | instskip(NEXT) | instid1(VALU_DEP_2)
	v_and_b32_e32 v1, 0xff, v1
	v_and_b32_e32 v2, 1, v2
	s_delay_alu instid0(VALU_DEP_2) | instskip(NEXT) | instid1(VALU_DEP_2)
	v_cmp_ne_u16_e32 vcc_lo, 0, v1
	v_cmp_eq_u32_e64 s0, 1, v2
	v_add_nc_u32_e32 v2, s48, v0
	v_add_nc_u32_e32 v0, 0x100, v0
	s_and_b32 s3, s6, vcc_lo
	s_delay_alu instid0(SALU_CYCLE_1) | instskip(NEXT) | instid1(SALU_CYCLE_1)
	s_or_b32 s0, s0, s3
	v_cndmask_b32_e64 v1, 0, 1, s0
	global_store_b8 v2, v1, s[40:41]
	s_wait_xcnt 0x0
	s_or_b32 exec_lo, exec_lo, s2
	s_delay_alu instid0(SALU_CYCLE_1)
	s_mov_b32 s2, exec_lo
	v_cmpx_gt_i32_e64 s52, v0
	s_cbranch_execz .LBB11_43
.LBB11_59:
	v_and_b32_e32 v2, s39, v18
	v_and_b32_e32 v1, s1, v19
	s_delay_alu instid0(VALU_DEP_2) | instskip(NEXT) | instid1(VALU_DEP_1)
	v_and_b32_e32 v2, 1, v2
	v_cmp_eq_u32_e64 s0, 1, v2
	v_add_nc_u32_e32 v2, s48, v0
	s_delay_alu instid0(VALU_DEP_4) | instskip(SKIP_1) | instid1(VALU_DEP_2)
	v_and_b32_e32 v1, 0xff, v1
	v_add_nc_u32_e32 v0, 0x100, v0
	v_cmp_ne_u16_e32 vcc_lo, 0, v1
	s_and_b32 s3, s9, vcc_lo
	s_delay_alu instid0(SALU_CYCLE_1) | instskip(NEXT) | instid1(SALU_CYCLE_1)
	s_or_b32 s0, s0, s3
	v_cndmask_b32_e64 v1, 0, 1, s0
	global_store_b8 v2, v1, s[40:41]
	s_wait_xcnt 0x0
	s_or_b32 exec_lo, exec_lo, s2
	s_delay_alu instid0(SALU_CYCLE_1)
	s_mov_b32 s2, exec_lo
	v_cmpx_gt_i32_e64 s52, v0
	s_cbranch_execz .LBB11_44
.LBB11_60:
	v_and_b32_e32 v1, s1, v20
	v_and_b32_e32 v2, s39, v13
	s_delay_alu instid0(VALU_DEP_2) | instskip(NEXT) | instid1(VALU_DEP_2)
	v_and_b32_e32 v1, 0xff, v1
	v_and_b32_e32 v2, 1, v2
	s_delay_alu instid0(VALU_DEP_2) | instskip(NEXT) | instid1(VALU_DEP_2)
	v_cmp_ne_u16_e32 vcc_lo, 0, v1
	v_cmp_eq_u32_e64 s0, 1, v2
	v_add_nc_u32_e32 v2, s48, v0
	v_add_nc_u32_e32 v0, 0x100, v0
	s_and_b32 s3, s8, vcc_lo
	s_delay_alu instid0(SALU_CYCLE_1) | instskip(NEXT) | instid1(SALU_CYCLE_1)
	s_or_b32 s0, s0, s3
	v_cndmask_b32_e64 v1, 0, 1, s0
	global_store_b8 v2, v1, s[40:41]
	s_wait_xcnt 0x0
	s_or_b32 exec_lo, exec_lo, s2
	s_delay_alu instid0(SALU_CYCLE_1)
	s_mov_b32 s2, exec_lo
	v_cmpx_gt_i32_e64 s52, v0
	s_cbranch_execz .LBB11_45
.LBB11_61:
	v_and_b32_e32 v2, s39, v22
	v_and_b32_e32 v1, s1, v23
	s_delay_alu instid0(VALU_DEP_2) | instskip(NEXT) | instid1(VALU_DEP_1)
	v_and_b32_e32 v2, 1, v2
	v_cmp_eq_u32_e64 s0, 1, v2
	v_add_nc_u32_e32 v2, s48, v0
	s_delay_alu instid0(VALU_DEP_4) | instskip(SKIP_1) | instid1(VALU_DEP_2)
	v_and_b32_e32 v1, 0xff, v1
	v_add_nc_u32_e32 v0, 0x100, v0
	v_cmp_ne_u16_e32 vcc_lo, 0, v1
	s_and_b32 s3, s11, vcc_lo
	s_delay_alu instid0(SALU_CYCLE_1) | instskip(NEXT) | instid1(SALU_CYCLE_1)
	s_or_b32 s0, s0, s3
	v_cndmask_b32_e64 v1, 0, 1, s0
	global_store_b8 v2, v1, s[40:41]
	s_wait_xcnt 0x0
	s_or_b32 exec_lo, exec_lo, s2
	s_delay_alu instid0(SALU_CYCLE_1)
	s_mov_b32 s2, exec_lo
	v_cmpx_gt_i32_e64 s52, v0
	s_cbranch_execz .LBB11_46
.LBB11_62:
	v_and_b32_e32 v1, s1, v24
	v_and_b32_e32 v2, s39, v17
	s_delay_alu instid0(VALU_DEP_2) | instskip(NEXT) | instid1(VALU_DEP_2)
	v_and_b32_e32 v1, 0xff, v1
	v_and_b32_e32 v2, 1, v2
	s_delay_alu instid0(VALU_DEP_2) | instskip(NEXT) | instid1(VALU_DEP_2)
	v_cmp_ne_u16_e32 vcc_lo, 0, v1
	v_cmp_eq_u32_e64 s0, 1, v2
	v_add_nc_u32_e32 v2, s48, v0
	v_add_nc_u32_e32 v0, 0x100, v0
	s_and_b32 s3, s10, vcc_lo
	s_delay_alu instid0(SALU_CYCLE_1) | instskip(NEXT) | instid1(SALU_CYCLE_1)
	s_or_b32 s0, s0, s3
	v_cndmask_b32_e64 v1, 0, 1, s0
	global_store_b8 v2, v1, s[40:41]
	s_wait_xcnt 0x0
	s_or_b32 exec_lo, exec_lo, s2
	s_delay_alu instid0(SALU_CYCLE_1)
	s_mov_b32 s2, exec_lo
	v_cmpx_gt_i32_e64 s52, v0
	s_cbranch_execz .LBB11_47
.LBB11_63:
	v_and_b32_e32 v2, s39, v26
	v_and_b32_e32 v1, s1, v27
	s_delay_alu instid0(VALU_DEP_2) | instskip(NEXT) | instid1(VALU_DEP_1)
	v_and_b32_e32 v2, 1, v2
	v_cmp_eq_u32_e64 s0, 1, v2
	v_add_nc_u32_e32 v2, s48, v0
	s_delay_alu instid0(VALU_DEP_4) | instskip(SKIP_1) | instid1(VALU_DEP_2)
	v_and_b32_e32 v1, 0xff, v1
	v_add_nc_u32_e32 v0, 0x100, v0
	v_cmp_ne_u16_e32 vcc_lo, 0, v1
	s_and_b32 s3, s13, vcc_lo
	s_delay_alu instid0(SALU_CYCLE_1) | instskip(NEXT) | instid1(SALU_CYCLE_1)
	s_or_b32 s0, s0, s3
	v_cndmask_b32_e64 v1, 0, 1, s0
	global_store_b8 v2, v1, s[40:41]
	s_wait_xcnt 0x0
	s_or_b32 exec_lo, exec_lo, s2
	s_delay_alu instid0(SALU_CYCLE_1)
	s_mov_b32 s2, exec_lo
	v_cmpx_gt_i32_e64 s52, v0
	s_cbranch_execz .LBB11_48
.LBB11_64:
	v_and_b32_e32 v1, s1, v28
	v_and_b32_e32 v2, s39, v21
	s_delay_alu instid0(VALU_DEP_2) | instskip(NEXT) | instid1(VALU_DEP_2)
	v_and_b32_e32 v1, 0xff, v1
	v_and_b32_e32 v2, 1, v2
	s_delay_alu instid0(VALU_DEP_2) | instskip(NEXT) | instid1(VALU_DEP_2)
	v_cmp_ne_u16_e32 vcc_lo, 0, v1
	v_cmp_eq_u32_e64 s0, 1, v2
	v_add_nc_u32_e32 v2, s48, v0
	v_add_nc_u32_e32 v0, 0x100, v0
	s_and_b32 s3, s12, vcc_lo
	s_delay_alu instid0(SALU_CYCLE_1) | instskip(NEXT) | instid1(SALU_CYCLE_1)
	s_or_b32 s0, s0, s3
	v_cndmask_b32_e64 v1, 0, 1, s0
	global_store_b8 v2, v1, s[40:41]
	s_wait_xcnt 0x0
	s_or_b32 exec_lo, exec_lo, s2
	s_delay_alu instid0(SALU_CYCLE_1)
	s_mov_b32 s2, exec_lo
	v_cmpx_gt_i32_e64 s52, v0
	s_cbranch_execz .LBB11_49
.LBB11_65:
	v_and_b32_e32 v2, s39, v29
	v_and_b32_e32 v1, s1, v30
	s_delay_alu instid0(VALU_DEP_2) | instskip(NEXT) | instid1(VALU_DEP_1)
	v_and_b32_e32 v2, 1, v2
	v_cmp_eq_u32_e64 s0, 1, v2
	v_add_nc_u32_e32 v2, s48, v0
	s_delay_alu instid0(VALU_DEP_4) | instskip(SKIP_1) | instid1(VALU_DEP_2)
	v_and_b32_e32 v1, 0xff, v1
	v_add_nc_u32_e32 v0, 0x100, v0
	v_cmp_ne_u16_e32 vcc_lo, 0, v1
	s_and_b32 s3, s15, vcc_lo
	s_delay_alu instid0(SALU_CYCLE_1) | instskip(NEXT) | instid1(SALU_CYCLE_1)
	s_or_b32 s0, s0, s3
	v_cndmask_b32_e64 v1, 0, 1, s0
	global_store_b8 v2, v1, s[40:41]
	s_wait_xcnt 0x0
	s_or_b32 exec_lo, exec_lo, s2
	s_delay_alu instid0(SALU_CYCLE_1)
	s_mov_b32 s2, exec_lo
	v_cmpx_gt_i32_e64 s52, v0
	s_cbranch_execz .LBB11_50
.LBB11_66:
	v_and_b32_e32 v1, s1, v32
	v_and_b32_e32 v2, s39, v25
	s_delay_alu instid0(VALU_DEP_2) | instskip(NEXT) | instid1(VALU_DEP_2)
	v_and_b32_e32 v1, 0xff, v1
	v_and_b32_e32 v2, 1, v2
	s_delay_alu instid0(VALU_DEP_2) | instskip(NEXT) | instid1(VALU_DEP_2)
	v_cmp_ne_u16_e32 vcc_lo, 0, v1
	v_cmp_eq_u32_e64 s0, 1, v2
	v_add_nc_u32_e32 v2, s48, v0
	v_add_nc_u32_e32 v0, 0x100, v0
	s_and_b32 s3, s14, vcc_lo
	s_delay_alu instid0(SALU_CYCLE_1) | instskip(NEXT) | instid1(SALU_CYCLE_1)
	s_or_b32 s0, s0, s3
	v_cndmask_b32_e64 v1, 0, 1, s0
	global_store_b8 v2, v1, s[40:41]
	s_wait_xcnt 0x0
	s_or_b32 exec_lo, exec_lo, s2
	s_delay_alu instid0(SALU_CYCLE_1)
	s_mov_b32 s2, exec_lo
	v_cmpx_gt_i32_e64 s52, v0
	s_cbranch_execz .LBB11_51
.LBB11_67:
	v_and_b32_e32 v2, s39, v33
	v_and_b32_e32 v1, s1, v34
	s_delay_alu instid0(VALU_DEP_2) | instskip(NEXT) | instid1(VALU_DEP_1)
	v_and_b32_e32 v2, 1, v2
	v_cmp_eq_u32_e64 s0, 1, v2
	v_add_nc_u32_e32 v2, s48, v0
	s_delay_alu instid0(VALU_DEP_4) | instskip(SKIP_1) | instid1(VALU_DEP_2)
	v_and_b32_e32 v1, 0xff, v1
	v_add_nc_u32_e32 v0, 0x100, v0
	v_cmp_ne_u16_e32 vcc_lo, 0, v1
	s_and_b32 s3, s17, vcc_lo
	s_delay_alu instid0(SALU_CYCLE_1) | instskip(NEXT) | instid1(SALU_CYCLE_1)
	s_or_b32 s0, s0, s3
	v_cndmask_b32_e64 v1, 0, 1, s0
	global_store_b8 v2, v1, s[40:41]
	s_wait_xcnt 0x0
	s_or_b32 exec_lo, exec_lo, s2
	s_delay_alu instid0(SALU_CYCLE_1)
	s_mov_b32 s0, exec_lo
	v_cmpx_gt_i32_e64 s52, v0
	s_cbranch_execnz .LBB11_52
	s_branch .LBB11_53
	.section	.rodata,"a",@progbits
	.p2align	6, 0x0
	.amdhsa_kernel _ZN2at6native29vectorized_elementwise_kernelILi2EZNS0_12_GLOBAL__N_116addr_kernel_cudaERNS_14TensorIteratorERKN3c106ScalarES8_EUlbbbE0_St5arrayIPcLm4EEEEviT0_T1_
		.amdhsa_group_segment_fixed_size 0
		.amdhsa_private_segment_fixed_size 0
		.amdhsa_kernarg_size 40
		.amdhsa_user_sgpr_count 2
		.amdhsa_user_sgpr_dispatch_ptr 0
		.amdhsa_user_sgpr_queue_ptr 0
		.amdhsa_user_sgpr_kernarg_segment_ptr 1
		.amdhsa_user_sgpr_dispatch_id 0
		.amdhsa_user_sgpr_kernarg_preload_length 0
		.amdhsa_user_sgpr_kernarg_preload_offset 0
		.amdhsa_user_sgpr_private_segment_size 0
		.amdhsa_wavefront_size32 1
		.amdhsa_uses_dynamic_stack 0
		.amdhsa_enable_private_segment 0
		.amdhsa_system_sgpr_workgroup_id_x 1
		.amdhsa_system_sgpr_workgroup_id_y 0
		.amdhsa_system_sgpr_workgroup_id_z 0
		.amdhsa_system_sgpr_workgroup_info 0
		.amdhsa_system_vgpr_workitem_id 0
		.amdhsa_next_free_vgpr 41
		.amdhsa_next_free_sgpr 57
		.amdhsa_named_barrier_count 0
		.amdhsa_reserve_vcc 1
		.amdhsa_float_round_mode_32 0
		.amdhsa_float_round_mode_16_64 0
		.amdhsa_float_denorm_mode_32 3
		.amdhsa_float_denorm_mode_16_64 3
		.amdhsa_fp16_overflow 0
		.amdhsa_memory_ordered 1
		.amdhsa_forward_progress 1
		.amdhsa_inst_pref_size 48
		.amdhsa_round_robin_scheduling 0
		.amdhsa_exception_fp_ieee_invalid_op 0
		.amdhsa_exception_fp_denorm_src 0
		.amdhsa_exception_fp_ieee_div_zero 0
		.amdhsa_exception_fp_ieee_overflow 0
		.amdhsa_exception_fp_ieee_underflow 0
		.amdhsa_exception_fp_ieee_inexact 0
		.amdhsa_exception_int_div_zero 0
	.end_amdhsa_kernel
	.section	.text._ZN2at6native29vectorized_elementwise_kernelILi2EZNS0_12_GLOBAL__N_116addr_kernel_cudaERNS_14TensorIteratorERKN3c106ScalarES8_EUlbbbE0_St5arrayIPcLm4EEEEviT0_T1_,"axG",@progbits,_ZN2at6native29vectorized_elementwise_kernelILi2EZNS0_12_GLOBAL__N_116addr_kernel_cudaERNS_14TensorIteratorERKN3c106ScalarES8_EUlbbbE0_St5arrayIPcLm4EEEEviT0_T1_,comdat
.Lfunc_end11:
	.size	_ZN2at6native29vectorized_elementwise_kernelILi2EZNS0_12_GLOBAL__N_116addr_kernel_cudaERNS_14TensorIteratorERKN3c106ScalarES8_EUlbbbE0_St5arrayIPcLm4EEEEviT0_T1_, .Lfunc_end11-_ZN2at6native29vectorized_elementwise_kernelILi2EZNS0_12_GLOBAL__N_116addr_kernel_cudaERNS_14TensorIteratorERKN3c106ScalarES8_EUlbbbE0_St5arrayIPcLm4EEEEviT0_T1_
                                        ; -- End function
	.set _ZN2at6native29vectorized_elementwise_kernelILi2EZNS0_12_GLOBAL__N_116addr_kernel_cudaERNS_14TensorIteratorERKN3c106ScalarES8_EUlbbbE0_St5arrayIPcLm4EEEEviT0_T1_.num_vgpr, 41
	.set _ZN2at6native29vectorized_elementwise_kernelILi2EZNS0_12_GLOBAL__N_116addr_kernel_cudaERNS_14TensorIteratorERKN3c106ScalarES8_EUlbbbE0_St5arrayIPcLm4EEEEviT0_T1_.num_agpr, 0
	.set _ZN2at6native29vectorized_elementwise_kernelILi2EZNS0_12_GLOBAL__N_116addr_kernel_cudaERNS_14TensorIteratorERKN3c106ScalarES8_EUlbbbE0_St5arrayIPcLm4EEEEviT0_T1_.numbered_sgpr, 57
	.set _ZN2at6native29vectorized_elementwise_kernelILi2EZNS0_12_GLOBAL__N_116addr_kernel_cudaERNS_14TensorIteratorERKN3c106ScalarES8_EUlbbbE0_St5arrayIPcLm4EEEEviT0_T1_.num_named_barrier, 0
	.set _ZN2at6native29vectorized_elementwise_kernelILi2EZNS0_12_GLOBAL__N_116addr_kernel_cudaERNS_14TensorIteratorERKN3c106ScalarES8_EUlbbbE0_St5arrayIPcLm4EEEEviT0_T1_.private_seg_size, 0
	.set _ZN2at6native29vectorized_elementwise_kernelILi2EZNS0_12_GLOBAL__N_116addr_kernel_cudaERNS_14TensorIteratorERKN3c106ScalarES8_EUlbbbE0_St5arrayIPcLm4EEEEviT0_T1_.uses_vcc, 1
	.set _ZN2at6native29vectorized_elementwise_kernelILi2EZNS0_12_GLOBAL__N_116addr_kernel_cudaERNS_14TensorIteratorERKN3c106ScalarES8_EUlbbbE0_St5arrayIPcLm4EEEEviT0_T1_.uses_flat_scratch, 0
	.set _ZN2at6native29vectorized_elementwise_kernelILi2EZNS0_12_GLOBAL__N_116addr_kernel_cudaERNS_14TensorIteratorERKN3c106ScalarES8_EUlbbbE0_St5arrayIPcLm4EEEEviT0_T1_.has_dyn_sized_stack, 0
	.set _ZN2at6native29vectorized_elementwise_kernelILi2EZNS0_12_GLOBAL__N_116addr_kernel_cudaERNS_14TensorIteratorERKN3c106ScalarES8_EUlbbbE0_St5arrayIPcLm4EEEEviT0_T1_.has_recursion, 0
	.set _ZN2at6native29vectorized_elementwise_kernelILi2EZNS0_12_GLOBAL__N_116addr_kernel_cudaERNS_14TensorIteratorERKN3c106ScalarES8_EUlbbbE0_St5arrayIPcLm4EEEEviT0_T1_.has_indirect_call, 0
	.section	.AMDGPU.csdata,"",@progbits
; Kernel info:
; codeLenInByte = 6116
; TotalNumSgprs: 59
; NumVgprs: 41
; ScratchSize: 0
; MemoryBound: 0
; FloatMode: 240
; IeeeMode: 1
; LDSByteSize: 0 bytes/workgroup (compile time only)
; SGPRBlocks: 0
; VGPRBlocks: 2
; NumSGPRsForWavesPerEU: 59
; NumVGPRsForWavesPerEU: 41
; NamedBarCnt: 0
; Occupancy: 16
; WaveLimiterHint : 1
; COMPUTE_PGM_RSRC2:SCRATCH_EN: 0
; COMPUTE_PGM_RSRC2:USER_SGPR: 2
; COMPUTE_PGM_RSRC2:TRAP_HANDLER: 0
; COMPUTE_PGM_RSRC2:TGID_X_EN: 1
; COMPUTE_PGM_RSRC2:TGID_Y_EN: 0
; COMPUTE_PGM_RSRC2:TGID_Z_EN: 0
; COMPUTE_PGM_RSRC2:TIDIG_COMP_CNT: 0
	.section	.text._ZN2at6native27unrolled_elementwise_kernelIZNS0_12_GLOBAL__N_116addr_kernel_cudaERNS_14TensorIteratorERKN3c106ScalarES8_EUlbbbE0_St5arrayIPcLm4EELi4E23TrivialOffsetCalculatorILi3EjESD_ILi1EjENS0_6memory15LoadWithoutCastENSG_16StoreWithoutCastEEEviT_T0_T2_T3_T4_T5_,"axG",@progbits,_ZN2at6native27unrolled_elementwise_kernelIZNS0_12_GLOBAL__N_116addr_kernel_cudaERNS_14TensorIteratorERKN3c106ScalarES8_EUlbbbE0_St5arrayIPcLm4EELi4E23TrivialOffsetCalculatorILi3EjESD_ILi1EjENS0_6memory15LoadWithoutCastENSG_16StoreWithoutCastEEEviT_T0_T2_T3_T4_T5_,comdat
	.globl	_ZN2at6native27unrolled_elementwise_kernelIZNS0_12_GLOBAL__N_116addr_kernel_cudaERNS_14TensorIteratorERKN3c106ScalarES8_EUlbbbE0_St5arrayIPcLm4EELi4E23TrivialOffsetCalculatorILi3EjESD_ILi1EjENS0_6memory15LoadWithoutCastENSG_16StoreWithoutCastEEEviT_T0_T2_T3_T4_T5_ ; -- Begin function _ZN2at6native27unrolled_elementwise_kernelIZNS0_12_GLOBAL__N_116addr_kernel_cudaERNS_14TensorIteratorERKN3c106ScalarES8_EUlbbbE0_St5arrayIPcLm4EELi4E23TrivialOffsetCalculatorILi3EjESD_ILi1EjENS0_6memory15LoadWithoutCastENSG_16StoreWithoutCastEEEviT_T0_T2_T3_T4_T5_
	.p2align	8
	.type	_ZN2at6native27unrolled_elementwise_kernelIZNS0_12_GLOBAL__N_116addr_kernel_cudaERNS_14TensorIteratorERKN3c106ScalarES8_EUlbbbE0_St5arrayIPcLm4EELi4E23TrivialOffsetCalculatorILi3EjESD_ILi1EjENS0_6memory15LoadWithoutCastENSG_16StoreWithoutCastEEEviT_T0_T2_T3_T4_T5_,@function
_ZN2at6native27unrolled_elementwise_kernelIZNS0_12_GLOBAL__N_116addr_kernel_cudaERNS_14TensorIteratorERKN3c106ScalarES8_EUlbbbE0_St5arrayIPcLm4EELi4E23TrivialOffsetCalculatorILi3EjESD_ILi1EjENS0_6memory15LoadWithoutCastENSG_16StoreWithoutCastEEEviT_T0_T2_T3_T4_T5_: ; @_ZN2at6native27unrolled_elementwise_kernelIZNS0_12_GLOBAL__N_116addr_kernel_cudaERNS_14TensorIteratorERKN3c106ScalarES8_EUlbbbE0_St5arrayIPcLm4EELi4E23TrivialOffsetCalculatorILi3EjESD_ILi1EjENS0_6memory15LoadWithoutCastENSG_16StoreWithoutCastEEEviT_T0_T2_T3_T4_T5_
; %bb.0:
	v_dual_mov_b32 v1, 0 :: v_dual_mov_b32 v5, 0
	s_bfe_u32 s2, ttmp6, 0x4000c
	s_load_b256 s[4:11], s[0:1], 0x8
	s_add_co_i32 s2, s2, 1
	global_load_u16 v4, v1, s[0:1] offset:4
	s_load_b32 s3, s[0:1], 0x0
	s_wait_xcnt 0x0
	s_and_b32 s0, ttmp6, 15
	s_mul_i32 s1, ttmp9, s2
	s_getreg_b32 s2, hwreg(HW_REG_IB_STS2, 6, 4)
	s_add_co_i32 s0, s0, s1
	s_cmp_eq_u32 s2, 0
	v_or_b32_e32 v2, 0x100, v0
	s_cselect_b32 s0, ttmp9, s0
	v_mov_b32_e32 v11, v0
	s_lshl_b32 s2, s0, 10
	s_delay_alu instid0(SALU_CYCLE_1) | instskip(SKIP_4) | instid1(SALU_CYCLE_1)
	v_dual_mov_b32 v6, 0 :: v_dual_bitop2_b32 v3, s2, v0 bitop3:0x54
	s_mov_b32 s13, 0
	s_mov_b32 s15, 0
	s_wait_kmcnt 0x0
	s_sub_co_i32 s12, s3, s2
	v_cmp_gt_i32_e32 vcc_lo, s12, v0
	s_wait_loadcnt 0x0
	v_readfirstlane_b32 s3, v4
	s_and_saveexec_b32 s14, vcc_lo
	s_cbranch_execz .LBB12_2
; %bb.1:
	s_clause 0x2
	global_load_u8 v4, v3, s[6:7]
	global_load_u8 v6, v3, s[10:11]
	;; [unrolled: 1-line block ×3, first 2 shown]
	v_or_b32_e32 v11, 0x100, v0
	s_wait_loadcnt 0x2
	v_cmp_ne_u16_e64 s0, 0, v4
	s_wait_loadcnt 0x0
	v_cmp_ne_u16_e64 s1, 0, v7
	s_delay_alu instid0(VALU_DEP_2) | instskip(SKIP_1) | instid1(VALU_DEP_3)
	v_cndmask_b32_e64 v5, 0, 1, s0
	v_cmp_ne_u16_e64 s0, 0, v6
	v_cndmask_b32_e64 v6, 0, 1, s1
	s_and_b32 s15, s0, exec_lo
.LBB12_2:
	s_or_b32 exec_lo, exec_lo, s14
	v_mov_b32_e32 v7, 0
	s_mov_b32 s14, exec_lo
	v_cmpx_gt_i32_e64 s12, v11
	s_cbranch_execz .LBB12_4
; %bb.3:
	v_add_nc_u32_e32 v1, s2, v11
	v_add_nc_u32_e32 v11, 0x100, v11
	s_clause 0x2
	global_load_u8 v4, v1, s[6:7]
	global_load_u8 v7, v1, s[10:11]
	;; [unrolled: 1-line block ×3, first 2 shown]
	s_wait_loadcnt 0x2
	v_cmp_ne_u16_e64 s0, 0, v4
	s_wait_loadcnt 0x0
	v_cmp_ne_u16_e64 s1, 0, v8
	s_delay_alu instid0(VALU_DEP_2) | instskip(SKIP_1) | instid1(VALU_DEP_3)
	v_cndmask_b32_e64 v1, 0, 1, s0
	v_cmp_ne_u16_e64 s0, 0, v7
	v_cndmask_b32_e64 v7, 0, 1, s1
	s_and_b32 s13, s0, exec_lo
.LBB12_4:
	s_or_b32 exec_lo, exec_lo, s14
	v_dual_mov_b32 v4, 0 :: v_dual_mov_b32 v8, 0
	v_mov_b32_e32 v9, 0
	s_mov_b32 s14, 0
	s_mov_b32 s16, 0
	s_mov_b32 s17, exec_lo
	v_cmpx_gt_i32_e64 s12, v11
	s_cbranch_execz .LBB12_6
; %bb.5:
	v_add_nc_u32_e32 v8, s2, v11
	v_add_nc_u32_e32 v11, 0x100, v11
	s_clause 0x2
	global_load_u8 v9, v8, s[6:7]
	global_load_u8 v10, v8, s[10:11]
	;; [unrolled: 1-line block ×3, first 2 shown]
	s_wait_loadcnt 0x2
	v_cmp_ne_u16_e64 s0, 0, v9
	s_wait_loadcnt 0x0
	v_cmp_ne_u16_e64 s1, 0, v12
	s_delay_alu instid0(VALU_DEP_2) | instskip(SKIP_1) | instid1(VALU_DEP_3)
	v_cndmask_b32_e64 v8, 0, 1, s0
	v_cmp_ne_u16_e64 s0, 0, v10
	v_cndmask_b32_e64 v9, 0, 1, s1
	s_and_b32 s16, s0, exec_lo
.LBB12_6:
	s_or_b32 exec_lo, exec_lo, s17
	v_mov_b32_e32 v10, 0
	s_mov_b32 s17, exec_lo
	v_cmpx_gt_i32_e64 s12, v11
	s_cbranch_execnz .LBB12_13
; %bb.7:
	s_or_b32 exec_lo, exec_lo, s17
	s_and_saveexec_b32 s1, vcc_lo
	s_cbranch_execnz .LBB12_14
.LBB12_8:
	s_or_b32 exec_lo, exec_lo, s1
	s_delay_alu instid0(SALU_CYCLE_1)
	s_mov_b32 s1, exec_lo
	v_cmpx_gt_i32_e64 s12, v0
	s_cbranch_execz .LBB12_10
.LBB12_9:
	v_dual_add_nc_u32 v3, s2, v0 :: v_dual_bitop2_b32 v1, s3, v1 bitop3:0x40
	s_and_b32 s0, 0xffff, s3
	s_delay_alu instid0(SALU_CYCLE_1) | instskip(NEXT) | instid1(VALU_DEP_1)
	s_lshr_b32 s0, s0, 8
	v_and_b32_e32 v1, 1, v1
	v_and_b32_e32 v2, s0, v7
	s_delay_alu instid0(VALU_DEP_2) | instskip(SKIP_1) | instid1(VALU_DEP_1)
	v_cmp_eq_u32_e64 s0, 1, v1
	v_add_nc_u32_e32 v1, 0x100, v0
	v_mov_b32_e32 v0, v1
	s_delay_alu instid0(VALU_DEP_4) | instskip(SKIP_1) | instid1(SALU_CYCLE_1)
	v_cmp_ne_u16_e32 vcc_lo, 0, v2
	s_and_b32 s6, s13, vcc_lo
	s_or_b32 s0, s0, s6
	s_delay_alu instid0(SALU_CYCLE_1)
	v_cndmask_b32_e64 v2, 0, 1, s0
	global_store_b8 v3, v2, s[4:5]
.LBB12_10:
	s_wait_xcnt 0x0
	s_or_b32 exec_lo, exec_lo, s1
	s_and_b32 s0, 0xffff, s3
	s_mov_b32 s6, exec_lo
	s_lshr_b32 s1, s0, 8
	v_cmpx_gt_i32_e64 s12, v0
	s_cbranch_execnz .LBB12_15
; %bb.11:
	s_or_b32 exec_lo, exec_lo, s6
	s_delay_alu instid0(SALU_CYCLE_1)
	s_mov_b32 s0, exec_lo
	v_cmpx_gt_i32_e64 s12, v0
	s_cbranch_execnz .LBB12_16
.LBB12_12:
	s_endpgm
.LBB12_13:
	v_add_nc_u32_e32 v4, s2, v11
	s_clause 0x2
	global_load_u8 v10, v4, s[6:7]
	global_load_u8 v11, v4, s[10:11]
	;; [unrolled: 1-line block ×3, first 2 shown]
	s_wait_loadcnt 0x2
	v_cmp_ne_u16_e64 s0, 0, v10
	s_wait_loadcnt 0x0
	v_cmp_ne_u16_e64 s1, 0, v12
	s_delay_alu instid0(VALU_DEP_2) | instskip(SKIP_1) | instid1(VALU_DEP_3)
	v_cndmask_b32_e64 v4, 0, 1, s0
	v_cmp_ne_u16_e64 s0, 0, v11
	v_cndmask_b32_e64 v10, 0, 1, s1
	s_and_b32 s14, s0, exec_lo
	s_or_b32 exec_lo, exec_lo, s17
	s_and_saveexec_b32 s1, vcc_lo
	s_cbranch_execz .LBB12_8
.LBB12_14:
	v_and_b32_e32 v0, s3, v5
	s_and_b32 s0, 0xffff, s3
	s_delay_alu instid0(SALU_CYCLE_1) | instskip(NEXT) | instid1(SALU_CYCLE_1)
	s_lshr_b32 s0, s0, 8
	v_and_b32_e32 v5, s0, v6
	s_delay_alu instid0(VALU_DEP_2) | instskip(NEXT) | instid1(VALU_DEP_1)
	v_and_b32_e32 v0, 1, v0
	v_cmp_eq_u32_e64 s0, 1, v0
	v_mov_b32_e32 v0, v2
	s_delay_alu instid0(VALU_DEP_4) | instskip(SKIP_1) | instid1(SALU_CYCLE_1)
	v_cmp_ne_u16_e32 vcc_lo, 0, v5
	s_and_b32 s6, s15, vcc_lo
	s_or_b32 s0, s0, s6
	s_delay_alu instid0(SALU_CYCLE_1) | instskip(SKIP_3) | instid1(SALU_CYCLE_1)
	v_cndmask_b32_e64 v5, 0, 1, s0
	global_store_b8 v3, v5, s[4:5]
	s_wait_xcnt 0x0
	s_or_b32 exec_lo, exec_lo, s1
	s_mov_b32 s1, exec_lo
	v_cmpx_gt_i32_e64 s12, v0
	s_cbranch_execnz .LBB12_9
	s_branch .LBB12_10
.LBB12_15:
	v_dual_add_nc_u32 v3, s2, v0 :: v_dual_bitop2_b32 v1, s1, v9 bitop3:0x40
	s_delay_alu instid0(VALU_DEP_1) | instskip(NEXT) | instid1(VALU_DEP_1)
	v_and_b32_e32 v1, 0xff, v1
	v_cmp_ne_u16_e32 vcc_lo, 0, v1
	v_add_nc_u32_e32 v1, 0x100, v0
	v_and_b32_e32 v2, s3, v8
	s_and_b32 s7, s16, vcc_lo
	s_delay_alu instid0(VALU_DEP_1) | instskip(NEXT) | instid1(VALU_DEP_1)
	v_dual_mov_b32 v0, v1 :: v_dual_bitop2_b32 v2, 1, v2 bitop3:0x40
	v_cmp_eq_u32_e64 s0, 1, v2
	s_or_b32 s0, s0, s7
	s_delay_alu instid0(SALU_CYCLE_1) | instskip(SKIP_3) | instid1(SALU_CYCLE_1)
	v_cndmask_b32_e64 v2, 0, 1, s0
	global_store_b8 v3, v2, s[4:5]
	s_wait_xcnt 0x0
	s_or_b32 exec_lo, exec_lo, s6
	s_mov_b32 s0, exec_lo
	v_cmpx_gt_i32_e64 s12, v0
	s_cbranch_execz .LBB12_12
.LBB12_16:
	v_dual_add_nc_u32 v0, s2, v0 :: v_dual_bitop2_b32 v1, s1, v10 bitop3:0x40
	v_and_b32_e32 v2, s3, v4
	s_delay_alu instid0(VALU_DEP_2) | instskip(NEXT) | instid1(VALU_DEP_2)
	v_and_b32_e32 v1, 0xff, v1
	v_and_b32_e32 v2, 1, v2
	s_delay_alu instid0(VALU_DEP_2) | instskip(NEXT) | instid1(VALU_DEP_2)
	v_cmp_ne_u16_e32 vcc_lo, 0, v1
	v_cmp_eq_u32_e64 s0, 1, v2
	s_and_b32 s1, s14, vcc_lo
	s_delay_alu instid0(SALU_CYCLE_1) | instskip(NEXT) | instid1(SALU_CYCLE_1)
	s_or_b32 s0, s0, s1
	v_cndmask_b32_e64 v1, 0, 1, s0
	global_store_b8 v0, v1, s[4:5]
	s_endpgm
	.section	.rodata,"a",@progbits
	.p2align	6, 0x0
	.amdhsa_kernel _ZN2at6native27unrolled_elementwise_kernelIZNS0_12_GLOBAL__N_116addr_kernel_cudaERNS_14TensorIteratorERKN3c106ScalarES8_EUlbbbE0_St5arrayIPcLm4EELi4E23TrivialOffsetCalculatorILi3EjESD_ILi1EjENS0_6memory15LoadWithoutCastENSG_16StoreWithoutCastEEEviT_T0_T2_T3_T4_T5_
		.amdhsa_group_segment_fixed_size 0
		.amdhsa_private_segment_fixed_size 0
		.amdhsa_kernarg_size 44
		.amdhsa_user_sgpr_count 2
		.amdhsa_user_sgpr_dispatch_ptr 0
		.amdhsa_user_sgpr_queue_ptr 0
		.amdhsa_user_sgpr_kernarg_segment_ptr 1
		.amdhsa_user_sgpr_dispatch_id 0
		.amdhsa_user_sgpr_kernarg_preload_length 0
		.amdhsa_user_sgpr_kernarg_preload_offset 0
		.amdhsa_user_sgpr_private_segment_size 0
		.amdhsa_wavefront_size32 1
		.amdhsa_uses_dynamic_stack 0
		.amdhsa_enable_private_segment 0
		.amdhsa_system_sgpr_workgroup_id_x 1
		.amdhsa_system_sgpr_workgroup_id_y 0
		.amdhsa_system_sgpr_workgroup_id_z 0
		.amdhsa_system_sgpr_workgroup_info 0
		.amdhsa_system_vgpr_workitem_id 0
		.amdhsa_next_free_vgpr 13
		.amdhsa_next_free_sgpr 18
		.amdhsa_named_barrier_count 0
		.amdhsa_reserve_vcc 1
		.amdhsa_float_round_mode_32 0
		.amdhsa_float_round_mode_16_64 0
		.amdhsa_float_denorm_mode_32 3
		.amdhsa_float_denorm_mode_16_64 3
		.amdhsa_fp16_overflow 0
		.amdhsa_memory_ordered 1
		.amdhsa_forward_progress 1
		.amdhsa_inst_pref_size 10
		.amdhsa_round_robin_scheduling 0
		.amdhsa_exception_fp_ieee_invalid_op 0
		.amdhsa_exception_fp_denorm_src 0
		.amdhsa_exception_fp_ieee_div_zero 0
		.amdhsa_exception_fp_ieee_overflow 0
		.amdhsa_exception_fp_ieee_underflow 0
		.amdhsa_exception_fp_ieee_inexact 0
		.amdhsa_exception_int_div_zero 0
	.end_amdhsa_kernel
	.section	.text._ZN2at6native27unrolled_elementwise_kernelIZNS0_12_GLOBAL__N_116addr_kernel_cudaERNS_14TensorIteratorERKN3c106ScalarES8_EUlbbbE0_St5arrayIPcLm4EELi4E23TrivialOffsetCalculatorILi3EjESD_ILi1EjENS0_6memory15LoadWithoutCastENSG_16StoreWithoutCastEEEviT_T0_T2_T3_T4_T5_,"axG",@progbits,_ZN2at6native27unrolled_elementwise_kernelIZNS0_12_GLOBAL__N_116addr_kernel_cudaERNS_14TensorIteratorERKN3c106ScalarES8_EUlbbbE0_St5arrayIPcLm4EELi4E23TrivialOffsetCalculatorILi3EjESD_ILi1EjENS0_6memory15LoadWithoutCastENSG_16StoreWithoutCastEEEviT_T0_T2_T3_T4_T5_,comdat
.Lfunc_end12:
	.size	_ZN2at6native27unrolled_elementwise_kernelIZNS0_12_GLOBAL__N_116addr_kernel_cudaERNS_14TensorIteratorERKN3c106ScalarES8_EUlbbbE0_St5arrayIPcLm4EELi4E23TrivialOffsetCalculatorILi3EjESD_ILi1EjENS0_6memory15LoadWithoutCastENSG_16StoreWithoutCastEEEviT_T0_T2_T3_T4_T5_, .Lfunc_end12-_ZN2at6native27unrolled_elementwise_kernelIZNS0_12_GLOBAL__N_116addr_kernel_cudaERNS_14TensorIteratorERKN3c106ScalarES8_EUlbbbE0_St5arrayIPcLm4EELi4E23TrivialOffsetCalculatorILi3EjESD_ILi1EjENS0_6memory15LoadWithoutCastENSG_16StoreWithoutCastEEEviT_T0_T2_T3_T4_T5_
                                        ; -- End function
	.set _ZN2at6native27unrolled_elementwise_kernelIZNS0_12_GLOBAL__N_116addr_kernel_cudaERNS_14TensorIteratorERKN3c106ScalarES8_EUlbbbE0_St5arrayIPcLm4EELi4E23TrivialOffsetCalculatorILi3EjESD_ILi1EjENS0_6memory15LoadWithoutCastENSG_16StoreWithoutCastEEEviT_T0_T2_T3_T4_T5_.num_vgpr, 13
	.set _ZN2at6native27unrolled_elementwise_kernelIZNS0_12_GLOBAL__N_116addr_kernel_cudaERNS_14TensorIteratorERKN3c106ScalarES8_EUlbbbE0_St5arrayIPcLm4EELi4E23TrivialOffsetCalculatorILi3EjESD_ILi1EjENS0_6memory15LoadWithoutCastENSG_16StoreWithoutCastEEEviT_T0_T2_T3_T4_T5_.num_agpr, 0
	.set _ZN2at6native27unrolled_elementwise_kernelIZNS0_12_GLOBAL__N_116addr_kernel_cudaERNS_14TensorIteratorERKN3c106ScalarES8_EUlbbbE0_St5arrayIPcLm4EELi4E23TrivialOffsetCalculatorILi3EjESD_ILi1EjENS0_6memory15LoadWithoutCastENSG_16StoreWithoutCastEEEviT_T0_T2_T3_T4_T5_.numbered_sgpr, 18
	.set _ZN2at6native27unrolled_elementwise_kernelIZNS0_12_GLOBAL__N_116addr_kernel_cudaERNS_14TensorIteratorERKN3c106ScalarES8_EUlbbbE0_St5arrayIPcLm4EELi4E23TrivialOffsetCalculatorILi3EjESD_ILi1EjENS0_6memory15LoadWithoutCastENSG_16StoreWithoutCastEEEviT_T0_T2_T3_T4_T5_.num_named_barrier, 0
	.set _ZN2at6native27unrolled_elementwise_kernelIZNS0_12_GLOBAL__N_116addr_kernel_cudaERNS_14TensorIteratorERKN3c106ScalarES8_EUlbbbE0_St5arrayIPcLm4EELi4E23TrivialOffsetCalculatorILi3EjESD_ILi1EjENS0_6memory15LoadWithoutCastENSG_16StoreWithoutCastEEEviT_T0_T2_T3_T4_T5_.private_seg_size, 0
	.set _ZN2at6native27unrolled_elementwise_kernelIZNS0_12_GLOBAL__N_116addr_kernel_cudaERNS_14TensorIteratorERKN3c106ScalarES8_EUlbbbE0_St5arrayIPcLm4EELi4E23TrivialOffsetCalculatorILi3EjESD_ILi1EjENS0_6memory15LoadWithoutCastENSG_16StoreWithoutCastEEEviT_T0_T2_T3_T4_T5_.uses_vcc, 1
	.set _ZN2at6native27unrolled_elementwise_kernelIZNS0_12_GLOBAL__N_116addr_kernel_cudaERNS_14TensorIteratorERKN3c106ScalarES8_EUlbbbE0_St5arrayIPcLm4EELi4E23TrivialOffsetCalculatorILi3EjESD_ILi1EjENS0_6memory15LoadWithoutCastENSG_16StoreWithoutCastEEEviT_T0_T2_T3_T4_T5_.uses_flat_scratch, 0
	.set _ZN2at6native27unrolled_elementwise_kernelIZNS0_12_GLOBAL__N_116addr_kernel_cudaERNS_14TensorIteratorERKN3c106ScalarES8_EUlbbbE0_St5arrayIPcLm4EELi4E23TrivialOffsetCalculatorILi3EjESD_ILi1EjENS0_6memory15LoadWithoutCastENSG_16StoreWithoutCastEEEviT_T0_T2_T3_T4_T5_.has_dyn_sized_stack, 0
	.set _ZN2at6native27unrolled_elementwise_kernelIZNS0_12_GLOBAL__N_116addr_kernel_cudaERNS_14TensorIteratorERKN3c106ScalarES8_EUlbbbE0_St5arrayIPcLm4EELi4E23TrivialOffsetCalculatorILi3EjESD_ILi1EjENS0_6memory15LoadWithoutCastENSG_16StoreWithoutCastEEEviT_T0_T2_T3_T4_T5_.has_recursion, 0
	.set _ZN2at6native27unrolled_elementwise_kernelIZNS0_12_GLOBAL__N_116addr_kernel_cudaERNS_14TensorIteratorERKN3c106ScalarES8_EUlbbbE0_St5arrayIPcLm4EELi4E23TrivialOffsetCalculatorILi3EjESD_ILi1EjENS0_6memory15LoadWithoutCastENSG_16StoreWithoutCastEEEviT_T0_T2_T3_T4_T5_.has_indirect_call, 0
	.section	.AMDGPU.csdata,"",@progbits
; Kernel info:
; codeLenInByte = 1188
; TotalNumSgprs: 20
; NumVgprs: 13
; ScratchSize: 0
; MemoryBound: 0
; FloatMode: 240
; IeeeMode: 1
; LDSByteSize: 0 bytes/workgroup (compile time only)
; SGPRBlocks: 0
; VGPRBlocks: 0
; NumSGPRsForWavesPerEU: 20
; NumVGPRsForWavesPerEU: 13
; NamedBarCnt: 0
; Occupancy: 16
; WaveLimiterHint : 0
; COMPUTE_PGM_RSRC2:SCRATCH_EN: 0
; COMPUTE_PGM_RSRC2:USER_SGPR: 2
; COMPUTE_PGM_RSRC2:TRAP_HANDLER: 0
; COMPUTE_PGM_RSRC2:TGID_X_EN: 1
; COMPUTE_PGM_RSRC2:TGID_Y_EN: 0
; COMPUTE_PGM_RSRC2:TGID_Z_EN: 0
; COMPUTE_PGM_RSRC2:TIDIG_COMP_CNT: 0
	.section	.text._ZN2at6native32elementwise_kernel_manual_unrollILi128ELi8EZNS0_22gpu_kernel_impl_nocastIZNS0_12_GLOBAL__N_116addr_kernel_cudaERNS_14TensorIteratorERKN3c106ScalarES9_EUlbbbE0_EEvRNS_18TensorIteratorBaseERKT_EUlibE_EEviT1_,"axG",@progbits,_ZN2at6native32elementwise_kernel_manual_unrollILi128ELi8EZNS0_22gpu_kernel_impl_nocastIZNS0_12_GLOBAL__N_116addr_kernel_cudaERNS_14TensorIteratorERKN3c106ScalarES9_EUlbbbE0_EEvRNS_18TensorIteratorBaseERKT_EUlibE_EEviT1_,comdat
	.globl	_ZN2at6native32elementwise_kernel_manual_unrollILi128ELi8EZNS0_22gpu_kernel_impl_nocastIZNS0_12_GLOBAL__N_116addr_kernel_cudaERNS_14TensorIteratorERKN3c106ScalarES9_EUlbbbE0_EEvRNS_18TensorIteratorBaseERKT_EUlibE_EEviT1_ ; -- Begin function _ZN2at6native32elementwise_kernel_manual_unrollILi128ELi8EZNS0_22gpu_kernel_impl_nocastIZNS0_12_GLOBAL__N_116addr_kernel_cudaERNS_14TensorIteratorERKN3c106ScalarES9_EUlbbbE0_EEvRNS_18TensorIteratorBaseERKT_EUlibE_EEviT1_
	.p2align	8
	.type	_ZN2at6native32elementwise_kernel_manual_unrollILi128ELi8EZNS0_22gpu_kernel_impl_nocastIZNS0_12_GLOBAL__N_116addr_kernel_cudaERNS_14TensorIteratorERKN3c106ScalarES9_EUlbbbE0_EEvRNS_18TensorIteratorBaseERKT_EUlibE_EEviT1_,@function
_ZN2at6native32elementwise_kernel_manual_unrollILi128ELi8EZNS0_22gpu_kernel_impl_nocastIZNS0_12_GLOBAL__N_116addr_kernel_cudaERNS_14TensorIteratorERKN3c106ScalarES9_EUlbbbE0_EEvRNS_18TensorIteratorBaseERKT_EUlibE_EEviT1_: ; @_ZN2at6native32elementwise_kernel_manual_unrollILi128ELi8EZNS0_22gpu_kernel_impl_nocastIZNS0_12_GLOBAL__N_116addr_kernel_cudaERNS_14TensorIteratorERKN3c106ScalarES9_EUlbbbE0_EEvRNS_18TensorIteratorBaseERKT_EUlibE_EEviT1_
; %bb.0:
	s_clause 0x1
	s_load_b32 s33, s[0:1], 0x8
	s_load_b32 s39, s[0:1], 0x0
	s_bfe_u32 s2, ttmp6, 0x4000c
	s_and_b32 s3, ttmp6, 15
	s_add_co_i32 s2, s2, 1
	s_getreg_b32 s4, hwreg(HW_REG_IB_STS2, 6, 4)
	s_mul_i32 s2, ttmp9, s2
	s_mov_b32 s25, 0
	s_add_co_i32 s3, s3, s2
	s_cmp_eq_u32 s4, 0
	s_cselect_b32 s2, ttmp9, s3
	s_delay_alu instid0(SALU_CYCLE_1) | instskip(SKIP_3) | instid1(VALU_DEP_1)
	v_lshl_or_b32 v0, s2, 10, v0
	s_add_nc_u64 s[2:3], s[0:1], 8
	s_wait_xcnt 0x0
	s_mov_b32 s0, exec_lo
	v_or_b32_e32 v5, 0x380, v0
	s_wait_kmcnt 0x0
	s_add_co_i32 s34, s33, -1
	s_delay_alu instid0(SALU_CYCLE_1)
	s_cmp_gt_u32 s34, 1
	s_cselect_b32 s35, -1, 0
	v_cmpx_le_i32_e64 s39, v5
	s_xor_b32 s36, exec_lo, s0
	s_cbranch_execz .LBB13_106
; %bb.1:
	s_clause 0x4
	s_load_b128 s[20:23], s[2:3], 0x4
	s_load_b32 s0, s[2:3], 0x1e8
	s_load_b64 s[26:27], s[2:3], 0x14
	s_load_b256 s[12:19], s[2:3], 0xc4
	s_load_b256 s[4:11], s[2:3], 0x1c8
	s_cmp_lg_u32 s33, 0
	s_mov_b32 s29, s25
	s_cselect_b32 s40, -1, 0
	s_min_u32 s38, s34, 15
	s_cmp_gt_u32 s33, 1
	s_mov_b32 s41, exec_lo
	s_cselect_b32 s37, -1, 0
	s_wait_kmcnt 0x0
	s_mov_b32 s24, s21
	s_and_b32 s1, s0, 0xffff
	s_bitcmp1_b32 s0, 0
	s_mov_b32 s28, s26
	s_cselect_b32 s21, -1, 0
	s_bitcmp1_b32 s1, 8
	s_cselect_b32 s26, -1, 0
	v_cmpx_gt_i32_e64 s39, v0
	s_cbranch_execnz .LBB13_9
; %bb.2:
	s_or_b32 exec_lo, exec_lo, s41
	s_delay_alu instid0(SALU_CYCLE_1)
	s_mov_b32 s41, exec_lo
	v_cmpx_gt_i32_e64 s39, v0
	s_cbranch_execnz .LBB13_21
.LBB13_3:
	s_or_b32 exec_lo, exec_lo, s41
	s_delay_alu instid0(SALU_CYCLE_1)
	s_mov_b32 s41, exec_lo
	v_cmpx_gt_i32_e64 s39, v0
	s_cbranch_execnz .LBB13_33
.LBB13_4:
	s_or_b32 exec_lo, exec_lo, s41
	s_delay_alu instid0(SALU_CYCLE_1)
	s_mov_b32 s41, exec_lo
	v_cmpx_gt_i32_e64 s39, v0
	s_cbranch_execnz .LBB13_45
.LBB13_5:
	s_or_b32 exec_lo, exec_lo, s41
	s_delay_alu instid0(SALU_CYCLE_1)
	s_mov_b32 s41, exec_lo
	v_cmpx_gt_i32_e64 s39, v0
	s_cbranch_execnz .LBB13_57
.LBB13_6:
	s_or_b32 exec_lo, exec_lo, s41
	s_delay_alu instid0(SALU_CYCLE_1)
	s_mov_b32 s41, exec_lo
	v_cmpx_gt_i32_e64 s39, v0
	s_cbranch_execnz .LBB13_69
.LBB13_7:
	s_or_b32 exec_lo, exec_lo, s41
	s_delay_alu instid0(SALU_CYCLE_1)
	s_mov_b32 s41, exec_lo
	v_cmpx_gt_i32_e64 s39, v0
	s_cbranch_execnz .LBB13_81
.LBB13_8:
	s_or_b32 exec_lo, exec_lo, s41
	v_cmp_gt_i32_e32 vcc_lo, s39, v0
	s_and_saveexec_b32 s39, vcc_lo
	s_cbranch_execnz .LBB13_93
	s_branch .LBB13_105
.LBB13_9:
	s_and_not1_b32 vcc_lo, exec_lo, s35
	s_cbranch_vccnz .LBB13_15
; %bb.10:
	s_and_not1_b32 vcc_lo, exec_lo, s40
	s_cbranch_vccnz .LBB13_16
; %bb.11:
	v_dual_mov_b32 v6, 0 :: v_dual_mov_b32 v1, v0
	v_dual_mov_b32 v7, 0 :: v_dual_mov_b32 v4, 0
	v_mov_b32_e32 v5, 0
	s_add_co_i32 s30, s38, 1
	s_mov_b64 s[0:1], 0xffffffffffffffe0
	s_and_b32 s42, s30, 30
	s_add_nc_u64 s[0:1], s[2:3], s[0:1]
	s_mov_b64 s[30:31], s[2:3]
.LBB13_12:                              ; =>This Inner Loop Header: Depth=1
	s_clause 0x1
	s_load_b128 s[52:55], s[30:31], 0x4
	s_load_b64 s[56:57], s[30:31], 0x14
	s_load_b256 s[44:51], s[0:1], 0xe4
	s_add_co_i32 s42, s42, -2
	s_wait_xcnt 0x0
	s_add_nc_u64 s[30:31], s[30:31], 24
	s_cmp_lg_u32 s42, 0
	s_add_nc_u64 s[0:1], s[0:1], 32
	s_wait_kmcnt 0x0
	v_mul_hi_u32 v2, s53, v1
	s_delay_alu instid0(VALU_DEP_1) | instskip(NEXT) | instid1(VALU_DEP_1)
	v_add_nc_u32_e32 v2, v1, v2
	v_lshrrev_b32_e32 v2, s54, v2
	s_delay_alu instid0(VALU_DEP_1) | instskip(SKIP_1) | instid1(VALU_DEP_1)
	v_mul_hi_u32 v3, s56, v2
	v_mul_lo_u32 v8, v2, s52
	v_dual_add_nc_u32 v3, v2, v3 :: v_dual_sub_nc_u32 v8, v1, v8
	s_delay_alu instid0(VALU_DEP_1) | instskip(NEXT) | instid1(VALU_DEP_2)
	v_lshrrev_b32_e32 v1, s57, v3
	v_mad_u32 v5, v8, s45, v5
	v_mad_u32 v4, v8, s44, v4
	;; [unrolled: 1-line block ×4, first 2 shown]
	v_mul_lo_u32 v3, v1, s55
	s_delay_alu instid0(VALU_DEP_1) | instskip(NEXT) | instid1(VALU_DEP_1)
	v_sub_nc_u32_e32 v2, v2, v3
	v_mad_u32 v5, v2, s49, v5
	v_mad_u32 v4, v2, s48, v4
	;; [unrolled: 1-line block ×4, first 2 shown]
	s_cbranch_scc1 .LBB13_12
; %bb.13:
	s_bitcmp1_b32 s38, 0
	s_cselect_b32 s42, -1, 0
	s_delay_alu instid0(SALU_CYCLE_1)
	s_and_b32 vcc_lo, exec_lo, s42
	s_cbranch_vccnz .LBB13_17
; %bb.14:
	s_load_b96 s[48:50], s[30:31], 0x4
	s_load_b128 s[44:47], s[0:1], 0xe4
	s_wait_xcnt 0x0
	s_wait_kmcnt 0x0
	v_mul_hi_u32 v2, s49, v1
	s_delay_alu instid0(VALU_DEP_1) | instskip(NEXT) | instid1(VALU_DEP_1)
	v_add_nc_u32_e32 v2, v1, v2
	v_lshrrev_b32_e32 v2, s50, v2
	s_delay_alu instid0(VALU_DEP_1) | instskip(NEXT) | instid1(VALU_DEP_1)
	v_mul_lo_u32 v2, v2, s48
	v_sub_nc_u32_e32 v1, v1, v2
	s_delay_alu instid0(VALU_DEP_1)
	v_mad_u32 v4, v1, s44, v4
	v_mad_u32 v5, v1, s45, v5
	;; [unrolled: 1-line block ×4, first 2 shown]
	s_cbranch_execz .LBB13_18
	s_branch .LBB13_20
.LBB13_15:
                                        ; implicit-def: $vgpr5
                                        ; implicit-def: $vgpr4
                                        ; implicit-def: $vgpr7
                                        ; implicit-def: $vgpr6
	s_branch .LBB13_18
.LBB13_16:
	v_dual_mov_b32 v5, 0 :: v_dual_mov_b32 v4, 0
	v_dual_mov_b32 v7, 0 :: v_dual_mov_b32 v6, 0
.LBB13_17:
	s_cbranch_execnz .LBB13_20
.LBB13_18:
	v_mov_b32_e32 v1, 0
	s_and_not1_b32 vcc_lo, exec_lo, s37
	s_delay_alu instid0(VALU_DEP_1) | instskip(NEXT) | instid1(VALU_DEP_1)
	v_mul_u64_e32 v[2:3], s[24:25], v[0:1]
	v_add_nc_u32_e32 v2, v0, v3
	s_delay_alu instid0(VALU_DEP_1) | instskip(NEXT) | instid1(VALU_DEP_1)
	v_lshrrev_b32_e32 v2, s22, v2
	v_mul_lo_u32 v3, v2, s20
	s_delay_alu instid0(VALU_DEP_1) | instskip(NEXT) | instid1(VALU_DEP_1)
	v_sub_nc_u32_e32 v3, v0, v3
	v_mul_lo_u32 v5, v3, s13
	v_mul_lo_u32 v4, v3, s12
	;; [unrolled: 1-line block ×4, first 2 shown]
	s_cbranch_vccnz .LBB13_20
; %bb.19:
	v_mov_b32_e32 v3, v1
	s_delay_alu instid0(VALU_DEP_1) | instskip(NEXT) | instid1(VALU_DEP_1)
	v_mul_u64_e32 v[8:9], s[28:29], v[2:3]
	v_add_nc_u32_e32 v1, v2, v9
	s_delay_alu instid0(VALU_DEP_1) | instskip(NEXT) | instid1(VALU_DEP_1)
	v_lshrrev_b32_e32 v1, s27, v1
	v_mul_lo_u32 v1, v1, s23
	s_delay_alu instid0(VALU_DEP_1) | instskip(NEXT) | instid1(VALU_DEP_1)
	v_sub_nc_u32_e32 v1, v2, v1
	v_mad_u32 v4, v1, s16, v4
	v_mad_u32 v5, v1, s17, v5
	;; [unrolled: 1-line block ×4, first 2 shown]
.LBB13_20:
	global_load_u8 v1, v6, s[8:9]
	global_load_u8 v2, v7, s[10:11]
	;; [unrolled: 1-line block ×3, first 2 shown]
	v_add_nc_u32_e32 v0, 0x80, v0
	s_wait_loadcnt 0x2
	v_cmp_ne_u16_e32 vcc_lo, 0, v1
	s_wait_loadcnt 0x1
	v_cmp_ne_u16_e64 s0, 0, v2
	s_wait_loadcnt 0x0
	v_cmp_ne_u16_e64 s1, 0, v3
	s_and_b32 s0, vcc_lo, s0
	s_and_b32 s1, s1, s21
	s_and_b32 s0, s0, s26
	s_delay_alu instid0(SALU_CYCLE_1) | instskip(NEXT) | instid1(SALU_CYCLE_1)
	s_or_b32 s0, s1, s0
	v_cndmask_b32_e64 v1, 0, 1, s0
	global_store_b8 v4, v1, s[4:5]
	s_wait_xcnt 0x0
	s_or_b32 exec_lo, exec_lo, s41
	s_delay_alu instid0(SALU_CYCLE_1)
	s_mov_b32 s41, exec_lo
	v_cmpx_gt_i32_e64 s39, v0
	s_cbranch_execz .LBB13_3
.LBB13_21:
	s_and_not1_b32 vcc_lo, exec_lo, s35
	s_cbranch_vccnz .LBB13_27
; %bb.22:
	s_and_not1_b32 vcc_lo, exec_lo, s40
	s_cbranch_vccnz .LBB13_28
; %bb.23:
	v_dual_mov_b32 v6, 0 :: v_dual_mov_b32 v1, v0
	v_dual_mov_b32 v7, 0 :: v_dual_mov_b32 v4, 0
	v_mov_b32_e32 v5, 0
	s_add_co_i32 s30, s38, 1
	s_mov_b64 s[0:1], 0xffffffffffffffe0
	s_and_b32 s42, s30, 30
	s_add_nc_u64 s[0:1], s[2:3], s[0:1]
	s_mov_b64 s[30:31], s[2:3]
.LBB13_24:                              ; =>This Inner Loop Header: Depth=1
	s_clause 0x1
	s_load_b128 s[52:55], s[30:31], 0x4
	s_load_b64 s[56:57], s[30:31], 0x14
	s_load_b256 s[44:51], s[0:1], 0xe4
	s_add_co_i32 s42, s42, -2
	s_wait_xcnt 0x0
	s_add_nc_u64 s[30:31], s[30:31], 24
	s_cmp_eq_u32 s42, 0
	s_add_nc_u64 s[0:1], s[0:1], 32
	s_wait_kmcnt 0x0
	v_mul_hi_u32 v2, s53, v1
	s_delay_alu instid0(VALU_DEP_1) | instskip(NEXT) | instid1(VALU_DEP_1)
	v_add_nc_u32_e32 v2, v1, v2
	v_lshrrev_b32_e32 v2, s54, v2
	s_delay_alu instid0(VALU_DEP_1) | instskip(SKIP_1) | instid1(VALU_DEP_1)
	v_mul_hi_u32 v3, s56, v2
	v_mul_lo_u32 v8, v2, s52
	v_dual_add_nc_u32 v3, v2, v3 :: v_dual_sub_nc_u32 v8, v1, v8
	s_delay_alu instid0(VALU_DEP_1) | instskip(NEXT) | instid1(VALU_DEP_2)
	v_lshrrev_b32_e32 v1, s57, v3
	v_mad_u32 v5, v8, s45, v5
	v_mad_u32 v4, v8, s44, v4
	;; [unrolled: 1-line block ×4, first 2 shown]
	v_mul_lo_u32 v3, v1, s55
	s_delay_alu instid0(VALU_DEP_1) | instskip(NEXT) | instid1(VALU_DEP_1)
	v_sub_nc_u32_e32 v2, v2, v3
	v_mad_u32 v5, v2, s49, v5
	v_mad_u32 v4, v2, s48, v4
	;; [unrolled: 1-line block ×4, first 2 shown]
	s_cbranch_scc0 .LBB13_24
; %bb.25:
	s_bitcmp1_b32 s38, 0
	s_cselect_b32 s42, -1, 0
	s_delay_alu instid0(SALU_CYCLE_1)
	s_and_b32 vcc_lo, exec_lo, s42
	s_cbranch_vccnz .LBB13_29
; %bb.26:
	s_load_b96 s[48:50], s[30:31], 0x4
	s_load_b128 s[44:47], s[0:1], 0xe4
	s_wait_kmcnt 0x0
	v_mul_hi_u32 v2, s49, v1
	s_delay_alu instid0(VALU_DEP_1) | instskip(NEXT) | instid1(VALU_DEP_1)
	v_add_nc_u32_e32 v2, v1, v2
	v_lshrrev_b32_e32 v2, s50, v2
	s_delay_alu instid0(VALU_DEP_1) | instskip(NEXT) | instid1(VALU_DEP_1)
	v_mul_lo_u32 v2, v2, s48
	v_sub_nc_u32_e32 v1, v1, v2
	s_delay_alu instid0(VALU_DEP_1)
	v_mad_u32 v4, v1, s44, v4
	v_mad_u32 v5, v1, s45, v5
	;; [unrolled: 1-line block ×4, first 2 shown]
	s_branch .LBB13_29
.LBB13_27:
                                        ; implicit-def: $vgpr5
                                        ; implicit-def: $vgpr4
                                        ; implicit-def: $vgpr7
                                        ; implicit-def: $vgpr6
	s_branch .LBB13_30
.LBB13_28:
	v_dual_mov_b32 v5, 0 :: v_dual_mov_b32 v4, 0
	v_dual_mov_b32 v7, 0 :: v_dual_mov_b32 v6, 0
.LBB13_29:
	s_cbranch_execnz .LBB13_32
.LBB13_30:
	v_mov_b32_e32 v1, 0
	s_and_not1_b32 vcc_lo, exec_lo, s37
	s_delay_alu instid0(VALU_DEP_1) | instskip(NEXT) | instid1(VALU_DEP_1)
	v_mul_u64_e32 v[2:3], s[24:25], v[0:1]
	v_add_nc_u32_e32 v2, v0, v3
	s_delay_alu instid0(VALU_DEP_1) | instskip(NEXT) | instid1(VALU_DEP_1)
	v_lshrrev_b32_e32 v2, s22, v2
	v_mul_lo_u32 v3, v2, s20
	s_delay_alu instid0(VALU_DEP_1) | instskip(NEXT) | instid1(VALU_DEP_1)
	v_sub_nc_u32_e32 v3, v0, v3
	v_mul_lo_u32 v5, v3, s13
	v_mul_lo_u32 v4, v3, s12
	;; [unrolled: 1-line block ×4, first 2 shown]
	s_cbranch_vccnz .LBB13_32
; %bb.31:
	v_mov_b32_e32 v3, v1
	s_delay_alu instid0(VALU_DEP_1) | instskip(NEXT) | instid1(VALU_DEP_1)
	v_mul_u64_e32 v[8:9], s[28:29], v[2:3]
	v_add_nc_u32_e32 v1, v2, v9
	s_delay_alu instid0(VALU_DEP_1) | instskip(NEXT) | instid1(VALU_DEP_1)
	v_lshrrev_b32_e32 v1, s27, v1
	v_mul_lo_u32 v1, v1, s23
	s_delay_alu instid0(VALU_DEP_1) | instskip(NEXT) | instid1(VALU_DEP_1)
	v_sub_nc_u32_e32 v1, v2, v1
	v_mad_u32 v4, v1, s16, v4
	v_mad_u32 v5, v1, s17, v5
	;; [unrolled: 1-line block ×4, first 2 shown]
.LBB13_32:
	global_load_u8 v1, v6, s[8:9]
	global_load_u8 v2, v7, s[10:11]
	;; [unrolled: 1-line block ×3, first 2 shown]
	v_add_nc_u32_e32 v0, 0x80, v0
	s_wait_loadcnt 0x2
	v_cmp_ne_u16_e32 vcc_lo, 0, v1
	s_wait_loadcnt 0x1
	v_cmp_ne_u16_e64 s0, 0, v2
	s_wait_loadcnt 0x0
	v_cmp_ne_u16_e64 s1, 0, v3
	s_and_b32 s0, vcc_lo, s0
	s_and_b32 s1, s1, s21
	s_and_b32 s0, s0, s26
	s_delay_alu instid0(SALU_CYCLE_1) | instskip(NEXT) | instid1(SALU_CYCLE_1)
	s_or_b32 s0, s1, s0
	v_cndmask_b32_e64 v1, 0, 1, s0
	global_store_b8 v4, v1, s[4:5]
	s_wait_xcnt 0x0
	s_or_b32 exec_lo, exec_lo, s41
	s_delay_alu instid0(SALU_CYCLE_1)
	s_mov_b32 s41, exec_lo
	v_cmpx_gt_i32_e64 s39, v0
	s_cbranch_execz .LBB13_4
.LBB13_33:
	s_and_not1_b32 vcc_lo, exec_lo, s35
	s_cbranch_vccnz .LBB13_39
; %bb.34:
	s_and_not1_b32 vcc_lo, exec_lo, s40
	s_cbranch_vccnz .LBB13_40
; %bb.35:
	v_dual_mov_b32 v6, 0 :: v_dual_mov_b32 v1, v0
	v_dual_mov_b32 v7, 0 :: v_dual_mov_b32 v4, 0
	v_mov_b32_e32 v5, 0
	s_add_co_i32 s30, s38, 1
	s_mov_b64 s[0:1], 0xffffffffffffffe0
	s_and_b32 s42, s30, 30
	s_add_nc_u64 s[0:1], s[2:3], s[0:1]
	s_mov_b64 s[30:31], s[2:3]
.LBB13_36:                              ; =>This Inner Loop Header: Depth=1
	s_clause 0x1
	s_load_b128 s[52:55], s[30:31], 0x4
	s_load_b64 s[56:57], s[30:31], 0x14
	s_load_b256 s[44:51], s[0:1], 0xe4
	s_add_co_i32 s42, s42, -2
	s_wait_xcnt 0x0
	s_add_nc_u64 s[30:31], s[30:31], 24
	s_cmp_eq_u32 s42, 0
	s_add_nc_u64 s[0:1], s[0:1], 32
	s_wait_kmcnt 0x0
	v_mul_hi_u32 v2, s53, v1
	s_delay_alu instid0(VALU_DEP_1) | instskip(NEXT) | instid1(VALU_DEP_1)
	v_add_nc_u32_e32 v2, v1, v2
	v_lshrrev_b32_e32 v2, s54, v2
	s_delay_alu instid0(VALU_DEP_1) | instskip(SKIP_1) | instid1(VALU_DEP_1)
	v_mul_hi_u32 v3, s56, v2
	v_mul_lo_u32 v8, v2, s52
	v_dual_add_nc_u32 v3, v2, v3 :: v_dual_sub_nc_u32 v8, v1, v8
	s_delay_alu instid0(VALU_DEP_1) | instskip(NEXT) | instid1(VALU_DEP_2)
	v_lshrrev_b32_e32 v1, s57, v3
	v_mad_u32 v5, v8, s45, v5
	v_mad_u32 v4, v8, s44, v4
	;; [unrolled: 1-line block ×4, first 2 shown]
	v_mul_lo_u32 v3, v1, s55
	s_delay_alu instid0(VALU_DEP_1) | instskip(NEXT) | instid1(VALU_DEP_1)
	v_sub_nc_u32_e32 v2, v2, v3
	v_mad_u32 v5, v2, s49, v5
	v_mad_u32 v4, v2, s48, v4
	;; [unrolled: 1-line block ×4, first 2 shown]
	s_cbranch_scc0 .LBB13_36
; %bb.37:
	s_bitcmp1_b32 s38, 0
	s_cselect_b32 s42, -1, 0
	s_delay_alu instid0(SALU_CYCLE_1)
	s_and_b32 vcc_lo, exec_lo, s42
	s_cbranch_vccnz .LBB13_41
; %bb.38:
	s_load_b96 s[48:50], s[30:31], 0x4
	s_load_b128 s[44:47], s[0:1], 0xe4
	s_wait_kmcnt 0x0
	v_mul_hi_u32 v2, s49, v1
	s_delay_alu instid0(VALU_DEP_1) | instskip(NEXT) | instid1(VALU_DEP_1)
	v_add_nc_u32_e32 v2, v1, v2
	v_lshrrev_b32_e32 v2, s50, v2
	s_delay_alu instid0(VALU_DEP_1) | instskip(NEXT) | instid1(VALU_DEP_1)
	v_mul_lo_u32 v2, v2, s48
	v_sub_nc_u32_e32 v1, v1, v2
	s_delay_alu instid0(VALU_DEP_1)
	v_mad_u32 v4, v1, s44, v4
	v_mad_u32 v5, v1, s45, v5
	;; [unrolled: 1-line block ×4, first 2 shown]
	s_branch .LBB13_41
.LBB13_39:
                                        ; implicit-def: $vgpr5
                                        ; implicit-def: $vgpr4
                                        ; implicit-def: $vgpr7
                                        ; implicit-def: $vgpr6
	s_branch .LBB13_42
.LBB13_40:
	v_dual_mov_b32 v5, 0 :: v_dual_mov_b32 v4, 0
	v_dual_mov_b32 v7, 0 :: v_dual_mov_b32 v6, 0
.LBB13_41:
	s_cbranch_execnz .LBB13_44
.LBB13_42:
	v_mov_b32_e32 v1, 0
	s_and_not1_b32 vcc_lo, exec_lo, s37
	s_delay_alu instid0(VALU_DEP_1) | instskip(NEXT) | instid1(VALU_DEP_1)
	v_mul_u64_e32 v[2:3], s[24:25], v[0:1]
	v_add_nc_u32_e32 v2, v0, v3
	s_delay_alu instid0(VALU_DEP_1) | instskip(NEXT) | instid1(VALU_DEP_1)
	v_lshrrev_b32_e32 v2, s22, v2
	v_mul_lo_u32 v3, v2, s20
	s_delay_alu instid0(VALU_DEP_1) | instskip(NEXT) | instid1(VALU_DEP_1)
	v_sub_nc_u32_e32 v3, v0, v3
	v_mul_lo_u32 v5, v3, s13
	v_mul_lo_u32 v4, v3, s12
	;; [unrolled: 1-line block ×4, first 2 shown]
	s_cbranch_vccnz .LBB13_44
; %bb.43:
	v_mov_b32_e32 v3, v1
	s_delay_alu instid0(VALU_DEP_1) | instskip(NEXT) | instid1(VALU_DEP_1)
	v_mul_u64_e32 v[8:9], s[28:29], v[2:3]
	v_add_nc_u32_e32 v1, v2, v9
	s_delay_alu instid0(VALU_DEP_1) | instskip(NEXT) | instid1(VALU_DEP_1)
	v_lshrrev_b32_e32 v1, s27, v1
	v_mul_lo_u32 v1, v1, s23
	s_delay_alu instid0(VALU_DEP_1) | instskip(NEXT) | instid1(VALU_DEP_1)
	v_sub_nc_u32_e32 v1, v2, v1
	v_mad_u32 v4, v1, s16, v4
	v_mad_u32 v5, v1, s17, v5
	;; [unrolled: 1-line block ×4, first 2 shown]
.LBB13_44:
	global_load_u8 v1, v6, s[8:9]
	global_load_u8 v2, v7, s[10:11]
	;; [unrolled: 1-line block ×3, first 2 shown]
	v_add_nc_u32_e32 v0, 0x80, v0
	s_wait_loadcnt 0x2
	v_cmp_ne_u16_e32 vcc_lo, 0, v1
	s_wait_loadcnt 0x1
	v_cmp_ne_u16_e64 s0, 0, v2
	s_wait_loadcnt 0x0
	v_cmp_ne_u16_e64 s1, 0, v3
	s_and_b32 s0, vcc_lo, s0
	s_and_b32 s1, s1, s21
	s_and_b32 s0, s0, s26
	s_delay_alu instid0(SALU_CYCLE_1) | instskip(NEXT) | instid1(SALU_CYCLE_1)
	s_or_b32 s0, s1, s0
	v_cndmask_b32_e64 v1, 0, 1, s0
	global_store_b8 v4, v1, s[4:5]
	s_wait_xcnt 0x0
	s_or_b32 exec_lo, exec_lo, s41
	s_delay_alu instid0(SALU_CYCLE_1)
	s_mov_b32 s41, exec_lo
	v_cmpx_gt_i32_e64 s39, v0
	s_cbranch_execz .LBB13_5
.LBB13_45:
	s_and_not1_b32 vcc_lo, exec_lo, s35
	s_cbranch_vccnz .LBB13_51
; %bb.46:
	s_and_not1_b32 vcc_lo, exec_lo, s40
	s_cbranch_vccnz .LBB13_52
; %bb.47:
	v_dual_mov_b32 v6, 0 :: v_dual_mov_b32 v1, v0
	v_dual_mov_b32 v7, 0 :: v_dual_mov_b32 v4, 0
	v_mov_b32_e32 v5, 0
	s_add_co_i32 s30, s38, 1
	s_mov_b64 s[0:1], 0xffffffffffffffe0
	s_and_b32 s42, s30, 30
	s_add_nc_u64 s[0:1], s[2:3], s[0:1]
	s_mov_b64 s[30:31], s[2:3]
.LBB13_48:                              ; =>This Inner Loop Header: Depth=1
	s_clause 0x1
	s_load_b128 s[52:55], s[30:31], 0x4
	s_load_b64 s[56:57], s[30:31], 0x14
	s_load_b256 s[44:51], s[0:1], 0xe4
	s_add_co_i32 s42, s42, -2
	s_wait_xcnt 0x0
	s_add_nc_u64 s[30:31], s[30:31], 24
	s_cmp_eq_u32 s42, 0
	s_add_nc_u64 s[0:1], s[0:1], 32
	s_wait_kmcnt 0x0
	v_mul_hi_u32 v2, s53, v1
	s_delay_alu instid0(VALU_DEP_1) | instskip(NEXT) | instid1(VALU_DEP_1)
	v_add_nc_u32_e32 v2, v1, v2
	v_lshrrev_b32_e32 v2, s54, v2
	s_delay_alu instid0(VALU_DEP_1) | instskip(SKIP_1) | instid1(VALU_DEP_1)
	v_mul_hi_u32 v3, s56, v2
	v_mul_lo_u32 v8, v2, s52
	v_dual_add_nc_u32 v3, v2, v3 :: v_dual_sub_nc_u32 v8, v1, v8
	s_delay_alu instid0(VALU_DEP_1) | instskip(NEXT) | instid1(VALU_DEP_2)
	v_lshrrev_b32_e32 v1, s57, v3
	v_mad_u32 v5, v8, s45, v5
	v_mad_u32 v4, v8, s44, v4
	;; [unrolled: 1-line block ×4, first 2 shown]
	v_mul_lo_u32 v3, v1, s55
	s_delay_alu instid0(VALU_DEP_1) | instskip(NEXT) | instid1(VALU_DEP_1)
	v_sub_nc_u32_e32 v2, v2, v3
	v_mad_u32 v5, v2, s49, v5
	v_mad_u32 v4, v2, s48, v4
	;; [unrolled: 1-line block ×4, first 2 shown]
	s_cbranch_scc0 .LBB13_48
; %bb.49:
	s_bitcmp1_b32 s38, 0
	s_cselect_b32 s42, -1, 0
	s_delay_alu instid0(SALU_CYCLE_1)
	s_and_b32 vcc_lo, exec_lo, s42
	s_cbranch_vccnz .LBB13_53
; %bb.50:
	s_load_b96 s[48:50], s[30:31], 0x4
	s_load_b128 s[44:47], s[0:1], 0xe4
	s_wait_kmcnt 0x0
	v_mul_hi_u32 v2, s49, v1
	s_delay_alu instid0(VALU_DEP_1) | instskip(NEXT) | instid1(VALU_DEP_1)
	v_add_nc_u32_e32 v2, v1, v2
	v_lshrrev_b32_e32 v2, s50, v2
	s_delay_alu instid0(VALU_DEP_1) | instskip(NEXT) | instid1(VALU_DEP_1)
	v_mul_lo_u32 v2, v2, s48
	v_sub_nc_u32_e32 v1, v1, v2
	s_delay_alu instid0(VALU_DEP_1)
	v_mad_u32 v4, v1, s44, v4
	v_mad_u32 v5, v1, s45, v5
	;; [unrolled: 1-line block ×4, first 2 shown]
	s_branch .LBB13_53
.LBB13_51:
                                        ; implicit-def: $vgpr5
                                        ; implicit-def: $vgpr4
                                        ; implicit-def: $vgpr7
                                        ; implicit-def: $vgpr6
	s_branch .LBB13_54
.LBB13_52:
	v_dual_mov_b32 v5, 0 :: v_dual_mov_b32 v4, 0
	v_dual_mov_b32 v7, 0 :: v_dual_mov_b32 v6, 0
.LBB13_53:
	s_cbranch_execnz .LBB13_56
.LBB13_54:
	v_mov_b32_e32 v1, 0
	s_and_not1_b32 vcc_lo, exec_lo, s37
	s_delay_alu instid0(VALU_DEP_1) | instskip(NEXT) | instid1(VALU_DEP_1)
	v_mul_u64_e32 v[2:3], s[24:25], v[0:1]
	v_add_nc_u32_e32 v2, v0, v3
	s_delay_alu instid0(VALU_DEP_1) | instskip(NEXT) | instid1(VALU_DEP_1)
	v_lshrrev_b32_e32 v2, s22, v2
	v_mul_lo_u32 v3, v2, s20
	s_delay_alu instid0(VALU_DEP_1) | instskip(NEXT) | instid1(VALU_DEP_1)
	v_sub_nc_u32_e32 v3, v0, v3
	v_mul_lo_u32 v5, v3, s13
	v_mul_lo_u32 v4, v3, s12
	;; [unrolled: 1-line block ×4, first 2 shown]
	s_cbranch_vccnz .LBB13_56
; %bb.55:
	v_mov_b32_e32 v3, v1
	s_delay_alu instid0(VALU_DEP_1) | instskip(NEXT) | instid1(VALU_DEP_1)
	v_mul_u64_e32 v[8:9], s[28:29], v[2:3]
	v_add_nc_u32_e32 v1, v2, v9
	s_delay_alu instid0(VALU_DEP_1) | instskip(NEXT) | instid1(VALU_DEP_1)
	v_lshrrev_b32_e32 v1, s27, v1
	v_mul_lo_u32 v1, v1, s23
	s_delay_alu instid0(VALU_DEP_1) | instskip(NEXT) | instid1(VALU_DEP_1)
	v_sub_nc_u32_e32 v1, v2, v1
	v_mad_u32 v4, v1, s16, v4
	v_mad_u32 v5, v1, s17, v5
	;; [unrolled: 1-line block ×4, first 2 shown]
.LBB13_56:
	global_load_u8 v1, v6, s[8:9]
	global_load_u8 v2, v7, s[10:11]
	;; [unrolled: 1-line block ×3, first 2 shown]
	v_add_nc_u32_e32 v0, 0x80, v0
	s_wait_loadcnt 0x2
	v_cmp_ne_u16_e32 vcc_lo, 0, v1
	s_wait_loadcnt 0x1
	v_cmp_ne_u16_e64 s0, 0, v2
	s_wait_loadcnt 0x0
	v_cmp_ne_u16_e64 s1, 0, v3
	s_and_b32 s0, vcc_lo, s0
	s_and_b32 s1, s1, s21
	s_and_b32 s0, s0, s26
	s_delay_alu instid0(SALU_CYCLE_1) | instskip(NEXT) | instid1(SALU_CYCLE_1)
	s_or_b32 s0, s1, s0
	v_cndmask_b32_e64 v1, 0, 1, s0
	global_store_b8 v4, v1, s[4:5]
	s_wait_xcnt 0x0
	s_or_b32 exec_lo, exec_lo, s41
	s_delay_alu instid0(SALU_CYCLE_1)
	s_mov_b32 s41, exec_lo
	v_cmpx_gt_i32_e64 s39, v0
	s_cbranch_execz .LBB13_6
.LBB13_57:
	s_and_not1_b32 vcc_lo, exec_lo, s35
	s_cbranch_vccnz .LBB13_63
; %bb.58:
	s_and_not1_b32 vcc_lo, exec_lo, s40
	s_cbranch_vccnz .LBB13_64
; %bb.59:
	v_dual_mov_b32 v6, 0 :: v_dual_mov_b32 v1, v0
	v_dual_mov_b32 v7, 0 :: v_dual_mov_b32 v4, 0
	v_mov_b32_e32 v5, 0
	s_add_co_i32 s30, s38, 1
	s_mov_b64 s[0:1], 0xffffffffffffffe0
	s_and_b32 s42, s30, 30
	s_add_nc_u64 s[0:1], s[2:3], s[0:1]
	s_mov_b64 s[30:31], s[2:3]
.LBB13_60:                              ; =>This Inner Loop Header: Depth=1
	s_clause 0x1
	s_load_b128 s[52:55], s[30:31], 0x4
	s_load_b64 s[56:57], s[30:31], 0x14
	s_load_b256 s[44:51], s[0:1], 0xe4
	s_add_co_i32 s42, s42, -2
	s_wait_xcnt 0x0
	s_add_nc_u64 s[30:31], s[30:31], 24
	s_cmp_eq_u32 s42, 0
	s_add_nc_u64 s[0:1], s[0:1], 32
	s_wait_kmcnt 0x0
	v_mul_hi_u32 v2, s53, v1
	s_delay_alu instid0(VALU_DEP_1) | instskip(NEXT) | instid1(VALU_DEP_1)
	v_add_nc_u32_e32 v2, v1, v2
	v_lshrrev_b32_e32 v2, s54, v2
	s_delay_alu instid0(VALU_DEP_1) | instskip(SKIP_1) | instid1(VALU_DEP_1)
	v_mul_hi_u32 v3, s56, v2
	v_mul_lo_u32 v8, v2, s52
	v_dual_add_nc_u32 v3, v2, v3 :: v_dual_sub_nc_u32 v8, v1, v8
	s_delay_alu instid0(VALU_DEP_1) | instskip(NEXT) | instid1(VALU_DEP_2)
	v_lshrrev_b32_e32 v1, s57, v3
	v_mad_u32 v5, v8, s45, v5
	v_mad_u32 v4, v8, s44, v4
	;; [unrolled: 1-line block ×4, first 2 shown]
	v_mul_lo_u32 v3, v1, s55
	s_delay_alu instid0(VALU_DEP_1) | instskip(NEXT) | instid1(VALU_DEP_1)
	v_sub_nc_u32_e32 v2, v2, v3
	v_mad_u32 v5, v2, s49, v5
	v_mad_u32 v4, v2, s48, v4
	;; [unrolled: 1-line block ×4, first 2 shown]
	s_cbranch_scc0 .LBB13_60
; %bb.61:
	s_bitcmp1_b32 s38, 0
	s_cselect_b32 s42, -1, 0
	s_delay_alu instid0(SALU_CYCLE_1)
	s_and_b32 vcc_lo, exec_lo, s42
	s_cbranch_vccnz .LBB13_65
; %bb.62:
	s_load_b96 s[48:50], s[30:31], 0x4
	s_load_b128 s[44:47], s[0:1], 0xe4
	s_wait_kmcnt 0x0
	v_mul_hi_u32 v2, s49, v1
	s_delay_alu instid0(VALU_DEP_1) | instskip(NEXT) | instid1(VALU_DEP_1)
	v_add_nc_u32_e32 v2, v1, v2
	v_lshrrev_b32_e32 v2, s50, v2
	s_delay_alu instid0(VALU_DEP_1) | instskip(NEXT) | instid1(VALU_DEP_1)
	v_mul_lo_u32 v2, v2, s48
	v_sub_nc_u32_e32 v1, v1, v2
	s_delay_alu instid0(VALU_DEP_1)
	v_mad_u32 v4, v1, s44, v4
	v_mad_u32 v5, v1, s45, v5
	;; [unrolled: 1-line block ×4, first 2 shown]
	s_branch .LBB13_65
.LBB13_63:
                                        ; implicit-def: $vgpr5
                                        ; implicit-def: $vgpr4
                                        ; implicit-def: $vgpr7
                                        ; implicit-def: $vgpr6
	s_branch .LBB13_66
.LBB13_64:
	v_dual_mov_b32 v5, 0 :: v_dual_mov_b32 v4, 0
	v_dual_mov_b32 v7, 0 :: v_dual_mov_b32 v6, 0
.LBB13_65:
	s_cbranch_execnz .LBB13_68
.LBB13_66:
	v_mov_b32_e32 v1, 0
	s_and_not1_b32 vcc_lo, exec_lo, s37
	s_delay_alu instid0(VALU_DEP_1) | instskip(NEXT) | instid1(VALU_DEP_1)
	v_mul_u64_e32 v[2:3], s[24:25], v[0:1]
	v_add_nc_u32_e32 v2, v0, v3
	s_delay_alu instid0(VALU_DEP_1) | instskip(NEXT) | instid1(VALU_DEP_1)
	v_lshrrev_b32_e32 v2, s22, v2
	v_mul_lo_u32 v3, v2, s20
	s_delay_alu instid0(VALU_DEP_1) | instskip(NEXT) | instid1(VALU_DEP_1)
	v_sub_nc_u32_e32 v3, v0, v3
	v_mul_lo_u32 v5, v3, s13
	v_mul_lo_u32 v4, v3, s12
	v_mul_lo_u32 v7, v3, s15
	v_mul_lo_u32 v6, v3, s14
	s_cbranch_vccnz .LBB13_68
; %bb.67:
	v_mov_b32_e32 v3, v1
	s_delay_alu instid0(VALU_DEP_1) | instskip(NEXT) | instid1(VALU_DEP_1)
	v_mul_u64_e32 v[8:9], s[28:29], v[2:3]
	v_add_nc_u32_e32 v1, v2, v9
	s_delay_alu instid0(VALU_DEP_1) | instskip(NEXT) | instid1(VALU_DEP_1)
	v_lshrrev_b32_e32 v1, s27, v1
	v_mul_lo_u32 v1, v1, s23
	s_delay_alu instid0(VALU_DEP_1) | instskip(NEXT) | instid1(VALU_DEP_1)
	v_sub_nc_u32_e32 v1, v2, v1
	v_mad_u32 v4, v1, s16, v4
	v_mad_u32 v5, v1, s17, v5
	v_mad_u32 v6, v1, s18, v6
	v_mad_u32 v7, v1, s19, v7
.LBB13_68:
	global_load_u8 v1, v6, s[8:9]
	global_load_u8 v2, v7, s[10:11]
	;; [unrolled: 1-line block ×3, first 2 shown]
	v_add_nc_u32_e32 v0, 0x80, v0
	s_wait_loadcnt 0x2
	v_cmp_ne_u16_e32 vcc_lo, 0, v1
	s_wait_loadcnt 0x1
	v_cmp_ne_u16_e64 s0, 0, v2
	s_wait_loadcnt 0x0
	v_cmp_ne_u16_e64 s1, 0, v3
	s_and_b32 s0, vcc_lo, s0
	s_and_b32 s1, s1, s21
	s_and_b32 s0, s0, s26
	s_delay_alu instid0(SALU_CYCLE_1) | instskip(NEXT) | instid1(SALU_CYCLE_1)
	s_or_b32 s0, s1, s0
	v_cndmask_b32_e64 v1, 0, 1, s0
	global_store_b8 v4, v1, s[4:5]
	s_wait_xcnt 0x0
	s_or_b32 exec_lo, exec_lo, s41
	s_delay_alu instid0(SALU_CYCLE_1)
	s_mov_b32 s41, exec_lo
	v_cmpx_gt_i32_e64 s39, v0
	s_cbranch_execz .LBB13_7
.LBB13_69:
	s_and_not1_b32 vcc_lo, exec_lo, s35
	s_cbranch_vccnz .LBB13_75
; %bb.70:
	s_and_not1_b32 vcc_lo, exec_lo, s40
	s_cbranch_vccnz .LBB13_76
; %bb.71:
	v_dual_mov_b32 v6, 0 :: v_dual_mov_b32 v1, v0
	v_dual_mov_b32 v7, 0 :: v_dual_mov_b32 v4, 0
	v_mov_b32_e32 v5, 0
	s_add_co_i32 s30, s38, 1
	s_mov_b64 s[0:1], 0xffffffffffffffe0
	s_and_b32 s42, s30, 30
	s_add_nc_u64 s[0:1], s[2:3], s[0:1]
	s_mov_b64 s[30:31], s[2:3]
.LBB13_72:                              ; =>This Inner Loop Header: Depth=1
	s_clause 0x1
	s_load_b128 s[52:55], s[30:31], 0x4
	s_load_b64 s[56:57], s[30:31], 0x14
	s_load_b256 s[44:51], s[0:1], 0xe4
	s_add_co_i32 s42, s42, -2
	s_wait_xcnt 0x0
	s_add_nc_u64 s[30:31], s[30:31], 24
	s_cmp_eq_u32 s42, 0
	s_add_nc_u64 s[0:1], s[0:1], 32
	s_wait_kmcnt 0x0
	v_mul_hi_u32 v2, s53, v1
	s_delay_alu instid0(VALU_DEP_1) | instskip(NEXT) | instid1(VALU_DEP_1)
	v_add_nc_u32_e32 v2, v1, v2
	v_lshrrev_b32_e32 v2, s54, v2
	s_delay_alu instid0(VALU_DEP_1) | instskip(SKIP_1) | instid1(VALU_DEP_1)
	v_mul_hi_u32 v3, s56, v2
	v_mul_lo_u32 v8, v2, s52
	v_dual_add_nc_u32 v3, v2, v3 :: v_dual_sub_nc_u32 v8, v1, v8
	s_delay_alu instid0(VALU_DEP_1) | instskip(NEXT) | instid1(VALU_DEP_2)
	v_lshrrev_b32_e32 v1, s57, v3
	v_mad_u32 v5, v8, s45, v5
	v_mad_u32 v4, v8, s44, v4
	;; [unrolled: 1-line block ×4, first 2 shown]
	v_mul_lo_u32 v3, v1, s55
	s_delay_alu instid0(VALU_DEP_1) | instskip(NEXT) | instid1(VALU_DEP_1)
	v_sub_nc_u32_e32 v2, v2, v3
	v_mad_u32 v5, v2, s49, v5
	v_mad_u32 v4, v2, s48, v4
	;; [unrolled: 1-line block ×4, first 2 shown]
	s_cbranch_scc0 .LBB13_72
; %bb.73:
	s_bitcmp1_b32 s38, 0
	s_cselect_b32 s42, -1, 0
	s_delay_alu instid0(SALU_CYCLE_1)
	s_and_b32 vcc_lo, exec_lo, s42
	s_cbranch_vccnz .LBB13_77
; %bb.74:
	s_load_b96 s[48:50], s[30:31], 0x4
	s_load_b128 s[44:47], s[0:1], 0xe4
	s_wait_kmcnt 0x0
	v_mul_hi_u32 v2, s49, v1
	s_delay_alu instid0(VALU_DEP_1) | instskip(NEXT) | instid1(VALU_DEP_1)
	v_add_nc_u32_e32 v2, v1, v2
	v_lshrrev_b32_e32 v2, s50, v2
	s_delay_alu instid0(VALU_DEP_1) | instskip(NEXT) | instid1(VALU_DEP_1)
	v_mul_lo_u32 v2, v2, s48
	v_sub_nc_u32_e32 v1, v1, v2
	s_delay_alu instid0(VALU_DEP_1)
	v_mad_u32 v4, v1, s44, v4
	v_mad_u32 v5, v1, s45, v5
	;; [unrolled: 1-line block ×4, first 2 shown]
	s_branch .LBB13_77
.LBB13_75:
                                        ; implicit-def: $vgpr5
                                        ; implicit-def: $vgpr4
                                        ; implicit-def: $vgpr7
                                        ; implicit-def: $vgpr6
	s_branch .LBB13_78
.LBB13_76:
	v_dual_mov_b32 v5, 0 :: v_dual_mov_b32 v4, 0
	v_dual_mov_b32 v7, 0 :: v_dual_mov_b32 v6, 0
.LBB13_77:
	s_cbranch_execnz .LBB13_80
.LBB13_78:
	v_mov_b32_e32 v1, 0
	s_and_not1_b32 vcc_lo, exec_lo, s37
	s_delay_alu instid0(VALU_DEP_1) | instskip(NEXT) | instid1(VALU_DEP_1)
	v_mul_u64_e32 v[2:3], s[24:25], v[0:1]
	v_add_nc_u32_e32 v2, v0, v3
	s_delay_alu instid0(VALU_DEP_1) | instskip(NEXT) | instid1(VALU_DEP_1)
	v_lshrrev_b32_e32 v2, s22, v2
	v_mul_lo_u32 v3, v2, s20
	s_delay_alu instid0(VALU_DEP_1) | instskip(NEXT) | instid1(VALU_DEP_1)
	v_sub_nc_u32_e32 v3, v0, v3
	v_mul_lo_u32 v5, v3, s13
	v_mul_lo_u32 v4, v3, s12
	;; [unrolled: 1-line block ×4, first 2 shown]
	s_cbranch_vccnz .LBB13_80
; %bb.79:
	v_mov_b32_e32 v3, v1
	s_delay_alu instid0(VALU_DEP_1) | instskip(NEXT) | instid1(VALU_DEP_1)
	v_mul_u64_e32 v[8:9], s[28:29], v[2:3]
	v_add_nc_u32_e32 v1, v2, v9
	s_delay_alu instid0(VALU_DEP_1) | instskip(NEXT) | instid1(VALU_DEP_1)
	v_lshrrev_b32_e32 v1, s27, v1
	v_mul_lo_u32 v1, v1, s23
	s_delay_alu instid0(VALU_DEP_1) | instskip(NEXT) | instid1(VALU_DEP_1)
	v_sub_nc_u32_e32 v1, v2, v1
	v_mad_u32 v4, v1, s16, v4
	v_mad_u32 v5, v1, s17, v5
	;; [unrolled: 1-line block ×4, first 2 shown]
.LBB13_80:
	global_load_u8 v1, v6, s[8:9]
	global_load_u8 v2, v7, s[10:11]
	;; [unrolled: 1-line block ×3, first 2 shown]
	v_add_nc_u32_e32 v0, 0x80, v0
	s_wait_loadcnt 0x2
	v_cmp_ne_u16_e32 vcc_lo, 0, v1
	s_wait_loadcnt 0x1
	v_cmp_ne_u16_e64 s0, 0, v2
	s_wait_loadcnt 0x0
	v_cmp_ne_u16_e64 s1, 0, v3
	s_and_b32 s0, vcc_lo, s0
	s_and_b32 s1, s1, s21
	s_and_b32 s0, s0, s26
	s_delay_alu instid0(SALU_CYCLE_1) | instskip(NEXT) | instid1(SALU_CYCLE_1)
	s_or_b32 s0, s1, s0
	v_cndmask_b32_e64 v1, 0, 1, s0
	global_store_b8 v4, v1, s[4:5]
	s_wait_xcnt 0x0
	s_or_b32 exec_lo, exec_lo, s41
	s_delay_alu instid0(SALU_CYCLE_1)
	s_mov_b32 s41, exec_lo
	v_cmpx_gt_i32_e64 s39, v0
	s_cbranch_execz .LBB13_8
.LBB13_81:
	s_and_not1_b32 vcc_lo, exec_lo, s35
	s_cbranch_vccnz .LBB13_87
; %bb.82:
	s_and_not1_b32 vcc_lo, exec_lo, s40
	s_cbranch_vccnz .LBB13_88
; %bb.83:
	v_dual_mov_b32 v5, 0 :: v_dual_mov_b32 v1, v0
	v_dual_mov_b32 v7, 0 :: v_dual_mov_b32 v4, 0
	v_mov_b32_e32 v6, 0
	s_add_co_i32 s30, s38, 1
	s_mov_b64 s[0:1], 0xffffffffffffffe0
	s_and_b32 s42, s30, 30
	s_add_nc_u64 s[0:1], s[2:3], s[0:1]
	s_mov_b64 s[30:31], s[2:3]
.LBB13_84:                              ; =>This Inner Loop Header: Depth=1
	s_clause 0x1
	s_load_b128 s[52:55], s[30:31], 0x4
	s_load_b64 s[56:57], s[30:31], 0x14
	s_load_b256 s[44:51], s[0:1], 0xe4
	s_add_co_i32 s42, s42, -2
	s_wait_xcnt 0x0
	s_add_nc_u64 s[30:31], s[30:31], 24
	s_cmp_eq_u32 s42, 0
	s_add_nc_u64 s[0:1], s[0:1], 32
	s_wait_kmcnt 0x0
	v_mul_hi_u32 v2, s53, v1
	s_delay_alu instid0(VALU_DEP_1) | instskip(NEXT) | instid1(VALU_DEP_1)
	v_add_nc_u32_e32 v2, v1, v2
	v_lshrrev_b32_e32 v2, s54, v2
	s_delay_alu instid0(VALU_DEP_1) | instskip(SKIP_1) | instid1(VALU_DEP_1)
	v_mul_hi_u32 v3, s56, v2
	v_mul_lo_u32 v8, v2, s52
	v_dual_add_nc_u32 v3, v2, v3 :: v_dual_sub_nc_u32 v8, v1, v8
	s_delay_alu instid0(VALU_DEP_1) | instskip(NEXT) | instid1(VALU_DEP_2)
	v_lshrrev_b32_e32 v1, s57, v3
	v_mad_u32 v6, v8, s45, v6
	v_mad_u32 v4, v8, s44, v4
	v_mad_u32 v7, v8, s47, v7
	v_mad_u32 v5, v8, s46, v5
	v_mul_lo_u32 v3, v1, s55
	s_delay_alu instid0(VALU_DEP_1) | instskip(NEXT) | instid1(VALU_DEP_1)
	v_sub_nc_u32_e32 v2, v2, v3
	v_mad_u32 v6, v2, s49, v6
	v_mad_u32 v4, v2, s48, v4
	;; [unrolled: 1-line block ×4, first 2 shown]
	s_cbranch_scc0 .LBB13_84
; %bb.85:
	s_bitcmp1_b32 s38, 0
	s_cselect_b32 s42, -1, 0
	s_delay_alu instid0(SALU_CYCLE_1)
	s_and_b32 vcc_lo, exec_lo, s42
	s_cbranch_vccnz .LBB13_89
; %bb.86:
	s_load_b96 s[48:50], s[30:31], 0x4
	s_load_b128 s[44:47], s[0:1], 0xe4
	s_wait_kmcnt 0x0
	v_mul_hi_u32 v2, s49, v1
	s_delay_alu instid0(VALU_DEP_1) | instskip(NEXT) | instid1(VALU_DEP_1)
	v_add_nc_u32_e32 v2, v1, v2
	v_lshrrev_b32_e32 v2, s50, v2
	s_delay_alu instid0(VALU_DEP_1) | instskip(NEXT) | instid1(VALU_DEP_1)
	v_mul_lo_u32 v2, v2, s48
	v_sub_nc_u32_e32 v1, v1, v2
	s_delay_alu instid0(VALU_DEP_1)
	v_mad_u32 v4, v1, s44, v4
	v_mad_u32 v6, v1, s45, v6
	;; [unrolled: 1-line block ×4, first 2 shown]
	s_branch .LBB13_89
.LBB13_87:
                                        ; implicit-def: $vgpr6
                                        ; implicit-def: $vgpr4
                                        ; implicit-def: $vgpr7
                                        ; implicit-def: $vgpr5
	s_branch .LBB13_90
.LBB13_88:
	v_dual_mov_b32 v6, 0 :: v_dual_mov_b32 v4, 0
	v_dual_mov_b32 v7, 0 :: v_dual_mov_b32 v5, 0
.LBB13_89:
	s_cbranch_execnz .LBB13_92
.LBB13_90:
	v_mov_b32_e32 v1, 0
	s_and_not1_b32 vcc_lo, exec_lo, s37
	s_delay_alu instid0(VALU_DEP_1) | instskip(NEXT) | instid1(VALU_DEP_1)
	v_mul_u64_e32 v[2:3], s[24:25], v[0:1]
	v_add_nc_u32_e32 v2, v0, v3
	s_delay_alu instid0(VALU_DEP_1) | instskip(NEXT) | instid1(VALU_DEP_1)
	v_lshrrev_b32_e32 v2, s22, v2
	v_mul_lo_u32 v3, v2, s20
	s_delay_alu instid0(VALU_DEP_1) | instskip(NEXT) | instid1(VALU_DEP_1)
	v_sub_nc_u32_e32 v3, v0, v3
	v_mul_lo_u32 v6, v3, s13
	v_mul_lo_u32 v4, v3, s12
	;; [unrolled: 1-line block ×4, first 2 shown]
	s_cbranch_vccnz .LBB13_92
; %bb.91:
	v_mov_b32_e32 v3, v1
	s_delay_alu instid0(VALU_DEP_1) | instskip(NEXT) | instid1(VALU_DEP_1)
	v_mul_u64_e32 v[8:9], s[28:29], v[2:3]
	v_add_nc_u32_e32 v1, v2, v9
	s_delay_alu instid0(VALU_DEP_1) | instskip(NEXT) | instid1(VALU_DEP_1)
	v_lshrrev_b32_e32 v1, s27, v1
	v_mul_lo_u32 v1, v1, s23
	s_delay_alu instid0(VALU_DEP_1) | instskip(NEXT) | instid1(VALU_DEP_1)
	v_sub_nc_u32_e32 v1, v2, v1
	v_mad_u32 v4, v1, s16, v4
	v_mad_u32 v6, v1, s17, v6
	;; [unrolled: 1-line block ×4, first 2 shown]
.LBB13_92:
	global_load_u8 v1, v5, s[8:9]
	global_load_u8 v2, v7, s[10:11]
	;; [unrolled: 1-line block ×3, first 2 shown]
	v_add_nc_u32_e32 v0, 0x80, v0
	s_wait_loadcnt 0x2
	v_cmp_ne_u16_e32 vcc_lo, 0, v1
	s_wait_loadcnt 0x1
	v_cmp_ne_u16_e64 s0, 0, v2
	s_wait_loadcnt 0x0
	v_cmp_ne_u16_e64 s1, 0, v3
	s_and_b32 s0, vcc_lo, s0
	s_and_b32 s1, s1, s21
	s_and_b32 s0, s0, s26
	s_delay_alu instid0(SALU_CYCLE_1) | instskip(NEXT) | instid1(SALU_CYCLE_1)
	s_or_b32 s0, s1, s0
	v_cndmask_b32_e64 v1, 0, 1, s0
	global_store_b8 v4, v1, s[4:5]
	s_wait_xcnt 0x0
	s_or_b32 exec_lo, exec_lo, s41
	v_cmp_gt_i32_e32 vcc_lo, s39, v0
	s_and_saveexec_b32 s39, vcc_lo
	s_cbranch_execz .LBB13_105
.LBB13_93:
	s_and_not1_b32 vcc_lo, exec_lo, s35
	s_cbranch_vccnz .LBB13_99
; %bb.94:
	s_and_not1_b32 vcc_lo, exec_lo, s40
	s_cbranch_vccnz .LBB13_100
; %bb.95:
	v_dual_mov_b32 v6, 0 :: v_dual_mov_b32 v1, v0
	v_dual_mov_b32 v7, 0 :: v_dual_mov_b32 v4, 0
	v_mov_b32_e32 v5, 0
	s_add_co_i32 s30, s38, 1
	s_mov_b64 s[0:1], 0xffffffffffffffe0
	s_and_b32 s40, s30, 30
	s_add_nc_u64 s[0:1], s[2:3], s[0:1]
	s_mov_b64 s[30:31], s[2:3]
.LBB13_96:                              ; =>This Inner Loop Header: Depth=1
	s_clause 0x1
	s_load_b128 s[52:55], s[30:31], 0x4
	s_load_b64 s[42:43], s[30:31], 0x14
	s_load_b256 s[44:51], s[0:1], 0xe4
	s_add_co_i32 s40, s40, -2
	s_wait_xcnt 0x0
	s_add_nc_u64 s[30:31], s[30:31], 24
	s_cmp_eq_u32 s40, 0
	s_add_nc_u64 s[0:1], s[0:1], 32
	s_wait_kmcnt 0x0
	v_mul_hi_u32 v2, s53, v1
	s_delay_alu instid0(VALU_DEP_1) | instskip(NEXT) | instid1(VALU_DEP_1)
	v_add_nc_u32_e32 v2, v1, v2
	v_lshrrev_b32_e32 v2, s54, v2
	s_delay_alu instid0(VALU_DEP_1) | instskip(SKIP_1) | instid1(VALU_DEP_1)
	v_mul_hi_u32 v3, s42, v2
	v_mul_lo_u32 v8, v2, s52
	v_dual_add_nc_u32 v3, v2, v3 :: v_dual_sub_nc_u32 v8, v1, v8
	s_delay_alu instid0(VALU_DEP_1) | instskip(NEXT) | instid1(VALU_DEP_2)
	v_lshrrev_b32_e32 v1, s43, v3
	v_mad_u32 v5, v8, s45, v5
	v_mad_u32 v4, v8, s44, v4
	;; [unrolled: 1-line block ×4, first 2 shown]
	v_mul_lo_u32 v3, v1, s55
	s_delay_alu instid0(VALU_DEP_1) | instskip(NEXT) | instid1(VALU_DEP_1)
	v_sub_nc_u32_e32 v2, v2, v3
	v_mad_u32 v5, v2, s49, v5
	v_mad_u32 v4, v2, s48, v4
	;; [unrolled: 1-line block ×4, first 2 shown]
	s_cbranch_scc0 .LBB13_96
; %bb.97:
	s_bitcmp1_b32 s38, 0
	s_cselect_b32 s38, -1, 0
	s_delay_alu instid0(SALU_CYCLE_1)
	s_and_b32 vcc_lo, exec_lo, s38
	s_cbranch_vccnz .LBB13_101
; %bb.98:
	s_load_b96 s[44:46], s[30:31], 0x4
	s_load_b128 s[40:43], s[0:1], 0xe4
	s_wait_kmcnt 0x0
	v_mul_hi_u32 v2, s45, v1
	s_delay_alu instid0(VALU_DEP_1) | instskip(NEXT) | instid1(VALU_DEP_1)
	v_add_nc_u32_e32 v2, v1, v2
	v_lshrrev_b32_e32 v2, s46, v2
	s_delay_alu instid0(VALU_DEP_1) | instskip(NEXT) | instid1(VALU_DEP_1)
	v_mul_lo_u32 v2, v2, s44
	v_sub_nc_u32_e32 v1, v1, v2
	s_delay_alu instid0(VALU_DEP_1)
	v_mad_u32 v4, v1, s40, v4
	v_mad_u32 v5, v1, s41, v5
	;; [unrolled: 1-line block ×4, first 2 shown]
	s_branch .LBB13_101
.LBB13_99:
                                        ; implicit-def: $vgpr5
                                        ; implicit-def: $vgpr4
                                        ; implicit-def: $vgpr7
                                        ; implicit-def: $vgpr6
	s_branch .LBB13_102
.LBB13_100:
	v_dual_mov_b32 v5, 0 :: v_dual_mov_b32 v4, 0
	v_dual_mov_b32 v7, 0 :: v_dual_mov_b32 v6, 0
.LBB13_101:
	s_cbranch_execnz .LBB13_104
.LBB13_102:
	v_mov_b32_e32 v1, 0
	s_and_not1_b32 vcc_lo, exec_lo, s37
	s_delay_alu instid0(VALU_DEP_1) | instskip(NEXT) | instid1(VALU_DEP_1)
	v_mul_u64_e32 v[2:3], s[24:25], v[0:1]
	v_add_nc_u32_e32 v2, v0, v3
	s_delay_alu instid0(VALU_DEP_1) | instskip(NEXT) | instid1(VALU_DEP_1)
	v_lshrrev_b32_e32 v2, s22, v2
	v_mul_lo_u32 v3, v2, s20
	s_delay_alu instid0(VALU_DEP_1) | instskip(NEXT) | instid1(VALU_DEP_1)
	v_sub_nc_u32_e32 v0, v0, v3
	v_mul_lo_u32 v5, v0, s13
	v_mul_lo_u32 v4, v0, s12
	;; [unrolled: 1-line block ×4, first 2 shown]
	s_cbranch_vccnz .LBB13_104
; %bb.103:
	v_mov_b32_e32 v3, v1
	s_delay_alu instid0(VALU_DEP_1) | instskip(NEXT) | instid1(VALU_DEP_1)
	v_mul_u64_e32 v[0:1], s[28:29], v[2:3]
	v_add_nc_u32_e32 v0, v2, v1
	s_delay_alu instid0(VALU_DEP_1) | instskip(NEXT) | instid1(VALU_DEP_1)
	v_lshrrev_b32_e32 v0, s27, v0
	v_mul_lo_u32 v0, v0, s23
	s_delay_alu instid0(VALU_DEP_1) | instskip(NEXT) | instid1(VALU_DEP_1)
	v_sub_nc_u32_e32 v0, v2, v0
	v_mad_u32 v4, v0, s16, v4
	v_mad_u32 v5, v0, s17, v5
	;; [unrolled: 1-line block ×4, first 2 shown]
.LBB13_104:
	global_load_u8 v0, v6, s[8:9]
	global_load_u8 v1, v7, s[10:11]
	;; [unrolled: 1-line block ×3, first 2 shown]
	s_wait_loadcnt 0x2
	v_cmp_ne_u16_e32 vcc_lo, 0, v0
	s_wait_loadcnt 0x1
	v_cmp_ne_u16_e64 s0, 0, v1
	s_wait_loadcnt 0x0
	v_cmp_ne_u16_e64 s1, 0, v2
	s_and_b32 s0, vcc_lo, s0
	s_and_b32 s1, s1, s21
	s_and_b32 s0, s0, s26
	s_delay_alu instid0(SALU_CYCLE_1) | instskip(NEXT) | instid1(SALU_CYCLE_1)
	s_or_b32 s0, s1, s0
	v_cndmask_b32_e64 v0, 0, 1, s0
	global_store_b8 v4, v0, s[4:5]
.LBB13_105:
	s_wait_xcnt 0x0
	s_or_b32 exec_lo, exec_lo, s39
                                        ; implicit-def: $vgpr5
                                        ; implicit-def: $vgpr0
.LBB13_106:
	s_and_not1_saveexec_b32 s0, s36
	s_cbranch_execz .LBB13_113
; %bb.107:
	v_cndmask_b32_e64 v10, 0, 1, s35
	s_and_not1_b32 vcc_lo, exec_lo, s35
	s_cbranch_vccnz .LBB13_114
; %bb.108:
	s_cmp_lg_u32 s33, 0
	s_mov_b32 s6, 0
	s_cbranch_scc0 .LBB13_118
; %bb.109:
	s_min_u32 s7, s34, 15
	v_dual_mov_b32 v2, 0 :: v_dual_mov_b32 v6, v0
	v_dual_mov_b32 v4, 0 :: v_dual_mov_b32 v1, 0
	v_mov_b32_e32 v3, 0
	s_add_co_i32 s4, s7, 1
	s_mov_b64 s[0:1], 0xffffffffffffffe0
	s_and_b32 s8, s4, 30
	s_add_nc_u64 s[0:1], s[2:3], s[0:1]
	s_mov_b64 s[4:5], s[2:3]
.LBB13_110:                             ; =>This Inner Loop Header: Depth=1
	s_clause 0x1
	s_load_b128 s[20:23], s[4:5], 0x4
	s_load_b64 s[10:11], s[4:5], 0x14
	s_load_b256 s[12:19], s[0:1], 0xe4
	s_add_co_i32 s8, s8, -2
	s_wait_xcnt 0x0
	s_add_nc_u64 s[4:5], s[4:5], 24
	s_cmp_lg_u32 s8, 0
	s_add_nc_u64 s[0:1], s[0:1], 32
	s_wait_kmcnt 0x0
	v_mul_hi_u32 v7, s21, v6
	s_delay_alu instid0(VALU_DEP_1) | instskip(NEXT) | instid1(VALU_DEP_1)
	v_add_nc_u32_e32 v7, v6, v7
	v_lshrrev_b32_e32 v7, s22, v7
	s_delay_alu instid0(VALU_DEP_1) | instskip(SKIP_1) | instid1(VALU_DEP_1)
	v_mul_hi_u32 v8, s10, v7
	v_mul_lo_u32 v9, v7, s20
	v_dual_add_nc_u32 v8, v7, v8 :: v_dual_sub_nc_u32 v9, v6, v9
	s_delay_alu instid0(VALU_DEP_1) | instskip(NEXT) | instid1(VALU_DEP_2)
	v_lshrrev_b32_e32 v6, s11, v8
	v_mad_u32 v3, v9, s13, v3
	v_mad_u32 v1, v9, s12, v1
	v_mad_u32 v4, v9, s15, v4
	v_mad_u32 v2, v9, s14, v2
	v_mul_lo_u32 v8, v6, s23
	s_delay_alu instid0(VALU_DEP_1) | instskip(NEXT) | instid1(VALU_DEP_1)
	v_sub_nc_u32_e32 v7, v7, v8
	v_mad_u32 v3, v7, s17, v3
	v_mad_u32 v1, v7, s16, v1
	;; [unrolled: 1-line block ×4, first 2 shown]
	s_cbranch_scc1 .LBB13_110
; %bb.111:
	s_bitcmp1_b32 s7, 0
	s_cselect_b32 s7, -1, 0
	s_delay_alu instid0(SALU_CYCLE_1)
	s_and_b32 vcc_lo, exec_lo, s7
	s_cbranch_vccnz .LBB13_115
; %bb.112:
	s_load_b96 s[12:14], s[4:5], 0x4
	s_load_b128 s[8:11], s[0:1], 0xe4
	s_wait_kmcnt 0x0
	v_mul_hi_u32 v7, s13, v6
	s_delay_alu instid0(VALU_DEP_1) | instskip(NEXT) | instid1(VALU_DEP_1)
	v_add_nc_u32_e32 v7, v6, v7
	v_lshrrev_b32_e32 v7, s14, v7
	s_delay_alu instid0(VALU_DEP_1) | instskip(NEXT) | instid1(VALU_DEP_1)
	v_mul_lo_u32 v7, v7, s12
	v_sub_nc_u32_e32 v6, v6, v7
	s_delay_alu instid0(VALU_DEP_1)
	v_mad_u32 v1, v6, s8, v1
	v_mad_u32 v3, v6, s9, v3
	;; [unrolled: 1-line block ×4, first 2 shown]
	s_and_not1_b32 vcc_lo, exec_lo, s6
	s_cbranch_vccz .LBB13_116
	s_branch .LBB13_119
.LBB13_113:
	s_endpgm
.LBB13_114:
	s_mov_b32 s6, -1
                                        ; implicit-def: $vgpr3
                                        ; implicit-def: $vgpr1
                                        ; implicit-def: $vgpr4
                                        ; implicit-def: $vgpr2
.LBB13_115:
	s_delay_alu instid0(SALU_CYCLE_1)
	s_and_not1_b32 vcc_lo, exec_lo, s6
	s_cbranch_vccnz .LBB13_119
.LBB13_116:
	s_clause 0x1
	s_load_b96 s[8:10], s[2:3], 0x4
	s_load_b128 s[4:7], s[2:3], 0xc4
	s_cmp_lt_u32 s33, 2
	s_wait_kmcnt 0x0
	v_mul_hi_u32 v1, s9, v0
	s_delay_alu instid0(VALU_DEP_1) | instskip(NEXT) | instid1(VALU_DEP_1)
	v_add_nc_u32_e32 v1, v0, v1
	v_lshrrev_b32_e32 v6, s10, v1
	s_delay_alu instid0(VALU_DEP_1) | instskip(NEXT) | instid1(VALU_DEP_1)
	v_mul_lo_u32 v1, v6, s8
	v_sub_nc_u32_e32 v2, v0, v1
	s_delay_alu instid0(VALU_DEP_1)
	v_mul_lo_u32 v3, v2, s5
	v_mul_lo_u32 v1, v2, s4
	;; [unrolled: 1-line block ×4, first 2 shown]
	s_cbranch_scc1 .LBB13_119
; %bb.117:
	s_clause 0x1
	s_load_b96 s[8:10], s[2:3], 0x10
	s_load_b128 s[4:7], s[2:3], 0xd4
	s_wait_kmcnt 0x0
	v_mul_hi_u32 v7, s9, v6
	s_delay_alu instid0(VALU_DEP_1) | instskip(NEXT) | instid1(VALU_DEP_1)
	v_add_nc_u32_e32 v7, v6, v7
	v_lshrrev_b32_e32 v7, s10, v7
	s_delay_alu instid0(VALU_DEP_1) | instskip(NEXT) | instid1(VALU_DEP_1)
	v_mul_lo_u32 v7, v7, s8
	v_sub_nc_u32_e32 v6, v6, v7
	s_delay_alu instid0(VALU_DEP_1)
	v_mad_u32 v1, v6, s4, v1
	v_mad_u32 v3, v6, s5, v3
	;; [unrolled: 1-line block ×4, first 2 shown]
	s_branch .LBB13_119
.LBB13_118:
	v_dual_mov_b32 v3, 0 :: v_dual_mov_b32 v1, 0
	v_dual_mov_b32 v4, 0 :: v_dual_mov_b32 v2, 0
	s_and_not1_b32 vcc_lo, exec_lo, s6
	s_cbranch_vccz .LBB13_116
.LBB13_119:
	v_cmp_ne_u32_e32 vcc_lo, 1, v10
	v_add_nc_u32_e32 v11, 0x80, v0
	s_cbranch_vccnz .LBB13_125
; %bb.120:
	s_cmp_lg_u32 s33, 0
	s_mov_b32 s6, 0
	s_cbranch_scc0 .LBB13_129
; %bb.121:
	s_min_u32 s7, s34, 15
	v_dual_mov_b32 v9, 0 :: v_dual_mov_b32 v12, v11
	v_dual_mov_b32 v8, 0 :: v_dual_mov_b32 v6, 0
	v_mov_b32_e32 v7, 0
	s_add_co_i32 s4, s7, 1
	s_mov_b64 s[0:1], 0xffffffffffffffe0
	s_and_b32 s8, s4, 30
	s_add_nc_u64 s[0:1], s[2:3], s[0:1]
	s_mov_b64 s[4:5], s[2:3]
.LBB13_122:                             ; =>This Inner Loop Header: Depth=1
	s_clause 0x1
	s_load_b128 s[20:23], s[4:5], 0x4
	s_load_b64 s[10:11], s[4:5], 0x14
	s_load_b256 s[12:19], s[0:1], 0xe4
	s_add_co_i32 s8, s8, -2
	s_wait_xcnt 0x0
	s_add_nc_u64 s[4:5], s[4:5], 24
	s_cmp_lg_u32 s8, 0
	s_add_nc_u64 s[0:1], s[0:1], 32
	s_wait_kmcnt 0x0
	v_mul_hi_u32 v13, s21, v12
	s_delay_alu instid0(VALU_DEP_1) | instskip(NEXT) | instid1(VALU_DEP_1)
	v_add_nc_u32_e32 v13, v12, v13
	v_lshrrev_b32_e32 v13, s22, v13
	s_delay_alu instid0(VALU_DEP_1) | instskip(SKIP_1) | instid1(VALU_DEP_1)
	v_mul_hi_u32 v14, s10, v13
	v_mul_lo_u32 v15, v13, s20
	v_dual_add_nc_u32 v14, v13, v14 :: v_dual_sub_nc_u32 v15, v12, v15
	s_delay_alu instid0(VALU_DEP_1) | instskip(NEXT) | instid1(VALU_DEP_2)
	v_lshrrev_b32_e32 v12, s11, v14
	v_mad_u32 v7, v15, s13, v7
	v_mad_u32 v6, v15, s12, v6
	;; [unrolled: 1-line block ×4, first 2 shown]
	v_mul_lo_u32 v14, v12, s23
	s_delay_alu instid0(VALU_DEP_1) | instskip(NEXT) | instid1(VALU_DEP_1)
	v_sub_nc_u32_e32 v13, v13, v14
	v_mad_u32 v7, v13, s17, v7
	v_mad_u32 v6, v13, s16, v6
	;; [unrolled: 1-line block ×4, first 2 shown]
	s_cbranch_scc1 .LBB13_122
; %bb.123:
	s_bitcmp1_b32 s7, 0
	s_cselect_b32 s7, -1, 0
	s_delay_alu instid0(SALU_CYCLE_1)
	s_and_b32 vcc_lo, exec_lo, s7
	s_cbranch_vccnz .LBB13_126
; %bb.124:
	s_load_b96 s[12:14], s[4:5], 0x4
	s_load_b128 s[8:11], s[0:1], 0xe4
	s_wait_kmcnt 0x0
	v_mul_hi_u32 v13, s13, v12
	s_delay_alu instid0(VALU_DEP_1) | instskip(NEXT) | instid1(VALU_DEP_1)
	v_add_nc_u32_e32 v13, v12, v13
	v_lshrrev_b32_e32 v13, s14, v13
	s_delay_alu instid0(VALU_DEP_1) | instskip(NEXT) | instid1(VALU_DEP_1)
	v_mul_lo_u32 v13, v13, s12
	v_sub_nc_u32_e32 v12, v12, v13
	s_delay_alu instid0(VALU_DEP_1)
	v_mad_u32 v6, v12, s8, v6
	v_mad_u32 v7, v12, s9, v7
	;; [unrolled: 1-line block ×4, first 2 shown]
	s_and_not1_b32 vcc_lo, exec_lo, s6
	s_cbranch_vccz .LBB13_127
	s_branch .LBB13_130
.LBB13_125:
	s_mov_b32 s6, -1
                                        ; implicit-def: $vgpr7
                                        ; implicit-def: $vgpr6
                                        ; implicit-def: $vgpr8
                                        ; implicit-def: $vgpr9
.LBB13_126:
	s_delay_alu instid0(SALU_CYCLE_1)
	s_and_not1_b32 vcc_lo, exec_lo, s6
	s_cbranch_vccnz .LBB13_130
.LBB13_127:
	s_clause 0x1
	s_load_b96 s[8:10], s[2:3], 0x4
	s_load_b128 s[4:7], s[2:3], 0xc4
	s_cmp_lt_u32 s33, 2
	s_wait_kmcnt 0x0
	v_mul_hi_u32 v6, s9, v11
	s_delay_alu instid0(VALU_DEP_1) | instskip(NEXT) | instid1(VALU_DEP_1)
	v_add_nc_u32_e32 v6, v11, v6
	v_lshrrev_b32_e32 v12, s10, v6
	s_delay_alu instid0(VALU_DEP_1) | instskip(NEXT) | instid1(VALU_DEP_1)
	v_mul_lo_u32 v6, v12, s8
	v_sub_nc_u32_e32 v9, v11, v6
	s_delay_alu instid0(VALU_DEP_1)
	v_mul_lo_u32 v7, v9, s5
	v_mul_lo_u32 v6, v9, s4
	v_mul_lo_u32 v8, v9, s7
	v_mul_lo_u32 v9, v9, s6
	s_cbranch_scc1 .LBB13_130
; %bb.128:
	s_clause 0x1
	s_load_b96 s[8:10], s[2:3], 0x10
	s_load_b128 s[4:7], s[2:3], 0xd4
	s_wait_kmcnt 0x0
	v_mul_hi_u32 v11, s9, v12
	s_delay_alu instid0(VALU_DEP_1) | instskip(NEXT) | instid1(VALU_DEP_1)
	v_add_nc_u32_e32 v11, v12, v11
	v_lshrrev_b32_e32 v11, s10, v11
	s_delay_alu instid0(VALU_DEP_1) | instskip(NEXT) | instid1(VALU_DEP_1)
	v_mul_lo_u32 v11, v11, s8
	v_sub_nc_u32_e32 v11, v12, v11
	s_delay_alu instid0(VALU_DEP_1)
	v_mad_u32 v6, v11, s4, v6
	v_mad_u32 v7, v11, s5, v7
	;; [unrolled: 1-line block ×4, first 2 shown]
	s_branch .LBB13_130
.LBB13_129:
	v_dual_mov_b32 v7, 0 :: v_dual_mov_b32 v6, 0
	v_dual_mov_b32 v8, 0 :: v_dual_mov_b32 v9, 0
	s_and_not1_b32 vcc_lo, exec_lo, s6
	s_cbranch_vccz .LBB13_127
.LBB13_130:
	v_cmp_ne_u32_e32 vcc_lo, 1, v10
	v_add_nc_u32_e32 v15, 0x100, v0
	s_cbranch_vccnz .LBB13_136
; %bb.131:
	s_cmp_lg_u32 s33, 0
	s_mov_b32 s6, 0
	s_cbranch_scc0 .LBB13_140
; %bb.132:
	s_min_u32 s7, s34, 15
	v_dual_mov_b32 v14, 0 :: v_dual_mov_b32 v16, v15
	v_dual_mov_b32 v13, 0 :: v_dual_mov_b32 v11, 0
	v_mov_b32_e32 v12, 0
	s_add_co_i32 s4, s7, 1
	s_mov_b64 s[0:1], 0xffffffffffffffe0
	s_and_b32 s8, s4, 30
	s_add_nc_u64 s[0:1], s[2:3], s[0:1]
	s_mov_b64 s[4:5], s[2:3]
.LBB13_133:                             ; =>This Inner Loop Header: Depth=1
	s_clause 0x1
	s_load_b128 s[20:23], s[4:5], 0x4
	s_load_b64 s[10:11], s[4:5], 0x14
	s_load_b256 s[12:19], s[0:1], 0xe4
	s_add_co_i32 s8, s8, -2
	s_wait_xcnt 0x0
	s_add_nc_u64 s[4:5], s[4:5], 24
	s_cmp_lg_u32 s8, 0
	s_add_nc_u64 s[0:1], s[0:1], 32
	s_wait_kmcnt 0x0
	v_mul_hi_u32 v17, s21, v16
	s_delay_alu instid0(VALU_DEP_1) | instskip(NEXT) | instid1(VALU_DEP_1)
	v_add_nc_u32_e32 v17, v16, v17
	v_lshrrev_b32_e32 v17, s22, v17
	s_delay_alu instid0(VALU_DEP_1) | instskip(SKIP_1) | instid1(VALU_DEP_1)
	v_mul_hi_u32 v18, s10, v17
	v_mul_lo_u32 v19, v17, s20
	v_dual_add_nc_u32 v18, v17, v18 :: v_dual_sub_nc_u32 v19, v16, v19
	s_delay_alu instid0(VALU_DEP_1) | instskip(NEXT) | instid1(VALU_DEP_2)
	v_lshrrev_b32_e32 v16, s11, v18
	v_mad_u32 v12, v19, s13, v12
	v_mad_u32 v11, v19, s12, v11
	;; [unrolled: 1-line block ×4, first 2 shown]
	v_mul_lo_u32 v18, v16, s23
	s_delay_alu instid0(VALU_DEP_1) | instskip(NEXT) | instid1(VALU_DEP_1)
	v_sub_nc_u32_e32 v17, v17, v18
	v_mad_u32 v12, v17, s17, v12
	v_mad_u32 v11, v17, s16, v11
	;; [unrolled: 1-line block ×4, first 2 shown]
	s_cbranch_scc1 .LBB13_133
; %bb.134:
	s_bitcmp1_b32 s7, 0
	s_cselect_b32 s7, -1, 0
	s_delay_alu instid0(SALU_CYCLE_1)
	s_and_b32 vcc_lo, exec_lo, s7
	s_cbranch_vccnz .LBB13_137
; %bb.135:
	s_load_b96 s[12:14], s[4:5], 0x4
	s_load_b128 s[8:11], s[0:1], 0xe4
	s_wait_kmcnt 0x0
	v_mul_hi_u32 v17, s13, v16
	s_delay_alu instid0(VALU_DEP_1) | instskip(NEXT) | instid1(VALU_DEP_1)
	v_add_nc_u32_e32 v17, v16, v17
	v_lshrrev_b32_e32 v17, s14, v17
	s_delay_alu instid0(VALU_DEP_1) | instskip(NEXT) | instid1(VALU_DEP_1)
	v_mul_lo_u32 v17, v17, s12
	v_sub_nc_u32_e32 v16, v16, v17
	s_delay_alu instid0(VALU_DEP_1)
	v_mad_u32 v11, v16, s8, v11
	v_mad_u32 v12, v16, s9, v12
	;; [unrolled: 1-line block ×4, first 2 shown]
	s_and_not1_b32 vcc_lo, exec_lo, s6
	s_cbranch_vccz .LBB13_138
	s_branch .LBB13_141
.LBB13_136:
	s_mov_b32 s6, -1
                                        ; implicit-def: $vgpr12
                                        ; implicit-def: $vgpr11
                                        ; implicit-def: $vgpr13
                                        ; implicit-def: $vgpr14
.LBB13_137:
	s_delay_alu instid0(SALU_CYCLE_1)
	s_and_not1_b32 vcc_lo, exec_lo, s6
	s_cbranch_vccnz .LBB13_141
.LBB13_138:
	s_clause 0x1
	s_load_b96 s[8:10], s[2:3], 0x4
	s_load_b128 s[4:7], s[2:3], 0xc4
	s_cmp_lt_u32 s33, 2
	s_wait_kmcnt 0x0
	v_mul_hi_u32 v11, s9, v15
	s_delay_alu instid0(VALU_DEP_1) | instskip(NEXT) | instid1(VALU_DEP_1)
	v_add_nc_u32_e32 v11, v15, v11
	v_lshrrev_b32_e32 v16, s10, v11
	s_delay_alu instid0(VALU_DEP_1) | instskip(NEXT) | instid1(VALU_DEP_1)
	v_mul_lo_u32 v11, v16, s8
	v_sub_nc_u32_e32 v14, v15, v11
	s_delay_alu instid0(VALU_DEP_1)
	v_mul_lo_u32 v12, v14, s5
	v_mul_lo_u32 v11, v14, s4
	;; [unrolled: 1-line block ×4, first 2 shown]
	s_cbranch_scc1 .LBB13_141
; %bb.139:
	s_clause 0x1
	s_load_b96 s[8:10], s[2:3], 0x10
	s_load_b128 s[4:7], s[2:3], 0xd4
	s_wait_kmcnt 0x0
	v_mul_hi_u32 v15, s9, v16
	s_delay_alu instid0(VALU_DEP_1) | instskip(NEXT) | instid1(VALU_DEP_1)
	v_add_nc_u32_e32 v15, v16, v15
	v_lshrrev_b32_e32 v15, s10, v15
	s_delay_alu instid0(VALU_DEP_1) | instskip(NEXT) | instid1(VALU_DEP_1)
	v_mul_lo_u32 v15, v15, s8
	v_sub_nc_u32_e32 v15, v16, v15
	s_delay_alu instid0(VALU_DEP_1)
	v_mad_u32 v11, v15, s4, v11
	v_mad_u32 v12, v15, s5, v12
	;; [unrolled: 1-line block ×4, first 2 shown]
	s_branch .LBB13_141
.LBB13_140:
	v_dual_mov_b32 v12, 0 :: v_dual_mov_b32 v11, 0
	v_dual_mov_b32 v13, 0 :: v_dual_mov_b32 v14, 0
	s_and_not1_b32 vcc_lo, exec_lo, s6
	s_cbranch_vccz .LBB13_138
.LBB13_141:
	v_cmp_ne_u32_e32 vcc_lo, 1, v10
	v_add_nc_u32_e32 v19, 0x180, v0
	s_cbranch_vccnz .LBB13_147
; %bb.142:
	s_cmp_lg_u32 s33, 0
	s_mov_b32 s6, 0
	s_cbranch_scc0 .LBB13_151
; %bb.143:
	s_min_u32 s7, s34, 15
	v_dual_mov_b32 v17, 0 :: v_dual_mov_b32 v20, v19
	v_dual_mov_b32 v18, 0 :: v_dual_mov_b32 v15, 0
	v_mov_b32_e32 v16, 0
	s_add_co_i32 s4, s7, 1
	s_mov_b64 s[0:1], 0xffffffffffffffe0
	s_and_b32 s8, s4, 30
	s_add_nc_u64 s[0:1], s[2:3], s[0:1]
	s_mov_b64 s[4:5], s[2:3]
.LBB13_144:                             ; =>This Inner Loop Header: Depth=1
	s_clause 0x1
	s_load_b128 s[20:23], s[4:5], 0x4
	s_load_b64 s[10:11], s[4:5], 0x14
	s_load_b256 s[12:19], s[0:1], 0xe4
	s_add_co_i32 s8, s8, -2
	s_wait_xcnt 0x0
	s_add_nc_u64 s[4:5], s[4:5], 24
	s_cmp_lg_u32 s8, 0
	s_add_nc_u64 s[0:1], s[0:1], 32
	s_wait_kmcnt 0x0
	v_mul_hi_u32 v21, s21, v20
	s_delay_alu instid0(VALU_DEP_1) | instskip(NEXT) | instid1(VALU_DEP_1)
	v_add_nc_u32_e32 v21, v20, v21
	v_lshrrev_b32_e32 v21, s22, v21
	s_delay_alu instid0(VALU_DEP_1) | instskip(SKIP_1) | instid1(VALU_DEP_1)
	v_mul_hi_u32 v22, s10, v21
	v_mul_lo_u32 v23, v21, s20
	v_dual_add_nc_u32 v22, v21, v22 :: v_dual_sub_nc_u32 v23, v20, v23
	s_delay_alu instid0(VALU_DEP_1) | instskip(NEXT) | instid1(VALU_DEP_2)
	v_lshrrev_b32_e32 v20, s11, v22
	v_mad_u32 v16, v23, s13, v16
	v_mad_u32 v15, v23, s12, v15
	;; [unrolled: 1-line block ×4, first 2 shown]
	v_mul_lo_u32 v22, v20, s23
	s_delay_alu instid0(VALU_DEP_1) | instskip(NEXT) | instid1(VALU_DEP_1)
	v_sub_nc_u32_e32 v21, v21, v22
	v_mad_u32 v16, v21, s17, v16
	v_mad_u32 v15, v21, s16, v15
	v_mad_u32 v18, v21, s19, v18
	v_mad_u32 v17, v21, s18, v17
	s_cbranch_scc1 .LBB13_144
; %bb.145:
	s_bitcmp1_b32 s7, 0
	s_cselect_b32 s7, -1, 0
	s_delay_alu instid0(SALU_CYCLE_1)
	s_and_b32 vcc_lo, exec_lo, s7
	s_cbranch_vccnz .LBB13_148
; %bb.146:
	s_load_b96 s[12:14], s[4:5], 0x4
	s_load_b128 s[8:11], s[0:1], 0xe4
	s_wait_kmcnt 0x0
	v_mul_hi_u32 v21, s13, v20
	s_delay_alu instid0(VALU_DEP_1) | instskip(NEXT) | instid1(VALU_DEP_1)
	v_add_nc_u32_e32 v21, v20, v21
	v_lshrrev_b32_e32 v21, s14, v21
	s_delay_alu instid0(VALU_DEP_1) | instskip(NEXT) | instid1(VALU_DEP_1)
	v_mul_lo_u32 v21, v21, s12
	v_sub_nc_u32_e32 v20, v20, v21
	s_delay_alu instid0(VALU_DEP_1)
	v_mad_u32 v15, v20, s8, v15
	v_mad_u32 v16, v20, s9, v16
	;; [unrolled: 1-line block ×4, first 2 shown]
	s_and_not1_b32 vcc_lo, exec_lo, s6
	s_cbranch_vccz .LBB13_149
	s_branch .LBB13_152
.LBB13_147:
	s_mov_b32 s6, -1
                                        ; implicit-def: $vgpr16
                                        ; implicit-def: $vgpr15
                                        ; implicit-def: $vgpr18
                                        ; implicit-def: $vgpr17
.LBB13_148:
	s_delay_alu instid0(SALU_CYCLE_1)
	s_and_not1_b32 vcc_lo, exec_lo, s6
	s_cbranch_vccnz .LBB13_152
.LBB13_149:
	s_clause 0x1
	s_load_b96 s[8:10], s[2:3], 0x4
	s_load_b128 s[4:7], s[2:3], 0xc4
	s_cmp_lt_u32 s33, 2
	s_wait_kmcnt 0x0
	v_mul_hi_u32 v15, s9, v19
	s_delay_alu instid0(VALU_DEP_1) | instskip(NEXT) | instid1(VALU_DEP_1)
	v_add_nc_u32_e32 v15, v19, v15
	v_lshrrev_b32_e32 v20, s10, v15
	s_delay_alu instid0(VALU_DEP_1) | instskip(NEXT) | instid1(VALU_DEP_1)
	v_mul_lo_u32 v15, v20, s8
	v_sub_nc_u32_e32 v17, v19, v15
	s_delay_alu instid0(VALU_DEP_1)
	v_mul_lo_u32 v16, v17, s5
	v_mul_lo_u32 v15, v17, s4
	v_mul_lo_u32 v18, v17, s7
	v_mul_lo_u32 v17, v17, s6
	s_cbranch_scc1 .LBB13_152
; %bb.150:
	s_clause 0x1
	s_load_b96 s[8:10], s[2:3], 0x10
	s_load_b128 s[4:7], s[2:3], 0xd4
	s_wait_kmcnt 0x0
	v_mul_hi_u32 v19, s9, v20
	s_delay_alu instid0(VALU_DEP_1) | instskip(NEXT) | instid1(VALU_DEP_1)
	v_add_nc_u32_e32 v19, v20, v19
	v_lshrrev_b32_e32 v19, s10, v19
	s_delay_alu instid0(VALU_DEP_1) | instskip(NEXT) | instid1(VALU_DEP_1)
	v_mul_lo_u32 v19, v19, s8
	v_sub_nc_u32_e32 v19, v20, v19
	s_delay_alu instid0(VALU_DEP_1)
	v_mad_u32 v15, v19, s4, v15
	v_mad_u32 v16, v19, s5, v16
	;; [unrolled: 1-line block ×4, first 2 shown]
	s_branch .LBB13_152
.LBB13_151:
	v_dual_mov_b32 v16, 0 :: v_dual_mov_b32 v15, 0
	v_dual_mov_b32 v18, 0 :: v_dual_mov_b32 v17, 0
	s_and_not1_b32 vcc_lo, exec_lo, s6
	s_cbranch_vccz .LBB13_149
.LBB13_152:
	v_cmp_ne_u32_e32 vcc_lo, 1, v10
	v_add_nc_u32_e32 v23, 0x200, v0
	s_cbranch_vccnz .LBB13_158
; %bb.153:
	s_cmp_lg_u32 s33, 0
	s_mov_b32 s6, 0
	s_cbranch_scc0 .LBB13_162
; %bb.154:
	s_min_u32 s7, s34, 15
	v_dual_mov_b32 v20, 0 :: v_dual_mov_b32 v24, v23
	v_dual_mov_b32 v22, 0 :: v_dual_mov_b32 v19, 0
	v_mov_b32_e32 v21, 0
	s_add_co_i32 s4, s7, 1
	s_mov_b64 s[0:1], 0xffffffffffffffe0
	s_and_b32 s8, s4, 30
	s_add_nc_u64 s[0:1], s[2:3], s[0:1]
	s_mov_b64 s[4:5], s[2:3]
.LBB13_155:                             ; =>This Inner Loop Header: Depth=1
	s_clause 0x1
	s_load_b128 s[20:23], s[4:5], 0x4
	s_load_b64 s[10:11], s[4:5], 0x14
	s_load_b256 s[12:19], s[0:1], 0xe4
	s_add_co_i32 s8, s8, -2
	s_wait_xcnt 0x0
	s_add_nc_u64 s[4:5], s[4:5], 24
	s_cmp_lg_u32 s8, 0
	s_add_nc_u64 s[0:1], s[0:1], 32
	s_wait_kmcnt 0x0
	v_mul_hi_u32 v25, s21, v24
	s_delay_alu instid0(VALU_DEP_1) | instskip(NEXT) | instid1(VALU_DEP_1)
	v_add_nc_u32_e32 v25, v24, v25
	v_lshrrev_b32_e32 v25, s22, v25
	s_delay_alu instid0(VALU_DEP_1) | instskip(SKIP_1) | instid1(VALU_DEP_1)
	v_mul_hi_u32 v26, s10, v25
	v_mul_lo_u32 v27, v25, s20
	v_dual_add_nc_u32 v26, v25, v26 :: v_dual_sub_nc_u32 v27, v24, v27
	s_delay_alu instid0(VALU_DEP_1) | instskip(NEXT) | instid1(VALU_DEP_2)
	v_lshrrev_b32_e32 v24, s11, v26
	v_mad_u32 v21, v27, s13, v21
	v_mad_u32 v19, v27, s12, v19
	;; [unrolled: 1-line block ×4, first 2 shown]
	v_mul_lo_u32 v26, v24, s23
	s_delay_alu instid0(VALU_DEP_1) | instskip(NEXT) | instid1(VALU_DEP_1)
	v_sub_nc_u32_e32 v25, v25, v26
	v_mad_u32 v21, v25, s17, v21
	v_mad_u32 v19, v25, s16, v19
	;; [unrolled: 1-line block ×4, first 2 shown]
	s_cbranch_scc1 .LBB13_155
; %bb.156:
	s_bitcmp1_b32 s7, 0
	s_cselect_b32 s7, -1, 0
	s_delay_alu instid0(SALU_CYCLE_1)
	s_and_b32 vcc_lo, exec_lo, s7
	s_cbranch_vccnz .LBB13_159
; %bb.157:
	s_load_b96 s[12:14], s[4:5], 0x4
	s_load_b128 s[8:11], s[0:1], 0xe4
	s_wait_kmcnt 0x0
	v_mul_hi_u32 v25, s13, v24
	s_delay_alu instid0(VALU_DEP_1) | instskip(NEXT) | instid1(VALU_DEP_1)
	v_add_nc_u32_e32 v25, v24, v25
	v_lshrrev_b32_e32 v25, s14, v25
	s_delay_alu instid0(VALU_DEP_1) | instskip(NEXT) | instid1(VALU_DEP_1)
	v_mul_lo_u32 v25, v25, s12
	v_sub_nc_u32_e32 v24, v24, v25
	s_delay_alu instid0(VALU_DEP_1)
	v_mad_u32 v19, v24, s8, v19
	v_mad_u32 v21, v24, s9, v21
	;; [unrolled: 1-line block ×4, first 2 shown]
	s_and_not1_b32 vcc_lo, exec_lo, s6
	s_cbranch_vccz .LBB13_160
	s_branch .LBB13_163
.LBB13_158:
	s_mov_b32 s6, -1
                                        ; implicit-def: $vgpr21
                                        ; implicit-def: $vgpr19
                                        ; implicit-def: $vgpr22
                                        ; implicit-def: $vgpr20
.LBB13_159:
	s_delay_alu instid0(SALU_CYCLE_1)
	s_and_not1_b32 vcc_lo, exec_lo, s6
	s_cbranch_vccnz .LBB13_163
.LBB13_160:
	s_clause 0x1
	s_load_b96 s[8:10], s[2:3], 0x4
	s_load_b128 s[4:7], s[2:3], 0xc4
	s_cmp_lt_u32 s33, 2
	s_wait_kmcnt 0x0
	v_mul_hi_u32 v19, s9, v23
	s_delay_alu instid0(VALU_DEP_1) | instskip(NEXT) | instid1(VALU_DEP_1)
	v_add_nc_u32_e32 v19, v23, v19
	v_lshrrev_b32_e32 v24, s10, v19
	s_delay_alu instid0(VALU_DEP_1) | instskip(NEXT) | instid1(VALU_DEP_1)
	v_mul_lo_u32 v19, v24, s8
	v_sub_nc_u32_e32 v20, v23, v19
	s_delay_alu instid0(VALU_DEP_1)
	v_mul_lo_u32 v21, v20, s5
	v_mul_lo_u32 v19, v20, s4
	;; [unrolled: 1-line block ×4, first 2 shown]
	s_cbranch_scc1 .LBB13_163
; %bb.161:
	s_clause 0x1
	s_load_b96 s[8:10], s[2:3], 0x10
	s_load_b128 s[4:7], s[2:3], 0xd4
	s_wait_kmcnt 0x0
	v_mul_hi_u32 v23, s9, v24
	s_delay_alu instid0(VALU_DEP_1) | instskip(NEXT) | instid1(VALU_DEP_1)
	v_add_nc_u32_e32 v23, v24, v23
	v_lshrrev_b32_e32 v23, s10, v23
	s_delay_alu instid0(VALU_DEP_1) | instskip(NEXT) | instid1(VALU_DEP_1)
	v_mul_lo_u32 v23, v23, s8
	v_sub_nc_u32_e32 v23, v24, v23
	s_delay_alu instid0(VALU_DEP_1)
	v_mad_u32 v19, v23, s4, v19
	v_mad_u32 v21, v23, s5, v21
	;; [unrolled: 1-line block ×4, first 2 shown]
	s_branch .LBB13_163
.LBB13_162:
	v_dual_mov_b32 v21, 0 :: v_dual_mov_b32 v19, 0
	v_dual_mov_b32 v22, 0 :: v_dual_mov_b32 v20, 0
	s_and_not1_b32 vcc_lo, exec_lo, s6
	s_cbranch_vccz .LBB13_160
.LBB13_163:
	v_cmp_ne_u32_e32 vcc_lo, 1, v10
	v_add_nc_u32_e32 v27, 0x280, v0
	s_cbranch_vccnz .LBB13_169
; %bb.164:
	s_cmp_lg_u32 s33, 0
	s_mov_b32 s6, 0
	s_cbranch_scc0 .LBB13_173
; %bb.165:
	s_min_u32 s7, s34, 15
	v_dual_mov_b32 v25, 0 :: v_dual_mov_b32 v28, v27
	v_dual_mov_b32 v26, 0 :: v_dual_mov_b32 v23, 0
	v_mov_b32_e32 v24, 0
	s_add_co_i32 s4, s7, 1
	s_mov_b64 s[0:1], 0xffffffffffffffe0
	s_and_b32 s8, s4, 30
	s_add_nc_u64 s[0:1], s[2:3], s[0:1]
	s_mov_b64 s[4:5], s[2:3]
.LBB13_166:                             ; =>This Inner Loop Header: Depth=1
	s_clause 0x1
	s_load_b128 s[20:23], s[4:5], 0x4
	s_load_b64 s[10:11], s[4:5], 0x14
	s_load_b256 s[12:19], s[0:1], 0xe4
	s_add_co_i32 s8, s8, -2
	s_wait_xcnt 0x0
	s_add_nc_u64 s[4:5], s[4:5], 24
	s_cmp_lg_u32 s8, 0
	s_add_nc_u64 s[0:1], s[0:1], 32
	s_wait_kmcnt 0x0
	v_mul_hi_u32 v29, s21, v28
	s_delay_alu instid0(VALU_DEP_1) | instskip(NEXT) | instid1(VALU_DEP_1)
	v_add_nc_u32_e32 v29, v28, v29
	v_lshrrev_b32_e32 v29, s22, v29
	s_delay_alu instid0(VALU_DEP_1) | instskip(SKIP_1) | instid1(VALU_DEP_1)
	v_mul_hi_u32 v30, s10, v29
	v_mul_lo_u32 v31, v29, s20
	v_dual_add_nc_u32 v30, v29, v30 :: v_dual_sub_nc_u32 v31, v28, v31
	s_delay_alu instid0(VALU_DEP_1) | instskip(NEXT) | instid1(VALU_DEP_2)
	v_lshrrev_b32_e32 v28, s11, v30
	v_mad_u32 v24, v31, s13, v24
	v_mad_u32 v23, v31, s12, v23
	;; [unrolled: 1-line block ×4, first 2 shown]
	v_mul_lo_u32 v30, v28, s23
	s_delay_alu instid0(VALU_DEP_1) | instskip(NEXT) | instid1(VALU_DEP_1)
	v_sub_nc_u32_e32 v29, v29, v30
	v_mad_u32 v24, v29, s17, v24
	v_mad_u32 v23, v29, s16, v23
	;; [unrolled: 1-line block ×4, first 2 shown]
	s_cbranch_scc1 .LBB13_166
; %bb.167:
	s_bitcmp1_b32 s7, 0
	s_cselect_b32 s7, -1, 0
	s_delay_alu instid0(SALU_CYCLE_1)
	s_and_b32 vcc_lo, exec_lo, s7
	s_cbranch_vccnz .LBB13_170
; %bb.168:
	s_load_b96 s[12:14], s[4:5], 0x4
	s_load_b128 s[8:11], s[0:1], 0xe4
	s_wait_kmcnt 0x0
	v_mul_hi_u32 v29, s13, v28
	s_delay_alu instid0(VALU_DEP_1) | instskip(NEXT) | instid1(VALU_DEP_1)
	v_add_nc_u32_e32 v29, v28, v29
	v_lshrrev_b32_e32 v29, s14, v29
	s_delay_alu instid0(VALU_DEP_1) | instskip(NEXT) | instid1(VALU_DEP_1)
	v_mul_lo_u32 v29, v29, s12
	v_sub_nc_u32_e32 v28, v28, v29
	s_delay_alu instid0(VALU_DEP_1)
	v_mad_u32 v23, v28, s8, v23
	v_mad_u32 v24, v28, s9, v24
	;; [unrolled: 1-line block ×4, first 2 shown]
	s_and_not1_b32 vcc_lo, exec_lo, s6
	s_cbranch_vccz .LBB13_171
	s_branch .LBB13_174
.LBB13_169:
	s_mov_b32 s6, -1
                                        ; implicit-def: $vgpr24
                                        ; implicit-def: $vgpr23
                                        ; implicit-def: $vgpr26
                                        ; implicit-def: $vgpr25
.LBB13_170:
	s_delay_alu instid0(SALU_CYCLE_1)
	s_and_not1_b32 vcc_lo, exec_lo, s6
	s_cbranch_vccnz .LBB13_174
.LBB13_171:
	s_clause 0x1
	s_load_b96 s[8:10], s[2:3], 0x4
	s_load_b128 s[4:7], s[2:3], 0xc4
	s_cmp_lt_u32 s33, 2
	s_wait_kmcnt 0x0
	v_mul_hi_u32 v23, s9, v27
	s_delay_alu instid0(VALU_DEP_1) | instskip(NEXT) | instid1(VALU_DEP_1)
	v_add_nc_u32_e32 v23, v27, v23
	v_lshrrev_b32_e32 v28, s10, v23
	s_delay_alu instid0(VALU_DEP_1) | instskip(NEXT) | instid1(VALU_DEP_1)
	v_mul_lo_u32 v23, v28, s8
	v_sub_nc_u32_e32 v25, v27, v23
	s_delay_alu instid0(VALU_DEP_1)
	v_mul_lo_u32 v24, v25, s5
	v_mul_lo_u32 v23, v25, s4
	;; [unrolled: 1-line block ×4, first 2 shown]
	s_cbranch_scc1 .LBB13_174
; %bb.172:
	s_clause 0x1
	s_load_b96 s[8:10], s[2:3], 0x10
	s_load_b128 s[4:7], s[2:3], 0xd4
	s_wait_kmcnt 0x0
	v_mul_hi_u32 v27, s9, v28
	s_delay_alu instid0(VALU_DEP_1) | instskip(NEXT) | instid1(VALU_DEP_1)
	v_add_nc_u32_e32 v27, v28, v27
	v_lshrrev_b32_e32 v27, s10, v27
	s_delay_alu instid0(VALU_DEP_1) | instskip(NEXT) | instid1(VALU_DEP_1)
	v_mul_lo_u32 v27, v27, s8
	v_sub_nc_u32_e32 v27, v28, v27
	s_delay_alu instid0(VALU_DEP_1)
	v_mad_u32 v23, v27, s4, v23
	v_mad_u32 v24, v27, s5, v24
	;; [unrolled: 1-line block ×4, first 2 shown]
	s_branch .LBB13_174
.LBB13_173:
	v_dual_mov_b32 v24, 0 :: v_dual_mov_b32 v23, 0
	v_dual_mov_b32 v26, 0 :: v_dual_mov_b32 v25, 0
	s_and_not1_b32 vcc_lo, exec_lo, s6
	s_cbranch_vccz .LBB13_171
.LBB13_174:
	v_cmp_ne_u32_e32 vcc_lo, 1, v10
	v_add_nc_u32_e32 v30, 0x300, v0
	s_cbranch_vccnz .LBB13_180
; %bb.175:
	s_cmp_lg_u32 s33, 0
	s_mov_b32 s6, 0
	s_cbranch_scc0 .LBB13_184
; %bb.176:
	s_min_u32 s7, s34, 15
	v_dual_mov_b32 v29, 0 :: v_dual_mov_b32 v31, v30
	v_dual_mov_b32 v28, 0 :: v_dual_mov_b32 v0, 0
	v_mov_b32_e32 v27, 0
	s_add_co_i32 s4, s7, 1
	s_mov_b64 s[0:1], 0xffffffffffffffe0
	s_and_b32 s8, s4, 30
	s_add_nc_u64 s[0:1], s[2:3], s[0:1]
	s_mov_b64 s[4:5], s[2:3]
.LBB13_177:                             ; =>This Inner Loop Header: Depth=1
	s_clause 0x1
	s_load_b128 s[20:23], s[4:5], 0x4
	s_load_b64 s[10:11], s[4:5], 0x14
	s_load_b256 s[12:19], s[0:1], 0xe4
	s_add_co_i32 s8, s8, -2
	s_wait_xcnt 0x0
	s_add_nc_u64 s[4:5], s[4:5], 24
	s_cmp_lg_u32 s8, 0
	s_add_nc_u64 s[0:1], s[0:1], 32
	s_wait_kmcnt 0x0
	v_mul_hi_u32 v32, s21, v31
	s_delay_alu instid0(VALU_DEP_1) | instskip(NEXT) | instid1(VALU_DEP_1)
	v_add_nc_u32_e32 v32, v31, v32
	v_lshrrev_b32_e32 v32, s22, v32
	s_delay_alu instid0(VALU_DEP_1) | instskip(SKIP_1) | instid1(VALU_DEP_1)
	v_mul_hi_u32 v33, s10, v32
	v_mul_lo_u32 v34, v32, s20
	v_dual_add_nc_u32 v33, v32, v33 :: v_dual_sub_nc_u32 v34, v31, v34
	s_delay_alu instid0(VALU_DEP_1) | instskip(NEXT) | instid1(VALU_DEP_2)
	v_lshrrev_b32_e32 v31, s11, v33
	v_mad_u32 v27, v34, s13, v27
	v_mad_u32 v0, v34, s12, v0
	;; [unrolled: 1-line block ×4, first 2 shown]
	v_mul_lo_u32 v33, v31, s23
	s_delay_alu instid0(VALU_DEP_1) | instskip(NEXT) | instid1(VALU_DEP_1)
	v_sub_nc_u32_e32 v32, v32, v33
	v_mad_u32 v27, v32, s17, v27
	v_mad_u32 v0, v32, s16, v0
	;; [unrolled: 1-line block ×4, first 2 shown]
	s_cbranch_scc1 .LBB13_177
; %bb.178:
	s_bitcmp1_b32 s7, 0
	s_cselect_b32 s7, -1, 0
	s_delay_alu instid0(SALU_CYCLE_1)
	s_and_b32 vcc_lo, exec_lo, s7
	s_cbranch_vccnz .LBB13_181
; %bb.179:
	s_load_b96 s[12:14], s[4:5], 0x4
	s_load_b128 s[8:11], s[0:1], 0xe4
	s_wait_kmcnt 0x0
	v_mul_hi_u32 v32, s13, v31
	s_delay_alu instid0(VALU_DEP_1) | instskip(NEXT) | instid1(VALU_DEP_1)
	v_add_nc_u32_e32 v32, v31, v32
	v_lshrrev_b32_e32 v32, s14, v32
	s_delay_alu instid0(VALU_DEP_1) | instskip(NEXT) | instid1(VALU_DEP_1)
	v_mul_lo_u32 v32, v32, s12
	v_sub_nc_u32_e32 v31, v31, v32
	s_delay_alu instid0(VALU_DEP_1)
	v_mad_u32 v0, v31, s8, v0
	v_mad_u32 v27, v31, s9, v27
	;; [unrolled: 1-line block ×4, first 2 shown]
	s_and_not1_b32 vcc_lo, exec_lo, s6
	s_cbranch_vccz .LBB13_182
	s_branch .LBB13_185
.LBB13_180:
	s_mov_b32 s6, -1
                                        ; implicit-def: $vgpr27
                                        ; implicit-def: $vgpr0
                                        ; implicit-def: $vgpr28
                                        ; implicit-def: $vgpr29
.LBB13_181:
	s_delay_alu instid0(SALU_CYCLE_1)
	s_and_not1_b32 vcc_lo, exec_lo, s6
	s_cbranch_vccnz .LBB13_185
.LBB13_182:
	s_clause 0x1
	s_load_b96 s[8:10], s[2:3], 0x4
	s_load_b128 s[4:7], s[2:3], 0xc4
	s_cmp_lt_u32 s33, 2
	s_wait_kmcnt 0x0
	v_mul_hi_u32 v0, s9, v30
	s_delay_alu instid0(VALU_DEP_1) | instskip(NEXT) | instid1(VALU_DEP_1)
	v_add_nc_u32_e32 v0, v30, v0
	v_lshrrev_b32_e32 v31, s10, v0
	s_delay_alu instid0(VALU_DEP_1) | instskip(NEXT) | instid1(VALU_DEP_1)
	v_mul_lo_u32 v0, v31, s8
	v_sub_nc_u32_e32 v29, v30, v0
	s_delay_alu instid0(VALU_DEP_1)
	v_mul_lo_u32 v27, v29, s5
	v_mul_lo_u32 v0, v29, s4
	v_mul_lo_u32 v28, v29, s7
	v_mul_lo_u32 v29, v29, s6
	s_cbranch_scc1 .LBB13_185
; %bb.183:
	s_clause 0x1
	s_load_b96 s[8:10], s[2:3], 0x10
	s_load_b128 s[4:7], s[2:3], 0xd4
	s_wait_kmcnt 0x0
	v_mul_hi_u32 v30, s9, v31
	s_delay_alu instid0(VALU_DEP_1) | instskip(NEXT) | instid1(VALU_DEP_1)
	v_add_nc_u32_e32 v30, v31, v30
	v_lshrrev_b32_e32 v30, s10, v30
	s_delay_alu instid0(VALU_DEP_1) | instskip(NEXT) | instid1(VALU_DEP_1)
	v_mul_lo_u32 v30, v30, s8
	v_sub_nc_u32_e32 v30, v31, v30
	s_delay_alu instid0(VALU_DEP_1)
	v_mad_u32 v0, v30, s4, v0
	v_mad_u32 v27, v30, s5, v27
	;; [unrolled: 1-line block ×4, first 2 shown]
	s_branch .LBB13_185
.LBB13_184:
	v_dual_mov_b32 v27, 0 :: v_dual_mov_b32 v0, 0
	v_dual_mov_b32 v28, 0 :: v_dual_mov_b32 v29, 0
	s_and_not1_b32 vcc_lo, exec_lo, s6
	s_cbranch_vccz .LBB13_182
.LBB13_185:
	v_cmp_ne_u32_e32 vcc_lo, 1, v10
	s_cbranch_vccnz .LBB13_191
; %bb.186:
	s_cmp_lg_u32 s33, 0
	s_mov_b32 s6, 0
	s_cbranch_scc0 .LBB13_195
; %bb.187:
	s_min_u32 s7, s34, 15
	v_dual_mov_b32 v32, 0 :: v_dual_mov_b32 v33, v5
	v_dual_mov_b32 v31, 0 :: v_dual_mov_b32 v10, 0
	v_mov_b32_e32 v30, 0
	s_add_co_i32 s4, s7, 1
	s_mov_b64 s[0:1], 0xffffffffffffffe0
	s_and_b32 s8, s4, 30
	s_add_nc_u64 s[0:1], s[2:3], s[0:1]
	s_mov_b64 s[4:5], s[2:3]
.LBB13_188:                             ; =>This Inner Loop Header: Depth=1
	s_clause 0x1
	s_load_b128 s[20:23], s[4:5], 0x4
	s_load_b64 s[10:11], s[4:5], 0x14
	s_load_b256 s[12:19], s[0:1], 0xe4
	s_add_co_i32 s8, s8, -2
	s_wait_xcnt 0x0
	s_add_nc_u64 s[4:5], s[4:5], 24
	s_cmp_lg_u32 s8, 0
	s_add_nc_u64 s[0:1], s[0:1], 32
	s_wait_kmcnt 0x0
	v_mul_hi_u32 v34, s21, v33
	s_delay_alu instid0(VALU_DEP_1) | instskip(NEXT) | instid1(VALU_DEP_1)
	v_add_nc_u32_e32 v34, v33, v34
	v_lshrrev_b32_e32 v34, s22, v34
	s_delay_alu instid0(VALU_DEP_1) | instskip(SKIP_1) | instid1(VALU_DEP_1)
	v_mul_hi_u32 v35, s10, v34
	v_mul_lo_u32 v36, v34, s20
	v_dual_add_nc_u32 v35, v34, v35 :: v_dual_sub_nc_u32 v36, v33, v36
	s_delay_alu instid0(VALU_DEP_1) | instskip(NEXT) | instid1(VALU_DEP_2)
	v_lshrrev_b32_e32 v33, s11, v35
	v_mad_u32 v30, v36, s13, v30
	v_mad_u32 v10, v36, s12, v10
	;; [unrolled: 1-line block ×4, first 2 shown]
	v_mul_lo_u32 v35, v33, s23
	s_delay_alu instid0(VALU_DEP_1) | instskip(NEXT) | instid1(VALU_DEP_1)
	v_sub_nc_u32_e32 v34, v34, v35
	v_mad_u32 v30, v34, s17, v30
	v_mad_u32 v10, v34, s16, v10
	;; [unrolled: 1-line block ×4, first 2 shown]
	s_cbranch_scc1 .LBB13_188
; %bb.189:
	s_bitcmp1_b32 s7, 0
	s_cselect_b32 s7, -1, 0
	s_delay_alu instid0(SALU_CYCLE_1)
	s_and_b32 vcc_lo, exec_lo, s7
	s_cbranch_vccnz .LBB13_192
; %bb.190:
	s_load_b96 s[12:14], s[4:5], 0x4
	s_load_b128 s[8:11], s[0:1], 0xe4
	s_wait_kmcnt 0x0
	v_mul_hi_u32 v34, s13, v33
	s_delay_alu instid0(VALU_DEP_1) | instskip(NEXT) | instid1(VALU_DEP_1)
	v_add_nc_u32_e32 v34, v33, v34
	v_lshrrev_b32_e32 v34, s14, v34
	s_delay_alu instid0(VALU_DEP_1) | instskip(NEXT) | instid1(VALU_DEP_1)
	v_mul_lo_u32 v34, v34, s12
	v_sub_nc_u32_e32 v33, v33, v34
	s_delay_alu instid0(VALU_DEP_1)
	v_mad_u32 v10, v33, s8, v10
	v_mad_u32 v30, v33, s9, v30
	;; [unrolled: 1-line block ×4, first 2 shown]
	s_and_not1_b32 vcc_lo, exec_lo, s6
	s_cbranch_vccz .LBB13_193
	s_branch .LBB13_196
.LBB13_191:
	s_mov_b32 s6, -1
                                        ; implicit-def: $vgpr30
                                        ; implicit-def: $vgpr10
                                        ; implicit-def: $vgpr31
                                        ; implicit-def: $vgpr32
.LBB13_192:
	s_delay_alu instid0(SALU_CYCLE_1)
	s_and_not1_b32 vcc_lo, exec_lo, s6
	s_cbranch_vccnz .LBB13_196
.LBB13_193:
	s_clause 0x1
	s_load_b96 s[8:10], s[2:3], 0x4
	s_load_b128 s[4:7], s[2:3], 0xc4
	s_cmp_lt_u32 s33, 2
	s_wait_kmcnt 0x0
	v_mul_hi_u32 v10, s9, v5
	s_delay_alu instid0(VALU_DEP_1) | instskip(NEXT) | instid1(VALU_DEP_1)
	v_add_nc_u32_e32 v10, v5, v10
	v_lshrrev_b32_e32 v33, s10, v10
	s_delay_alu instid0(VALU_DEP_1) | instskip(NEXT) | instid1(VALU_DEP_1)
	v_mul_lo_u32 v10, v33, s8
	v_sub_nc_u32_e32 v5, v5, v10
	s_delay_alu instid0(VALU_DEP_1)
	v_mul_lo_u32 v30, v5, s5
	v_mul_lo_u32 v10, v5, s4
	;; [unrolled: 1-line block ×4, first 2 shown]
	s_cbranch_scc1 .LBB13_196
; %bb.194:
	s_clause 0x1
	s_load_b96 s[8:10], s[2:3], 0x10
	s_load_b128 s[4:7], s[2:3], 0xd4
	s_wait_kmcnt 0x0
	v_mul_hi_u32 v5, s9, v33
	s_delay_alu instid0(VALU_DEP_1) | instskip(NEXT) | instid1(VALU_DEP_1)
	v_add_nc_u32_e32 v5, v33, v5
	v_lshrrev_b32_e32 v5, s10, v5
	s_delay_alu instid0(VALU_DEP_1) | instskip(NEXT) | instid1(VALU_DEP_1)
	v_mul_lo_u32 v5, v5, s8
	v_sub_nc_u32_e32 v5, v33, v5
	s_delay_alu instid0(VALU_DEP_1)
	v_mad_u32 v10, v5, s4, v10
	v_mad_u32 v30, v5, s5, v30
	;; [unrolled: 1-line block ×4, first 2 shown]
	s_branch .LBB13_196
.LBB13_195:
	v_dual_mov_b32 v30, 0 :: v_dual_mov_b32 v10, 0
	v_dual_mov_b32 v31, 0 :: v_dual_mov_b32 v32, 0
	s_and_not1_b32 vcc_lo, exec_lo, s6
	s_cbranch_vccz .LBB13_193
.LBB13_196:
	s_clause 0x1
	s_load_b256 s[24:31], s[2:3], 0x1c8
	s_load_b32 s0, s[2:3], 0x1e8
	s_wait_kmcnt 0x0
	global_load_u8 v5, v3, s[26:27]
	global_load_u8 v33, v2, s[28:29]
	;; [unrolled: 1-line block ×15, first 2 shown]
                                        ; kill: killed $vgpr18
                                        ; kill: killed $vgpr21
                                        ; kill: killed $vgpr9
                                        ; kill: killed $vgpr3
                                        ; kill: killed $vgpr22
                                        ; kill: killed $vgpr4
                                        ; kill: killed $vgpr14
                                        ; kill: killed $vgpr7
                                        ; kill: killed $vgpr8
                                        ; kill: killed $vgpr17
                                        ; kill: killed $vgpr12
                                        ; kill: killed $vgpr13
                                        ; kill: killed $vgpr20
                                        ; kill: killed $vgpr16
                                        ; kill: killed $vgpr2
	global_load_u8 v2, v24, s[26:27]
	global_load_u8 v3, v25, s[28:29]
	;; [unrolled: 1-line block ×9, first 2 shown]
	s_and_b32 s22, s0, 0xffff
	s_bitcmp1_b32 s0, 0
	s_cselect_b32 s23, -1, 0
	s_wait_loadcnt 0x17
	v_cmp_ne_u16_e32 vcc_lo, 0, v5
	s_wait_loadcnt 0x16
	v_cmp_ne_u16_e64 s0, 0, v33
	s_wait_loadcnt 0x15
	v_cmp_ne_u16_e64 s1, 0, v34
	;; [unrolled: 2-line block ×5, first 2 shown]
	s_wait_xcnt 0x2
	s_and_b32 s26, vcc_lo, s23
	s_bitcmp1_b32 s22, 8
	s_wait_loadcnt 0x10
	v_cmp_ne_u16_e64 s6, 0, v39
	s_wait_loadcnt 0xf
	v_cmp_ne_u16_e64 s7, 0, v40
	s_cselect_b32 s22, -1, 0
	s_and_b32 s0, s0, s1
	v_cmp_ne_u16_e64 s5, 0, v38
	s_wait_loadcnt 0xd
	v_cmp_ne_u16_e64 s9, 0, v42
	s_wait_loadcnt 0xc
	v_cmp_ne_u16_e64 s10, 0, v43
	s_and_b32 s1, s2, s23
	s_and_b32 s2, s3, s4
	;; [unrolled: 1-line block ×3, first 2 shown]
	v_cmp_ne_u16_e64 s8, 0, v41
	s_wait_loadcnt 0xa
	v_cmp_ne_u16_e64 s12, 0, v45
	s_wait_loadcnt 0x9
	v_cmp_ne_u16_e64 s13, 0, v46
	s_and_b32 s4, s6, s7
	s_and_b32 s2, s2, s22
	s_or_b32 s0, s26, s0
	v_cmp_ne_u16_e64 s11, 0, v44
	s_and_b32 s3, s5, s23
	s_and_b32 s6, s9, s10
	;; [unrolled: 1-line block ×5, first 2 shown]
	s_wait_loadcnt 0x8
	v_cmp_ne_u16_e64 s14, 0, v2
	s_wait_loadcnt 0x7
	v_cmp_ne_u16_e64 s15, 0, v3
	;; [unrolled: 2-line block ×3, first 2 shown]
	v_cndmask_b32_e64 v2, 0, 1, s0
	s_or_b32 s0, s1, s2
	s_wait_loadcnt 0x4
	v_cmp_ne_u16_e64 s18, 0, v8
	s_wait_loadcnt 0x3
	v_cmp_ne_u16_e64 s19, 0, v9
	s_and_b32 s6, s6, s22
	v_cndmask_b32_e64 v3, 0, 1, s0
	s_or_b32 s0, s3, s4
	v_cmp_ne_u16_e64 s17, 0, v7
	s_wait_loadcnt 0x1
	v_cmp_ne_u16_e64 s21, 0, v13
	s_wait_loadcnt 0x0
	v_cmp_ne_u16_e32 vcc_lo, 0, v14
	s_and_b32 s7, s11, s23
	s_and_b32 s10, s15, s16
	;; [unrolled: 1-line block ×3, first 2 shown]
	v_cndmask_b32_e64 v4, 0, 1, s0
	s_or_b32 s0, s5, s6
	v_cmp_ne_u16_e64 s20, 0, v12
	s_and_b32 s9, s14, s23
	s_and_b32 s12, s18, s19
	s_and_b32 s10, s10, s22
	v_cndmask_b32_e64 v5, 0, 1, s0
	s_or_b32 s0, s7, s8
	s_and_b32 s11, s17, s23
	s_and_b32 s14, s21, vcc_lo
	s_and_b32 s12, s12, s22
	v_cndmask_b32_e64 v7, 0, 1, s0
	s_or_b32 s0, s9, s10
	s_and_b32 s13, s20, s23
	s_and_b32 s14, s14, s22
	v_cndmask_b32_e64 v8, 0, 1, s0
	s_or_b32 s0, s11, s12
	s_delay_alu instid0(SALU_CYCLE_1) | instskip(SKIP_1) | instid1(SALU_CYCLE_1)
	v_cndmask_b32_e64 v9, 0, 1, s0
	s_or_b32 s0, s13, s14
	v_cndmask_b32_e64 v12, 0, 1, s0
	s_clause 0x7
	global_store_b8 v1, v2, s[24:25]
	global_store_b8 v6, v3, s[24:25]
	;; [unrolled: 1-line block ×8, first 2 shown]
	s_endpgm
	.section	.rodata,"a",@progbits
	.p2align	6, 0x0
	.amdhsa_kernel _ZN2at6native32elementwise_kernel_manual_unrollILi128ELi8EZNS0_22gpu_kernel_impl_nocastIZNS0_12_GLOBAL__N_116addr_kernel_cudaERNS_14TensorIteratorERKN3c106ScalarES9_EUlbbbE0_EEvRNS_18TensorIteratorBaseERKT_EUlibE_EEviT1_
		.amdhsa_group_segment_fixed_size 0
		.amdhsa_private_segment_fixed_size 0
		.amdhsa_kernarg_size 504
		.amdhsa_user_sgpr_count 2
		.amdhsa_user_sgpr_dispatch_ptr 0
		.amdhsa_user_sgpr_queue_ptr 0
		.amdhsa_user_sgpr_kernarg_segment_ptr 1
		.amdhsa_user_sgpr_dispatch_id 0
		.amdhsa_user_sgpr_kernarg_preload_length 0
		.amdhsa_user_sgpr_kernarg_preload_offset 0
		.amdhsa_user_sgpr_private_segment_size 0
		.amdhsa_wavefront_size32 1
		.amdhsa_uses_dynamic_stack 0
		.amdhsa_enable_private_segment 0
		.amdhsa_system_sgpr_workgroup_id_x 1
		.amdhsa_system_sgpr_workgroup_id_y 0
		.amdhsa_system_sgpr_workgroup_id_z 0
		.amdhsa_system_sgpr_workgroup_info 0
		.amdhsa_system_vgpr_workitem_id 0
		.amdhsa_next_free_vgpr 47
		.amdhsa_next_free_sgpr 58
		.amdhsa_named_barrier_count 0
		.amdhsa_reserve_vcc 1
		.amdhsa_float_round_mode_32 0
		.amdhsa_float_round_mode_16_64 0
		.amdhsa_float_denorm_mode_32 3
		.amdhsa_float_denorm_mode_16_64 3
		.amdhsa_fp16_overflow 0
		.amdhsa_memory_ordered 1
		.amdhsa_forward_progress 1
		.amdhsa_inst_pref_size 94
		.amdhsa_round_robin_scheduling 0
		.amdhsa_exception_fp_ieee_invalid_op 0
		.amdhsa_exception_fp_denorm_src 0
		.amdhsa_exception_fp_ieee_div_zero 0
		.amdhsa_exception_fp_ieee_overflow 0
		.amdhsa_exception_fp_ieee_underflow 0
		.amdhsa_exception_fp_ieee_inexact 0
		.amdhsa_exception_int_div_zero 0
	.end_amdhsa_kernel
	.section	.text._ZN2at6native32elementwise_kernel_manual_unrollILi128ELi8EZNS0_22gpu_kernel_impl_nocastIZNS0_12_GLOBAL__N_116addr_kernel_cudaERNS_14TensorIteratorERKN3c106ScalarES9_EUlbbbE0_EEvRNS_18TensorIteratorBaseERKT_EUlibE_EEviT1_,"axG",@progbits,_ZN2at6native32elementwise_kernel_manual_unrollILi128ELi8EZNS0_22gpu_kernel_impl_nocastIZNS0_12_GLOBAL__N_116addr_kernel_cudaERNS_14TensorIteratorERKN3c106ScalarES9_EUlbbbE0_EEvRNS_18TensorIteratorBaseERKT_EUlibE_EEviT1_,comdat
.Lfunc_end13:
	.size	_ZN2at6native32elementwise_kernel_manual_unrollILi128ELi8EZNS0_22gpu_kernel_impl_nocastIZNS0_12_GLOBAL__N_116addr_kernel_cudaERNS_14TensorIteratorERKN3c106ScalarES9_EUlbbbE0_EEvRNS_18TensorIteratorBaseERKT_EUlibE_EEviT1_, .Lfunc_end13-_ZN2at6native32elementwise_kernel_manual_unrollILi128ELi8EZNS0_22gpu_kernel_impl_nocastIZNS0_12_GLOBAL__N_116addr_kernel_cudaERNS_14TensorIteratorERKN3c106ScalarES9_EUlbbbE0_EEvRNS_18TensorIteratorBaseERKT_EUlibE_EEviT1_
                                        ; -- End function
	.set _ZN2at6native32elementwise_kernel_manual_unrollILi128ELi8EZNS0_22gpu_kernel_impl_nocastIZNS0_12_GLOBAL__N_116addr_kernel_cudaERNS_14TensorIteratorERKN3c106ScalarES9_EUlbbbE0_EEvRNS_18TensorIteratorBaseERKT_EUlibE_EEviT1_.num_vgpr, 47
	.set _ZN2at6native32elementwise_kernel_manual_unrollILi128ELi8EZNS0_22gpu_kernel_impl_nocastIZNS0_12_GLOBAL__N_116addr_kernel_cudaERNS_14TensorIteratorERKN3c106ScalarES9_EUlbbbE0_EEvRNS_18TensorIteratorBaseERKT_EUlibE_EEviT1_.num_agpr, 0
	.set _ZN2at6native32elementwise_kernel_manual_unrollILi128ELi8EZNS0_22gpu_kernel_impl_nocastIZNS0_12_GLOBAL__N_116addr_kernel_cudaERNS_14TensorIteratorERKN3c106ScalarES9_EUlbbbE0_EEvRNS_18TensorIteratorBaseERKT_EUlibE_EEviT1_.numbered_sgpr, 58
	.set _ZN2at6native32elementwise_kernel_manual_unrollILi128ELi8EZNS0_22gpu_kernel_impl_nocastIZNS0_12_GLOBAL__N_116addr_kernel_cudaERNS_14TensorIteratorERKN3c106ScalarES9_EUlbbbE0_EEvRNS_18TensorIteratorBaseERKT_EUlibE_EEviT1_.num_named_barrier, 0
	.set _ZN2at6native32elementwise_kernel_manual_unrollILi128ELi8EZNS0_22gpu_kernel_impl_nocastIZNS0_12_GLOBAL__N_116addr_kernel_cudaERNS_14TensorIteratorERKN3c106ScalarES9_EUlbbbE0_EEvRNS_18TensorIteratorBaseERKT_EUlibE_EEviT1_.private_seg_size, 0
	.set _ZN2at6native32elementwise_kernel_manual_unrollILi128ELi8EZNS0_22gpu_kernel_impl_nocastIZNS0_12_GLOBAL__N_116addr_kernel_cudaERNS_14TensorIteratorERKN3c106ScalarES9_EUlbbbE0_EEvRNS_18TensorIteratorBaseERKT_EUlibE_EEviT1_.uses_vcc, 1
	.set _ZN2at6native32elementwise_kernel_manual_unrollILi128ELi8EZNS0_22gpu_kernel_impl_nocastIZNS0_12_GLOBAL__N_116addr_kernel_cudaERNS_14TensorIteratorERKN3c106ScalarES9_EUlbbbE0_EEvRNS_18TensorIteratorBaseERKT_EUlibE_EEviT1_.uses_flat_scratch, 0
	.set _ZN2at6native32elementwise_kernel_manual_unrollILi128ELi8EZNS0_22gpu_kernel_impl_nocastIZNS0_12_GLOBAL__N_116addr_kernel_cudaERNS_14TensorIteratorERKN3c106ScalarES9_EUlbbbE0_EEvRNS_18TensorIteratorBaseERKT_EUlibE_EEviT1_.has_dyn_sized_stack, 0
	.set _ZN2at6native32elementwise_kernel_manual_unrollILi128ELi8EZNS0_22gpu_kernel_impl_nocastIZNS0_12_GLOBAL__N_116addr_kernel_cudaERNS_14TensorIteratorERKN3c106ScalarES9_EUlbbbE0_EEvRNS_18TensorIteratorBaseERKT_EUlibE_EEviT1_.has_recursion, 0
	.set _ZN2at6native32elementwise_kernel_manual_unrollILi128ELi8EZNS0_22gpu_kernel_impl_nocastIZNS0_12_GLOBAL__N_116addr_kernel_cudaERNS_14TensorIteratorERKN3c106ScalarES9_EUlbbbE0_EEvRNS_18TensorIteratorBaseERKT_EUlibE_EEviT1_.has_indirect_call, 0
	.section	.AMDGPU.csdata,"",@progbits
; Kernel info:
; codeLenInByte = 12004
; TotalNumSgprs: 60
; NumVgprs: 47
; ScratchSize: 0
; MemoryBound: 0
; FloatMode: 240
; IeeeMode: 1
; LDSByteSize: 0 bytes/workgroup (compile time only)
; SGPRBlocks: 0
; VGPRBlocks: 2
; NumSGPRsForWavesPerEU: 60
; NumVGPRsForWavesPerEU: 47
; NamedBarCnt: 0
; Occupancy: 16
; WaveLimiterHint : 1
; COMPUTE_PGM_RSRC2:SCRATCH_EN: 0
; COMPUTE_PGM_RSRC2:USER_SGPR: 2
; COMPUTE_PGM_RSRC2:TRAP_HANDLER: 0
; COMPUTE_PGM_RSRC2:TGID_X_EN: 1
; COMPUTE_PGM_RSRC2:TGID_Y_EN: 0
; COMPUTE_PGM_RSRC2:TGID_Z_EN: 0
; COMPUTE_PGM_RSRC2:TIDIG_COMP_CNT: 0
	.section	.text._ZN2at6native32elementwise_kernel_manual_unrollILi128ELi4EZNS0_15gpu_kernel_implIZNS0_12_GLOBAL__N_116addr_kernel_cudaERNS_14TensorIteratorERKN3c106ScalarES9_EUlbbbE0_EEvRNS_18TensorIteratorBaseERKT_EUlibE_EEviT1_,"axG",@progbits,_ZN2at6native32elementwise_kernel_manual_unrollILi128ELi4EZNS0_15gpu_kernel_implIZNS0_12_GLOBAL__N_116addr_kernel_cudaERNS_14TensorIteratorERKN3c106ScalarES9_EUlbbbE0_EEvRNS_18TensorIteratorBaseERKT_EUlibE_EEviT1_,comdat
	.globl	_ZN2at6native32elementwise_kernel_manual_unrollILi128ELi4EZNS0_15gpu_kernel_implIZNS0_12_GLOBAL__N_116addr_kernel_cudaERNS_14TensorIteratorERKN3c106ScalarES9_EUlbbbE0_EEvRNS_18TensorIteratorBaseERKT_EUlibE_EEviT1_ ; -- Begin function _ZN2at6native32elementwise_kernel_manual_unrollILi128ELi4EZNS0_15gpu_kernel_implIZNS0_12_GLOBAL__N_116addr_kernel_cudaERNS_14TensorIteratorERKN3c106ScalarES9_EUlbbbE0_EEvRNS_18TensorIteratorBaseERKT_EUlibE_EEviT1_
	.p2align	8
	.type	_ZN2at6native32elementwise_kernel_manual_unrollILi128ELi4EZNS0_15gpu_kernel_implIZNS0_12_GLOBAL__N_116addr_kernel_cudaERNS_14TensorIteratorERKN3c106ScalarES9_EUlbbbE0_EEvRNS_18TensorIteratorBaseERKT_EUlibE_EEviT1_,@function
_ZN2at6native32elementwise_kernel_manual_unrollILi128ELi4EZNS0_15gpu_kernel_implIZNS0_12_GLOBAL__N_116addr_kernel_cudaERNS_14TensorIteratorERKN3c106ScalarES9_EUlbbbE0_EEvRNS_18TensorIteratorBaseERKT_EUlibE_EEviT1_: ; @_ZN2at6native32elementwise_kernel_manual_unrollILi128ELi4EZNS0_15gpu_kernel_implIZNS0_12_GLOBAL__N_116addr_kernel_cudaERNS_14TensorIteratorERKN3c106ScalarES9_EUlbbbE0_EEvRNS_18TensorIteratorBaseERKT_EUlibE_EEviT1_
; %bb.0:
	s_clause 0x1
	s_load_b64 s[2:3], s[0:1], 0x38
	s_load_b128 s[12:15], s[0:1], 0x28
	s_bfe_u32 s4, ttmp6, 0x4000c
	s_load_b32 s24, s[0:1], 0x0
	s_add_co_i32 s16, s4, 1
	s_load_b256 s[4:11], s[0:1], 0x8
	s_and_b32 s19, ttmp6, 15
	s_wait_xcnt 0x0
	s_mul_i32 s0, ttmp9, s16
	s_getreg_b32 s20, hwreg(HW_REG_IB_STS2, 6, 4)
	s_add_co_i32 s19, s19, s0
	s_mov_b32 s21, 0
	s_wait_kmcnt 0x0
	s_lshr_b64 s[16:17], s[2:3], 24
	s_lshr_b32 s18, s2, 8
	s_lshr_b32 s1, s2, 16
	s_lshr_b32 s17, s3, 8
	s_cmp_eq_u32 s20, 0
	s_cselect_b32 s0, ttmp9, s19
	s_mov_b32 s19, 0
	v_lshl_or_b32 v8, s0, 9, v0
	s_mov_b32 s0, exec_lo
	s_delay_alu instid0(VALU_DEP_1) | instskip(NEXT) | instid1(VALU_DEP_1)
	v_or_b32_e32 v0, 0x180, v8
	v_cmpx_le_i32_e64 s24, v0
	s_xor_b32 s20, exec_lo, s0
	s_cbranch_execz .LBB14_1834
; %bb.1:
	s_bitcmp1_b32 s2, 0
	s_mov_b32 s31, -1
	s_cselect_b32 s22, -1, 0
	s_bitcmp1_b32 s18, 0
	s_mov_b32 s29, 0
	s_cselect_b32 s21, -1, 0
	s_mov_b32 s27, 0
	s_mov_b32 s26, 0
	;; [unrolled: 1-line block ×4, first 2 shown]
	s_mov_b32 s28, exec_lo
	v_cmpx_gt_i32_e64 s24, v8
	s_cbranch_execz .LBB14_455
; %bb.2:
	v_mul_lo_u32 v0, v8, s13
	s_and_b32 s0, s16, 0xff
	s_delay_alu instid0(SALU_CYCLE_1) | instskip(NEXT) | instid1(VALU_DEP_1)
	s_cmp_lt_i32 s0, 11
	v_ashrrev_i32_e32 v1, 31, v0
	s_delay_alu instid0(VALU_DEP_1)
	v_add_nc_u64_e32 v[0:1], s[6:7], v[0:1]
	s_cbranch_scc1 .LBB14_9
; %bb.3:
	s_and_b32 s25, 0xffff, s0
	s_delay_alu instid0(SALU_CYCLE_1)
	s_cmp_gt_i32 s25, 25
	s_cbranch_scc0 .LBB14_18
; %bb.4:
	s_cmp_gt_i32 s25, 28
	s_cbranch_scc0 .LBB14_20
; %bb.5:
	;; [unrolled: 3-line block ×4, first 2 shown]
	s_cmp_eq_u32 s25, 46
	s_mov_b32 s30, 0
	s_cbranch_scc0 .LBB14_26
; %bb.8:
	global_load_b32 v2, v[0:1], off
	s_mov_b32 s26, -1
	s_wait_loadcnt 0x0
	v_and_b32_e32 v2, 0x7fff7fff, v2
	s_delay_alu instid0(VALU_DEP_1)
	v_cmp_ne_u32_e64 s23, 0, v2
	s_branch .LBB14_28
.LBB14_9:
                                        ; implicit-def: $sgpr23
	s_cbranch_execnz .LBB14_74
.LBB14_10:
	s_and_not1_b32 vcc_lo, exec_lo, s26
	s_cbranch_vccnz .LBB14_121
.LBB14_11:
	v_mul_lo_u32 v0, v8, s14
	s_and_b32 s0, s3, 0xff
	s_delay_alu instid0(SALU_CYCLE_1) | instskip(NEXT) | instid1(VALU_DEP_1)
	s_cmp_lt_i32 s0, 11
	v_ashrrev_i32_e32 v1, 31, v0
	s_delay_alu instid0(VALU_DEP_1)
	v_add_nc_u64_e32 v[0:1], s[8:9], v[0:1]
	s_cbranch_scc1 .LBB14_19
; %bb.12:
	s_and_b32 s27, 0xffff, s0
	s_delay_alu instid0(SALU_CYCLE_1)
	s_cmp_gt_i32 s27, 25
	s_cbranch_scc0 .LBB14_21
; %bb.13:
	s_cmp_gt_i32 s27, 28
	s_cbranch_scc0 .LBB14_23
; %bb.14:
	;; [unrolled: 3-line block ×4, first 2 shown]
	s_cmp_eq_u32 s27, 46
	s_mov_b32 s31, 0
	s_cbranch_scc0 .LBB14_123
; %bb.17:
	global_load_b32 v2, v[0:1], off
	s_mov_b32 s26, 0
	s_mov_b32 s30, -1
	s_wait_loadcnt 0x0
	v_and_b32_e32 v2, 0x7fff7fff, v2
	s_delay_alu instid0(VALU_DEP_1)
	v_cmp_ne_u32_e64 s25, 0, v2
	s_branch .LBB14_125
.LBB14_18:
                                        ; implicit-def: $sgpr23
	s_cbranch_execnz .LBB14_49
	s_branch .LBB14_73
.LBB14_19:
	s_mov_b32 s26, 0
	s_mov_b32 s30, 0
                                        ; implicit-def: $sgpr25
	s_cbranch_execnz .LBB14_172
	s_branch .LBB14_220
.LBB14_20:
	s_mov_b32 s30, -1
                                        ; implicit-def: $sgpr23
	s_branch .LBB14_36
.LBB14_21:
	s_mov_b32 s26, 0
	s_mov_b32 s30, 0
                                        ; implicit-def: $sgpr25
	s_branch .LBB14_146
.LBB14_22:
	s_mov_b32 s30, -1
                                        ; implicit-def: $sgpr23
	s_branch .LBB14_31
.LBB14_23:
	s_mov_b32 s26, 0
	s_mov_b32 s30, 0
                                        ; implicit-def: $sgpr25
	s_branch .LBB14_133
.LBB14_24:
	s_mov_b32 s30, -1
	s_branch .LBB14_27
.LBB14_25:
	s_mov_b32 s26, 0
	s_mov_b32 s30, 0
                                        ; implicit-def: $sgpr25
	s_branch .LBB14_128
.LBB14_26:
	s_mov_b32 s27, -1
.LBB14_27:
                                        ; implicit-def: $sgpr23
.LBB14_28:
	s_and_b32 vcc_lo, exec_lo, s30
	s_cbranch_vccz .LBB14_30
; %bb.29:
	s_cmp_eq_u32 s25, 44
	s_mov_b32 s27, -1
	s_cselect_b32 s26, -1, 0
	s_or_b32 s23, s23, exec_lo
.LBB14_30:
	s_mov_b32 s30, 0
.LBB14_31:
	s_delay_alu instid0(SALU_CYCLE_1)
	s_and_b32 vcc_lo, exec_lo, s30
	s_cbranch_vccz .LBB14_35
; %bb.32:
	s_cmp_eq_u32 s25, 29
	s_cbranch_scc0 .LBB14_34
; %bb.33:
	global_load_b64 v[2:3], v[0:1], off
	s_mov_b32 s26, -1
	s_mov_b32 s27, 0
	s_mov_b32 s30, 0
	s_wait_loadcnt 0x0
	v_cmp_ne_u64_e64 s23, 0, v[2:3]
	s_branch .LBB14_36
.LBB14_34:
	s_mov_b32 s27, -1
                                        ; implicit-def: $sgpr23
.LBB14_35:
	s_mov_b32 s30, 0
.LBB14_36:
	s_delay_alu instid0(SALU_CYCLE_1)
	s_and_b32 vcc_lo, exec_lo, s30
	s_cbranch_vccz .LBB14_48
; %bb.37:
	s_cmp_lt_i32 s25, 27
	s_cbranch_scc1 .LBB14_40
; %bb.38:
	s_cmp_gt_i32 s25, 27
	s_cbranch_scc0 .LBB14_41
; %bb.39:
	global_load_b32 v2, v[0:1], off
	s_mov_b32 s26, 0
	s_wait_loadcnt 0x0
	v_cmp_ne_u32_e64 s23, 0, v2
	s_branch .LBB14_42
.LBB14_40:
	s_mov_b32 s26, -1
                                        ; implicit-def: $sgpr23
	s_branch .LBB14_45
.LBB14_41:
	s_mov_b32 s26, -1
                                        ; implicit-def: $sgpr23
.LBB14_42:
	s_delay_alu instid0(SALU_CYCLE_1)
	s_and_not1_b32 vcc_lo, exec_lo, s26
	s_cbranch_vccnz .LBB14_44
; %bb.43:
	global_load_u16 v2, v[0:1], off
	s_and_not1_b32 s23, s23, exec_lo
	s_wait_loadcnt 0x0
	v_cmp_ne_u16_e32 vcc_lo, 0, v2
	s_and_b32 s26, vcc_lo, exec_lo
	s_delay_alu instid0(SALU_CYCLE_1)
	s_or_b32 s23, s23, s26
.LBB14_44:
	s_mov_b32 s26, 0
.LBB14_45:
	s_delay_alu instid0(SALU_CYCLE_1)
	s_and_not1_b32 vcc_lo, exec_lo, s26
	s_cbranch_vccnz .LBB14_47
; %bb.46:
	global_load_u8 v2, v[0:1], off
	s_and_not1_b32 s23, s23, exec_lo
	s_wait_loadcnt 0x0
	v_cmp_ne_u16_e32 vcc_lo, 0, v2
	s_and_b32 s26, vcc_lo, exec_lo
	s_delay_alu instid0(SALU_CYCLE_1)
	s_or_b32 s23, s23, s26
.LBB14_47:
	s_mov_b32 s26, -1
.LBB14_48:
	s_branch .LBB14_73
.LBB14_49:
	s_cmp_gt_i32 s25, 22
	s_cbranch_scc0 .LBB14_53
; %bb.50:
	s_cmp_lt_i32 s25, 24
	s_cbranch_scc1 .LBB14_54
; %bb.51:
	s_cmp_gt_i32 s25, 24
	s_cbranch_scc0 .LBB14_55
; %bb.52:
	global_load_u8 v2, v[0:1], off
	s_mov_b32 s26, 0
	s_wait_loadcnt 0x0
	v_cmp_ne_u16_e64 s23, 0, v2
	s_branch .LBB14_56
.LBB14_53:
	s_mov_b32 s30, -1
                                        ; implicit-def: $sgpr23
	s_branch .LBB14_62
.LBB14_54:
	s_mov_b32 s26, -1
                                        ; implicit-def: $sgpr23
	s_branch .LBB14_59
.LBB14_55:
	s_mov_b32 s26, -1
                                        ; implicit-def: $sgpr23
.LBB14_56:
	s_delay_alu instid0(SALU_CYCLE_1)
	s_and_not1_b32 vcc_lo, exec_lo, s26
	s_cbranch_vccnz .LBB14_58
; %bb.57:
	global_load_u8 v2, v[0:1], off
	s_and_not1_b32 s23, s23, exec_lo
	s_wait_loadcnt 0x0
	v_and_b32_e32 v2, 0x7f, v2
	s_delay_alu instid0(VALU_DEP_1) | instskip(SKIP_1) | instid1(SALU_CYCLE_1)
	v_cmp_ne_u16_e32 vcc_lo, 0, v2
	s_and_b32 s26, vcc_lo, exec_lo
	s_or_b32 s23, s23, s26
.LBB14_58:
	s_mov_b32 s26, 0
.LBB14_59:
	s_delay_alu instid0(SALU_CYCLE_1)
	s_and_not1_b32 vcc_lo, exec_lo, s26
	s_cbranch_vccnz .LBB14_61
; %bb.60:
	global_load_u8 v2, v[0:1], off
	s_and_not1_b32 s23, s23, exec_lo
	s_wait_loadcnt 0x0
	v_dual_lshlrev_b32 v3, 25, v2 :: v_dual_lshlrev_b32 v2, 8, v2
	s_delay_alu instid0(VALU_DEP_1) | instskip(NEXT) | instid1(VALU_DEP_2)
	v_cmp_gt_u32_e32 vcc_lo, 0x8000000, v3
	v_and_or_b32 v2, 0x7f00, v2, 0.5
	s_delay_alu instid0(VALU_DEP_1) | instskip(NEXT) | instid1(VALU_DEP_1)
	v_dual_lshrrev_b32 v4, 4, v3 :: v_dual_add_f32 v2, -0.5, v2
	v_or_b32_e32 v4, 0x70000000, v4
	s_delay_alu instid0(VALU_DEP_1) | instskip(NEXT) | instid1(VALU_DEP_1)
	v_mul_f32_e32 v4, 0x7800000, v4
	v_cndmask_b32_e32 v2, v4, v2, vcc_lo
	s_delay_alu instid0(VALU_DEP_1) | instskip(SKIP_1) | instid1(SALU_CYCLE_1)
	v_cmp_neq_f32_e32 vcc_lo, 0, v2
	s_and_b32 s26, vcc_lo, exec_lo
	s_or_b32 s23, s23, s26
.LBB14_61:
	s_mov_b32 s30, 0
	s_mov_b32 s26, -1
.LBB14_62:
	s_and_not1_b32 vcc_lo, exec_lo, s30
	s_cbranch_vccnz .LBB14_73
; %bb.63:
	s_cmp_gt_i32 s25, 14
	s_cbranch_scc0 .LBB14_66
; %bb.64:
	s_cmp_eq_u32 s25, 15
	s_cbranch_scc0 .LBB14_67
; %bb.65:
	global_load_u16 v2, v[0:1], off
	s_mov_b32 s27, 0
	s_mov_b32 s26, -1
	s_wait_loadcnt 0x0
	v_and_b32_e32 v2, 0x7fff, v2
	s_delay_alu instid0(VALU_DEP_1)
	v_cmp_ne_u16_e64 s23, 0, v2
	s_branch .LBB14_68
.LBB14_66:
	s_mov_b32 s30, -1
                                        ; implicit-def: $sgpr23
	s_branch .LBB14_69
.LBB14_67:
	s_mov_b32 s27, -1
                                        ; implicit-def: $sgpr23
.LBB14_68:
	s_mov_b32 s30, 0
.LBB14_69:
	s_delay_alu instid0(SALU_CYCLE_1)
	s_and_b32 vcc_lo, exec_lo, s30
	s_cbranch_vccz .LBB14_73
; %bb.70:
	s_cmp_eq_u32 s25, 11
	s_cbranch_scc0 .LBB14_72
; %bb.71:
	global_load_u8 v2, v[0:1], off
	s_mov_b32 s27, 0
	s_mov_b32 s26, -1
	s_wait_loadcnt 0x0
	v_cmp_ne_u16_e64 s23, 0, v2
	s_branch .LBB14_73
.LBB14_72:
	s_mov_b32 s27, -1
                                        ; implicit-def: $sgpr23
.LBB14_73:
	s_branch .LBB14_10
.LBB14_74:
	s_and_b32 s25, 0xffff, s0
	s_delay_alu instid0(SALU_CYCLE_1)
	s_cmp_lt_i32 s25, 5
	s_cbranch_scc1 .LBB14_79
; %bb.75:
	s_cmp_lt_i32 s25, 8
	s_cbranch_scc1 .LBB14_80
; %bb.76:
	;; [unrolled: 3-line block ×3, first 2 shown]
	s_cmp_gt_i32 s25, 9
	s_cbranch_scc0 .LBB14_82
; %bb.78:
	global_load_b128 v[2:5], v[0:1], off
	s_wait_loadcnt 0x0
	v_cmp_neq_f64_e32 vcc_lo, 0, v[2:3]
	v_cmp_neq_f64_e64 s0, 0, v[4:5]
	s_or_b32 s23, vcc_lo, s0
	s_mov_b32 s0, 0
	s_branch .LBB14_83
.LBB14_79:
                                        ; implicit-def: $sgpr23
	s_branch .LBB14_101
.LBB14_80:
	s_mov_b32 s0, -1
                                        ; implicit-def: $sgpr23
	s_branch .LBB14_89
.LBB14_81:
	s_mov_b32 s0, -1
                                        ; implicit-def: $sgpr23
	s_branch .LBB14_86
.LBB14_82:
	s_mov_b32 s0, -1
                                        ; implicit-def: $sgpr23
.LBB14_83:
	s_delay_alu instid0(SALU_CYCLE_1)
	s_and_not1_b32 vcc_lo, exec_lo, s0
	s_cbranch_vccnz .LBB14_85
; %bb.84:
	global_load_b64 v[2:3], v[0:1], off
	s_and_not1_b32 s0, s23, exec_lo
	s_wait_loadcnt 0x0
	v_bitop3_b32 v2, v2, 0x7fffffff, v3 bitop3:0xc8
	s_delay_alu instid0(VALU_DEP_1) | instskip(SKIP_1) | instid1(SALU_CYCLE_1)
	v_cmp_ne_u32_e32 vcc_lo, 0, v2
	s_and_b32 s23, vcc_lo, exec_lo
	s_or_b32 s23, s0, s23
.LBB14_85:
	s_mov_b32 s0, 0
.LBB14_86:
	s_delay_alu instid0(SALU_CYCLE_1)
	s_and_not1_b32 vcc_lo, exec_lo, s0
	s_cbranch_vccnz .LBB14_88
; %bb.87:
	global_load_b32 v2, v[0:1], off
	s_and_not1_b32 s0, s23, exec_lo
	s_wait_loadcnt 0x0
	v_and_b32_e32 v2, 0x7fff7fff, v2
	s_delay_alu instid0(VALU_DEP_1) | instskip(SKIP_1) | instid1(SALU_CYCLE_1)
	v_cmp_ne_u32_e32 vcc_lo, 0, v2
	s_and_b32 s23, vcc_lo, exec_lo
	s_or_b32 s23, s0, s23
.LBB14_88:
	s_mov_b32 s0, 0
.LBB14_89:
	s_delay_alu instid0(SALU_CYCLE_1)
	s_and_not1_b32 vcc_lo, exec_lo, s0
	s_cbranch_vccnz .LBB14_100
; %bb.90:
	s_cmp_lt_i32 s25, 6
	s_cbranch_scc1 .LBB14_93
; %bb.91:
	s_cmp_gt_i32 s25, 6
	s_cbranch_scc0 .LBB14_94
; %bb.92:
	global_load_b64 v[2:3], v[0:1], off
	s_mov_b32 s0, 0
	s_wait_loadcnt 0x0
	v_cmp_neq_f64_e64 s23, 0, v[2:3]
	s_branch .LBB14_95
.LBB14_93:
	s_mov_b32 s0, -1
                                        ; implicit-def: $sgpr23
	s_branch .LBB14_98
.LBB14_94:
	s_mov_b32 s0, -1
                                        ; implicit-def: $sgpr23
.LBB14_95:
	s_delay_alu instid0(SALU_CYCLE_1)
	s_and_not1_b32 vcc_lo, exec_lo, s0
	s_cbranch_vccnz .LBB14_97
; %bb.96:
	global_load_b32 v2, v[0:1], off
	s_and_not1_b32 s0, s23, exec_lo
	s_wait_loadcnt 0x0
	v_cmp_neq_f32_e32 vcc_lo, 0, v2
	s_and_b32 s23, vcc_lo, exec_lo
	s_delay_alu instid0(SALU_CYCLE_1)
	s_or_b32 s23, s0, s23
.LBB14_97:
	s_mov_b32 s0, 0
.LBB14_98:
	s_delay_alu instid0(SALU_CYCLE_1)
	s_and_not1_b32 vcc_lo, exec_lo, s0
	s_cbranch_vccnz .LBB14_100
; %bb.99:
	global_load_u16 v2, v[0:1], off
	s_and_not1_b32 s0, s23, exec_lo
	s_wait_loadcnt 0x0
	v_and_b32_e32 v2, 0x7fff, v2
	s_delay_alu instid0(VALU_DEP_1) | instskip(SKIP_1) | instid1(SALU_CYCLE_1)
	v_cmp_ne_u16_e32 vcc_lo, 0, v2
	s_and_b32 s23, vcc_lo, exec_lo
	s_or_b32 s23, s0, s23
.LBB14_100:
	s_cbranch_execnz .LBB14_120
.LBB14_101:
	s_cmp_lt_i32 s25, 2
	s_cbranch_scc1 .LBB14_105
; %bb.102:
	s_cmp_lt_i32 s25, 3
	s_cbranch_scc1 .LBB14_106
; %bb.103:
	s_cmp_gt_i32 s25, 3
	s_cbranch_scc0 .LBB14_107
; %bb.104:
	global_load_b64 v[2:3], v[0:1], off
	s_mov_b32 s0, 0
	s_wait_loadcnt 0x0
	v_cmp_ne_u64_e64 s23, 0, v[2:3]
	s_branch .LBB14_108
.LBB14_105:
	s_mov_b32 s0, -1
                                        ; implicit-def: $sgpr23
	s_branch .LBB14_114
.LBB14_106:
	s_mov_b32 s0, -1
                                        ; implicit-def: $sgpr23
	s_branch .LBB14_111
.LBB14_107:
	s_mov_b32 s0, -1
                                        ; implicit-def: $sgpr23
.LBB14_108:
	s_delay_alu instid0(SALU_CYCLE_1)
	s_and_not1_b32 vcc_lo, exec_lo, s0
	s_cbranch_vccnz .LBB14_110
; %bb.109:
	global_load_b32 v2, v[0:1], off
	s_and_not1_b32 s0, s23, exec_lo
	s_wait_loadcnt 0x0
	v_cmp_ne_u32_e32 vcc_lo, 0, v2
	s_and_b32 s23, vcc_lo, exec_lo
	s_delay_alu instid0(SALU_CYCLE_1)
	s_or_b32 s23, s0, s23
.LBB14_110:
	s_mov_b32 s0, 0
.LBB14_111:
	s_delay_alu instid0(SALU_CYCLE_1)
	s_and_not1_b32 vcc_lo, exec_lo, s0
	s_cbranch_vccnz .LBB14_113
; %bb.112:
	global_load_u16 v2, v[0:1], off
	s_and_not1_b32 s0, s23, exec_lo
	s_wait_loadcnt 0x0
	v_cmp_ne_u16_e32 vcc_lo, 0, v2
	s_and_b32 s23, vcc_lo, exec_lo
	s_delay_alu instid0(SALU_CYCLE_1)
	s_or_b32 s23, s0, s23
.LBB14_113:
	s_mov_b32 s0, 0
.LBB14_114:
	s_delay_alu instid0(SALU_CYCLE_1)
	s_and_not1_b32 vcc_lo, exec_lo, s0
	s_cbranch_vccnz .LBB14_120
; %bb.115:
	s_cmp_gt_i32 s25, 0
	s_mov_b32 s0, 0
	s_cbranch_scc0 .LBB14_117
; %bb.116:
	global_load_u8 v2, v[0:1], off
	s_wait_loadcnt 0x0
	v_cmp_ne_u16_e64 s23, 0, v2
	s_branch .LBB14_118
.LBB14_117:
	s_mov_b32 s0, -1
                                        ; implicit-def: $sgpr23
.LBB14_118:
	s_delay_alu instid0(SALU_CYCLE_1)
	s_and_not1_b32 vcc_lo, exec_lo, s0
	s_cbranch_vccnz .LBB14_120
; %bb.119:
	global_load_u8 v0, v[0:1], off
	s_and_not1_b32 s0, s23, exec_lo
	s_wait_loadcnt 0x0
	v_cmp_ne_u16_e32 vcc_lo, 0, v0
	s_and_b32 s23, vcc_lo, exec_lo
	s_delay_alu instid0(SALU_CYCLE_1)
	s_or_b32 s23, s0, s23
.LBB14_120:
	s_branch .LBB14_11
.LBB14_121:
	s_mov_b32 s0, 0
	s_mov_b32 s30, 0
	s_mov_b32 s26, 0
	s_mov_b32 s33, 0
                                        ; implicit-def: $vgpr8
	s_branch .LBB14_454
.LBB14_122:
	s_mov_b32 s26, 0
	s_branch .LBB14_124
.LBB14_123:
	s_mov_b32 s26, -1
.LBB14_124:
	s_mov_b32 s30, 0
                                        ; implicit-def: $sgpr25
.LBB14_125:
	s_and_b32 vcc_lo, exec_lo, s31
	s_cbranch_vccz .LBB14_127
; %bb.126:
	s_cmp_eq_u32 s27, 44
	s_mov_b32 s26, -1
	s_cselect_b32 s30, -1, 0
	s_or_b32 s25, s25, exec_lo
.LBB14_127:
	s_mov_b32 s31, 0
.LBB14_128:
	s_delay_alu instid0(SALU_CYCLE_1)
	s_and_b32 vcc_lo, exec_lo, s31
	s_cbranch_vccz .LBB14_132
; %bb.129:
	s_cmp_eq_u32 s27, 29
	s_cbranch_scc0 .LBB14_131
; %bb.130:
	global_load_b64 v[2:3], v[0:1], off
	s_mov_b32 s30, -1
	s_mov_b32 s26, 0
	s_mov_b32 s31, 0
	s_wait_loadcnt 0x0
	v_cmp_ne_u64_e64 s25, 0, v[2:3]
	s_branch .LBB14_133
.LBB14_131:
	s_mov_b32 s26, -1
                                        ; implicit-def: $sgpr25
.LBB14_132:
	s_mov_b32 s31, 0
.LBB14_133:
	s_delay_alu instid0(SALU_CYCLE_1)
	s_and_b32 vcc_lo, exec_lo, s31
	s_cbranch_vccz .LBB14_145
; %bb.134:
	s_cmp_lt_i32 s27, 27
	s_cbranch_scc1 .LBB14_137
; %bb.135:
	s_cmp_gt_i32 s27, 27
	s_cbranch_scc0 .LBB14_138
; %bb.136:
	global_load_b32 v2, v[0:1], off
	s_mov_b32 s30, 0
	s_wait_loadcnt 0x0
	v_cmp_ne_u32_e64 s25, 0, v2
	s_branch .LBB14_139
.LBB14_137:
	s_mov_b32 s30, -1
                                        ; implicit-def: $sgpr25
	s_branch .LBB14_142
.LBB14_138:
	s_mov_b32 s30, -1
                                        ; implicit-def: $sgpr25
.LBB14_139:
	s_delay_alu instid0(SALU_CYCLE_1)
	s_and_not1_b32 vcc_lo, exec_lo, s30
	s_cbranch_vccnz .LBB14_141
; %bb.140:
	global_load_u16 v2, v[0:1], off
	s_and_not1_b32 s25, s25, exec_lo
	s_wait_loadcnt 0x0
	v_cmp_ne_u16_e32 vcc_lo, 0, v2
	s_and_b32 s30, vcc_lo, exec_lo
	s_delay_alu instid0(SALU_CYCLE_1)
	s_or_b32 s25, s25, s30
.LBB14_141:
	s_mov_b32 s30, 0
.LBB14_142:
	s_delay_alu instid0(SALU_CYCLE_1)
	s_and_not1_b32 vcc_lo, exec_lo, s30
	s_cbranch_vccnz .LBB14_144
; %bb.143:
	global_load_u8 v2, v[0:1], off
	s_and_not1_b32 s25, s25, exec_lo
	s_wait_loadcnt 0x0
	v_cmp_ne_u16_e32 vcc_lo, 0, v2
	s_and_b32 s30, vcc_lo, exec_lo
	s_delay_alu instid0(SALU_CYCLE_1)
	s_or_b32 s25, s25, s30
.LBB14_144:
	s_mov_b32 s30, -1
.LBB14_145:
	s_mov_b32 s31, 0
.LBB14_146:
	s_delay_alu instid0(SALU_CYCLE_1)
	s_and_b32 vcc_lo, exec_lo, s31
	s_cbranch_vccz .LBB14_171
; %bb.147:
	s_cmp_gt_i32 s27, 22
	s_cbranch_scc0 .LBB14_151
; %bb.148:
	s_cmp_lt_i32 s27, 24
	s_cbranch_scc1 .LBB14_152
; %bb.149:
	s_cmp_gt_i32 s27, 24
	s_cbranch_scc0 .LBB14_153
; %bb.150:
	global_load_u8 v2, v[0:1], off
	s_mov_b32 s30, 0
	s_wait_loadcnt 0x0
	v_cmp_ne_u16_e64 s25, 0, v2
	s_branch .LBB14_154
.LBB14_151:
	s_mov_b32 s31, -1
                                        ; implicit-def: $sgpr25
	s_branch .LBB14_160
.LBB14_152:
	s_mov_b32 s30, -1
                                        ; implicit-def: $sgpr25
	s_branch .LBB14_157
.LBB14_153:
	s_mov_b32 s30, -1
                                        ; implicit-def: $sgpr25
.LBB14_154:
	s_delay_alu instid0(SALU_CYCLE_1)
	s_and_not1_b32 vcc_lo, exec_lo, s30
	s_cbranch_vccnz .LBB14_156
; %bb.155:
	global_load_u8 v2, v[0:1], off
	s_and_not1_b32 s25, s25, exec_lo
	s_wait_loadcnt 0x0
	v_and_b32_e32 v2, 0x7f, v2
	s_delay_alu instid0(VALU_DEP_1) | instskip(SKIP_1) | instid1(SALU_CYCLE_1)
	v_cmp_ne_u16_e32 vcc_lo, 0, v2
	s_and_b32 s30, vcc_lo, exec_lo
	s_or_b32 s25, s25, s30
.LBB14_156:
	s_mov_b32 s30, 0
.LBB14_157:
	s_delay_alu instid0(SALU_CYCLE_1)
	s_and_not1_b32 vcc_lo, exec_lo, s30
	s_cbranch_vccnz .LBB14_159
; %bb.158:
	global_load_u8 v2, v[0:1], off
	s_and_not1_b32 s25, s25, exec_lo
	s_wait_loadcnt 0x0
	v_dual_lshlrev_b32 v3, 25, v2 :: v_dual_lshlrev_b32 v2, 8, v2
	s_delay_alu instid0(VALU_DEP_1) | instskip(NEXT) | instid1(VALU_DEP_2)
	v_cmp_gt_u32_e32 vcc_lo, 0x8000000, v3
	v_and_or_b32 v2, 0x7f00, v2, 0.5
	s_delay_alu instid0(VALU_DEP_1) | instskip(NEXT) | instid1(VALU_DEP_1)
	v_dual_lshrrev_b32 v4, 4, v3 :: v_dual_add_f32 v2, -0.5, v2
	v_or_b32_e32 v4, 0x70000000, v4
	s_delay_alu instid0(VALU_DEP_1) | instskip(NEXT) | instid1(VALU_DEP_1)
	v_mul_f32_e32 v4, 0x7800000, v4
	v_cndmask_b32_e32 v2, v4, v2, vcc_lo
	s_delay_alu instid0(VALU_DEP_1) | instskip(SKIP_1) | instid1(SALU_CYCLE_1)
	v_cmp_neq_f32_e32 vcc_lo, 0, v2
	s_and_b32 s30, vcc_lo, exec_lo
	s_or_b32 s25, s25, s30
.LBB14_159:
	s_mov_b32 s31, 0
	s_mov_b32 s30, -1
.LBB14_160:
	s_and_not1_b32 vcc_lo, exec_lo, s31
	s_cbranch_vccnz .LBB14_171
; %bb.161:
	s_cmp_gt_i32 s27, 14
	s_cbranch_scc0 .LBB14_164
; %bb.162:
	s_cmp_eq_u32 s27, 15
	s_cbranch_scc0 .LBB14_165
; %bb.163:
	global_load_u16 v2, v[0:1], off
	s_mov_b32 s26, 0
	s_mov_b32 s30, -1
	s_wait_loadcnt 0x0
	v_and_b32_e32 v2, 0x7fff, v2
	s_delay_alu instid0(VALU_DEP_1)
	v_cmp_ne_u16_e64 s25, 0, v2
	s_branch .LBB14_166
.LBB14_164:
	s_mov_b32 s31, -1
                                        ; implicit-def: $sgpr25
	s_branch .LBB14_167
.LBB14_165:
	s_mov_b32 s26, -1
                                        ; implicit-def: $sgpr25
.LBB14_166:
	s_mov_b32 s31, 0
.LBB14_167:
	s_delay_alu instid0(SALU_CYCLE_1)
	s_and_b32 vcc_lo, exec_lo, s31
	s_cbranch_vccz .LBB14_171
; %bb.168:
	s_cmp_eq_u32 s27, 11
	s_cbranch_scc0 .LBB14_170
; %bb.169:
	global_load_u8 v2, v[0:1], off
	s_mov_b32 s26, 0
	s_mov_b32 s30, -1
	s_wait_loadcnt 0x0
	v_cmp_ne_u16_e64 s25, 0, v2
	s_branch .LBB14_171
.LBB14_170:
	s_mov_b32 s26, -1
                                        ; implicit-def: $sgpr25
.LBB14_171:
	s_branch .LBB14_220
.LBB14_172:
	s_and_b32 s27, 0xffff, s0
	s_delay_alu instid0(SALU_CYCLE_1)
	s_cmp_lt_i32 s27, 5
	s_cbranch_scc1 .LBB14_177
; %bb.173:
	s_cmp_lt_i32 s27, 8
	s_cbranch_scc1 .LBB14_178
; %bb.174:
	;; [unrolled: 3-line block ×3, first 2 shown]
	s_cmp_gt_i32 s27, 9
	s_cbranch_scc0 .LBB14_180
; %bb.176:
	global_load_b128 v[2:5], v[0:1], off
	s_wait_loadcnt 0x0
	v_cmp_neq_f64_e32 vcc_lo, 0, v[2:3]
	v_cmp_neq_f64_e64 s0, 0, v[4:5]
	s_or_b32 s25, vcc_lo, s0
	s_mov_b32 s0, 0
	s_branch .LBB14_181
.LBB14_177:
	s_mov_b32 s0, -1
                                        ; implicit-def: $sgpr25
	s_branch .LBB14_199
.LBB14_178:
	s_mov_b32 s0, -1
                                        ; implicit-def: $sgpr25
	s_branch .LBB14_187
.LBB14_179:
	s_mov_b32 s0, -1
                                        ; implicit-def: $sgpr25
	s_branch .LBB14_184
.LBB14_180:
	s_mov_b32 s0, -1
                                        ; implicit-def: $sgpr25
.LBB14_181:
	s_delay_alu instid0(SALU_CYCLE_1)
	s_and_not1_b32 vcc_lo, exec_lo, s0
	s_cbranch_vccnz .LBB14_183
; %bb.182:
	global_load_b64 v[2:3], v[0:1], off
	s_and_not1_b32 s0, s25, exec_lo
	s_wait_loadcnt 0x0
	v_bitop3_b32 v2, v2, 0x7fffffff, v3 bitop3:0xc8
	s_delay_alu instid0(VALU_DEP_1) | instskip(SKIP_1) | instid1(SALU_CYCLE_1)
	v_cmp_ne_u32_e32 vcc_lo, 0, v2
	s_and_b32 s25, vcc_lo, exec_lo
	s_or_b32 s25, s0, s25
.LBB14_183:
	s_mov_b32 s0, 0
.LBB14_184:
	s_delay_alu instid0(SALU_CYCLE_1)
	s_and_not1_b32 vcc_lo, exec_lo, s0
	s_cbranch_vccnz .LBB14_186
; %bb.185:
	global_load_b32 v2, v[0:1], off
	s_and_not1_b32 s0, s25, exec_lo
	s_wait_loadcnt 0x0
	v_and_b32_e32 v2, 0x7fff7fff, v2
	s_delay_alu instid0(VALU_DEP_1) | instskip(SKIP_1) | instid1(SALU_CYCLE_1)
	v_cmp_ne_u32_e32 vcc_lo, 0, v2
	s_and_b32 s25, vcc_lo, exec_lo
	s_or_b32 s25, s0, s25
.LBB14_186:
	s_mov_b32 s0, 0
.LBB14_187:
	s_delay_alu instid0(SALU_CYCLE_1)
	s_and_not1_b32 vcc_lo, exec_lo, s0
	s_cbranch_vccnz .LBB14_198
; %bb.188:
	s_cmp_lt_i32 s27, 6
	s_cbranch_scc1 .LBB14_191
; %bb.189:
	s_cmp_gt_i32 s27, 6
	s_cbranch_scc0 .LBB14_192
; %bb.190:
	global_load_b64 v[2:3], v[0:1], off
	s_mov_b32 s0, 0
	s_wait_loadcnt 0x0
	v_cmp_neq_f64_e64 s25, 0, v[2:3]
	s_branch .LBB14_193
.LBB14_191:
	s_mov_b32 s0, -1
                                        ; implicit-def: $sgpr25
	s_branch .LBB14_196
.LBB14_192:
	s_mov_b32 s0, -1
                                        ; implicit-def: $sgpr25
.LBB14_193:
	s_delay_alu instid0(SALU_CYCLE_1)
	s_and_not1_b32 vcc_lo, exec_lo, s0
	s_cbranch_vccnz .LBB14_195
; %bb.194:
	global_load_b32 v2, v[0:1], off
	s_and_not1_b32 s0, s25, exec_lo
	s_wait_loadcnt 0x0
	v_cmp_neq_f32_e32 vcc_lo, 0, v2
	s_and_b32 s25, vcc_lo, exec_lo
	s_delay_alu instid0(SALU_CYCLE_1)
	s_or_b32 s25, s0, s25
.LBB14_195:
	s_mov_b32 s0, 0
.LBB14_196:
	s_delay_alu instid0(SALU_CYCLE_1)
	s_and_not1_b32 vcc_lo, exec_lo, s0
	s_cbranch_vccnz .LBB14_198
; %bb.197:
	global_load_u16 v2, v[0:1], off
	s_and_not1_b32 s0, s25, exec_lo
	s_wait_loadcnt 0x0
	v_and_b32_e32 v2, 0x7fff, v2
	s_delay_alu instid0(VALU_DEP_1) | instskip(SKIP_1) | instid1(SALU_CYCLE_1)
	v_cmp_ne_u16_e32 vcc_lo, 0, v2
	s_and_b32 s25, vcc_lo, exec_lo
	s_or_b32 s25, s0, s25
.LBB14_198:
	s_mov_b32 s0, 0
.LBB14_199:
	s_delay_alu instid0(SALU_CYCLE_1)
	s_and_not1_b32 vcc_lo, exec_lo, s0
	s_cbranch_vccnz .LBB14_219
; %bb.200:
	s_cmp_lt_i32 s27, 2
	s_cbranch_scc1 .LBB14_204
; %bb.201:
	s_cmp_lt_i32 s27, 3
	s_cbranch_scc1 .LBB14_205
; %bb.202:
	s_cmp_gt_i32 s27, 3
	s_cbranch_scc0 .LBB14_206
; %bb.203:
	global_load_b64 v[2:3], v[0:1], off
	s_mov_b32 s0, 0
	s_wait_loadcnt 0x0
	v_cmp_ne_u64_e64 s25, 0, v[2:3]
	s_branch .LBB14_207
.LBB14_204:
	s_mov_b32 s0, -1
                                        ; implicit-def: $sgpr25
	s_branch .LBB14_213
.LBB14_205:
	s_mov_b32 s0, -1
                                        ; implicit-def: $sgpr25
	s_branch .LBB14_210
.LBB14_206:
	s_mov_b32 s0, -1
                                        ; implicit-def: $sgpr25
.LBB14_207:
	s_delay_alu instid0(SALU_CYCLE_1)
	s_and_not1_b32 vcc_lo, exec_lo, s0
	s_cbranch_vccnz .LBB14_209
; %bb.208:
	global_load_b32 v2, v[0:1], off
	s_and_not1_b32 s0, s25, exec_lo
	s_wait_loadcnt 0x0
	v_cmp_ne_u32_e32 vcc_lo, 0, v2
	s_and_b32 s25, vcc_lo, exec_lo
	s_delay_alu instid0(SALU_CYCLE_1)
	s_or_b32 s25, s0, s25
.LBB14_209:
	s_mov_b32 s0, 0
.LBB14_210:
	s_delay_alu instid0(SALU_CYCLE_1)
	s_and_not1_b32 vcc_lo, exec_lo, s0
	s_cbranch_vccnz .LBB14_212
; %bb.211:
	global_load_u16 v2, v[0:1], off
	s_and_not1_b32 s0, s25, exec_lo
	s_wait_loadcnt 0x0
	v_cmp_ne_u16_e32 vcc_lo, 0, v2
	s_and_b32 s25, vcc_lo, exec_lo
	s_delay_alu instid0(SALU_CYCLE_1)
	s_or_b32 s25, s0, s25
.LBB14_212:
	s_mov_b32 s0, 0
.LBB14_213:
	s_delay_alu instid0(SALU_CYCLE_1)
	s_and_not1_b32 vcc_lo, exec_lo, s0
	s_cbranch_vccnz .LBB14_219
; %bb.214:
	s_cmp_gt_i32 s27, 0
	s_mov_b32 s0, 0
	s_cbranch_scc0 .LBB14_216
; %bb.215:
	global_load_u8 v2, v[0:1], off
	s_wait_loadcnt 0x0
	v_cmp_ne_u16_e64 s25, 0, v2
	s_branch .LBB14_217
.LBB14_216:
	s_mov_b32 s0, -1
                                        ; implicit-def: $sgpr25
.LBB14_217:
	s_delay_alu instid0(SALU_CYCLE_1)
	s_and_not1_b32 vcc_lo, exec_lo, s0
	s_cbranch_vccnz .LBB14_219
; %bb.218:
	global_load_u8 v0, v[0:1], off
	s_and_not1_b32 s0, s25, exec_lo
	s_wait_loadcnt 0x0
	v_cmp_ne_u16_e32 vcc_lo, 0, v0
	s_and_b32 s25, vcc_lo, exec_lo
	s_delay_alu instid0(SALU_CYCLE_1)
	s_or_b32 s25, s0, s25
.LBB14_219:
	s_mov_b32 s30, -1
.LBB14_220:
	s_mov_b32 s27, 0
	s_mov_b32 s0, 0
	s_and_not1_b32 vcc_lo, exec_lo, s30
	s_mov_b32 s30, 0
	s_mov_b32 s33, 0
	s_cbranch_vccnz .LBB14_454
; %bb.221:
	v_mul_lo_u32 v0, v8, s15
	s_and_b32 s0, s17, 0xff
	s_delay_alu instid0(SALU_CYCLE_1) | instskip(NEXT) | instid1(VALU_DEP_1)
	s_cmp_lt_i32 s0, 11
	v_ashrrev_i32_e32 v1, 31, v0
	s_delay_alu instid0(VALU_DEP_1)
	v_add_nc_u64_e32 v[0:1], s[10:11], v[0:1]
	s_cbranch_scc1 .LBB14_228
; %bb.222:
	s_and_b32 s26, 0xffff, s0
	s_delay_alu instid0(SALU_CYCLE_1)
	s_cmp_gt_i32 s26, 25
	s_cbranch_scc0 .LBB14_229
; %bb.223:
	s_cmp_gt_i32 s26, 28
	s_cbranch_scc0 .LBB14_230
; %bb.224:
	;; [unrolled: 3-line block ×4, first 2 shown]
	s_cmp_eq_u32 s26, 46
	s_mov_b32 s34, 0
	s_cbranch_scc0 .LBB14_233
; %bb.227:
	global_load_b32 v2, v[0:1], off
	s_mov_b32 s33, -1
	s_wait_loadcnt 0x0
	v_and_b32_e32 v2, 0x7fff7fff, v2
	s_delay_alu instid0(VALU_DEP_1)
	v_cmp_ne_u32_e64 s31, 0, v2
	s_branch .LBB14_235
.LBB14_228:
	s_mov_b32 s26, -1
                                        ; implicit-def: $sgpr31
	s_branch .LBB14_282
.LBB14_229:
	s_mov_b32 s34, -1
                                        ; implicit-def: $sgpr31
	s_branch .LBB14_256
.LBB14_230:
	s_mov_b32 s34, -1
                                        ; implicit-def: $sgpr31
	s_branch .LBB14_243
.LBB14_231:
	s_mov_b32 s34, -1
                                        ; implicit-def: $sgpr31
	s_branch .LBB14_238
.LBB14_232:
	s_mov_b32 s34, -1
	s_branch .LBB14_234
.LBB14_233:
	s_mov_b32 s30, -1
.LBB14_234:
                                        ; implicit-def: $sgpr31
.LBB14_235:
	s_and_b32 vcc_lo, exec_lo, s34
	s_cbranch_vccz .LBB14_237
; %bb.236:
	s_cmp_eq_u32 s26, 44
	s_mov_b32 s30, -1
	s_cselect_b32 s33, -1, 0
	s_or_b32 s31, s31, exec_lo
.LBB14_237:
	s_mov_b32 s34, 0
.LBB14_238:
	s_delay_alu instid0(SALU_CYCLE_1)
	s_and_b32 vcc_lo, exec_lo, s34
	s_cbranch_vccz .LBB14_242
; %bb.239:
	s_cmp_eq_u32 s26, 29
	s_cbranch_scc0 .LBB14_241
; %bb.240:
	global_load_b64 v[2:3], v[0:1], off
	s_mov_b32 s33, -1
	s_mov_b32 s30, 0
	s_mov_b32 s34, 0
	s_wait_loadcnt 0x0
	v_cmp_ne_u64_e64 s31, 0, v[2:3]
	s_branch .LBB14_243
.LBB14_241:
	s_mov_b32 s30, -1
                                        ; implicit-def: $sgpr31
.LBB14_242:
	s_mov_b32 s34, 0
.LBB14_243:
	s_delay_alu instid0(SALU_CYCLE_1)
	s_and_b32 vcc_lo, exec_lo, s34
	s_cbranch_vccz .LBB14_255
; %bb.244:
	s_cmp_lt_i32 s26, 27
	s_cbranch_scc1 .LBB14_247
; %bb.245:
	s_cmp_gt_i32 s26, 27
	s_cbranch_scc0 .LBB14_248
; %bb.246:
	global_load_b32 v2, v[0:1], off
	s_mov_b32 s33, 0
	s_wait_loadcnt 0x0
	v_cmp_ne_u32_e64 s31, 0, v2
	s_branch .LBB14_249
.LBB14_247:
	s_mov_b32 s33, -1
                                        ; implicit-def: $sgpr31
	s_branch .LBB14_252
.LBB14_248:
	s_mov_b32 s33, -1
                                        ; implicit-def: $sgpr31
.LBB14_249:
	s_delay_alu instid0(SALU_CYCLE_1)
	s_and_not1_b32 vcc_lo, exec_lo, s33
	s_cbranch_vccnz .LBB14_251
; %bb.250:
	global_load_u16 v2, v[0:1], off
	s_and_not1_b32 s31, s31, exec_lo
	s_wait_loadcnt 0x0
	v_cmp_ne_u16_e32 vcc_lo, 0, v2
	s_and_b32 s33, vcc_lo, exec_lo
	s_delay_alu instid0(SALU_CYCLE_1)
	s_or_b32 s31, s31, s33
.LBB14_251:
	s_mov_b32 s33, 0
.LBB14_252:
	s_delay_alu instid0(SALU_CYCLE_1)
	s_and_not1_b32 vcc_lo, exec_lo, s33
	s_cbranch_vccnz .LBB14_254
; %bb.253:
	global_load_u8 v2, v[0:1], off
	s_and_not1_b32 s31, s31, exec_lo
	s_wait_loadcnt 0x0
	v_cmp_ne_u16_e32 vcc_lo, 0, v2
	s_and_b32 s33, vcc_lo, exec_lo
	s_delay_alu instid0(SALU_CYCLE_1)
	s_or_b32 s31, s31, s33
.LBB14_254:
	s_mov_b32 s33, -1
.LBB14_255:
	s_mov_b32 s34, 0
.LBB14_256:
	s_delay_alu instid0(SALU_CYCLE_1)
	s_and_b32 vcc_lo, exec_lo, s34
	s_cbranch_vccz .LBB14_281
; %bb.257:
	s_cmp_gt_i32 s26, 22
	s_cbranch_scc0 .LBB14_261
; %bb.258:
	s_cmp_lt_i32 s26, 24
	s_cbranch_scc1 .LBB14_262
; %bb.259:
	s_cmp_gt_i32 s26, 24
	s_cbranch_scc0 .LBB14_263
; %bb.260:
	global_load_u8 v2, v[0:1], off
	s_mov_b32 s33, 0
	s_wait_loadcnt 0x0
	v_cmp_ne_u16_e64 s31, 0, v2
	s_branch .LBB14_264
.LBB14_261:
	s_mov_b32 s34, -1
                                        ; implicit-def: $sgpr31
	s_branch .LBB14_270
.LBB14_262:
	s_mov_b32 s33, -1
                                        ; implicit-def: $sgpr31
	s_branch .LBB14_267
.LBB14_263:
	s_mov_b32 s33, -1
                                        ; implicit-def: $sgpr31
.LBB14_264:
	s_delay_alu instid0(SALU_CYCLE_1)
	s_and_not1_b32 vcc_lo, exec_lo, s33
	s_cbranch_vccnz .LBB14_266
; %bb.265:
	global_load_u8 v2, v[0:1], off
	s_and_not1_b32 s31, s31, exec_lo
	s_wait_loadcnt 0x0
	v_and_b32_e32 v2, 0x7f, v2
	s_delay_alu instid0(VALU_DEP_1) | instskip(SKIP_1) | instid1(SALU_CYCLE_1)
	v_cmp_ne_u16_e32 vcc_lo, 0, v2
	s_and_b32 s33, vcc_lo, exec_lo
	s_or_b32 s31, s31, s33
.LBB14_266:
	s_mov_b32 s33, 0
.LBB14_267:
	s_delay_alu instid0(SALU_CYCLE_1)
	s_and_not1_b32 vcc_lo, exec_lo, s33
	s_cbranch_vccnz .LBB14_269
; %bb.268:
	global_load_u8 v2, v[0:1], off
	s_and_not1_b32 s31, s31, exec_lo
	s_wait_loadcnt 0x0
	v_dual_lshlrev_b32 v3, 25, v2 :: v_dual_lshlrev_b32 v2, 8, v2
	s_delay_alu instid0(VALU_DEP_1) | instskip(NEXT) | instid1(VALU_DEP_2)
	v_cmp_gt_u32_e32 vcc_lo, 0x8000000, v3
	v_and_or_b32 v2, 0x7f00, v2, 0.5
	s_delay_alu instid0(VALU_DEP_1) | instskip(NEXT) | instid1(VALU_DEP_1)
	v_dual_lshrrev_b32 v4, 4, v3 :: v_dual_add_f32 v2, -0.5, v2
	v_or_b32_e32 v4, 0x70000000, v4
	s_delay_alu instid0(VALU_DEP_1) | instskip(NEXT) | instid1(VALU_DEP_1)
	v_mul_f32_e32 v4, 0x7800000, v4
	v_cndmask_b32_e32 v2, v4, v2, vcc_lo
	s_delay_alu instid0(VALU_DEP_1) | instskip(SKIP_1) | instid1(SALU_CYCLE_1)
	v_cmp_neq_f32_e32 vcc_lo, 0, v2
	s_and_b32 s33, vcc_lo, exec_lo
	s_or_b32 s31, s31, s33
.LBB14_269:
	s_mov_b32 s34, 0
	s_mov_b32 s33, -1
.LBB14_270:
	s_and_not1_b32 vcc_lo, exec_lo, s34
	s_cbranch_vccnz .LBB14_281
; %bb.271:
	s_cmp_gt_i32 s26, 14
	s_cbranch_scc0 .LBB14_274
; %bb.272:
	s_cmp_eq_u32 s26, 15
	s_cbranch_scc0 .LBB14_275
; %bb.273:
	global_load_u16 v2, v[0:1], off
	s_mov_b32 s30, 0
	s_mov_b32 s33, -1
	s_wait_loadcnt 0x0
	v_and_b32_e32 v2, 0x7fff, v2
	s_delay_alu instid0(VALU_DEP_1)
	v_cmp_ne_u16_e64 s31, 0, v2
	s_branch .LBB14_276
.LBB14_274:
	s_mov_b32 s34, -1
                                        ; implicit-def: $sgpr31
	s_branch .LBB14_277
.LBB14_275:
	s_mov_b32 s30, -1
                                        ; implicit-def: $sgpr31
.LBB14_276:
	s_mov_b32 s34, 0
.LBB14_277:
	s_delay_alu instid0(SALU_CYCLE_1)
	s_and_b32 vcc_lo, exec_lo, s34
	s_cbranch_vccz .LBB14_281
; %bb.278:
	s_cmp_eq_u32 s26, 11
	s_cbranch_scc0 .LBB14_280
; %bb.279:
	global_load_u8 v2, v[0:1], off
	s_mov_b32 s30, 0
	s_mov_b32 s33, -1
	s_wait_loadcnt 0x0
	v_cmp_ne_u16_e64 s31, 0, v2
	s_branch .LBB14_281
.LBB14_280:
	s_mov_b32 s30, -1
                                        ; implicit-def: $sgpr31
.LBB14_281:
	s_mov_b32 s26, 0
.LBB14_282:
	s_delay_alu instid0(SALU_CYCLE_1)
	s_and_b32 vcc_lo, exec_lo, s26
	s_cbranch_vccz .LBB14_331
; %bb.283:
	s_and_b32 s26, 0xffff, s0
	s_delay_alu instid0(SALU_CYCLE_1)
	s_cmp_lt_i32 s26, 5
	s_cbranch_scc1 .LBB14_288
; %bb.284:
	s_cmp_lt_i32 s26, 8
	s_cbranch_scc1 .LBB14_289
; %bb.285:
	;; [unrolled: 3-line block ×3, first 2 shown]
	s_cmp_gt_i32 s26, 9
	s_cbranch_scc0 .LBB14_291
; %bb.287:
	global_load_b128 v[2:5], v[0:1], off
	s_wait_loadcnt 0x0
	v_cmp_neq_f64_e32 vcc_lo, 0, v[2:3]
	v_cmp_neq_f64_e64 s0, 0, v[4:5]
	s_or_b32 s31, vcc_lo, s0
	s_mov_b32 s0, 0
	s_branch .LBB14_292
.LBB14_288:
	s_mov_b32 s0, -1
                                        ; implicit-def: $sgpr31
	s_branch .LBB14_310
.LBB14_289:
	s_mov_b32 s0, -1
                                        ; implicit-def: $sgpr31
	s_branch .LBB14_298
.LBB14_290:
	s_mov_b32 s0, -1
                                        ; implicit-def: $sgpr31
	s_branch .LBB14_295
.LBB14_291:
	s_mov_b32 s0, -1
                                        ; implicit-def: $sgpr31
.LBB14_292:
	s_delay_alu instid0(SALU_CYCLE_1)
	s_and_not1_b32 vcc_lo, exec_lo, s0
	s_cbranch_vccnz .LBB14_294
; %bb.293:
	global_load_b64 v[2:3], v[0:1], off
	s_and_not1_b32 s0, s31, exec_lo
	s_wait_loadcnt 0x0
	v_bitop3_b32 v2, v2, 0x7fffffff, v3 bitop3:0xc8
	s_delay_alu instid0(VALU_DEP_1) | instskip(SKIP_1) | instid1(SALU_CYCLE_1)
	v_cmp_ne_u32_e32 vcc_lo, 0, v2
	s_and_b32 s31, vcc_lo, exec_lo
	s_or_b32 s31, s0, s31
.LBB14_294:
	s_mov_b32 s0, 0
.LBB14_295:
	s_delay_alu instid0(SALU_CYCLE_1)
	s_and_not1_b32 vcc_lo, exec_lo, s0
	s_cbranch_vccnz .LBB14_297
; %bb.296:
	global_load_b32 v2, v[0:1], off
	s_and_not1_b32 s0, s31, exec_lo
	s_wait_loadcnt 0x0
	v_and_b32_e32 v2, 0x7fff7fff, v2
	s_delay_alu instid0(VALU_DEP_1) | instskip(SKIP_1) | instid1(SALU_CYCLE_1)
	v_cmp_ne_u32_e32 vcc_lo, 0, v2
	s_and_b32 s31, vcc_lo, exec_lo
	s_or_b32 s31, s0, s31
.LBB14_297:
	s_mov_b32 s0, 0
.LBB14_298:
	s_delay_alu instid0(SALU_CYCLE_1)
	s_and_not1_b32 vcc_lo, exec_lo, s0
	s_cbranch_vccnz .LBB14_309
; %bb.299:
	s_cmp_lt_i32 s26, 6
	s_cbranch_scc1 .LBB14_302
; %bb.300:
	s_cmp_gt_i32 s26, 6
	s_cbranch_scc0 .LBB14_303
; %bb.301:
	global_load_b64 v[2:3], v[0:1], off
	s_mov_b32 s0, 0
	s_wait_loadcnt 0x0
	v_cmp_neq_f64_e64 s31, 0, v[2:3]
	s_branch .LBB14_304
.LBB14_302:
	s_mov_b32 s0, -1
                                        ; implicit-def: $sgpr31
	s_branch .LBB14_307
.LBB14_303:
	s_mov_b32 s0, -1
                                        ; implicit-def: $sgpr31
.LBB14_304:
	s_delay_alu instid0(SALU_CYCLE_1)
	s_and_not1_b32 vcc_lo, exec_lo, s0
	s_cbranch_vccnz .LBB14_306
; %bb.305:
	global_load_b32 v2, v[0:1], off
	s_and_not1_b32 s0, s31, exec_lo
	s_wait_loadcnt 0x0
	v_cmp_neq_f32_e32 vcc_lo, 0, v2
	s_and_b32 s31, vcc_lo, exec_lo
	s_delay_alu instid0(SALU_CYCLE_1)
	s_or_b32 s31, s0, s31
.LBB14_306:
	s_mov_b32 s0, 0
.LBB14_307:
	s_delay_alu instid0(SALU_CYCLE_1)
	s_and_not1_b32 vcc_lo, exec_lo, s0
	s_cbranch_vccnz .LBB14_309
; %bb.308:
	global_load_u16 v2, v[0:1], off
	s_and_not1_b32 s0, s31, exec_lo
	s_wait_loadcnt 0x0
	v_and_b32_e32 v2, 0x7fff, v2
	s_delay_alu instid0(VALU_DEP_1) | instskip(SKIP_1) | instid1(SALU_CYCLE_1)
	v_cmp_ne_u16_e32 vcc_lo, 0, v2
	s_and_b32 s31, vcc_lo, exec_lo
	s_or_b32 s31, s0, s31
.LBB14_309:
	s_mov_b32 s0, 0
.LBB14_310:
	s_delay_alu instid0(SALU_CYCLE_1)
	s_and_not1_b32 vcc_lo, exec_lo, s0
	s_cbranch_vccnz .LBB14_330
; %bb.311:
	s_cmp_lt_i32 s26, 2
	s_cbranch_scc1 .LBB14_315
; %bb.312:
	s_cmp_lt_i32 s26, 3
	s_cbranch_scc1 .LBB14_316
; %bb.313:
	s_cmp_gt_i32 s26, 3
	s_cbranch_scc0 .LBB14_317
; %bb.314:
	global_load_b64 v[2:3], v[0:1], off
	s_mov_b32 s0, 0
	s_wait_loadcnt 0x0
	v_cmp_ne_u64_e64 s31, 0, v[2:3]
	s_branch .LBB14_318
.LBB14_315:
	s_mov_b32 s0, -1
                                        ; implicit-def: $sgpr31
	s_branch .LBB14_324
.LBB14_316:
	s_mov_b32 s0, -1
                                        ; implicit-def: $sgpr31
	s_branch .LBB14_321
.LBB14_317:
	s_mov_b32 s0, -1
                                        ; implicit-def: $sgpr31
.LBB14_318:
	s_delay_alu instid0(SALU_CYCLE_1)
	s_and_not1_b32 vcc_lo, exec_lo, s0
	s_cbranch_vccnz .LBB14_320
; %bb.319:
	global_load_b32 v2, v[0:1], off
	s_and_not1_b32 s0, s31, exec_lo
	s_wait_loadcnt 0x0
	v_cmp_ne_u32_e32 vcc_lo, 0, v2
	s_and_b32 s31, vcc_lo, exec_lo
	s_delay_alu instid0(SALU_CYCLE_1)
	s_or_b32 s31, s0, s31
.LBB14_320:
	s_mov_b32 s0, 0
.LBB14_321:
	s_delay_alu instid0(SALU_CYCLE_1)
	s_and_not1_b32 vcc_lo, exec_lo, s0
	s_cbranch_vccnz .LBB14_323
; %bb.322:
	global_load_u16 v2, v[0:1], off
	s_and_not1_b32 s0, s31, exec_lo
	s_wait_loadcnt 0x0
	v_cmp_ne_u16_e32 vcc_lo, 0, v2
	s_and_b32 s31, vcc_lo, exec_lo
	s_delay_alu instid0(SALU_CYCLE_1)
	s_or_b32 s31, s0, s31
.LBB14_323:
	s_mov_b32 s0, 0
.LBB14_324:
	s_delay_alu instid0(SALU_CYCLE_1)
	s_and_not1_b32 vcc_lo, exec_lo, s0
	s_cbranch_vccnz .LBB14_330
; %bb.325:
	s_cmp_gt_i32 s26, 0
	s_mov_b32 s0, 0
	s_cbranch_scc0 .LBB14_327
; %bb.326:
	global_load_u8 v2, v[0:1], off
	s_wait_loadcnt 0x0
	v_cmp_ne_u16_e64 s31, 0, v2
	s_branch .LBB14_328
.LBB14_327:
	s_mov_b32 s0, -1
                                        ; implicit-def: $sgpr31
.LBB14_328:
	s_delay_alu instid0(SALU_CYCLE_1)
	s_and_not1_b32 vcc_lo, exec_lo, s0
	s_cbranch_vccnz .LBB14_330
; %bb.329:
	global_load_u8 v0, v[0:1], off
	s_and_not1_b32 s0, s31, exec_lo
	s_wait_loadcnt 0x0
	v_cmp_ne_u16_e32 vcc_lo, 0, v0
	s_and_b32 s26, vcc_lo, exec_lo
	s_delay_alu instid0(SALU_CYCLE_1)
	s_or_b32 s31, s0, s26
.LBB14_330:
	s_mov_b32 s33, -1
.LBB14_331:
	s_mov_b32 s26, 0
	s_and_not1_b32 vcc_lo, exec_lo, s33
	s_mov_b32 s0, 0
	s_mov_b32 s33, 0
	s_cbranch_vccnz .LBB14_454
; %bb.332:
	v_mul_lo_u32 v0, v8, s12
	s_and_b32 s0, s23, s22
	s_delay_alu instid0(VALU_DEP_2) | instskip(SKIP_2) | instid1(SALU_CYCLE_1)
	s_and_b32 s23, s25, s31
	s_and_b32 s25, s1, 0xff
	;; [unrolled: 1-line block ×3, first 2 shown]
	s_or_b32 s23, s0, s23
	s_cmp_lt_i32 s25, 11
	s_delay_alu instid0(VALU_DEP_1) | instskip(NEXT) | instid1(VALU_DEP_1)
	v_ashrrev_i32_e32 v1, 31, v0
	v_add_nc_u64_e32 v[0:1], s[4:5], v[0:1]
	s_cbranch_scc1 .LBB14_339
; %bb.333:
	s_and_b32 s30, 0xffff, s25
	s_delay_alu instid0(SALU_CYCLE_1)
	s_cmp_gt_i32 s30, 25
	s_cbranch_scc0 .LBB14_340
; %bb.334:
	s_cmp_gt_i32 s30, 28
	s_cbranch_scc0 .LBB14_341
; %bb.335:
	;; [unrolled: 3-line block ×4, first 2 shown]
	s_mov_b32 s0, -1
	s_cmp_eq_u32 s30, 46
	s_mov_b32 s31, 0
	s_cbranch_scc0 .LBB14_344
; %bb.338:
	v_cndmask_b32_e64 v2, 0, 1.0, s23
	s_mov_b32 s31, -1
	s_mov_b32 s0, 0
	s_delay_alu instid0(VALU_DEP_1) | instskip(NEXT) | instid1(VALU_DEP_1)
	v_bfe_u32 v3, v2, 16, 1
	v_add3_u32 v2, v2, v3, 0x7fff
	s_delay_alu instid0(VALU_DEP_1)
	v_lshrrev_b32_e32 v2, 16, v2
	global_store_b32 v[0:1], v2, off
	s_branch .LBB14_344
.LBB14_339:
	s_mov_b32 s30, -1
	s_mov_b32 s0, 0
	s_mov_b32 s31, 0
	s_branch .LBB14_413
.LBB14_340:
	s_mov_b32 s33, -1
	s_mov_b32 s0, 0
	s_mov_b32 s31, 0
	s_branch .LBB14_371
.LBB14_341:
	s_mov_b32 s33, -1
	s_mov_b32 s0, 0
	s_mov_b32 s31, 0
	s_branch .LBB14_354
.LBB14_342:
	s_mov_b32 s33, -1
	s_mov_b32 s0, 0
	s_mov_b32 s31, 0
	s_branch .LBB14_350
.LBB14_343:
	s_mov_b32 s33, -1
	s_mov_b32 s0, 0
	s_mov_b32 s31, 0
.LBB14_344:
	s_and_b32 vcc_lo, exec_lo, s33
	s_cbranch_vccz .LBB14_349
; %bb.345:
	s_cmp_eq_u32 s30, 44
	s_mov_b32 s0, -1
	s_cbranch_scc0 .LBB14_349
; %bb.346:
	v_cndmask_b32_e64 v4, 0, 1.0, s23
	s_mov_b32 s31, exec_lo
	s_wait_xcnt 0x0
	s_delay_alu instid0(VALU_DEP_1) | instskip(NEXT) | instid1(VALU_DEP_1)
	v_dual_mov_b32 v3, 0xff :: v_dual_lshrrev_b32 v2, 23, v4
	v_cmpx_ne_u32_e32 0xff, v2
; %bb.347:
	v_and_b32_e32 v3, 0x400000, v4
	v_and_or_b32 v4, 0x3fffff, v4, v2
	s_delay_alu instid0(VALU_DEP_2) | instskip(NEXT) | instid1(VALU_DEP_2)
	v_cmp_ne_u32_e32 vcc_lo, 0, v3
	v_cmp_ne_u32_e64 s0, 0, v4
	s_and_b32 s0, vcc_lo, s0
	s_delay_alu instid0(SALU_CYCLE_1) | instskip(NEXT) | instid1(VALU_DEP_1)
	v_cndmask_b32_e64 v3, 0, 1, s0
	v_add_nc_u32_e32 v3, v2, v3
; %bb.348:
	s_or_b32 exec_lo, exec_lo, s31
	s_mov_b32 s31, -1
	s_mov_b32 s0, 0
	global_store_b8 v[0:1], v3, off
.LBB14_349:
	s_mov_b32 s33, 0
.LBB14_350:
	s_delay_alu instid0(SALU_CYCLE_1)
	s_and_b32 vcc_lo, exec_lo, s33
	s_cbranch_vccz .LBB14_353
; %bb.351:
	s_cmp_eq_u32 s30, 29
	s_mov_b32 s0, -1
	s_cbranch_scc0 .LBB14_353
; %bb.352:
	s_mov_b32 s0, 0
	s_wait_xcnt 0x0
	v_cndmask_b32_e64 v2, 0, 1, s23
	v_mov_b32_e32 v3, s0
	s_mov_b32 s31, -1
	s_mov_b32 s33, 0
	global_store_b64 v[0:1], v[2:3], off
	s_branch .LBB14_354
.LBB14_353:
	s_mov_b32 s33, 0
.LBB14_354:
	s_delay_alu instid0(SALU_CYCLE_1)
	s_and_b32 vcc_lo, exec_lo, s33
	s_cbranch_vccz .LBB14_370
; %bb.355:
	s_cmp_lt_i32 s30, 27
	s_mov_b32 s31, -1
	s_cbranch_scc1 .LBB14_361
; %bb.356:
	s_cmp_gt_i32 s30, 27
	s_cbranch_scc0 .LBB14_358
; %bb.357:
	s_wait_xcnt 0x0
	v_cndmask_b32_e64 v2, 0, 1, s23
	s_mov_b32 s31, 0
	global_store_b32 v[0:1], v2, off
.LBB14_358:
	s_and_not1_b32 vcc_lo, exec_lo, s31
	s_cbranch_vccnz .LBB14_360
; %bb.359:
	s_wait_xcnt 0x0
	v_cndmask_b32_e64 v2, 0, 1, s23
	global_store_b16 v[0:1], v2, off
.LBB14_360:
	s_mov_b32 s31, 0
.LBB14_361:
	s_delay_alu instid0(SALU_CYCLE_1)
	s_and_not1_b32 vcc_lo, exec_lo, s31
	s_cbranch_vccnz .LBB14_369
; %bb.362:
	s_wait_xcnt 0x0
	v_cndmask_b32_e64 v3, 0, 1.0, s23
	v_mov_b32_e32 v4, 0x80
	s_mov_b32 s31, exec_lo
	s_delay_alu instid0(VALU_DEP_2)
	v_cmpx_gt_u32_e32 0x43800000, v3
	s_cbranch_execz .LBB14_368
; %bb.363:
	s_mov_b32 s33, 0
	s_mov_b32 s34, exec_lo
                                        ; implicit-def: $vgpr2
	v_cmpx_lt_u32_e32 0x3bffffff, v3
	s_xor_b32 s34, exec_lo, s34
	s_cbranch_execnz .LBB14_694
; %bb.364:
	s_and_not1_saveexec_b32 s34, s34
	s_cbranch_execnz .LBB14_695
.LBB14_365:
	s_or_b32 exec_lo, exec_lo, s34
	v_mov_b32_e32 v4, 0
	s_and_saveexec_b32 s34, s33
.LBB14_366:
	v_mov_b32_e32 v4, v2
.LBB14_367:
	s_or_b32 exec_lo, exec_lo, s34
.LBB14_368:
	s_delay_alu instid0(SALU_CYCLE_1)
	s_or_b32 exec_lo, exec_lo, s31
	global_store_b8 v[0:1], v4, off
.LBB14_369:
	s_mov_b32 s31, -1
.LBB14_370:
	s_mov_b32 s33, 0
.LBB14_371:
	s_delay_alu instid0(SALU_CYCLE_1)
	s_and_b32 vcc_lo, exec_lo, s33
	s_cbranch_vccz .LBB14_412
; %bb.372:
	s_cmp_gt_i32 s30, 22
	s_mov_b32 s33, -1
	s_cbranch_scc0 .LBB14_404
; %bb.373:
	s_cmp_lt_i32 s30, 24
	s_mov_b32 s31, -1
	s_cbranch_scc1 .LBB14_393
; %bb.374:
	s_cmp_gt_i32 s30, 24
	s_cbranch_scc0 .LBB14_382
; %bb.375:
	s_wait_xcnt 0x0
	v_cndmask_b32_e64 v3, 0, 1.0, s23
	v_mov_b32_e32 v4, 0x80
	s_mov_b32 s31, exec_lo
	s_delay_alu instid0(VALU_DEP_2)
	v_cmpx_gt_u32_e32 0x47800000, v3
	s_cbranch_execz .LBB14_381
; %bb.376:
	s_mov_b32 s33, 0
	s_mov_b32 s34, exec_lo
                                        ; implicit-def: $vgpr2
	v_cmpx_lt_u32_e32 0x37ffffff, v3
	s_xor_b32 s34, exec_lo, s34
	s_cbranch_execnz .LBB14_1155
; %bb.377:
	s_and_not1_saveexec_b32 s34, s34
	s_cbranch_execnz .LBB14_1156
.LBB14_378:
	s_or_b32 exec_lo, exec_lo, s34
	v_mov_b32_e32 v4, 0
	s_and_saveexec_b32 s34, s33
.LBB14_379:
	v_mov_b32_e32 v4, v2
.LBB14_380:
	s_or_b32 exec_lo, exec_lo, s34
.LBB14_381:
	s_delay_alu instid0(SALU_CYCLE_1)
	s_or_b32 exec_lo, exec_lo, s31
	s_mov_b32 s31, 0
	global_store_b8 v[0:1], v4, off
.LBB14_382:
	s_and_b32 vcc_lo, exec_lo, s31
	s_cbranch_vccz .LBB14_392
; %bb.383:
	s_wait_xcnt 0x0
	v_cndmask_b32_e64 v3, 0, 1.0, s23
	s_mov_b32 s31, exec_lo
                                        ; implicit-def: $vgpr2
	s_delay_alu instid0(VALU_DEP_1)
	v_cmpx_gt_u32_e32 0x43f00000, v3
	s_xor_b32 s31, exec_lo, s31
	s_cbranch_execz .LBB14_389
; %bb.384:
	s_mov_b32 s33, exec_lo
                                        ; implicit-def: $vgpr2
	v_cmpx_lt_u32_e32 0x3c7fffff, v3
	s_xor_b32 s33, exec_lo, s33
; %bb.385:
	v_bfe_u32 v2, v3, 20, 1
	s_delay_alu instid0(VALU_DEP_1) | instskip(NEXT) | instid1(VALU_DEP_1)
	v_add3_u32 v2, v3, v2, 0x407ffff
	v_and_b32_e32 v3, 0xff00000, v2
	v_lshrrev_b32_e32 v2, 20, v2
	s_delay_alu instid0(VALU_DEP_2) | instskip(NEXT) | instid1(VALU_DEP_2)
	v_cmp_ne_u32_e32 vcc_lo, 0x7f00000, v3
                                        ; implicit-def: $vgpr3
	v_cndmask_b32_e32 v2, 0x7e, v2, vcc_lo
; %bb.386:
	s_and_not1_saveexec_b32 s33, s33
; %bb.387:
	v_add_f32_e32 v2, 0x46800000, v3
; %bb.388:
	s_or_b32 exec_lo, exec_lo, s33
                                        ; implicit-def: $vgpr3
.LBB14_389:
	s_and_not1_saveexec_b32 s31, s31
; %bb.390:
	v_mov_b32_e32 v2, 0x7f
	v_cmp_lt_u32_e32 vcc_lo, 0x7f800000, v3
	s_delay_alu instid0(VALU_DEP_2)
	v_cndmask_b32_e32 v2, 0x7e, v2, vcc_lo
; %bb.391:
	s_or_b32 exec_lo, exec_lo, s31
	global_store_b8 v[0:1], v2, off
.LBB14_392:
	s_mov_b32 s31, 0
.LBB14_393:
	s_delay_alu instid0(SALU_CYCLE_1)
	s_and_not1_b32 vcc_lo, exec_lo, s31
	s_cbranch_vccnz .LBB14_403
; %bb.394:
	s_wait_xcnt 0x0
	v_cndmask_b32_e64 v3, 0, 1.0, s23
	s_mov_b32 s31, exec_lo
                                        ; implicit-def: $vgpr2
	s_delay_alu instid0(VALU_DEP_1)
	v_cmpx_gt_u32_e32 0x47800000, v3
	s_xor_b32 s31, exec_lo, s31
	s_cbranch_execz .LBB14_400
; %bb.395:
	s_mov_b32 s33, exec_lo
                                        ; implicit-def: $vgpr2
	v_cmpx_lt_u32_e32 0x387fffff, v3
	s_xor_b32 s33, exec_lo, s33
; %bb.396:
	v_bfe_u32 v2, v3, 21, 1
	s_delay_alu instid0(VALU_DEP_1) | instskip(NEXT) | instid1(VALU_DEP_1)
	v_add3_u32 v2, v3, v2, 0x80fffff
                                        ; implicit-def: $vgpr3
	v_lshrrev_b32_e32 v2, 21, v2
; %bb.397:
	s_and_not1_saveexec_b32 s33, s33
; %bb.398:
	v_add_f32_e32 v2, 0x43000000, v3
; %bb.399:
	s_or_b32 exec_lo, exec_lo, s33
                                        ; implicit-def: $vgpr3
.LBB14_400:
	s_and_not1_saveexec_b32 s31, s31
; %bb.401:
	v_mov_b32_e32 v2, 0x7f
	v_cmp_lt_u32_e32 vcc_lo, 0x7f800000, v3
	s_delay_alu instid0(VALU_DEP_2)
	v_cndmask_b32_e32 v2, 0x7c, v2, vcc_lo
; %bb.402:
	s_or_b32 exec_lo, exec_lo, s31
	global_store_b8 v[0:1], v2, off
.LBB14_403:
	s_mov_b32 s33, 0
	s_mov_b32 s31, -1
.LBB14_404:
	s_and_not1_b32 vcc_lo, exec_lo, s33
	s_cbranch_vccnz .LBB14_412
; %bb.405:
	s_cmp_gt_i32 s30, 14
	s_mov_b32 s33, -1
	s_cbranch_scc0 .LBB14_409
; %bb.406:
	s_cmp_eq_u32 s30, 15
	s_mov_b32 s0, -1
	s_cbranch_scc0 .LBB14_408
; %bb.407:
	s_wait_xcnt 0x0
	v_cndmask_b32_e64 v2, 0, 1.0, s23
	s_mov_b32 s31, -1
	s_mov_b32 s0, 0
	s_delay_alu instid0(VALU_DEP_1) | instskip(NEXT) | instid1(VALU_DEP_1)
	v_bfe_u32 v3, v2, 16, 1
	v_add3_u32 v2, v2, v3, 0x7fff
	global_store_d16_hi_b16 v[0:1], v2, off
.LBB14_408:
	s_mov_b32 s33, 0
.LBB14_409:
	s_delay_alu instid0(SALU_CYCLE_1)
	s_and_b32 vcc_lo, exec_lo, s33
	s_cbranch_vccz .LBB14_412
; %bb.410:
	s_cmp_eq_u32 s30, 11
	s_mov_b32 s0, -1
	s_cbranch_scc0 .LBB14_412
; %bb.411:
	s_wait_xcnt 0x0
	v_cndmask_b32_e64 v2, 0, 1, s23
	s_mov_b32 s31, -1
	s_mov_b32 s0, 0
	global_store_b8 v[0:1], v2, off
.LBB14_412:
	s_mov_b32 s30, 0
.LBB14_413:
	s_delay_alu instid0(SALU_CYCLE_1)
	s_and_b32 vcc_lo, exec_lo, s30
	s_cbranch_vccz .LBB14_452
; %bb.414:
	s_and_b32 s25, 0xffff, s25
	s_mov_b32 s30, -1
	s_cmp_lt_i32 s25, 5
	s_cbranch_scc1 .LBB14_435
; %bb.415:
	s_cmp_lt_i32 s25, 8
	s_cbranch_scc1 .LBB14_425
; %bb.416:
	;; [unrolled: 3-line block ×3, first 2 shown]
	s_cmp_gt_i32 s25, 9
	s_cbranch_scc0 .LBB14_419
; %bb.418:
	s_wait_xcnt 0x0
	v_cndmask_b32_e64 v2, 0, 1, s23
	v_mov_b32_e32 v4, 0
	s_mov_b32 s30, 0
	s_delay_alu instid0(VALU_DEP_2) | instskip(NEXT) | instid1(VALU_DEP_2)
	v_cvt_f64_u32_e32 v[2:3], v2
	v_mov_b32_e32 v5, v4
	global_store_b128 v[0:1], v[2:5], off
.LBB14_419:
	s_and_not1_b32 vcc_lo, exec_lo, s30
	s_cbranch_vccnz .LBB14_421
; %bb.420:
	s_wait_xcnt 0x0
	v_cndmask_b32_e64 v2, 0, 1.0, s23
	v_mov_b32_e32 v3, 0
	global_store_b64 v[0:1], v[2:3], off
.LBB14_421:
	s_mov_b32 s30, 0
.LBB14_422:
	s_delay_alu instid0(SALU_CYCLE_1)
	s_and_not1_b32 vcc_lo, exec_lo, s30
	s_cbranch_vccnz .LBB14_424
; %bb.423:
	s_wait_xcnt 0x0
	v_cndmask_b32_e64 v2, 0, 1.0, s23
	s_delay_alu instid0(VALU_DEP_1) | instskip(NEXT) | instid1(VALU_DEP_1)
	v_cvt_f16_f32_e32 v2, v2
	v_and_b32_e32 v2, 0xffff, v2
	global_store_b32 v[0:1], v2, off
.LBB14_424:
	s_mov_b32 s30, 0
.LBB14_425:
	s_delay_alu instid0(SALU_CYCLE_1)
	s_and_not1_b32 vcc_lo, exec_lo, s30
	s_cbranch_vccnz .LBB14_434
; %bb.426:
	s_cmp_lt_i32 s25, 6
	s_mov_b32 s30, -1
	s_cbranch_scc1 .LBB14_432
; %bb.427:
	s_cmp_gt_i32 s25, 6
	s_cbranch_scc0 .LBB14_429
; %bb.428:
	s_wait_xcnt 0x0
	v_cndmask_b32_e64 v2, 0, 1, s23
	s_mov_b32 s30, 0
	s_delay_alu instid0(VALU_DEP_1)
	v_cvt_f64_u32_e32 v[2:3], v2
	global_store_b64 v[0:1], v[2:3], off
.LBB14_429:
	s_and_not1_b32 vcc_lo, exec_lo, s30
	s_cbranch_vccnz .LBB14_431
; %bb.430:
	s_wait_xcnt 0x0
	v_cndmask_b32_e64 v2, 0, 1.0, s23
	global_store_b32 v[0:1], v2, off
.LBB14_431:
	s_mov_b32 s30, 0
.LBB14_432:
	s_delay_alu instid0(SALU_CYCLE_1)
	s_and_not1_b32 vcc_lo, exec_lo, s30
	s_cbranch_vccnz .LBB14_434
; %bb.433:
	s_wait_xcnt 0x0
	v_cndmask_b32_e64 v2, 0, 1.0, s23
	s_delay_alu instid0(VALU_DEP_1)
	v_cvt_f16_f32_e32 v2, v2
	global_store_b16 v[0:1], v2, off
.LBB14_434:
	s_mov_b32 s30, 0
.LBB14_435:
	s_delay_alu instid0(SALU_CYCLE_1)
	s_and_not1_b32 vcc_lo, exec_lo, s30
	s_cbranch_vccnz .LBB14_451
; %bb.436:
	s_cmp_lt_i32 s25, 2
	s_mov_b32 s30, -1
	s_cbranch_scc1 .LBB14_446
; %bb.437:
	s_cmp_lt_i32 s25, 3
	s_cbranch_scc1 .LBB14_443
; %bb.438:
	s_cmp_gt_i32 s25, 3
	s_cbranch_scc0 .LBB14_440
; %bb.439:
	s_mov_b32 s30, 0
	s_wait_xcnt 0x0
	v_cndmask_b32_e64 v2, 0, 1, s23
	v_mov_b32_e32 v3, s30
	global_store_b64 v[0:1], v[2:3], off
.LBB14_440:
	s_and_not1_b32 vcc_lo, exec_lo, s30
	s_cbranch_vccnz .LBB14_442
; %bb.441:
	s_wait_xcnt 0x0
	v_cndmask_b32_e64 v2, 0, 1, s23
	global_store_b32 v[0:1], v2, off
.LBB14_442:
	s_mov_b32 s30, 0
.LBB14_443:
	s_delay_alu instid0(SALU_CYCLE_1)
	s_and_not1_b32 vcc_lo, exec_lo, s30
	s_cbranch_vccnz .LBB14_445
; %bb.444:
	s_wait_xcnt 0x0
	v_cndmask_b32_e64 v2, 0, 1, s23
	global_store_b16 v[0:1], v2, off
.LBB14_445:
	s_mov_b32 s30, 0
.LBB14_446:
	s_delay_alu instid0(SALU_CYCLE_1)
	s_and_not1_b32 vcc_lo, exec_lo, s30
	s_cbranch_vccnz .LBB14_451
; %bb.447:
	s_wait_xcnt 0x0
	v_cndmask_b32_e64 v2, 0, 1, s23
	s_cmp_gt_i32 s25, 0
	s_mov_b32 s23, -1
	s_cbranch_scc0 .LBB14_449
; %bb.448:
	s_mov_b32 s23, 0
	global_store_b8 v[0:1], v2, off
.LBB14_449:
	s_and_not1_b32 vcc_lo, exec_lo, s23
	s_cbranch_vccnz .LBB14_451
; %bb.450:
	global_store_b8 v[0:1], v2, off
.LBB14_451:
	s_mov_b32 s31, -1
.LBB14_452:
	s_mov_b32 s30, 0
	s_and_not1_b32 vcc_lo, exec_lo, s31
	s_mov_b32 s33, 0
	s_cbranch_vccnz .LBB14_454
; %bb.453:
	v_add_nc_u32_e32 v8, 0x80, v8
	s_mov_b32 s33, -1
.LBB14_454:
	s_and_b32 s23, s0, exec_lo
	s_and_b32 s25, s30, exec_lo
	;; [unrolled: 1-line block ×4, first 2 shown]
	s_or_not1_b32 s31, s33, exec_lo
.LBB14_455:
	s_wait_xcnt 0x0
	s_or_b32 exec_lo, exec_lo, s28
	s_mov_b32 s0, 0
	s_mov_b32 s30, 0
                                        ; implicit-def: $sgpr35
                                        ; implicit-def: $sgpr36
                                        ; implicit-def: $vgpr0_vgpr1
	s_and_saveexec_b32 s28, s31
	s_cbranch_execnz .LBB14_459
; %bb.456:
	s_or_b32 exec_lo, exec_lo, s28
	s_mov_b32 s24, 0
	s_and_saveexec_b32 s28, s27
	s_cbranch_execnz .LBB14_1446
.LBB14_457:
	s_or_b32 exec_lo, exec_lo, s28
	s_and_saveexec_b32 s27, s29
	s_delay_alu instid0(SALU_CYCLE_1)
	s_xor_b32 s27, exec_lo, s27
	s_cbranch_execnz .LBB14_1447
.LBB14_458:
	s_or_b32 exec_lo, exec_lo, s27
	s_and_saveexec_b32 s27, s0
	s_cbranch_execnz .LBB14_1448
	s_branch .LBB14_1493
.LBB14_459:
	s_mov_b32 s0, -1
	s_mov_b32 s29, s27
	s_mov_b32 s33, s26
	;; [unrolled: 1-line block ×4, first 2 shown]
	s_mov_b32 s34, exec_lo
	v_cmpx_gt_i32_e64 s24, v8
	s_cbranch_execz .LBB14_918
; %bb.460:
	v_mul_lo_u32 v0, v8, s13
	s_and_b32 s0, s16, 0xff
	s_delay_alu instid0(SALU_CYCLE_1) | instskip(NEXT) | instid1(VALU_DEP_1)
	s_cmp_lt_i32 s0, 11
	v_ashrrev_i32_e32 v1, 31, v0
	s_delay_alu instid0(VALU_DEP_1)
	v_add_nc_u64_e32 v[0:1], s[6:7], v[0:1]
	s_cbranch_scc1 .LBB14_467
; %bb.461:
	s_and_b32 s31, 0xffff, s0
	s_delay_alu instid0(SALU_CYCLE_1)
	s_cmp_gt_i32 s31, 25
	s_cbranch_scc0 .LBB14_476
; %bb.462:
	s_cmp_gt_i32 s31, 28
	s_cbranch_scc0 .LBB14_478
; %bb.463:
	;; [unrolled: 3-line block ×4, first 2 shown]
	s_cmp_eq_u32 s31, 46
	s_mov_b32 s35, 0
	s_cbranch_scc0 .LBB14_484
; %bb.466:
	global_load_b32 v2, v[0:1], off
	s_mov_b32 s29, 0
	s_mov_b32 s33, -1
	s_wait_loadcnt 0x0
	v_and_b32_e32 v2, 0x7fff7fff, v2
	s_delay_alu instid0(VALU_DEP_1)
	v_cmp_ne_u32_e64 s30, 0, v2
	s_branch .LBB14_486
.LBB14_467:
	s_mov_b32 s33, 0
	s_mov_b32 s29, s27
                                        ; implicit-def: $sgpr30
	s_cbranch_execnz .LBB14_533
.LBB14_468:
	s_and_not1_b32 vcc_lo, exec_lo, s33
	s_cbranch_vccnz .LBB14_581
.LBB14_469:
	s_wait_xcnt 0x0
	v_mul_lo_u32 v0, v8, s14
	s_and_b32 s0, s3, 0xff
	s_delay_alu instid0(SALU_CYCLE_1) | instskip(NEXT) | instid1(VALU_DEP_1)
	s_cmp_lt_i32 s0, 11
	v_ashrrev_i32_e32 v1, 31, v0
	s_delay_alu instid0(VALU_DEP_1)
	v_add_nc_u64_e32 v[0:1], s[8:9], v[0:1]
	s_cbranch_scc1 .LBB14_477
; %bb.470:
	s_and_b32 s29, 0xffff, s0
	s_delay_alu instid0(SALU_CYCLE_1)
	s_cmp_gt_i32 s29, 25
	s_cbranch_scc0 .LBB14_479
; %bb.471:
	s_cmp_gt_i32 s29, 28
	s_cbranch_scc0 .LBB14_481
; %bb.472:
	;; [unrolled: 3-line block ×4, first 2 shown]
	s_cmp_eq_u32 s29, 46
	s_mov_b32 s36, 0
	s_cbranch_scc0 .LBB14_583
; %bb.475:
	global_load_b32 v2, v[0:1], off
	s_mov_b32 s33, 0
	s_mov_b32 s35, -1
	s_wait_loadcnt 0x0
	v_and_b32_e32 v2, 0x7fff7fff, v2
	s_delay_alu instid0(VALU_DEP_1)
	v_cmp_ne_u32_e64 s31, 0, v2
	s_branch .LBB14_585
.LBB14_476:
	s_mov_b32 s35, -1
	s_mov_b32 s33, 0
	s_mov_b32 s29, s27
                                        ; implicit-def: $sgpr30
	s_branch .LBB14_507
.LBB14_477:
	s_mov_b32 s29, -1
	s_mov_b32 s35, 0
	s_mov_b32 s33, s26
                                        ; implicit-def: $sgpr31
	s_branch .LBB14_632
.LBB14_478:
	s_mov_b32 s35, -1
	s_mov_b32 s33, 0
	s_mov_b32 s29, s27
                                        ; implicit-def: $sgpr30
	s_branch .LBB14_494
.LBB14_479:
	s_mov_b32 s36, -1
	s_mov_b32 s35, 0
	s_mov_b32 s33, s26
                                        ; implicit-def: $sgpr31
	s_branch .LBB14_606
.LBB14_480:
	s_mov_b32 s35, -1
	s_mov_b32 s33, 0
	s_mov_b32 s29, s27
                                        ; implicit-def: $sgpr30
	s_branch .LBB14_489
.LBB14_481:
	s_mov_b32 s36, -1
	s_mov_b32 s35, 0
	s_mov_b32 s33, s26
                                        ; implicit-def: $sgpr31
	s_branch .LBB14_593
.LBB14_482:
	s_mov_b32 s35, -1
	s_mov_b32 s33, 0
	s_mov_b32 s29, s27
	s_branch .LBB14_485
.LBB14_483:
	s_mov_b32 s36, -1
	s_mov_b32 s35, 0
	s_mov_b32 s33, s26
                                        ; implicit-def: $sgpr31
	s_branch .LBB14_588
.LBB14_484:
	s_mov_b32 s29, -1
	s_mov_b32 s33, 0
.LBB14_485:
                                        ; implicit-def: $sgpr30
.LBB14_486:
	s_and_b32 vcc_lo, exec_lo, s35
	s_cbranch_vccz .LBB14_488
; %bb.487:
	s_cmp_eq_u32 s31, 44
	s_cselect_b32 s33, -1, 0
	s_or_b32 s30, s30, exec_lo
	s_or_b32 s29, s29, exec_lo
.LBB14_488:
	s_mov_b32 s35, 0
.LBB14_489:
	s_delay_alu instid0(SALU_CYCLE_1)
	s_and_b32 vcc_lo, exec_lo, s35
	s_cbranch_vccz .LBB14_493
; %bb.490:
	s_cmp_eq_u32 s31, 29
	s_cbranch_scc0 .LBB14_492
; %bb.491:
	global_load_b64 v[2:3], v[0:1], off
	s_mov_b32 s33, -1
	s_mov_b32 s29, 0
	s_mov_b32 s35, 0
	s_wait_loadcnt 0x0
	v_cmp_ne_u64_e64 s30, 0, v[2:3]
	s_branch .LBB14_494
.LBB14_492:
	s_mov_b32 s29, -1
                                        ; implicit-def: $sgpr30
.LBB14_493:
	s_mov_b32 s35, 0
.LBB14_494:
	s_delay_alu instid0(SALU_CYCLE_1)
	s_and_b32 vcc_lo, exec_lo, s35
	s_cbranch_vccz .LBB14_506
; %bb.495:
	s_cmp_lt_i32 s31, 27
	s_cbranch_scc1 .LBB14_498
; %bb.496:
	s_cmp_gt_i32 s31, 27
	s_cbranch_scc0 .LBB14_499
; %bb.497:
	global_load_b32 v2, v[0:1], off
	s_mov_b32 s33, 0
	s_wait_loadcnt 0x0
	v_cmp_ne_u32_e64 s30, 0, v2
	s_branch .LBB14_500
.LBB14_498:
	s_mov_b32 s33, -1
                                        ; implicit-def: $sgpr30
	s_branch .LBB14_503
.LBB14_499:
	s_mov_b32 s33, -1
                                        ; implicit-def: $sgpr30
.LBB14_500:
	s_delay_alu instid0(SALU_CYCLE_1)
	s_and_not1_b32 vcc_lo, exec_lo, s33
	s_cbranch_vccnz .LBB14_502
; %bb.501:
	global_load_u16 v2, v[0:1], off
	s_and_not1_b32 s30, s30, exec_lo
	s_wait_loadcnt 0x0
	v_cmp_ne_u16_e32 vcc_lo, 0, v2
	s_and_b32 s33, vcc_lo, exec_lo
	s_delay_alu instid0(SALU_CYCLE_1)
	s_or_b32 s30, s30, s33
.LBB14_502:
	s_mov_b32 s33, 0
.LBB14_503:
	s_delay_alu instid0(SALU_CYCLE_1)
	s_and_not1_b32 vcc_lo, exec_lo, s33
	s_cbranch_vccnz .LBB14_505
; %bb.504:
	global_load_u8 v2, v[0:1], off
	s_and_not1_b32 s30, s30, exec_lo
	s_wait_loadcnt 0x0
	v_cmp_ne_u16_e32 vcc_lo, 0, v2
	s_and_b32 s33, vcc_lo, exec_lo
	s_delay_alu instid0(SALU_CYCLE_1)
	s_or_b32 s30, s30, s33
.LBB14_505:
	s_mov_b32 s33, -1
.LBB14_506:
	s_mov_b32 s35, 0
.LBB14_507:
	s_delay_alu instid0(SALU_CYCLE_1)
	s_and_b32 vcc_lo, exec_lo, s35
	s_cbranch_vccz .LBB14_532
; %bb.508:
	s_cmp_gt_i32 s31, 22
	s_cbranch_scc0 .LBB14_512
; %bb.509:
	s_cmp_lt_i32 s31, 24
	s_cbranch_scc1 .LBB14_513
; %bb.510:
	s_cmp_gt_i32 s31, 24
	s_cbranch_scc0 .LBB14_514
; %bb.511:
	global_load_u8 v2, v[0:1], off
	s_mov_b32 s33, 0
	s_wait_loadcnt 0x0
	v_cmp_ne_u16_e64 s30, 0, v2
	s_branch .LBB14_515
.LBB14_512:
	s_mov_b32 s35, -1
                                        ; implicit-def: $sgpr30
	s_branch .LBB14_521
.LBB14_513:
	s_mov_b32 s33, -1
                                        ; implicit-def: $sgpr30
	s_branch .LBB14_518
.LBB14_514:
	s_mov_b32 s33, -1
                                        ; implicit-def: $sgpr30
.LBB14_515:
	s_delay_alu instid0(SALU_CYCLE_1)
	s_and_not1_b32 vcc_lo, exec_lo, s33
	s_cbranch_vccnz .LBB14_517
; %bb.516:
	global_load_u8 v2, v[0:1], off
	s_and_not1_b32 s30, s30, exec_lo
	s_wait_loadcnt 0x0
	v_and_b32_e32 v2, 0x7f, v2
	s_delay_alu instid0(VALU_DEP_1) | instskip(SKIP_1) | instid1(SALU_CYCLE_1)
	v_cmp_ne_u16_e32 vcc_lo, 0, v2
	s_and_b32 s33, vcc_lo, exec_lo
	s_or_b32 s30, s30, s33
.LBB14_517:
	s_mov_b32 s33, 0
.LBB14_518:
	s_delay_alu instid0(SALU_CYCLE_1)
	s_and_not1_b32 vcc_lo, exec_lo, s33
	s_cbranch_vccnz .LBB14_520
; %bb.519:
	global_load_u8 v2, v[0:1], off
	s_and_not1_b32 s30, s30, exec_lo
	s_wait_loadcnt 0x0
	v_dual_lshlrev_b32 v3, 25, v2 :: v_dual_lshlrev_b32 v2, 8, v2
	s_delay_alu instid0(VALU_DEP_1) | instskip(NEXT) | instid1(VALU_DEP_2)
	v_cmp_gt_u32_e32 vcc_lo, 0x8000000, v3
	v_and_or_b32 v2, 0x7f00, v2, 0.5
	s_delay_alu instid0(VALU_DEP_1) | instskip(NEXT) | instid1(VALU_DEP_1)
	v_dual_lshrrev_b32 v4, 4, v3 :: v_dual_add_f32 v2, -0.5, v2
	v_or_b32_e32 v4, 0x70000000, v4
	s_delay_alu instid0(VALU_DEP_1) | instskip(NEXT) | instid1(VALU_DEP_1)
	v_mul_f32_e32 v4, 0x7800000, v4
	v_cndmask_b32_e32 v2, v4, v2, vcc_lo
	s_delay_alu instid0(VALU_DEP_1) | instskip(SKIP_1) | instid1(SALU_CYCLE_1)
	v_cmp_neq_f32_e32 vcc_lo, 0, v2
	s_and_b32 s33, vcc_lo, exec_lo
	s_or_b32 s30, s30, s33
.LBB14_520:
	s_mov_b32 s35, 0
	s_mov_b32 s33, -1
.LBB14_521:
	s_and_not1_b32 vcc_lo, exec_lo, s35
	s_cbranch_vccnz .LBB14_532
; %bb.522:
	s_cmp_gt_i32 s31, 14
	s_cbranch_scc0 .LBB14_525
; %bb.523:
	s_cmp_eq_u32 s31, 15
	s_cbranch_scc0 .LBB14_526
; %bb.524:
	global_load_u16 v2, v[0:1], off
	s_mov_b32 s29, 0
	s_mov_b32 s33, -1
	s_wait_loadcnt 0x0
	v_and_b32_e32 v2, 0x7fff, v2
	s_delay_alu instid0(VALU_DEP_1)
	v_cmp_ne_u16_e64 s30, 0, v2
	s_branch .LBB14_527
.LBB14_525:
	s_mov_b32 s35, -1
                                        ; implicit-def: $sgpr30
	s_branch .LBB14_528
.LBB14_526:
	s_mov_b32 s29, -1
                                        ; implicit-def: $sgpr30
.LBB14_527:
	s_mov_b32 s35, 0
.LBB14_528:
	s_delay_alu instid0(SALU_CYCLE_1)
	s_and_b32 vcc_lo, exec_lo, s35
	s_cbranch_vccz .LBB14_532
; %bb.529:
	s_cmp_eq_u32 s31, 11
	s_cbranch_scc0 .LBB14_531
; %bb.530:
	global_load_u8 v2, v[0:1], off
	s_mov_b32 s29, 0
	s_mov_b32 s33, -1
	s_wait_loadcnt 0x0
	v_cmp_ne_u16_e64 s30, 0, v2
	s_branch .LBB14_532
.LBB14_531:
	s_mov_b32 s29, -1
                                        ; implicit-def: $sgpr30
.LBB14_532:
	s_branch .LBB14_468
.LBB14_533:
	s_and_b32 s31, 0xffff, s0
	s_delay_alu instid0(SALU_CYCLE_1)
	s_cmp_lt_i32 s31, 5
	s_cbranch_scc1 .LBB14_538
; %bb.534:
	s_cmp_lt_i32 s31, 8
	s_cbranch_scc1 .LBB14_539
; %bb.535:
	;; [unrolled: 3-line block ×3, first 2 shown]
	s_cmp_gt_i32 s31, 9
	s_cbranch_scc0 .LBB14_541
; %bb.537:
	global_load_b128 v[2:5], v[0:1], off
	s_wait_loadcnt 0x0
	v_cmp_neq_f64_e32 vcc_lo, 0, v[2:3]
	v_cmp_neq_f64_e64 s0, 0, v[4:5]
	s_or_b32 s30, vcc_lo, s0
	s_mov_b32 s0, 0
	s_branch .LBB14_542
.LBB14_538:
	s_mov_b32 s0, -1
                                        ; implicit-def: $sgpr30
	s_branch .LBB14_560
.LBB14_539:
	s_mov_b32 s0, -1
                                        ; implicit-def: $sgpr30
	s_branch .LBB14_548
.LBB14_540:
	s_mov_b32 s0, -1
                                        ; implicit-def: $sgpr30
	s_branch .LBB14_545
.LBB14_541:
	s_mov_b32 s0, -1
                                        ; implicit-def: $sgpr30
.LBB14_542:
	s_delay_alu instid0(SALU_CYCLE_1)
	s_and_not1_b32 vcc_lo, exec_lo, s0
	s_cbranch_vccnz .LBB14_544
; %bb.543:
	global_load_b64 v[2:3], v[0:1], off
	s_and_not1_b32 s0, s30, exec_lo
	s_wait_loadcnt 0x0
	v_bitop3_b32 v2, v2, 0x7fffffff, v3 bitop3:0xc8
	s_delay_alu instid0(VALU_DEP_1) | instskip(SKIP_1) | instid1(SALU_CYCLE_1)
	v_cmp_ne_u32_e32 vcc_lo, 0, v2
	s_and_b32 s30, vcc_lo, exec_lo
	s_or_b32 s30, s0, s30
.LBB14_544:
	s_mov_b32 s0, 0
.LBB14_545:
	s_delay_alu instid0(SALU_CYCLE_1)
	s_and_not1_b32 vcc_lo, exec_lo, s0
	s_cbranch_vccnz .LBB14_547
; %bb.546:
	global_load_b32 v2, v[0:1], off
	s_and_not1_b32 s0, s30, exec_lo
	s_wait_loadcnt 0x0
	v_and_b32_e32 v2, 0x7fff7fff, v2
	s_delay_alu instid0(VALU_DEP_1) | instskip(SKIP_1) | instid1(SALU_CYCLE_1)
	v_cmp_ne_u32_e32 vcc_lo, 0, v2
	s_and_b32 s30, vcc_lo, exec_lo
	s_or_b32 s30, s0, s30
.LBB14_547:
	s_mov_b32 s0, 0
.LBB14_548:
	s_delay_alu instid0(SALU_CYCLE_1)
	s_and_not1_b32 vcc_lo, exec_lo, s0
	s_cbranch_vccnz .LBB14_559
; %bb.549:
	s_cmp_lt_i32 s31, 6
	s_cbranch_scc1 .LBB14_552
; %bb.550:
	s_cmp_gt_i32 s31, 6
	s_cbranch_scc0 .LBB14_553
; %bb.551:
	global_load_b64 v[2:3], v[0:1], off
	s_mov_b32 s0, 0
	s_wait_loadcnt 0x0
	v_cmp_neq_f64_e64 s30, 0, v[2:3]
	s_branch .LBB14_554
.LBB14_552:
	s_mov_b32 s0, -1
                                        ; implicit-def: $sgpr30
	s_branch .LBB14_557
.LBB14_553:
	s_mov_b32 s0, -1
                                        ; implicit-def: $sgpr30
.LBB14_554:
	s_delay_alu instid0(SALU_CYCLE_1)
	s_and_not1_b32 vcc_lo, exec_lo, s0
	s_cbranch_vccnz .LBB14_556
; %bb.555:
	global_load_b32 v2, v[0:1], off
	s_and_not1_b32 s0, s30, exec_lo
	s_wait_loadcnt 0x0
	v_cmp_neq_f32_e32 vcc_lo, 0, v2
	s_and_b32 s30, vcc_lo, exec_lo
	s_delay_alu instid0(SALU_CYCLE_1)
	s_or_b32 s30, s0, s30
.LBB14_556:
	s_mov_b32 s0, 0
.LBB14_557:
	s_delay_alu instid0(SALU_CYCLE_1)
	s_and_not1_b32 vcc_lo, exec_lo, s0
	s_cbranch_vccnz .LBB14_559
; %bb.558:
	global_load_u16 v2, v[0:1], off
	s_and_not1_b32 s0, s30, exec_lo
	s_wait_loadcnt 0x0
	v_and_b32_e32 v2, 0x7fff, v2
	s_delay_alu instid0(VALU_DEP_1) | instskip(SKIP_1) | instid1(SALU_CYCLE_1)
	v_cmp_ne_u16_e32 vcc_lo, 0, v2
	s_and_b32 s30, vcc_lo, exec_lo
	s_or_b32 s30, s0, s30
.LBB14_559:
	s_mov_b32 s0, 0
.LBB14_560:
	s_delay_alu instid0(SALU_CYCLE_1)
	s_and_not1_b32 vcc_lo, exec_lo, s0
	s_cbranch_vccnz .LBB14_580
; %bb.561:
	s_cmp_lt_i32 s31, 2
	s_cbranch_scc1 .LBB14_565
; %bb.562:
	s_cmp_lt_i32 s31, 3
	s_cbranch_scc1 .LBB14_566
; %bb.563:
	s_cmp_gt_i32 s31, 3
	s_cbranch_scc0 .LBB14_567
; %bb.564:
	global_load_b64 v[2:3], v[0:1], off
	s_mov_b32 s0, 0
	s_wait_loadcnt 0x0
	v_cmp_ne_u64_e64 s30, 0, v[2:3]
	s_branch .LBB14_568
.LBB14_565:
	s_mov_b32 s0, -1
                                        ; implicit-def: $sgpr30
	s_branch .LBB14_574
.LBB14_566:
	s_mov_b32 s0, -1
                                        ; implicit-def: $sgpr30
	s_branch .LBB14_571
.LBB14_567:
	s_mov_b32 s0, -1
                                        ; implicit-def: $sgpr30
.LBB14_568:
	s_delay_alu instid0(SALU_CYCLE_1)
	s_and_not1_b32 vcc_lo, exec_lo, s0
	s_cbranch_vccnz .LBB14_570
; %bb.569:
	global_load_b32 v2, v[0:1], off
	s_and_not1_b32 s0, s30, exec_lo
	s_wait_loadcnt 0x0
	v_cmp_ne_u32_e32 vcc_lo, 0, v2
	s_and_b32 s30, vcc_lo, exec_lo
	s_delay_alu instid0(SALU_CYCLE_1)
	s_or_b32 s30, s0, s30
.LBB14_570:
	s_mov_b32 s0, 0
.LBB14_571:
	s_delay_alu instid0(SALU_CYCLE_1)
	s_and_not1_b32 vcc_lo, exec_lo, s0
	s_cbranch_vccnz .LBB14_573
; %bb.572:
	global_load_u16 v2, v[0:1], off
	s_and_not1_b32 s0, s30, exec_lo
	s_wait_loadcnt 0x0
	v_cmp_ne_u16_e32 vcc_lo, 0, v2
	s_and_b32 s30, vcc_lo, exec_lo
	s_delay_alu instid0(SALU_CYCLE_1)
	s_or_b32 s30, s0, s30
.LBB14_573:
	s_mov_b32 s0, 0
.LBB14_574:
	s_delay_alu instid0(SALU_CYCLE_1)
	s_and_not1_b32 vcc_lo, exec_lo, s0
	s_cbranch_vccnz .LBB14_580
; %bb.575:
	s_cmp_gt_i32 s31, 0
	s_mov_b32 s0, 0
	s_cbranch_scc0 .LBB14_577
; %bb.576:
	global_load_u8 v2, v[0:1], off
	s_wait_loadcnt 0x0
	v_cmp_ne_u16_e64 s30, 0, v2
	s_branch .LBB14_578
.LBB14_577:
	s_mov_b32 s0, -1
                                        ; implicit-def: $sgpr30
.LBB14_578:
	s_delay_alu instid0(SALU_CYCLE_1)
	s_and_not1_b32 vcc_lo, exec_lo, s0
	s_cbranch_vccnz .LBB14_580
; %bb.579:
	global_load_u8 v0, v[0:1], off
	s_and_not1_b32 s0, s30, exec_lo
	s_wait_loadcnt 0x0
	v_cmp_ne_u16_e32 vcc_lo, 0, v0
	s_and_b32 s30, vcc_lo, exec_lo
	s_delay_alu instid0(SALU_CYCLE_1)
	s_or_b32 s30, s0, s30
.LBB14_580:
	s_branch .LBB14_469
.LBB14_581:
	s_mov_b32 s37, 0
	s_mov_b32 s0, s23
	;; [unrolled: 1-line block ×4, first 2 shown]
                                        ; implicit-def: $vgpr8
	s_branch .LBB14_917
.LBB14_582:
	s_mov_b32 s36, -1
	s_mov_b32 s35, 0
	s_mov_b32 s33, s26
	s_branch .LBB14_584
.LBB14_583:
	s_mov_b32 s33, -1
	s_mov_b32 s35, 0
.LBB14_584:
                                        ; implicit-def: $sgpr31
.LBB14_585:
	s_and_b32 vcc_lo, exec_lo, s36
	s_cbranch_vccz .LBB14_587
; %bb.586:
	s_cmp_eq_u32 s29, 44
	s_cselect_b32 s35, -1, 0
	s_or_b32 s31, s31, exec_lo
	s_or_b32 s33, s33, exec_lo
.LBB14_587:
	s_mov_b32 s36, 0
.LBB14_588:
	s_delay_alu instid0(SALU_CYCLE_1)
	s_and_b32 vcc_lo, exec_lo, s36
	s_cbranch_vccz .LBB14_592
; %bb.589:
	s_cmp_eq_u32 s29, 29
	s_cbranch_scc0 .LBB14_591
; %bb.590:
	global_load_b64 v[2:3], v[0:1], off
	s_mov_b32 s35, -1
	s_mov_b32 s33, 0
	s_mov_b32 s36, 0
	s_wait_loadcnt 0x0
	v_cmp_ne_u64_e64 s31, 0, v[2:3]
	s_branch .LBB14_593
.LBB14_591:
	s_mov_b32 s33, -1
                                        ; implicit-def: $sgpr31
.LBB14_592:
	s_mov_b32 s36, 0
.LBB14_593:
	s_delay_alu instid0(SALU_CYCLE_1)
	s_and_b32 vcc_lo, exec_lo, s36
	s_cbranch_vccz .LBB14_605
; %bb.594:
	s_cmp_lt_i32 s29, 27
	s_cbranch_scc1 .LBB14_597
; %bb.595:
	s_cmp_gt_i32 s29, 27
	s_cbranch_scc0 .LBB14_598
; %bb.596:
	global_load_b32 v2, v[0:1], off
	s_mov_b32 s35, 0
	s_wait_loadcnt 0x0
	v_cmp_ne_u32_e64 s31, 0, v2
	s_branch .LBB14_599
.LBB14_597:
	s_mov_b32 s35, -1
                                        ; implicit-def: $sgpr31
	s_branch .LBB14_602
.LBB14_598:
	s_mov_b32 s35, -1
                                        ; implicit-def: $sgpr31
.LBB14_599:
	s_delay_alu instid0(SALU_CYCLE_1)
	s_and_not1_b32 vcc_lo, exec_lo, s35
	s_cbranch_vccnz .LBB14_601
; %bb.600:
	global_load_u16 v2, v[0:1], off
	s_and_not1_b32 s31, s31, exec_lo
	s_wait_loadcnt 0x0
	v_cmp_ne_u16_e32 vcc_lo, 0, v2
	s_and_b32 s35, vcc_lo, exec_lo
	s_delay_alu instid0(SALU_CYCLE_1)
	s_or_b32 s31, s31, s35
.LBB14_601:
	s_mov_b32 s35, 0
.LBB14_602:
	s_delay_alu instid0(SALU_CYCLE_1)
	s_and_not1_b32 vcc_lo, exec_lo, s35
	s_cbranch_vccnz .LBB14_604
; %bb.603:
	global_load_u8 v2, v[0:1], off
	s_and_not1_b32 s31, s31, exec_lo
	s_wait_loadcnt 0x0
	v_cmp_ne_u16_e32 vcc_lo, 0, v2
	s_and_b32 s35, vcc_lo, exec_lo
	s_delay_alu instid0(SALU_CYCLE_1)
	s_or_b32 s31, s31, s35
.LBB14_604:
	s_mov_b32 s35, -1
.LBB14_605:
	s_mov_b32 s36, 0
.LBB14_606:
	s_delay_alu instid0(SALU_CYCLE_1)
	s_and_b32 vcc_lo, exec_lo, s36
	s_cbranch_vccz .LBB14_631
; %bb.607:
	s_cmp_gt_i32 s29, 22
	s_cbranch_scc0 .LBB14_611
; %bb.608:
	s_cmp_lt_i32 s29, 24
	s_cbranch_scc1 .LBB14_612
; %bb.609:
	s_cmp_gt_i32 s29, 24
	s_cbranch_scc0 .LBB14_613
; %bb.610:
	global_load_u8 v2, v[0:1], off
	s_mov_b32 s35, 0
	s_wait_loadcnt 0x0
	v_cmp_ne_u16_e64 s31, 0, v2
	s_branch .LBB14_614
.LBB14_611:
	s_mov_b32 s36, -1
                                        ; implicit-def: $sgpr31
	s_branch .LBB14_620
.LBB14_612:
	s_mov_b32 s35, -1
                                        ; implicit-def: $sgpr31
	s_branch .LBB14_617
.LBB14_613:
	s_mov_b32 s35, -1
                                        ; implicit-def: $sgpr31
.LBB14_614:
	s_delay_alu instid0(SALU_CYCLE_1)
	s_and_not1_b32 vcc_lo, exec_lo, s35
	s_cbranch_vccnz .LBB14_616
; %bb.615:
	global_load_u8 v2, v[0:1], off
	s_and_not1_b32 s31, s31, exec_lo
	s_wait_loadcnt 0x0
	v_and_b32_e32 v2, 0x7f, v2
	s_delay_alu instid0(VALU_DEP_1) | instskip(SKIP_1) | instid1(SALU_CYCLE_1)
	v_cmp_ne_u16_e32 vcc_lo, 0, v2
	s_and_b32 s35, vcc_lo, exec_lo
	s_or_b32 s31, s31, s35
.LBB14_616:
	s_mov_b32 s35, 0
.LBB14_617:
	s_delay_alu instid0(SALU_CYCLE_1)
	s_and_not1_b32 vcc_lo, exec_lo, s35
	s_cbranch_vccnz .LBB14_619
; %bb.618:
	global_load_u8 v2, v[0:1], off
	s_and_not1_b32 s31, s31, exec_lo
	s_wait_loadcnt 0x0
	v_dual_lshlrev_b32 v3, 25, v2 :: v_dual_lshlrev_b32 v2, 8, v2
	s_delay_alu instid0(VALU_DEP_1) | instskip(NEXT) | instid1(VALU_DEP_2)
	v_cmp_gt_u32_e32 vcc_lo, 0x8000000, v3
	v_and_or_b32 v2, 0x7f00, v2, 0.5
	s_delay_alu instid0(VALU_DEP_1) | instskip(NEXT) | instid1(VALU_DEP_1)
	v_dual_lshrrev_b32 v4, 4, v3 :: v_dual_add_f32 v2, -0.5, v2
	v_or_b32_e32 v4, 0x70000000, v4
	s_delay_alu instid0(VALU_DEP_1) | instskip(NEXT) | instid1(VALU_DEP_1)
	v_mul_f32_e32 v4, 0x7800000, v4
	v_cndmask_b32_e32 v2, v4, v2, vcc_lo
	s_delay_alu instid0(VALU_DEP_1) | instskip(SKIP_1) | instid1(SALU_CYCLE_1)
	v_cmp_neq_f32_e32 vcc_lo, 0, v2
	s_and_b32 s35, vcc_lo, exec_lo
	s_or_b32 s31, s31, s35
.LBB14_619:
	s_mov_b32 s36, 0
	s_mov_b32 s35, -1
.LBB14_620:
	s_and_not1_b32 vcc_lo, exec_lo, s36
	s_cbranch_vccnz .LBB14_631
; %bb.621:
	s_cmp_gt_i32 s29, 14
	s_cbranch_scc0 .LBB14_624
; %bb.622:
	s_cmp_eq_u32 s29, 15
	s_cbranch_scc0 .LBB14_625
; %bb.623:
	global_load_u16 v2, v[0:1], off
	s_mov_b32 s33, 0
	s_mov_b32 s35, -1
	s_wait_loadcnt 0x0
	v_and_b32_e32 v2, 0x7fff, v2
	s_delay_alu instid0(VALU_DEP_1)
	v_cmp_ne_u16_e64 s31, 0, v2
	s_branch .LBB14_626
.LBB14_624:
	s_mov_b32 s36, -1
                                        ; implicit-def: $sgpr31
	s_branch .LBB14_627
.LBB14_625:
	s_mov_b32 s33, -1
                                        ; implicit-def: $sgpr31
.LBB14_626:
	s_mov_b32 s36, 0
.LBB14_627:
	s_delay_alu instid0(SALU_CYCLE_1)
	s_and_b32 vcc_lo, exec_lo, s36
	s_cbranch_vccz .LBB14_631
; %bb.628:
	s_cmp_eq_u32 s29, 11
	s_cbranch_scc0 .LBB14_630
; %bb.629:
	global_load_u8 v2, v[0:1], off
	s_mov_b32 s33, 0
	s_mov_b32 s35, -1
	s_wait_loadcnt 0x0
	v_cmp_ne_u16_e64 s31, 0, v2
	s_branch .LBB14_631
.LBB14_630:
	s_mov_b32 s33, -1
                                        ; implicit-def: $sgpr31
.LBB14_631:
	s_mov_b32 s29, 0
.LBB14_632:
	s_delay_alu instid0(SALU_CYCLE_1)
	s_and_b32 vcc_lo, exec_lo, s29
	s_cbranch_vccz .LBB14_681
; %bb.633:
	s_and_b32 s29, 0xffff, s0
	s_delay_alu instid0(SALU_CYCLE_1)
	s_cmp_lt_i32 s29, 5
	s_cbranch_scc1 .LBB14_638
; %bb.634:
	s_cmp_lt_i32 s29, 8
	s_cbranch_scc1 .LBB14_639
; %bb.635:
	;; [unrolled: 3-line block ×3, first 2 shown]
	s_cmp_gt_i32 s29, 9
	s_cbranch_scc0 .LBB14_641
; %bb.637:
	global_load_b128 v[2:5], v[0:1], off
	s_wait_loadcnt 0x0
	v_cmp_neq_f64_e32 vcc_lo, 0, v[2:3]
	v_cmp_neq_f64_e64 s0, 0, v[4:5]
	s_or_b32 s31, vcc_lo, s0
	s_mov_b32 s0, 0
	s_branch .LBB14_642
.LBB14_638:
	s_mov_b32 s0, -1
                                        ; implicit-def: $sgpr31
	s_branch .LBB14_660
.LBB14_639:
	s_mov_b32 s0, -1
                                        ; implicit-def: $sgpr31
	s_branch .LBB14_648
.LBB14_640:
	s_mov_b32 s0, -1
                                        ; implicit-def: $sgpr31
	s_branch .LBB14_645
.LBB14_641:
	s_mov_b32 s0, -1
                                        ; implicit-def: $sgpr31
.LBB14_642:
	s_delay_alu instid0(SALU_CYCLE_1)
	s_and_not1_b32 vcc_lo, exec_lo, s0
	s_cbranch_vccnz .LBB14_644
; %bb.643:
	global_load_b64 v[2:3], v[0:1], off
	s_and_not1_b32 s0, s31, exec_lo
	s_wait_loadcnt 0x0
	v_bitop3_b32 v2, v2, 0x7fffffff, v3 bitop3:0xc8
	s_delay_alu instid0(VALU_DEP_1) | instskip(SKIP_1) | instid1(SALU_CYCLE_1)
	v_cmp_ne_u32_e32 vcc_lo, 0, v2
	s_and_b32 s31, vcc_lo, exec_lo
	s_or_b32 s31, s0, s31
.LBB14_644:
	s_mov_b32 s0, 0
.LBB14_645:
	s_delay_alu instid0(SALU_CYCLE_1)
	s_and_not1_b32 vcc_lo, exec_lo, s0
	s_cbranch_vccnz .LBB14_647
; %bb.646:
	global_load_b32 v2, v[0:1], off
	s_and_not1_b32 s0, s31, exec_lo
	s_wait_loadcnt 0x0
	v_and_b32_e32 v2, 0x7fff7fff, v2
	s_delay_alu instid0(VALU_DEP_1) | instskip(SKIP_1) | instid1(SALU_CYCLE_1)
	v_cmp_ne_u32_e32 vcc_lo, 0, v2
	s_and_b32 s31, vcc_lo, exec_lo
	s_or_b32 s31, s0, s31
.LBB14_647:
	s_mov_b32 s0, 0
.LBB14_648:
	s_delay_alu instid0(SALU_CYCLE_1)
	s_and_not1_b32 vcc_lo, exec_lo, s0
	s_cbranch_vccnz .LBB14_659
; %bb.649:
	s_cmp_lt_i32 s29, 6
	s_cbranch_scc1 .LBB14_652
; %bb.650:
	s_cmp_gt_i32 s29, 6
	s_cbranch_scc0 .LBB14_653
; %bb.651:
	global_load_b64 v[2:3], v[0:1], off
	s_mov_b32 s0, 0
	s_wait_loadcnt 0x0
	v_cmp_neq_f64_e64 s31, 0, v[2:3]
	s_branch .LBB14_654
.LBB14_652:
	s_mov_b32 s0, -1
                                        ; implicit-def: $sgpr31
	s_branch .LBB14_657
.LBB14_653:
	s_mov_b32 s0, -1
                                        ; implicit-def: $sgpr31
.LBB14_654:
	s_delay_alu instid0(SALU_CYCLE_1)
	s_and_not1_b32 vcc_lo, exec_lo, s0
	s_cbranch_vccnz .LBB14_656
; %bb.655:
	global_load_b32 v2, v[0:1], off
	s_and_not1_b32 s0, s31, exec_lo
	s_wait_loadcnt 0x0
	v_cmp_neq_f32_e32 vcc_lo, 0, v2
	s_and_b32 s31, vcc_lo, exec_lo
	s_delay_alu instid0(SALU_CYCLE_1)
	s_or_b32 s31, s0, s31
.LBB14_656:
	s_mov_b32 s0, 0
.LBB14_657:
	s_delay_alu instid0(SALU_CYCLE_1)
	s_and_not1_b32 vcc_lo, exec_lo, s0
	s_cbranch_vccnz .LBB14_659
; %bb.658:
	global_load_u16 v2, v[0:1], off
	s_and_not1_b32 s0, s31, exec_lo
	s_wait_loadcnt 0x0
	v_and_b32_e32 v2, 0x7fff, v2
	s_delay_alu instid0(VALU_DEP_1) | instskip(SKIP_1) | instid1(SALU_CYCLE_1)
	v_cmp_ne_u16_e32 vcc_lo, 0, v2
	s_and_b32 s31, vcc_lo, exec_lo
	s_or_b32 s31, s0, s31
.LBB14_659:
	s_mov_b32 s0, 0
.LBB14_660:
	s_delay_alu instid0(SALU_CYCLE_1)
	s_and_not1_b32 vcc_lo, exec_lo, s0
	s_cbranch_vccnz .LBB14_680
; %bb.661:
	s_cmp_lt_i32 s29, 2
	s_cbranch_scc1 .LBB14_665
; %bb.662:
	s_cmp_lt_i32 s29, 3
	s_cbranch_scc1 .LBB14_666
; %bb.663:
	s_cmp_gt_i32 s29, 3
	s_cbranch_scc0 .LBB14_667
; %bb.664:
	global_load_b64 v[2:3], v[0:1], off
	s_mov_b32 s0, 0
	s_wait_loadcnt 0x0
	v_cmp_ne_u64_e64 s31, 0, v[2:3]
	s_branch .LBB14_668
.LBB14_665:
	s_mov_b32 s0, -1
                                        ; implicit-def: $sgpr31
	s_branch .LBB14_674
.LBB14_666:
	s_mov_b32 s0, -1
                                        ; implicit-def: $sgpr31
	s_branch .LBB14_671
.LBB14_667:
	s_mov_b32 s0, -1
                                        ; implicit-def: $sgpr31
.LBB14_668:
	s_delay_alu instid0(SALU_CYCLE_1)
	s_and_not1_b32 vcc_lo, exec_lo, s0
	s_cbranch_vccnz .LBB14_670
; %bb.669:
	global_load_b32 v2, v[0:1], off
	s_and_not1_b32 s0, s31, exec_lo
	s_wait_loadcnt 0x0
	v_cmp_ne_u32_e32 vcc_lo, 0, v2
	s_and_b32 s31, vcc_lo, exec_lo
	s_delay_alu instid0(SALU_CYCLE_1)
	s_or_b32 s31, s0, s31
.LBB14_670:
	s_mov_b32 s0, 0
.LBB14_671:
	s_delay_alu instid0(SALU_CYCLE_1)
	s_and_not1_b32 vcc_lo, exec_lo, s0
	s_cbranch_vccnz .LBB14_673
; %bb.672:
	global_load_u16 v2, v[0:1], off
	s_and_not1_b32 s0, s31, exec_lo
	s_wait_loadcnt 0x0
	v_cmp_ne_u16_e32 vcc_lo, 0, v2
	s_and_b32 s31, vcc_lo, exec_lo
	s_delay_alu instid0(SALU_CYCLE_1)
	s_or_b32 s31, s0, s31
.LBB14_673:
	s_mov_b32 s0, 0
.LBB14_674:
	s_delay_alu instid0(SALU_CYCLE_1)
	s_and_not1_b32 vcc_lo, exec_lo, s0
	s_cbranch_vccnz .LBB14_680
; %bb.675:
	s_cmp_gt_i32 s29, 0
	s_mov_b32 s0, 0
	s_cbranch_scc0 .LBB14_677
; %bb.676:
	global_load_u8 v2, v[0:1], off
	s_wait_loadcnt 0x0
	v_cmp_ne_u16_e64 s31, 0, v2
	s_branch .LBB14_678
.LBB14_677:
	s_mov_b32 s0, -1
                                        ; implicit-def: $sgpr31
.LBB14_678:
	s_delay_alu instid0(SALU_CYCLE_1)
	s_and_not1_b32 vcc_lo, exec_lo, s0
	s_cbranch_vccnz .LBB14_680
; %bb.679:
	global_load_u8 v0, v[0:1], off
	s_and_not1_b32 s0, s31, exec_lo
	s_wait_loadcnt 0x0
	v_cmp_ne_u16_e32 vcc_lo, 0, v0
	s_and_b32 s29, vcc_lo, exec_lo
	s_delay_alu instid0(SALU_CYCLE_1)
	s_or_b32 s31, s0, s29
.LBB14_680:
	s_mov_b32 s35, -1
.LBB14_681:
	s_mov_b32 s29, 0
	s_mov_b32 s0, s23
	s_and_not1_b32 vcc_lo, exec_lo, s35
	s_mov_b32 s35, s25
	s_mov_b32 s37, 0
	s_cbranch_vccnz .LBB14_917
; %bb.682:
	s_wait_xcnt 0x0
	v_mul_lo_u32 v0, v8, s15
	s_and_b32 s0, s17, 0xff
	s_delay_alu instid0(SALU_CYCLE_1) | instskip(NEXT) | instid1(VALU_DEP_1)
	s_cmp_lt_i32 s0, 11
	v_ashrrev_i32_e32 v1, 31, v0
	s_delay_alu instid0(VALU_DEP_1)
	v_add_nc_u64_e32 v[0:1], s[10:11], v[0:1]
	s_cbranch_scc1 .LBB14_689
; %bb.683:
	s_and_b32 s33, 0xffff, s0
	s_delay_alu instid0(SALU_CYCLE_1)
	s_cmp_gt_i32 s33, 25
	s_cbranch_scc0 .LBB14_690
; %bb.684:
	s_cmp_gt_i32 s33, 28
	s_cbranch_scc0 .LBB14_691
; %bb.685:
	;; [unrolled: 3-line block ×4, first 2 shown]
	s_cmp_eq_u32 s33, 46
	s_mov_b32 s38, 0
	s_cbranch_scc0 .LBB14_696
; %bb.688:
	global_load_b32 v2, v[0:1], off
	s_mov_b32 s35, 0
	s_mov_b32 s37, -1
	s_wait_loadcnt 0x0
	v_and_b32_e32 v2, 0x7fff7fff, v2
	s_delay_alu instid0(VALU_DEP_1)
	v_cmp_ne_u32_e64 s36, 0, v2
	s_branch .LBB14_698
.LBB14_689:
	s_mov_b32 s33, -1
	s_mov_b32 s35, s25
                                        ; implicit-def: $sgpr36
	s_branch .LBB14_745
.LBB14_690:
	s_mov_b32 s38, -1
	s_mov_b32 s35, s25
                                        ; implicit-def: $sgpr36
	s_branch .LBB14_719
.LBB14_691:
	s_mov_b32 s38, -1
	s_mov_b32 s35, s25
                                        ; implicit-def: $sgpr36
	s_branch .LBB14_706
.LBB14_692:
	s_mov_b32 s38, -1
	s_mov_b32 s35, s25
                                        ; implicit-def: $sgpr36
	s_branch .LBB14_701
.LBB14_693:
	s_mov_b32 s38, -1
	s_mov_b32 s35, s25
	s_branch .LBB14_697
.LBB14_694:
	v_bfe_u32 v2, v3, 20, 1
	s_mov_b32 s33, exec_lo
	s_delay_alu instid0(VALU_DEP_1) | instskip(NEXT) | instid1(VALU_DEP_1)
	v_add3_u32 v2, v3, v2, 0x487ffff
                                        ; implicit-def: $vgpr3
	v_lshrrev_b32_e32 v2, 20, v2
	s_and_not1_saveexec_b32 s34, s34
	s_cbranch_execz .LBB14_365
.LBB14_695:
	v_add_f32_e32 v2, 0x46000000, v3
	s_and_not1_b32 s33, s33, exec_lo
	s_delay_alu instid0(VALU_DEP_1) | instskip(NEXT) | instid1(VALU_DEP_1)
	v_and_b32_e32 v2, 0xff, v2
	v_cmp_ne_u32_e32 vcc_lo, 0, v2
	s_and_b32 s35, vcc_lo, exec_lo
	s_delay_alu instid0(SALU_CYCLE_1)
	s_or_b32 s33, s33, s35
	s_or_b32 exec_lo, exec_lo, s34
	v_mov_b32_e32 v4, 0
	s_and_saveexec_b32 s34, s33
	s_cbranch_execnz .LBB14_366
	s_branch .LBB14_367
.LBB14_696:
	s_mov_b32 s35, -1
.LBB14_697:
                                        ; implicit-def: $sgpr36
.LBB14_698:
	s_and_b32 vcc_lo, exec_lo, s38
	s_cbranch_vccz .LBB14_700
; %bb.699:
	s_cmp_eq_u32 s33, 44
	s_cselect_b32 s37, -1, 0
	s_or_b32 s36, s36, exec_lo
	s_or_b32 s35, s35, exec_lo
.LBB14_700:
	s_mov_b32 s38, 0
.LBB14_701:
	s_delay_alu instid0(SALU_CYCLE_1)
	s_and_b32 vcc_lo, exec_lo, s38
	s_cbranch_vccz .LBB14_705
; %bb.702:
	s_cmp_eq_u32 s33, 29
	s_cbranch_scc0 .LBB14_704
; %bb.703:
	global_load_b64 v[2:3], v[0:1], off
	s_mov_b32 s37, -1
	s_mov_b32 s35, 0
	s_mov_b32 s38, 0
	s_wait_loadcnt 0x0
	v_cmp_ne_u64_e64 s36, 0, v[2:3]
	s_branch .LBB14_706
.LBB14_704:
	s_mov_b32 s35, -1
                                        ; implicit-def: $sgpr36
.LBB14_705:
	s_mov_b32 s38, 0
.LBB14_706:
	s_delay_alu instid0(SALU_CYCLE_1)
	s_and_b32 vcc_lo, exec_lo, s38
	s_cbranch_vccz .LBB14_718
; %bb.707:
	s_cmp_lt_i32 s33, 27
	s_cbranch_scc1 .LBB14_710
; %bb.708:
	s_cmp_gt_i32 s33, 27
	s_cbranch_scc0 .LBB14_711
; %bb.709:
	global_load_b32 v2, v[0:1], off
	s_mov_b32 s37, 0
	s_wait_loadcnt 0x0
	v_cmp_ne_u32_e64 s36, 0, v2
	s_branch .LBB14_712
.LBB14_710:
	s_mov_b32 s37, -1
                                        ; implicit-def: $sgpr36
	s_branch .LBB14_715
.LBB14_711:
	s_mov_b32 s37, -1
                                        ; implicit-def: $sgpr36
.LBB14_712:
	s_delay_alu instid0(SALU_CYCLE_1)
	s_and_not1_b32 vcc_lo, exec_lo, s37
	s_cbranch_vccnz .LBB14_714
; %bb.713:
	global_load_u16 v2, v[0:1], off
	s_and_not1_b32 s36, s36, exec_lo
	s_wait_loadcnt 0x0
	v_cmp_ne_u16_e32 vcc_lo, 0, v2
	s_and_b32 s37, vcc_lo, exec_lo
	s_delay_alu instid0(SALU_CYCLE_1)
	s_or_b32 s36, s36, s37
.LBB14_714:
	s_mov_b32 s37, 0
.LBB14_715:
	s_delay_alu instid0(SALU_CYCLE_1)
	s_and_not1_b32 vcc_lo, exec_lo, s37
	s_cbranch_vccnz .LBB14_717
; %bb.716:
	global_load_u8 v2, v[0:1], off
	s_and_not1_b32 s36, s36, exec_lo
	s_wait_loadcnt 0x0
	v_cmp_ne_u16_e32 vcc_lo, 0, v2
	s_and_b32 s37, vcc_lo, exec_lo
	s_delay_alu instid0(SALU_CYCLE_1)
	s_or_b32 s36, s36, s37
.LBB14_717:
	s_mov_b32 s37, -1
.LBB14_718:
	s_mov_b32 s38, 0
.LBB14_719:
	s_delay_alu instid0(SALU_CYCLE_1)
	s_and_b32 vcc_lo, exec_lo, s38
	s_cbranch_vccz .LBB14_744
; %bb.720:
	s_cmp_gt_i32 s33, 22
	s_cbranch_scc0 .LBB14_724
; %bb.721:
	s_cmp_lt_i32 s33, 24
	s_cbranch_scc1 .LBB14_725
; %bb.722:
	s_cmp_gt_i32 s33, 24
	s_cbranch_scc0 .LBB14_726
; %bb.723:
	global_load_u8 v2, v[0:1], off
	s_mov_b32 s37, 0
	s_wait_loadcnt 0x0
	v_cmp_ne_u16_e64 s36, 0, v2
	s_branch .LBB14_727
.LBB14_724:
	s_mov_b32 s38, -1
                                        ; implicit-def: $sgpr36
	s_branch .LBB14_733
.LBB14_725:
	s_mov_b32 s37, -1
                                        ; implicit-def: $sgpr36
	s_branch .LBB14_730
.LBB14_726:
	s_mov_b32 s37, -1
                                        ; implicit-def: $sgpr36
.LBB14_727:
	s_delay_alu instid0(SALU_CYCLE_1)
	s_and_not1_b32 vcc_lo, exec_lo, s37
	s_cbranch_vccnz .LBB14_729
; %bb.728:
	global_load_u8 v2, v[0:1], off
	s_and_not1_b32 s36, s36, exec_lo
	s_wait_loadcnt 0x0
	v_and_b32_e32 v2, 0x7f, v2
	s_delay_alu instid0(VALU_DEP_1) | instskip(SKIP_1) | instid1(SALU_CYCLE_1)
	v_cmp_ne_u16_e32 vcc_lo, 0, v2
	s_and_b32 s37, vcc_lo, exec_lo
	s_or_b32 s36, s36, s37
.LBB14_729:
	s_mov_b32 s37, 0
.LBB14_730:
	s_delay_alu instid0(SALU_CYCLE_1)
	s_and_not1_b32 vcc_lo, exec_lo, s37
	s_cbranch_vccnz .LBB14_732
; %bb.731:
	global_load_u8 v2, v[0:1], off
	s_and_not1_b32 s36, s36, exec_lo
	s_wait_loadcnt 0x0
	v_dual_lshlrev_b32 v3, 25, v2 :: v_dual_lshlrev_b32 v2, 8, v2
	s_delay_alu instid0(VALU_DEP_1) | instskip(NEXT) | instid1(VALU_DEP_2)
	v_cmp_gt_u32_e32 vcc_lo, 0x8000000, v3
	v_and_or_b32 v2, 0x7f00, v2, 0.5
	s_delay_alu instid0(VALU_DEP_1) | instskip(NEXT) | instid1(VALU_DEP_1)
	v_dual_lshrrev_b32 v4, 4, v3 :: v_dual_add_f32 v2, -0.5, v2
	v_or_b32_e32 v4, 0x70000000, v4
	s_delay_alu instid0(VALU_DEP_1) | instskip(NEXT) | instid1(VALU_DEP_1)
	v_mul_f32_e32 v4, 0x7800000, v4
	v_cndmask_b32_e32 v2, v4, v2, vcc_lo
	s_delay_alu instid0(VALU_DEP_1) | instskip(SKIP_1) | instid1(SALU_CYCLE_1)
	v_cmp_neq_f32_e32 vcc_lo, 0, v2
	s_and_b32 s37, vcc_lo, exec_lo
	s_or_b32 s36, s36, s37
.LBB14_732:
	s_mov_b32 s38, 0
	s_mov_b32 s37, -1
.LBB14_733:
	s_and_not1_b32 vcc_lo, exec_lo, s38
	s_cbranch_vccnz .LBB14_744
; %bb.734:
	s_cmp_gt_i32 s33, 14
	s_cbranch_scc0 .LBB14_737
; %bb.735:
	s_cmp_eq_u32 s33, 15
	s_cbranch_scc0 .LBB14_738
; %bb.736:
	global_load_u16 v2, v[0:1], off
	s_mov_b32 s35, 0
	s_mov_b32 s37, -1
	s_wait_loadcnt 0x0
	v_and_b32_e32 v2, 0x7fff, v2
	s_delay_alu instid0(VALU_DEP_1)
	v_cmp_ne_u16_e64 s36, 0, v2
	s_branch .LBB14_739
.LBB14_737:
	s_mov_b32 s38, -1
                                        ; implicit-def: $sgpr36
	s_branch .LBB14_740
.LBB14_738:
	s_mov_b32 s35, -1
                                        ; implicit-def: $sgpr36
.LBB14_739:
	s_mov_b32 s38, 0
.LBB14_740:
	s_delay_alu instid0(SALU_CYCLE_1)
	s_and_b32 vcc_lo, exec_lo, s38
	s_cbranch_vccz .LBB14_744
; %bb.741:
	s_cmp_eq_u32 s33, 11
	s_cbranch_scc0 .LBB14_743
; %bb.742:
	global_load_u8 v2, v[0:1], off
	s_mov_b32 s35, 0
	s_mov_b32 s37, -1
	s_wait_loadcnt 0x0
	v_cmp_ne_u16_e64 s36, 0, v2
	s_branch .LBB14_744
.LBB14_743:
	s_mov_b32 s35, -1
                                        ; implicit-def: $sgpr36
.LBB14_744:
	s_mov_b32 s33, 0
.LBB14_745:
	s_delay_alu instid0(SALU_CYCLE_1)
	s_and_b32 vcc_lo, exec_lo, s33
	s_cbranch_vccz .LBB14_794
; %bb.746:
	s_and_b32 s33, 0xffff, s0
	s_delay_alu instid0(SALU_CYCLE_1)
	s_cmp_lt_i32 s33, 5
	s_cbranch_scc1 .LBB14_751
; %bb.747:
	s_cmp_lt_i32 s33, 8
	s_cbranch_scc1 .LBB14_752
; %bb.748:
	;; [unrolled: 3-line block ×3, first 2 shown]
	s_cmp_gt_i32 s33, 9
	s_cbranch_scc0 .LBB14_754
; %bb.750:
	global_load_b128 v[2:5], v[0:1], off
	s_wait_loadcnt 0x0
	v_cmp_neq_f64_e32 vcc_lo, 0, v[2:3]
	v_cmp_neq_f64_e64 s0, 0, v[4:5]
	s_or_b32 s36, vcc_lo, s0
	s_mov_b32 s0, 0
	s_branch .LBB14_755
.LBB14_751:
	s_mov_b32 s0, -1
                                        ; implicit-def: $sgpr36
	s_branch .LBB14_773
.LBB14_752:
	s_mov_b32 s0, -1
                                        ; implicit-def: $sgpr36
	s_branch .LBB14_761
.LBB14_753:
	s_mov_b32 s0, -1
                                        ; implicit-def: $sgpr36
	s_branch .LBB14_758
.LBB14_754:
	s_mov_b32 s0, -1
                                        ; implicit-def: $sgpr36
.LBB14_755:
	s_delay_alu instid0(SALU_CYCLE_1)
	s_and_not1_b32 vcc_lo, exec_lo, s0
	s_cbranch_vccnz .LBB14_757
; %bb.756:
	global_load_b64 v[2:3], v[0:1], off
	s_and_not1_b32 s0, s36, exec_lo
	s_wait_loadcnt 0x0
	v_bitop3_b32 v2, v2, 0x7fffffff, v3 bitop3:0xc8
	s_delay_alu instid0(VALU_DEP_1) | instskip(SKIP_1) | instid1(SALU_CYCLE_1)
	v_cmp_ne_u32_e32 vcc_lo, 0, v2
	s_and_b32 s36, vcc_lo, exec_lo
	s_or_b32 s36, s0, s36
.LBB14_757:
	s_mov_b32 s0, 0
.LBB14_758:
	s_delay_alu instid0(SALU_CYCLE_1)
	s_and_not1_b32 vcc_lo, exec_lo, s0
	s_cbranch_vccnz .LBB14_760
; %bb.759:
	global_load_b32 v2, v[0:1], off
	s_and_not1_b32 s0, s36, exec_lo
	s_wait_loadcnt 0x0
	v_and_b32_e32 v2, 0x7fff7fff, v2
	s_delay_alu instid0(VALU_DEP_1) | instskip(SKIP_1) | instid1(SALU_CYCLE_1)
	v_cmp_ne_u32_e32 vcc_lo, 0, v2
	s_and_b32 s36, vcc_lo, exec_lo
	s_or_b32 s36, s0, s36
.LBB14_760:
	s_mov_b32 s0, 0
.LBB14_761:
	s_delay_alu instid0(SALU_CYCLE_1)
	s_and_not1_b32 vcc_lo, exec_lo, s0
	s_cbranch_vccnz .LBB14_772
; %bb.762:
	s_cmp_lt_i32 s33, 6
	s_cbranch_scc1 .LBB14_765
; %bb.763:
	s_cmp_gt_i32 s33, 6
	s_cbranch_scc0 .LBB14_766
; %bb.764:
	global_load_b64 v[2:3], v[0:1], off
	s_mov_b32 s0, 0
	s_wait_loadcnt 0x0
	v_cmp_neq_f64_e64 s36, 0, v[2:3]
	s_branch .LBB14_767
.LBB14_765:
	s_mov_b32 s0, -1
                                        ; implicit-def: $sgpr36
	s_branch .LBB14_770
.LBB14_766:
	s_mov_b32 s0, -1
                                        ; implicit-def: $sgpr36
.LBB14_767:
	s_delay_alu instid0(SALU_CYCLE_1)
	s_and_not1_b32 vcc_lo, exec_lo, s0
	s_cbranch_vccnz .LBB14_769
; %bb.768:
	global_load_b32 v2, v[0:1], off
	s_and_not1_b32 s0, s36, exec_lo
	s_wait_loadcnt 0x0
	v_cmp_neq_f32_e32 vcc_lo, 0, v2
	s_and_b32 s36, vcc_lo, exec_lo
	s_delay_alu instid0(SALU_CYCLE_1)
	s_or_b32 s36, s0, s36
.LBB14_769:
	s_mov_b32 s0, 0
.LBB14_770:
	s_delay_alu instid0(SALU_CYCLE_1)
	s_and_not1_b32 vcc_lo, exec_lo, s0
	s_cbranch_vccnz .LBB14_772
; %bb.771:
	global_load_u16 v2, v[0:1], off
	s_and_not1_b32 s0, s36, exec_lo
	s_wait_loadcnt 0x0
	v_and_b32_e32 v2, 0x7fff, v2
	s_delay_alu instid0(VALU_DEP_1) | instskip(SKIP_1) | instid1(SALU_CYCLE_1)
	v_cmp_ne_u16_e32 vcc_lo, 0, v2
	s_and_b32 s36, vcc_lo, exec_lo
	s_or_b32 s36, s0, s36
.LBB14_772:
	s_mov_b32 s0, 0
.LBB14_773:
	s_delay_alu instid0(SALU_CYCLE_1)
	s_and_not1_b32 vcc_lo, exec_lo, s0
	s_cbranch_vccnz .LBB14_793
; %bb.774:
	s_cmp_lt_i32 s33, 2
	s_cbranch_scc1 .LBB14_778
; %bb.775:
	s_cmp_lt_i32 s33, 3
	s_cbranch_scc1 .LBB14_779
; %bb.776:
	s_cmp_gt_i32 s33, 3
	s_cbranch_scc0 .LBB14_780
; %bb.777:
	global_load_b64 v[2:3], v[0:1], off
	s_mov_b32 s0, 0
	s_wait_loadcnt 0x0
	v_cmp_ne_u64_e64 s36, 0, v[2:3]
	s_branch .LBB14_781
.LBB14_778:
	s_mov_b32 s0, -1
                                        ; implicit-def: $sgpr36
	s_branch .LBB14_787
.LBB14_779:
	s_mov_b32 s0, -1
                                        ; implicit-def: $sgpr36
	s_branch .LBB14_784
.LBB14_780:
	s_mov_b32 s0, -1
                                        ; implicit-def: $sgpr36
.LBB14_781:
	s_delay_alu instid0(SALU_CYCLE_1)
	s_and_not1_b32 vcc_lo, exec_lo, s0
	s_cbranch_vccnz .LBB14_783
; %bb.782:
	global_load_b32 v2, v[0:1], off
	s_and_not1_b32 s0, s36, exec_lo
	s_wait_loadcnt 0x0
	v_cmp_ne_u32_e32 vcc_lo, 0, v2
	s_and_b32 s36, vcc_lo, exec_lo
	s_delay_alu instid0(SALU_CYCLE_1)
	s_or_b32 s36, s0, s36
.LBB14_783:
	s_mov_b32 s0, 0
.LBB14_784:
	s_delay_alu instid0(SALU_CYCLE_1)
	s_and_not1_b32 vcc_lo, exec_lo, s0
	s_cbranch_vccnz .LBB14_786
; %bb.785:
	global_load_u16 v2, v[0:1], off
	s_and_not1_b32 s0, s36, exec_lo
	s_wait_loadcnt 0x0
	v_cmp_ne_u16_e32 vcc_lo, 0, v2
	s_and_b32 s36, vcc_lo, exec_lo
	s_delay_alu instid0(SALU_CYCLE_1)
	s_or_b32 s36, s0, s36
.LBB14_786:
	s_mov_b32 s0, 0
.LBB14_787:
	s_delay_alu instid0(SALU_CYCLE_1)
	s_and_not1_b32 vcc_lo, exec_lo, s0
	s_cbranch_vccnz .LBB14_793
; %bb.788:
	s_cmp_gt_i32 s33, 0
	s_mov_b32 s0, 0
	s_cbranch_scc0 .LBB14_790
; %bb.789:
	global_load_u8 v2, v[0:1], off
	s_wait_loadcnt 0x0
	v_cmp_ne_u16_e64 s36, 0, v2
	s_branch .LBB14_791
.LBB14_790:
	s_mov_b32 s0, -1
                                        ; implicit-def: $sgpr36
.LBB14_791:
	s_delay_alu instid0(SALU_CYCLE_1)
	s_and_not1_b32 vcc_lo, exec_lo, s0
	s_cbranch_vccnz .LBB14_793
; %bb.792:
	global_load_u8 v0, v[0:1], off
	s_and_not1_b32 s0, s36, exec_lo
	s_wait_loadcnt 0x0
	v_cmp_ne_u16_e32 vcc_lo, 0, v0
	s_and_b32 s33, vcc_lo, exec_lo
	s_delay_alu instid0(SALU_CYCLE_1)
	s_or_b32 s36, s0, s33
.LBB14_793:
	s_mov_b32 s37, -1
.LBB14_794:
	s_mov_b32 s33, 0
	s_and_not1_b32 vcc_lo, exec_lo, s37
	s_mov_b32 s0, s23
	s_mov_b32 s37, 0
	s_cbranch_vccnz .LBB14_917
; %bb.795:
	s_wait_xcnt 0x0
	v_mul_lo_u32 v0, v8, s12
	s_and_b32 s0, s30, s22
	s_delay_alu instid0(VALU_DEP_2) | instskip(SKIP_2) | instid1(SALU_CYCLE_1)
	s_and_b32 s30, s31, s36
	s_and_b32 s31, s1, 0xff
	;; [unrolled: 1-line block ×3, first 2 shown]
	s_or_b32 s30, s0, s30
	s_cmp_lt_i32 s31, 11
	s_delay_alu instid0(VALU_DEP_1) | instskip(NEXT) | instid1(VALU_DEP_1)
	v_ashrrev_i32_e32 v1, 31, v0
	v_add_nc_u64_e32 v[0:1], s[4:5], v[0:1]
	s_cbranch_scc1 .LBB14_802
; %bb.796:
	s_and_b32 s35, 0xffff, s31
	s_delay_alu instid0(SALU_CYCLE_1)
	s_cmp_gt_i32 s35, 25
	s_cbranch_scc0 .LBB14_803
; %bb.797:
	s_cmp_gt_i32 s35, 28
	s_cbranch_scc0 .LBB14_804
; %bb.798:
	;; [unrolled: 3-line block ×4, first 2 shown]
	s_mov_b32 s0, -1
	s_cmp_eq_u32 s35, 46
	s_mov_b32 s36, 0
	s_cbranch_scc0 .LBB14_807
; %bb.801:
	v_cndmask_b32_e64 v2, 0, 1.0, s30
	s_mov_b32 s36, -1
	s_mov_b32 s0, 0
	s_delay_alu instid0(VALU_DEP_1) | instskip(NEXT) | instid1(VALU_DEP_1)
	v_bfe_u32 v3, v2, 16, 1
	v_add3_u32 v2, v2, v3, 0x7fff
	s_delay_alu instid0(VALU_DEP_1)
	v_lshrrev_b32_e32 v2, 16, v2
	global_store_b32 v[0:1], v2, off
	s_branch .LBB14_807
.LBB14_802:
	s_mov_b32 s35, -1
	s_mov_b32 s36, 0
	s_mov_b32 s0, s23
	s_branch .LBB14_876
.LBB14_803:
	s_mov_b32 s37, -1
	s_mov_b32 s36, 0
	s_mov_b32 s0, s23
	s_branch .LBB14_834
.LBB14_804:
	s_mov_b32 s37, -1
	s_mov_b32 s36, 0
	s_mov_b32 s0, s23
	s_branch .LBB14_817
.LBB14_805:
	s_mov_b32 s37, -1
	s_mov_b32 s36, 0
	s_mov_b32 s0, s23
	s_branch .LBB14_813
.LBB14_806:
	s_mov_b32 s37, -1
	s_mov_b32 s36, 0
	s_mov_b32 s0, s23
.LBB14_807:
	s_and_b32 vcc_lo, exec_lo, s37
	s_cbranch_vccz .LBB14_812
; %bb.808:
	s_cmp_eq_u32 s35, 44
	s_mov_b32 s0, -1
	s_cbranch_scc0 .LBB14_812
; %bb.809:
	v_cndmask_b32_e64 v4, 0, 1.0, s30
	s_mov_b32 s36, exec_lo
	s_wait_xcnt 0x0
	s_delay_alu instid0(VALU_DEP_1) | instskip(NEXT) | instid1(VALU_DEP_1)
	v_dual_mov_b32 v3, 0xff :: v_dual_lshrrev_b32 v2, 23, v4
	v_cmpx_ne_u32_e32 0xff, v2
; %bb.810:
	v_and_b32_e32 v3, 0x400000, v4
	v_and_or_b32 v4, 0x3fffff, v4, v2
	s_delay_alu instid0(VALU_DEP_2) | instskip(NEXT) | instid1(VALU_DEP_2)
	v_cmp_ne_u32_e32 vcc_lo, 0, v3
	v_cmp_ne_u32_e64 s0, 0, v4
	s_and_b32 s0, vcc_lo, s0
	s_delay_alu instid0(SALU_CYCLE_1) | instskip(NEXT) | instid1(VALU_DEP_1)
	v_cndmask_b32_e64 v3, 0, 1, s0
	v_add_nc_u32_e32 v3, v2, v3
; %bb.811:
	s_or_b32 exec_lo, exec_lo, s36
	s_mov_b32 s36, -1
	s_mov_b32 s0, 0
	global_store_b8 v[0:1], v3, off
.LBB14_812:
	s_mov_b32 s37, 0
.LBB14_813:
	s_delay_alu instid0(SALU_CYCLE_1)
	s_and_b32 vcc_lo, exec_lo, s37
	s_cbranch_vccz .LBB14_816
; %bb.814:
	s_cmp_eq_u32 s35, 29
	s_mov_b32 s0, -1
	s_cbranch_scc0 .LBB14_816
; %bb.815:
	s_mov_b32 s0, 0
	s_wait_xcnt 0x0
	v_cndmask_b32_e64 v2, 0, 1, s30
	v_mov_b32_e32 v3, s0
	s_mov_b32 s36, -1
	s_mov_b32 s37, 0
	global_store_b64 v[0:1], v[2:3], off
	s_branch .LBB14_817
.LBB14_816:
	s_mov_b32 s37, 0
.LBB14_817:
	s_delay_alu instid0(SALU_CYCLE_1)
	s_and_b32 vcc_lo, exec_lo, s37
	s_cbranch_vccz .LBB14_833
; %bb.818:
	s_cmp_lt_i32 s35, 27
	s_mov_b32 s36, -1
	s_cbranch_scc1 .LBB14_824
; %bb.819:
	s_cmp_gt_i32 s35, 27
	s_cbranch_scc0 .LBB14_821
; %bb.820:
	s_wait_xcnt 0x0
	v_cndmask_b32_e64 v2, 0, 1, s30
	s_mov_b32 s36, 0
	global_store_b32 v[0:1], v2, off
.LBB14_821:
	s_and_not1_b32 vcc_lo, exec_lo, s36
	s_cbranch_vccnz .LBB14_823
; %bb.822:
	s_wait_xcnt 0x0
	v_cndmask_b32_e64 v2, 0, 1, s30
	global_store_b16 v[0:1], v2, off
.LBB14_823:
	s_mov_b32 s36, 0
.LBB14_824:
	s_delay_alu instid0(SALU_CYCLE_1)
	s_and_not1_b32 vcc_lo, exec_lo, s36
	s_cbranch_vccnz .LBB14_832
; %bb.825:
	s_wait_xcnt 0x0
	v_cndmask_b32_e64 v3, 0, 1.0, s30
	v_mov_b32_e32 v4, 0x80
	s_mov_b32 s36, exec_lo
	s_delay_alu instid0(VALU_DEP_2)
	v_cmpx_gt_u32_e32 0x43800000, v3
	s_cbranch_execz .LBB14_831
; %bb.826:
	s_mov_b32 s37, 0
	s_mov_b32 s38, exec_lo
                                        ; implicit-def: $vgpr2
	v_cmpx_lt_u32_e32 0x3bffffff, v3
	s_xor_b32 s38, exec_lo, s38
	s_cbranch_execnz .LBB14_1157
; %bb.827:
	s_and_not1_saveexec_b32 s38, s38
	s_cbranch_execnz .LBB14_1158
.LBB14_828:
	s_or_b32 exec_lo, exec_lo, s38
	v_mov_b32_e32 v4, 0
	s_and_saveexec_b32 s38, s37
.LBB14_829:
	v_mov_b32_e32 v4, v2
.LBB14_830:
	s_or_b32 exec_lo, exec_lo, s38
.LBB14_831:
	s_delay_alu instid0(SALU_CYCLE_1)
	s_or_b32 exec_lo, exec_lo, s36
	global_store_b8 v[0:1], v4, off
.LBB14_832:
	s_mov_b32 s36, -1
.LBB14_833:
	s_mov_b32 s37, 0
.LBB14_834:
	s_delay_alu instid0(SALU_CYCLE_1)
	s_and_b32 vcc_lo, exec_lo, s37
	s_cbranch_vccz .LBB14_875
; %bb.835:
	s_cmp_gt_i32 s35, 22
	s_mov_b32 s37, -1
	s_cbranch_scc0 .LBB14_867
; %bb.836:
	s_cmp_lt_i32 s35, 24
	s_mov_b32 s36, -1
	s_cbranch_scc1 .LBB14_856
; %bb.837:
	s_cmp_gt_i32 s35, 24
	s_cbranch_scc0 .LBB14_845
; %bb.838:
	s_wait_xcnt 0x0
	v_cndmask_b32_e64 v3, 0, 1.0, s30
	v_mov_b32_e32 v4, 0x80
	s_mov_b32 s36, exec_lo
	s_delay_alu instid0(VALU_DEP_2)
	v_cmpx_gt_u32_e32 0x47800000, v3
	s_cbranch_execz .LBB14_844
; %bb.839:
	s_mov_b32 s37, 0
	s_mov_b32 s38, exec_lo
                                        ; implicit-def: $vgpr2
	v_cmpx_lt_u32_e32 0x37ffffff, v3
	s_xor_b32 s38, exec_lo, s38
	s_cbranch_execnz .LBB14_2518
; %bb.840:
	s_and_not1_saveexec_b32 s38, s38
	s_cbranch_execnz .LBB14_2519
.LBB14_841:
	s_or_b32 exec_lo, exec_lo, s38
	v_mov_b32_e32 v4, 0
	s_and_saveexec_b32 s38, s37
.LBB14_842:
	v_mov_b32_e32 v4, v2
.LBB14_843:
	s_or_b32 exec_lo, exec_lo, s38
.LBB14_844:
	s_delay_alu instid0(SALU_CYCLE_1)
	s_or_b32 exec_lo, exec_lo, s36
	s_mov_b32 s36, 0
	global_store_b8 v[0:1], v4, off
.LBB14_845:
	s_and_b32 vcc_lo, exec_lo, s36
	s_cbranch_vccz .LBB14_855
; %bb.846:
	s_wait_xcnt 0x0
	v_cndmask_b32_e64 v3, 0, 1.0, s30
	s_mov_b32 s36, exec_lo
                                        ; implicit-def: $vgpr2
	s_delay_alu instid0(VALU_DEP_1)
	v_cmpx_gt_u32_e32 0x43f00000, v3
	s_xor_b32 s36, exec_lo, s36
	s_cbranch_execz .LBB14_852
; %bb.847:
	s_mov_b32 s37, exec_lo
                                        ; implicit-def: $vgpr2
	v_cmpx_lt_u32_e32 0x3c7fffff, v3
	s_xor_b32 s37, exec_lo, s37
; %bb.848:
	v_bfe_u32 v2, v3, 20, 1
	s_delay_alu instid0(VALU_DEP_1) | instskip(NEXT) | instid1(VALU_DEP_1)
	v_add3_u32 v2, v3, v2, 0x407ffff
	v_and_b32_e32 v3, 0xff00000, v2
	v_lshrrev_b32_e32 v2, 20, v2
	s_delay_alu instid0(VALU_DEP_2) | instskip(NEXT) | instid1(VALU_DEP_2)
	v_cmp_ne_u32_e32 vcc_lo, 0x7f00000, v3
                                        ; implicit-def: $vgpr3
	v_cndmask_b32_e32 v2, 0x7e, v2, vcc_lo
; %bb.849:
	s_and_not1_saveexec_b32 s37, s37
; %bb.850:
	v_add_f32_e32 v2, 0x46800000, v3
; %bb.851:
	s_or_b32 exec_lo, exec_lo, s37
                                        ; implicit-def: $vgpr3
.LBB14_852:
	s_and_not1_saveexec_b32 s36, s36
; %bb.853:
	v_mov_b32_e32 v2, 0x7f
	v_cmp_lt_u32_e32 vcc_lo, 0x7f800000, v3
	s_delay_alu instid0(VALU_DEP_2)
	v_cndmask_b32_e32 v2, 0x7e, v2, vcc_lo
; %bb.854:
	s_or_b32 exec_lo, exec_lo, s36
	global_store_b8 v[0:1], v2, off
.LBB14_855:
	s_mov_b32 s36, 0
.LBB14_856:
	s_delay_alu instid0(SALU_CYCLE_1)
	s_and_not1_b32 vcc_lo, exec_lo, s36
	s_cbranch_vccnz .LBB14_866
; %bb.857:
	s_wait_xcnt 0x0
	v_cndmask_b32_e64 v3, 0, 1.0, s30
	s_mov_b32 s36, exec_lo
                                        ; implicit-def: $vgpr2
	s_delay_alu instid0(VALU_DEP_1)
	v_cmpx_gt_u32_e32 0x47800000, v3
	s_xor_b32 s36, exec_lo, s36
	s_cbranch_execz .LBB14_863
; %bb.858:
	s_mov_b32 s37, exec_lo
                                        ; implicit-def: $vgpr2
	v_cmpx_lt_u32_e32 0x387fffff, v3
	s_xor_b32 s37, exec_lo, s37
; %bb.859:
	v_bfe_u32 v2, v3, 21, 1
	s_delay_alu instid0(VALU_DEP_1) | instskip(NEXT) | instid1(VALU_DEP_1)
	v_add3_u32 v2, v3, v2, 0x80fffff
                                        ; implicit-def: $vgpr3
	v_lshrrev_b32_e32 v2, 21, v2
; %bb.860:
	s_and_not1_saveexec_b32 s37, s37
; %bb.861:
	v_add_f32_e32 v2, 0x43000000, v3
; %bb.862:
	s_or_b32 exec_lo, exec_lo, s37
                                        ; implicit-def: $vgpr3
.LBB14_863:
	s_and_not1_saveexec_b32 s36, s36
; %bb.864:
	v_mov_b32_e32 v2, 0x7f
	v_cmp_lt_u32_e32 vcc_lo, 0x7f800000, v3
	s_delay_alu instid0(VALU_DEP_2)
	v_cndmask_b32_e32 v2, 0x7c, v2, vcc_lo
; %bb.865:
	s_or_b32 exec_lo, exec_lo, s36
	global_store_b8 v[0:1], v2, off
.LBB14_866:
	s_mov_b32 s37, 0
	s_mov_b32 s36, -1
.LBB14_867:
	s_and_not1_b32 vcc_lo, exec_lo, s37
	s_cbranch_vccnz .LBB14_875
; %bb.868:
	s_cmp_gt_i32 s35, 14
	s_mov_b32 s37, -1
	s_cbranch_scc0 .LBB14_872
; %bb.869:
	s_cmp_eq_u32 s35, 15
	s_mov_b32 s0, -1
	s_cbranch_scc0 .LBB14_871
; %bb.870:
	s_wait_xcnt 0x0
	v_cndmask_b32_e64 v2, 0, 1.0, s30
	s_mov_b32 s36, -1
	s_mov_b32 s0, 0
	s_delay_alu instid0(VALU_DEP_1) | instskip(NEXT) | instid1(VALU_DEP_1)
	v_bfe_u32 v3, v2, 16, 1
	v_add3_u32 v2, v2, v3, 0x7fff
	global_store_d16_hi_b16 v[0:1], v2, off
.LBB14_871:
	s_mov_b32 s37, 0
.LBB14_872:
	s_delay_alu instid0(SALU_CYCLE_1)
	s_and_b32 vcc_lo, exec_lo, s37
	s_cbranch_vccz .LBB14_875
; %bb.873:
	s_cmp_eq_u32 s35, 11
	s_mov_b32 s0, -1
	s_cbranch_scc0 .LBB14_875
; %bb.874:
	s_wait_xcnt 0x0
	v_cndmask_b32_e64 v2, 0, 1, s30
	s_mov_b32 s36, -1
	s_mov_b32 s0, 0
	global_store_b8 v[0:1], v2, off
.LBB14_875:
	s_mov_b32 s35, 0
.LBB14_876:
	s_delay_alu instid0(SALU_CYCLE_1)
	s_and_b32 vcc_lo, exec_lo, s35
	s_cbranch_vccz .LBB14_915
; %bb.877:
	s_and_b32 s31, 0xffff, s31
	s_mov_b32 s35, -1
	s_cmp_lt_i32 s31, 5
	s_cbranch_scc1 .LBB14_898
; %bb.878:
	s_cmp_lt_i32 s31, 8
	s_cbranch_scc1 .LBB14_888
; %bb.879:
	;; [unrolled: 3-line block ×3, first 2 shown]
	s_cmp_gt_i32 s31, 9
	s_cbranch_scc0 .LBB14_882
; %bb.881:
	s_wait_xcnt 0x0
	v_cndmask_b32_e64 v2, 0, 1, s30
	v_mov_b32_e32 v4, 0
	s_mov_b32 s35, 0
	s_delay_alu instid0(VALU_DEP_2) | instskip(NEXT) | instid1(VALU_DEP_2)
	v_cvt_f64_u32_e32 v[2:3], v2
	v_mov_b32_e32 v5, v4
	global_store_b128 v[0:1], v[2:5], off
.LBB14_882:
	s_and_not1_b32 vcc_lo, exec_lo, s35
	s_cbranch_vccnz .LBB14_884
; %bb.883:
	s_wait_xcnt 0x0
	v_cndmask_b32_e64 v2, 0, 1.0, s30
	v_mov_b32_e32 v3, 0
	global_store_b64 v[0:1], v[2:3], off
.LBB14_884:
	s_mov_b32 s35, 0
.LBB14_885:
	s_delay_alu instid0(SALU_CYCLE_1)
	s_and_not1_b32 vcc_lo, exec_lo, s35
	s_cbranch_vccnz .LBB14_887
; %bb.886:
	s_wait_xcnt 0x0
	v_cndmask_b32_e64 v2, 0, 1.0, s30
	s_delay_alu instid0(VALU_DEP_1) | instskip(NEXT) | instid1(VALU_DEP_1)
	v_cvt_f16_f32_e32 v2, v2
	v_and_b32_e32 v2, 0xffff, v2
	global_store_b32 v[0:1], v2, off
.LBB14_887:
	s_mov_b32 s35, 0
.LBB14_888:
	s_delay_alu instid0(SALU_CYCLE_1)
	s_and_not1_b32 vcc_lo, exec_lo, s35
	s_cbranch_vccnz .LBB14_897
; %bb.889:
	s_cmp_lt_i32 s31, 6
	s_mov_b32 s35, -1
	s_cbranch_scc1 .LBB14_895
; %bb.890:
	s_cmp_gt_i32 s31, 6
	s_cbranch_scc0 .LBB14_892
; %bb.891:
	s_wait_xcnt 0x0
	v_cndmask_b32_e64 v2, 0, 1, s30
	s_mov_b32 s35, 0
	s_delay_alu instid0(VALU_DEP_1)
	v_cvt_f64_u32_e32 v[2:3], v2
	global_store_b64 v[0:1], v[2:3], off
.LBB14_892:
	s_and_not1_b32 vcc_lo, exec_lo, s35
	s_cbranch_vccnz .LBB14_894
; %bb.893:
	s_wait_xcnt 0x0
	v_cndmask_b32_e64 v2, 0, 1.0, s30
	global_store_b32 v[0:1], v2, off
.LBB14_894:
	s_mov_b32 s35, 0
.LBB14_895:
	s_delay_alu instid0(SALU_CYCLE_1)
	s_and_not1_b32 vcc_lo, exec_lo, s35
	s_cbranch_vccnz .LBB14_897
; %bb.896:
	s_wait_xcnt 0x0
	v_cndmask_b32_e64 v2, 0, 1.0, s30
	s_delay_alu instid0(VALU_DEP_1)
	v_cvt_f16_f32_e32 v2, v2
	global_store_b16 v[0:1], v2, off
.LBB14_897:
	s_mov_b32 s35, 0
.LBB14_898:
	s_delay_alu instid0(SALU_CYCLE_1)
	s_and_not1_b32 vcc_lo, exec_lo, s35
	s_cbranch_vccnz .LBB14_914
; %bb.899:
	s_cmp_lt_i32 s31, 2
	s_mov_b32 s35, -1
	s_cbranch_scc1 .LBB14_909
; %bb.900:
	s_cmp_lt_i32 s31, 3
	s_cbranch_scc1 .LBB14_906
; %bb.901:
	s_cmp_gt_i32 s31, 3
	s_cbranch_scc0 .LBB14_903
; %bb.902:
	s_mov_b32 s35, 0
	s_wait_xcnt 0x0
	v_cndmask_b32_e64 v2, 0, 1, s30
	v_mov_b32_e32 v3, s35
	global_store_b64 v[0:1], v[2:3], off
.LBB14_903:
	s_and_not1_b32 vcc_lo, exec_lo, s35
	s_cbranch_vccnz .LBB14_905
; %bb.904:
	s_wait_xcnt 0x0
	v_cndmask_b32_e64 v2, 0, 1, s30
	global_store_b32 v[0:1], v2, off
.LBB14_905:
	s_mov_b32 s35, 0
.LBB14_906:
	s_delay_alu instid0(SALU_CYCLE_1)
	s_and_not1_b32 vcc_lo, exec_lo, s35
	s_cbranch_vccnz .LBB14_908
; %bb.907:
	s_wait_xcnt 0x0
	v_cndmask_b32_e64 v2, 0, 1, s30
	global_store_b16 v[0:1], v2, off
.LBB14_908:
	s_mov_b32 s35, 0
.LBB14_909:
	s_delay_alu instid0(SALU_CYCLE_1)
	s_and_not1_b32 vcc_lo, exec_lo, s35
	s_cbranch_vccnz .LBB14_914
; %bb.910:
	s_wait_xcnt 0x0
	v_cndmask_b32_e64 v2, 0, 1, s30
	s_cmp_gt_i32 s31, 0
	s_mov_b32 s30, -1
	s_cbranch_scc0 .LBB14_912
; %bb.911:
	s_mov_b32 s30, 0
	global_store_b8 v[0:1], v2, off
.LBB14_912:
	s_and_not1_b32 vcc_lo, exec_lo, s30
	s_cbranch_vccnz .LBB14_914
; %bb.913:
	global_store_b8 v[0:1], v2, off
.LBB14_914:
	s_mov_b32 s36, -1
.LBB14_915:
	s_mov_b32 s35, 0
	s_and_not1_b32 vcc_lo, exec_lo, s36
	s_mov_b32 s37, 0
	s_cbranch_vccnz .LBB14_917
; %bb.916:
	v_add_nc_u32_e32 v8, 0x80, v8
	s_mov_b32 s37, -1
.LBB14_917:
	s_and_not1_b32 s30, s23, exec_lo
	s_and_b32 s0, s0, exec_lo
	s_and_not1_b32 s31, s25, exec_lo
	s_and_b32 s35, s35, exec_lo
	s_or_b32 s30, s30, s0
	s_or_b32 s31, s31, s35
	s_and_not1_b32 s0, s26, exec_lo
	s_and_b32 s33, s33, exec_lo
	s_and_not1_b32 s35, s27, exec_lo
	s_and_b32 s29, s29, exec_lo
	s_or_b32 s33, s0, s33
	s_or_b32 s29, s35, s29
	s_or_not1_b32 s0, s37, exec_lo
.LBB14_918:
	s_wait_xcnt 0x0
	s_or_b32 exec_lo, exec_lo, s34
	s_mov_b32 s37, 0
	s_mov_b32 s38, 0
	;; [unrolled: 1-line block ×3, first 2 shown]
                                        ; implicit-def: $sgpr35
                                        ; implicit-def: $sgpr36
                                        ; implicit-def: $vgpr0_vgpr1
	s_and_saveexec_b32 s34, s0
	s_cbranch_execz .LBB14_1445
; %bb.919:
	s_mov_b32 s44, -1
	s_mov_b32 s0, s29
	s_mov_b32 s38, s33
	;; [unrolled: 1-line block ×4, first 2 shown]
	s_mov_b32 s35, exec_lo
	v_cmpx_gt_i32_e64 s24, v8
	s_cbranch_execz .LBB14_1381
; %bb.920:
	v_mul_lo_u32 v0, v8, s13
	s_and_b32 s0, s16, 0xff
	s_delay_alu instid0(SALU_CYCLE_1) | instskip(NEXT) | instid1(VALU_DEP_1)
	s_cmp_lt_i32 s0, 11
	v_ashrrev_i32_e32 v1, 31, v0
	s_delay_alu instid0(VALU_DEP_1)
	v_add_nc_u64_e32 v[0:1], s[6:7], v[0:1]
	s_cbranch_scc1 .LBB14_927
; %bb.921:
	s_and_b32 s38, 0xffff, s0
	s_delay_alu instid0(SALU_CYCLE_1)
	s_cmp_gt_i32 s38, 25
	s_cbranch_scc0 .LBB14_928
; %bb.922:
	s_cmp_gt_i32 s38, 28
	s_cbranch_scc0 .LBB14_929
; %bb.923:
	;; [unrolled: 3-line block ×4, first 2 shown]
	s_cmp_eq_u32 s38, 46
	s_mov_b32 s40, 0
	s_cbranch_scc0 .LBB14_932
; %bb.926:
	global_load_b32 v2, v[0:1], off
	s_mov_b32 s36, 0
	s_mov_b32 s39, -1
	s_wait_loadcnt 0x0
	v_and_b32_e32 v2, 0x7fff7fff, v2
	s_delay_alu instid0(VALU_DEP_1)
	v_cmp_ne_u32_e64 s37, 0, v2
	s_branch .LBB14_934
.LBB14_927:
	s_mov_b32 s38, -1
	s_mov_b32 s39, 0
	s_mov_b32 s36, s29
                                        ; implicit-def: $sgpr37
	s_branch .LBB14_981
.LBB14_928:
	s_mov_b32 s40, -1
	s_mov_b32 s39, 0
	s_mov_b32 s36, s29
                                        ; implicit-def: $sgpr37
	s_branch .LBB14_955
.LBB14_929:
	s_mov_b32 s40, -1
	s_mov_b32 s39, 0
	s_mov_b32 s36, s29
                                        ; implicit-def: $sgpr37
	s_branch .LBB14_942
.LBB14_930:
	s_mov_b32 s40, -1
	s_mov_b32 s39, 0
	s_mov_b32 s36, s29
                                        ; implicit-def: $sgpr37
	s_branch .LBB14_937
.LBB14_931:
	s_mov_b32 s40, -1
	s_mov_b32 s39, 0
	s_mov_b32 s36, s29
	s_branch .LBB14_933
.LBB14_932:
	s_mov_b32 s36, -1
	s_mov_b32 s39, 0
.LBB14_933:
                                        ; implicit-def: $sgpr37
.LBB14_934:
	s_and_b32 vcc_lo, exec_lo, s40
	s_cbranch_vccz .LBB14_936
; %bb.935:
	s_cmp_eq_u32 s38, 44
	s_cselect_b32 s39, -1, 0
	s_or_b32 s37, s37, exec_lo
	s_or_b32 s36, s36, exec_lo
.LBB14_936:
	s_mov_b32 s40, 0
.LBB14_937:
	s_delay_alu instid0(SALU_CYCLE_1)
	s_and_b32 vcc_lo, exec_lo, s40
	s_cbranch_vccz .LBB14_941
; %bb.938:
	s_cmp_eq_u32 s38, 29
	s_cbranch_scc0 .LBB14_940
; %bb.939:
	global_load_b64 v[2:3], v[0:1], off
	s_mov_b32 s39, -1
	s_mov_b32 s36, 0
	s_mov_b32 s40, 0
	s_wait_loadcnt 0x0
	v_cmp_ne_u64_e64 s37, 0, v[2:3]
	s_branch .LBB14_942
.LBB14_940:
	s_mov_b32 s36, -1
                                        ; implicit-def: $sgpr37
.LBB14_941:
	s_mov_b32 s40, 0
.LBB14_942:
	s_delay_alu instid0(SALU_CYCLE_1)
	s_and_b32 vcc_lo, exec_lo, s40
	s_cbranch_vccz .LBB14_954
; %bb.943:
	s_cmp_lt_i32 s38, 27
	s_cbranch_scc1 .LBB14_946
; %bb.944:
	s_cmp_gt_i32 s38, 27
	s_cbranch_scc0 .LBB14_947
; %bb.945:
	global_load_b32 v2, v[0:1], off
	s_mov_b32 s39, 0
	s_wait_loadcnt 0x0
	v_cmp_ne_u32_e64 s37, 0, v2
	s_branch .LBB14_948
.LBB14_946:
	s_mov_b32 s39, -1
                                        ; implicit-def: $sgpr37
	s_branch .LBB14_951
.LBB14_947:
	s_mov_b32 s39, -1
                                        ; implicit-def: $sgpr37
.LBB14_948:
	s_delay_alu instid0(SALU_CYCLE_1)
	s_and_not1_b32 vcc_lo, exec_lo, s39
	s_cbranch_vccnz .LBB14_950
; %bb.949:
	global_load_u16 v2, v[0:1], off
	s_and_not1_b32 s37, s37, exec_lo
	s_wait_loadcnt 0x0
	v_cmp_ne_u16_e32 vcc_lo, 0, v2
	s_and_b32 s39, vcc_lo, exec_lo
	s_delay_alu instid0(SALU_CYCLE_1)
	s_or_b32 s37, s37, s39
.LBB14_950:
	s_mov_b32 s39, 0
.LBB14_951:
	s_delay_alu instid0(SALU_CYCLE_1)
	s_and_not1_b32 vcc_lo, exec_lo, s39
	s_cbranch_vccnz .LBB14_953
; %bb.952:
	global_load_u8 v2, v[0:1], off
	s_and_not1_b32 s37, s37, exec_lo
	s_wait_loadcnt 0x0
	v_cmp_ne_u16_e32 vcc_lo, 0, v2
	s_and_b32 s39, vcc_lo, exec_lo
	s_delay_alu instid0(SALU_CYCLE_1)
	s_or_b32 s37, s37, s39
.LBB14_953:
	s_mov_b32 s39, -1
.LBB14_954:
	s_mov_b32 s40, 0
.LBB14_955:
	s_delay_alu instid0(SALU_CYCLE_1)
	s_and_b32 vcc_lo, exec_lo, s40
	s_cbranch_vccz .LBB14_980
; %bb.956:
	s_cmp_gt_i32 s38, 22
	s_cbranch_scc0 .LBB14_960
; %bb.957:
	s_cmp_lt_i32 s38, 24
	s_cbranch_scc1 .LBB14_961
; %bb.958:
	s_cmp_gt_i32 s38, 24
	s_cbranch_scc0 .LBB14_962
; %bb.959:
	global_load_u8 v2, v[0:1], off
	s_mov_b32 s39, 0
	s_wait_loadcnt 0x0
	v_cmp_ne_u16_e64 s37, 0, v2
	s_branch .LBB14_963
.LBB14_960:
	s_mov_b32 s40, -1
                                        ; implicit-def: $sgpr37
	s_branch .LBB14_969
.LBB14_961:
	s_mov_b32 s39, -1
                                        ; implicit-def: $sgpr37
	s_branch .LBB14_966
.LBB14_962:
	s_mov_b32 s39, -1
                                        ; implicit-def: $sgpr37
.LBB14_963:
	s_delay_alu instid0(SALU_CYCLE_1)
	s_and_not1_b32 vcc_lo, exec_lo, s39
	s_cbranch_vccnz .LBB14_965
; %bb.964:
	global_load_u8 v2, v[0:1], off
	s_and_not1_b32 s37, s37, exec_lo
	s_wait_loadcnt 0x0
	v_and_b32_e32 v2, 0x7f, v2
	s_delay_alu instid0(VALU_DEP_1) | instskip(SKIP_1) | instid1(SALU_CYCLE_1)
	v_cmp_ne_u16_e32 vcc_lo, 0, v2
	s_and_b32 s39, vcc_lo, exec_lo
	s_or_b32 s37, s37, s39
.LBB14_965:
	s_mov_b32 s39, 0
.LBB14_966:
	s_delay_alu instid0(SALU_CYCLE_1)
	s_and_not1_b32 vcc_lo, exec_lo, s39
	s_cbranch_vccnz .LBB14_968
; %bb.967:
	global_load_u8 v2, v[0:1], off
	s_and_not1_b32 s37, s37, exec_lo
	s_wait_loadcnt 0x0
	v_dual_lshlrev_b32 v3, 25, v2 :: v_dual_lshlrev_b32 v2, 8, v2
	s_delay_alu instid0(VALU_DEP_1) | instskip(NEXT) | instid1(VALU_DEP_2)
	v_cmp_gt_u32_e32 vcc_lo, 0x8000000, v3
	v_and_or_b32 v2, 0x7f00, v2, 0.5
	s_delay_alu instid0(VALU_DEP_1) | instskip(NEXT) | instid1(VALU_DEP_1)
	v_dual_lshrrev_b32 v4, 4, v3 :: v_dual_add_f32 v2, -0.5, v2
	v_or_b32_e32 v4, 0x70000000, v4
	s_delay_alu instid0(VALU_DEP_1) | instskip(NEXT) | instid1(VALU_DEP_1)
	v_mul_f32_e32 v4, 0x7800000, v4
	v_cndmask_b32_e32 v2, v4, v2, vcc_lo
	s_delay_alu instid0(VALU_DEP_1) | instskip(SKIP_1) | instid1(SALU_CYCLE_1)
	v_cmp_neq_f32_e32 vcc_lo, 0, v2
	s_and_b32 s39, vcc_lo, exec_lo
	s_or_b32 s37, s37, s39
.LBB14_968:
	s_mov_b32 s40, 0
	s_mov_b32 s39, -1
.LBB14_969:
	s_and_not1_b32 vcc_lo, exec_lo, s40
	s_cbranch_vccnz .LBB14_980
; %bb.970:
	s_cmp_gt_i32 s38, 14
	s_cbranch_scc0 .LBB14_973
; %bb.971:
	s_cmp_eq_u32 s38, 15
	s_cbranch_scc0 .LBB14_974
; %bb.972:
	global_load_u16 v2, v[0:1], off
	s_mov_b32 s36, 0
	s_mov_b32 s39, -1
	s_wait_loadcnt 0x0
	v_and_b32_e32 v2, 0x7fff, v2
	s_delay_alu instid0(VALU_DEP_1)
	v_cmp_ne_u16_e64 s37, 0, v2
	s_branch .LBB14_975
.LBB14_973:
	s_mov_b32 s40, -1
                                        ; implicit-def: $sgpr37
	s_branch .LBB14_976
.LBB14_974:
	s_mov_b32 s36, -1
                                        ; implicit-def: $sgpr37
.LBB14_975:
	s_mov_b32 s40, 0
.LBB14_976:
	s_delay_alu instid0(SALU_CYCLE_1)
	s_and_b32 vcc_lo, exec_lo, s40
	s_cbranch_vccz .LBB14_980
; %bb.977:
	s_cmp_eq_u32 s38, 11
	s_cbranch_scc0 .LBB14_979
; %bb.978:
	global_load_u8 v2, v[0:1], off
	s_mov_b32 s36, 0
	s_mov_b32 s39, -1
	s_wait_loadcnt 0x0
	v_cmp_ne_u16_e64 s37, 0, v2
	s_branch .LBB14_980
.LBB14_979:
	s_mov_b32 s36, -1
                                        ; implicit-def: $sgpr37
.LBB14_980:
	s_mov_b32 s38, 0
.LBB14_981:
	s_delay_alu instid0(SALU_CYCLE_1)
	s_and_b32 vcc_lo, exec_lo, s38
	s_cbranch_vccz .LBB14_1030
; %bb.982:
	s_and_b32 s38, 0xffff, s0
	s_delay_alu instid0(SALU_CYCLE_1)
	s_cmp_lt_i32 s38, 5
	s_cbranch_scc1 .LBB14_987
; %bb.983:
	s_cmp_lt_i32 s38, 8
	s_cbranch_scc1 .LBB14_988
; %bb.984:
	;; [unrolled: 3-line block ×3, first 2 shown]
	s_cmp_gt_i32 s38, 9
	s_cbranch_scc0 .LBB14_990
; %bb.986:
	global_load_b128 v[2:5], v[0:1], off
	s_wait_loadcnt 0x0
	v_cmp_neq_f64_e32 vcc_lo, 0, v[2:3]
	v_cmp_neq_f64_e64 s0, 0, v[4:5]
	s_or_b32 s37, vcc_lo, s0
	s_mov_b32 s0, 0
	s_branch .LBB14_991
.LBB14_987:
	s_mov_b32 s0, -1
                                        ; implicit-def: $sgpr37
	s_branch .LBB14_1009
.LBB14_988:
	s_mov_b32 s0, -1
                                        ; implicit-def: $sgpr37
	s_branch .LBB14_997
.LBB14_989:
	s_mov_b32 s0, -1
                                        ; implicit-def: $sgpr37
	s_branch .LBB14_994
.LBB14_990:
	s_mov_b32 s0, -1
                                        ; implicit-def: $sgpr37
.LBB14_991:
	s_delay_alu instid0(SALU_CYCLE_1)
	s_and_not1_b32 vcc_lo, exec_lo, s0
	s_cbranch_vccnz .LBB14_993
; %bb.992:
	global_load_b64 v[2:3], v[0:1], off
	s_and_not1_b32 s0, s37, exec_lo
	s_wait_loadcnt 0x0
	v_bitop3_b32 v2, v2, 0x7fffffff, v3 bitop3:0xc8
	s_delay_alu instid0(VALU_DEP_1) | instskip(SKIP_1) | instid1(SALU_CYCLE_1)
	v_cmp_ne_u32_e32 vcc_lo, 0, v2
	s_and_b32 s37, vcc_lo, exec_lo
	s_or_b32 s37, s0, s37
.LBB14_993:
	s_mov_b32 s0, 0
.LBB14_994:
	s_delay_alu instid0(SALU_CYCLE_1)
	s_and_not1_b32 vcc_lo, exec_lo, s0
	s_cbranch_vccnz .LBB14_996
; %bb.995:
	global_load_b32 v2, v[0:1], off
	s_and_not1_b32 s0, s37, exec_lo
	s_wait_loadcnt 0x0
	v_and_b32_e32 v2, 0x7fff7fff, v2
	s_delay_alu instid0(VALU_DEP_1) | instskip(SKIP_1) | instid1(SALU_CYCLE_1)
	v_cmp_ne_u32_e32 vcc_lo, 0, v2
	s_and_b32 s37, vcc_lo, exec_lo
	s_or_b32 s37, s0, s37
.LBB14_996:
	s_mov_b32 s0, 0
.LBB14_997:
	s_delay_alu instid0(SALU_CYCLE_1)
	s_and_not1_b32 vcc_lo, exec_lo, s0
	s_cbranch_vccnz .LBB14_1008
; %bb.998:
	s_cmp_lt_i32 s38, 6
	s_cbranch_scc1 .LBB14_1001
; %bb.999:
	s_cmp_gt_i32 s38, 6
	s_cbranch_scc0 .LBB14_1002
; %bb.1000:
	global_load_b64 v[2:3], v[0:1], off
	s_mov_b32 s0, 0
	s_wait_loadcnt 0x0
	v_cmp_neq_f64_e64 s37, 0, v[2:3]
	s_branch .LBB14_1003
.LBB14_1001:
	s_mov_b32 s0, -1
                                        ; implicit-def: $sgpr37
	s_branch .LBB14_1006
.LBB14_1002:
	s_mov_b32 s0, -1
                                        ; implicit-def: $sgpr37
.LBB14_1003:
	s_delay_alu instid0(SALU_CYCLE_1)
	s_and_not1_b32 vcc_lo, exec_lo, s0
	s_cbranch_vccnz .LBB14_1005
; %bb.1004:
	global_load_b32 v2, v[0:1], off
	s_and_not1_b32 s0, s37, exec_lo
	s_wait_loadcnt 0x0
	v_cmp_neq_f32_e32 vcc_lo, 0, v2
	s_and_b32 s37, vcc_lo, exec_lo
	s_delay_alu instid0(SALU_CYCLE_1)
	s_or_b32 s37, s0, s37
.LBB14_1005:
	s_mov_b32 s0, 0
.LBB14_1006:
	s_delay_alu instid0(SALU_CYCLE_1)
	s_and_not1_b32 vcc_lo, exec_lo, s0
	s_cbranch_vccnz .LBB14_1008
; %bb.1007:
	global_load_u16 v2, v[0:1], off
	s_and_not1_b32 s0, s37, exec_lo
	s_wait_loadcnt 0x0
	v_and_b32_e32 v2, 0x7fff, v2
	s_delay_alu instid0(VALU_DEP_1) | instskip(SKIP_1) | instid1(SALU_CYCLE_1)
	v_cmp_ne_u16_e32 vcc_lo, 0, v2
	s_and_b32 s37, vcc_lo, exec_lo
	s_or_b32 s37, s0, s37
.LBB14_1008:
	s_mov_b32 s0, 0
.LBB14_1009:
	s_delay_alu instid0(SALU_CYCLE_1)
	s_and_not1_b32 vcc_lo, exec_lo, s0
	s_cbranch_vccnz .LBB14_1029
; %bb.1010:
	s_cmp_lt_i32 s38, 2
	s_cbranch_scc1 .LBB14_1014
; %bb.1011:
	s_cmp_lt_i32 s38, 3
	s_cbranch_scc1 .LBB14_1015
; %bb.1012:
	s_cmp_gt_i32 s38, 3
	s_cbranch_scc0 .LBB14_1016
; %bb.1013:
	global_load_b64 v[2:3], v[0:1], off
	s_mov_b32 s0, 0
	s_wait_loadcnt 0x0
	v_cmp_ne_u64_e64 s37, 0, v[2:3]
	s_branch .LBB14_1017
.LBB14_1014:
	s_mov_b32 s0, -1
                                        ; implicit-def: $sgpr37
	s_branch .LBB14_1023
.LBB14_1015:
	s_mov_b32 s0, -1
                                        ; implicit-def: $sgpr37
	s_branch .LBB14_1020
.LBB14_1016:
	s_mov_b32 s0, -1
                                        ; implicit-def: $sgpr37
.LBB14_1017:
	s_delay_alu instid0(SALU_CYCLE_1)
	s_and_not1_b32 vcc_lo, exec_lo, s0
	s_cbranch_vccnz .LBB14_1019
; %bb.1018:
	global_load_b32 v2, v[0:1], off
	s_and_not1_b32 s0, s37, exec_lo
	s_wait_loadcnt 0x0
	v_cmp_ne_u32_e32 vcc_lo, 0, v2
	s_and_b32 s37, vcc_lo, exec_lo
	s_delay_alu instid0(SALU_CYCLE_1)
	s_or_b32 s37, s0, s37
.LBB14_1019:
	s_mov_b32 s0, 0
.LBB14_1020:
	s_delay_alu instid0(SALU_CYCLE_1)
	s_and_not1_b32 vcc_lo, exec_lo, s0
	s_cbranch_vccnz .LBB14_1022
; %bb.1021:
	global_load_u16 v2, v[0:1], off
	s_and_not1_b32 s0, s37, exec_lo
	s_wait_loadcnt 0x0
	v_cmp_ne_u16_e32 vcc_lo, 0, v2
	s_and_b32 s37, vcc_lo, exec_lo
	s_delay_alu instid0(SALU_CYCLE_1)
	s_or_b32 s37, s0, s37
.LBB14_1022:
	s_mov_b32 s0, 0
.LBB14_1023:
	s_delay_alu instid0(SALU_CYCLE_1)
	s_and_not1_b32 vcc_lo, exec_lo, s0
	s_cbranch_vccnz .LBB14_1029
; %bb.1024:
	s_cmp_gt_i32 s38, 0
	s_mov_b32 s0, 0
	s_cbranch_scc0 .LBB14_1026
; %bb.1025:
	global_load_u8 v2, v[0:1], off
	s_wait_loadcnt 0x0
	v_cmp_ne_u16_e64 s37, 0, v2
	s_branch .LBB14_1027
.LBB14_1026:
	s_mov_b32 s0, -1
                                        ; implicit-def: $sgpr37
.LBB14_1027:
	s_delay_alu instid0(SALU_CYCLE_1)
	s_and_not1_b32 vcc_lo, exec_lo, s0
	s_cbranch_vccnz .LBB14_1029
; %bb.1028:
	global_load_u8 v0, v[0:1], off
	s_and_not1_b32 s0, s37, exec_lo
	s_wait_loadcnt 0x0
	v_cmp_ne_u16_e32 vcc_lo, 0, v0
	s_and_b32 s37, vcc_lo, exec_lo
	s_delay_alu instid0(SALU_CYCLE_1)
	s_or_b32 s37, s0, s37
.LBB14_1029:
	s_mov_b32 s39, -1
.LBB14_1030:
	s_delay_alu instid0(SALU_CYCLE_1)
	s_and_not1_b32 vcc_lo, exec_lo, s39
	s_cbranch_vccnz .LBB14_1038
; %bb.1031:
	s_wait_xcnt 0x0
	v_mul_lo_u32 v0, v8, s14
	s_and_b32 s0, s3, 0xff
	s_delay_alu instid0(SALU_CYCLE_1) | instskip(NEXT) | instid1(VALU_DEP_1)
	s_cmp_lt_i32 s0, 11
	v_ashrrev_i32_e32 v1, 31, v0
	s_delay_alu instid0(VALU_DEP_1)
	v_add_nc_u64_e32 v[0:1], s[8:9], v[0:1]
	s_cbranch_scc1 .LBB14_1039
; %bb.1032:
	s_and_b32 s36, 0xffff, s0
	s_delay_alu instid0(SALU_CYCLE_1)
	s_cmp_gt_i32 s36, 25
	s_cbranch_scc0 .LBB14_1040
; %bb.1033:
	s_cmp_gt_i32 s36, 28
	s_cbranch_scc0 .LBB14_1041
; %bb.1034:
	;; [unrolled: 3-line block ×4, first 2 shown]
	s_cmp_eq_u32 s36, 46
	s_mov_b32 s41, 0
	s_cbranch_scc0 .LBB14_1044
; %bb.1037:
	global_load_b32 v2, v[0:1], off
	s_mov_b32 s38, 0
	s_mov_b32 s40, -1
	s_wait_loadcnt 0x0
	v_and_b32_e32 v2, 0x7fff7fff, v2
	s_delay_alu instid0(VALU_DEP_1)
	v_cmp_ne_u32_e64 s39, 0, v2
	s_branch .LBB14_1046
.LBB14_1038:
	s_mov_b32 s42, 0
	s_mov_b32 s0, s30
	;; [unrolled: 1-line block ×4, first 2 shown]
                                        ; implicit-def: $vgpr8
	s_branch .LBB14_1380
.LBB14_1039:
	s_mov_b32 s36, -1
	s_mov_b32 s40, 0
	s_mov_b32 s38, s33
                                        ; implicit-def: $sgpr39
	s_branch .LBB14_1093
.LBB14_1040:
	s_mov_b32 s41, -1
	s_mov_b32 s40, 0
	s_mov_b32 s38, s33
                                        ; implicit-def: $sgpr39
	s_branch .LBB14_1067
.LBB14_1041:
	s_mov_b32 s41, -1
	s_mov_b32 s40, 0
	s_mov_b32 s38, s33
                                        ; implicit-def: $sgpr39
	s_branch .LBB14_1054
.LBB14_1042:
	s_mov_b32 s41, -1
	s_mov_b32 s40, 0
	s_mov_b32 s38, s33
                                        ; implicit-def: $sgpr39
	s_branch .LBB14_1049
.LBB14_1043:
	s_mov_b32 s41, -1
	s_mov_b32 s40, 0
	s_mov_b32 s38, s33
	s_branch .LBB14_1045
.LBB14_1044:
	s_mov_b32 s38, -1
	s_mov_b32 s40, 0
.LBB14_1045:
                                        ; implicit-def: $sgpr39
.LBB14_1046:
	s_and_b32 vcc_lo, exec_lo, s41
	s_cbranch_vccz .LBB14_1048
; %bb.1047:
	s_cmp_eq_u32 s36, 44
	s_cselect_b32 s40, -1, 0
	s_or_b32 s39, s39, exec_lo
	s_or_b32 s38, s38, exec_lo
.LBB14_1048:
	s_mov_b32 s41, 0
.LBB14_1049:
	s_delay_alu instid0(SALU_CYCLE_1)
	s_and_b32 vcc_lo, exec_lo, s41
	s_cbranch_vccz .LBB14_1053
; %bb.1050:
	s_cmp_eq_u32 s36, 29
	s_cbranch_scc0 .LBB14_1052
; %bb.1051:
	global_load_b64 v[2:3], v[0:1], off
	s_mov_b32 s40, -1
	s_mov_b32 s38, 0
	s_mov_b32 s41, 0
	s_wait_loadcnt 0x0
	v_cmp_ne_u64_e64 s39, 0, v[2:3]
	s_branch .LBB14_1054
.LBB14_1052:
	s_mov_b32 s38, -1
                                        ; implicit-def: $sgpr39
.LBB14_1053:
	s_mov_b32 s41, 0
.LBB14_1054:
	s_delay_alu instid0(SALU_CYCLE_1)
	s_and_b32 vcc_lo, exec_lo, s41
	s_cbranch_vccz .LBB14_1066
; %bb.1055:
	s_cmp_lt_i32 s36, 27
	s_cbranch_scc1 .LBB14_1058
; %bb.1056:
	s_cmp_gt_i32 s36, 27
	s_cbranch_scc0 .LBB14_1059
; %bb.1057:
	global_load_b32 v2, v[0:1], off
	s_mov_b32 s40, 0
	s_wait_loadcnt 0x0
	v_cmp_ne_u32_e64 s39, 0, v2
	s_branch .LBB14_1060
.LBB14_1058:
	s_mov_b32 s40, -1
                                        ; implicit-def: $sgpr39
	s_branch .LBB14_1063
.LBB14_1059:
	s_mov_b32 s40, -1
                                        ; implicit-def: $sgpr39
.LBB14_1060:
	s_delay_alu instid0(SALU_CYCLE_1)
	s_and_not1_b32 vcc_lo, exec_lo, s40
	s_cbranch_vccnz .LBB14_1062
; %bb.1061:
	global_load_u16 v2, v[0:1], off
	s_and_not1_b32 s39, s39, exec_lo
	s_wait_loadcnt 0x0
	v_cmp_ne_u16_e32 vcc_lo, 0, v2
	s_and_b32 s40, vcc_lo, exec_lo
	s_delay_alu instid0(SALU_CYCLE_1)
	s_or_b32 s39, s39, s40
.LBB14_1062:
	s_mov_b32 s40, 0
.LBB14_1063:
	s_delay_alu instid0(SALU_CYCLE_1)
	s_and_not1_b32 vcc_lo, exec_lo, s40
	s_cbranch_vccnz .LBB14_1065
; %bb.1064:
	global_load_u8 v2, v[0:1], off
	s_and_not1_b32 s39, s39, exec_lo
	s_wait_loadcnt 0x0
	v_cmp_ne_u16_e32 vcc_lo, 0, v2
	s_and_b32 s40, vcc_lo, exec_lo
	s_delay_alu instid0(SALU_CYCLE_1)
	s_or_b32 s39, s39, s40
.LBB14_1065:
	s_mov_b32 s40, -1
.LBB14_1066:
	s_mov_b32 s41, 0
.LBB14_1067:
	s_delay_alu instid0(SALU_CYCLE_1)
	s_and_b32 vcc_lo, exec_lo, s41
	s_cbranch_vccz .LBB14_1092
; %bb.1068:
	s_cmp_gt_i32 s36, 22
	s_cbranch_scc0 .LBB14_1072
; %bb.1069:
	s_cmp_lt_i32 s36, 24
	s_cbranch_scc1 .LBB14_1073
; %bb.1070:
	s_cmp_gt_i32 s36, 24
	s_cbranch_scc0 .LBB14_1074
; %bb.1071:
	global_load_u8 v2, v[0:1], off
	s_mov_b32 s40, 0
	s_wait_loadcnt 0x0
	v_cmp_ne_u16_e64 s39, 0, v2
	s_branch .LBB14_1075
.LBB14_1072:
	s_mov_b32 s41, -1
                                        ; implicit-def: $sgpr39
	s_branch .LBB14_1081
.LBB14_1073:
	s_mov_b32 s40, -1
                                        ; implicit-def: $sgpr39
	s_branch .LBB14_1078
.LBB14_1074:
	s_mov_b32 s40, -1
                                        ; implicit-def: $sgpr39
.LBB14_1075:
	s_delay_alu instid0(SALU_CYCLE_1)
	s_and_not1_b32 vcc_lo, exec_lo, s40
	s_cbranch_vccnz .LBB14_1077
; %bb.1076:
	global_load_u8 v2, v[0:1], off
	s_and_not1_b32 s39, s39, exec_lo
	s_wait_loadcnt 0x0
	v_and_b32_e32 v2, 0x7f, v2
	s_delay_alu instid0(VALU_DEP_1) | instskip(SKIP_1) | instid1(SALU_CYCLE_1)
	v_cmp_ne_u16_e32 vcc_lo, 0, v2
	s_and_b32 s40, vcc_lo, exec_lo
	s_or_b32 s39, s39, s40
.LBB14_1077:
	s_mov_b32 s40, 0
.LBB14_1078:
	s_delay_alu instid0(SALU_CYCLE_1)
	s_and_not1_b32 vcc_lo, exec_lo, s40
	s_cbranch_vccnz .LBB14_1080
; %bb.1079:
	global_load_u8 v2, v[0:1], off
	s_and_not1_b32 s39, s39, exec_lo
	s_wait_loadcnt 0x0
	v_dual_lshlrev_b32 v3, 25, v2 :: v_dual_lshlrev_b32 v2, 8, v2
	s_delay_alu instid0(VALU_DEP_1) | instskip(NEXT) | instid1(VALU_DEP_2)
	v_cmp_gt_u32_e32 vcc_lo, 0x8000000, v3
	v_and_or_b32 v2, 0x7f00, v2, 0.5
	s_delay_alu instid0(VALU_DEP_1) | instskip(NEXT) | instid1(VALU_DEP_1)
	v_dual_lshrrev_b32 v4, 4, v3 :: v_dual_add_f32 v2, -0.5, v2
	v_or_b32_e32 v4, 0x70000000, v4
	s_delay_alu instid0(VALU_DEP_1) | instskip(NEXT) | instid1(VALU_DEP_1)
	v_mul_f32_e32 v4, 0x7800000, v4
	v_cndmask_b32_e32 v2, v4, v2, vcc_lo
	s_delay_alu instid0(VALU_DEP_1) | instskip(SKIP_1) | instid1(SALU_CYCLE_1)
	v_cmp_neq_f32_e32 vcc_lo, 0, v2
	s_and_b32 s40, vcc_lo, exec_lo
	s_or_b32 s39, s39, s40
.LBB14_1080:
	s_mov_b32 s41, 0
	s_mov_b32 s40, -1
.LBB14_1081:
	s_and_not1_b32 vcc_lo, exec_lo, s41
	s_cbranch_vccnz .LBB14_1092
; %bb.1082:
	s_cmp_gt_i32 s36, 14
	s_cbranch_scc0 .LBB14_1085
; %bb.1083:
	s_cmp_eq_u32 s36, 15
	s_cbranch_scc0 .LBB14_1086
; %bb.1084:
	global_load_u16 v2, v[0:1], off
	s_mov_b32 s38, 0
	s_mov_b32 s40, -1
	s_wait_loadcnt 0x0
	v_and_b32_e32 v2, 0x7fff, v2
	s_delay_alu instid0(VALU_DEP_1)
	v_cmp_ne_u16_e64 s39, 0, v2
	s_branch .LBB14_1087
.LBB14_1085:
	s_mov_b32 s41, -1
                                        ; implicit-def: $sgpr39
	s_branch .LBB14_1088
.LBB14_1086:
	s_mov_b32 s38, -1
                                        ; implicit-def: $sgpr39
.LBB14_1087:
	s_mov_b32 s41, 0
.LBB14_1088:
	s_delay_alu instid0(SALU_CYCLE_1)
	s_and_b32 vcc_lo, exec_lo, s41
	s_cbranch_vccz .LBB14_1092
; %bb.1089:
	s_cmp_eq_u32 s36, 11
	s_cbranch_scc0 .LBB14_1091
; %bb.1090:
	global_load_u8 v2, v[0:1], off
	s_mov_b32 s38, 0
	s_mov_b32 s40, -1
	s_wait_loadcnt 0x0
	v_cmp_ne_u16_e64 s39, 0, v2
	s_branch .LBB14_1092
.LBB14_1091:
	s_mov_b32 s38, -1
                                        ; implicit-def: $sgpr39
.LBB14_1092:
	s_mov_b32 s36, 0
.LBB14_1093:
	s_delay_alu instid0(SALU_CYCLE_1)
	s_and_b32 vcc_lo, exec_lo, s36
	s_cbranch_vccz .LBB14_1142
; %bb.1094:
	s_and_b32 s36, 0xffff, s0
	s_delay_alu instid0(SALU_CYCLE_1)
	s_cmp_lt_i32 s36, 5
	s_cbranch_scc1 .LBB14_1099
; %bb.1095:
	s_cmp_lt_i32 s36, 8
	s_cbranch_scc1 .LBB14_1100
; %bb.1096:
	;; [unrolled: 3-line block ×3, first 2 shown]
	s_cmp_gt_i32 s36, 9
	s_cbranch_scc0 .LBB14_1102
; %bb.1098:
	global_load_b128 v[2:5], v[0:1], off
	s_wait_loadcnt 0x0
	v_cmp_neq_f64_e32 vcc_lo, 0, v[2:3]
	v_cmp_neq_f64_e64 s0, 0, v[4:5]
	s_or_b32 s39, vcc_lo, s0
	s_mov_b32 s0, 0
	s_branch .LBB14_1103
.LBB14_1099:
	s_mov_b32 s0, -1
                                        ; implicit-def: $sgpr39
	s_branch .LBB14_1121
.LBB14_1100:
	s_mov_b32 s0, -1
                                        ; implicit-def: $sgpr39
	s_branch .LBB14_1109
.LBB14_1101:
	s_mov_b32 s0, -1
                                        ; implicit-def: $sgpr39
	s_branch .LBB14_1106
.LBB14_1102:
	s_mov_b32 s0, -1
                                        ; implicit-def: $sgpr39
.LBB14_1103:
	s_delay_alu instid0(SALU_CYCLE_1)
	s_and_not1_b32 vcc_lo, exec_lo, s0
	s_cbranch_vccnz .LBB14_1105
; %bb.1104:
	global_load_b64 v[2:3], v[0:1], off
	s_and_not1_b32 s0, s39, exec_lo
	s_wait_loadcnt 0x0
	v_bitop3_b32 v2, v2, 0x7fffffff, v3 bitop3:0xc8
	s_delay_alu instid0(VALU_DEP_1) | instskip(SKIP_1) | instid1(SALU_CYCLE_1)
	v_cmp_ne_u32_e32 vcc_lo, 0, v2
	s_and_b32 s39, vcc_lo, exec_lo
	s_or_b32 s39, s0, s39
.LBB14_1105:
	s_mov_b32 s0, 0
.LBB14_1106:
	s_delay_alu instid0(SALU_CYCLE_1)
	s_and_not1_b32 vcc_lo, exec_lo, s0
	s_cbranch_vccnz .LBB14_1108
; %bb.1107:
	global_load_b32 v2, v[0:1], off
	s_and_not1_b32 s0, s39, exec_lo
	s_wait_loadcnt 0x0
	v_and_b32_e32 v2, 0x7fff7fff, v2
	s_delay_alu instid0(VALU_DEP_1) | instskip(SKIP_1) | instid1(SALU_CYCLE_1)
	v_cmp_ne_u32_e32 vcc_lo, 0, v2
	s_and_b32 s39, vcc_lo, exec_lo
	s_or_b32 s39, s0, s39
.LBB14_1108:
	s_mov_b32 s0, 0
.LBB14_1109:
	s_delay_alu instid0(SALU_CYCLE_1)
	s_and_not1_b32 vcc_lo, exec_lo, s0
	s_cbranch_vccnz .LBB14_1120
; %bb.1110:
	s_cmp_lt_i32 s36, 6
	s_cbranch_scc1 .LBB14_1113
; %bb.1111:
	s_cmp_gt_i32 s36, 6
	s_cbranch_scc0 .LBB14_1114
; %bb.1112:
	global_load_b64 v[2:3], v[0:1], off
	s_mov_b32 s0, 0
	s_wait_loadcnt 0x0
	v_cmp_neq_f64_e64 s39, 0, v[2:3]
	s_branch .LBB14_1115
.LBB14_1113:
	s_mov_b32 s0, -1
                                        ; implicit-def: $sgpr39
	s_branch .LBB14_1118
.LBB14_1114:
	s_mov_b32 s0, -1
                                        ; implicit-def: $sgpr39
.LBB14_1115:
	s_delay_alu instid0(SALU_CYCLE_1)
	s_and_not1_b32 vcc_lo, exec_lo, s0
	s_cbranch_vccnz .LBB14_1117
; %bb.1116:
	global_load_b32 v2, v[0:1], off
	s_and_not1_b32 s0, s39, exec_lo
	s_wait_loadcnt 0x0
	v_cmp_neq_f32_e32 vcc_lo, 0, v2
	s_and_b32 s39, vcc_lo, exec_lo
	s_delay_alu instid0(SALU_CYCLE_1)
	s_or_b32 s39, s0, s39
.LBB14_1117:
	s_mov_b32 s0, 0
.LBB14_1118:
	s_delay_alu instid0(SALU_CYCLE_1)
	s_and_not1_b32 vcc_lo, exec_lo, s0
	s_cbranch_vccnz .LBB14_1120
; %bb.1119:
	global_load_u16 v2, v[0:1], off
	s_and_not1_b32 s0, s39, exec_lo
	s_wait_loadcnt 0x0
	v_and_b32_e32 v2, 0x7fff, v2
	s_delay_alu instid0(VALU_DEP_1) | instskip(SKIP_1) | instid1(SALU_CYCLE_1)
	v_cmp_ne_u16_e32 vcc_lo, 0, v2
	s_and_b32 s39, vcc_lo, exec_lo
	s_or_b32 s39, s0, s39
.LBB14_1120:
	s_mov_b32 s0, 0
.LBB14_1121:
	s_delay_alu instid0(SALU_CYCLE_1)
	s_and_not1_b32 vcc_lo, exec_lo, s0
	s_cbranch_vccnz .LBB14_1141
; %bb.1122:
	s_cmp_lt_i32 s36, 2
	s_cbranch_scc1 .LBB14_1126
; %bb.1123:
	s_cmp_lt_i32 s36, 3
	s_cbranch_scc1 .LBB14_1127
; %bb.1124:
	s_cmp_gt_i32 s36, 3
	s_cbranch_scc0 .LBB14_1128
; %bb.1125:
	global_load_b64 v[2:3], v[0:1], off
	s_mov_b32 s0, 0
	s_wait_loadcnt 0x0
	v_cmp_ne_u64_e64 s39, 0, v[2:3]
	s_branch .LBB14_1129
.LBB14_1126:
	s_mov_b32 s0, -1
                                        ; implicit-def: $sgpr39
	s_branch .LBB14_1135
.LBB14_1127:
	s_mov_b32 s0, -1
                                        ; implicit-def: $sgpr39
	s_branch .LBB14_1132
.LBB14_1128:
	s_mov_b32 s0, -1
                                        ; implicit-def: $sgpr39
.LBB14_1129:
	s_delay_alu instid0(SALU_CYCLE_1)
	s_and_not1_b32 vcc_lo, exec_lo, s0
	s_cbranch_vccnz .LBB14_1131
; %bb.1130:
	global_load_b32 v2, v[0:1], off
	s_and_not1_b32 s0, s39, exec_lo
	s_wait_loadcnt 0x0
	v_cmp_ne_u32_e32 vcc_lo, 0, v2
	s_and_b32 s39, vcc_lo, exec_lo
	s_delay_alu instid0(SALU_CYCLE_1)
	s_or_b32 s39, s0, s39
.LBB14_1131:
	s_mov_b32 s0, 0
.LBB14_1132:
	s_delay_alu instid0(SALU_CYCLE_1)
	s_and_not1_b32 vcc_lo, exec_lo, s0
	s_cbranch_vccnz .LBB14_1134
; %bb.1133:
	global_load_u16 v2, v[0:1], off
	s_and_not1_b32 s0, s39, exec_lo
	s_wait_loadcnt 0x0
	v_cmp_ne_u16_e32 vcc_lo, 0, v2
	s_and_b32 s39, vcc_lo, exec_lo
	s_delay_alu instid0(SALU_CYCLE_1)
	s_or_b32 s39, s0, s39
.LBB14_1134:
	s_mov_b32 s0, 0
.LBB14_1135:
	s_delay_alu instid0(SALU_CYCLE_1)
	s_and_not1_b32 vcc_lo, exec_lo, s0
	s_cbranch_vccnz .LBB14_1141
; %bb.1136:
	s_cmp_gt_i32 s36, 0
	s_mov_b32 s0, 0
	s_cbranch_scc0 .LBB14_1138
; %bb.1137:
	global_load_u8 v2, v[0:1], off
	s_wait_loadcnt 0x0
	v_cmp_ne_u16_e64 s39, 0, v2
	s_branch .LBB14_1139
.LBB14_1138:
	s_mov_b32 s0, -1
                                        ; implicit-def: $sgpr39
.LBB14_1139:
	s_delay_alu instid0(SALU_CYCLE_1)
	s_and_not1_b32 vcc_lo, exec_lo, s0
	s_cbranch_vccnz .LBB14_1141
; %bb.1140:
	global_load_u8 v0, v[0:1], off
	s_and_not1_b32 s0, s39, exec_lo
	s_wait_loadcnt 0x0
	v_cmp_ne_u16_e32 vcc_lo, 0, v0
	s_and_b32 s36, vcc_lo, exec_lo
	s_delay_alu instid0(SALU_CYCLE_1)
	s_or_b32 s39, s0, s36
.LBB14_1141:
	s_mov_b32 s40, -1
.LBB14_1142:
	s_mov_b32 s36, 0
	s_mov_b32 s0, s30
	s_and_not1_b32 vcc_lo, exec_lo, s40
	s_mov_b32 s40, s31
	s_mov_b32 s42, 0
	s_cbranch_vccnz .LBB14_1380
; %bb.1143:
	s_wait_xcnt 0x0
	v_mul_lo_u32 v0, v8, s15
	s_and_b32 s0, s17, 0xff
	s_delay_alu instid0(SALU_CYCLE_1) | instskip(NEXT) | instid1(VALU_DEP_1)
	s_cmp_lt_i32 s0, 11
	v_ashrrev_i32_e32 v1, 31, v0
	s_delay_alu instid0(VALU_DEP_1)
	v_add_nc_u64_e32 v[0:1], s[10:11], v[0:1]
	s_cbranch_scc1 .LBB14_1150
; %bb.1144:
	s_and_b32 s38, 0xffff, s0
	s_delay_alu instid0(SALU_CYCLE_1)
	s_cmp_gt_i32 s38, 25
	s_cbranch_scc0 .LBB14_1151
; %bb.1145:
	s_cmp_gt_i32 s38, 28
	s_cbranch_scc0 .LBB14_1152
; %bb.1146:
	;; [unrolled: 3-line block ×4, first 2 shown]
	s_cmp_eq_u32 s38, 46
	s_mov_b32 s43, 0
	s_cbranch_scc0 .LBB14_1159
; %bb.1149:
	global_load_b32 v2, v[0:1], off
	s_mov_b32 s40, 0
	s_mov_b32 s42, -1
	s_wait_loadcnt 0x0
	v_and_b32_e32 v2, 0x7fff7fff, v2
	s_delay_alu instid0(VALU_DEP_1)
	v_cmp_ne_u32_e64 s41, 0, v2
	s_branch .LBB14_1161
.LBB14_1150:
	s_mov_b32 s38, -1
	s_mov_b32 s40, s31
                                        ; implicit-def: $sgpr41
	s_branch .LBB14_1208
.LBB14_1151:
	s_mov_b32 s43, -1
	s_mov_b32 s40, s31
                                        ; implicit-def: $sgpr41
	s_branch .LBB14_1182
.LBB14_1152:
	s_mov_b32 s43, -1
	s_mov_b32 s40, s31
                                        ; implicit-def: $sgpr41
	s_branch .LBB14_1169
.LBB14_1153:
	s_mov_b32 s43, -1
	s_mov_b32 s40, s31
                                        ; implicit-def: $sgpr41
	s_branch .LBB14_1164
.LBB14_1154:
	s_mov_b32 s43, -1
	s_mov_b32 s40, s31
	s_branch .LBB14_1160
.LBB14_1155:
	v_bfe_u32 v2, v3, 21, 1
	s_mov_b32 s33, exec_lo
	s_delay_alu instid0(VALU_DEP_1) | instskip(NEXT) | instid1(VALU_DEP_1)
	v_add3_u32 v2, v3, v2, 0x88fffff
                                        ; implicit-def: $vgpr3
	v_lshrrev_b32_e32 v2, 21, v2
	s_and_not1_saveexec_b32 s34, s34
	s_cbranch_execz .LBB14_378
.LBB14_1156:
	v_add_f32_e32 v2, 0x42800000, v3
	s_and_not1_b32 s33, s33, exec_lo
	s_delay_alu instid0(VALU_DEP_1) | instskip(NEXT) | instid1(VALU_DEP_1)
	v_and_b32_e32 v2, 0xff, v2
	v_cmp_ne_u32_e32 vcc_lo, 0, v2
	s_and_b32 s35, vcc_lo, exec_lo
	s_delay_alu instid0(SALU_CYCLE_1)
	s_or_b32 s33, s33, s35
	s_or_b32 exec_lo, exec_lo, s34
	v_mov_b32_e32 v4, 0
	s_and_saveexec_b32 s34, s33
	s_cbranch_execnz .LBB14_379
	s_branch .LBB14_380
.LBB14_1157:
	v_bfe_u32 v2, v3, 20, 1
	s_mov_b32 s37, exec_lo
	s_delay_alu instid0(VALU_DEP_1) | instskip(NEXT) | instid1(VALU_DEP_1)
	v_add3_u32 v2, v3, v2, 0x487ffff
                                        ; implicit-def: $vgpr3
	v_lshrrev_b32_e32 v2, 20, v2
	s_and_not1_saveexec_b32 s38, s38
	s_cbranch_execz .LBB14_828
.LBB14_1158:
	v_add_f32_e32 v2, 0x46000000, v3
	s_and_not1_b32 s37, s37, exec_lo
	s_delay_alu instid0(VALU_DEP_1) | instskip(NEXT) | instid1(VALU_DEP_1)
	v_and_b32_e32 v2, 0xff, v2
	v_cmp_ne_u32_e32 vcc_lo, 0, v2
	s_and_b32 s39, vcc_lo, exec_lo
	s_delay_alu instid0(SALU_CYCLE_1)
	s_or_b32 s37, s37, s39
	s_or_b32 exec_lo, exec_lo, s38
	v_mov_b32_e32 v4, 0
	s_and_saveexec_b32 s38, s37
	s_cbranch_execnz .LBB14_829
	s_branch .LBB14_830
.LBB14_1159:
	s_mov_b32 s40, -1
.LBB14_1160:
                                        ; implicit-def: $sgpr41
.LBB14_1161:
	s_and_b32 vcc_lo, exec_lo, s43
	s_cbranch_vccz .LBB14_1163
; %bb.1162:
	s_cmp_eq_u32 s38, 44
	s_cselect_b32 s42, -1, 0
	s_or_b32 s41, s41, exec_lo
	s_or_b32 s40, s40, exec_lo
.LBB14_1163:
	s_mov_b32 s43, 0
.LBB14_1164:
	s_delay_alu instid0(SALU_CYCLE_1)
	s_and_b32 vcc_lo, exec_lo, s43
	s_cbranch_vccz .LBB14_1168
; %bb.1165:
	s_cmp_eq_u32 s38, 29
	s_cbranch_scc0 .LBB14_1167
; %bb.1166:
	global_load_b64 v[2:3], v[0:1], off
	s_mov_b32 s42, -1
	s_mov_b32 s40, 0
	s_mov_b32 s43, 0
	s_wait_loadcnt 0x0
	v_cmp_ne_u64_e64 s41, 0, v[2:3]
	s_branch .LBB14_1169
.LBB14_1167:
	s_mov_b32 s40, -1
                                        ; implicit-def: $sgpr41
.LBB14_1168:
	s_mov_b32 s43, 0
.LBB14_1169:
	s_delay_alu instid0(SALU_CYCLE_1)
	s_and_b32 vcc_lo, exec_lo, s43
	s_cbranch_vccz .LBB14_1181
; %bb.1170:
	s_cmp_lt_i32 s38, 27
	s_cbranch_scc1 .LBB14_1173
; %bb.1171:
	s_cmp_gt_i32 s38, 27
	s_cbranch_scc0 .LBB14_1174
; %bb.1172:
	global_load_b32 v2, v[0:1], off
	s_mov_b32 s42, 0
	s_wait_loadcnt 0x0
	v_cmp_ne_u32_e64 s41, 0, v2
	s_branch .LBB14_1175
.LBB14_1173:
	s_mov_b32 s42, -1
                                        ; implicit-def: $sgpr41
	s_branch .LBB14_1178
.LBB14_1174:
	s_mov_b32 s42, -1
                                        ; implicit-def: $sgpr41
.LBB14_1175:
	s_delay_alu instid0(SALU_CYCLE_1)
	s_and_not1_b32 vcc_lo, exec_lo, s42
	s_cbranch_vccnz .LBB14_1177
; %bb.1176:
	global_load_u16 v2, v[0:1], off
	s_and_not1_b32 s41, s41, exec_lo
	s_wait_loadcnt 0x0
	v_cmp_ne_u16_e32 vcc_lo, 0, v2
	s_and_b32 s42, vcc_lo, exec_lo
	s_delay_alu instid0(SALU_CYCLE_1)
	s_or_b32 s41, s41, s42
.LBB14_1177:
	s_mov_b32 s42, 0
.LBB14_1178:
	s_delay_alu instid0(SALU_CYCLE_1)
	s_and_not1_b32 vcc_lo, exec_lo, s42
	s_cbranch_vccnz .LBB14_1180
; %bb.1179:
	global_load_u8 v2, v[0:1], off
	s_and_not1_b32 s41, s41, exec_lo
	s_wait_loadcnt 0x0
	v_cmp_ne_u16_e32 vcc_lo, 0, v2
	s_and_b32 s42, vcc_lo, exec_lo
	s_delay_alu instid0(SALU_CYCLE_1)
	s_or_b32 s41, s41, s42
.LBB14_1180:
	s_mov_b32 s42, -1
.LBB14_1181:
	s_mov_b32 s43, 0
.LBB14_1182:
	s_delay_alu instid0(SALU_CYCLE_1)
	s_and_b32 vcc_lo, exec_lo, s43
	s_cbranch_vccz .LBB14_1207
; %bb.1183:
	s_cmp_gt_i32 s38, 22
	s_cbranch_scc0 .LBB14_1187
; %bb.1184:
	s_cmp_lt_i32 s38, 24
	s_cbranch_scc1 .LBB14_1188
; %bb.1185:
	s_cmp_gt_i32 s38, 24
	s_cbranch_scc0 .LBB14_1189
; %bb.1186:
	global_load_u8 v2, v[0:1], off
	s_mov_b32 s42, 0
	s_wait_loadcnt 0x0
	v_cmp_ne_u16_e64 s41, 0, v2
	s_branch .LBB14_1190
.LBB14_1187:
	s_mov_b32 s43, -1
                                        ; implicit-def: $sgpr41
	s_branch .LBB14_1196
.LBB14_1188:
	s_mov_b32 s42, -1
                                        ; implicit-def: $sgpr41
	s_branch .LBB14_1193
.LBB14_1189:
	s_mov_b32 s42, -1
                                        ; implicit-def: $sgpr41
.LBB14_1190:
	s_delay_alu instid0(SALU_CYCLE_1)
	s_and_not1_b32 vcc_lo, exec_lo, s42
	s_cbranch_vccnz .LBB14_1192
; %bb.1191:
	global_load_u8 v2, v[0:1], off
	s_and_not1_b32 s41, s41, exec_lo
	s_wait_loadcnt 0x0
	v_and_b32_e32 v2, 0x7f, v2
	s_delay_alu instid0(VALU_DEP_1) | instskip(SKIP_1) | instid1(SALU_CYCLE_1)
	v_cmp_ne_u16_e32 vcc_lo, 0, v2
	s_and_b32 s42, vcc_lo, exec_lo
	s_or_b32 s41, s41, s42
.LBB14_1192:
	s_mov_b32 s42, 0
.LBB14_1193:
	s_delay_alu instid0(SALU_CYCLE_1)
	s_and_not1_b32 vcc_lo, exec_lo, s42
	s_cbranch_vccnz .LBB14_1195
; %bb.1194:
	global_load_u8 v2, v[0:1], off
	s_and_not1_b32 s41, s41, exec_lo
	s_wait_loadcnt 0x0
	v_dual_lshlrev_b32 v3, 25, v2 :: v_dual_lshlrev_b32 v2, 8, v2
	s_delay_alu instid0(VALU_DEP_1) | instskip(NEXT) | instid1(VALU_DEP_2)
	v_cmp_gt_u32_e32 vcc_lo, 0x8000000, v3
	v_and_or_b32 v2, 0x7f00, v2, 0.5
	s_delay_alu instid0(VALU_DEP_1) | instskip(NEXT) | instid1(VALU_DEP_1)
	v_dual_lshrrev_b32 v4, 4, v3 :: v_dual_add_f32 v2, -0.5, v2
	v_or_b32_e32 v4, 0x70000000, v4
	s_delay_alu instid0(VALU_DEP_1) | instskip(NEXT) | instid1(VALU_DEP_1)
	v_mul_f32_e32 v4, 0x7800000, v4
	v_cndmask_b32_e32 v2, v4, v2, vcc_lo
	s_delay_alu instid0(VALU_DEP_1) | instskip(SKIP_1) | instid1(SALU_CYCLE_1)
	v_cmp_neq_f32_e32 vcc_lo, 0, v2
	s_and_b32 s42, vcc_lo, exec_lo
	s_or_b32 s41, s41, s42
.LBB14_1195:
	s_mov_b32 s43, 0
	s_mov_b32 s42, -1
.LBB14_1196:
	s_and_not1_b32 vcc_lo, exec_lo, s43
	s_cbranch_vccnz .LBB14_1207
; %bb.1197:
	s_cmp_gt_i32 s38, 14
	s_cbranch_scc0 .LBB14_1200
; %bb.1198:
	s_cmp_eq_u32 s38, 15
	s_cbranch_scc0 .LBB14_1201
; %bb.1199:
	global_load_u16 v2, v[0:1], off
	s_mov_b32 s40, 0
	s_mov_b32 s42, -1
	s_wait_loadcnt 0x0
	v_and_b32_e32 v2, 0x7fff, v2
	s_delay_alu instid0(VALU_DEP_1)
	v_cmp_ne_u16_e64 s41, 0, v2
	s_branch .LBB14_1202
.LBB14_1200:
	s_mov_b32 s43, -1
                                        ; implicit-def: $sgpr41
	s_branch .LBB14_1203
.LBB14_1201:
	s_mov_b32 s40, -1
                                        ; implicit-def: $sgpr41
.LBB14_1202:
	s_mov_b32 s43, 0
.LBB14_1203:
	s_delay_alu instid0(SALU_CYCLE_1)
	s_and_b32 vcc_lo, exec_lo, s43
	s_cbranch_vccz .LBB14_1207
; %bb.1204:
	s_cmp_eq_u32 s38, 11
	s_cbranch_scc0 .LBB14_1206
; %bb.1205:
	global_load_u8 v2, v[0:1], off
	s_mov_b32 s40, 0
	s_mov_b32 s42, -1
	s_wait_loadcnt 0x0
	v_cmp_ne_u16_e64 s41, 0, v2
	s_branch .LBB14_1207
.LBB14_1206:
	s_mov_b32 s40, -1
                                        ; implicit-def: $sgpr41
.LBB14_1207:
	s_mov_b32 s38, 0
.LBB14_1208:
	s_delay_alu instid0(SALU_CYCLE_1)
	s_and_b32 vcc_lo, exec_lo, s38
	s_cbranch_vccz .LBB14_1257
; %bb.1209:
	s_and_b32 s38, 0xffff, s0
	s_delay_alu instid0(SALU_CYCLE_1)
	s_cmp_lt_i32 s38, 5
	s_cbranch_scc1 .LBB14_1214
; %bb.1210:
	s_cmp_lt_i32 s38, 8
	s_cbranch_scc1 .LBB14_1215
; %bb.1211:
	;; [unrolled: 3-line block ×3, first 2 shown]
	s_cmp_gt_i32 s38, 9
	s_cbranch_scc0 .LBB14_1217
; %bb.1213:
	global_load_b128 v[2:5], v[0:1], off
	s_wait_loadcnt 0x0
	v_cmp_neq_f64_e32 vcc_lo, 0, v[2:3]
	v_cmp_neq_f64_e64 s0, 0, v[4:5]
	s_or_b32 s41, vcc_lo, s0
	s_mov_b32 s0, 0
	s_branch .LBB14_1218
.LBB14_1214:
	s_mov_b32 s0, -1
                                        ; implicit-def: $sgpr41
	s_branch .LBB14_1236
.LBB14_1215:
	s_mov_b32 s0, -1
                                        ; implicit-def: $sgpr41
	s_branch .LBB14_1224
.LBB14_1216:
	s_mov_b32 s0, -1
                                        ; implicit-def: $sgpr41
	s_branch .LBB14_1221
.LBB14_1217:
	s_mov_b32 s0, -1
                                        ; implicit-def: $sgpr41
.LBB14_1218:
	s_delay_alu instid0(SALU_CYCLE_1)
	s_and_not1_b32 vcc_lo, exec_lo, s0
	s_cbranch_vccnz .LBB14_1220
; %bb.1219:
	global_load_b64 v[2:3], v[0:1], off
	s_and_not1_b32 s0, s41, exec_lo
	s_wait_loadcnt 0x0
	v_bitop3_b32 v2, v2, 0x7fffffff, v3 bitop3:0xc8
	s_delay_alu instid0(VALU_DEP_1) | instskip(SKIP_1) | instid1(SALU_CYCLE_1)
	v_cmp_ne_u32_e32 vcc_lo, 0, v2
	s_and_b32 s41, vcc_lo, exec_lo
	s_or_b32 s41, s0, s41
.LBB14_1220:
	s_mov_b32 s0, 0
.LBB14_1221:
	s_delay_alu instid0(SALU_CYCLE_1)
	s_and_not1_b32 vcc_lo, exec_lo, s0
	s_cbranch_vccnz .LBB14_1223
; %bb.1222:
	global_load_b32 v2, v[0:1], off
	s_and_not1_b32 s0, s41, exec_lo
	s_wait_loadcnt 0x0
	v_and_b32_e32 v2, 0x7fff7fff, v2
	s_delay_alu instid0(VALU_DEP_1) | instskip(SKIP_1) | instid1(SALU_CYCLE_1)
	v_cmp_ne_u32_e32 vcc_lo, 0, v2
	s_and_b32 s41, vcc_lo, exec_lo
	s_or_b32 s41, s0, s41
.LBB14_1223:
	s_mov_b32 s0, 0
.LBB14_1224:
	s_delay_alu instid0(SALU_CYCLE_1)
	s_and_not1_b32 vcc_lo, exec_lo, s0
	s_cbranch_vccnz .LBB14_1235
; %bb.1225:
	s_cmp_lt_i32 s38, 6
	s_cbranch_scc1 .LBB14_1228
; %bb.1226:
	s_cmp_gt_i32 s38, 6
	s_cbranch_scc0 .LBB14_1229
; %bb.1227:
	global_load_b64 v[2:3], v[0:1], off
	s_mov_b32 s0, 0
	s_wait_loadcnt 0x0
	v_cmp_neq_f64_e64 s41, 0, v[2:3]
	s_branch .LBB14_1230
.LBB14_1228:
	s_mov_b32 s0, -1
                                        ; implicit-def: $sgpr41
	s_branch .LBB14_1233
.LBB14_1229:
	s_mov_b32 s0, -1
                                        ; implicit-def: $sgpr41
.LBB14_1230:
	s_delay_alu instid0(SALU_CYCLE_1)
	s_and_not1_b32 vcc_lo, exec_lo, s0
	s_cbranch_vccnz .LBB14_1232
; %bb.1231:
	global_load_b32 v2, v[0:1], off
	s_and_not1_b32 s0, s41, exec_lo
	s_wait_loadcnt 0x0
	v_cmp_neq_f32_e32 vcc_lo, 0, v2
	s_and_b32 s41, vcc_lo, exec_lo
	s_delay_alu instid0(SALU_CYCLE_1)
	s_or_b32 s41, s0, s41
.LBB14_1232:
	s_mov_b32 s0, 0
.LBB14_1233:
	s_delay_alu instid0(SALU_CYCLE_1)
	s_and_not1_b32 vcc_lo, exec_lo, s0
	s_cbranch_vccnz .LBB14_1235
; %bb.1234:
	global_load_u16 v2, v[0:1], off
	s_and_not1_b32 s0, s41, exec_lo
	s_wait_loadcnt 0x0
	v_and_b32_e32 v2, 0x7fff, v2
	s_delay_alu instid0(VALU_DEP_1) | instskip(SKIP_1) | instid1(SALU_CYCLE_1)
	v_cmp_ne_u16_e32 vcc_lo, 0, v2
	s_and_b32 s41, vcc_lo, exec_lo
	s_or_b32 s41, s0, s41
.LBB14_1235:
	s_mov_b32 s0, 0
.LBB14_1236:
	s_delay_alu instid0(SALU_CYCLE_1)
	s_and_not1_b32 vcc_lo, exec_lo, s0
	s_cbranch_vccnz .LBB14_1256
; %bb.1237:
	s_cmp_lt_i32 s38, 2
	s_cbranch_scc1 .LBB14_1241
; %bb.1238:
	s_cmp_lt_i32 s38, 3
	s_cbranch_scc1 .LBB14_1242
; %bb.1239:
	s_cmp_gt_i32 s38, 3
	s_cbranch_scc0 .LBB14_1243
; %bb.1240:
	global_load_b64 v[2:3], v[0:1], off
	s_mov_b32 s0, 0
	s_wait_loadcnt 0x0
	v_cmp_ne_u64_e64 s41, 0, v[2:3]
	s_branch .LBB14_1244
.LBB14_1241:
	s_mov_b32 s0, -1
                                        ; implicit-def: $sgpr41
	s_branch .LBB14_1250
.LBB14_1242:
	s_mov_b32 s0, -1
                                        ; implicit-def: $sgpr41
	s_branch .LBB14_1247
.LBB14_1243:
	s_mov_b32 s0, -1
                                        ; implicit-def: $sgpr41
.LBB14_1244:
	s_delay_alu instid0(SALU_CYCLE_1)
	s_and_not1_b32 vcc_lo, exec_lo, s0
	s_cbranch_vccnz .LBB14_1246
; %bb.1245:
	global_load_b32 v2, v[0:1], off
	s_and_not1_b32 s0, s41, exec_lo
	s_wait_loadcnt 0x0
	v_cmp_ne_u32_e32 vcc_lo, 0, v2
	s_and_b32 s41, vcc_lo, exec_lo
	s_delay_alu instid0(SALU_CYCLE_1)
	s_or_b32 s41, s0, s41
.LBB14_1246:
	s_mov_b32 s0, 0
.LBB14_1247:
	s_delay_alu instid0(SALU_CYCLE_1)
	s_and_not1_b32 vcc_lo, exec_lo, s0
	s_cbranch_vccnz .LBB14_1249
; %bb.1248:
	global_load_u16 v2, v[0:1], off
	s_and_not1_b32 s0, s41, exec_lo
	s_wait_loadcnt 0x0
	v_cmp_ne_u16_e32 vcc_lo, 0, v2
	s_and_b32 s41, vcc_lo, exec_lo
	s_delay_alu instid0(SALU_CYCLE_1)
	s_or_b32 s41, s0, s41
.LBB14_1249:
	s_mov_b32 s0, 0
.LBB14_1250:
	s_delay_alu instid0(SALU_CYCLE_1)
	s_and_not1_b32 vcc_lo, exec_lo, s0
	s_cbranch_vccnz .LBB14_1256
; %bb.1251:
	s_cmp_gt_i32 s38, 0
	s_mov_b32 s0, 0
	s_cbranch_scc0 .LBB14_1253
; %bb.1252:
	global_load_u8 v2, v[0:1], off
	s_wait_loadcnt 0x0
	v_cmp_ne_u16_e64 s41, 0, v2
	s_branch .LBB14_1254
.LBB14_1253:
	s_mov_b32 s0, -1
                                        ; implicit-def: $sgpr41
.LBB14_1254:
	s_delay_alu instid0(SALU_CYCLE_1)
	s_and_not1_b32 vcc_lo, exec_lo, s0
	s_cbranch_vccnz .LBB14_1256
; %bb.1255:
	global_load_u8 v0, v[0:1], off
	s_and_not1_b32 s0, s41, exec_lo
	s_wait_loadcnt 0x0
	v_cmp_ne_u16_e32 vcc_lo, 0, v0
	s_and_b32 s38, vcc_lo, exec_lo
	s_delay_alu instid0(SALU_CYCLE_1)
	s_or_b32 s41, s0, s38
.LBB14_1256:
	s_mov_b32 s42, -1
.LBB14_1257:
	s_mov_b32 s38, 0
	s_and_not1_b32 vcc_lo, exec_lo, s42
	s_mov_b32 s0, s30
	s_mov_b32 s42, 0
	s_cbranch_vccnz .LBB14_1380
; %bb.1258:
	s_wait_xcnt 0x0
	v_mul_lo_u32 v0, v8, s12
	s_and_b32 s0, s37, s22
	s_delay_alu instid0(VALU_DEP_2) | instskip(SKIP_2) | instid1(SALU_CYCLE_1)
	s_and_b32 s37, s39, s41
	s_and_b32 s39, s1, 0xff
	;; [unrolled: 1-line block ×3, first 2 shown]
	s_or_b32 s37, s0, s37
	s_cmp_lt_i32 s39, 11
	s_delay_alu instid0(VALU_DEP_1) | instskip(NEXT) | instid1(VALU_DEP_1)
	v_ashrrev_i32_e32 v1, 31, v0
	v_add_nc_u64_e32 v[0:1], s[4:5], v[0:1]
	s_cbranch_scc1 .LBB14_1265
; %bb.1259:
	s_and_b32 s40, 0xffff, s39
	s_delay_alu instid0(SALU_CYCLE_1)
	s_cmp_gt_i32 s40, 25
	s_cbranch_scc0 .LBB14_1266
; %bb.1260:
	s_cmp_gt_i32 s40, 28
	s_cbranch_scc0 .LBB14_1267
; %bb.1261:
	;; [unrolled: 3-line block ×4, first 2 shown]
	s_mov_b32 s0, -1
	s_cmp_eq_u32 s40, 46
	s_mov_b32 s41, 0
	s_cbranch_scc0 .LBB14_1270
; %bb.1264:
	v_cndmask_b32_e64 v2, 0, 1.0, s37
	s_mov_b32 s41, -1
	s_mov_b32 s0, 0
	s_delay_alu instid0(VALU_DEP_1) | instskip(NEXT) | instid1(VALU_DEP_1)
	v_bfe_u32 v3, v2, 16, 1
	v_add3_u32 v2, v2, v3, 0x7fff
	s_delay_alu instid0(VALU_DEP_1)
	v_lshrrev_b32_e32 v2, 16, v2
	global_store_b32 v[0:1], v2, off
	s_branch .LBB14_1270
.LBB14_1265:
	s_mov_b32 s40, -1
	s_mov_b32 s41, 0
	s_mov_b32 s0, s30
	s_branch .LBB14_1339
.LBB14_1266:
	s_mov_b32 s42, -1
	s_mov_b32 s41, 0
	s_mov_b32 s0, s30
	s_branch .LBB14_1297
.LBB14_1267:
	s_mov_b32 s42, -1
	s_mov_b32 s41, 0
	s_mov_b32 s0, s30
	s_branch .LBB14_1280
.LBB14_1268:
	s_mov_b32 s42, -1
	s_mov_b32 s41, 0
	s_mov_b32 s0, s30
	s_branch .LBB14_1276
.LBB14_1269:
	s_mov_b32 s42, -1
	s_mov_b32 s41, 0
	s_mov_b32 s0, s30
.LBB14_1270:
	s_and_b32 vcc_lo, exec_lo, s42
	s_cbranch_vccz .LBB14_1275
; %bb.1271:
	s_cmp_eq_u32 s40, 44
	s_mov_b32 s0, -1
	s_cbranch_scc0 .LBB14_1275
; %bb.1272:
	v_cndmask_b32_e64 v4, 0, 1.0, s37
	s_mov_b32 s41, exec_lo
	s_wait_xcnt 0x0
	s_delay_alu instid0(VALU_DEP_1) | instskip(NEXT) | instid1(VALU_DEP_1)
	v_dual_mov_b32 v3, 0xff :: v_dual_lshrrev_b32 v2, 23, v4
	v_cmpx_ne_u32_e32 0xff, v2
; %bb.1273:
	v_and_b32_e32 v3, 0x400000, v4
	v_and_or_b32 v4, 0x3fffff, v4, v2
	s_delay_alu instid0(VALU_DEP_2) | instskip(NEXT) | instid1(VALU_DEP_2)
	v_cmp_ne_u32_e32 vcc_lo, 0, v3
	v_cmp_ne_u32_e64 s0, 0, v4
	s_and_b32 s0, vcc_lo, s0
	s_delay_alu instid0(SALU_CYCLE_1) | instskip(NEXT) | instid1(VALU_DEP_1)
	v_cndmask_b32_e64 v3, 0, 1, s0
	v_add_nc_u32_e32 v3, v2, v3
; %bb.1274:
	s_or_b32 exec_lo, exec_lo, s41
	s_mov_b32 s41, -1
	s_mov_b32 s0, 0
	global_store_b8 v[0:1], v3, off
.LBB14_1275:
	s_mov_b32 s42, 0
.LBB14_1276:
	s_delay_alu instid0(SALU_CYCLE_1)
	s_and_b32 vcc_lo, exec_lo, s42
	s_cbranch_vccz .LBB14_1279
; %bb.1277:
	s_cmp_eq_u32 s40, 29
	s_mov_b32 s0, -1
	s_cbranch_scc0 .LBB14_1279
; %bb.1278:
	s_mov_b32 s0, 0
	s_wait_xcnt 0x0
	v_cndmask_b32_e64 v2, 0, 1, s37
	v_mov_b32_e32 v3, s0
	s_mov_b32 s41, -1
	s_mov_b32 s42, 0
	global_store_b64 v[0:1], v[2:3], off
	s_branch .LBB14_1280
.LBB14_1279:
	s_mov_b32 s42, 0
.LBB14_1280:
	s_delay_alu instid0(SALU_CYCLE_1)
	s_and_b32 vcc_lo, exec_lo, s42
	s_cbranch_vccz .LBB14_1296
; %bb.1281:
	s_cmp_lt_i32 s40, 27
	s_mov_b32 s41, -1
	s_cbranch_scc1 .LBB14_1287
; %bb.1282:
	s_cmp_gt_i32 s40, 27
	s_cbranch_scc0 .LBB14_1284
; %bb.1283:
	s_wait_xcnt 0x0
	v_cndmask_b32_e64 v2, 0, 1, s37
	s_mov_b32 s41, 0
	global_store_b32 v[0:1], v2, off
.LBB14_1284:
	s_and_not1_b32 vcc_lo, exec_lo, s41
	s_cbranch_vccnz .LBB14_1286
; %bb.1285:
	s_wait_xcnt 0x0
	v_cndmask_b32_e64 v2, 0, 1, s37
	global_store_b16 v[0:1], v2, off
.LBB14_1286:
	s_mov_b32 s41, 0
.LBB14_1287:
	s_delay_alu instid0(SALU_CYCLE_1)
	s_and_not1_b32 vcc_lo, exec_lo, s41
	s_cbranch_vccnz .LBB14_1295
; %bb.1288:
	s_wait_xcnt 0x0
	v_cndmask_b32_e64 v3, 0, 1.0, s37
	v_mov_b32_e32 v4, 0x80
	s_mov_b32 s41, exec_lo
	s_delay_alu instid0(VALU_DEP_2)
	v_cmpx_gt_u32_e32 0x43800000, v3
	s_cbranch_execz .LBB14_1294
; %bb.1289:
	s_mov_b32 s42, 0
	s_mov_b32 s43, exec_lo
                                        ; implicit-def: $vgpr2
	v_cmpx_lt_u32_e32 0x3bffffff, v3
	s_xor_b32 s43, exec_lo, s43
	s_cbranch_execnz .LBB14_2520
; %bb.1290:
	s_and_not1_saveexec_b32 s43, s43
	s_cbranch_execnz .LBB14_2521
.LBB14_1291:
	s_or_b32 exec_lo, exec_lo, s43
	v_mov_b32_e32 v4, 0
	s_and_saveexec_b32 s43, s42
.LBB14_1292:
	v_mov_b32_e32 v4, v2
.LBB14_1293:
	s_or_b32 exec_lo, exec_lo, s43
.LBB14_1294:
	s_delay_alu instid0(SALU_CYCLE_1)
	s_or_b32 exec_lo, exec_lo, s41
	global_store_b8 v[0:1], v4, off
.LBB14_1295:
	s_mov_b32 s41, -1
.LBB14_1296:
	s_mov_b32 s42, 0
.LBB14_1297:
	s_delay_alu instid0(SALU_CYCLE_1)
	s_and_b32 vcc_lo, exec_lo, s42
	s_cbranch_vccz .LBB14_1338
; %bb.1298:
	s_cmp_gt_i32 s40, 22
	s_mov_b32 s42, -1
	s_cbranch_scc0 .LBB14_1330
; %bb.1299:
	s_cmp_lt_i32 s40, 24
	s_mov_b32 s41, -1
	s_cbranch_scc1 .LBB14_1319
; %bb.1300:
	s_cmp_gt_i32 s40, 24
	s_cbranch_scc0 .LBB14_1308
; %bb.1301:
	s_wait_xcnt 0x0
	v_cndmask_b32_e64 v3, 0, 1.0, s37
	v_mov_b32_e32 v4, 0x80
	s_mov_b32 s41, exec_lo
	s_delay_alu instid0(VALU_DEP_2)
	v_cmpx_gt_u32_e32 0x47800000, v3
	s_cbranch_execz .LBB14_1307
; %bb.1302:
	s_mov_b32 s42, 0
	s_mov_b32 s43, exec_lo
                                        ; implicit-def: $vgpr2
	v_cmpx_lt_u32_e32 0x37ffffff, v3
	s_xor_b32 s43, exec_lo, s43
	s_cbranch_execnz .LBB14_2635
; %bb.1303:
	s_and_not1_saveexec_b32 s43, s43
	s_cbranch_execnz .LBB14_2636
.LBB14_1304:
	s_or_b32 exec_lo, exec_lo, s43
	v_mov_b32_e32 v4, 0
	s_and_saveexec_b32 s43, s42
.LBB14_1305:
	v_mov_b32_e32 v4, v2
.LBB14_1306:
	s_or_b32 exec_lo, exec_lo, s43
.LBB14_1307:
	s_delay_alu instid0(SALU_CYCLE_1)
	s_or_b32 exec_lo, exec_lo, s41
	s_mov_b32 s41, 0
	global_store_b8 v[0:1], v4, off
.LBB14_1308:
	s_and_b32 vcc_lo, exec_lo, s41
	s_cbranch_vccz .LBB14_1318
; %bb.1309:
	s_wait_xcnt 0x0
	v_cndmask_b32_e64 v3, 0, 1.0, s37
	s_mov_b32 s41, exec_lo
                                        ; implicit-def: $vgpr2
	s_delay_alu instid0(VALU_DEP_1)
	v_cmpx_gt_u32_e32 0x43f00000, v3
	s_xor_b32 s41, exec_lo, s41
	s_cbranch_execz .LBB14_1315
; %bb.1310:
	s_mov_b32 s42, exec_lo
                                        ; implicit-def: $vgpr2
	v_cmpx_lt_u32_e32 0x3c7fffff, v3
	s_xor_b32 s42, exec_lo, s42
; %bb.1311:
	v_bfe_u32 v2, v3, 20, 1
	s_delay_alu instid0(VALU_DEP_1) | instskip(NEXT) | instid1(VALU_DEP_1)
	v_add3_u32 v2, v3, v2, 0x407ffff
	v_and_b32_e32 v3, 0xff00000, v2
	v_lshrrev_b32_e32 v2, 20, v2
	s_delay_alu instid0(VALU_DEP_2) | instskip(NEXT) | instid1(VALU_DEP_2)
	v_cmp_ne_u32_e32 vcc_lo, 0x7f00000, v3
                                        ; implicit-def: $vgpr3
	v_cndmask_b32_e32 v2, 0x7e, v2, vcc_lo
; %bb.1312:
	s_and_not1_saveexec_b32 s42, s42
; %bb.1313:
	v_add_f32_e32 v2, 0x46800000, v3
; %bb.1314:
	s_or_b32 exec_lo, exec_lo, s42
                                        ; implicit-def: $vgpr3
.LBB14_1315:
	s_and_not1_saveexec_b32 s41, s41
; %bb.1316:
	v_mov_b32_e32 v2, 0x7f
	v_cmp_lt_u32_e32 vcc_lo, 0x7f800000, v3
	s_delay_alu instid0(VALU_DEP_2)
	v_cndmask_b32_e32 v2, 0x7e, v2, vcc_lo
; %bb.1317:
	s_or_b32 exec_lo, exec_lo, s41
	global_store_b8 v[0:1], v2, off
.LBB14_1318:
	s_mov_b32 s41, 0
.LBB14_1319:
	s_delay_alu instid0(SALU_CYCLE_1)
	s_and_not1_b32 vcc_lo, exec_lo, s41
	s_cbranch_vccnz .LBB14_1329
; %bb.1320:
	s_wait_xcnt 0x0
	v_cndmask_b32_e64 v3, 0, 1.0, s37
	s_mov_b32 s41, exec_lo
                                        ; implicit-def: $vgpr2
	s_delay_alu instid0(VALU_DEP_1)
	v_cmpx_gt_u32_e32 0x47800000, v3
	s_xor_b32 s41, exec_lo, s41
	s_cbranch_execz .LBB14_1326
; %bb.1321:
	s_mov_b32 s42, exec_lo
                                        ; implicit-def: $vgpr2
	v_cmpx_lt_u32_e32 0x387fffff, v3
	s_xor_b32 s42, exec_lo, s42
; %bb.1322:
	v_bfe_u32 v2, v3, 21, 1
	s_delay_alu instid0(VALU_DEP_1) | instskip(NEXT) | instid1(VALU_DEP_1)
	v_add3_u32 v2, v3, v2, 0x80fffff
                                        ; implicit-def: $vgpr3
	v_lshrrev_b32_e32 v2, 21, v2
; %bb.1323:
	s_and_not1_saveexec_b32 s42, s42
; %bb.1324:
	v_add_f32_e32 v2, 0x43000000, v3
; %bb.1325:
	s_or_b32 exec_lo, exec_lo, s42
                                        ; implicit-def: $vgpr3
.LBB14_1326:
	s_and_not1_saveexec_b32 s41, s41
; %bb.1327:
	v_mov_b32_e32 v2, 0x7f
	v_cmp_lt_u32_e32 vcc_lo, 0x7f800000, v3
	s_delay_alu instid0(VALU_DEP_2)
	v_cndmask_b32_e32 v2, 0x7c, v2, vcc_lo
; %bb.1328:
	s_or_b32 exec_lo, exec_lo, s41
	global_store_b8 v[0:1], v2, off
.LBB14_1329:
	s_mov_b32 s42, 0
	s_mov_b32 s41, -1
.LBB14_1330:
	s_and_not1_b32 vcc_lo, exec_lo, s42
	s_cbranch_vccnz .LBB14_1338
; %bb.1331:
	s_cmp_gt_i32 s40, 14
	s_mov_b32 s42, -1
	s_cbranch_scc0 .LBB14_1335
; %bb.1332:
	s_cmp_eq_u32 s40, 15
	s_mov_b32 s0, -1
	s_cbranch_scc0 .LBB14_1334
; %bb.1333:
	s_wait_xcnt 0x0
	v_cndmask_b32_e64 v2, 0, 1.0, s37
	s_mov_b32 s41, -1
	s_mov_b32 s0, 0
	s_delay_alu instid0(VALU_DEP_1) | instskip(NEXT) | instid1(VALU_DEP_1)
	v_bfe_u32 v3, v2, 16, 1
	v_add3_u32 v2, v2, v3, 0x7fff
	global_store_d16_hi_b16 v[0:1], v2, off
.LBB14_1334:
	s_mov_b32 s42, 0
.LBB14_1335:
	s_delay_alu instid0(SALU_CYCLE_1)
	s_and_b32 vcc_lo, exec_lo, s42
	s_cbranch_vccz .LBB14_1338
; %bb.1336:
	s_cmp_eq_u32 s40, 11
	s_mov_b32 s0, -1
	s_cbranch_scc0 .LBB14_1338
; %bb.1337:
	s_wait_xcnt 0x0
	v_cndmask_b32_e64 v2, 0, 1, s37
	s_mov_b32 s41, -1
	s_mov_b32 s0, 0
	global_store_b8 v[0:1], v2, off
.LBB14_1338:
	s_mov_b32 s40, 0
.LBB14_1339:
	s_delay_alu instid0(SALU_CYCLE_1)
	s_and_b32 vcc_lo, exec_lo, s40
	s_cbranch_vccz .LBB14_1378
; %bb.1340:
	s_and_b32 s39, 0xffff, s39
	s_mov_b32 s40, -1
	s_cmp_lt_i32 s39, 5
	s_cbranch_scc1 .LBB14_1361
; %bb.1341:
	s_cmp_lt_i32 s39, 8
	s_cbranch_scc1 .LBB14_1351
; %bb.1342:
	;; [unrolled: 3-line block ×3, first 2 shown]
	s_cmp_gt_i32 s39, 9
	s_cbranch_scc0 .LBB14_1345
; %bb.1344:
	s_wait_xcnt 0x0
	v_cndmask_b32_e64 v2, 0, 1, s37
	v_mov_b32_e32 v4, 0
	s_mov_b32 s40, 0
	s_delay_alu instid0(VALU_DEP_2) | instskip(NEXT) | instid1(VALU_DEP_2)
	v_cvt_f64_u32_e32 v[2:3], v2
	v_mov_b32_e32 v5, v4
	global_store_b128 v[0:1], v[2:5], off
.LBB14_1345:
	s_and_not1_b32 vcc_lo, exec_lo, s40
	s_cbranch_vccnz .LBB14_1347
; %bb.1346:
	s_wait_xcnt 0x0
	v_cndmask_b32_e64 v2, 0, 1.0, s37
	v_mov_b32_e32 v3, 0
	global_store_b64 v[0:1], v[2:3], off
.LBB14_1347:
	s_mov_b32 s40, 0
.LBB14_1348:
	s_delay_alu instid0(SALU_CYCLE_1)
	s_and_not1_b32 vcc_lo, exec_lo, s40
	s_cbranch_vccnz .LBB14_1350
; %bb.1349:
	s_wait_xcnt 0x0
	v_cndmask_b32_e64 v2, 0, 1.0, s37
	s_delay_alu instid0(VALU_DEP_1) | instskip(NEXT) | instid1(VALU_DEP_1)
	v_cvt_f16_f32_e32 v2, v2
	v_and_b32_e32 v2, 0xffff, v2
	global_store_b32 v[0:1], v2, off
.LBB14_1350:
	s_mov_b32 s40, 0
.LBB14_1351:
	s_delay_alu instid0(SALU_CYCLE_1)
	s_and_not1_b32 vcc_lo, exec_lo, s40
	s_cbranch_vccnz .LBB14_1360
; %bb.1352:
	s_cmp_lt_i32 s39, 6
	s_mov_b32 s40, -1
	s_cbranch_scc1 .LBB14_1358
; %bb.1353:
	s_cmp_gt_i32 s39, 6
	s_cbranch_scc0 .LBB14_1355
; %bb.1354:
	s_wait_xcnt 0x0
	v_cndmask_b32_e64 v2, 0, 1, s37
	s_mov_b32 s40, 0
	s_delay_alu instid0(VALU_DEP_1)
	v_cvt_f64_u32_e32 v[2:3], v2
	global_store_b64 v[0:1], v[2:3], off
.LBB14_1355:
	s_and_not1_b32 vcc_lo, exec_lo, s40
	s_cbranch_vccnz .LBB14_1357
; %bb.1356:
	s_wait_xcnt 0x0
	v_cndmask_b32_e64 v2, 0, 1.0, s37
	global_store_b32 v[0:1], v2, off
.LBB14_1357:
	s_mov_b32 s40, 0
.LBB14_1358:
	s_delay_alu instid0(SALU_CYCLE_1)
	s_and_not1_b32 vcc_lo, exec_lo, s40
	s_cbranch_vccnz .LBB14_1360
; %bb.1359:
	s_wait_xcnt 0x0
	v_cndmask_b32_e64 v2, 0, 1.0, s37
	s_delay_alu instid0(VALU_DEP_1)
	v_cvt_f16_f32_e32 v2, v2
	global_store_b16 v[0:1], v2, off
.LBB14_1360:
	s_mov_b32 s40, 0
.LBB14_1361:
	s_delay_alu instid0(SALU_CYCLE_1)
	s_and_not1_b32 vcc_lo, exec_lo, s40
	s_cbranch_vccnz .LBB14_1377
; %bb.1362:
	s_cmp_lt_i32 s39, 2
	s_mov_b32 s40, -1
	s_cbranch_scc1 .LBB14_1372
; %bb.1363:
	s_cmp_lt_i32 s39, 3
	s_cbranch_scc1 .LBB14_1369
; %bb.1364:
	s_cmp_gt_i32 s39, 3
	s_cbranch_scc0 .LBB14_1366
; %bb.1365:
	s_mov_b32 s40, 0
	s_wait_xcnt 0x0
	v_cndmask_b32_e64 v2, 0, 1, s37
	v_mov_b32_e32 v3, s40
	global_store_b64 v[0:1], v[2:3], off
.LBB14_1366:
	s_and_not1_b32 vcc_lo, exec_lo, s40
	s_cbranch_vccnz .LBB14_1368
; %bb.1367:
	s_wait_xcnt 0x0
	v_cndmask_b32_e64 v2, 0, 1, s37
	global_store_b32 v[0:1], v2, off
.LBB14_1368:
	s_mov_b32 s40, 0
.LBB14_1369:
	s_delay_alu instid0(SALU_CYCLE_1)
	s_and_not1_b32 vcc_lo, exec_lo, s40
	s_cbranch_vccnz .LBB14_1371
; %bb.1370:
	s_wait_xcnt 0x0
	v_cndmask_b32_e64 v2, 0, 1, s37
	global_store_b16 v[0:1], v2, off
.LBB14_1371:
	s_mov_b32 s40, 0
.LBB14_1372:
	s_delay_alu instid0(SALU_CYCLE_1)
	s_and_not1_b32 vcc_lo, exec_lo, s40
	s_cbranch_vccnz .LBB14_1377
; %bb.1373:
	s_wait_xcnt 0x0
	v_cndmask_b32_e64 v2, 0, 1, s37
	s_cmp_gt_i32 s39, 0
	s_mov_b32 s37, -1
	s_cbranch_scc0 .LBB14_1375
; %bb.1374:
	s_mov_b32 s37, 0
	global_store_b8 v[0:1], v2, off
.LBB14_1375:
	s_and_not1_b32 vcc_lo, exec_lo, s37
	s_cbranch_vccnz .LBB14_1377
; %bb.1376:
	global_store_b8 v[0:1], v2, off
.LBB14_1377:
	s_mov_b32 s41, -1
.LBB14_1378:
	s_mov_b32 s40, 0
	s_and_not1_b32 vcc_lo, exec_lo, s41
	s_mov_b32 s42, 0
	s_cbranch_vccnz .LBB14_1380
; %bb.1379:
	v_add_nc_u32_e32 v8, 0x80, v8
	s_mov_b32 s42, -1
.LBB14_1380:
	s_and_not1_b32 s37, s30, exec_lo
	s_and_b32 s0, s0, exec_lo
	s_and_not1_b32 s41, s31, exec_lo
	s_and_b32 s40, s40, exec_lo
	s_or_b32 s39, s37, s0
	s_or_b32 s37, s41, s40
	s_and_not1_b32 s0, s33, exec_lo
	s_and_b32 s38, s38, exec_lo
	s_and_not1_b32 s40, s29, exec_lo
	s_and_b32 s36, s36, exec_lo
	s_or_b32 s38, s0, s38
	s_or_b32 s0, s40, s36
	s_or_not1_b32 s44, s42, exec_lo
.LBB14_1381:
	s_wait_xcnt 0x0
	s_or_b32 exec_lo, exec_lo, s35
	s_mov_b32 s41, 0
	s_mov_b32 s42, 0
	;; [unrolled: 1-line block ×3, first 2 shown]
                                        ; implicit-def: $sgpr35
                                        ; implicit-def: $sgpr36
                                        ; implicit-def: $vgpr0_vgpr1
	s_and_saveexec_b32 s40, s44
	s_cbranch_execz .LBB14_1444
; %bb.1382:
	v_cmp_gt_i32_e32 vcc_lo, s24, v8
	s_mov_b32 s44, s0
	s_mov_b32 s45, 0
                                        ; implicit-def: $sgpr35
                                        ; implicit-def: $sgpr36
                                        ; implicit-def: $vgpr0_vgpr1
	s_and_saveexec_b32 s24, vcc_lo
	s_cbranch_execz .LBB14_1443
; %bb.1383:
	v_mul_lo_u32 v0, v8, s13
	s_and_b32 s36, s16, 0xff
	s_delay_alu instid0(SALU_CYCLE_1) | instskip(NEXT) | instid1(VALU_DEP_1)
	s_cmp_lt_i32 s36, 11
	v_ashrrev_i32_e32 v1, 31, v0
	s_delay_alu instid0(VALU_DEP_1)
	v_add_nc_u64_e32 v[0:1], s[6:7], v[0:1]
	s_cbranch_scc1 .LBB14_1390
; %bb.1384:
	s_and_b32 s42, 0xffff, s36
	s_delay_alu instid0(SALU_CYCLE_1)
	s_cmp_gt_i32 s42, 25
	s_cbranch_scc0 .LBB14_1391
; %bb.1385:
	s_cmp_gt_i32 s42, 28
	s_cbranch_scc0 .LBB14_1392
; %bb.1386:
	;; [unrolled: 3-line block ×4, first 2 shown]
	s_cmp_eq_u32 s42, 46
	s_cbranch_scc0 .LBB14_1395
; %bb.1389:
	global_load_b32 v2, v[0:1], off
	s_mov_b32 s44, -1
	s_wait_loadcnt 0x0
	v_and_b32_e32 v2, 0x7fff7fff, v2
	s_delay_alu instid0(VALU_DEP_1)
	v_cmp_ne_u32_e64 s35, 0, v2
	s_branch .LBB14_1397
.LBB14_1390:
	s_mov_b32 s42, -1
	s_mov_b32 s44, 0
	s_mov_b32 s41, s0
                                        ; implicit-def: $sgpr35
	s_branch .LBB14_1442
.LBB14_1391:
	s_mov_b32 s45, -1
	s_mov_b32 s44, 0
	s_mov_b32 s41, s0
                                        ; implicit-def: $sgpr35
	s_branch .LBB14_1418
.LBB14_1392:
	s_mov_b32 s45, -1
	s_mov_b32 s44, 0
	s_mov_b32 s41, s0
                                        ; implicit-def: $sgpr35
	s_branch .LBB14_1405
.LBB14_1393:
	s_mov_b32 s45, -1
	s_mov_b32 s44, 0
	s_mov_b32 s41, s0
                                        ; implicit-def: $sgpr35
	s_branch .LBB14_1400
.LBB14_1394:
	s_mov_b32 s45, -1
	s_mov_b32 s44, 0
	s_mov_b32 s41, s0
	s_branch .LBB14_1396
.LBB14_1395:
	s_mov_b32 s41, -1
	s_mov_b32 s44, 0
.LBB14_1396:
                                        ; implicit-def: $sgpr35
.LBB14_1397:
	s_and_b32 vcc_lo, exec_lo, s45
	s_cbranch_vccz .LBB14_1399
; %bb.1398:
	s_cmp_lg_u32 s42, 44
	s_mov_b32 s44, -1
	s_cselect_b32 s45, -1, 0
	s_and_not1_b32 s41, s41, exec_lo
	s_and_b32 s45, s45, exec_lo
	s_or_b32 s35, s35, exec_lo
	s_or_b32 s41, s41, s45
.LBB14_1399:
	s_mov_b32 s45, 0
.LBB14_1400:
	s_delay_alu instid0(SALU_CYCLE_1)
	s_and_b32 vcc_lo, exec_lo, s45
	s_cbranch_vccz .LBB14_1404
; %bb.1401:
	s_cmp_eq_u32 s42, 29
	s_cbranch_scc0 .LBB14_1403
; %bb.1402:
	global_load_b64 v[2:3], v[0:1], off
	s_mov_b32 s41, 0
	s_mov_b32 s44, -1
	s_mov_b32 s45, 0
	s_wait_loadcnt 0x0
	v_cmp_ne_u64_e64 s35, 0, v[2:3]
	s_branch .LBB14_1405
.LBB14_1403:
	s_mov_b32 s41, -1
                                        ; implicit-def: $sgpr35
.LBB14_1404:
	s_mov_b32 s45, 0
.LBB14_1405:
	s_delay_alu instid0(SALU_CYCLE_1)
	s_and_b32 vcc_lo, exec_lo, s45
	s_cbranch_vccz .LBB14_1417
; %bb.1406:
	s_cmp_lt_i32 s42, 27
	s_cbranch_scc1 .LBB14_1409
; %bb.1407:
	s_cmp_gt_i32 s42, 27
	s_cbranch_scc0 .LBB14_1410
; %bb.1408:
	global_load_b32 v2, v[0:1], off
	s_mov_b32 s44, 0
	s_wait_loadcnt 0x0
	v_cmp_ne_u32_e64 s35, 0, v2
	s_branch .LBB14_1411
.LBB14_1409:
	s_mov_b32 s44, -1
                                        ; implicit-def: $sgpr35
	s_branch .LBB14_1414
.LBB14_1410:
	s_mov_b32 s44, -1
                                        ; implicit-def: $sgpr35
.LBB14_1411:
	s_delay_alu instid0(SALU_CYCLE_1)
	s_and_not1_b32 vcc_lo, exec_lo, s44
	s_cbranch_vccnz .LBB14_1413
; %bb.1412:
	global_load_u16 v2, v[0:1], off
	s_and_not1_b32 s35, s35, exec_lo
	s_wait_loadcnt 0x0
	v_cmp_ne_u16_e32 vcc_lo, 0, v2
	s_and_b32 s44, vcc_lo, exec_lo
	s_delay_alu instid0(SALU_CYCLE_1)
	s_or_b32 s35, s35, s44
.LBB14_1413:
	s_mov_b32 s44, 0
.LBB14_1414:
	s_delay_alu instid0(SALU_CYCLE_1)
	s_and_not1_b32 vcc_lo, exec_lo, s44
	s_cbranch_vccnz .LBB14_1416
; %bb.1415:
	global_load_u8 v2, v[0:1], off
	s_and_not1_b32 s35, s35, exec_lo
	s_wait_loadcnt 0x0
	v_cmp_ne_u16_e32 vcc_lo, 0, v2
	s_and_b32 s44, vcc_lo, exec_lo
	s_delay_alu instid0(SALU_CYCLE_1)
	s_or_b32 s35, s35, s44
.LBB14_1416:
	s_mov_b32 s44, -1
.LBB14_1417:
	s_mov_b32 s45, 0
.LBB14_1418:
	s_delay_alu instid0(SALU_CYCLE_1)
	s_and_b32 vcc_lo, exec_lo, s45
	s_cbranch_vccz .LBB14_1441
; %bb.1419:
	s_cmp_gt_i32 s42, 22
	s_cbranch_scc0 .LBB14_1423
; %bb.1420:
	s_cmp_lt_i32 s42, 24
	s_cbranch_scc1 .LBB14_1424
; %bb.1421:
	s_cmp_gt_i32 s42, 24
	s_cbranch_scc0 .LBB14_1425
; %bb.1422:
	global_load_u8 v2, v[0:1], off
	s_wait_loadcnt 0x0
	v_cmp_ne_u16_e64 s35, 0, v2
	s_branch .LBB14_1426
.LBB14_1423:
	s_mov_b32 s43, -1
                                        ; implicit-def: $sgpr35
	s_branch .LBB14_1432
.LBB14_1424:
	s_mov_b32 s43, -1
                                        ; implicit-def: $sgpr35
	s_branch .LBB14_1429
.LBB14_1425:
	s_mov_b32 s43, -1
                                        ; implicit-def: $sgpr35
.LBB14_1426:
	s_delay_alu instid0(SALU_CYCLE_1)
	s_and_not1_b32 vcc_lo, exec_lo, s43
	s_cbranch_vccnz .LBB14_1428
; %bb.1427:
	global_load_u8 v2, v[0:1], off
	s_and_not1_b32 s35, s35, exec_lo
	s_wait_loadcnt 0x0
	v_and_b32_e32 v2, 0x7f, v2
	s_delay_alu instid0(VALU_DEP_1) | instskip(SKIP_1) | instid1(SALU_CYCLE_1)
	v_cmp_ne_u16_e32 vcc_lo, 0, v2
	s_and_b32 s43, vcc_lo, exec_lo
	s_or_b32 s35, s35, s43
.LBB14_1428:
	s_mov_b32 s43, 0
.LBB14_1429:
	s_delay_alu instid0(SALU_CYCLE_1)
	s_and_not1_b32 vcc_lo, exec_lo, s43
	s_cbranch_vccnz .LBB14_1431
; %bb.1430:
	global_load_u8 v2, v[0:1], off
	s_and_not1_b32 s35, s35, exec_lo
	s_wait_loadcnt 0x0
	v_dual_lshlrev_b32 v3, 25, v2 :: v_dual_lshlrev_b32 v2, 8, v2
	s_delay_alu instid0(VALU_DEP_1) | instskip(NEXT) | instid1(VALU_DEP_2)
	v_cmp_gt_u32_e32 vcc_lo, 0x8000000, v3
	v_and_or_b32 v2, 0x7f00, v2, 0.5
	s_delay_alu instid0(VALU_DEP_1) | instskip(NEXT) | instid1(VALU_DEP_1)
	v_dual_lshrrev_b32 v4, 4, v3 :: v_dual_add_f32 v2, -0.5, v2
	v_or_b32_e32 v4, 0x70000000, v4
	s_delay_alu instid0(VALU_DEP_1) | instskip(NEXT) | instid1(VALU_DEP_1)
	v_mul_f32_e32 v4, 0x7800000, v4
	v_cndmask_b32_e32 v2, v4, v2, vcc_lo
	s_delay_alu instid0(VALU_DEP_1) | instskip(SKIP_1) | instid1(SALU_CYCLE_1)
	v_cmp_neq_f32_e32 vcc_lo, 0, v2
	s_and_b32 s43, vcc_lo, exec_lo
	s_or_b32 s35, s35, s43
.LBB14_1431:
	s_mov_b32 s43, 0
	s_mov_b32 s44, -1
.LBB14_1432:
	s_and_not1_b32 vcc_lo, exec_lo, s43
	s_mov_b32 s43, 0
	s_cbranch_vccnz .LBB14_1441
; %bb.1433:
	s_cmp_gt_i32 s42, 14
	s_cbranch_scc0 .LBB14_1436
; %bb.1434:
	s_cmp_eq_u32 s42, 15
	s_cbranch_scc0 .LBB14_1437
; %bb.1435:
	global_load_u16 v2, v[0:1], off
	s_mov_b32 s41, 0
	s_mov_b32 s44, -1
	s_wait_loadcnt 0x0
	v_and_b32_e32 v2, 0x7fff, v2
	s_delay_alu instid0(VALU_DEP_1)
	v_cmp_ne_u16_e64 s35, 0, v2
	s_branch .LBB14_1439
.LBB14_1436:
	s_mov_b32 s43, -1
	s_branch .LBB14_1438
.LBB14_1437:
	s_mov_b32 s41, -1
.LBB14_1438:
                                        ; implicit-def: $sgpr35
.LBB14_1439:
	s_and_b32 vcc_lo, exec_lo, s43
	s_mov_b32 s43, 0
	s_cbranch_vccz .LBB14_1441
; %bb.1440:
	s_cmp_lg_u32 s42, 11
	s_mov_b32 s43, -1
	s_cselect_b32 s42, -1, 0
	s_and_not1_b32 s41, s41, exec_lo
	s_and_b32 s42, s42, exec_lo
	s_delay_alu instid0(SALU_CYCLE_1)
	s_or_b32 s41, s41, s42
.LBB14_1441:
	s_mov_b32 s42, 0
.LBB14_1442:
	s_and_b32 s45, s44, exec_lo
	s_and_not1_b32 s44, s0, exec_lo
	s_and_b32 s46, s41, exec_lo
	s_and_b32 s42, s42, exec_lo
	;; [unrolled: 1-line block ×3, first 2 shown]
	s_or_b32 s44, s44, s46
.LBB14_1443:
	s_wait_xcnt 0x0
	s_or_b32 exec_lo, exec_lo, s24
	s_delay_alu instid0(SALU_CYCLE_1)
	s_and_not1_b32 s0, s0, exec_lo
	s_and_b32 s24, s44, exec_lo
	s_and_b32 s43, s45, exec_lo
	;; [unrolled: 1-line block ×4, first 2 shown]
	s_or_b32 s0, s0, s24
.LBB14_1444:
	s_or_b32 exec_lo, exec_lo, s40
	s_delay_alu instid0(SALU_CYCLE_1)
	s_and_not1_b32 s24, s30, exec_lo
	s_and_b32 s30, s39, exec_lo
	s_and_not1_b32 s33, s33, exec_lo
	s_or_b32 s30, s24, s30
	s_and_not1_b32 s24, s31, exec_lo
	s_and_b32 s31, s37, exec_lo
	s_and_b32 s37, s38, exec_lo
	s_or_b32 s31, s24, s31
	s_and_not1_b32 s24, s29, exec_lo
	s_and_b32 s0, s0, exec_lo
	s_or_b32 s33, s33, s37
	s_and_b32 s39, s43, exec_lo
	s_and_b32 s38, s42, exec_lo
	;; [unrolled: 1-line block ×3, first 2 shown]
	s_or_b32 s29, s24, s0
.LBB14_1445:
	s_or_b32 exec_lo, exec_lo, s34
	s_delay_alu instid0(SALU_CYCLE_1)
	s_and_not1_b32 s0, s23, exec_lo
	s_and_b32 s23, s30, exec_lo
	s_and_b32 s24, s31, exec_lo
	s_or_b32 s23, s0, s23
	s_and_not1_b32 s0, s25, exec_lo
	s_and_not1_b32 s26, s26, exec_lo
	s_and_b32 s30, s33, exec_lo
	s_or_b32 s25, s0, s24
	s_and_not1_b32 s24, s27, exec_lo
	s_and_b32 s27, s29, exec_lo
	s_or_b32 s26, s26, s30
	s_and_b32 s30, s39, exec_lo
	s_and_b32 s0, s38, exec_lo
	;; [unrolled: 1-line block ×3, first 2 shown]
	s_or_b32 s27, s24, s27
	s_or_b32 exec_lo, exec_lo, s28
	s_mov_b32 s24, 0
	s_and_saveexec_b32 s28, s27
	s_cbranch_execz .LBB14_457
.LBB14_1446:
	s_mov_b32 s24, exec_lo
	s_and_not1_b32 s30, s30, exec_lo
	s_and_not1_b32 s29, s29, exec_lo
	s_trap 2
	s_or_b32 exec_lo, exec_lo, s28
	s_and_saveexec_b32 s27, s29
	s_delay_alu instid0(SALU_CYCLE_1)
	s_xor_b32 s27, exec_lo, s27
	s_cbranch_execz .LBB14_458
.LBB14_1447:
	global_load_u8 v2, v[0:1], off
	s_and_not1_b32 s28, s35, exec_lo
	s_or_b32 s30, s30, exec_lo
	s_wait_loadcnt 0x0
	v_cmp_ne_u16_e32 vcc_lo, 0, v2
	s_and_b32 s29, vcc_lo, exec_lo
	s_delay_alu instid0(SALU_CYCLE_1)
	s_or_b32 s35, s28, s29
	s_wait_xcnt 0x0
	s_or_b32 exec_lo, exec_lo, s27
	s_and_saveexec_b32 s27, s0
	s_cbranch_execz .LBB14_1493
.LBB14_1448:
	s_sext_i32_i16 s0, s36
	s_delay_alu instid0(SALU_CYCLE_1)
	s_cmp_lt_i32 s0, 5
	s_cbranch_scc1 .LBB14_1453
; %bb.1449:
	s_cmp_lt_i32 s0, 8
	s_cbranch_scc1 .LBB14_1454
; %bb.1450:
	;; [unrolled: 3-line block ×3, first 2 shown]
	s_cmp_gt_i32 s0, 9
	s_cbranch_scc0 .LBB14_1456
; %bb.1452:
	global_load_b128 v[2:5], v[0:1], off
	s_mov_b32 s28, 0
	s_wait_loadcnt 0x0
	v_cmp_neq_f64_e32 vcc_lo, 0, v[2:3]
	v_cmp_neq_f64_e64 s0, 0, v[4:5]
	s_or_b32 s0, vcc_lo, s0
	s_branch .LBB14_1457
.LBB14_1453:
                                        ; implicit-def: $sgpr0
	s_branch .LBB14_1474
.LBB14_1454:
                                        ; implicit-def: $sgpr0
	s_branch .LBB14_1463
.LBB14_1455:
	s_mov_b32 s28, -1
                                        ; implicit-def: $sgpr0
	s_branch .LBB14_1460
.LBB14_1456:
	s_mov_b32 s28, -1
                                        ; implicit-def: $sgpr0
.LBB14_1457:
	s_delay_alu instid0(SALU_CYCLE_1)
	s_and_not1_b32 vcc_lo, exec_lo, s28
	s_cbranch_vccnz .LBB14_1459
; %bb.1458:
	global_load_b64 v[2:3], v[0:1], off
	s_and_not1_b32 s0, s0, exec_lo
	s_wait_loadcnt 0x0
	v_bitop3_b32 v2, v2, 0x7fffffff, v3 bitop3:0xc8
	s_delay_alu instid0(VALU_DEP_1) | instskip(SKIP_1) | instid1(SALU_CYCLE_1)
	v_cmp_ne_u32_e32 vcc_lo, 0, v2
	s_and_b32 s28, vcc_lo, exec_lo
	s_or_b32 s0, s0, s28
.LBB14_1459:
	s_mov_b32 s28, 0
.LBB14_1460:
	s_delay_alu instid0(SALU_CYCLE_1)
	s_and_not1_b32 vcc_lo, exec_lo, s28
	s_cbranch_vccnz .LBB14_1462
; %bb.1461:
	global_load_b32 v2, v[0:1], off
	s_and_not1_b32 s0, s0, exec_lo
	s_wait_loadcnt 0x0
	v_and_b32_e32 v2, 0x7fff7fff, v2
	s_delay_alu instid0(VALU_DEP_1) | instskip(SKIP_1) | instid1(SALU_CYCLE_1)
	v_cmp_ne_u32_e32 vcc_lo, 0, v2
	s_and_b32 s28, vcc_lo, exec_lo
	s_or_b32 s0, s0, s28
.LBB14_1462:
	s_cbranch_execnz .LBB14_1473
.LBB14_1463:
	s_sext_i32_i16 s0, s36
	s_delay_alu instid0(SALU_CYCLE_1)
	s_cmp_lt_i32 s0, 6
	s_cbranch_scc1 .LBB14_1466
; %bb.1464:
	s_cmp_gt_i32 s0, 6
	s_cbranch_scc0 .LBB14_1467
; %bb.1465:
	global_load_b64 v[2:3], v[0:1], off
	s_mov_b32 s28, 0
	s_wait_loadcnt 0x0
	v_cmp_neq_f64_e64 s0, 0, v[2:3]
	s_branch .LBB14_1468
.LBB14_1466:
	s_mov_b32 s28, -1
                                        ; implicit-def: $sgpr0
	s_branch .LBB14_1471
.LBB14_1467:
	s_mov_b32 s28, -1
                                        ; implicit-def: $sgpr0
.LBB14_1468:
	s_delay_alu instid0(SALU_CYCLE_1)
	s_and_not1_b32 vcc_lo, exec_lo, s28
	s_cbranch_vccnz .LBB14_1470
; %bb.1469:
	global_load_b32 v2, v[0:1], off
	s_and_not1_b32 s0, s0, exec_lo
	s_wait_loadcnt 0x0
	v_cmp_neq_f32_e32 vcc_lo, 0, v2
	s_and_b32 s28, vcc_lo, exec_lo
	s_delay_alu instid0(SALU_CYCLE_1)
	s_or_b32 s0, s0, s28
.LBB14_1470:
	s_mov_b32 s28, 0
.LBB14_1471:
	s_delay_alu instid0(SALU_CYCLE_1)
	s_and_not1_b32 vcc_lo, exec_lo, s28
	s_cbranch_vccnz .LBB14_1473
; %bb.1472:
	global_load_u16 v2, v[0:1], off
	s_and_not1_b32 s0, s0, exec_lo
	s_wait_loadcnt 0x0
	v_and_b32_e32 v2, 0x7fff, v2
	s_delay_alu instid0(VALU_DEP_1) | instskip(SKIP_1) | instid1(SALU_CYCLE_1)
	v_cmp_ne_u16_e32 vcc_lo, 0, v2
	s_and_b32 s28, vcc_lo, exec_lo
	s_or_b32 s0, s0, s28
.LBB14_1473:
	s_cbranch_execnz .LBB14_1492
.LBB14_1474:
	s_sext_i32_i16 s0, s36
	s_delay_alu instid0(SALU_CYCLE_1)
	s_cmp_lt_i32 s0, 2
	s_cbranch_scc1 .LBB14_1478
; %bb.1475:
	s_cmp_lt_i32 s0, 3
	s_cbranch_scc1 .LBB14_1479
; %bb.1476:
	s_cmp_gt_i32 s0, 3
	s_cbranch_scc0 .LBB14_1480
; %bb.1477:
	global_load_b64 v[2:3], v[0:1], off
	s_mov_b32 s28, 0
	s_wait_loadcnt 0x0
	v_cmp_ne_u64_e64 s0, 0, v[2:3]
	s_branch .LBB14_1481
.LBB14_1478:
                                        ; implicit-def: $sgpr0
	s_branch .LBB14_1487
.LBB14_1479:
	s_mov_b32 s28, -1
                                        ; implicit-def: $sgpr0
	s_branch .LBB14_1484
.LBB14_1480:
	s_mov_b32 s28, -1
                                        ; implicit-def: $sgpr0
.LBB14_1481:
	s_delay_alu instid0(SALU_CYCLE_1)
	s_and_not1_b32 vcc_lo, exec_lo, s28
	s_cbranch_vccnz .LBB14_1483
; %bb.1482:
	global_load_b32 v2, v[0:1], off
	s_and_not1_b32 s0, s0, exec_lo
	s_wait_loadcnt 0x0
	v_cmp_ne_u32_e32 vcc_lo, 0, v2
	s_and_b32 s28, vcc_lo, exec_lo
	s_delay_alu instid0(SALU_CYCLE_1)
	s_or_b32 s0, s0, s28
.LBB14_1483:
	s_mov_b32 s28, 0
.LBB14_1484:
	s_delay_alu instid0(SALU_CYCLE_1)
	s_and_not1_b32 vcc_lo, exec_lo, s28
	s_cbranch_vccnz .LBB14_1486
; %bb.1485:
	global_load_u16 v2, v[0:1], off
	s_and_not1_b32 s0, s0, exec_lo
	s_wait_loadcnt 0x0
	v_cmp_ne_u16_e32 vcc_lo, 0, v2
	s_and_b32 s28, vcc_lo, exec_lo
	s_delay_alu instid0(SALU_CYCLE_1)
	s_or_b32 s0, s0, s28
.LBB14_1486:
	s_cbranch_execnz .LBB14_1492
.LBB14_1487:
	s_sext_i32_i16 s0, s36
	s_mov_b32 s28, 0
	s_cmp_gt_i32 s0, 0
	s_cbranch_scc0 .LBB14_1489
; %bb.1488:
	global_load_u8 v2, v[0:1], off
	s_wait_loadcnt 0x0
	v_cmp_ne_u16_e64 s0, 0, v2
	s_branch .LBB14_1490
.LBB14_1489:
	s_mov_b32 s28, -1
                                        ; implicit-def: $sgpr0
.LBB14_1490:
	s_delay_alu instid0(SALU_CYCLE_1)
	s_and_not1_b32 vcc_lo, exec_lo, s28
	s_cbranch_vccnz .LBB14_1492
; %bb.1491:
	global_load_u8 v0, v[0:1], off
	s_and_not1_b32 s0, s0, exec_lo
	s_wait_loadcnt 0x0
	v_cmp_ne_u16_e32 vcc_lo, 0, v0
	s_and_b32 s28, vcc_lo, exec_lo
	s_delay_alu instid0(SALU_CYCLE_1)
	s_or_b32 s0, s0, s28
.LBB14_1492:
	s_and_not1_b32 s28, s35, exec_lo
	s_delay_alu instid0(VALU_DEP_1)
	s_and_b32 s0, s0, exec_lo
	s_or_b32 s30, s30, exec_lo
	s_or_b32 s35, s28, s0
.LBB14_1493:
	s_wait_xcnt 0x0
	s_or_b32 exec_lo, exec_lo, s27
	s_mov_b32 s31, 0
	s_mov_b32 s33, 0
	;; [unrolled: 1-line block ×3, first 2 shown]
                                        ; implicit-def: $sgpr27
                                        ; implicit-def: $sgpr28
                                        ; implicit-def: $vgpr0_vgpr1
	s_and_saveexec_b32 s0, s30
	s_cbranch_execnz .LBB14_1497
; %bb.1494:
	s_or_b32 exec_lo, exec_lo, s0
	s_and_saveexec_b32 s0, s26
	s_cbranch_execnz .LBB14_1556
.LBB14_1495:
	s_or_b32 exec_lo, exec_lo, s0
	s_and_saveexec_b32 s0, s31
	s_delay_alu instid0(SALU_CYCLE_1)
	s_xor_b32 s0, exec_lo, s0
	s_cbranch_execnz .LBB14_1557
.LBB14_1496:
	s_or_b32 exec_lo, exec_lo, s0
	s_and_saveexec_b32 s26, s33
	s_cbranch_execnz .LBB14_1558
	s_branch .LBB14_1603
.LBB14_1497:
	v_mul_lo_u32 v0, v8, s14
	s_and_b32 s28, s3, 0xff
	s_delay_alu instid0(SALU_CYCLE_1) | instskip(NEXT) | instid1(VALU_DEP_1)
	s_cmp_lt_i32 s28, 11
	v_ashrrev_i32_e32 v1, 31, v0
	s_delay_alu instid0(VALU_DEP_1)
	v_add_nc_u64_e32 v[0:1], s[8:9], v[0:1]
	s_cbranch_scc1 .LBB14_1504
; %bb.1498:
	s_and_b32 s29, 0xffff, s28
	s_delay_alu instid0(SALU_CYCLE_1)
	s_cmp_gt_i32 s29, 25
	s_cbranch_scc0 .LBB14_1505
; %bb.1499:
	s_cmp_gt_i32 s29, 28
	s_cbranch_scc0 .LBB14_1506
; %bb.1500:
	;; [unrolled: 3-line block ×4, first 2 shown]
	s_cmp_eq_u32 s29, 46
	s_mov_b32 s34, 0
	s_cbranch_scc0 .LBB14_1509
; %bb.1503:
	global_load_b32 v2, v[0:1], off
	s_mov_b32 s30, 0
	s_mov_b32 s33, -1
	s_wait_loadcnt 0x0
	v_and_b32_e32 v2, 0x7fff7fff, v2
	s_delay_alu instid0(VALU_DEP_1)
	v_cmp_ne_u32_e64 s27, 0, v2
	s_branch .LBB14_1511
.LBB14_1504:
	s_mov_b32 s34, -1
	s_mov_b32 s30, s26
                                        ; implicit-def: $sgpr27
	s_branch .LBB14_1555
.LBB14_1505:
	s_mov_b32 s30, s26
                                        ; implicit-def: $sgpr27
	s_cbranch_execnz .LBB14_1532
	s_branch .LBB14_1554
.LBB14_1506:
	s_mov_b32 s34, -1
	s_mov_b32 s30, s26
                                        ; implicit-def: $sgpr27
	s_branch .LBB14_1519
.LBB14_1507:
	s_mov_b32 s34, -1
	s_mov_b32 s30, s26
                                        ; implicit-def: $sgpr27
	s_branch .LBB14_1514
.LBB14_1508:
	s_mov_b32 s34, -1
	s_mov_b32 s30, s26
	s_branch .LBB14_1510
.LBB14_1509:
	s_mov_b32 s30, -1
.LBB14_1510:
                                        ; implicit-def: $sgpr27
.LBB14_1511:
	s_and_b32 vcc_lo, exec_lo, s34
	s_cbranch_vccz .LBB14_1513
; %bb.1512:
	s_cmp_lg_u32 s29, 44
	s_mov_b32 s33, -1
	s_cselect_b32 s34, -1, 0
	s_and_not1_b32 s30, s30, exec_lo
	s_and_b32 s34, s34, exec_lo
	s_or_b32 s27, s27, exec_lo
	s_or_b32 s30, s30, s34
.LBB14_1513:
	s_mov_b32 s34, 0
.LBB14_1514:
	s_delay_alu instid0(SALU_CYCLE_1)
	s_and_b32 vcc_lo, exec_lo, s34
	s_cbranch_vccz .LBB14_1518
; %bb.1515:
	s_cmp_eq_u32 s29, 29
	s_cbranch_scc0 .LBB14_1517
; %bb.1516:
	global_load_b64 v[2:3], v[0:1], off
	s_mov_b32 s30, 0
	s_mov_b32 s33, -1
	s_mov_b32 s34, 0
	s_wait_loadcnt 0x0
	v_cmp_ne_u64_e64 s27, 0, v[2:3]
	s_branch .LBB14_1519
.LBB14_1517:
	s_mov_b32 s30, -1
                                        ; implicit-def: $sgpr27
.LBB14_1518:
	s_mov_b32 s34, 0
.LBB14_1519:
	s_delay_alu instid0(SALU_CYCLE_1)
	s_and_b32 vcc_lo, exec_lo, s34
	s_cbranch_vccz .LBB14_1531
; %bb.1520:
	s_cmp_lt_i32 s29, 27
	s_cbranch_scc1 .LBB14_1523
; %bb.1521:
	s_cmp_gt_i32 s29, 27
	s_cbranch_scc0 .LBB14_1524
; %bb.1522:
	global_load_b32 v2, v[0:1], off
	s_mov_b32 s33, 0
	s_wait_loadcnt 0x0
	v_cmp_ne_u32_e64 s27, 0, v2
	s_branch .LBB14_1525
.LBB14_1523:
	s_mov_b32 s33, -1
                                        ; implicit-def: $sgpr27
	s_branch .LBB14_1528
.LBB14_1524:
	s_mov_b32 s33, -1
                                        ; implicit-def: $sgpr27
.LBB14_1525:
	s_delay_alu instid0(SALU_CYCLE_1)
	s_and_not1_b32 vcc_lo, exec_lo, s33
	s_cbranch_vccnz .LBB14_1527
; %bb.1526:
	global_load_u16 v2, v[0:1], off
	s_and_not1_b32 s27, s27, exec_lo
	s_wait_loadcnt 0x0
	v_cmp_ne_u16_e32 vcc_lo, 0, v2
	s_and_b32 s33, vcc_lo, exec_lo
	s_delay_alu instid0(SALU_CYCLE_1)
	s_or_b32 s27, s27, s33
.LBB14_1527:
	s_mov_b32 s33, 0
.LBB14_1528:
	s_delay_alu instid0(SALU_CYCLE_1)
	s_and_not1_b32 vcc_lo, exec_lo, s33
	s_cbranch_vccnz .LBB14_1530
; %bb.1529:
	global_load_u8 v2, v[0:1], off
	s_and_not1_b32 s27, s27, exec_lo
	s_wait_loadcnt 0x0
	v_cmp_ne_u16_e32 vcc_lo, 0, v2
	s_and_b32 s33, vcc_lo, exec_lo
	s_delay_alu instid0(SALU_CYCLE_1)
	s_or_b32 s27, s27, s33
.LBB14_1530:
	s_mov_b32 s33, -1
.LBB14_1531:
	s_branch .LBB14_1554
.LBB14_1532:
	s_cmp_gt_i32 s29, 22
	s_cbranch_scc0 .LBB14_1536
; %bb.1533:
	s_cmp_lt_i32 s29, 24
	s_cbranch_scc1 .LBB14_1537
; %bb.1534:
	s_cmp_gt_i32 s29, 24
	s_cbranch_scc0 .LBB14_1538
; %bb.1535:
	global_load_u8 v2, v[0:1], off
	s_wait_loadcnt 0x0
	v_cmp_ne_u16_e64 s27, 0, v2
	s_branch .LBB14_1539
.LBB14_1536:
	s_mov_b32 s31, -1
                                        ; implicit-def: $sgpr27
	s_branch .LBB14_1545
.LBB14_1537:
	s_mov_b32 s31, -1
                                        ; implicit-def: $sgpr27
	s_branch .LBB14_1542
.LBB14_1538:
	s_mov_b32 s31, -1
                                        ; implicit-def: $sgpr27
.LBB14_1539:
	s_delay_alu instid0(SALU_CYCLE_1)
	s_and_not1_b32 vcc_lo, exec_lo, s31
	s_cbranch_vccnz .LBB14_1541
; %bb.1540:
	global_load_u8 v2, v[0:1], off
	s_and_not1_b32 s27, s27, exec_lo
	s_wait_loadcnt 0x0
	v_and_b32_e32 v2, 0x7f, v2
	s_delay_alu instid0(VALU_DEP_1) | instskip(SKIP_1) | instid1(SALU_CYCLE_1)
	v_cmp_ne_u16_e32 vcc_lo, 0, v2
	s_and_b32 s31, vcc_lo, exec_lo
	s_or_b32 s27, s27, s31
.LBB14_1541:
	s_mov_b32 s31, 0
.LBB14_1542:
	s_delay_alu instid0(SALU_CYCLE_1)
	s_and_not1_b32 vcc_lo, exec_lo, s31
	s_cbranch_vccnz .LBB14_1544
; %bb.1543:
	global_load_u8 v2, v[0:1], off
	s_and_not1_b32 s27, s27, exec_lo
	s_wait_loadcnt 0x0
	v_dual_lshlrev_b32 v3, 25, v2 :: v_dual_lshlrev_b32 v2, 8, v2
	s_delay_alu instid0(VALU_DEP_1) | instskip(NEXT) | instid1(VALU_DEP_2)
	v_cmp_gt_u32_e32 vcc_lo, 0x8000000, v3
	v_and_or_b32 v2, 0x7f00, v2, 0.5
	s_delay_alu instid0(VALU_DEP_1) | instskip(NEXT) | instid1(VALU_DEP_1)
	v_dual_lshrrev_b32 v4, 4, v3 :: v_dual_add_f32 v2, -0.5, v2
	v_or_b32_e32 v4, 0x70000000, v4
	s_delay_alu instid0(VALU_DEP_1) | instskip(NEXT) | instid1(VALU_DEP_1)
	v_mul_f32_e32 v4, 0x7800000, v4
	v_cndmask_b32_e32 v2, v4, v2, vcc_lo
	s_delay_alu instid0(VALU_DEP_1) | instskip(SKIP_1) | instid1(SALU_CYCLE_1)
	v_cmp_neq_f32_e32 vcc_lo, 0, v2
	s_and_b32 s31, vcc_lo, exec_lo
	s_or_b32 s27, s27, s31
.LBB14_1544:
	s_mov_b32 s31, 0
	s_mov_b32 s33, -1
.LBB14_1545:
	s_and_not1_b32 vcc_lo, exec_lo, s31
	s_mov_b32 s31, 0
	s_cbranch_vccnz .LBB14_1554
; %bb.1546:
	s_cmp_gt_i32 s29, 14
	s_cbranch_scc0 .LBB14_1549
; %bb.1547:
	s_cmp_eq_u32 s29, 15
	s_cbranch_scc0 .LBB14_1550
; %bb.1548:
	global_load_u16 v2, v[0:1], off
	s_mov_b32 s30, 0
	s_mov_b32 s33, -1
	s_wait_loadcnt 0x0
	v_and_b32_e32 v2, 0x7fff, v2
	s_delay_alu instid0(VALU_DEP_1)
	v_cmp_ne_u16_e64 s27, 0, v2
	s_branch .LBB14_1552
.LBB14_1549:
	s_mov_b32 s31, -1
	s_branch .LBB14_1551
.LBB14_1550:
	s_mov_b32 s30, -1
.LBB14_1551:
                                        ; implicit-def: $sgpr27
.LBB14_1552:
	s_and_b32 vcc_lo, exec_lo, s31
	s_mov_b32 s31, 0
	s_cbranch_vccz .LBB14_1554
; %bb.1553:
	s_cmp_lg_u32 s29, 11
	s_mov_b32 s31, -1
	s_cselect_b32 s29, -1, 0
	s_and_not1_b32 s30, s30, exec_lo
	s_and_b32 s29, s29, exec_lo
	s_delay_alu instid0(SALU_CYCLE_1)
	s_or_b32 s30, s30, s29
.LBB14_1554:
	s_mov_b32 s34, 0
.LBB14_1555:
	s_and_not1_b32 s26, s26, exec_lo
	s_and_b32 s30, s30, exec_lo
	s_and_b32 s29, s33, exec_lo
	;; [unrolled: 1-line block ×4, first 2 shown]
	s_or_b32 s26, s26, s30
	s_wait_xcnt 0x0
	s_or_b32 exec_lo, exec_lo, s0
	s_and_saveexec_b32 s0, s26
	s_cbranch_execz .LBB14_1495
.LBB14_1556:
	s_or_b32 s24, s24, exec_lo
	s_and_not1_b32 s29, s29, exec_lo
	s_and_not1_b32 s31, s31, exec_lo
	s_trap 2
	s_or_b32 exec_lo, exec_lo, s0
	s_and_saveexec_b32 s0, s31
	s_delay_alu instid0(SALU_CYCLE_1)
	s_xor_b32 s0, exec_lo, s0
	s_cbranch_execz .LBB14_1496
.LBB14_1557:
	global_load_u8 v2, v[0:1], off
	s_and_not1_b32 s26, s27, exec_lo
	s_or_b32 s29, s29, exec_lo
	s_wait_loadcnt 0x0
	v_cmp_ne_u16_e32 vcc_lo, 0, v2
	s_and_b32 s27, vcc_lo, exec_lo
	s_delay_alu instid0(SALU_CYCLE_1)
	s_or_b32 s27, s26, s27
	s_wait_xcnt 0x0
	s_or_b32 exec_lo, exec_lo, s0
	s_and_saveexec_b32 s26, s33
	s_cbranch_execz .LBB14_1603
.LBB14_1558:
	s_sext_i32_i16 s0, s28
	s_delay_alu instid0(SALU_CYCLE_1)
	s_cmp_lt_i32 s0, 5
	s_cbranch_scc1 .LBB14_1563
; %bb.1559:
	s_cmp_lt_i32 s0, 8
	s_cbranch_scc1 .LBB14_1564
; %bb.1560:
	;; [unrolled: 3-line block ×3, first 2 shown]
	s_cmp_gt_i32 s0, 9
	s_cbranch_scc0 .LBB14_1566
; %bb.1562:
	global_load_b128 v[2:5], v[0:1], off
	s_mov_b32 s30, 0
	s_wait_loadcnt 0x0
	v_cmp_neq_f64_e32 vcc_lo, 0, v[2:3]
	v_cmp_neq_f64_e64 s0, 0, v[4:5]
	s_or_b32 s0, vcc_lo, s0
	s_branch .LBB14_1567
.LBB14_1563:
                                        ; implicit-def: $sgpr0
	s_branch .LBB14_1584
.LBB14_1564:
                                        ; implicit-def: $sgpr0
	s_branch .LBB14_1573
.LBB14_1565:
	s_mov_b32 s30, -1
                                        ; implicit-def: $sgpr0
	s_branch .LBB14_1570
.LBB14_1566:
	s_mov_b32 s30, -1
                                        ; implicit-def: $sgpr0
.LBB14_1567:
	s_delay_alu instid0(SALU_CYCLE_1)
	s_and_not1_b32 vcc_lo, exec_lo, s30
	s_cbranch_vccnz .LBB14_1569
; %bb.1568:
	global_load_b64 v[2:3], v[0:1], off
	s_and_not1_b32 s0, s0, exec_lo
	s_wait_loadcnt 0x0
	v_bitop3_b32 v2, v2, 0x7fffffff, v3 bitop3:0xc8
	s_delay_alu instid0(VALU_DEP_1) | instskip(SKIP_1) | instid1(SALU_CYCLE_1)
	v_cmp_ne_u32_e32 vcc_lo, 0, v2
	s_and_b32 s30, vcc_lo, exec_lo
	s_or_b32 s0, s0, s30
.LBB14_1569:
	s_mov_b32 s30, 0
.LBB14_1570:
	s_delay_alu instid0(SALU_CYCLE_1)
	s_and_not1_b32 vcc_lo, exec_lo, s30
	s_cbranch_vccnz .LBB14_1572
; %bb.1571:
	global_load_b32 v2, v[0:1], off
	s_and_not1_b32 s0, s0, exec_lo
	s_wait_loadcnt 0x0
	v_and_b32_e32 v2, 0x7fff7fff, v2
	s_delay_alu instid0(VALU_DEP_1) | instskip(SKIP_1) | instid1(SALU_CYCLE_1)
	v_cmp_ne_u32_e32 vcc_lo, 0, v2
	s_and_b32 s30, vcc_lo, exec_lo
	s_or_b32 s0, s0, s30
.LBB14_1572:
	s_cbranch_execnz .LBB14_1583
.LBB14_1573:
	s_sext_i32_i16 s0, s28
	s_delay_alu instid0(SALU_CYCLE_1)
	s_cmp_lt_i32 s0, 6
	s_cbranch_scc1 .LBB14_1576
; %bb.1574:
	s_cmp_gt_i32 s0, 6
	s_cbranch_scc0 .LBB14_1577
; %bb.1575:
	global_load_b64 v[2:3], v[0:1], off
	s_mov_b32 s30, 0
	s_wait_loadcnt 0x0
	v_cmp_neq_f64_e64 s0, 0, v[2:3]
	s_branch .LBB14_1578
.LBB14_1576:
	s_mov_b32 s30, -1
                                        ; implicit-def: $sgpr0
	s_branch .LBB14_1581
.LBB14_1577:
	s_mov_b32 s30, -1
                                        ; implicit-def: $sgpr0
.LBB14_1578:
	s_delay_alu instid0(SALU_CYCLE_1)
	s_and_not1_b32 vcc_lo, exec_lo, s30
	s_cbranch_vccnz .LBB14_1580
; %bb.1579:
	global_load_b32 v2, v[0:1], off
	s_and_not1_b32 s0, s0, exec_lo
	s_wait_loadcnt 0x0
	v_cmp_neq_f32_e32 vcc_lo, 0, v2
	s_and_b32 s30, vcc_lo, exec_lo
	s_delay_alu instid0(SALU_CYCLE_1)
	s_or_b32 s0, s0, s30
.LBB14_1580:
	s_mov_b32 s30, 0
.LBB14_1581:
	s_delay_alu instid0(SALU_CYCLE_1)
	s_and_not1_b32 vcc_lo, exec_lo, s30
	s_cbranch_vccnz .LBB14_1583
; %bb.1582:
	global_load_u16 v2, v[0:1], off
	s_and_not1_b32 s0, s0, exec_lo
	s_wait_loadcnt 0x0
	v_and_b32_e32 v2, 0x7fff, v2
	s_delay_alu instid0(VALU_DEP_1) | instskip(SKIP_1) | instid1(SALU_CYCLE_1)
	v_cmp_ne_u16_e32 vcc_lo, 0, v2
	s_and_b32 s30, vcc_lo, exec_lo
	s_or_b32 s0, s0, s30
.LBB14_1583:
	s_cbranch_execnz .LBB14_1602
.LBB14_1584:
	s_sext_i32_i16 s0, s28
	s_delay_alu instid0(SALU_CYCLE_1)
	s_cmp_lt_i32 s0, 2
	s_cbranch_scc1 .LBB14_1588
; %bb.1585:
	s_cmp_lt_i32 s0, 3
	s_cbranch_scc1 .LBB14_1589
; %bb.1586:
	s_cmp_gt_i32 s0, 3
	s_cbranch_scc0 .LBB14_1590
; %bb.1587:
	global_load_b64 v[2:3], v[0:1], off
	s_mov_b32 s30, 0
	s_wait_loadcnt 0x0
	v_cmp_ne_u64_e64 s0, 0, v[2:3]
	s_branch .LBB14_1591
.LBB14_1588:
                                        ; implicit-def: $sgpr0
	s_branch .LBB14_1597
.LBB14_1589:
	s_mov_b32 s30, -1
                                        ; implicit-def: $sgpr0
	s_branch .LBB14_1594
.LBB14_1590:
	s_mov_b32 s30, -1
                                        ; implicit-def: $sgpr0
.LBB14_1591:
	s_delay_alu instid0(SALU_CYCLE_1)
	s_and_not1_b32 vcc_lo, exec_lo, s30
	s_cbranch_vccnz .LBB14_1593
; %bb.1592:
	global_load_b32 v2, v[0:1], off
	s_and_not1_b32 s0, s0, exec_lo
	s_wait_loadcnt 0x0
	v_cmp_ne_u32_e32 vcc_lo, 0, v2
	s_and_b32 s30, vcc_lo, exec_lo
	s_delay_alu instid0(SALU_CYCLE_1)
	s_or_b32 s0, s0, s30
.LBB14_1593:
	s_mov_b32 s30, 0
.LBB14_1594:
	s_delay_alu instid0(SALU_CYCLE_1)
	s_and_not1_b32 vcc_lo, exec_lo, s30
	s_cbranch_vccnz .LBB14_1596
; %bb.1595:
	global_load_u16 v2, v[0:1], off
	s_and_not1_b32 s0, s0, exec_lo
	s_wait_loadcnt 0x0
	v_cmp_ne_u16_e32 vcc_lo, 0, v2
	s_and_b32 s30, vcc_lo, exec_lo
	s_delay_alu instid0(SALU_CYCLE_1)
	s_or_b32 s0, s0, s30
.LBB14_1596:
	s_cbranch_execnz .LBB14_1602
.LBB14_1597:
	s_sext_i32_i16 s0, s28
	s_mov_b32 s28, 0
	s_cmp_gt_i32 s0, 0
	s_cbranch_scc0 .LBB14_1599
; %bb.1598:
	global_load_u8 v2, v[0:1], off
	s_wait_loadcnt 0x0
	v_cmp_ne_u16_e64 s0, 0, v2
	s_branch .LBB14_1600
.LBB14_1599:
	s_mov_b32 s28, -1
                                        ; implicit-def: $sgpr0
.LBB14_1600:
	s_delay_alu instid0(SALU_CYCLE_1)
	s_and_not1_b32 vcc_lo, exec_lo, s28
	s_cbranch_vccnz .LBB14_1602
; %bb.1601:
	global_load_u8 v0, v[0:1], off
	s_and_not1_b32 s0, s0, exec_lo
	s_wait_loadcnt 0x0
	v_cmp_ne_u16_e32 vcc_lo, 0, v0
	s_and_b32 s28, vcc_lo, exec_lo
	s_delay_alu instid0(SALU_CYCLE_1)
	s_or_b32 s0, s0, s28
.LBB14_1602:
	s_and_not1_b32 s27, s27, exec_lo
	s_delay_alu instid0(VALU_DEP_1)
	s_and_b32 s0, s0, exec_lo
	s_or_b32 s29, s29, exec_lo
	s_or_b32 s27, s27, s0
.LBB14_1603:
	s_wait_xcnt 0x0
	s_or_b32 exec_lo, exec_lo, s26
	s_mov_b32 s31, 0
	s_mov_b32 s33, 0
	;; [unrolled: 1-line block ×3, first 2 shown]
                                        ; implicit-def: $sgpr28
                                        ; implicit-def: $sgpr26
                                        ; implicit-def: $vgpr0_vgpr1
	s_and_saveexec_b32 s0, s29
	s_cbranch_execnz .LBB14_1607
; %bb.1604:
	s_or_b32 exec_lo, exec_lo, s0
	s_and_saveexec_b32 s0, s25
	s_cbranch_execnz .LBB14_1666
.LBB14_1605:
	s_or_b32 exec_lo, exec_lo, s0
	s_and_saveexec_b32 s0, s31
	s_delay_alu instid0(SALU_CYCLE_1)
	s_xor_b32 s0, exec_lo, s0
	s_cbranch_execnz .LBB14_1667
.LBB14_1606:
	s_or_b32 exec_lo, exec_lo, s0
	s_and_saveexec_b32 s25, s33
	s_cbranch_execnz .LBB14_1668
	s_branch .LBB14_1713
.LBB14_1607:
	v_mul_lo_u32 v0, v8, s15
	s_and_b32 s26, s17, 0xff
	s_delay_alu instid0(SALU_CYCLE_1) | instskip(NEXT) | instid1(VALU_DEP_1)
	s_cmp_lt_i32 s26, 11
	v_ashrrev_i32_e32 v1, 31, v0
	s_delay_alu instid0(VALU_DEP_1)
	v_add_nc_u64_e32 v[0:1], s[10:11], v[0:1]
	s_cbranch_scc1 .LBB14_1614
; %bb.1608:
	s_and_b32 s30, 0xffff, s26
	s_delay_alu instid0(SALU_CYCLE_1)
	s_cmp_gt_i32 s30, 25
	s_cbranch_scc0 .LBB14_1615
; %bb.1609:
	s_cmp_gt_i32 s30, 28
	s_cbranch_scc0 .LBB14_1616
; %bb.1610:
	s_cmp_gt_i32 s30, 43
	s_cbranch_scc0 .LBB14_1617
; %bb.1611:
	s_cmp_gt_i32 s30, 45
	s_cbranch_scc0 .LBB14_1618
; %bb.1612:
	s_cmp_eq_u32 s30, 46
	s_mov_b32 s34, 0
	s_cbranch_scc0 .LBB14_1619
; %bb.1613:
	global_load_b32 v2, v[0:1], off
	s_mov_b32 s29, 0
	s_mov_b32 s33, -1
	s_wait_loadcnt 0x0
	v_and_b32_e32 v2, 0x7fff7fff, v2
	s_delay_alu instid0(VALU_DEP_1)
	v_cmp_ne_u32_e64 s28, 0, v2
	s_branch .LBB14_1621
.LBB14_1614:
	s_mov_b32 s34, -1
	s_mov_b32 s29, s25
                                        ; implicit-def: $sgpr28
	s_branch .LBB14_1665
.LBB14_1615:
	s_mov_b32 s29, s25
                                        ; implicit-def: $sgpr28
	s_cbranch_execnz .LBB14_1642
	s_branch .LBB14_1664
.LBB14_1616:
	s_mov_b32 s34, -1
	s_mov_b32 s29, s25
                                        ; implicit-def: $sgpr28
	s_branch .LBB14_1629
.LBB14_1617:
	s_mov_b32 s34, -1
	s_mov_b32 s29, s25
                                        ; implicit-def: $sgpr28
	s_branch .LBB14_1624
.LBB14_1618:
	s_mov_b32 s34, -1
	s_mov_b32 s29, s25
	s_branch .LBB14_1620
.LBB14_1619:
	s_mov_b32 s29, -1
.LBB14_1620:
                                        ; implicit-def: $sgpr28
.LBB14_1621:
	s_and_b32 vcc_lo, exec_lo, s34
	s_cbranch_vccz .LBB14_1623
; %bb.1622:
	s_cmp_lg_u32 s30, 44
	s_mov_b32 s33, -1
	s_cselect_b32 s34, -1, 0
	s_and_not1_b32 s29, s29, exec_lo
	s_and_b32 s34, s34, exec_lo
	s_or_b32 s28, s28, exec_lo
	s_or_b32 s29, s29, s34
.LBB14_1623:
	s_mov_b32 s34, 0
.LBB14_1624:
	s_delay_alu instid0(SALU_CYCLE_1)
	s_and_b32 vcc_lo, exec_lo, s34
	s_cbranch_vccz .LBB14_1628
; %bb.1625:
	s_cmp_eq_u32 s30, 29
	s_cbranch_scc0 .LBB14_1627
; %bb.1626:
	global_load_b64 v[2:3], v[0:1], off
	s_mov_b32 s29, 0
	s_mov_b32 s33, -1
	s_mov_b32 s34, 0
	s_wait_loadcnt 0x0
	v_cmp_ne_u64_e64 s28, 0, v[2:3]
	s_branch .LBB14_1629
.LBB14_1627:
	s_mov_b32 s29, -1
                                        ; implicit-def: $sgpr28
.LBB14_1628:
	s_mov_b32 s34, 0
.LBB14_1629:
	s_delay_alu instid0(SALU_CYCLE_1)
	s_and_b32 vcc_lo, exec_lo, s34
	s_cbranch_vccz .LBB14_1641
; %bb.1630:
	s_cmp_lt_i32 s30, 27
	s_cbranch_scc1 .LBB14_1633
; %bb.1631:
	s_cmp_gt_i32 s30, 27
	s_cbranch_scc0 .LBB14_1634
; %bb.1632:
	global_load_b32 v2, v[0:1], off
	s_mov_b32 s33, 0
	s_wait_loadcnt 0x0
	v_cmp_ne_u32_e64 s28, 0, v2
	s_branch .LBB14_1635
.LBB14_1633:
	s_mov_b32 s33, -1
                                        ; implicit-def: $sgpr28
	s_branch .LBB14_1638
.LBB14_1634:
	s_mov_b32 s33, -1
                                        ; implicit-def: $sgpr28
.LBB14_1635:
	s_delay_alu instid0(SALU_CYCLE_1)
	s_and_not1_b32 vcc_lo, exec_lo, s33
	s_cbranch_vccnz .LBB14_1637
; %bb.1636:
	global_load_u16 v2, v[0:1], off
	s_and_not1_b32 s28, s28, exec_lo
	s_wait_loadcnt 0x0
	v_cmp_ne_u16_e32 vcc_lo, 0, v2
	s_and_b32 s33, vcc_lo, exec_lo
	s_delay_alu instid0(SALU_CYCLE_1)
	s_or_b32 s28, s28, s33
.LBB14_1637:
	s_mov_b32 s33, 0
.LBB14_1638:
	s_delay_alu instid0(SALU_CYCLE_1)
	s_and_not1_b32 vcc_lo, exec_lo, s33
	s_cbranch_vccnz .LBB14_1640
; %bb.1639:
	global_load_u8 v2, v[0:1], off
	s_and_not1_b32 s28, s28, exec_lo
	s_wait_loadcnt 0x0
	v_cmp_ne_u16_e32 vcc_lo, 0, v2
	s_and_b32 s33, vcc_lo, exec_lo
	s_delay_alu instid0(SALU_CYCLE_1)
	s_or_b32 s28, s28, s33
.LBB14_1640:
	s_mov_b32 s33, -1
.LBB14_1641:
	s_branch .LBB14_1664
.LBB14_1642:
	s_cmp_gt_i32 s30, 22
	s_cbranch_scc0 .LBB14_1646
; %bb.1643:
	s_cmp_lt_i32 s30, 24
	s_cbranch_scc1 .LBB14_1647
; %bb.1644:
	s_cmp_gt_i32 s30, 24
	s_cbranch_scc0 .LBB14_1648
; %bb.1645:
	global_load_u8 v2, v[0:1], off
	s_wait_loadcnt 0x0
	v_cmp_ne_u16_e64 s28, 0, v2
	s_branch .LBB14_1649
.LBB14_1646:
	s_mov_b32 s31, -1
                                        ; implicit-def: $sgpr28
	s_branch .LBB14_1655
.LBB14_1647:
	s_mov_b32 s31, -1
                                        ; implicit-def: $sgpr28
	s_branch .LBB14_1652
.LBB14_1648:
	s_mov_b32 s31, -1
                                        ; implicit-def: $sgpr28
.LBB14_1649:
	s_delay_alu instid0(SALU_CYCLE_1)
	s_and_not1_b32 vcc_lo, exec_lo, s31
	s_cbranch_vccnz .LBB14_1651
; %bb.1650:
	global_load_u8 v2, v[0:1], off
	s_and_not1_b32 s28, s28, exec_lo
	s_wait_loadcnt 0x0
	v_and_b32_e32 v2, 0x7f, v2
	s_delay_alu instid0(VALU_DEP_1) | instskip(SKIP_1) | instid1(SALU_CYCLE_1)
	v_cmp_ne_u16_e32 vcc_lo, 0, v2
	s_and_b32 s31, vcc_lo, exec_lo
	s_or_b32 s28, s28, s31
.LBB14_1651:
	s_mov_b32 s31, 0
.LBB14_1652:
	s_delay_alu instid0(SALU_CYCLE_1)
	s_and_not1_b32 vcc_lo, exec_lo, s31
	s_cbranch_vccnz .LBB14_1654
; %bb.1653:
	global_load_u8 v2, v[0:1], off
	s_and_not1_b32 s28, s28, exec_lo
	s_wait_loadcnt 0x0
	v_dual_lshlrev_b32 v3, 25, v2 :: v_dual_lshlrev_b32 v2, 8, v2
	s_delay_alu instid0(VALU_DEP_1) | instskip(NEXT) | instid1(VALU_DEP_2)
	v_cmp_gt_u32_e32 vcc_lo, 0x8000000, v3
	v_and_or_b32 v2, 0x7f00, v2, 0.5
	s_delay_alu instid0(VALU_DEP_1) | instskip(NEXT) | instid1(VALU_DEP_1)
	v_dual_lshrrev_b32 v4, 4, v3 :: v_dual_add_f32 v2, -0.5, v2
	v_or_b32_e32 v4, 0x70000000, v4
	s_delay_alu instid0(VALU_DEP_1) | instskip(NEXT) | instid1(VALU_DEP_1)
	v_mul_f32_e32 v4, 0x7800000, v4
	v_cndmask_b32_e32 v2, v4, v2, vcc_lo
	s_delay_alu instid0(VALU_DEP_1) | instskip(SKIP_1) | instid1(SALU_CYCLE_1)
	v_cmp_neq_f32_e32 vcc_lo, 0, v2
	s_and_b32 s31, vcc_lo, exec_lo
	s_or_b32 s28, s28, s31
.LBB14_1654:
	s_mov_b32 s31, 0
	s_mov_b32 s33, -1
.LBB14_1655:
	s_and_not1_b32 vcc_lo, exec_lo, s31
	s_mov_b32 s31, 0
	s_cbranch_vccnz .LBB14_1664
; %bb.1656:
	s_cmp_gt_i32 s30, 14
	s_cbranch_scc0 .LBB14_1659
; %bb.1657:
	s_cmp_eq_u32 s30, 15
	s_cbranch_scc0 .LBB14_1660
; %bb.1658:
	global_load_u16 v2, v[0:1], off
	s_mov_b32 s29, 0
	s_mov_b32 s33, -1
	s_wait_loadcnt 0x0
	v_and_b32_e32 v2, 0x7fff, v2
	s_delay_alu instid0(VALU_DEP_1)
	v_cmp_ne_u16_e64 s28, 0, v2
	s_branch .LBB14_1662
.LBB14_1659:
	s_mov_b32 s31, -1
	s_branch .LBB14_1661
.LBB14_1660:
	s_mov_b32 s29, -1
.LBB14_1661:
                                        ; implicit-def: $sgpr28
.LBB14_1662:
	s_and_b32 vcc_lo, exec_lo, s31
	s_mov_b32 s31, 0
	s_cbranch_vccz .LBB14_1664
; %bb.1663:
	s_cmp_lg_u32 s30, 11
	s_mov_b32 s31, -1
	s_cselect_b32 s30, -1, 0
	s_and_not1_b32 s29, s29, exec_lo
	s_and_b32 s30, s30, exec_lo
	s_delay_alu instid0(SALU_CYCLE_1)
	s_or_b32 s29, s29, s30
.LBB14_1664:
	s_mov_b32 s34, 0
.LBB14_1665:
	s_and_not1_b32 s25, s25, exec_lo
	s_and_b32 s29, s29, exec_lo
	s_and_b32 s30, s33, exec_lo
	;; [unrolled: 1-line block ×4, first 2 shown]
	s_or_b32 s25, s25, s29
	s_wait_xcnt 0x0
	s_or_b32 exec_lo, exec_lo, s0
	s_and_saveexec_b32 s0, s25
	s_cbranch_execz .LBB14_1605
.LBB14_1666:
	s_or_b32 s24, s24, exec_lo
	s_and_not1_b32 s30, s30, exec_lo
	s_and_not1_b32 s31, s31, exec_lo
	s_trap 2
	s_or_b32 exec_lo, exec_lo, s0
	s_and_saveexec_b32 s0, s31
	s_delay_alu instid0(SALU_CYCLE_1)
	s_xor_b32 s0, exec_lo, s0
	s_cbranch_execz .LBB14_1606
.LBB14_1667:
	global_load_u8 v2, v[0:1], off
	s_and_not1_b32 s25, s28, exec_lo
	s_or_b32 s30, s30, exec_lo
	s_wait_loadcnt 0x0
	v_cmp_ne_u16_e32 vcc_lo, 0, v2
	s_and_b32 s28, vcc_lo, exec_lo
	s_delay_alu instid0(SALU_CYCLE_1)
	s_or_b32 s28, s25, s28
	s_wait_xcnt 0x0
	s_or_b32 exec_lo, exec_lo, s0
	s_and_saveexec_b32 s25, s33
	s_cbranch_execz .LBB14_1713
.LBB14_1668:
	s_sext_i32_i16 s0, s26
	s_delay_alu instid0(SALU_CYCLE_1)
	s_cmp_lt_i32 s0, 5
	s_cbranch_scc1 .LBB14_1673
; %bb.1669:
	s_cmp_lt_i32 s0, 8
	s_cbranch_scc1 .LBB14_1674
; %bb.1670:
	;; [unrolled: 3-line block ×3, first 2 shown]
	s_cmp_gt_i32 s0, 9
	s_cbranch_scc0 .LBB14_1676
; %bb.1672:
	global_load_b128 v[2:5], v[0:1], off
	s_mov_b32 s29, 0
	s_wait_loadcnt 0x0
	v_cmp_neq_f64_e32 vcc_lo, 0, v[2:3]
	v_cmp_neq_f64_e64 s0, 0, v[4:5]
	s_or_b32 s0, vcc_lo, s0
	s_branch .LBB14_1677
.LBB14_1673:
                                        ; implicit-def: $sgpr0
	s_branch .LBB14_1694
.LBB14_1674:
                                        ; implicit-def: $sgpr0
	s_branch .LBB14_1683
.LBB14_1675:
	s_mov_b32 s29, -1
                                        ; implicit-def: $sgpr0
	s_branch .LBB14_1680
.LBB14_1676:
	s_mov_b32 s29, -1
                                        ; implicit-def: $sgpr0
.LBB14_1677:
	s_delay_alu instid0(SALU_CYCLE_1)
	s_and_not1_b32 vcc_lo, exec_lo, s29
	s_cbranch_vccnz .LBB14_1679
; %bb.1678:
	global_load_b64 v[2:3], v[0:1], off
	s_and_not1_b32 s0, s0, exec_lo
	s_wait_loadcnt 0x0
	v_bitop3_b32 v2, v2, 0x7fffffff, v3 bitop3:0xc8
	s_delay_alu instid0(VALU_DEP_1) | instskip(SKIP_1) | instid1(SALU_CYCLE_1)
	v_cmp_ne_u32_e32 vcc_lo, 0, v2
	s_and_b32 s29, vcc_lo, exec_lo
	s_or_b32 s0, s0, s29
.LBB14_1679:
	s_mov_b32 s29, 0
.LBB14_1680:
	s_delay_alu instid0(SALU_CYCLE_1)
	s_and_not1_b32 vcc_lo, exec_lo, s29
	s_cbranch_vccnz .LBB14_1682
; %bb.1681:
	global_load_b32 v2, v[0:1], off
	s_and_not1_b32 s0, s0, exec_lo
	s_wait_loadcnt 0x0
	v_and_b32_e32 v2, 0x7fff7fff, v2
	s_delay_alu instid0(VALU_DEP_1) | instskip(SKIP_1) | instid1(SALU_CYCLE_1)
	v_cmp_ne_u32_e32 vcc_lo, 0, v2
	s_and_b32 s29, vcc_lo, exec_lo
	s_or_b32 s0, s0, s29
.LBB14_1682:
	s_cbranch_execnz .LBB14_1693
.LBB14_1683:
	s_sext_i32_i16 s0, s26
	s_delay_alu instid0(SALU_CYCLE_1)
	s_cmp_lt_i32 s0, 6
	s_cbranch_scc1 .LBB14_1686
; %bb.1684:
	s_cmp_gt_i32 s0, 6
	s_cbranch_scc0 .LBB14_1687
; %bb.1685:
	global_load_b64 v[2:3], v[0:1], off
	s_mov_b32 s29, 0
	s_wait_loadcnt 0x0
	v_cmp_neq_f64_e64 s0, 0, v[2:3]
	s_branch .LBB14_1688
.LBB14_1686:
	s_mov_b32 s29, -1
                                        ; implicit-def: $sgpr0
	s_branch .LBB14_1691
.LBB14_1687:
	s_mov_b32 s29, -1
                                        ; implicit-def: $sgpr0
.LBB14_1688:
	s_delay_alu instid0(SALU_CYCLE_1)
	s_and_not1_b32 vcc_lo, exec_lo, s29
	s_cbranch_vccnz .LBB14_1690
; %bb.1689:
	global_load_b32 v2, v[0:1], off
	s_and_not1_b32 s0, s0, exec_lo
	s_wait_loadcnt 0x0
	v_cmp_neq_f32_e32 vcc_lo, 0, v2
	s_and_b32 s29, vcc_lo, exec_lo
	s_delay_alu instid0(SALU_CYCLE_1)
	s_or_b32 s0, s0, s29
.LBB14_1690:
	s_mov_b32 s29, 0
.LBB14_1691:
	s_delay_alu instid0(SALU_CYCLE_1)
	s_and_not1_b32 vcc_lo, exec_lo, s29
	s_cbranch_vccnz .LBB14_1693
; %bb.1692:
	global_load_u16 v2, v[0:1], off
	s_and_not1_b32 s0, s0, exec_lo
	s_wait_loadcnt 0x0
	v_and_b32_e32 v2, 0x7fff, v2
	s_delay_alu instid0(VALU_DEP_1) | instskip(SKIP_1) | instid1(SALU_CYCLE_1)
	v_cmp_ne_u16_e32 vcc_lo, 0, v2
	s_and_b32 s29, vcc_lo, exec_lo
	s_or_b32 s0, s0, s29
.LBB14_1693:
	s_cbranch_execnz .LBB14_1712
.LBB14_1694:
	s_sext_i32_i16 s0, s26
	s_delay_alu instid0(SALU_CYCLE_1)
	s_cmp_lt_i32 s0, 2
	s_cbranch_scc1 .LBB14_1698
; %bb.1695:
	s_cmp_lt_i32 s0, 3
	s_cbranch_scc1 .LBB14_1699
; %bb.1696:
	s_cmp_gt_i32 s0, 3
	s_cbranch_scc0 .LBB14_1700
; %bb.1697:
	global_load_b64 v[2:3], v[0:1], off
	s_mov_b32 s29, 0
	s_wait_loadcnt 0x0
	v_cmp_ne_u64_e64 s0, 0, v[2:3]
	s_branch .LBB14_1701
.LBB14_1698:
                                        ; implicit-def: $sgpr0
	s_branch .LBB14_1707
.LBB14_1699:
	s_mov_b32 s29, -1
                                        ; implicit-def: $sgpr0
	s_branch .LBB14_1704
.LBB14_1700:
	s_mov_b32 s29, -1
                                        ; implicit-def: $sgpr0
.LBB14_1701:
	s_delay_alu instid0(SALU_CYCLE_1)
	s_and_not1_b32 vcc_lo, exec_lo, s29
	s_cbranch_vccnz .LBB14_1703
; %bb.1702:
	global_load_b32 v2, v[0:1], off
	s_and_not1_b32 s0, s0, exec_lo
	s_wait_loadcnt 0x0
	v_cmp_ne_u32_e32 vcc_lo, 0, v2
	s_and_b32 s29, vcc_lo, exec_lo
	s_delay_alu instid0(SALU_CYCLE_1)
	s_or_b32 s0, s0, s29
.LBB14_1703:
	s_mov_b32 s29, 0
.LBB14_1704:
	s_delay_alu instid0(SALU_CYCLE_1)
	s_and_not1_b32 vcc_lo, exec_lo, s29
	s_cbranch_vccnz .LBB14_1706
; %bb.1705:
	global_load_u16 v2, v[0:1], off
	s_and_not1_b32 s0, s0, exec_lo
	s_wait_loadcnt 0x0
	v_cmp_ne_u16_e32 vcc_lo, 0, v2
	s_and_b32 s29, vcc_lo, exec_lo
	s_delay_alu instid0(SALU_CYCLE_1)
	s_or_b32 s0, s0, s29
.LBB14_1706:
	s_cbranch_execnz .LBB14_1712
.LBB14_1707:
	s_sext_i32_i16 s0, s26
	s_mov_b32 s26, 0
	s_cmp_gt_i32 s0, 0
	s_cbranch_scc0 .LBB14_1709
; %bb.1708:
	global_load_u8 v2, v[0:1], off
	s_wait_loadcnt 0x0
	v_cmp_ne_u16_e64 s0, 0, v2
	s_branch .LBB14_1710
.LBB14_1709:
	s_mov_b32 s26, -1
                                        ; implicit-def: $sgpr0
.LBB14_1710:
	s_delay_alu instid0(SALU_CYCLE_1)
	s_and_not1_b32 vcc_lo, exec_lo, s26
	s_cbranch_vccnz .LBB14_1712
; %bb.1711:
	global_load_u8 v0, v[0:1], off
	s_and_not1_b32 s0, s0, exec_lo
	s_wait_loadcnt 0x0
	v_cmp_ne_u16_e32 vcc_lo, 0, v0
	s_and_b32 s26, vcc_lo, exec_lo
	s_delay_alu instid0(SALU_CYCLE_1)
	s_or_b32 s0, s0, s26
.LBB14_1712:
	s_and_not1_b32 s26, s28, exec_lo
	s_delay_alu instid0(VALU_DEP_1)
	s_and_b32 s0, s0, exec_lo
	s_or_b32 s30, s30, exec_lo
	s_or_b32 s28, s26, s0
.LBB14_1713:
	s_wait_xcnt 0x0
	s_or_b32 exec_lo, exec_lo, s25
	s_mov_b32 s0, 0
	s_mov_b32 s31, 0
                                        ; implicit-def: $sgpr25
                                        ; implicit-def: $sgpr26
                                        ; implicit-def: $vgpr0_vgpr1
	s_and_saveexec_b32 s29, s30
	s_cbranch_execnz .LBB14_1717
; %bb.1714:
	s_or_b32 exec_lo, exec_lo, s29
	s_and_saveexec_b32 s21, s23
	s_cbranch_execnz .LBB14_1794
.LBB14_1715:
	s_or_b32 exec_lo, exec_lo, s21
	s_and_saveexec_b32 s21, s0
	s_delay_alu instid0(SALU_CYCLE_1)
	s_xor_b32 s0, exec_lo, s21
	s_cbranch_execnz .LBB14_1795
.LBB14_1716:
	s_or_b32 exec_lo, exec_lo, s0
	s_and_saveexec_b32 s0, s31
	s_delay_alu instid0(SALU_CYCLE_1)
	s_xor_b32 s0, exec_lo, s0
	s_cbranch_execnz .LBB14_1796
	s_branch .LBB14_1833
.LBB14_1717:
	v_mul_lo_u32 v0, v8, s12
	s_and_b32 s0, s35, s22
	s_and_b32 s22, s27, s28
	;; [unrolled: 1-line block ×4, first 2 shown]
	s_delay_alu instid0(SALU_CYCLE_1) | instskip(SKIP_1) | instid1(VALU_DEP_1)
	s_or_b32 s25, s0, s21
	s_cmp_lt_i32 s26, 11
	v_ashrrev_i32_e32 v1, 31, v0
	s_delay_alu instid0(VALU_DEP_1)
	v_add_nc_u64_e32 v[0:1], s[4:5], v[0:1]
	s_cbranch_scc1 .LBB14_1724
; %bb.1718:
	s_and_b32 s21, 0xffff, s26
	s_mov_b32 s22, -1
	s_cmp_gt_i32 s21, 25
	s_mov_b32 s0, s23
	s_cbranch_scc0 .LBB14_1752
; %bb.1719:
	s_cmp_gt_i32 s21, 28
	s_mov_b32 s0, s23
	s_cbranch_scc0 .LBB14_1736
; %bb.1720:
	;; [unrolled: 4-line block ×4, first 2 shown]
	s_cmp_eq_u32 s21, 46
	s_mov_b32 s0, -1
	s_cbranch_scc0 .LBB14_1725
; %bb.1723:
	v_cndmask_b32_e64 v2, 0, 1.0, s25
	s_mov_b32 s0, 0
	s_mov_b32 s22, 0
	s_delay_alu instid0(VALU_DEP_1) | instskip(NEXT) | instid1(VALU_DEP_1)
	v_bfe_u32 v3, v2, 16, 1
	v_add3_u32 v2, v2, v3, 0x7fff
	s_delay_alu instid0(VALU_DEP_1)
	v_lshrrev_b32_e32 v2, 16, v2
	global_store_b32 v[0:1], v2, off
	s_branch .LBB14_1726
.LBB14_1724:
	s_mov_b32 s27, 0
	s_mov_b32 s22, -1
	s_mov_b32 s0, s23
	s_branch .LBB14_1793
.LBB14_1725:
	s_mov_b32 s22, 0
.LBB14_1726:
	s_delay_alu instid0(SALU_CYCLE_1)
	s_and_b32 vcc_lo, exec_lo, s22
	s_cbranch_vccz .LBB14_1731
; %bb.1727:
	s_cmp_eq_u32 s21, 44
	s_mov_b32 s0, -1
	s_cbranch_scc0 .LBB14_1731
; %bb.1728:
	v_cndmask_b32_e64 v4, 0, 1.0, s25
	s_mov_b32 s22, exec_lo
	s_wait_xcnt 0x0
	s_delay_alu instid0(VALU_DEP_1) | instskip(NEXT) | instid1(VALU_DEP_1)
	v_dual_mov_b32 v3, 0xff :: v_dual_lshrrev_b32 v2, 23, v4
	v_cmpx_ne_u32_e32 0xff, v2
; %bb.1729:
	v_and_b32_e32 v3, 0x400000, v4
	v_and_or_b32 v4, 0x3fffff, v4, v2
	s_delay_alu instid0(VALU_DEP_2) | instskip(NEXT) | instid1(VALU_DEP_2)
	v_cmp_ne_u32_e32 vcc_lo, 0, v3
	v_cmp_ne_u32_e64 s0, 0, v4
	s_and_b32 s0, vcc_lo, s0
	s_delay_alu instid0(SALU_CYCLE_1) | instskip(NEXT) | instid1(VALU_DEP_1)
	v_cndmask_b32_e64 v3, 0, 1, s0
	v_add_nc_u32_e32 v3, v2, v3
; %bb.1730:
	s_or_b32 exec_lo, exec_lo, s22
	s_mov_b32 s0, 0
	global_store_b8 v[0:1], v3, off
.LBB14_1731:
	s_mov_b32 s22, 0
.LBB14_1732:
	s_delay_alu instid0(SALU_CYCLE_1)
	s_and_b32 vcc_lo, exec_lo, s22
	s_cbranch_vccz .LBB14_1735
; %bb.1733:
	s_cmp_eq_u32 s21, 29
	s_mov_b32 s0, -1
	s_cbranch_scc0 .LBB14_1735
; %bb.1734:
	s_mov_b32 s0, 0
	s_wait_xcnt 0x0
	v_cndmask_b32_e64 v2, 0, 1, s25
	v_mov_b32_e32 v3, s0
	s_mov_b32 s22, 0
	global_store_b64 v[0:1], v[2:3], off
	s_branch .LBB14_1736
.LBB14_1735:
	s_mov_b32 s22, 0
.LBB14_1736:
	s_delay_alu instid0(SALU_CYCLE_1)
	s_and_b32 vcc_lo, exec_lo, s22
	s_cbranch_vccz .LBB14_1751
; %bb.1737:
	s_cmp_lt_i32 s21, 27
	s_mov_b32 s22, -1
	s_cbranch_scc1 .LBB14_1743
; %bb.1738:
	s_wait_xcnt 0x0
	v_cndmask_b32_e64 v2, 0, 1, s25
	s_cmp_gt_i32 s21, 27
	s_cbranch_scc0 .LBB14_1740
; %bb.1739:
	s_mov_b32 s22, 0
	global_store_b32 v[0:1], v2, off
.LBB14_1740:
	s_and_not1_b32 vcc_lo, exec_lo, s22
	s_cbranch_vccnz .LBB14_1742
; %bb.1741:
	global_store_b16 v[0:1], v2, off
.LBB14_1742:
	s_mov_b32 s22, 0
.LBB14_1743:
	s_delay_alu instid0(SALU_CYCLE_1)
	s_and_not1_b32 vcc_lo, exec_lo, s22
	s_cbranch_vccnz .LBB14_1751
; %bb.1744:
	s_wait_xcnt 0x0
	v_cndmask_b32_e64 v3, 0, 1.0, s25
	v_mov_b32_e32 v4, 0x80
	s_mov_b32 s22, exec_lo
	s_delay_alu instid0(VALU_DEP_2)
	v_cmpx_gt_u32_e32 0x43800000, v3
	s_cbranch_execz .LBB14_1750
; %bb.1745:
	s_mov_b32 s27, 0
	s_mov_b32 s28, exec_lo
                                        ; implicit-def: $vgpr2
	v_cmpx_lt_u32_e32 0x3bffffff, v3
	s_xor_b32 s28, exec_lo, s28
	s_cbranch_execnz .LBB14_1954
; %bb.1746:
	s_and_not1_saveexec_b32 s28, s28
	s_cbranch_execnz .LBB14_1955
.LBB14_1747:
	s_or_b32 exec_lo, exec_lo, s28
	v_mov_b32_e32 v4, 0
	s_and_saveexec_b32 s28, s27
.LBB14_1748:
	v_mov_b32_e32 v4, v2
.LBB14_1749:
	s_or_b32 exec_lo, exec_lo, s28
.LBB14_1750:
	s_delay_alu instid0(SALU_CYCLE_1)
	s_or_b32 exec_lo, exec_lo, s22
	global_store_b8 v[0:1], v4, off
.LBB14_1751:
	s_mov_b32 s22, 0
.LBB14_1752:
	s_delay_alu instid0(SALU_CYCLE_1)
	s_and_b32 vcc_lo, exec_lo, s22
	s_mov_b32 s22, 0
	s_cbranch_vccz .LBB14_1792
; %bb.1753:
	s_cmp_gt_i32 s21, 22
	s_mov_b32 s27, -1
	s_cbranch_scc0 .LBB14_1785
; %bb.1754:
	s_cmp_lt_i32 s21, 24
	s_cbranch_scc1 .LBB14_1774
; %bb.1755:
	s_cmp_gt_i32 s21, 24
	s_cbranch_scc0 .LBB14_1763
; %bb.1756:
	s_wait_xcnt 0x0
	v_cndmask_b32_e64 v3, 0, 1.0, s25
	v_mov_b32_e32 v4, 0x80
	s_mov_b32 s27, exec_lo
	s_delay_alu instid0(VALU_DEP_2)
	v_cmpx_gt_u32_e32 0x47800000, v3
	s_cbranch_execz .LBB14_1762
; %bb.1757:
	s_mov_b32 s28, 0
	s_mov_b32 s30, exec_lo
                                        ; implicit-def: $vgpr2
	v_cmpx_lt_u32_e32 0x37ffffff, v3
	s_xor_b32 s30, exec_lo, s30
	s_cbranch_execnz .LBB14_2066
; %bb.1758:
	s_and_not1_saveexec_b32 s30, s30
	s_cbranch_execnz .LBB14_2067
.LBB14_1759:
	s_or_b32 exec_lo, exec_lo, s30
	v_mov_b32_e32 v4, 0
	s_and_saveexec_b32 s30, s28
.LBB14_1760:
	v_mov_b32_e32 v4, v2
.LBB14_1761:
	s_or_b32 exec_lo, exec_lo, s30
.LBB14_1762:
	s_delay_alu instid0(SALU_CYCLE_1)
	s_or_b32 exec_lo, exec_lo, s27
	s_mov_b32 s27, 0
	global_store_b8 v[0:1], v4, off
.LBB14_1763:
	s_and_b32 vcc_lo, exec_lo, s27
	s_cbranch_vccz .LBB14_1773
; %bb.1764:
	s_wait_xcnt 0x0
	v_cndmask_b32_e64 v3, 0, 1.0, s25
	s_mov_b32 s27, exec_lo
                                        ; implicit-def: $vgpr2
	s_delay_alu instid0(VALU_DEP_1)
	v_cmpx_gt_u32_e32 0x43f00000, v3
	s_xor_b32 s27, exec_lo, s27
	s_cbranch_execz .LBB14_1770
; %bb.1765:
	s_mov_b32 s28, exec_lo
                                        ; implicit-def: $vgpr2
	v_cmpx_lt_u32_e32 0x3c7fffff, v3
	s_xor_b32 s28, exec_lo, s28
; %bb.1766:
	v_bfe_u32 v2, v3, 20, 1
	s_delay_alu instid0(VALU_DEP_1) | instskip(NEXT) | instid1(VALU_DEP_1)
	v_add3_u32 v2, v3, v2, 0x407ffff
	v_and_b32_e32 v3, 0xff00000, v2
	v_lshrrev_b32_e32 v2, 20, v2
	s_delay_alu instid0(VALU_DEP_2) | instskip(NEXT) | instid1(VALU_DEP_2)
	v_cmp_ne_u32_e32 vcc_lo, 0x7f00000, v3
                                        ; implicit-def: $vgpr3
	v_cndmask_b32_e32 v2, 0x7e, v2, vcc_lo
; %bb.1767:
	s_and_not1_saveexec_b32 s28, s28
; %bb.1768:
	v_add_f32_e32 v2, 0x46800000, v3
; %bb.1769:
	s_or_b32 exec_lo, exec_lo, s28
                                        ; implicit-def: $vgpr3
.LBB14_1770:
	s_and_not1_saveexec_b32 s27, s27
; %bb.1771:
	v_mov_b32_e32 v2, 0x7f
	v_cmp_lt_u32_e32 vcc_lo, 0x7f800000, v3
	s_delay_alu instid0(VALU_DEP_2)
	v_cndmask_b32_e32 v2, 0x7e, v2, vcc_lo
; %bb.1772:
	s_or_b32 exec_lo, exec_lo, s27
	global_store_b8 v[0:1], v2, off
.LBB14_1773:
	s_mov_b32 s27, 0
.LBB14_1774:
	s_delay_alu instid0(SALU_CYCLE_1)
	s_and_not1_b32 vcc_lo, exec_lo, s27
	s_cbranch_vccnz .LBB14_1784
; %bb.1775:
	s_wait_xcnt 0x0
	v_cndmask_b32_e64 v3, 0, 1.0, s25
	s_mov_b32 s27, exec_lo
                                        ; implicit-def: $vgpr2
	s_delay_alu instid0(VALU_DEP_1)
	v_cmpx_gt_u32_e32 0x47800000, v3
	s_xor_b32 s27, exec_lo, s27
	s_cbranch_execz .LBB14_1781
; %bb.1776:
	s_mov_b32 s28, exec_lo
                                        ; implicit-def: $vgpr2
	v_cmpx_lt_u32_e32 0x387fffff, v3
	s_xor_b32 s28, exec_lo, s28
; %bb.1777:
	v_bfe_u32 v2, v3, 21, 1
	s_delay_alu instid0(VALU_DEP_1) | instskip(NEXT) | instid1(VALU_DEP_1)
	v_add3_u32 v2, v3, v2, 0x80fffff
                                        ; implicit-def: $vgpr3
	v_lshrrev_b32_e32 v2, 21, v2
; %bb.1778:
	s_and_not1_saveexec_b32 s28, s28
; %bb.1779:
	v_add_f32_e32 v2, 0x43000000, v3
; %bb.1780:
	s_or_b32 exec_lo, exec_lo, s28
                                        ; implicit-def: $vgpr3
.LBB14_1781:
	s_and_not1_saveexec_b32 s27, s27
; %bb.1782:
	v_mov_b32_e32 v2, 0x7f
	v_cmp_lt_u32_e32 vcc_lo, 0x7f800000, v3
	s_delay_alu instid0(VALU_DEP_2)
	v_cndmask_b32_e32 v2, 0x7c, v2, vcc_lo
; %bb.1783:
	s_or_b32 exec_lo, exec_lo, s27
	global_store_b8 v[0:1], v2, off
.LBB14_1784:
	s_mov_b32 s27, 0
.LBB14_1785:
	s_delay_alu instid0(SALU_CYCLE_1)
	s_and_not1_b32 vcc_lo, exec_lo, s27
	s_mov_b32 s27, 0
	s_cbranch_vccnz .LBB14_1793
; %bb.1786:
	s_cmp_gt_i32 s21, 14
	s_mov_b32 s27, -1
	s_cbranch_scc0 .LBB14_1790
; %bb.1787:
	s_cmp_eq_u32 s21, 15
	s_mov_b32 s0, -1
	s_cbranch_scc0 .LBB14_1789
; %bb.1788:
	s_wait_xcnt 0x0
	v_cndmask_b32_e64 v2, 0, 1.0, s25
	s_mov_b32 s0, 0
	s_delay_alu instid0(VALU_DEP_1) | instskip(NEXT) | instid1(VALU_DEP_1)
	v_bfe_u32 v3, v2, 16, 1
	v_add3_u32 v2, v2, v3, 0x7fff
	global_store_d16_hi_b16 v[0:1], v2, off
.LBB14_1789:
	s_mov_b32 s27, 0
.LBB14_1790:
	s_delay_alu instid0(SALU_CYCLE_1)
	s_and_b32 vcc_lo, exec_lo, s27
	s_mov_b32 s27, 0
	s_cbranch_vccz .LBB14_1793
; %bb.1791:
	s_cmp_lg_u32 s21, 11
	s_mov_b32 s27, -1
	s_cselect_b32 s21, -1, 0
	s_and_not1_b32 s0, s0, exec_lo
	s_and_b32 s21, s21, exec_lo
	s_delay_alu instid0(SALU_CYCLE_1)
	s_or_b32 s0, s0, s21
	s_branch .LBB14_1793
.LBB14_1792:
	s_mov_b32 s27, 0
.LBB14_1793:
	s_and_b32 s31, s22, exec_lo
	s_and_not1_b32 s21, s23, exec_lo
	s_and_b32 s22, s0, exec_lo
	s_and_b32 s0, s27, exec_lo
	s_or_b32 s23, s21, s22
	s_wait_xcnt 0x0
	s_or_b32 exec_lo, exec_lo, s29
	s_and_saveexec_b32 s21, s23
	s_cbranch_execz .LBB14_1715
.LBB14_1794:
	s_or_b32 s24, s24, exec_lo
	s_and_not1_b32 s0, s0, exec_lo
	s_trap 2
	s_or_b32 exec_lo, exec_lo, s21
	s_and_saveexec_b32 s21, s0
	s_delay_alu instid0(SALU_CYCLE_1)
	s_xor_b32 s0, exec_lo, s21
	s_cbranch_execz .LBB14_1716
.LBB14_1795:
	v_cndmask_b32_e64 v2, 0, 1, s25
	global_store_b8 v[0:1], v2, off
	s_wait_xcnt 0x0
	s_or_b32 exec_lo, exec_lo, s0
	s_and_saveexec_b32 s0, s31
	s_delay_alu instid0(SALU_CYCLE_1)
	s_xor_b32 s0, exec_lo, s0
	s_cbranch_execz .LBB14_1833
.LBB14_1796:
	s_sext_i32_i16 s22, s26
	s_mov_b32 s21, -1
	s_cmp_lt_i32 s22, 5
	s_cbranch_scc1 .LBB14_1817
; %bb.1797:
	s_cmp_lt_i32 s22, 8
	s_cbranch_scc1 .LBB14_1807
; %bb.1798:
	;; [unrolled: 3-line block ×3, first 2 shown]
	s_cmp_gt_i32 s22, 9
	s_cbranch_scc0 .LBB14_1801
; %bb.1800:
	v_cndmask_b32_e64 v2, 0, 1, s25
	v_mov_b32_e32 v4, 0
	s_mov_b32 s21, 0
	s_delay_alu instid0(VALU_DEP_2) | instskip(NEXT) | instid1(VALU_DEP_2)
	v_cvt_f64_u32_e32 v[2:3], v2
	v_mov_b32_e32 v5, v4
	global_store_b128 v[0:1], v[2:5], off
.LBB14_1801:
	s_and_not1_b32 vcc_lo, exec_lo, s21
	s_cbranch_vccnz .LBB14_1803
; %bb.1802:
	s_wait_xcnt 0x0
	v_cndmask_b32_e64 v2, 0, 1.0, s25
	v_mov_b32_e32 v3, 0
	global_store_b64 v[0:1], v[2:3], off
.LBB14_1803:
	s_mov_b32 s21, 0
.LBB14_1804:
	s_delay_alu instid0(SALU_CYCLE_1)
	s_and_not1_b32 vcc_lo, exec_lo, s21
	s_cbranch_vccnz .LBB14_1806
; %bb.1805:
	s_wait_xcnt 0x0
	v_cndmask_b32_e64 v2, 0, 1.0, s25
	s_delay_alu instid0(VALU_DEP_1) | instskip(NEXT) | instid1(VALU_DEP_1)
	v_cvt_f16_f32_e32 v2, v2
	v_and_b32_e32 v2, 0xffff, v2
	global_store_b32 v[0:1], v2, off
.LBB14_1806:
	s_mov_b32 s21, 0
.LBB14_1807:
	s_delay_alu instid0(SALU_CYCLE_1)
	s_and_not1_b32 vcc_lo, exec_lo, s21
	s_cbranch_vccnz .LBB14_1816
; %bb.1808:
	s_sext_i32_i16 s22, s26
	s_mov_b32 s21, -1
	s_cmp_lt_i32 s22, 6
	s_cbranch_scc1 .LBB14_1814
; %bb.1809:
	s_cmp_gt_i32 s22, 6
	s_cbranch_scc0 .LBB14_1811
; %bb.1810:
	s_wait_xcnt 0x0
	v_cndmask_b32_e64 v2, 0, 1, s25
	s_mov_b32 s21, 0
	s_delay_alu instid0(VALU_DEP_1)
	v_cvt_f64_u32_e32 v[2:3], v2
	global_store_b64 v[0:1], v[2:3], off
.LBB14_1811:
	s_and_not1_b32 vcc_lo, exec_lo, s21
	s_cbranch_vccnz .LBB14_1813
; %bb.1812:
	s_wait_xcnt 0x0
	v_cndmask_b32_e64 v2, 0, 1.0, s25
	global_store_b32 v[0:1], v2, off
.LBB14_1813:
	s_mov_b32 s21, 0
.LBB14_1814:
	s_delay_alu instid0(SALU_CYCLE_1)
	s_and_not1_b32 vcc_lo, exec_lo, s21
	s_cbranch_vccnz .LBB14_1816
; %bb.1815:
	s_wait_xcnt 0x0
	v_cndmask_b32_e64 v2, 0, 1.0, s25
	s_delay_alu instid0(VALU_DEP_1)
	v_cvt_f16_f32_e32 v2, v2
	global_store_b16 v[0:1], v2, off
.LBB14_1816:
	s_mov_b32 s21, 0
.LBB14_1817:
	s_delay_alu instid0(SALU_CYCLE_1)
	s_and_not1_b32 vcc_lo, exec_lo, s21
	s_cbranch_vccnz .LBB14_1833
; %bb.1818:
	s_sext_i32_i16 s22, s26
	s_mov_b32 s21, -1
	s_cmp_lt_i32 s22, 2
	s_cbranch_scc1 .LBB14_1828
; %bb.1819:
	s_cmp_lt_i32 s22, 3
	s_cbranch_scc1 .LBB14_1825
; %bb.1820:
	s_cmp_gt_i32 s22, 3
	s_cbranch_scc0 .LBB14_1822
; %bb.1821:
	s_mov_b32 s21, 0
	s_wait_xcnt 0x0
	v_cndmask_b32_e64 v2, 0, 1, s25
	v_mov_b32_e32 v3, s21
	global_store_b64 v[0:1], v[2:3], off
.LBB14_1822:
	s_and_not1_b32 vcc_lo, exec_lo, s21
	s_cbranch_vccnz .LBB14_1824
; %bb.1823:
	s_wait_xcnt 0x0
	v_cndmask_b32_e64 v2, 0, 1, s25
	global_store_b32 v[0:1], v2, off
.LBB14_1824:
	s_mov_b32 s21, 0
.LBB14_1825:
	s_delay_alu instid0(SALU_CYCLE_1)
	s_and_not1_b32 vcc_lo, exec_lo, s21
	s_cbranch_vccnz .LBB14_1827
; %bb.1826:
	s_wait_xcnt 0x0
	v_cndmask_b32_e64 v2, 0, 1, s25
	global_store_b16 v[0:1], v2, off
.LBB14_1827:
	s_mov_b32 s21, 0
.LBB14_1828:
	s_delay_alu instid0(SALU_CYCLE_1)
	s_and_not1_b32 vcc_lo, exec_lo, s21
	s_cbranch_vccnz .LBB14_1833
; %bb.1829:
	s_wait_xcnt 0x0
	v_cndmask_b32_e64 v2, 0, 1, s25
	s_sext_i32_i16 s21, s26
	s_delay_alu instid0(SALU_CYCLE_1)
	s_cmp_gt_i32 s21, 0
	s_mov_b32 s21, -1
	s_cbranch_scc0 .LBB14_1831
; %bb.1830:
	s_mov_b32 s21, 0
	global_store_b8 v[0:1], v2, off
.LBB14_1831:
	s_and_not1_b32 vcc_lo, exec_lo, s21
	s_cbranch_vccnz .LBB14_1833
; %bb.1832:
	global_store_b8 v[0:1], v2, off
.LBB14_1833:
	s_wait_xcnt 0x0
	s_or_b32 exec_lo, exec_lo, s0
	s_delay_alu instid0(SALU_CYCLE_1)
	s_and_b32 s21, s24, exec_lo
                                        ; implicit-def: $vgpr8
.LBB14_1834:
	s_or_saveexec_b32 s20, s20
	s_mov_b32 s0, 0
                                        ; implicit-def: $sgpr23
                                        ; implicit-def: $sgpr22
                                        ; implicit-def: $vgpr0_vgpr1
	s_xor_b32 exec_lo, exec_lo, s20
	s_cbranch_execz .LBB14_3624
; %bb.1835:
	v_mul_lo_u32 v0, s13, v8
	s_and_b32 s22, s16, 0xff
	s_delay_alu instid0(SALU_CYCLE_1) | instskip(NEXT) | instid1(VALU_DEP_1)
	s_cmp_lt_i32 s22, 11
	v_ashrrev_i32_e32 v1, 31, v0
	s_delay_alu instid0(VALU_DEP_1)
	v_add_nc_u64_e32 v[2:3], s[6:7], v[0:1]
	s_cbranch_scc1 .LBB14_1842
; %bb.1836:
	s_and_b32 s0, 0xffff, s22
	s_mov_b32 s24, 0
	s_cmp_gt_i32 s0, 25
	s_cbranch_scc0 .LBB14_1844
; %bb.1837:
	s_cmp_gt_i32 s0, 28
	s_cbranch_scc0 .LBB14_1845
; %bb.1838:
	;; [unrolled: 3-line block ×4, first 2 shown]
	s_cmp_eq_u32 s0, 46
	s_mov_b32 s25, 0
	s_cbranch_scc0 .LBB14_1848
; %bb.1841:
	global_load_b32 v1, v[2:3], off
	s_mov_b32 s16, 0
	s_mov_b32 s23, -1
	s_wait_loadcnt 0x0
	v_and_b32_e32 v1, 0x7fff7fff, v1
	s_delay_alu instid0(VALU_DEP_1)
	v_cmp_ne_u32_e64 s19, 0, v1
	s_branch .LBB14_1850
.LBB14_1842:
	s_mov_b32 s23, 0
	s_mov_b32 s16, s21
                                        ; implicit-def: $sgpr19
	s_cbranch_execnz .LBB14_1895
.LBB14_1843:
	s_and_not1_b32 vcc_lo, exec_lo, s23
	s_cbranch_vccz .LBB14_1940
	s_branch .LBB14_3622
.LBB14_1844:
	s_mov_b32 s23, 0
	s_mov_b32 s16, 0
                                        ; implicit-def: $sgpr19
	s_cbranch_execnz .LBB14_1870
	s_branch .LBB14_1891
.LBB14_1845:
	s_mov_b32 s25, -1
	s_mov_b32 s23, 0
	s_mov_b32 s16, 0
                                        ; implicit-def: $sgpr19
	s_branch .LBB14_1857
.LBB14_1846:
	s_mov_b32 s23, 0
	s_mov_b32 s16, 0
                                        ; implicit-def: $sgpr19
	s_cbranch_execnz .LBB14_1853
	s_branch .LBB14_1856
.LBB14_1847:
	s_mov_b32 s25, -1
	s_mov_b32 s23, 0
	s_mov_b32 s16, 0
	s_branch .LBB14_1849
.LBB14_1848:
	s_mov_b32 s16, -1
	s_mov_b32 s23, 0
.LBB14_1849:
                                        ; implicit-def: $sgpr19
.LBB14_1850:
	s_and_b32 vcc_lo, exec_lo, s25
	s_cbranch_vccz .LBB14_1852
; %bb.1851:
	s_cmp_lg_u32 s0, 44
	s_mov_b32 s23, -1
	s_cselect_b32 s16, -1, 0
	s_or_b32 s19, s19, exec_lo
.LBB14_1852:
	s_branch .LBB14_1856
.LBB14_1853:
	s_cmp_eq_u32 s0, 29
	s_cbranch_scc0 .LBB14_1855
; %bb.1854:
	global_load_b64 v[4:5], v[2:3], off
	s_mov_b32 s16, 0
	s_mov_b32 s23, -1
	s_mov_b32 s25, 0
	s_wait_loadcnt 0x0
	v_cmp_ne_u64_e64 s19, 0, v[4:5]
	s_branch .LBB14_1857
.LBB14_1855:
	s_mov_b32 s16, -1
                                        ; implicit-def: $sgpr19
.LBB14_1856:
	s_mov_b32 s25, 0
.LBB14_1857:
	s_delay_alu instid0(SALU_CYCLE_1)
	s_and_b32 vcc_lo, exec_lo, s25
	s_cbranch_vccz .LBB14_1869
; %bb.1858:
	s_cmp_lt_i32 s0, 27
	s_cbranch_scc1 .LBB14_1861
; %bb.1859:
	s_cmp_gt_i32 s0, 27
	s_cbranch_scc0 .LBB14_1862
; %bb.1860:
	global_load_b32 v1, v[2:3], off
	s_mov_b32 s23, 0
	s_wait_loadcnt 0x0
	v_cmp_ne_u32_e64 s19, 0, v1
	s_branch .LBB14_1863
.LBB14_1861:
	s_mov_b32 s23, -1
                                        ; implicit-def: $sgpr19
	s_branch .LBB14_1866
.LBB14_1862:
	s_mov_b32 s23, -1
                                        ; implicit-def: $sgpr19
.LBB14_1863:
	s_delay_alu instid0(SALU_CYCLE_1)
	s_and_not1_b32 vcc_lo, exec_lo, s23
	s_cbranch_vccnz .LBB14_1865
; %bb.1864:
	global_load_u16 v1, v[2:3], off
	s_and_not1_b32 s19, s19, exec_lo
	s_wait_loadcnt 0x0
	v_cmp_ne_u16_e32 vcc_lo, 0, v1
	s_and_b32 s23, vcc_lo, exec_lo
	s_delay_alu instid0(SALU_CYCLE_1)
	s_or_b32 s19, s19, s23
.LBB14_1865:
	s_mov_b32 s23, 0
.LBB14_1866:
	s_delay_alu instid0(SALU_CYCLE_1)
	s_and_not1_b32 vcc_lo, exec_lo, s23
	s_cbranch_vccnz .LBB14_1868
; %bb.1867:
	global_load_u8 v1, v[2:3], off
	s_and_not1_b32 s19, s19, exec_lo
	s_wait_loadcnt 0x0
	v_cmp_ne_u16_e32 vcc_lo, 0, v1
	s_and_b32 s23, vcc_lo, exec_lo
	s_delay_alu instid0(SALU_CYCLE_1)
	s_or_b32 s19, s19, s23
.LBB14_1868:
	s_mov_b32 s23, -1
.LBB14_1869:
	s_branch .LBB14_1891
.LBB14_1870:
	s_cmp_gt_i32 s0, 22
	s_cbranch_scc0 .LBB14_1874
; %bb.1871:
	s_cmp_lt_i32 s0, 24
	s_cbranch_scc1 .LBB14_1875
; %bb.1872:
	s_cmp_gt_i32 s0, 24
	s_cbranch_scc0 .LBB14_1876
; %bb.1873:
	global_load_u8 v1, v[2:3], off
	s_mov_b32 s23, 0
	s_wait_loadcnt 0x0
	v_cmp_ne_u16_e64 s19, 0, v1
	s_branch .LBB14_1877
.LBB14_1874:
                                        ; implicit-def: $sgpr19
	s_mov_b32 s24, 0
	s_branch .LBB14_1883
.LBB14_1875:
	s_mov_b32 s23, -1
                                        ; implicit-def: $sgpr19
	s_branch .LBB14_1880
.LBB14_1876:
	s_mov_b32 s23, -1
                                        ; implicit-def: $sgpr19
.LBB14_1877:
	s_delay_alu instid0(SALU_CYCLE_1)
	s_and_not1_b32 vcc_lo, exec_lo, s23
	s_cbranch_vccnz .LBB14_1879
; %bb.1878:
	global_load_u8 v1, v[2:3], off
	s_and_not1_b32 s19, s19, exec_lo
	s_wait_loadcnt 0x0
	v_and_b32_e32 v1, 0x7f, v1
	s_delay_alu instid0(VALU_DEP_1) | instskip(SKIP_1) | instid1(SALU_CYCLE_1)
	v_cmp_ne_u16_e32 vcc_lo, 0, v1
	s_and_b32 s23, vcc_lo, exec_lo
	s_or_b32 s19, s19, s23
.LBB14_1879:
	s_mov_b32 s23, 0
.LBB14_1880:
	s_delay_alu instid0(SALU_CYCLE_1)
	s_and_not1_b32 vcc_lo, exec_lo, s23
	s_cbranch_vccnz .LBB14_1882
; %bb.1881:
	global_load_u8 v1, v[2:3], off
	s_and_not1_b32 s19, s19, exec_lo
	s_wait_loadcnt 0x0
	v_dual_lshlrev_b32 v4, 25, v1 :: v_dual_lshlrev_b32 v1, 8, v1
	s_delay_alu instid0(VALU_DEP_1) | instskip(NEXT) | instid1(VALU_DEP_2)
	v_cmp_gt_u32_e32 vcc_lo, 0x8000000, v4
	v_and_or_b32 v1, 0x7f00, v1, 0.5
	s_delay_alu instid0(VALU_DEP_1) | instskip(NEXT) | instid1(VALU_DEP_1)
	v_dual_lshrrev_b32 v5, 4, v4 :: v_dual_add_f32 v1, -0.5, v1
	v_or_b32_e32 v5, 0x70000000, v5
	s_delay_alu instid0(VALU_DEP_1) | instskip(NEXT) | instid1(VALU_DEP_1)
	v_mul_f32_e32 v5, 0x7800000, v5
	v_cndmask_b32_e32 v1, v5, v1, vcc_lo
	s_delay_alu instid0(VALU_DEP_1) | instskip(SKIP_1) | instid1(SALU_CYCLE_1)
	v_cmp_neq_f32_e32 vcc_lo, 0, v1
	s_and_b32 s23, vcc_lo, exec_lo
	s_or_b32 s19, s19, s23
.LBB14_1882:
	s_mov_b32 s23, -1
	s_and_not1_b32 vcc_lo, exec_lo, s24
	s_mov_b32 s24, 0
	s_cbranch_vccnz .LBB14_1891
.LBB14_1883:
	s_cmp_gt_i32 s0, 14
	s_cbranch_scc0 .LBB14_1886
; %bb.1884:
	s_cmp_eq_u32 s0, 15
	s_cbranch_scc0 .LBB14_1887
; %bb.1885:
	global_load_u16 v1, v[2:3], off
	s_mov_b32 s16, 0
	s_mov_b32 s23, -1
	s_wait_loadcnt 0x0
	v_and_b32_e32 v1, 0x7fff, v1
	s_delay_alu instid0(VALU_DEP_1)
	v_cmp_ne_u16_e64 s19, 0, v1
	s_branch .LBB14_1889
.LBB14_1886:
	s_mov_b32 s24, -1
	s_branch .LBB14_1888
.LBB14_1887:
	s_mov_b32 s16, -1
.LBB14_1888:
                                        ; implicit-def: $sgpr19
.LBB14_1889:
	s_and_b32 vcc_lo, exec_lo, s24
	s_mov_b32 s24, 0
	s_cbranch_vccz .LBB14_1891
; %bb.1890:
	s_cmp_lg_u32 s0, 11
	s_mov_b32 s24, -1
	s_cselect_b32 s16, -1, 0
.LBB14_1891:
	s_delay_alu instid0(SALU_CYCLE_1)
	s_and_b32 vcc_lo, exec_lo, s16
	s_mov_b32 s16, s21
	s_cbranch_vccnz .LBB14_1952
; %bb.1892:
	s_and_not1_b32 vcc_lo, exec_lo, s24
	s_cbranch_vccnz .LBB14_1894
.LBB14_1893:
	global_load_u8 v1, v[2:3], off
	s_and_not1_b32 s0, s19, exec_lo
	s_mov_b32 s23, -1
	s_wait_loadcnt 0x0
	v_cmp_ne_u16_e32 vcc_lo, 0, v1
	s_and_b32 s19, vcc_lo, exec_lo
	s_delay_alu instid0(SALU_CYCLE_1)
	s_or_b32 s19, s0, s19
.LBB14_1894:
	s_branch .LBB14_1843
.LBB14_1895:
	s_and_b32 s23, 0xffff, s22
	s_delay_alu instid0(SALU_CYCLE_1)
	s_cmp_lt_i32 s23, 5
	s_cbranch_scc1 .LBB14_1900
; %bb.1896:
	s_cmp_lt_i32 s23, 8
	s_cbranch_scc1 .LBB14_1901
; %bb.1897:
	;; [unrolled: 3-line block ×3, first 2 shown]
	s_cmp_gt_i32 s23, 9
	s_cbranch_scc0 .LBB14_1903
; %bb.1899:
	global_load_b128 v[4:7], v[2:3], off
	s_wait_loadcnt 0x0
	v_cmp_neq_f64_e32 vcc_lo, 0, v[4:5]
	v_cmp_neq_f64_e64 s0, 0, v[6:7]
	s_or_b32 s19, vcc_lo, s0
	s_mov_b32 s0, 0
	s_branch .LBB14_1904
.LBB14_1900:
                                        ; implicit-def: $sgpr19
	s_branch .LBB14_1921
.LBB14_1901:
                                        ; implicit-def: $sgpr19
	s_branch .LBB14_1910
.LBB14_1902:
	s_mov_b32 s0, -1
                                        ; implicit-def: $sgpr19
	s_branch .LBB14_1907
.LBB14_1903:
	s_mov_b32 s0, -1
                                        ; implicit-def: $sgpr19
.LBB14_1904:
	s_delay_alu instid0(SALU_CYCLE_1)
	s_and_not1_b32 vcc_lo, exec_lo, s0
	s_cbranch_vccnz .LBB14_1906
; %bb.1905:
	global_load_b64 v[4:5], v[2:3], off
	s_and_not1_b32 s0, s19, exec_lo
	s_wait_loadcnt 0x0
	v_bitop3_b32 v1, v4, 0x7fffffff, v5 bitop3:0xc8
	s_delay_alu instid0(VALU_DEP_1) | instskip(SKIP_1) | instid1(SALU_CYCLE_1)
	v_cmp_ne_u32_e32 vcc_lo, 0, v1
	s_and_b32 s19, vcc_lo, exec_lo
	s_or_b32 s19, s0, s19
.LBB14_1906:
	s_mov_b32 s0, 0
.LBB14_1907:
	s_delay_alu instid0(SALU_CYCLE_1)
	s_and_not1_b32 vcc_lo, exec_lo, s0
	s_cbranch_vccnz .LBB14_1909
; %bb.1908:
	global_load_b32 v1, v[2:3], off
	s_and_not1_b32 s0, s19, exec_lo
	s_wait_loadcnt 0x0
	v_and_b32_e32 v1, 0x7fff7fff, v1
	s_delay_alu instid0(VALU_DEP_1) | instskip(SKIP_1) | instid1(SALU_CYCLE_1)
	v_cmp_ne_u32_e32 vcc_lo, 0, v1
	s_and_b32 s19, vcc_lo, exec_lo
	s_or_b32 s19, s0, s19
.LBB14_1909:
	s_cbranch_execnz .LBB14_1920
.LBB14_1910:
	s_cmp_lt_i32 s23, 6
	s_cbranch_scc1 .LBB14_1913
; %bb.1911:
	s_cmp_gt_i32 s23, 6
	s_cbranch_scc0 .LBB14_1914
; %bb.1912:
	global_load_b64 v[4:5], v[2:3], off
	s_mov_b32 s0, 0
	s_wait_loadcnt 0x0
	v_cmp_neq_f64_e64 s19, 0, v[4:5]
	s_branch .LBB14_1915
.LBB14_1913:
	s_mov_b32 s0, -1
                                        ; implicit-def: $sgpr19
	s_branch .LBB14_1918
.LBB14_1914:
	s_mov_b32 s0, -1
                                        ; implicit-def: $sgpr19
.LBB14_1915:
	s_delay_alu instid0(SALU_CYCLE_1)
	s_and_not1_b32 vcc_lo, exec_lo, s0
	s_cbranch_vccnz .LBB14_1917
; %bb.1916:
	global_load_b32 v1, v[2:3], off
	s_and_not1_b32 s0, s19, exec_lo
	s_wait_loadcnt 0x0
	v_cmp_neq_f32_e32 vcc_lo, 0, v1
	s_and_b32 s19, vcc_lo, exec_lo
	s_delay_alu instid0(SALU_CYCLE_1)
	s_or_b32 s19, s0, s19
.LBB14_1917:
	s_mov_b32 s0, 0
.LBB14_1918:
	s_delay_alu instid0(SALU_CYCLE_1)
	s_and_not1_b32 vcc_lo, exec_lo, s0
	s_cbranch_vccnz .LBB14_1920
; %bb.1919:
	global_load_u16 v1, v[2:3], off
	s_and_not1_b32 s0, s19, exec_lo
	s_wait_loadcnt 0x0
	v_and_b32_e32 v1, 0x7fff, v1
	s_delay_alu instid0(VALU_DEP_1) | instskip(SKIP_1) | instid1(SALU_CYCLE_1)
	v_cmp_ne_u16_e32 vcc_lo, 0, v1
	s_and_b32 s19, vcc_lo, exec_lo
	s_or_b32 s19, s0, s19
.LBB14_1920:
	s_cbranch_execnz .LBB14_1939
.LBB14_1921:
	s_cmp_lt_i32 s23, 2
	s_cbranch_scc1 .LBB14_1925
; %bb.1922:
	s_cmp_lt_i32 s23, 3
	s_cbranch_scc1 .LBB14_1926
; %bb.1923:
	s_cmp_gt_i32 s23, 3
	s_cbranch_scc0 .LBB14_1927
; %bb.1924:
	global_load_b64 v[4:5], v[2:3], off
	s_mov_b32 s0, 0
	s_wait_loadcnt 0x0
	v_cmp_ne_u64_e64 s19, 0, v[4:5]
	s_branch .LBB14_1928
.LBB14_1925:
                                        ; implicit-def: $sgpr19
	s_branch .LBB14_1934
.LBB14_1926:
	s_mov_b32 s0, -1
                                        ; implicit-def: $sgpr19
	s_branch .LBB14_1931
.LBB14_1927:
	s_mov_b32 s0, -1
                                        ; implicit-def: $sgpr19
.LBB14_1928:
	s_delay_alu instid0(SALU_CYCLE_1)
	s_and_not1_b32 vcc_lo, exec_lo, s0
	s_cbranch_vccnz .LBB14_1930
; %bb.1929:
	global_load_b32 v1, v[2:3], off
	s_and_not1_b32 s0, s19, exec_lo
	s_wait_loadcnt 0x0
	v_cmp_ne_u32_e32 vcc_lo, 0, v1
	s_and_b32 s19, vcc_lo, exec_lo
	s_delay_alu instid0(SALU_CYCLE_1)
	s_or_b32 s19, s0, s19
.LBB14_1930:
	s_mov_b32 s0, 0
.LBB14_1931:
	s_delay_alu instid0(SALU_CYCLE_1)
	s_and_not1_b32 vcc_lo, exec_lo, s0
	s_cbranch_vccnz .LBB14_1933
; %bb.1932:
	global_load_u16 v1, v[2:3], off
	s_and_not1_b32 s0, s19, exec_lo
	s_wait_loadcnt 0x0
	v_cmp_ne_u16_e32 vcc_lo, 0, v1
	s_and_b32 s19, vcc_lo, exec_lo
	s_delay_alu instid0(SALU_CYCLE_1)
	s_or_b32 s19, s0, s19
.LBB14_1933:
	s_cbranch_execnz .LBB14_1939
.LBB14_1934:
	s_cmp_gt_i32 s23, 0
	s_mov_b32 s0, 0
	s_cbranch_scc0 .LBB14_1936
; %bb.1935:
	global_load_u8 v1, v[2:3], off
	s_wait_loadcnt 0x0
	v_cmp_ne_u16_e64 s19, 0, v1
	s_branch .LBB14_1937
.LBB14_1936:
	s_mov_b32 s0, -1
                                        ; implicit-def: $sgpr19
.LBB14_1937:
	s_delay_alu instid0(SALU_CYCLE_1)
	s_and_not1_b32 vcc_lo, exec_lo, s0
	s_cbranch_vccnz .LBB14_1939
; %bb.1938:
	global_load_u8 v1, v[2:3], off
	s_and_not1_b32 s0, s19, exec_lo
	s_wait_loadcnt 0x0
	v_cmp_ne_u16_e32 vcc_lo, 0, v1
	s_and_b32 s19, vcc_lo, exec_lo
	s_delay_alu instid0(SALU_CYCLE_1)
	s_or_b32 s19, s0, s19
.LBB14_1939:
.LBB14_1940:
	s_wait_xcnt 0x0
	v_mul_lo_u32 v2, s14, v8
	s_and_b32 s23, s3, 0xff
	s_delay_alu instid0(SALU_CYCLE_1) | instskip(NEXT) | instid1(VALU_DEP_1)
	s_cmp_lt_i32 s23, 11
	v_ashrrev_i32_e32 v3, 31, v2
	s_delay_alu instid0(VALU_DEP_1)
	v_add_nc_u64_e32 v[4:5], s[8:9], v[2:3]
	s_cbranch_scc1 .LBB14_1947
; %bb.1941:
	s_and_b32 s0, 0xffff, s23
	s_mov_b32 s26, 0
	s_cmp_gt_i32 s0, 25
	s_cbranch_scc0 .LBB14_1949
; %bb.1942:
	s_cmp_gt_i32 s0, 28
	s_cbranch_scc0 .LBB14_1950
; %bb.1943:
	;; [unrolled: 3-line block ×4, first 2 shown]
	s_cmp_eq_u32 s0, 46
	s_mov_b32 s27, 0
	s_cbranch_scc0 .LBB14_1956
; %bb.1946:
	global_load_b32 v1, v[4:5], off
	s_mov_b32 s24, 0
	s_mov_b32 s25, -1
	s_wait_loadcnt 0x0
	v_and_b32_e32 v1, 0x7fff7fff, v1
	s_delay_alu instid0(VALU_DEP_1)
	v_cmp_ne_u32_e64 s3, 0, v1
	s_branch .LBB14_1958
.LBB14_1947:
	s_mov_b32 s25, 0
                                        ; implicit-def: $sgpr3
	s_cbranch_execnz .LBB14_2005
.LBB14_1948:
	s_and_not1_b32 vcc_lo, exec_lo, s25
	s_cbranch_vccz .LBB14_2052
	s_branch .LBB14_3622
.LBB14_1949:
	s_mov_b32 s25, 0
	s_mov_b32 s24, 0
                                        ; implicit-def: $sgpr3
	s_cbranch_execnz .LBB14_1979
	s_branch .LBB14_2001
.LBB14_1950:
	s_mov_b32 s27, -1
	s_mov_b32 s25, 0
	s_mov_b32 s24, 0
                                        ; implicit-def: $sgpr3
	s_branch .LBB14_1966
.LBB14_1951:
	s_mov_b32 s27, -1
	s_mov_b32 s25, 0
	s_mov_b32 s24, 0
                                        ; implicit-def: $sgpr3
	s_branch .LBB14_1961
.LBB14_1952:
	s_mov_b32 s23, 0
	s_or_b32 s16, s21, exec_lo
	s_trap 2
	s_cbranch_execz .LBB14_1893
	s_branch .LBB14_1894
.LBB14_1953:
	s_mov_b32 s27, -1
	s_mov_b32 s25, 0
	s_mov_b32 s24, 0
	s_branch .LBB14_1957
.LBB14_1954:
	v_bfe_u32 v2, v3, 20, 1
	s_mov_b32 s27, exec_lo
	s_delay_alu instid0(VALU_DEP_1) | instskip(NEXT) | instid1(VALU_DEP_1)
	v_add3_u32 v2, v3, v2, 0x487ffff
                                        ; implicit-def: $vgpr3
	v_lshrrev_b32_e32 v2, 20, v2
	s_and_not1_saveexec_b32 s28, s28
	s_cbranch_execz .LBB14_1747
.LBB14_1955:
	v_add_f32_e32 v2, 0x46000000, v3
	s_and_not1_b32 s27, s27, exec_lo
	s_delay_alu instid0(VALU_DEP_1) | instskip(NEXT) | instid1(VALU_DEP_1)
	v_and_b32_e32 v2, 0xff, v2
	v_cmp_ne_u32_e32 vcc_lo, 0, v2
	s_and_b32 s30, vcc_lo, exec_lo
	s_delay_alu instid0(SALU_CYCLE_1)
	s_or_b32 s27, s27, s30
	s_or_b32 exec_lo, exec_lo, s28
	v_mov_b32_e32 v4, 0
	s_and_saveexec_b32 s28, s27
	s_cbranch_execnz .LBB14_1748
	s_branch .LBB14_1749
.LBB14_1956:
	s_mov_b32 s24, -1
	s_mov_b32 s25, 0
.LBB14_1957:
                                        ; implicit-def: $sgpr3
.LBB14_1958:
	s_and_b32 vcc_lo, exec_lo, s27
	s_cbranch_vccz .LBB14_1960
; %bb.1959:
	s_cmp_lg_u32 s0, 44
	s_mov_b32 s25, -1
	s_cselect_b32 s24, -1, 0
	s_or_b32 s3, s3, exec_lo
.LBB14_1960:
	s_mov_b32 s27, 0
.LBB14_1961:
	s_delay_alu instid0(SALU_CYCLE_1)
	s_and_b32 vcc_lo, exec_lo, s27
	s_cbranch_vccz .LBB14_1965
; %bb.1962:
	s_cmp_eq_u32 s0, 29
	s_cbranch_scc0 .LBB14_1964
; %bb.1963:
	global_load_b64 v[6:7], v[4:5], off
	s_mov_b32 s24, 0
	s_mov_b32 s25, -1
	s_mov_b32 s27, 0
	s_wait_loadcnt 0x0
	v_cmp_ne_u64_e64 s3, 0, v[6:7]
	s_branch .LBB14_1966
.LBB14_1964:
	s_mov_b32 s24, -1
                                        ; implicit-def: $sgpr3
.LBB14_1965:
	s_mov_b32 s27, 0
.LBB14_1966:
	s_delay_alu instid0(SALU_CYCLE_1)
	s_and_b32 vcc_lo, exec_lo, s27
	s_cbranch_vccz .LBB14_1978
; %bb.1967:
	s_cmp_lt_i32 s0, 27
	s_cbranch_scc1 .LBB14_1970
; %bb.1968:
	s_cmp_gt_i32 s0, 27
	s_cbranch_scc0 .LBB14_1971
; %bb.1969:
	global_load_b32 v1, v[4:5], off
	s_mov_b32 s25, 0
	s_wait_loadcnt 0x0
	v_cmp_ne_u32_e64 s3, 0, v1
	s_branch .LBB14_1972
.LBB14_1970:
	s_mov_b32 s25, -1
                                        ; implicit-def: $sgpr3
	s_branch .LBB14_1975
.LBB14_1971:
	s_mov_b32 s25, -1
                                        ; implicit-def: $sgpr3
.LBB14_1972:
	s_delay_alu instid0(SALU_CYCLE_1)
	s_and_not1_b32 vcc_lo, exec_lo, s25
	s_cbranch_vccnz .LBB14_1974
; %bb.1973:
	global_load_u16 v1, v[4:5], off
	s_and_not1_b32 s3, s3, exec_lo
	s_wait_loadcnt 0x0
	v_cmp_ne_u16_e32 vcc_lo, 0, v1
	s_and_b32 s25, vcc_lo, exec_lo
	s_delay_alu instid0(SALU_CYCLE_1)
	s_or_b32 s3, s3, s25
.LBB14_1974:
	s_mov_b32 s25, 0
.LBB14_1975:
	s_delay_alu instid0(SALU_CYCLE_1)
	s_and_not1_b32 vcc_lo, exec_lo, s25
	s_cbranch_vccnz .LBB14_1977
; %bb.1976:
	global_load_u8 v1, v[4:5], off
	s_and_not1_b32 s3, s3, exec_lo
	s_wait_loadcnt 0x0
	v_cmp_ne_u16_e32 vcc_lo, 0, v1
	s_and_b32 s25, vcc_lo, exec_lo
	s_delay_alu instid0(SALU_CYCLE_1)
	s_or_b32 s3, s3, s25
.LBB14_1977:
	s_mov_b32 s25, -1
.LBB14_1978:
	s_branch .LBB14_2001
.LBB14_1979:
	s_cmp_gt_i32 s0, 22
	s_cbranch_scc0 .LBB14_1983
; %bb.1980:
	s_cmp_lt_i32 s0, 24
	s_cbranch_scc1 .LBB14_1984
; %bb.1981:
	s_cmp_gt_i32 s0, 24
	s_cbranch_scc0 .LBB14_1985
; %bb.1982:
	global_load_u8 v1, v[4:5], off
	s_mov_b32 s25, 0
	s_wait_loadcnt 0x0
	v_cmp_ne_u16_e64 s3, 0, v1
	s_branch .LBB14_1986
.LBB14_1983:
	s_mov_b32 s26, -1
                                        ; implicit-def: $sgpr3
	s_branch .LBB14_1992
.LBB14_1984:
	s_mov_b32 s25, -1
                                        ; implicit-def: $sgpr3
	s_branch .LBB14_1989
.LBB14_1985:
	s_mov_b32 s25, -1
                                        ; implicit-def: $sgpr3
.LBB14_1986:
	s_delay_alu instid0(SALU_CYCLE_1)
	s_and_not1_b32 vcc_lo, exec_lo, s25
	s_cbranch_vccnz .LBB14_1988
; %bb.1987:
	global_load_u8 v1, v[4:5], off
	s_and_not1_b32 s3, s3, exec_lo
	s_wait_loadcnt 0x0
	v_and_b32_e32 v1, 0x7f, v1
	s_delay_alu instid0(VALU_DEP_1) | instskip(SKIP_1) | instid1(SALU_CYCLE_1)
	v_cmp_ne_u16_e32 vcc_lo, 0, v1
	s_and_b32 s25, vcc_lo, exec_lo
	s_or_b32 s3, s3, s25
.LBB14_1988:
	s_mov_b32 s25, 0
.LBB14_1989:
	s_delay_alu instid0(SALU_CYCLE_1)
	s_and_not1_b32 vcc_lo, exec_lo, s25
	s_cbranch_vccnz .LBB14_1991
; %bb.1990:
	global_load_u8 v1, v[4:5], off
	s_and_not1_b32 s3, s3, exec_lo
	s_wait_loadcnt 0x0
	v_dual_lshlrev_b32 v3, 25, v1 :: v_dual_lshlrev_b32 v1, 8, v1
	s_delay_alu instid0(VALU_DEP_1) | instskip(NEXT) | instid1(VALU_DEP_2)
	v_cmp_gt_u32_e32 vcc_lo, 0x8000000, v3
	v_and_or_b32 v1, 0x7f00, v1, 0.5
	s_delay_alu instid0(VALU_DEP_1) | instskip(NEXT) | instid1(VALU_DEP_1)
	v_dual_add_f32 v1, -0.5, v1 :: v_dual_lshrrev_b32 v6, 4, v3
	v_or_b32_e32 v6, 0x70000000, v6
	s_delay_alu instid0(VALU_DEP_1) | instskip(NEXT) | instid1(VALU_DEP_1)
	v_mul_f32_e32 v6, 0x7800000, v6
	v_cndmask_b32_e32 v1, v6, v1, vcc_lo
	s_delay_alu instid0(VALU_DEP_1) | instskip(SKIP_1) | instid1(SALU_CYCLE_1)
	v_cmp_neq_f32_e32 vcc_lo, 0, v1
	s_and_b32 s25, vcc_lo, exec_lo
	s_or_b32 s3, s3, s25
.LBB14_1991:
	s_mov_b32 s25, -1
.LBB14_1992:
	s_and_not1_b32 vcc_lo, exec_lo, s26
	s_mov_b32 s26, 0
	s_cbranch_vccnz .LBB14_2001
; %bb.1993:
	s_cmp_gt_i32 s0, 14
	s_cbranch_scc0 .LBB14_1996
; %bb.1994:
	s_cmp_eq_u32 s0, 15
	s_cbranch_scc0 .LBB14_1997
; %bb.1995:
	global_load_u16 v1, v[4:5], off
	s_mov_b32 s24, 0
	s_mov_b32 s25, -1
	s_wait_loadcnt 0x0
	v_and_b32_e32 v1, 0x7fff, v1
	s_delay_alu instid0(VALU_DEP_1)
	v_cmp_ne_u16_e64 s3, 0, v1
	s_branch .LBB14_1999
.LBB14_1996:
	s_mov_b32 s26, -1
	s_branch .LBB14_1998
.LBB14_1997:
	s_mov_b32 s24, -1
.LBB14_1998:
                                        ; implicit-def: $sgpr3
.LBB14_1999:
	s_and_b32 vcc_lo, exec_lo, s26
	s_mov_b32 s26, 0
	s_cbranch_vccz .LBB14_2001
; %bb.2000:
	s_cmp_lg_u32 s0, 11
	s_mov_b32 s26, -1
	s_cselect_b32 s24, -1, 0
.LBB14_2001:
	s_delay_alu instid0(SALU_CYCLE_1)
	s_and_b32 vcc_lo, exec_lo, s24
	s_cbranch_vccnz .LBB14_2064
; %bb.2002:
	s_and_not1_b32 vcc_lo, exec_lo, s26
	s_cbranch_vccnz .LBB14_2004
.LBB14_2003:
	global_load_u8 v1, v[4:5], off
	s_and_not1_b32 s0, s3, exec_lo
	s_mov_b32 s25, -1
	s_wait_loadcnt 0x0
	v_cmp_ne_u16_e32 vcc_lo, 0, v1
	s_and_b32 s3, vcc_lo, exec_lo
	s_delay_alu instid0(SALU_CYCLE_1)
	s_or_b32 s3, s0, s3
.LBB14_2004:
	s_branch .LBB14_1948
.LBB14_2005:
	s_and_b32 s24, 0xffff, s23
	s_delay_alu instid0(SALU_CYCLE_1)
	s_cmp_lt_i32 s24, 5
	s_cbranch_scc1 .LBB14_2010
; %bb.2006:
	s_cmp_lt_i32 s24, 8
	s_cbranch_scc1 .LBB14_2011
; %bb.2007:
	;; [unrolled: 3-line block ×3, first 2 shown]
	s_cmp_gt_i32 s24, 9
	s_cbranch_scc0 .LBB14_2013
; %bb.2009:
	global_load_b128 v[10:13], v[4:5], off
	s_wait_loadcnt 0x0
	v_cmp_neq_f64_e32 vcc_lo, 0, v[10:11]
	v_cmp_neq_f64_e64 s0, 0, v[12:13]
	s_or_b32 s3, vcc_lo, s0
	s_mov_b32 s0, 0
	s_branch .LBB14_2014
.LBB14_2010:
                                        ; implicit-def: $sgpr3
	s_branch .LBB14_2032
.LBB14_2011:
	s_mov_b32 s0, -1
                                        ; implicit-def: $sgpr3
	s_branch .LBB14_2020
.LBB14_2012:
	s_mov_b32 s0, -1
                                        ; implicit-def: $sgpr3
	s_branch .LBB14_2017
.LBB14_2013:
	s_mov_b32 s0, -1
                                        ; implicit-def: $sgpr3
.LBB14_2014:
	s_delay_alu instid0(SALU_CYCLE_1)
	s_and_not1_b32 vcc_lo, exec_lo, s0
	s_cbranch_vccnz .LBB14_2016
; %bb.2015:
	global_load_b64 v[6:7], v[4:5], off
	s_and_not1_b32 s0, s3, exec_lo
	s_wait_loadcnt 0x0
	v_bitop3_b32 v1, v6, 0x7fffffff, v7 bitop3:0xc8
	s_delay_alu instid0(VALU_DEP_1) | instskip(SKIP_1) | instid1(SALU_CYCLE_1)
	v_cmp_ne_u32_e32 vcc_lo, 0, v1
	s_and_b32 s3, vcc_lo, exec_lo
	s_or_b32 s3, s0, s3
.LBB14_2016:
	s_mov_b32 s0, 0
.LBB14_2017:
	s_delay_alu instid0(SALU_CYCLE_1)
	s_and_not1_b32 vcc_lo, exec_lo, s0
	s_cbranch_vccnz .LBB14_2019
; %bb.2018:
	global_load_b32 v1, v[4:5], off
	s_and_not1_b32 s0, s3, exec_lo
	s_wait_loadcnt 0x0
	v_and_b32_e32 v1, 0x7fff7fff, v1
	s_delay_alu instid0(VALU_DEP_1) | instskip(SKIP_1) | instid1(SALU_CYCLE_1)
	v_cmp_ne_u32_e32 vcc_lo, 0, v1
	s_and_b32 s3, vcc_lo, exec_lo
	s_or_b32 s3, s0, s3
.LBB14_2019:
	s_mov_b32 s0, 0
.LBB14_2020:
	s_delay_alu instid0(SALU_CYCLE_1)
	s_and_not1_b32 vcc_lo, exec_lo, s0
	s_cbranch_vccnz .LBB14_2031
; %bb.2021:
	s_cmp_lt_i32 s24, 6
	s_cbranch_scc1 .LBB14_2024
; %bb.2022:
	s_cmp_gt_i32 s24, 6
	s_cbranch_scc0 .LBB14_2025
; %bb.2023:
	global_load_b64 v[6:7], v[4:5], off
	s_mov_b32 s0, 0
	s_wait_loadcnt 0x0
	v_cmp_neq_f64_e64 s3, 0, v[6:7]
	s_branch .LBB14_2026
.LBB14_2024:
	s_mov_b32 s0, -1
                                        ; implicit-def: $sgpr3
	s_branch .LBB14_2029
.LBB14_2025:
	s_mov_b32 s0, -1
                                        ; implicit-def: $sgpr3
.LBB14_2026:
	s_delay_alu instid0(SALU_CYCLE_1)
	s_and_not1_b32 vcc_lo, exec_lo, s0
	s_cbranch_vccnz .LBB14_2028
; %bb.2027:
	global_load_b32 v1, v[4:5], off
	s_and_not1_b32 s0, s3, exec_lo
	s_wait_loadcnt 0x0
	v_cmp_neq_f32_e32 vcc_lo, 0, v1
	s_and_b32 s3, vcc_lo, exec_lo
	s_delay_alu instid0(SALU_CYCLE_1)
	s_or_b32 s3, s0, s3
.LBB14_2028:
	s_mov_b32 s0, 0
.LBB14_2029:
	s_delay_alu instid0(SALU_CYCLE_1)
	s_and_not1_b32 vcc_lo, exec_lo, s0
	s_cbranch_vccnz .LBB14_2031
; %bb.2030:
	global_load_u16 v1, v[4:5], off
	s_and_not1_b32 s0, s3, exec_lo
	s_wait_loadcnt 0x0
	v_and_b32_e32 v1, 0x7fff, v1
	s_delay_alu instid0(VALU_DEP_1) | instskip(SKIP_1) | instid1(SALU_CYCLE_1)
	v_cmp_ne_u16_e32 vcc_lo, 0, v1
	s_and_b32 s3, vcc_lo, exec_lo
	s_or_b32 s3, s0, s3
.LBB14_2031:
	s_cbranch_execnz .LBB14_2051
.LBB14_2032:
	s_cmp_lt_i32 s24, 2
	s_cbranch_scc1 .LBB14_2036
; %bb.2033:
	s_cmp_lt_i32 s24, 3
	s_cbranch_scc1 .LBB14_2037
; %bb.2034:
	s_cmp_gt_i32 s24, 3
	s_cbranch_scc0 .LBB14_2038
; %bb.2035:
	global_load_b64 v[6:7], v[4:5], off
	s_mov_b32 s0, 0
	s_wait_loadcnt 0x0
	v_cmp_ne_u64_e64 s3, 0, v[6:7]
	s_branch .LBB14_2039
.LBB14_2036:
	s_mov_b32 s0, -1
                                        ; implicit-def: $sgpr3
	s_branch .LBB14_2045
.LBB14_2037:
	s_mov_b32 s0, -1
                                        ; implicit-def: $sgpr3
	s_branch .LBB14_2042
.LBB14_2038:
	s_mov_b32 s0, -1
                                        ; implicit-def: $sgpr3
.LBB14_2039:
	s_delay_alu instid0(SALU_CYCLE_1)
	s_and_not1_b32 vcc_lo, exec_lo, s0
	s_cbranch_vccnz .LBB14_2041
; %bb.2040:
	global_load_b32 v1, v[4:5], off
	s_and_not1_b32 s0, s3, exec_lo
	s_wait_loadcnt 0x0
	v_cmp_ne_u32_e32 vcc_lo, 0, v1
	s_and_b32 s3, vcc_lo, exec_lo
	s_delay_alu instid0(SALU_CYCLE_1)
	s_or_b32 s3, s0, s3
.LBB14_2041:
	s_mov_b32 s0, 0
.LBB14_2042:
	s_delay_alu instid0(SALU_CYCLE_1)
	s_and_not1_b32 vcc_lo, exec_lo, s0
	s_cbranch_vccnz .LBB14_2044
; %bb.2043:
	global_load_u16 v1, v[4:5], off
	s_and_not1_b32 s0, s3, exec_lo
	s_wait_loadcnt 0x0
	v_cmp_ne_u16_e32 vcc_lo, 0, v1
	s_and_b32 s3, vcc_lo, exec_lo
	s_delay_alu instid0(SALU_CYCLE_1)
	s_or_b32 s3, s0, s3
.LBB14_2044:
	s_mov_b32 s0, 0
.LBB14_2045:
	s_delay_alu instid0(SALU_CYCLE_1)
	s_and_not1_b32 vcc_lo, exec_lo, s0
	s_cbranch_vccnz .LBB14_2051
; %bb.2046:
	s_cmp_gt_i32 s24, 0
	s_mov_b32 s0, 0
	s_cbranch_scc0 .LBB14_2048
; %bb.2047:
	global_load_u8 v1, v[4:5], off
	s_wait_loadcnt 0x0
	v_cmp_ne_u16_e64 s3, 0, v1
	s_branch .LBB14_2049
.LBB14_2048:
	s_mov_b32 s0, -1
                                        ; implicit-def: $sgpr3
.LBB14_2049:
	s_delay_alu instid0(SALU_CYCLE_1)
	s_and_not1_b32 vcc_lo, exec_lo, s0
	s_cbranch_vccnz .LBB14_2051
; %bb.2050:
	global_load_u8 v1, v[4:5], off
	s_and_not1_b32 s0, s3, exec_lo
	s_wait_loadcnt 0x0
	v_cmp_ne_u16_e32 vcc_lo, 0, v1
	s_and_b32 s3, vcc_lo, exec_lo
	s_delay_alu instid0(SALU_CYCLE_1)
	s_or_b32 s3, s0, s3
.LBB14_2051:
.LBB14_2052:
	s_wait_xcnt 0x0
	v_mul_lo_u32 v4, s15, v8
	s_and_b32 s24, s17, 0xff
	s_delay_alu instid0(SALU_CYCLE_1) | instskip(NEXT) | instid1(VALU_DEP_1)
	s_cmp_lt_i32 s24, 11
	v_ashrrev_i32_e32 v5, 31, v4
	s_delay_alu instid0(VALU_DEP_1)
	v_add_nc_u64_e32 v[6:7], s[10:11], v[4:5]
	s_cbranch_scc1 .LBB14_2059
; %bb.2053:
	s_and_b32 s0, 0xffff, s24
	s_mov_b32 s27, 0
	s_cmp_gt_i32 s0, 25
	s_cbranch_scc0 .LBB14_2061
; %bb.2054:
	s_cmp_gt_i32 s0, 28
	s_cbranch_scc0 .LBB14_2062
; %bb.2055:
	;; [unrolled: 3-line block ×4, first 2 shown]
	s_cmp_eq_u32 s0, 46
	s_mov_b32 s28, 0
	s_cbranch_scc0 .LBB14_2068
; %bb.2058:
	global_load_b32 v1, v[6:7], off
	s_mov_b32 s25, 0
	s_mov_b32 s26, -1
	s_wait_loadcnt 0x0
	v_and_b32_e32 v1, 0x7fff7fff, v1
	s_delay_alu instid0(VALU_DEP_1)
	v_cmp_ne_u32_e64 s17, 0, v1
	s_branch .LBB14_2070
.LBB14_2059:
	s_mov_b32 s26, 0
                                        ; implicit-def: $sgpr17
	s_cbranch_execnz .LBB14_2118
.LBB14_2060:
	s_and_not1_b32 vcc_lo, exec_lo, s26
	s_cbranch_vccz .LBB14_2166
	s_branch .LBB14_3622
.LBB14_2061:
	s_mov_b32 s28, -1
	s_mov_b32 s26, 0
	s_mov_b32 s25, 0
                                        ; implicit-def: $sgpr17
	s_branch .LBB14_2091
.LBB14_2062:
	s_mov_b32 s28, -1
	s_mov_b32 s26, 0
	s_mov_b32 s25, 0
                                        ; implicit-def: $sgpr17
	s_branch .LBB14_2078
.LBB14_2063:
	s_mov_b32 s28, -1
	s_mov_b32 s26, 0
	s_mov_b32 s25, 0
                                        ; implicit-def: $sgpr17
	s_branch .LBB14_2073
.LBB14_2064:
	s_mov_b32 s25, 0
	s_or_b32 s16, s16, exec_lo
	s_trap 2
	s_cbranch_execz .LBB14_2003
	s_branch .LBB14_2004
.LBB14_2065:
	s_mov_b32 s28, -1
	s_mov_b32 s26, 0
	s_mov_b32 s25, 0
	s_branch .LBB14_2069
.LBB14_2066:
	v_bfe_u32 v2, v3, 21, 1
	s_mov_b32 s28, exec_lo
	s_delay_alu instid0(VALU_DEP_1) | instskip(NEXT) | instid1(VALU_DEP_1)
	v_add3_u32 v2, v3, v2, 0x88fffff
                                        ; implicit-def: $vgpr3
	v_lshrrev_b32_e32 v2, 21, v2
	s_and_not1_saveexec_b32 s30, s30
	s_cbranch_execz .LBB14_1759
.LBB14_2067:
	v_add_f32_e32 v2, 0x42800000, v3
	s_and_not1_b32 s28, s28, exec_lo
	s_delay_alu instid0(VALU_DEP_1) | instskip(NEXT) | instid1(VALU_DEP_1)
	v_and_b32_e32 v2, 0xff, v2
	v_cmp_ne_u32_e32 vcc_lo, 0, v2
	s_and_b32 s31, vcc_lo, exec_lo
	s_delay_alu instid0(SALU_CYCLE_1)
	s_or_b32 s28, s28, s31
	s_or_b32 exec_lo, exec_lo, s30
	v_mov_b32_e32 v4, 0
	s_and_saveexec_b32 s30, s28
	s_cbranch_execnz .LBB14_1760
	s_branch .LBB14_1761
.LBB14_2068:
	s_mov_b32 s25, -1
	s_mov_b32 s26, 0
.LBB14_2069:
                                        ; implicit-def: $sgpr17
.LBB14_2070:
	s_and_b32 vcc_lo, exec_lo, s28
	s_cbranch_vccz .LBB14_2072
; %bb.2071:
	s_cmp_lg_u32 s0, 44
	s_mov_b32 s26, -1
	s_cselect_b32 s25, -1, 0
	s_or_b32 s17, s17, exec_lo
.LBB14_2072:
	s_mov_b32 s28, 0
.LBB14_2073:
	s_delay_alu instid0(SALU_CYCLE_1)
	s_and_b32 vcc_lo, exec_lo, s28
	s_cbranch_vccz .LBB14_2077
; %bb.2074:
	s_cmp_eq_u32 s0, 29
	s_cbranch_scc0 .LBB14_2076
; %bb.2075:
	global_load_b64 v[10:11], v[6:7], off
	s_mov_b32 s25, 0
	s_mov_b32 s26, -1
	s_mov_b32 s28, 0
	s_wait_loadcnt 0x0
	v_cmp_ne_u64_e64 s17, 0, v[10:11]
	s_branch .LBB14_2078
.LBB14_2076:
	s_mov_b32 s25, -1
                                        ; implicit-def: $sgpr17
.LBB14_2077:
	s_mov_b32 s28, 0
.LBB14_2078:
	s_delay_alu instid0(SALU_CYCLE_1)
	s_and_b32 vcc_lo, exec_lo, s28
	s_cbranch_vccz .LBB14_2090
; %bb.2079:
	s_cmp_lt_i32 s0, 27
	s_cbranch_scc1 .LBB14_2082
; %bb.2080:
	s_cmp_gt_i32 s0, 27
	s_cbranch_scc0 .LBB14_2083
; %bb.2081:
	global_load_b32 v1, v[6:7], off
	s_mov_b32 s26, 0
	s_wait_loadcnt 0x0
	v_cmp_ne_u32_e64 s17, 0, v1
	s_branch .LBB14_2084
.LBB14_2082:
	s_mov_b32 s26, -1
                                        ; implicit-def: $sgpr17
	s_branch .LBB14_2087
.LBB14_2083:
	s_mov_b32 s26, -1
                                        ; implicit-def: $sgpr17
.LBB14_2084:
	s_delay_alu instid0(SALU_CYCLE_1)
	s_and_not1_b32 vcc_lo, exec_lo, s26
	s_cbranch_vccnz .LBB14_2086
; %bb.2085:
	global_load_u16 v1, v[6:7], off
	s_and_not1_b32 s17, s17, exec_lo
	s_wait_loadcnt 0x0
	v_cmp_ne_u16_e32 vcc_lo, 0, v1
	s_and_b32 s26, vcc_lo, exec_lo
	s_delay_alu instid0(SALU_CYCLE_1)
	s_or_b32 s17, s17, s26
.LBB14_2086:
	s_mov_b32 s26, 0
.LBB14_2087:
	s_delay_alu instid0(SALU_CYCLE_1)
	s_and_not1_b32 vcc_lo, exec_lo, s26
	s_cbranch_vccnz .LBB14_2089
; %bb.2088:
	global_load_u8 v1, v[6:7], off
	s_and_not1_b32 s17, s17, exec_lo
	s_wait_loadcnt 0x0
	v_cmp_ne_u16_e32 vcc_lo, 0, v1
	s_and_b32 s26, vcc_lo, exec_lo
	s_delay_alu instid0(SALU_CYCLE_1)
	s_or_b32 s17, s17, s26
.LBB14_2089:
	s_mov_b32 s26, -1
.LBB14_2090:
	s_mov_b32 s28, 0
.LBB14_2091:
	s_delay_alu instid0(SALU_CYCLE_1)
	s_and_b32 vcc_lo, exec_lo, s28
	s_cbranch_vccz .LBB14_2114
; %bb.2092:
	s_cmp_gt_i32 s0, 22
	s_cbranch_scc0 .LBB14_2096
; %bb.2093:
	s_cmp_lt_i32 s0, 24
	s_cbranch_scc1 .LBB14_2097
; %bb.2094:
	s_cmp_gt_i32 s0, 24
	s_cbranch_scc0 .LBB14_2098
; %bb.2095:
	global_load_u8 v1, v[6:7], off
	s_mov_b32 s26, 0
	s_wait_loadcnt 0x0
	v_cmp_ne_u16_e64 s17, 0, v1
	s_branch .LBB14_2099
.LBB14_2096:
	s_mov_b32 s27, -1
                                        ; implicit-def: $sgpr17
	s_branch .LBB14_2105
.LBB14_2097:
	s_mov_b32 s26, -1
                                        ; implicit-def: $sgpr17
	s_branch .LBB14_2102
.LBB14_2098:
	s_mov_b32 s26, -1
                                        ; implicit-def: $sgpr17
.LBB14_2099:
	s_delay_alu instid0(SALU_CYCLE_1)
	s_and_not1_b32 vcc_lo, exec_lo, s26
	s_cbranch_vccnz .LBB14_2101
; %bb.2100:
	global_load_u8 v1, v[6:7], off
	s_and_not1_b32 s17, s17, exec_lo
	s_wait_loadcnt 0x0
	v_and_b32_e32 v1, 0x7f, v1
	s_delay_alu instid0(VALU_DEP_1) | instskip(SKIP_1) | instid1(SALU_CYCLE_1)
	v_cmp_ne_u16_e32 vcc_lo, 0, v1
	s_and_b32 s26, vcc_lo, exec_lo
	s_or_b32 s17, s17, s26
.LBB14_2101:
	s_mov_b32 s26, 0
.LBB14_2102:
	s_delay_alu instid0(SALU_CYCLE_1)
	s_and_not1_b32 vcc_lo, exec_lo, s26
	s_cbranch_vccnz .LBB14_2104
; %bb.2103:
	global_load_u8 v1, v[6:7], off
	s_and_not1_b32 s17, s17, exec_lo
	s_wait_loadcnt 0x0
	v_dual_lshlrev_b32 v3, 25, v1 :: v_dual_lshlrev_b32 v1, 8, v1
	s_delay_alu instid0(VALU_DEP_1) | instskip(NEXT) | instid1(VALU_DEP_2)
	v_cmp_gt_u32_e32 vcc_lo, 0x8000000, v3
	v_and_or_b32 v1, 0x7f00, v1, 0.5
	s_delay_alu instid0(VALU_DEP_1) | instskip(NEXT) | instid1(VALU_DEP_1)
	v_dual_lshrrev_b32 v5, 4, v3 :: v_dual_add_f32 v1, -0.5, v1
	v_or_b32_e32 v5, 0x70000000, v5
	s_delay_alu instid0(VALU_DEP_1) | instskip(NEXT) | instid1(VALU_DEP_1)
	v_mul_f32_e32 v5, 0x7800000, v5
	v_cndmask_b32_e32 v1, v5, v1, vcc_lo
	s_delay_alu instid0(VALU_DEP_1) | instskip(SKIP_1) | instid1(SALU_CYCLE_1)
	v_cmp_neq_f32_e32 vcc_lo, 0, v1
	s_and_b32 s26, vcc_lo, exec_lo
	s_or_b32 s17, s17, s26
.LBB14_2104:
	s_mov_b32 s26, -1
.LBB14_2105:
	s_and_not1_b32 vcc_lo, exec_lo, s27
	s_mov_b32 s27, 0
	s_cbranch_vccnz .LBB14_2114
; %bb.2106:
	s_cmp_gt_i32 s0, 14
	s_cbranch_scc0 .LBB14_2109
; %bb.2107:
	s_cmp_eq_u32 s0, 15
	s_cbranch_scc0 .LBB14_2110
; %bb.2108:
	global_load_u16 v1, v[6:7], off
	s_mov_b32 s25, 0
	s_mov_b32 s26, -1
	s_wait_loadcnt 0x0
	v_and_b32_e32 v1, 0x7fff, v1
	s_delay_alu instid0(VALU_DEP_1)
	v_cmp_ne_u16_e64 s17, 0, v1
	s_branch .LBB14_2112
.LBB14_2109:
	s_mov_b32 s27, -1
	s_branch .LBB14_2111
.LBB14_2110:
	s_mov_b32 s25, -1
.LBB14_2111:
                                        ; implicit-def: $sgpr17
.LBB14_2112:
	s_and_b32 vcc_lo, exec_lo, s27
	s_mov_b32 s27, 0
	s_cbranch_vccz .LBB14_2114
; %bb.2113:
	s_cmp_lg_u32 s0, 11
	s_mov_b32 s27, -1
	s_cselect_b32 s25, -1, 0
.LBB14_2114:
	s_delay_alu instid0(SALU_CYCLE_1)
	s_and_b32 vcc_lo, exec_lo, s25
	s_cbranch_vccnz .LBB14_2177
; %bb.2115:
	s_and_not1_b32 vcc_lo, exec_lo, s27
	s_cbranch_vccnz .LBB14_2117
.LBB14_2116:
	global_load_u8 v1, v[6:7], off
	s_and_not1_b32 s0, s17, exec_lo
	s_mov_b32 s26, -1
	s_wait_loadcnt 0x0
	v_cmp_ne_u16_e32 vcc_lo, 0, v1
	s_and_b32 s17, vcc_lo, exec_lo
	s_delay_alu instid0(SALU_CYCLE_1)
	s_or_b32 s17, s0, s17
.LBB14_2117:
	s_branch .LBB14_2060
.LBB14_2118:
	s_and_b32 s25, 0xffff, s24
	s_delay_alu instid0(SALU_CYCLE_1)
	s_cmp_lt_i32 s25, 5
	s_cbranch_scc1 .LBB14_2123
; %bb.2119:
	s_cmp_lt_i32 s25, 8
	s_cbranch_scc1 .LBB14_2124
; %bb.2120:
	;; [unrolled: 3-line block ×3, first 2 shown]
	s_cmp_gt_i32 s25, 9
	s_cbranch_scc0 .LBB14_2126
; %bb.2122:
	global_load_b128 v[10:13], v[6:7], off
	s_wait_loadcnt 0x0
	v_cmp_neq_f64_e32 vcc_lo, 0, v[10:11]
	v_cmp_neq_f64_e64 s0, 0, v[12:13]
	s_or_b32 s17, vcc_lo, s0
	s_mov_b32 s0, 0
	s_branch .LBB14_2127
.LBB14_2123:
	s_mov_b32 s0, -1
                                        ; implicit-def: $sgpr17
	s_branch .LBB14_2145
.LBB14_2124:
	s_mov_b32 s0, -1
                                        ; implicit-def: $sgpr17
	s_branch .LBB14_2133
.LBB14_2125:
	s_mov_b32 s0, -1
                                        ; implicit-def: $sgpr17
	s_branch .LBB14_2130
.LBB14_2126:
	s_mov_b32 s0, -1
                                        ; implicit-def: $sgpr17
.LBB14_2127:
	s_delay_alu instid0(SALU_CYCLE_1)
	s_and_not1_b32 vcc_lo, exec_lo, s0
	s_cbranch_vccnz .LBB14_2129
; %bb.2128:
	global_load_b64 v[10:11], v[6:7], off
	s_and_not1_b32 s0, s17, exec_lo
	s_wait_loadcnt 0x0
	v_bitop3_b32 v1, v10, 0x7fffffff, v11 bitop3:0xc8
	s_delay_alu instid0(VALU_DEP_1) | instskip(SKIP_1) | instid1(SALU_CYCLE_1)
	v_cmp_ne_u32_e32 vcc_lo, 0, v1
	s_and_b32 s17, vcc_lo, exec_lo
	s_or_b32 s17, s0, s17
.LBB14_2129:
	s_mov_b32 s0, 0
.LBB14_2130:
	s_delay_alu instid0(SALU_CYCLE_1)
	s_and_not1_b32 vcc_lo, exec_lo, s0
	s_cbranch_vccnz .LBB14_2132
; %bb.2131:
	global_load_b32 v1, v[6:7], off
	s_and_not1_b32 s0, s17, exec_lo
	s_wait_loadcnt 0x0
	v_and_b32_e32 v1, 0x7fff7fff, v1
	s_delay_alu instid0(VALU_DEP_1) | instskip(SKIP_1) | instid1(SALU_CYCLE_1)
	v_cmp_ne_u32_e32 vcc_lo, 0, v1
	s_and_b32 s17, vcc_lo, exec_lo
	s_or_b32 s17, s0, s17
.LBB14_2132:
	s_mov_b32 s0, 0
.LBB14_2133:
	s_delay_alu instid0(SALU_CYCLE_1)
	s_and_not1_b32 vcc_lo, exec_lo, s0
	s_cbranch_vccnz .LBB14_2144
; %bb.2134:
	s_cmp_lt_i32 s25, 6
	s_cbranch_scc1 .LBB14_2137
; %bb.2135:
	s_cmp_gt_i32 s25, 6
	s_cbranch_scc0 .LBB14_2138
; %bb.2136:
	global_load_b64 v[10:11], v[6:7], off
	s_mov_b32 s0, 0
	s_wait_loadcnt 0x0
	v_cmp_neq_f64_e64 s17, 0, v[10:11]
	s_branch .LBB14_2139
.LBB14_2137:
	s_mov_b32 s0, -1
                                        ; implicit-def: $sgpr17
	s_branch .LBB14_2142
.LBB14_2138:
	s_mov_b32 s0, -1
                                        ; implicit-def: $sgpr17
.LBB14_2139:
	s_delay_alu instid0(SALU_CYCLE_1)
	s_and_not1_b32 vcc_lo, exec_lo, s0
	s_cbranch_vccnz .LBB14_2141
; %bb.2140:
	global_load_b32 v1, v[6:7], off
	s_and_not1_b32 s0, s17, exec_lo
	s_wait_loadcnt 0x0
	v_cmp_neq_f32_e32 vcc_lo, 0, v1
	s_and_b32 s17, vcc_lo, exec_lo
	s_delay_alu instid0(SALU_CYCLE_1)
	s_or_b32 s17, s0, s17
.LBB14_2141:
	s_mov_b32 s0, 0
.LBB14_2142:
	s_delay_alu instid0(SALU_CYCLE_1)
	s_and_not1_b32 vcc_lo, exec_lo, s0
	s_cbranch_vccnz .LBB14_2144
; %bb.2143:
	global_load_u16 v1, v[6:7], off
	s_and_not1_b32 s0, s17, exec_lo
	s_wait_loadcnt 0x0
	v_and_b32_e32 v1, 0x7fff, v1
	s_delay_alu instid0(VALU_DEP_1) | instskip(SKIP_1) | instid1(SALU_CYCLE_1)
	v_cmp_ne_u16_e32 vcc_lo, 0, v1
	s_and_b32 s17, vcc_lo, exec_lo
	s_or_b32 s17, s0, s17
.LBB14_2144:
	s_mov_b32 s0, 0
.LBB14_2145:
	s_delay_alu instid0(SALU_CYCLE_1)
	s_and_not1_b32 vcc_lo, exec_lo, s0
	s_cbranch_vccnz .LBB14_2165
; %bb.2146:
	s_cmp_lt_i32 s25, 2
	s_cbranch_scc1 .LBB14_2150
; %bb.2147:
	s_cmp_lt_i32 s25, 3
	s_cbranch_scc1 .LBB14_2151
; %bb.2148:
	s_cmp_gt_i32 s25, 3
	s_cbranch_scc0 .LBB14_2152
; %bb.2149:
	global_load_b64 v[10:11], v[6:7], off
	s_mov_b32 s0, 0
	s_wait_loadcnt 0x0
	v_cmp_ne_u64_e64 s17, 0, v[10:11]
	s_branch .LBB14_2153
.LBB14_2150:
	s_mov_b32 s0, -1
                                        ; implicit-def: $sgpr17
	s_branch .LBB14_2159
.LBB14_2151:
	s_mov_b32 s0, -1
                                        ; implicit-def: $sgpr17
	s_branch .LBB14_2156
.LBB14_2152:
	s_mov_b32 s0, -1
                                        ; implicit-def: $sgpr17
.LBB14_2153:
	s_delay_alu instid0(SALU_CYCLE_1)
	s_and_not1_b32 vcc_lo, exec_lo, s0
	s_cbranch_vccnz .LBB14_2155
; %bb.2154:
	global_load_b32 v1, v[6:7], off
	s_and_not1_b32 s0, s17, exec_lo
	s_wait_loadcnt 0x0
	v_cmp_ne_u32_e32 vcc_lo, 0, v1
	s_and_b32 s17, vcc_lo, exec_lo
	s_delay_alu instid0(SALU_CYCLE_1)
	s_or_b32 s17, s0, s17
.LBB14_2155:
	s_mov_b32 s0, 0
.LBB14_2156:
	s_delay_alu instid0(SALU_CYCLE_1)
	s_and_not1_b32 vcc_lo, exec_lo, s0
	s_cbranch_vccnz .LBB14_2158
; %bb.2157:
	global_load_u16 v1, v[6:7], off
	s_and_not1_b32 s0, s17, exec_lo
	s_wait_loadcnt 0x0
	v_cmp_ne_u16_e32 vcc_lo, 0, v1
	s_and_b32 s17, vcc_lo, exec_lo
	s_delay_alu instid0(SALU_CYCLE_1)
	s_or_b32 s17, s0, s17
.LBB14_2158:
	s_mov_b32 s0, 0
.LBB14_2159:
	s_delay_alu instid0(SALU_CYCLE_1)
	s_and_not1_b32 vcc_lo, exec_lo, s0
	s_cbranch_vccnz .LBB14_2165
; %bb.2160:
	s_cmp_gt_i32 s25, 0
	s_mov_b32 s0, 0
	s_cbranch_scc0 .LBB14_2162
; %bb.2161:
	global_load_u8 v1, v[6:7], off
	s_wait_loadcnt 0x0
	v_cmp_ne_u16_e64 s17, 0, v1
	s_branch .LBB14_2163
.LBB14_2162:
	s_mov_b32 s0, -1
                                        ; implicit-def: $sgpr17
.LBB14_2163:
	s_delay_alu instid0(SALU_CYCLE_1)
	s_and_not1_b32 vcc_lo, exec_lo, s0
	s_cbranch_vccnz .LBB14_2165
; %bb.2164:
	global_load_u8 v1, v[6:7], off
	s_and_not1_b32 s0, s17, exec_lo
	s_wait_loadcnt 0x0
	v_cmp_ne_u16_e32 vcc_lo, 0, v1
	s_and_b32 s17, vcc_lo, exec_lo
	s_delay_alu instid0(SALU_CYCLE_1)
	s_or_b32 s17, s0, s17
.LBB14_2165:
.LBB14_2166:
	s_lshl_b32 s28, s13, 7
	s_cmp_lt_i32 s22, 11
	v_add_nc_u32_e32 v0, s28, v0
	s_delay_alu instid0(VALU_DEP_1) | instskip(SKIP_1) | instid1(VALU_DEP_1)
	v_ashrrev_i32_e32 v1, 31, v0
	s_wait_xcnt 0x0
	v_add_nc_u64_e32 v[6:7], s[6:7], v[0:1]
	s_cbranch_scc1 .LBB14_2173
; %bb.2167:
	s_and_b32 s0, 0xffff, s22
	s_mov_b32 s27, 0
	s_cmp_gt_i32 s0, 25
	s_cbranch_scc0 .LBB14_2174
; %bb.2168:
	s_cmp_gt_i32 s0, 28
	s_cbranch_scc0 .LBB14_2175
; %bb.2169:
	;; [unrolled: 3-line block ×4, first 2 shown]
	s_cmp_eq_u32 s0, 46
	s_mov_b32 s29, 0
	s_cbranch_scc0 .LBB14_2179
; %bb.2172:
	global_load_b32 v1, v[6:7], off
	s_mov_b32 s25, 0
	s_mov_b32 s26, -1
	s_wait_loadcnt 0x0
	v_and_b32_e32 v1, 0x7fff7fff, v1
	s_delay_alu instid0(VALU_DEP_1)
	v_cmp_ne_u32_e64 s13, 0, v1
	s_branch .LBB14_2181
.LBB14_2173:
	s_mov_b32 s0, -1
	s_mov_b32 s26, 0
                                        ; implicit-def: $sgpr13
	s_branch .LBB14_2229
.LBB14_2174:
	s_mov_b32 s29, -1
	s_mov_b32 s26, 0
	s_mov_b32 s25, 0
                                        ; implicit-def: $sgpr13
	s_branch .LBB14_2202
.LBB14_2175:
	s_mov_b32 s29, -1
	s_mov_b32 s26, 0
	s_mov_b32 s25, 0
                                        ; implicit-def: $sgpr13
	s_branch .LBB14_2189
.LBB14_2176:
	s_mov_b32 s29, -1
	s_mov_b32 s26, 0
	s_mov_b32 s25, 0
                                        ; implicit-def: $sgpr13
	s_branch .LBB14_2184
.LBB14_2177:
	s_mov_b32 s26, 0
	s_or_b32 s16, s16, exec_lo
	s_trap 2
	s_cbranch_execz .LBB14_2116
	s_branch .LBB14_2117
.LBB14_2178:
	s_mov_b32 s29, -1
	s_mov_b32 s26, 0
	s_mov_b32 s25, 0
	s_branch .LBB14_2180
.LBB14_2179:
	s_mov_b32 s25, -1
	s_mov_b32 s26, 0
.LBB14_2180:
                                        ; implicit-def: $sgpr13
.LBB14_2181:
	s_and_b32 vcc_lo, exec_lo, s29
	s_cbranch_vccz .LBB14_2183
; %bb.2182:
	s_cmp_lg_u32 s0, 44
	s_mov_b32 s26, -1
	s_cselect_b32 s25, -1, 0
	s_or_b32 s13, s13, exec_lo
.LBB14_2183:
	s_mov_b32 s29, 0
.LBB14_2184:
	s_delay_alu instid0(SALU_CYCLE_1)
	s_and_b32 vcc_lo, exec_lo, s29
	s_cbranch_vccz .LBB14_2188
; %bb.2185:
	s_cmp_eq_u32 s0, 29
	s_cbranch_scc0 .LBB14_2187
; %bb.2186:
	global_load_b64 v[10:11], v[6:7], off
	s_mov_b32 s25, 0
	s_mov_b32 s26, -1
	s_mov_b32 s29, 0
	s_wait_loadcnt 0x0
	v_cmp_ne_u64_e64 s13, 0, v[10:11]
	s_branch .LBB14_2189
.LBB14_2187:
	s_mov_b32 s25, -1
                                        ; implicit-def: $sgpr13
.LBB14_2188:
	s_mov_b32 s29, 0
.LBB14_2189:
	s_delay_alu instid0(SALU_CYCLE_1)
	s_and_b32 vcc_lo, exec_lo, s29
	s_cbranch_vccz .LBB14_2201
; %bb.2190:
	s_cmp_lt_i32 s0, 27
	s_cbranch_scc1 .LBB14_2193
; %bb.2191:
	s_cmp_gt_i32 s0, 27
	s_cbranch_scc0 .LBB14_2194
; %bb.2192:
	global_load_b32 v1, v[6:7], off
	s_mov_b32 s26, 0
	s_wait_loadcnt 0x0
	v_cmp_ne_u32_e64 s13, 0, v1
	s_branch .LBB14_2195
.LBB14_2193:
	s_mov_b32 s26, -1
                                        ; implicit-def: $sgpr13
	s_branch .LBB14_2198
.LBB14_2194:
	s_mov_b32 s26, -1
                                        ; implicit-def: $sgpr13
.LBB14_2195:
	s_delay_alu instid0(SALU_CYCLE_1)
	s_and_not1_b32 vcc_lo, exec_lo, s26
	s_cbranch_vccnz .LBB14_2197
; %bb.2196:
	global_load_u16 v1, v[6:7], off
	s_and_not1_b32 s13, s13, exec_lo
	s_wait_loadcnt 0x0
	v_cmp_ne_u16_e32 vcc_lo, 0, v1
	s_and_b32 s26, vcc_lo, exec_lo
	s_delay_alu instid0(SALU_CYCLE_1)
	s_or_b32 s13, s13, s26
.LBB14_2197:
	s_mov_b32 s26, 0
.LBB14_2198:
	s_delay_alu instid0(SALU_CYCLE_1)
	s_and_not1_b32 vcc_lo, exec_lo, s26
	s_cbranch_vccnz .LBB14_2200
; %bb.2199:
	global_load_u8 v1, v[6:7], off
	s_and_not1_b32 s13, s13, exec_lo
	s_wait_loadcnt 0x0
	v_cmp_ne_u16_e32 vcc_lo, 0, v1
	s_and_b32 s26, vcc_lo, exec_lo
	s_delay_alu instid0(SALU_CYCLE_1)
	s_or_b32 s13, s13, s26
.LBB14_2200:
	s_mov_b32 s26, -1
.LBB14_2201:
	s_mov_b32 s29, 0
.LBB14_2202:
	s_delay_alu instid0(SALU_CYCLE_1)
	s_and_b32 vcc_lo, exec_lo, s29
	s_cbranch_vccz .LBB14_2225
; %bb.2203:
	s_cmp_gt_i32 s0, 22
	s_cbranch_scc0 .LBB14_2207
; %bb.2204:
	s_cmp_lt_i32 s0, 24
	s_cbranch_scc1 .LBB14_2208
; %bb.2205:
	s_cmp_gt_i32 s0, 24
	s_cbranch_scc0 .LBB14_2209
; %bb.2206:
	global_load_u8 v1, v[6:7], off
	s_mov_b32 s26, 0
	s_wait_loadcnt 0x0
	v_cmp_ne_u16_e64 s13, 0, v1
	s_branch .LBB14_2210
.LBB14_2207:
	s_mov_b32 s27, -1
                                        ; implicit-def: $sgpr13
	s_branch .LBB14_2216
.LBB14_2208:
	s_mov_b32 s26, -1
                                        ; implicit-def: $sgpr13
	s_branch .LBB14_2213
.LBB14_2209:
	s_mov_b32 s26, -1
                                        ; implicit-def: $sgpr13
.LBB14_2210:
	s_delay_alu instid0(SALU_CYCLE_1)
	s_and_not1_b32 vcc_lo, exec_lo, s26
	s_cbranch_vccnz .LBB14_2212
; %bb.2211:
	global_load_u8 v1, v[6:7], off
	s_and_not1_b32 s13, s13, exec_lo
	s_wait_loadcnt 0x0
	v_and_b32_e32 v1, 0x7f, v1
	s_delay_alu instid0(VALU_DEP_1) | instskip(SKIP_1) | instid1(SALU_CYCLE_1)
	v_cmp_ne_u16_e32 vcc_lo, 0, v1
	s_and_b32 s26, vcc_lo, exec_lo
	s_or_b32 s13, s13, s26
.LBB14_2212:
	s_mov_b32 s26, 0
.LBB14_2213:
	s_delay_alu instid0(SALU_CYCLE_1)
	s_and_not1_b32 vcc_lo, exec_lo, s26
	s_cbranch_vccnz .LBB14_2215
; %bb.2214:
	global_load_u8 v1, v[6:7], off
	s_and_not1_b32 s13, s13, exec_lo
	s_wait_loadcnt 0x0
	v_dual_lshlrev_b32 v3, 25, v1 :: v_dual_lshlrev_b32 v1, 8, v1
	s_delay_alu instid0(VALU_DEP_1) | instskip(NEXT) | instid1(VALU_DEP_2)
	v_cmp_gt_u32_e32 vcc_lo, 0x8000000, v3
	v_and_or_b32 v1, 0x7f00, v1, 0.5
	s_delay_alu instid0(VALU_DEP_1) | instskip(NEXT) | instid1(VALU_DEP_1)
	v_dual_lshrrev_b32 v5, 4, v3 :: v_dual_add_f32 v1, -0.5, v1
	v_or_b32_e32 v5, 0x70000000, v5
	s_delay_alu instid0(VALU_DEP_1) | instskip(NEXT) | instid1(VALU_DEP_1)
	v_mul_f32_e32 v5, 0x7800000, v5
	v_cndmask_b32_e32 v1, v5, v1, vcc_lo
	s_delay_alu instid0(VALU_DEP_1) | instskip(SKIP_1) | instid1(SALU_CYCLE_1)
	v_cmp_neq_f32_e32 vcc_lo, 0, v1
	s_and_b32 s26, vcc_lo, exec_lo
	s_or_b32 s13, s13, s26
.LBB14_2215:
	s_mov_b32 s26, -1
.LBB14_2216:
	s_and_not1_b32 vcc_lo, exec_lo, s27
	s_mov_b32 s27, 0
	s_cbranch_vccnz .LBB14_2225
; %bb.2217:
	s_cmp_gt_i32 s0, 14
	s_cbranch_scc0 .LBB14_2220
; %bb.2218:
	s_cmp_eq_u32 s0, 15
	s_cbranch_scc0 .LBB14_2221
; %bb.2219:
	global_load_u16 v1, v[6:7], off
	s_mov_b32 s25, 0
	s_mov_b32 s26, -1
	s_wait_loadcnt 0x0
	v_and_b32_e32 v1, 0x7fff, v1
	s_delay_alu instid0(VALU_DEP_1)
	v_cmp_ne_u16_e64 s13, 0, v1
	s_branch .LBB14_2223
.LBB14_2220:
	s_mov_b32 s27, -1
	s_branch .LBB14_2222
.LBB14_2221:
	s_mov_b32 s25, -1
.LBB14_2222:
                                        ; implicit-def: $sgpr13
.LBB14_2223:
	s_and_b32 vcc_lo, exec_lo, s27
	s_mov_b32 s27, 0
	s_cbranch_vccz .LBB14_2225
; %bb.2224:
	s_cmp_lg_u32 s0, 11
	s_mov_b32 s27, -1
	s_cselect_b32 s25, -1, 0
.LBB14_2225:
	s_delay_alu instid0(SALU_CYCLE_1)
	s_and_b32 vcc_lo, exec_lo, s25
	s_cbranch_vccnz .LBB14_2290
; %bb.2226:
	s_and_not1_b32 vcc_lo, exec_lo, s27
	s_cbranch_vccnz .LBB14_2228
.LBB14_2227:
	global_load_u8 v1, v[6:7], off
	s_and_not1_b32 s0, s13, exec_lo
	s_mov_b32 s26, -1
	s_wait_loadcnt 0x0
	v_cmp_ne_u16_e32 vcc_lo, 0, v1
	s_and_b32 s13, vcc_lo, exec_lo
	s_delay_alu instid0(SALU_CYCLE_1)
	s_or_b32 s13, s0, s13
.LBB14_2228:
	s_mov_b32 s0, 0
.LBB14_2229:
	s_delay_alu instid0(SALU_CYCLE_1)
	s_and_b32 vcc_lo, exec_lo, s0
	s_cbranch_vccz .LBB14_2278
; %bb.2230:
	s_and_b32 s25, 0xffff, s22
	s_delay_alu instid0(SALU_CYCLE_1)
	s_cmp_lt_i32 s25, 5
	s_cbranch_scc1 .LBB14_2235
; %bb.2231:
	s_cmp_lt_i32 s25, 8
	s_cbranch_scc1 .LBB14_2236
; %bb.2232:
	;; [unrolled: 3-line block ×3, first 2 shown]
	s_cmp_gt_i32 s25, 9
	s_cbranch_scc0 .LBB14_2238
; %bb.2234:
	global_load_b128 v[10:13], v[6:7], off
	s_wait_loadcnt 0x0
	v_cmp_neq_f64_e32 vcc_lo, 0, v[10:11]
	v_cmp_neq_f64_e64 s0, 0, v[12:13]
	s_or_b32 s13, vcc_lo, s0
	s_mov_b32 s0, 0
	s_branch .LBB14_2239
.LBB14_2235:
	s_mov_b32 s0, -1
                                        ; implicit-def: $sgpr13
	s_branch .LBB14_2257
.LBB14_2236:
	s_mov_b32 s0, -1
                                        ; implicit-def: $sgpr13
	s_branch .LBB14_2245
.LBB14_2237:
	s_mov_b32 s0, -1
                                        ; implicit-def: $sgpr13
	s_branch .LBB14_2242
.LBB14_2238:
	s_mov_b32 s0, -1
                                        ; implicit-def: $sgpr13
.LBB14_2239:
	s_delay_alu instid0(SALU_CYCLE_1)
	s_and_not1_b32 vcc_lo, exec_lo, s0
	s_cbranch_vccnz .LBB14_2241
; %bb.2240:
	global_load_b64 v[10:11], v[6:7], off
	s_and_not1_b32 s0, s13, exec_lo
	s_wait_loadcnt 0x0
	v_bitop3_b32 v1, v10, 0x7fffffff, v11 bitop3:0xc8
	s_delay_alu instid0(VALU_DEP_1) | instskip(SKIP_1) | instid1(SALU_CYCLE_1)
	v_cmp_ne_u32_e32 vcc_lo, 0, v1
	s_and_b32 s13, vcc_lo, exec_lo
	s_or_b32 s13, s0, s13
.LBB14_2241:
	s_mov_b32 s0, 0
.LBB14_2242:
	s_delay_alu instid0(SALU_CYCLE_1)
	s_and_not1_b32 vcc_lo, exec_lo, s0
	s_cbranch_vccnz .LBB14_2244
; %bb.2243:
	global_load_b32 v1, v[6:7], off
	s_and_not1_b32 s0, s13, exec_lo
	s_wait_loadcnt 0x0
	v_and_b32_e32 v1, 0x7fff7fff, v1
	s_delay_alu instid0(VALU_DEP_1) | instskip(SKIP_1) | instid1(SALU_CYCLE_1)
	v_cmp_ne_u32_e32 vcc_lo, 0, v1
	s_and_b32 s13, vcc_lo, exec_lo
	s_or_b32 s13, s0, s13
.LBB14_2244:
	s_mov_b32 s0, 0
.LBB14_2245:
	s_delay_alu instid0(SALU_CYCLE_1)
	s_and_not1_b32 vcc_lo, exec_lo, s0
	s_cbranch_vccnz .LBB14_2256
; %bb.2246:
	s_cmp_lt_i32 s25, 6
	s_cbranch_scc1 .LBB14_2249
; %bb.2247:
	s_cmp_gt_i32 s25, 6
	s_cbranch_scc0 .LBB14_2250
; %bb.2248:
	global_load_b64 v[10:11], v[6:7], off
	s_mov_b32 s0, 0
	s_wait_loadcnt 0x0
	v_cmp_neq_f64_e64 s13, 0, v[10:11]
	s_branch .LBB14_2251
.LBB14_2249:
	s_mov_b32 s0, -1
                                        ; implicit-def: $sgpr13
	s_branch .LBB14_2254
.LBB14_2250:
	s_mov_b32 s0, -1
                                        ; implicit-def: $sgpr13
.LBB14_2251:
	s_delay_alu instid0(SALU_CYCLE_1)
	s_and_not1_b32 vcc_lo, exec_lo, s0
	s_cbranch_vccnz .LBB14_2253
; %bb.2252:
	global_load_b32 v1, v[6:7], off
	s_and_not1_b32 s0, s13, exec_lo
	s_wait_loadcnt 0x0
	v_cmp_neq_f32_e32 vcc_lo, 0, v1
	s_and_b32 s13, vcc_lo, exec_lo
	s_delay_alu instid0(SALU_CYCLE_1)
	s_or_b32 s13, s0, s13
.LBB14_2253:
	s_mov_b32 s0, 0
.LBB14_2254:
	s_delay_alu instid0(SALU_CYCLE_1)
	s_and_not1_b32 vcc_lo, exec_lo, s0
	s_cbranch_vccnz .LBB14_2256
; %bb.2255:
	global_load_u16 v1, v[6:7], off
	s_and_not1_b32 s0, s13, exec_lo
	s_wait_loadcnt 0x0
	v_and_b32_e32 v1, 0x7fff, v1
	s_delay_alu instid0(VALU_DEP_1) | instskip(SKIP_1) | instid1(SALU_CYCLE_1)
	v_cmp_ne_u16_e32 vcc_lo, 0, v1
	s_and_b32 s13, vcc_lo, exec_lo
	s_or_b32 s13, s0, s13
.LBB14_2256:
	s_mov_b32 s0, 0
.LBB14_2257:
	s_delay_alu instid0(SALU_CYCLE_1)
	s_and_not1_b32 vcc_lo, exec_lo, s0
	s_cbranch_vccnz .LBB14_2277
; %bb.2258:
	s_cmp_lt_i32 s25, 2
	s_cbranch_scc1 .LBB14_2262
; %bb.2259:
	s_cmp_lt_i32 s25, 3
	s_cbranch_scc1 .LBB14_2263
; %bb.2260:
	s_cmp_gt_i32 s25, 3
	s_cbranch_scc0 .LBB14_2264
; %bb.2261:
	global_load_b64 v[10:11], v[6:7], off
	s_mov_b32 s0, 0
	s_wait_loadcnt 0x0
	v_cmp_ne_u64_e64 s13, 0, v[10:11]
	s_branch .LBB14_2265
.LBB14_2262:
	s_mov_b32 s0, -1
                                        ; implicit-def: $sgpr13
	s_branch .LBB14_2271
.LBB14_2263:
	s_mov_b32 s0, -1
                                        ; implicit-def: $sgpr13
	s_branch .LBB14_2268
.LBB14_2264:
	s_mov_b32 s0, -1
                                        ; implicit-def: $sgpr13
.LBB14_2265:
	s_delay_alu instid0(SALU_CYCLE_1)
	s_and_not1_b32 vcc_lo, exec_lo, s0
	s_cbranch_vccnz .LBB14_2267
; %bb.2266:
	global_load_b32 v1, v[6:7], off
	s_and_not1_b32 s0, s13, exec_lo
	s_wait_loadcnt 0x0
	v_cmp_ne_u32_e32 vcc_lo, 0, v1
	s_and_b32 s13, vcc_lo, exec_lo
	s_delay_alu instid0(SALU_CYCLE_1)
	s_or_b32 s13, s0, s13
.LBB14_2267:
	s_mov_b32 s0, 0
.LBB14_2268:
	s_delay_alu instid0(SALU_CYCLE_1)
	s_and_not1_b32 vcc_lo, exec_lo, s0
	s_cbranch_vccnz .LBB14_2270
; %bb.2269:
	global_load_u16 v1, v[6:7], off
	s_and_not1_b32 s0, s13, exec_lo
	s_wait_loadcnt 0x0
	v_cmp_ne_u16_e32 vcc_lo, 0, v1
	s_and_b32 s13, vcc_lo, exec_lo
	s_delay_alu instid0(SALU_CYCLE_1)
	s_or_b32 s13, s0, s13
.LBB14_2270:
	s_mov_b32 s0, 0
.LBB14_2271:
	s_delay_alu instid0(SALU_CYCLE_1)
	s_and_not1_b32 vcc_lo, exec_lo, s0
	s_cbranch_vccnz .LBB14_2277
; %bb.2272:
	s_cmp_gt_i32 s25, 0
	s_mov_b32 s0, 0
	s_cbranch_scc0 .LBB14_2274
; %bb.2273:
	global_load_u8 v1, v[6:7], off
	s_wait_loadcnt 0x0
	v_cmp_ne_u16_e64 s13, 0, v1
	s_branch .LBB14_2275
.LBB14_2274:
	s_mov_b32 s0, -1
                                        ; implicit-def: $sgpr13
.LBB14_2275:
	s_delay_alu instid0(SALU_CYCLE_1)
	s_and_not1_b32 vcc_lo, exec_lo, s0
	s_cbranch_vccnz .LBB14_2277
; %bb.2276:
	global_load_u8 v1, v[6:7], off
	s_and_not1_b32 s0, s13, exec_lo
	s_wait_loadcnt 0x0
	v_cmp_ne_u16_e32 vcc_lo, 0, v1
	s_and_b32 s13, vcc_lo, exec_lo
	s_delay_alu instid0(SALU_CYCLE_1)
	s_or_b32 s13, s0, s13
.LBB14_2277:
	s_mov_b32 s26, -1
.LBB14_2278:
	s_delay_alu instid0(SALU_CYCLE_1)
	s_and_not1_b32 vcc_lo, exec_lo, s26
	s_cbranch_vccnz .LBB14_3622
; %bb.2279:
	s_lshl_b32 s29, s14, 7
	s_cmp_lt_i32 s23, 11
	v_add_nc_u32_e32 v2, s29, v2
	s_delay_alu instid0(VALU_DEP_1) | instskip(SKIP_1) | instid1(VALU_DEP_1)
	v_ashrrev_i32_e32 v3, 31, v2
	s_wait_xcnt 0x0
	v_add_nc_u64_e32 v[6:7], s[8:9], v[2:3]
	s_cbranch_scc1 .LBB14_2286
; %bb.2280:
	s_and_b32 s0, 0xffff, s23
	s_mov_b32 s27, 0
	s_cmp_gt_i32 s0, 25
	s_cbranch_scc0 .LBB14_2287
; %bb.2281:
	s_cmp_gt_i32 s0, 28
	s_cbranch_scc0 .LBB14_2288
; %bb.2282:
	;; [unrolled: 3-line block ×4, first 2 shown]
	s_cmp_eq_u32 s0, 46
	s_mov_b32 s30, 0
	s_cbranch_scc0 .LBB14_2292
; %bb.2285:
	global_load_b32 v1, v[6:7], off
	s_mov_b32 s25, 0
	s_mov_b32 s26, -1
	s_wait_loadcnt 0x0
	v_and_b32_e32 v1, 0x7fff7fff, v1
	s_delay_alu instid0(VALU_DEP_1)
	v_cmp_ne_u32_e64 s14, 0, v1
	s_branch .LBB14_2294
.LBB14_2286:
	s_mov_b32 s0, -1
	s_mov_b32 s26, 0
                                        ; implicit-def: $sgpr14
	s_branch .LBB14_2342
.LBB14_2287:
	s_mov_b32 s30, -1
	s_mov_b32 s26, 0
	s_mov_b32 s25, 0
                                        ; implicit-def: $sgpr14
	s_branch .LBB14_2315
.LBB14_2288:
	s_mov_b32 s30, -1
	s_mov_b32 s26, 0
	s_mov_b32 s25, 0
                                        ; implicit-def: $sgpr14
	s_branch .LBB14_2302
.LBB14_2289:
	s_mov_b32 s30, -1
	s_mov_b32 s26, 0
	s_mov_b32 s25, 0
                                        ; implicit-def: $sgpr14
	s_branch .LBB14_2297
.LBB14_2290:
	s_mov_b32 s26, 0
	s_or_b32 s16, s16, exec_lo
	s_trap 2
	s_cbranch_execz .LBB14_2227
	s_branch .LBB14_2228
.LBB14_2291:
	s_mov_b32 s30, -1
	s_mov_b32 s26, 0
	s_mov_b32 s25, 0
	s_branch .LBB14_2293
.LBB14_2292:
	s_mov_b32 s25, -1
	s_mov_b32 s26, 0
.LBB14_2293:
                                        ; implicit-def: $sgpr14
.LBB14_2294:
	s_and_b32 vcc_lo, exec_lo, s30
	s_cbranch_vccz .LBB14_2296
; %bb.2295:
	s_cmp_lg_u32 s0, 44
	s_mov_b32 s26, -1
	s_cselect_b32 s25, -1, 0
	s_or_b32 s14, s14, exec_lo
.LBB14_2296:
	s_mov_b32 s30, 0
.LBB14_2297:
	s_delay_alu instid0(SALU_CYCLE_1)
	s_and_b32 vcc_lo, exec_lo, s30
	s_cbranch_vccz .LBB14_2301
; %bb.2298:
	s_cmp_eq_u32 s0, 29
	s_cbranch_scc0 .LBB14_2300
; %bb.2299:
	global_load_b64 v[10:11], v[6:7], off
	s_mov_b32 s25, 0
	s_mov_b32 s26, -1
	s_mov_b32 s30, 0
	s_wait_loadcnt 0x0
	v_cmp_ne_u64_e64 s14, 0, v[10:11]
	s_branch .LBB14_2302
.LBB14_2300:
	s_mov_b32 s25, -1
                                        ; implicit-def: $sgpr14
.LBB14_2301:
	s_mov_b32 s30, 0
.LBB14_2302:
	s_delay_alu instid0(SALU_CYCLE_1)
	s_and_b32 vcc_lo, exec_lo, s30
	s_cbranch_vccz .LBB14_2314
; %bb.2303:
	s_cmp_lt_i32 s0, 27
	s_cbranch_scc1 .LBB14_2306
; %bb.2304:
	s_cmp_gt_i32 s0, 27
	s_cbranch_scc0 .LBB14_2307
; %bb.2305:
	global_load_b32 v1, v[6:7], off
	s_mov_b32 s26, 0
	s_wait_loadcnt 0x0
	v_cmp_ne_u32_e64 s14, 0, v1
	s_branch .LBB14_2308
.LBB14_2306:
	s_mov_b32 s26, -1
                                        ; implicit-def: $sgpr14
	s_branch .LBB14_2311
.LBB14_2307:
	s_mov_b32 s26, -1
                                        ; implicit-def: $sgpr14
.LBB14_2308:
	s_delay_alu instid0(SALU_CYCLE_1)
	s_and_not1_b32 vcc_lo, exec_lo, s26
	s_cbranch_vccnz .LBB14_2310
; %bb.2309:
	global_load_u16 v1, v[6:7], off
	s_and_not1_b32 s14, s14, exec_lo
	s_wait_loadcnt 0x0
	v_cmp_ne_u16_e32 vcc_lo, 0, v1
	s_and_b32 s26, vcc_lo, exec_lo
	s_delay_alu instid0(SALU_CYCLE_1)
	s_or_b32 s14, s14, s26
.LBB14_2310:
	s_mov_b32 s26, 0
.LBB14_2311:
	s_delay_alu instid0(SALU_CYCLE_1)
	s_and_not1_b32 vcc_lo, exec_lo, s26
	s_cbranch_vccnz .LBB14_2313
; %bb.2312:
	global_load_u8 v1, v[6:7], off
	s_and_not1_b32 s14, s14, exec_lo
	s_wait_loadcnt 0x0
	v_cmp_ne_u16_e32 vcc_lo, 0, v1
	s_and_b32 s26, vcc_lo, exec_lo
	s_delay_alu instid0(SALU_CYCLE_1)
	s_or_b32 s14, s14, s26
.LBB14_2313:
	s_mov_b32 s26, -1
.LBB14_2314:
	s_mov_b32 s30, 0
.LBB14_2315:
	s_delay_alu instid0(SALU_CYCLE_1)
	s_and_b32 vcc_lo, exec_lo, s30
	s_cbranch_vccz .LBB14_2338
; %bb.2316:
	s_cmp_gt_i32 s0, 22
	s_cbranch_scc0 .LBB14_2320
; %bb.2317:
	s_cmp_lt_i32 s0, 24
	s_cbranch_scc1 .LBB14_2321
; %bb.2318:
	s_cmp_gt_i32 s0, 24
	s_cbranch_scc0 .LBB14_2322
; %bb.2319:
	global_load_u8 v1, v[6:7], off
	s_mov_b32 s26, 0
	s_wait_loadcnt 0x0
	v_cmp_ne_u16_e64 s14, 0, v1
	s_branch .LBB14_2323
.LBB14_2320:
	s_mov_b32 s27, -1
                                        ; implicit-def: $sgpr14
	s_branch .LBB14_2329
.LBB14_2321:
	s_mov_b32 s26, -1
                                        ; implicit-def: $sgpr14
	s_branch .LBB14_2326
.LBB14_2322:
	s_mov_b32 s26, -1
                                        ; implicit-def: $sgpr14
.LBB14_2323:
	s_delay_alu instid0(SALU_CYCLE_1)
	s_and_not1_b32 vcc_lo, exec_lo, s26
	s_cbranch_vccnz .LBB14_2325
; %bb.2324:
	global_load_u8 v1, v[6:7], off
	s_and_not1_b32 s14, s14, exec_lo
	s_wait_loadcnt 0x0
	v_and_b32_e32 v1, 0x7f, v1
	s_delay_alu instid0(VALU_DEP_1) | instskip(SKIP_1) | instid1(SALU_CYCLE_1)
	v_cmp_ne_u16_e32 vcc_lo, 0, v1
	s_and_b32 s26, vcc_lo, exec_lo
	s_or_b32 s14, s14, s26
.LBB14_2325:
	s_mov_b32 s26, 0
.LBB14_2326:
	s_delay_alu instid0(SALU_CYCLE_1)
	s_and_not1_b32 vcc_lo, exec_lo, s26
	s_cbranch_vccnz .LBB14_2328
; %bb.2327:
	global_load_u8 v1, v[6:7], off
	s_and_not1_b32 s14, s14, exec_lo
	s_wait_loadcnt 0x0
	v_dual_lshlrev_b32 v3, 25, v1 :: v_dual_lshlrev_b32 v1, 8, v1
	s_delay_alu instid0(VALU_DEP_1) | instskip(NEXT) | instid1(VALU_DEP_2)
	v_cmp_gt_u32_e32 vcc_lo, 0x8000000, v3
	v_and_or_b32 v1, 0x7f00, v1, 0.5
	s_delay_alu instid0(VALU_DEP_1) | instskip(NEXT) | instid1(VALU_DEP_1)
	v_dual_lshrrev_b32 v5, 4, v3 :: v_dual_add_f32 v1, -0.5, v1
	v_or_b32_e32 v5, 0x70000000, v5
	s_delay_alu instid0(VALU_DEP_1) | instskip(NEXT) | instid1(VALU_DEP_1)
	v_mul_f32_e32 v5, 0x7800000, v5
	v_cndmask_b32_e32 v1, v5, v1, vcc_lo
	s_delay_alu instid0(VALU_DEP_1) | instskip(SKIP_1) | instid1(SALU_CYCLE_1)
	v_cmp_neq_f32_e32 vcc_lo, 0, v1
	s_and_b32 s26, vcc_lo, exec_lo
	s_or_b32 s14, s14, s26
.LBB14_2328:
	s_mov_b32 s26, -1
.LBB14_2329:
	s_and_not1_b32 vcc_lo, exec_lo, s27
	s_mov_b32 s27, 0
	s_cbranch_vccnz .LBB14_2338
; %bb.2330:
	s_cmp_gt_i32 s0, 14
	s_cbranch_scc0 .LBB14_2333
; %bb.2331:
	s_cmp_eq_u32 s0, 15
	s_cbranch_scc0 .LBB14_2334
; %bb.2332:
	global_load_u16 v1, v[6:7], off
	s_mov_b32 s25, 0
	s_mov_b32 s26, -1
	s_wait_loadcnt 0x0
	v_and_b32_e32 v1, 0x7fff, v1
	s_delay_alu instid0(VALU_DEP_1)
	v_cmp_ne_u16_e64 s14, 0, v1
	s_branch .LBB14_2336
.LBB14_2333:
	s_mov_b32 s27, -1
	s_branch .LBB14_2335
.LBB14_2334:
	s_mov_b32 s25, -1
.LBB14_2335:
                                        ; implicit-def: $sgpr14
.LBB14_2336:
	s_and_b32 vcc_lo, exec_lo, s27
	s_mov_b32 s27, 0
	s_cbranch_vccz .LBB14_2338
; %bb.2337:
	s_cmp_lg_u32 s0, 11
	s_mov_b32 s27, -1
	s_cselect_b32 s25, -1, 0
.LBB14_2338:
	s_delay_alu instid0(SALU_CYCLE_1)
	s_and_b32 vcc_lo, exec_lo, s25
	s_cbranch_vccnz .LBB14_2403
; %bb.2339:
	s_and_not1_b32 vcc_lo, exec_lo, s27
	s_cbranch_vccnz .LBB14_2341
.LBB14_2340:
	global_load_u8 v1, v[6:7], off
	s_and_not1_b32 s0, s14, exec_lo
	s_mov_b32 s26, -1
	s_wait_loadcnt 0x0
	v_cmp_ne_u16_e32 vcc_lo, 0, v1
	s_and_b32 s14, vcc_lo, exec_lo
	s_delay_alu instid0(SALU_CYCLE_1)
	s_or_b32 s14, s0, s14
.LBB14_2341:
	s_mov_b32 s0, 0
.LBB14_2342:
	s_delay_alu instid0(SALU_CYCLE_1)
	s_and_b32 vcc_lo, exec_lo, s0
	s_cbranch_vccz .LBB14_2391
; %bb.2343:
	s_and_b32 s25, 0xffff, s23
	s_delay_alu instid0(SALU_CYCLE_1)
	s_cmp_lt_i32 s25, 5
	s_cbranch_scc1 .LBB14_2348
; %bb.2344:
	s_cmp_lt_i32 s25, 8
	s_cbranch_scc1 .LBB14_2349
; %bb.2345:
	s_cmp_lt_i32 s25, 9
	s_cbranch_scc1 .LBB14_2350
; %bb.2346:
	s_cmp_gt_i32 s25, 9
	s_cbranch_scc0 .LBB14_2351
; %bb.2347:
	global_load_b128 v[10:13], v[6:7], off
	s_wait_loadcnt 0x0
	v_cmp_neq_f64_e32 vcc_lo, 0, v[10:11]
	v_cmp_neq_f64_e64 s0, 0, v[12:13]
	s_or_b32 s14, vcc_lo, s0
	s_mov_b32 s0, 0
	s_branch .LBB14_2352
.LBB14_2348:
	s_mov_b32 s0, -1
                                        ; implicit-def: $sgpr14
	s_branch .LBB14_2370
.LBB14_2349:
	s_mov_b32 s0, -1
                                        ; implicit-def: $sgpr14
	s_branch .LBB14_2358
.LBB14_2350:
	s_mov_b32 s0, -1
                                        ; implicit-def: $sgpr14
	s_branch .LBB14_2355
.LBB14_2351:
	s_mov_b32 s0, -1
                                        ; implicit-def: $sgpr14
.LBB14_2352:
	s_delay_alu instid0(SALU_CYCLE_1)
	s_and_not1_b32 vcc_lo, exec_lo, s0
	s_cbranch_vccnz .LBB14_2354
; %bb.2353:
	global_load_b64 v[10:11], v[6:7], off
	s_and_not1_b32 s0, s14, exec_lo
	s_wait_loadcnt 0x0
	v_bitop3_b32 v1, v10, 0x7fffffff, v11 bitop3:0xc8
	s_delay_alu instid0(VALU_DEP_1) | instskip(SKIP_1) | instid1(SALU_CYCLE_1)
	v_cmp_ne_u32_e32 vcc_lo, 0, v1
	s_and_b32 s14, vcc_lo, exec_lo
	s_or_b32 s14, s0, s14
.LBB14_2354:
	s_mov_b32 s0, 0
.LBB14_2355:
	s_delay_alu instid0(SALU_CYCLE_1)
	s_and_not1_b32 vcc_lo, exec_lo, s0
	s_cbranch_vccnz .LBB14_2357
; %bb.2356:
	global_load_b32 v1, v[6:7], off
	s_and_not1_b32 s0, s14, exec_lo
	s_wait_loadcnt 0x0
	v_and_b32_e32 v1, 0x7fff7fff, v1
	s_delay_alu instid0(VALU_DEP_1) | instskip(SKIP_1) | instid1(SALU_CYCLE_1)
	v_cmp_ne_u32_e32 vcc_lo, 0, v1
	s_and_b32 s14, vcc_lo, exec_lo
	s_or_b32 s14, s0, s14
.LBB14_2357:
	s_mov_b32 s0, 0
.LBB14_2358:
	s_delay_alu instid0(SALU_CYCLE_1)
	s_and_not1_b32 vcc_lo, exec_lo, s0
	s_cbranch_vccnz .LBB14_2369
; %bb.2359:
	s_cmp_lt_i32 s25, 6
	s_cbranch_scc1 .LBB14_2362
; %bb.2360:
	s_cmp_gt_i32 s25, 6
	s_cbranch_scc0 .LBB14_2363
; %bb.2361:
	global_load_b64 v[10:11], v[6:7], off
	s_mov_b32 s0, 0
	s_wait_loadcnt 0x0
	v_cmp_neq_f64_e64 s14, 0, v[10:11]
	s_branch .LBB14_2364
.LBB14_2362:
	s_mov_b32 s0, -1
                                        ; implicit-def: $sgpr14
	s_branch .LBB14_2367
.LBB14_2363:
	s_mov_b32 s0, -1
                                        ; implicit-def: $sgpr14
.LBB14_2364:
	s_delay_alu instid0(SALU_CYCLE_1)
	s_and_not1_b32 vcc_lo, exec_lo, s0
	s_cbranch_vccnz .LBB14_2366
; %bb.2365:
	global_load_b32 v1, v[6:7], off
	s_and_not1_b32 s0, s14, exec_lo
	s_wait_loadcnt 0x0
	v_cmp_neq_f32_e32 vcc_lo, 0, v1
	s_and_b32 s14, vcc_lo, exec_lo
	s_delay_alu instid0(SALU_CYCLE_1)
	s_or_b32 s14, s0, s14
.LBB14_2366:
	s_mov_b32 s0, 0
.LBB14_2367:
	s_delay_alu instid0(SALU_CYCLE_1)
	s_and_not1_b32 vcc_lo, exec_lo, s0
	s_cbranch_vccnz .LBB14_2369
; %bb.2368:
	global_load_u16 v1, v[6:7], off
	s_and_not1_b32 s0, s14, exec_lo
	s_wait_loadcnt 0x0
	v_and_b32_e32 v1, 0x7fff, v1
	s_delay_alu instid0(VALU_DEP_1) | instskip(SKIP_1) | instid1(SALU_CYCLE_1)
	v_cmp_ne_u16_e32 vcc_lo, 0, v1
	s_and_b32 s14, vcc_lo, exec_lo
	s_or_b32 s14, s0, s14
.LBB14_2369:
	s_mov_b32 s0, 0
.LBB14_2370:
	s_delay_alu instid0(SALU_CYCLE_1)
	s_and_not1_b32 vcc_lo, exec_lo, s0
	s_cbranch_vccnz .LBB14_2390
; %bb.2371:
	s_cmp_lt_i32 s25, 2
	s_cbranch_scc1 .LBB14_2375
; %bb.2372:
	s_cmp_lt_i32 s25, 3
	s_cbranch_scc1 .LBB14_2376
; %bb.2373:
	s_cmp_gt_i32 s25, 3
	s_cbranch_scc0 .LBB14_2377
; %bb.2374:
	global_load_b64 v[10:11], v[6:7], off
	s_mov_b32 s0, 0
	s_wait_loadcnt 0x0
	v_cmp_ne_u64_e64 s14, 0, v[10:11]
	s_branch .LBB14_2378
.LBB14_2375:
	s_mov_b32 s0, -1
                                        ; implicit-def: $sgpr14
	s_branch .LBB14_2384
.LBB14_2376:
	s_mov_b32 s0, -1
                                        ; implicit-def: $sgpr14
	s_branch .LBB14_2381
.LBB14_2377:
	s_mov_b32 s0, -1
                                        ; implicit-def: $sgpr14
.LBB14_2378:
	s_delay_alu instid0(SALU_CYCLE_1)
	s_and_not1_b32 vcc_lo, exec_lo, s0
	s_cbranch_vccnz .LBB14_2380
; %bb.2379:
	global_load_b32 v1, v[6:7], off
	s_and_not1_b32 s0, s14, exec_lo
	s_wait_loadcnt 0x0
	v_cmp_ne_u32_e32 vcc_lo, 0, v1
	s_and_b32 s14, vcc_lo, exec_lo
	s_delay_alu instid0(SALU_CYCLE_1)
	s_or_b32 s14, s0, s14
.LBB14_2380:
	s_mov_b32 s0, 0
.LBB14_2381:
	s_delay_alu instid0(SALU_CYCLE_1)
	s_and_not1_b32 vcc_lo, exec_lo, s0
	s_cbranch_vccnz .LBB14_2383
; %bb.2382:
	global_load_u16 v1, v[6:7], off
	s_and_not1_b32 s0, s14, exec_lo
	s_wait_loadcnt 0x0
	v_cmp_ne_u16_e32 vcc_lo, 0, v1
	s_and_b32 s14, vcc_lo, exec_lo
	s_delay_alu instid0(SALU_CYCLE_1)
	s_or_b32 s14, s0, s14
.LBB14_2383:
	s_mov_b32 s0, 0
.LBB14_2384:
	s_delay_alu instid0(SALU_CYCLE_1)
	s_and_not1_b32 vcc_lo, exec_lo, s0
	s_cbranch_vccnz .LBB14_2390
; %bb.2385:
	s_cmp_gt_i32 s25, 0
	s_mov_b32 s0, 0
	s_cbranch_scc0 .LBB14_2387
; %bb.2386:
	global_load_u8 v1, v[6:7], off
	s_wait_loadcnt 0x0
	v_cmp_ne_u16_e64 s14, 0, v1
	s_branch .LBB14_2388
.LBB14_2387:
	s_mov_b32 s0, -1
                                        ; implicit-def: $sgpr14
.LBB14_2388:
	s_delay_alu instid0(SALU_CYCLE_1)
	s_and_not1_b32 vcc_lo, exec_lo, s0
	s_cbranch_vccnz .LBB14_2390
; %bb.2389:
	global_load_u8 v1, v[6:7], off
	s_and_not1_b32 s0, s14, exec_lo
	s_wait_loadcnt 0x0
	v_cmp_ne_u16_e32 vcc_lo, 0, v1
	s_and_b32 s14, vcc_lo, exec_lo
	s_delay_alu instid0(SALU_CYCLE_1)
	s_or_b32 s14, s0, s14
.LBB14_2390:
	s_mov_b32 s26, -1
.LBB14_2391:
	s_delay_alu instid0(SALU_CYCLE_1)
	s_and_not1_b32 vcc_lo, exec_lo, s26
	s_cbranch_vccnz .LBB14_3622
; %bb.2392:
	s_lshl_b32 s30, s15, 7
	s_cmp_lt_i32 s24, 11
	v_add_nc_u32_e32 v4, s30, v4
	s_delay_alu instid0(VALU_DEP_1) | instskip(SKIP_1) | instid1(VALU_DEP_1)
	v_ashrrev_i32_e32 v5, 31, v4
	s_wait_xcnt 0x0
	v_add_nc_u64_e32 v[6:7], s[10:11], v[4:5]
	s_cbranch_scc1 .LBB14_2399
; %bb.2393:
	s_and_b32 s0, 0xffff, s24
	s_mov_b32 s27, 0
	s_cmp_gt_i32 s0, 25
	s_cbranch_scc0 .LBB14_2400
; %bb.2394:
	s_cmp_gt_i32 s0, 28
	s_cbranch_scc0 .LBB14_2401
; %bb.2395:
	;; [unrolled: 3-line block ×4, first 2 shown]
	s_cmp_eq_u32 s0, 46
	s_mov_b32 s31, 0
	s_cbranch_scc0 .LBB14_2405
; %bb.2398:
	global_load_b32 v1, v[6:7], off
	s_mov_b32 s15, 0
	s_mov_b32 s26, -1
	s_wait_loadcnt 0x0
	v_and_b32_e32 v1, 0x7fff7fff, v1
	s_delay_alu instid0(VALU_DEP_1)
	v_cmp_ne_u32_e64 s25, 0, v1
	s_branch .LBB14_2407
.LBB14_2399:
	s_mov_b32 s0, -1
	s_mov_b32 s26, 0
                                        ; implicit-def: $sgpr25
	s_branch .LBB14_2455
.LBB14_2400:
	s_mov_b32 s31, -1
	s_mov_b32 s26, 0
	s_mov_b32 s15, 0
                                        ; implicit-def: $sgpr25
	s_branch .LBB14_2428
.LBB14_2401:
	s_mov_b32 s31, -1
	s_mov_b32 s26, 0
	s_mov_b32 s15, 0
                                        ; implicit-def: $sgpr25
	s_branch .LBB14_2415
.LBB14_2402:
	s_mov_b32 s31, -1
	s_mov_b32 s26, 0
	s_mov_b32 s15, 0
                                        ; implicit-def: $sgpr25
	s_branch .LBB14_2410
.LBB14_2403:
	s_mov_b32 s26, 0
	s_or_b32 s16, s16, exec_lo
	s_trap 2
	s_cbranch_execz .LBB14_2340
	s_branch .LBB14_2341
.LBB14_2404:
	s_mov_b32 s31, -1
	s_mov_b32 s26, 0
	s_mov_b32 s15, 0
	s_branch .LBB14_2406
.LBB14_2405:
	s_mov_b32 s15, -1
	s_mov_b32 s26, 0
.LBB14_2406:
                                        ; implicit-def: $sgpr25
.LBB14_2407:
	s_and_b32 vcc_lo, exec_lo, s31
	s_cbranch_vccz .LBB14_2409
; %bb.2408:
	s_cmp_lg_u32 s0, 44
	s_mov_b32 s26, -1
	s_cselect_b32 s15, -1, 0
	s_or_b32 s25, s25, exec_lo
.LBB14_2409:
	s_mov_b32 s31, 0
.LBB14_2410:
	s_delay_alu instid0(SALU_CYCLE_1)
	s_and_b32 vcc_lo, exec_lo, s31
	s_cbranch_vccz .LBB14_2414
; %bb.2411:
	s_cmp_eq_u32 s0, 29
	s_cbranch_scc0 .LBB14_2413
; %bb.2412:
	global_load_b64 v[10:11], v[6:7], off
	s_mov_b32 s15, 0
	s_mov_b32 s26, -1
	s_mov_b32 s31, 0
	s_wait_loadcnt 0x0
	v_cmp_ne_u64_e64 s25, 0, v[10:11]
	s_branch .LBB14_2415
.LBB14_2413:
	s_mov_b32 s15, -1
                                        ; implicit-def: $sgpr25
.LBB14_2414:
	s_mov_b32 s31, 0
.LBB14_2415:
	s_delay_alu instid0(SALU_CYCLE_1)
	s_and_b32 vcc_lo, exec_lo, s31
	s_cbranch_vccz .LBB14_2427
; %bb.2416:
	s_cmp_lt_i32 s0, 27
	s_cbranch_scc1 .LBB14_2419
; %bb.2417:
	s_cmp_gt_i32 s0, 27
	s_cbranch_scc0 .LBB14_2420
; %bb.2418:
	global_load_b32 v1, v[6:7], off
	s_mov_b32 s26, 0
	s_wait_loadcnt 0x0
	v_cmp_ne_u32_e64 s25, 0, v1
	s_branch .LBB14_2421
.LBB14_2419:
	s_mov_b32 s26, -1
                                        ; implicit-def: $sgpr25
	s_branch .LBB14_2424
.LBB14_2420:
	s_mov_b32 s26, -1
                                        ; implicit-def: $sgpr25
.LBB14_2421:
	s_delay_alu instid0(SALU_CYCLE_1)
	s_and_not1_b32 vcc_lo, exec_lo, s26
	s_cbranch_vccnz .LBB14_2423
; %bb.2422:
	global_load_u16 v1, v[6:7], off
	s_and_not1_b32 s25, s25, exec_lo
	s_wait_loadcnt 0x0
	v_cmp_ne_u16_e32 vcc_lo, 0, v1
	s_and_b32 s26, vcc_lo, exec_lo
	s_delay_alu instid0(SALU_CYCLE_1)
	s_or_b32 s25, s25, s26
.LBB14_2423:
	s_mov_b32 s26, 0
.LBB14_2424:
	s_delay_alu instid0(SALU_CYCLE_1)
	s_and_not1_b32 vcc_lo, exec_lo, s26
	s_cbranch_vccnz .LBB14_2426
; %bb.2425:
	global_load_u8 v1, v[6:7], off
	s_and_not1_b32 s25, s25, exec_lo
	s_wait_loadcnt 0x0
	v_cmp_ne_u16_e32 vcc_lo, 0, v1
	s_and_b32 s26, vcc_lo, exec_lo
	s_delay_alu instid0(SALU_CYCLE_1)
	s_or_b32 s25, s25, s26
.LBB14_2426:
	s_mov_b32 s26, -1
.LBB14_2427:
	s_mov_b32 s31, 0
.LBB14_2428:
	s_delay_alu instid0(SALU_CYCLE_1)
	s_and_b32 vcc_lo, exec_lo, s31
	s_cbranch_vccz .LBB14_2451
; %bb.2429:
	s_cmp_gt_i32 s0, 22
	s_cbranch_scc0 .LBB14_2433
; %bb.2430:
	s_cmp_lt_i32 s0, 24
	s_cbranch_scc1 .LBB14_2434
; %bb.2431:
	s_cmp_gt_i32 s0, 24
	s_cbranch_scc0 .LBB14_2435
; %bb.2432:
	global_load_u8 v1, v[6:7], off
	s_mov_b32 s26, 0
	s_wait_loadcnt 0x0
	v_cmp_ne_u16_e64 s25, 0, v1
	s_branch .LBB14_2436
.LBB14_2433:
	s_mov_b32 s27, -1
                                        ; implicit-def: $sgpr25
	s_branch .LBB14_2442
.LBB14_2434:
	s_mov_b32 s26, -1
                                        ; implicit-def: $sgpr25
	s_branch .LBB14_2439
.LBB14_2435:
	s_mov_b32 s26, -1
                                        ; implicit-def: $sgpr25
.LBB14_2436:
	s_delay_alu instid0(SALU_CYCLE_1)
	s_and_not1_b32 vcc_lo, exec_lo, s26
	s_cbranch_vccnz .LBB14_2438
; %bb.2437:
	global_load_u8 v1, v[6:7], off
	s_and_not1_b32 s25, s25, exec_lo
	s_wait_loadcnt 0x0
	v_and_b32_e32 v1, 0x7f, v1
	s_delay_alu instid0(VALU_DEP_1) | instskip(SKIP_1) | instid1(SALU_CYCLE_1)
	v_cmp_ne_u16_e32 vcc_lo, 0, v1
	s_and_b32 s26, vcc_lo, exec_lo
	s_or_b32 s25, s25, s26
.LBB14_2438:
	s_mov_b32 s26, 0
.LBB14_2439:
	s_delay_alu instid0(SALU_CYCLE_1)
	s_and_not1_b32 vcc_lo, exec_lo, s26
	s_cbranch_vccnz .LBB14_2441
; %bb.2440:
	global_load_u8 v1, v[6:7], off
	s_and_not1_b32 s25, s25, exec_lo
	s_wait_loadcnt 0x0
	v_dual_lshlrev_b32 v3, 25, v1 :: v_dual_lshlrev_b32 v1, 8, v1
	s_delay_alu instid0(VALU_DEP_1) | instskip(NEXT) | instid1(VALU_DEP_2)
	v_cmp_gt_u32_e32 vcc_lo, 0x8000000, v3
	v_and_or_b32 v1, 0x7f00, v1, 0.5
	s_delay_alu instid0(VALU_DEP_1) | instskip(NEXT) | instid1(VALU_DEP_1)
	v_dual_lshrrev_b32 v5, 4, v3 :: v_dual_add_f32 v1, -0.5, v1
	v_or_b32_e32 v5, 0x70000000, v5
	s_delay_alu instid0(VALU_DEP_1) | instskip(NEXT) | instid1(VALU_DEP_1)
	v_mul_f32_e32 v5, 0x7800000, v5
	v_cndmask_b32_e32 v1, v5, v1, vcc_lo
	s_delay_alu instid0(VALU_DEP_1) | instskip(SKIP_1) | instid1(SALU_CYCLE_1)
	v_cmp_neq_f32_e32 vcc_lo, 0, v1
	s_and_b32 s26, vcc_lo, exec_lo
	s_or_b32 s25, s25, s26
.LBB14_2441:
	s_mov_b32 s26, -1
.LBB14_2442:
	s_and_not1_b32 vcc_lo, exec_lo, s27
	s_mov_b32 s27, 0
	s_cbranch_vccnz .LBB14_2451
; %bb.2443:
	s_cmp_gt_i32 s0, 14
	s_cbranch_scc0 .LBB14_2446
; %bb.2444:
	s_cmp_eq_u32 s0, 15
	s_cbranch_scc0 .LBB14_2447
; %bb.2445:
	global_load_u16 v1, v[6:7], off
	s_mov_b32 s15, 0
	s_mov_b32 s26, -1
	s_wait_loadcnt 0x0
	v_and_b32_e32 v1, 0x7fff, v1
	s_delay_alu instid0(VALU_DEP_1)
	v_cmp_ne_u16_e64 s25, 0, v1
	s_branch .LBB14_2449
.LBB14_2446:
	s_mov_b32 s27, -1
	s_branch .LBB14_2448
.LBB14_2447:
	s_mov_b32 s15, -1
.LBB14_2448:
                                        ; implicit-def: $sgpr25
.LBB14_2449:
	s_and_b32 vcc_lo, exec_lo, s27
	s_mov_b32 s27, 0
	s_cbranch_vccz .LBB14_2451
; %bb.2450:
	s_cmp_lg_u32 s0, 11
	s_mov_b32 s27, -1
	s_cselect_b32 s15, -1, 0
.LBB14_2451:
	s_delay_alu instid0(SALU_CYCLE_1)
	s_and_b32 vcc_lo, exec_lo, s15
	s_cbranch_vccnz .LBB14_2516
; %bb.2452:
	s_and_not1_b32 vcc_lo, exec_lo, s27
	s_cbranch_vccnz .LBB14_2454
.LBB14_2453:
	global_load_u8 v1, v[6:7], off
	s_and_not1_b32 s0, s25, exec_lo
	s_mov_b32 s26, -1
	s_wait_loadcnt 0x0
	v_cmp_ne_u16_e32 vcc_lo, 0, v1
	s_and_b32 s15, vcc_lo, exec_lo
	s_delay_alu instid0(SALU_CYCLE_1)
	s_or_b32 s25, s0, s15
.LBB14_2454:
	s_mov_b32 s0, 0
.LBB14_2455:
	s_delay_alu instid0(SALU_CYCLE_1)
	s_and_b32 vcc_lo, exec_lo, s0
	s_cbranch_vccz .LBB14_2504
; %bb.2456:
	s_and_b32 s15, 0xffff, s24
	s_delay_alu instid0(SALU_CYCLE_1)
	s_cmp_lt_i32 s15, 5
	s_cbranch_scc1 .LBB14_2461
; %bb.2457:
	s_cmp_lt_i32 s15, 8
	s_cbranch_scc1 .LBB14_2462
; %bb.2458:
	;; [unrolled: 3-line block ×3, first 2 shown]
	s_cmp_gt_i32 s15, 9
	s_cbranch_scc0 .LBB14_2464
; %bb.2460:
	global_load_b128 v[10:13], v[6:7], off
	s_wait_loadcnt 0x0
	v_cmp_neq_f64_e32 vcc_lo, 0, v[10:11]
	v_cmp_neq_f64_e64 s0, 0, v[12:13]
	s_or_b32 s25, vcc_lo, s0
	s_mov_b32 s0, 0
	s_branch .LBB14_2465
.LBB14_2461:
	s_mov_b32 s0, -1
                                        ; implicit-def: $sgpr25
	s_branch .LBB14_2483
.LBB14_2462:
	s_mov_b32 s0, -1
                                        ; implicit-def: $sgpr25
	s_branch .LBB14_2471
.LBB14_2463:
	s_mov_b32 s0, -1
                                        ; implicit-def: $sgpr25
	s_branch .LBB14_2468
.LBB14_2464:
	s_mov_b32 s0, -1
                                        ; implicit-def: $sgpr25
.LBB14_2465:
	s_delay_alu instid0(SALU_CYCLE_1)
	s_and_not1_b32 vcc_lo, exec_lo, s0
	s_cbranch_vccnz .LBB14_2467
; %bb.2466:
	global_load_b64 v[10:11], v[6:7], off
	s_and_not1_b32 s0, s25, exec_lo
	s_wait_loadcnt 0x0
	v_bitop3_b32 v1, v10, 0x7fffffff, v11 bitop3:0xc8
	s_delay_alu instid0(VALU_DEP_1) | instskip(SKIP_1) | instid1(SALU_CYCLE_1)
	v_cmp_ne_u32_e32 vcc_lo, 0, v1
	s_and_b32 s25, vcc_lo, exec_lo
	s_or_b32 s25, s0, s25
.LBB14_2467:
	s_mov_b32 s0, 0
.LBB14_2468:
	s_delay_alu instid0(SALU_CYCLE_1)
	s_and_not1_b32 vcc_lo, exec_lo, s0
	s_cbranch_vccnz .LBB14_2470
; %bb.2469:
	global_load_b32 v1, v[6:7], off
	s_and_not1_b32 s0, s25, exec_lo
	s_wait_loadcnt 0x0
	v_and_b32_e32 v1, 0x7fff7fff, v1
	s_delay_alu instid0(VALU_DEP_1) | instskip(SKIP_1) | instid1(SALU_CYCLE_1)
	v_cmp_ne_u32_e32 vcc_lo, 0, v1
	s_and_b32 s25, vcc_lo, exec_lo
	s_or_b32 s25, s0, s25
.LBB14_2470:
	s_mov_b32 s0, 0
.LBB14_2471:
	s_delay_alu instid0(SALU_CYCLE_1)
	s_and_not1_b32 vcc_lo, exec_lo, s0
	s_cbranch_vccnz .LBB14_2482
; %bb.2472:
	s_cmp_lt_i32 s15, 6
	s_cbranch_scc1 .LBB14_2475
; %bb.2473:
	s_cmp_gt_i32 s15, 6
	s_cbranch_scc0 .LBB14_2476
; %bb.2474:
	global_load_b64 v[10:11], v[6:7], off
	s_mov_b32 s0, 0
	s_wait_loadcnt 0x0
	v_cmp_neq_f64_e64 s25, 0, v[10:11]
	s_branch .LBB14_2477
.LBB14_2475:
	s_mov_b32 s0, -1
                                        ; implicit-def: $sgpr25
	s_branch .LBB14_2480
.LBB14_2476:
	s_mov_b32 s0, -1
                                        ; implicit-def: $sgpr25
.LBB14_2477:
	s_delay_alu instid0(SALU_CYCLE_1)
	s_and_not1_b32 vcc_lo, exec_lo, s0
	s_cbranch_vccnz .LBB14_2479
; %bb.2478:
	global_load_b32 v1, v[6:7], off
	s_and_not1_b32 s0, s25, exec_lo
	s_wait_loadcnt 0x0
	v_cmp_neq_f32_e32 vcc_lo, 0, v1
	s_and_b32 s25, vcc_lo, exec_lo
	s_delay_alu instid0(SALU_CYCLE_1)
	s_or_b32 s25, s0, s25
.LBB14_2479:
	s_mov_b32 s0, 0
.LBB14_2480:
	s_delay_alu instid0(SALU_CYCLE_1)
	s_and_not1_b32 vcc_lo, exec_lo, s0
	s_cbranch_vccnz .LBB14_2482
; %bb.2481:
	global_load_u16 v1, v[6:7], off
	s_and_not1_b32 s0, s25, exec_lo
	s_wait_loadcnt 0x0
	v_and_b32_e32 v1, 0x7fff, v1
	s_delay_alu instid0(VALU_DEP_1) | instskip(SKIP_1) | instid1(SALU_CYCLE_1)
	v_cmp_ne_u16_e32 vcc_lo, 0, v1
	s_and_b32 s25, vcc_lo, exec_lo
	s_or_b32 s25, s0, s25
.LBB14_2482:
	s_mov_b32 s0, 0
.LBB14_2483:
	s_delay_alu instid0(SALU_CYCLE_1)
	s_and_not1_b32 vcc_lo, exec_lo, s0
	s_cbranch_vccnz .LBB14_2503
; %bb.2484:
	s_cmp_lt_i32 s15, 2
	s_cbranch_scc1 .LBB14_2488
; %bb.2485:
	s_cmp_lt_i32 s15, 3
	s_cbranch_scc1 .LBB14_2489
; %bb.2486:
	s_cmp_gt_i32 s15, 3
	s_cbranch_scc0 .LBB14_2490
; %bb.2487:
	global_load_b64 v[10:11], v[6:7], off
	s_mov_b32 s0, 0
	s_wait_loadcnt 0x0
	v_cmp_ne_u64_e64 s25, 0, v[10:11]
	s_branch .LBB14_2491
.LBB14_2488:
	s_mov_b32 s0, -1
                                        ; implicit-def: $sgpr25
	s_branch .LBB14_2497
.LBB14_2489:
	s_mov_b32 s0, -1
                                        ; implicit-def: $sgpr25
	s_branch .LBB14_2494
.LBB14_2490:
	s_mov_b32 s0, -1
                                        ; implicit-def: $sgpr25
.LBB14_2491:
	s_delay_alu instid0(SALU_CYCLE_1)
	s_and_not1_b32 vcc_lo, exec_lo, s0
	s_cbranch_vccnz .LBB14_2493
; %bb.2492:
	global_load_b32 v1, v[6:7], off
	s_and_not1_b32 s0, s25, exec_lo
	s_wait_loadcnt 0x0
	v_cmp_ne_u32_e32 vcc_lo, 0, v1
	s_and_b32 s25, vcc_lo, exec_lo
	s_delay_alu instid0(SALU_CYCLE_1)
	s_or_b32 s25, s0, s25
.LBB14_2493:
	s_mov_b32 s0, 0
.LBB14_2494:
	s_delay_alu instid0(SALU_CYCLE_1)
	s_and_not1_b32 vcc_lo, exec_lo, s0
	s_cbranch_vccnz .LBB14_2496
; %bb.2495:
	global_load_u16 v1, v[6:7], off
	s_and_not1_b32 s0, s25, exec_lo
	s_wait_loadcnt 0x0
	v_cmp_ne_u16_e32 vcc_lo, 0, v1
	s_and_b32 s25, vcc_lo, exec_lo
	s_delay_alu instid0(SALU_CYCLE_1)
	s_or_b32 s25, s0, s25
.LBB14_2496:
	s_mov_b32 s0, 0
.LBB14_2497:
	s_delay_alu instid0(SALU_CYCLE_1)
	s_and_not1_b32 vcc_lo, exec_lo, s0
	s_cbranch_vccnz .LBB14_2503
; %bb.2498:
	s_cmp_gt_i32 s15, 0
	s_mov_b32 s0, 0
	s_cbranch_scc0 .LBB14_2500
; %bb.2499:
	global_load_u8 v1, v[6:7], off
	s_wait_loadcnt 0x0
	v_cmp_ne_u16_e64 s25, 0, v1
	s_branch .LBB14_2501
.LBB14_2500:
	s_mov_b32 s0, -1
                                        ; implicit-def: $sgpr25
.LBB14_2501:
	s_delay_alu instid0(SALU_CYCLE_1)
	s_and_not1_b32 vcc_lo, exec_lo, s0
	s_cbranch_vccnz .LBB14_2503
; %bb.2502:
	global_load_u8 v1, v[6:7], off
	s_and_not1_b32 s0, s25, exec_lo
	s_wait_loadcnt 0x0
	v_cmp_ne_u16_e32 vcc_lo, 0, v1
	s_and_b32 s15, vcc_lo, exec_lo
	s_delay_alu instid0(SALU_CYCLE_1)
	s_or_b32 s25, s0, s15
.LBB14_2503:
	s_mov_b32 s26, -1
.LBB14_2504:
	s_delay_alu instid0(SALU_CYCLE_1)
	s_and_not1_b32 vcc_lo, exec_lo, s26
	s_cbranch_vccnz .LBB14_3622
; %bb.2505:
	v_add_nc_u32_e32 v0, s28, v0
	s_cmp_lt_i32 s22, 11
	s_delay_alu instid0(VALU_DEP_1) | instskip(SKIP_1) | instid1(VALU_DEP_1)
	v_ashrrev_i32_e32 v1, 31, v0
	s_wait_xcnt 0x0
	v_add_nc_u64_e32 v[6:7], s[6:7], v[0:1]
	s_cbranch_scc1 .LBB14_2512
; %bb.2506:
	s_and_b32 s0, 0xffff, s22
	s_mov_b32 s31, 0
	s_cmp_gt_i32 s0, 25
	s_cbranch_scc0 .LBB14_2513
; %bb.2507:
	s_cmp_gt_i32 s0, 28
	s_cbranch_scc0 .LBB14_2514
; %bb.2508:
	;; [unrolled: 3-line block ×4, first 2 shown]
	s_cmp_eq_u32 s0, 46
	s_mov_b32 s33, 0
	s_cbranch_scc0 .LBB14_2522
; %bb.2511:
	global_load_b32 v1, v[6:7], off
	s_mov_b32 s26, 0
	s_mov_b32 s27, -1
	s_wait_loadcnt 0x0
	v_and_b32_e32 v1, 0x7fff7fff, v1
	s_delay_alu instid0(VALU_DEP_1)
	v_cmp_ne_u32_e64 s15, 0, v1
	s_branch .LBB14_2524
.LBB14_2512:
	s_mov_b32 s0, -1
	s_mov_b32 s27, 0
                                        ; implicit-def: $sgpr15
	s_branch .LBB14_2572
.LBB14_2513:
	s_mov_b32 s33, -1
	s_mov_b32 s27, 0
	s_mov_b32 s26, 0
                                        ; implicit-def: $sgpr15
	s_branch .LBB14_2545
.LBB14_2514:
	s_mov_b32 s33, -1
	s_mov_b32 s27, 0
	s_mov_b32 s26, 0
                                        ; implicit-def: $sgpr15
	s_branch .LBB14_2532
.LBB14_2515:
	s_mov_b32 s33, -1
	s_mov_b32 s27, 0
	s_mov_b32 s26, 0
                                        ; implicit-def: $sgpr15
	s_branch .LBB14_2527
.LBB14_2516:
	s_mov_b32 s26, 0
	s_or_b32 s16, s16, exec_lo
	s_trap 2
	s_cbranch_execz .LBB14_2453
	s_branch .LBB14_2454
.LBB14_2517:
	s_mov_b32 s33, -1
	s_mov_b32 s27, 0
	s_mov_b32 s26, 0
	s_branch .LBB14_2523
.LBB14_2518:
	v_bfe_u32 v2, v3, 21, 1
	s_mov_b32 s37, exec_lo
	s_delay_alu instid0(VALU_DEP_1) | instskip(NEXT) | instid1(VALU_DEP_1)
	v_add3_u32 v2, v3, v2, 0x88fffff
                                        ; implicit-def: $vgpr3
	v_lshrrev_b32_e32 v2, 21, v2
	s_and_not1_saveexec_b32 s38, s38
	s_cbranch_execz .LBB14_841
.LBB14_2519:
	v_add_f32_e32 v2, 0x42800000, v3
	s_and_not1_b32 s37, s37, exec_lo
	s_delay_alu instid0(VALU_DEP_1) | instskip(NEXT) | instid1(VALU_DEP_1)
	v_and_b32_e32 v2, 0xff, v2
	v_cmp_ne_u32_e32 vcc_lo, 0, v2
	s_and_b32 s39, vcc_lo, exec_lo
	s_delay_alu instid0(SALU_CYCLE_1)
	s_or_b32 s37, s37, s39
	s_or_b32 exec_lo, exec_lo, s38
	v_mov_b32_e32 v4, 0
	s_and_saveexec_b32 s38, s37
	s_cbranch_execnz .LBB14_842
	s_branch .LBB14_843
.LBB14_2520:
	v_bfe_u32 v2, v3, 20, 1
	s_mov_b32 s42, exec_lo
	s_delay_alu instid0(VALU_DEP_1) | instskip(NEXT) | instid1(VALU_DEP_1)
	v_add3_u32 v2, v3, v2, 0x487ffff
                                        ; implicit-def: $vgpr3
	v_lshrrev_b32_e32 v2, 20, v2
	s_and_not1_saveexec_b32 s43, s43
	s_cbranch_execz .LBB14_1291
.LBB14_2521:
	v_add_f32_e32 v2, 0x46000000, v3
	s_and_not1_b32 s42, s42, exec_lo
	s_delay_alu instid0(VALU_DEP_1) | instskip(NEXT) | instid1(VALU_DEP_1)
	v_and_b32_e32 v2, 0xff, v2
	v_cmp_ne_u32_e32 vcc_lo, 0, v2
	s_and_b32 s44, vcc_lo, exec_lo
	s_delay_alu instid0(SALU_CYCLE_1)
	s_or_b32 s42, s42, s44
	s_or_b32 exec_lo, exec_lo, s43
	v_mov_b32_e32 v4, 0
	s_and_saveexec_b32 s43, s42
	s_cbranch_execnz .LBB14_1292
	s_branch .LBB14_1293
.LBB14_2522:
	s_mov_b32 s26, -1
	s_mov_b32 s27, 0
.LBB14_2523:
                                        ; implicit-def: $sgpr15
.LBB14_2524:
	s_and_b32 vcc_lo, exec_lo, s33
	s_cbranch_vccz .LBB14_2526
; %bb.2525:
	s_cmp_lg_u32 s0, 44
	s_mov_b32 s27, -1
	s_cselect_b32 s26, -1, 0
	s_or_b32 s15, s15, exec_lo
.LBB14_2526:
	s_mov_b32 s33, 0
.LBB14_2527:
	s_delay_alu instid0(SALU_CYCLE_1)
	s_and_b32 vcc_lo, exec_lo, s33
	s_cbranch_vccz .LBB14_2531
; %bb.2528:
	s_cmp_eq_u32 s0, 29
	s_cbranch_scc0 .LBB14_2530
; %bb.2529:
	global_load_b64 v[10:11], v[6:7], off
	s_mov_b32 s26, 0
	s_mov_b32 s27, -1
	s_mov_b32 s33, 0
	s_wait_loadcnt 0x0
	v_cmp_ne_u64_e64 s15, 0, v[10:11]
	s_branch .LBB14_2532
.LBB14_2530:
	s_mov_b32 s26, -1
                                        ; implicit-def: $sgpr15
.LBB14_2531:
	s_mov_b32 s33, 0
.LBB14_2532:
	s_delay_alu instid0(SALU_CYCLE_1)
	s_and_b32 vcc_lo, exec_lo, s33
	s_cbranch_vccz .LBB14_2544
; %bb.2533:
	s_cmp_lt_i32 s0, 27
	s_cbranch_scc1 .LBB14_2536
; %bb.2534:
	s_cmp_gt_i32 s0, 27
	s_cbranch_scc0 .LBB14_2537
; %bb.2535:
	global_load_b32 v1, v[6:7], off
	s_mov_b32 s27, 0
	s_wait_loadcnt 0x0
	v_cmp_ne_u32_e64 s15, 0, v1
	s_branch .LBB14_2538
.LBB14_2536:
	s_mov_b32 s27, -1
                                        ; implicit-def: $sgpr15
	s_branch .LBB14_2541
.LBB14_2537:
	s_mov_b32 s27, -1
                                        ; implicit-def: $sgpr15
.LBB14_2538:
	s_delay_alu instid0(SALU_CYCLE_1)
	s_and_not1_b32 vcc_lo, exec_lo, s27
	s_cbranch_vccnz .LBB14_2540
; %bb.2539:
	global_load_u16 v1, v[6:7], off
	s_and_not1_b32 s15, s15, exec_lo
	s_wait_loadcnt 0x0
	v_cmp_ne_u16_e32 vcc_lo, 0, v1
	s_and_b32 s27, vcc_lo, exec_lo
	s_delay_alu instid0(SALU_CYCLE_1)
	s_or_b32 s15, s15, s27
.LBB14_2540:
	s_mov_b32 s27, 0
.LBB14_2541:
	s_delay_alu instid0(SALU_CYCLE_1)
	s_and_not1_b32 vcc_lo, exec_lo, s27
	s_cbranch_vccnz .LBB14_2543
; %bb.2542:
	global_load_u8 v1, v[6:7], off
	s_and_not1_b32 s15, s15, exec_lo
	s_wait_loadcnt 0x0
	v_cmp_ne_u16_e32 vcc_lo, 0, v1
	s_and_b32 s27, vcc_lo, exec_lo
	s_delay_alu instid0(SALU_CYCLE_1)
	s_or_b32 s15, s15, s27
.LBB14_2543:
	s_mov_b32 s27, -1
.LBB14_2544:
	s_mov_b32 s33, 0
.LBB14_2545:
	s_delay_alu instid0(SALU_CYCLE_1)
	s_and_b32 vcc_lo, exec_lo, s33
	s_cbranch_vccz .LBB14_2568
; %bb.2546:
	s_cmp_gt_i32 s0, 22
	s_cbranch_scc0 .LBB14_2550
; %bb.2547:
	s_cmp_lt_i32 s0, 24
	s_cbranch_scc1 .LBB14_2551
; %bb.2548:
	s_cmp_gt_i32 s0, 24
	s_cbranch_scc0 .LBB14_2552
; %bb.2549:
	global_load_u8 v1, v[6:7], off
	s_mov_b32 s27, 0
	s_wait_loadcnt 0x0
	v_cmp_ne_u16_e64 s15, 0, v1
	s_branch .LBB14_2553
.LBB14_2550:
	s_mov_b32 s31, -1
                                        ; implicit-def: $sgpr15
	s_branch .LBB14_2559
.LBB14_2551:
	s_mov_b32 s27, -1
                                        ; implicit-def: $sgpr15
	s_branch .LBB14_2556
.LBB14_2552:
	s_mov_b32 s27, -1
                                        ; implicit-def: $sgpr15
.LBB14_2553:
	s_delay_alu instid0(SALU_CYCLE_1)
	s_and_not1_b32 vcc_lo, exec_lo, s27
	s_cbranch_vccnz .LBB14_2555
; %bb.2554:
	global_load_u8 v1, v[6:7], off
	s_and_not1_b32 s15, s15, exec_lo
	s_wait_loadcnt 0x0
	v_and_b32_e32 v1, 0x7f, v1
	s_delay_alu instid0(VALU_DEP_1) | instskip(SKIP_1) | instid1(SALU_CYCLE_1)
	v_cmp_ne_u16_e32 vcc_lo, 0, v1
	s_and_b32 s27, vcc_lo, exec_lo
	s_or_b32 s15, s15, s27
.LBB14_2555:
	s_mov_b32 s27, 0
.LBB14_2556:
	s_delay_alu instid0(SALU_CYCLE_1)
	s_and_not1_b32 vcc_lo, exec_lo, s27
	s_cbranch_vccnz .LBB14_2558
; %bb.2557:
	global_load_u8 v1, v[6:7], off
	s_and_not1_b32 s15, s15, exec_lo
	s_wait_loadcnt 0x0
	v_dual_lshlrev_b32 v3, 25, v1 :: v_dual_lshlrev_b32 v1, 8, v1
	s_delay_alu instid0(VALU_DEP_1) | instskip(NEXT) | instid1(VALU_DEP_2)
	v_cmp_gt_u32_e32 vcc_lo, 0x8000000, v3
	v_and_or_b32 v1, 0x7f00, v1, 0.5
	s_delay_alu instid0(VALU_DEP_1) | instskip(NEXT) | instid1(VALU_DEP_1)
	v_dual_lshrrev_b32 v5, 4, v3 :: v_dual_add_f32 v1, -0.5, v1
	v_or_b32_e32 v5, 0x70000000, v5
	s_delay_alu instid0(VALU_DEP_1) | instskip(NEXT) | instid1(VALU_DEP_1)
	v_mul_f32_e32 v5, 0x7800000, v5
	v_cndmask_b32_e32 v1, v5, v1, vcc_lo
	s_delay_alu instid0(VALU_DEP_1) | instskip(SKIP_1) | instid1(SALU_CYCLE_1)
	v_cmp_neq_f32_e32 vcc_lo, 0, v1
	s_and_b32 s27, vcc_lo, exec_lo
	s_or_b32 s15, s15, s27
.LBB14_2558:
	s_mov_b32 s27, -1
.LBB14_2559:
	s_and_not1_b32 vcc_lo, exec_lo, s31
	s_mov_b32 s31, 0
	s_cbranch_vccnz .LBB14_2568
; %bb.2560:
	s_cmp_gt_i32 s0, 14
	s_cbranch_scc0 .LBB14_2563
; %bb.2561:
	s_cmp_eq_u32 s0, 15
	s_cbranch_scc0 .LBB14_2564
; %bb.2562:
	global_load_u16 v1, v[6:7], off
	s_mov_b32 s26, 0
	s_mov_b32 s27, -1
	s_wait_loadcnt 0x0
	v_and_b32_e32 v1, 0x7fff, v1
	s_delay_alu instid0(VALU_DEP_1)
	v_cmp_ne_u16_e64 s15, 0, v1
	s_branch .LBB14_2566
.LBB14_2563:
	s_mov_b32 s31, -1
	s_branch .LBB14_2565
.LBB14_2564:
	s_mov_b32 s26, -1
.LBB14_2565:
                                        ; implicit-def: $sgpr15
.LBB14_2566:
	s_and_b32 vcc_lo, exec_lo, s31
	s_mov_b32 s31, 0
	s_cbranch_vccz .LBB14_2568
; %bb.2567:
	s_cmp_lg_u32 s0, 11
	s_mov_b32 s31, -1
	s_cselect_b32 s26, -1, 0
.LBB14_2568:
	s_delay_alu instid0(SALU_CYCLE_1)
	s_and_b32 vcc_lo, exec_lo, s26
	s_cbranch_vccnz .LBB14_2633
; %bb.2569:
	s_and_not1_b32 vcc_lo, exec_lo, s31
	s_cbranch_vccnz .LBB14_2571
.LBB14_2570:
	global_load_u8 v1, v[6:7], off
	s_and_not1_b32 s0, s15, exec_lo
	s_mov_b32 s27, -1
	s_wait_loadcnt 0x0
	v_cmp_ne_u16_e32 vcc_lo, 0, v1
	s_and_b32 s15, vcc_lo, exec_lo
	s_delay_alu instid0(SALU_CYCLE_1)
	s_or_b32 s15, s0, s15
.LBB14_2571:
	s_mov_b32 s0, 0
.LBB14_2572:
	s_delay_alu instid0(SALU_CYCLE_1)
	s_and_b32 vcc_lo, exec_lo, s0
	s_cbranch_vccz .LBB14_2621
; %bb.2573:
	s_and_b32 s26, 0xffff, s22
	s_delay_alu instid0(SALU_CYCLE_1)
	s_cmp_lt_i32 s26, 5
	s_cbranch_scc1 .LBB14_2578
; %bb.2574:
	s_cmp_lt_i32 s26, 8
	s_cbranch_scc1 .LBB14_2579
; %bb.2575:
	;; [unrolled: 3-line block ×3, first 2 shown]
	s_cmp_gt_i32 s26, 9
	s_cbranch_scc0 .LBB14_2581
; %bb.2577:
	global_load_b128 v[10:13], v[6:7], off
	s_wait_loadcnt 0x0
	v_cmp_neq_f64_e32 vcc_lo, 0, v[10:11]
	v_cmp_neq_f64_e64 s0, 0, v[12:13]
	s_or_b32 s15, vcc_lo, s0
	s_mov_b32 s0, 0
	s_branch .LBB14_2582
.LBB14_2578:
	s_mov_b32 s0, -1
                                        ; implicit-def: $sgpr15
	s_branch .LBB14_2600
.LBB14_2579:
	s_mov_b32 s0, -1
                                        ; implicit-def: $sgpr15
	s_branch .LBB14_2588
.LBB14_2580:
	s_mov_b32 s0, -1
                                        ; implicit-def: $sgpr15
	s_branch .LBB14_2585
.LBB14_2581:
	s_mov_b32 s0, -1
                                        ; implicit-def: $sgpr15
.LBB14_2582:
	s_delay_alu instid0(SALU_CYCLE_1)
	s_and_not1_b32 vcc_lo, exec_lo, s0
	s_cbranch_vccnz .LBB14_2584
; %bb.2583:
	global_load_b64 v[10:11], v[6:7], off
	s_and_not1_b32 s0, s15, exec_lo
	s_wait_loadcnt 0x0
	v_bitop3_b32 v1, v10, 0x7fffffff, v11 bitop3:0xc8
	s_delay_alu instid0(VALU_DEP_1) | instskip(SKIP_1) | instid1(SALU_CYCLE_1)
	v_cmp_ne_u32_e32 vcc_lo, 0, v1
	s_and_b32 s15, vcc_lo, exec_lo
	s_or_b32 s15, s0, s15
.LBB14_2584:
	s_mov_b32 s0, 0
.LBB14_2585:
	s_delay_alu instid0(SALU_CYCLE_1)
	s_and_not1_b32 vcc_lo, exec_lo, s0
	s_cbranch_vccnz .LBB14_2587
; %bb.2586:
	global_load_b32 v1, v[6:7], off
	s_and_not1_b32 s0, s15, exec_lo
	s_wait_loadcnt 0x0
	v_and_b32_e32 v1, 0x7fff7fff, v1
	s_delay_alu instid0(VALU_DEP_1) | instskip(SKIP_1) | instid1(SALU_CYCLE_1)
	v_cmp_ne_u32_e32 vcc_lo, 0, v1
	s_and_b32 s15, vcc_lo, exec_lo
	s_or_b32 s15, s0, s15
.LBB14_2587:
	s_mov_b32 s0, 0
.LBB14_2588:
	s_delay_alu instid0(SALU_CYCLE_1)
	s_and_not1_b32 vcc_lo, exec_lo, s0
	s_cbranch_vccnz .LBB14_2599
; %bb.2589:
	s_cmp_lt_i32 s26, 6
	s_cbranch_scc1 .LBB14_2592
; %bb.2590:
	s_cmp_gt_i32 s26, 6
	s_cbranch_scc0 .LBB14_2593
; %bb.2591:
	global_load_b64 v[10:11], v[6:7], off
	s_mov_b32 s0, 0
	s_wait_loadcnt 0x0
	v_cmp_neq_f64_e64 s15, 0, v[10:11]
	s_branch .LBB14_2594
.LBB14_2592:
	s_mov_b32 s0, -1
                                        ; implicit-def: $sgpr15
	s_branch .LBB14_2597
.LBB14_2593:
	s_mov_b32 s0, -1
                                        ; implicit-def: $sgpr15
.LBB14_2594:
	s_delay_alu instid0(SALU_CYCLE_1)
	s_and_not1_b32 vcc_lo, exec_lo, s0
	s_cbranch_vccnz .LBB14_2596
; %bb.2595:
	global_load_b32 v1, v[6:7], off
	s_and_not1_b32 s0, s15, exec_lo
	s_wait_loadcnt 0x0
	v_cmp_neq_f32_e32 vcc_lo, 0, v1
	s_and_b32 s15, vcc_lo, exec_lo
	s_delay_alu instid0(SALU_CYCLE_1)
	s_or_b32 s15, s0, s15
.LBB14_2596:
	s_mov_b32 s0, 0
.LBB14_2597:
	s_delay_alu instid0(SALU_CYCLE_1)
	s_and_not1_b32 vcc_lo, exec_lo, s0
	s_cbranch_vccnz .LBB14_2599
; %bb.2598:
	global_load_u16 v1, v[6:7], off
	s_and_not1_b32 s0, s15, exec_lo
	s_wait_loadcnt 0x0
	v_and_b32_e32 v1, 0x7fff, v1
	s_delay_alu instid0(VALU_DEP_1) | instskip(SKIP_1) | instid1(SALU_CYCLE_1)
	v_cmp_ne_u16_e32 vcc_lo, 0, v1
	s_and_b32 s15, vcc_lo, exec_lo
	s_or_b32 s15, s0, s15
.LBB14_2599:
	s_mov_b32 s0, 0
.LBB14_2600:
	s_delay_alu instid0(SALU_CYCLE_1)
	s_and_not1_b32 vcc_lo, exec_lo, s0
	s_cbranch_vccnz .LBB14_2620
; %bb.2601:
	s_cmp_lt_i32 s26, 2
	s_cbranch_scc1 .LBB14_2605
; %bb.2602:
	s_cmp_lt_i32 s26, 3
	s_cbranch_scc1 .LBB14_2606
; %bb.2603:
	s_cmp_gt_i32 s26, 3
	s_cbranch_scc0 .LBB14_2607
; %bb.2604:
	global_load_b64 v[10:11], v[6:7], off
	s_mov_b32 s0, 0
	s_wait_loadcnt 0x0
	v_cmp_ne_u64_e64 s15, 0, v[10:11]
	s_branch .LBB14_2608
.LBB14_2605:
	s_mov_b32 s0, -1
                                        ; implicit-def: $sgpr15
	s_branch .LBB14_2614
.LBB14_2606:
	s_mov_b32 s0, -1
                                        ; implicit-def: $sgpr15
	s_branch .LBB14_2611
.LBB14_2607:
	s_mov_b32 s0, -1
                                        ; implicit-def: $sgpr15
.LBB14_2608:
	s_delay_alu instid0(SALU_CYCLE_1)
	s_and_not1_b32 vcc_lo, exec_lo, s0
	s_cbranch_vccnz .LBB14_2610
; %bb.2609:
	global_load_b32 v1, v[6:7], off
	s_and_not1_b32 s0, s15, exec_lo
	s_wait_loadcnt 0x0
	v_cmp_ne_u32_e32 vcc_lo, 0, v1
	s_and_b32 s15, vcc_lo, exec_lo
	s_delay_alu instid0(SALU_CYCLE_1)
	s_or_b32 s15, s0, s15
.LBB14_2610:
	s_mov_b32 s0, 0
.LBB14_2611:
	s_delay_alu instid0(SALU_CYCLE_1)
	s_and_not1_b32 vcc_lo, exec_lo, s0
	s_cbranch_vccnz .LBB14_2613
; %bb.2612:
	global_load_u16 v1, v[6:7], off
	s_and_not1_b32 s0, s15, exec_lo
	s_wait_loadcnt 0x0
	v_cmp_ne_u16_e32 vcc_lo, 0, v1
	s_and_b32 s15, vcc_lo, exec_lo
	s_delay_alu instid0(SALU_CYCLE_1)
	s_or_b32 s15, s0, s15
.LBB14_2613:
	s_mov_b32 s0, 0
.LBB14_2614:
	s_delay_alu instid0(SALU_CYCLE_1)
	s_and_not1_b32 vcc_lo, exec_lo, s0
	s_cbranch_vccnz .LBB14_2620
; %bb.2615:
	s_cmp_gt_i32 s26, 0
	s_mov_b32 s0, 0
	s_cbranch_scc0 .LBB14_2617
; %bb.2616:
	global_load_u8 v1, v[6:7], off
	s_wait_loadcnt 0x0
	v_cmp_ne_u16_e64 s15, 0, v1
	s_branch .LBB14_2618
.LBB14_2617:
	s_mov_b32 s0, -1
                                        ; implicit-def: $sgpr15
.LBB14_2618:
	s_delay_alu instid0(SALU_CYCLE_1)
	s_and_not1_b32 vcc_lo, exec_lo, s0
	s_cbranch_vccnz .LBB14_2620
; %bb.2619:
	global_load_u8 v1, v[6:7], off
	s_and_not1_b32 s0, s15, exec_lo
	s_wait_loadcnt 0x0
	v_cmp_ne_u16_e32 vcc_lo, 0, v1
	s_and_b32 s15, vcc_lo, exec_lo
	s_delay_alu instid0(SALU_CYCLE_1)
	s_or_b32 s15, s0, s15
.LBB14_2620:
	s_mov_b32 s27, -1
.LBB14_2621:
	s_delay_alu instid0(SALU_CYCLE_1)
	s_and_not1_b32 vcc_lo, exec_lo, s27
	s_cbranch_vccnz .LBB14_3622
; %bb.2622:
	v_add_nc_u32_e32 v2, s29, v2
	s_cmp_lt_i32 s23, 11
	s_delay_alu instid0(VALU_DEP_1) | instskip(SKIP_1) | instid1(VALU_DEP_1)
	v_ashrrev_i32_e32 v3, 31, v2
	s_wait_xcnt 0x0
	v_add_nc_u64_e32 v[6:7], s[8:9], v[2:3]
	s_cbranch_scc1 .LBB14_2629
; %bb.2623:
	s_and_b32 s0, 0xffff, s23
	s_mov_b32 s33, 0
	s_cmp_gt_i32 s0, 25
	s_cbranch_scc0 .LBB14_2630
; %bb.2624:
	s_cmp_gt_i32 s0, 28
	s_cbranch_scc0 .LBB14_2631
; %bb.2625:
	;; [unrolled: 3-line block ×4, first 2 shown]
	s_cmp_eq_u32 s0, 46
	s_mov_b32 s34, 0
	s_cbranch_scc0 .LBB14_2637
; %bb.2628:
	global_load_b32 v1, v[6:7], off
	s_mov_b32 s27, 0
	s_mov_b32 s31, -1
	s_wait_loadcnt 0x0
	v_and_b32_e32 v1, 0x7fff7fff, v1
	s_delay_alu instid0(VALU_DEP_1)
	v_cmp_ne_u32_e64 s26, 0, v1
	s_branch .LBB14_2639
.LBB14_2629:
	s_mov_b32 s0, -1
	s_mov_b32 s31, 0
                                        ; implicit-def: $sgpr26
	s_branch .LBB14_2687
.LBB14_2630:
	s_mov_b32 s34, -1
	s_mov_b32 s31, 0
	s_mov_b32 s27, 0
                                        ; implicit-def: $sgpr26
	s_branch .LBB14_2660
.LBB14_2631:
	s_mov_b32 s34, -1
	s_mov_b32 s31, 0
	s_mov_b32 s27, 0
                                        ; implicit-def: $sgpr26
	s_branch .LBB14_2647
.LBB14_2632:
	s_mov_b32 s34, -1
	s_mov_b32 s31, 0
	s_mov_b32 s27, 0
                                        ; implicit-def: $sgpr26
	s_branch .LBB14_2642
.LBB14_2633:
	s_mov_b32 s27, 0
	s_or_b32 s16, s16, exec_lo
	s_trap 2
	s_cbranch_execz .LBB14_2570
	s_branch .LBB14_2571
.LBB14_2634:
	s_mov_b32 s34, -1
	s_mov_b32 s31, 0
	s_mov_b32 s27, 0
	s_branch .LBB14_2638
.LBB14_2635:
	v_bfe_u32 v2, v3, 21, 1
	s_mov_b32 s42, exec_lo
	s_delay_alu instid0(VALU_DEP_1) | instskip(NEXT) | instid1(VALU_DEP_1)
	v_add3_u32 v2, v3, v2, 0x88fffff
                                        ; implicit-def: $vgpr3
	v_lshrrev_b32_e32 v2, 21, v2
	s_and_not1_saveexec_b32 s43, s43
	s_cbranch_execz .LBB14_1304
.LBB14_2636:
	v_add_f32_e32 v2, 0x42800000, v3
	s_and_not1_b32 s42, s42, exec_lo
	s_delay_alu instid0(VALU_DEP_1) | instskip(NEXT) | instid1(VALU_DEP_1)
	v_and_b32_e32 v2, 0xff, v2
	v_cmp_ne_u32_e32 vcc_lo, 0, v2
	s_and_b32 s44, vcc_lo, exec_lo
	s_delay_alu instid0(SALU_CYCLE_1)
	s_or_b32 s42, s42, s44
	s_or_b32 exec_lo, exec_lo, s43
	v_mov_b32_e32 v4, 0
	s_and_saveexec_b32 s43, s42
	s_cbranch_execnz .LBB14_1305
	s_branch .LBB14_1306
.LBB14_2637:
	s_mov_b32 s27, -1
	s_mov_b32 s31, 0
.LBB14_2638:
                                        ; implicit-def: $sgpr26
.LBB14_2639:
	s_and_b32 vcc_lo, exec_lo, s34
	s_cbranch_vccz .LBB14_2641
; %bb.2640:
	s_cmp_lg_u32 s0, 44
	s_mov_b32 s31, -1
	s_cselect_b32 s27, -1, 0
	s_or_b32 s26, s26, exec_lo
.LBB14_2641:
	s_mov_b32 s34, 0
.LBB14_2642:
	s_delay_alu instid0(SALU_CYCLE_1)
	s_and_b32 vcc_lo, exec_lo, s34
	s_cbranch_vccz .LBB14_2646
; %bb.2643:
	s_cmp_eq_u32 s0, 29
	s_cbranch_scc0 .LBB14_2645
; %bb.2644:
	global_load_b64 v[10:11], v[6:7], off
	s_mov_b32 s27, 0
	s_mov_b32 s31, -1
	s_mov_b32 s34, 0
	s_wait_loadcnt 0x0
	v_cmp_ne_u64_e64 s26, 0, v[10:11]
	s_branch .LBB14_2647
.LBB14_2645:
	s_mov_b32 s27, -1
                                        ; implicit-def: $sgpr26
.LBB14_2646:
	s_mov_b32 s34, 0
.LBB14_2647:
	s_delay_alu instid0(SALU_CYCLE_1)
	s_and_b32 vcc_lo, exec_lo, s34
	s_cbranch_vccz .LBB14_2659
; %bb.2648:
	s_cmp_lt_i32 s0, 27
	s_cbranch_scc1 .LBB14_2651
; %bb.2649:
	s_cmp_gt_i32 s0, 27
	s_cbranch_scc0 .LBB14_2652
; %bb.2650:
	global_load_b32 v1, v[6:7], off
	s_mov_b32 s31, 0
	s_wait_loadcnt 0x0
	v_cmp_ne_u32_e64 s26, 0, v1
	s_branch .LBB14_2653
.LBB14_2651:
	s_mov_b32 s31, -1
                                        ; implicit-def: $sgpr26
	s_branch .LBB14_2656
.LBB14_2652:
	s_mov_b32 s31, -1
                                        ; implicit-def: $sgpr26
.LBB14_2653:
	s_delay_alu instid0(SALU_CYCLE_1)
	s_and_not1_b32 vcc_lo, exec_lo, s31
	s_cbranch_vccnz .LBB14_2655
; %bb.2654:
	global_load_u16 v1, v[6:7], off
	s_and_not1_b32 s26, s26, exec_lo
	s_wait_loadcnt 0x0
	v_cmp_ne_u16_e32 vcc_lo, 0, v1
	s_and_b32 s31, vcc_lo, exec_lo
	s_delay_alu instid0(SALU_CYCLE_1)
	s_or_b32 s26, s26, s31
.LBB14_2655:
	s_mov_b32 s31, 0
.LBB14_2656:
	s_delay_alu instid0(SALU_CYCLE_1)
	s_and_not1_b32 vcc_lo, exec_lo, s31
	s_cbranch_vccnz .LBB14_2658
; %bb.2657:
	global_load_u8 v1, v[6:7], off
	s_and_not1_b32 s26, s26, exec_lo
	s_wait_loadcnt 0x0
	v_cmp_ne_u16_e32 vcc_lo, 0, v1
	s_and_b32 s31, vcc_lo, exec_lo
	s_delay_alu instid0(SALU_CYCLE_1)
	s_or_b32 s26, s26, s31
.LBB14_2658:
	s_mov_b32 s31, -1
.LBB14_2659:
	s_mov_b32 s34, 0
.LBB14_2660:
	s_delay_alu instid0(SALU_CYCLE_1)
	s_and_b32 vcc_lo, exec_lo, s34
	s_cbranch_vccz .LBB14_2683
; %bb.2661:
	s_cmp_gt_i32 s0, 22
	s_cbranch_scc0 .LBB14_2665
; %bb.2662:
	s_cmp_lt_i32 s0, 24
	s_cbranch_scc1 .LBB14_2666
; %bb.2663:
	s_cmp_gt_i32 s0, 24
	s_cbranch_scc0 .LBB14_2667
; %bb.2664:
	global_load_u8 v1, v[6:7], off
	s_mov_b32 s31, 0
	s_wait_loadcnt 0x0
	v_cmp_ne_u16_e64 s26, 0, v1
	s_branch .LBB14_2668
.LBB14_2665:
	s_mov_b32 s33, -1
                                        ; implicit-def: $sgpr26
	s_branch .LBB14_2674
.LBB14_2666:
	s_mov_b32 s31, -1
                                        ; implicit-def: $sgpr26
	s_branch .LBB14_2671
.LBB14_2667:
	s_mov_b32 s31, -1
                                        ; implicit-def: $sgpr26
.LBB14_2668:
	s_delay_alu instid0(SALU_CYCLE_1)
	s_and_not1_b32 vcc_lo, exec_lo, s31
	s_cbranch_vccnz .LBB14_2670
; %bb.2669:
	global_load_u8 v1, v[6:7], off
	s_and_not1_b32 s26, s26, exec_lo
	s_wait_loadcnt 0x0
	v_and_b32_e32 v1, 0x7f, v1
	s_delay_alu instid0(VALU_DEP_1) | instskip(SKIP_1) | instid1(SALU_CYCLE_1)
	v_cmp_ne_u16_e32 vcc_lo, 0, v1
	s_and_b32 s31, vcc_lo, exec_lo
	s_or_b32 s26, s26, s31
.LBB14_2670:
	s_mov_b32 s31, 0
.LBB14_2671:
	s_delay_alu instid0(SALU_CYCLE_1)
	s_and_not1_b32 vcc_lo, exec_lo, s31
	s_cbranch_vccnz .LBB14_2673
; %bb.2672:
	global_load_u8 v1, v[6:7], off
	s_and_not1_b32 s26, s26, exec_lo
	s_wait_loadcnt 0x0
	v_dual_lshlrev_b32 v3, 25, v1 :: v_dual_lshlrev_b32 v1, 8, v1
	s_delay_alu instid0(VALU_DEP_1) | instskip(NEXT) | instid1(VALU_DEP_2)
	v_cmp_gt_u32_e32 vcc_lo, 0x8000000, v3
	v_and_or_b32 v1, 0x7f00, v1, 0.5
	s_delay_alu instid0(VALU_DEP_1) | instskip(NEXT) | instid1(VALU_DEP_1)
	v_dual_lshrrev_b32 v5, 4, v3 :: v_dual_add_f32 v1, -0.5, v1
	v_or_b32_e32 v5, 0x70000000, v5
	s_delay_alu instid0(VALU_DEP_1) | instskip(NEXT) | instid1(VALU_DEP_1)
	v_mul_f32_e32 v5, 0x7800000, v5
	v_cndmask_b32_e32 v1, v5, v1, vcc_lo
	s_delay_alu instid0(VALU_DEP_1) | instskip(SKIP_1) | instid1(SALU_CYCLE_1)
	v_cmp_neq_f32_e32 vcc_lo, 0, v1
	s_and_b32 s31, vcc_lo, exec_lo
	s_or_b32 s26, s26, s31
.LBB14_2673:
	s_mov_b32 s31, -1
.LBB14_2674:
	s_and_not1_b32 vcc_lo, exec_lo, s33
	s_mov_b32 s33, 0
	s_cbranch_vccnz .LBB14_2683
; %bb.2675:
	s_cmp_gt_i32 s0, 14
	s_cbranch_scc0 .LBB14_2678
; %bb.2676:
	s_cmp_eq_u32 s0, 15
	s_cbranch_scc0 .LBB14_2679
; %bb.2677:
	global_load_u16 v1, v[6:7], off
	s_mov_b32 s27, 0
	s_mov_b32 s31, -1
	s_wait_loadcnt 0x0
	v_and_b32_e32 v1, 0x7fff, v1
	s_delay_alu instid0(VALU_DEP_1)
	v_cmp_ne_u16_e64 s26, 0, v1
	s_branch .LBB14_2681
.LBB14_2678:
	s_mov_b32 s33, -1
	s_branch .LBB14_2680
.LBB14_2679:
	s_mov_b32 s27, -1
.LBB14_2680:
                                        ; implicit-def: $sgpr26
.LBB14_2681:
	s_and_b32 vcc_lo, exec_lo, s33
	s_mov_b32 s33, 0
	s_cbranch_vccz .LBB14_2683
; %bb.2682:
	s_cmp_lg_u32 s0, 11
	s_mov_b32 s33, -1
	s_cselect_b32 s27, -1, 0
.LBB14_2683:
	s_delay_alu instid0(SALU_CYCLE_1)
	s_and_b32 vcc_lo, exec_lo, s27
	s_cbranch_vccnz .LBB14_2748
; %bb.2684:
	s_and_not1_b32 vcc_lo, exec_lo, s33
	s_cbranch_vccnz .LBB14_2686
.LBB14_2685:
	global_load_u8 v1, v[6:7], off
	s_and_not1_b32 s0, s26, exec_lo
	s_mov_b32 s31, -1
	s_wait_loadcnt 0x0
	v_cmp_ne_u16_e32 vcc_lo, 0, v1
	s_and_b32 s26, vcc_lo, exec_lo
	s_delay_alu instid0(SALU_CYCLE_1)
	s_or_b32 s26, s0, s26
.LBB14_2686:
	s_mov_b32 s0, 0
.LBB14_2687:
	s_delay_alu instid0(SALU_CYCLE_1)
	s_and_b32 vcc_lo, exec_lo, s0
	s_cbranch_vccz .LBB14_2736
; %bb.2688:
	s_and_b32 s27, 0xffff, s23
	s_delay_alu instid0(SALU_CYCLE_1)
	s_cmp_lt_i32 s27, 5
	s_cbranch_scc1 .LBB14_2693
; %bb.2689:
	s_cmp_lt_i32 s27, 8
	s_cbranch_scc1 .LBB14_2694
; %bb.2690:
	;; [unrolled: 3-line block ×3, first 2 shown]
	s_cmp_gt_i32 s27, 9
	s_cbranch_scc0 .LBB14_2696
; %bb.2692:
	global_load_b128 v[10:13], v[6:7], off
	s_wait_loadcnt 0x0
	v_cmp_neq_f64_e32 vcc_lo, 0, v[10:11]
	v_cmp_neq_f64_e64 s0, 0, v[12:13]
	s_or_b32 s26, vcc_lo, s0
	s_mov_b32 s0, 0
	s_branch .LBB14_2697
.LBB14_2693:
	s_mov_b32 s0, -1
                                        ; implicit-def: $sgpr26
	s_branch .LBB14_2715
.LBB14_2694:
	s_mov_b32 s0, -1
                                        ; implicit-def: $sgpr26
	s_branch .LBB14_2703
.LBB14_2695:
	s_mov_b32 s0, -1
                                        ; implicit-def: $sgpr26
	s_branch .LBB14_2700
.LBB14_2696:
	s_mov_b32 s0, -1
                                        ; implicit-def: $sgpr26
.LBB14_2697:
	s_delay_alu instid0(SALU_CYCLE_1)
	s_and_not1_b32 vcc_lo, exec_lo, s0
	s_cbranch_vccnz .LBB14_2699
; %bb.2698:
	global_load_b64 v[10:11], v[6:7], off
	s_and_not1_b32 s0, s26, exec_lo
	s_wait_loadcnt 0x0
	v_bitop3_b32 v1, v10, 0x7fffffff, v11 bitop3:0xc8
	s_delay_alu instid0(VALU_DEP_1) | instskip(SKIP_1) | instid1(SALU_CYCLE_1)
	v_cmp_ne_u32_e32 vcc_lo, 0, v1
	s_and_b32 s26, vcc_lo, exec_lo
	s_or_b32 s26, s0, s26
.LBB14_2699:
	s_mov_b32 s0, 0
.LBB14_2700:
	s_delay_alu instid0(SALU_CYCLE_1)
	s_and_not1_b32 vcc_lo, exec_lo, s0
	s_cbranch_vccnz .LBB14_2702
; %bb.2701:
	global_load_b32 v1, v[6:7], off
	s_and_not1_b32 s0, s26, exec_lo
	s_wait_loadcnt 0x0
	v_and_b32_e32 v1, 0x7fff7fff, v1
	s_delay_alu instid0(VALU_DEP_1) | instskip(SKIP_1) | instid1(SALU_CYCLE_1)
	v_cmp_ne_u32_e32 vcc_lo, 0, v1
	s_and_b32 s26, vcc_lo, exec_lo
	s_or_b32 s26, s0, s26
.LBB14_2702:
	s_mov_b32 s0, 0
.LBB14_2703:
	s_delay_alu instid0(SALU_CYCLE_1)
	s_and_not1_b32 vcc_lo, exec_lo, s0
	s_cbranch_vccnz .LBB14_2714
; %bb.2704:
	s_cmp_lt_i32 s27, 6
	s_cbranch_scc1 .LBB14_2707
; %bb.2705:
	s_cmp_gt_i32 s27, 6
	s_cbranch_scc0 .LBB14_2708
; %bb.2706:
	global_load_b64 v[10:11], v[6:7], off
	s_mov_b32 s0, 0
	s_wait_loadcnt 0x0
	v_cmp_neq_f64_e64 s26, 0, v[10:11]
	s_branch .LBB14_2709
.LBB14_2707:
	s_mov_b32 s0, -1
                                        ; implicit-def: $sgpr26
	s_branch .LBB14_2712
.LBB14_2708:
	s_mov_b32 s0, -1
                                        ; implicit-def: $sgpr26
.LBB14_2709:
	s_delay_alu instid0(SALU_CYCLE_1)
	s_and_not1_b32 vcc_lo, exec_lo, s0
	s_cbranch_vccnz .LBB14_2711
; %bb.2710:
	global_load_b32 v1, v[6:7], off
	s_and_not1_b32 s0, s26, exec_lo
	s_wait_loadcnt 0x0
	v_cmp_neq_f32_e32 vcc_lo, 0, v1
	s_and_b32 s26, vcc_lo, exec_lo
	s_delay_alu instid0(SALU_CYCLE_1)
	s_or_b32 s26, s0, s26
.LBB14_2711:
	s_mov_b32 s0, 0
.LBB14_2712:
	s_delay_alu instid0(SALU_CYCLE_1)
	s_and_not1_b32 vcc_lo, exec_lo, s0
	s_cbranch_vccnz .LBB14_2714
; %bb.2713:
	global_load_u16 v1, v[6:7], off
	s_and_not1_b32 s0, s26, exec_lo
	s_wait_loadcnt 0x0
	v_and_b32_e32 v1, 0x7fff, v1
	s_delay_alu instid0(VALU_DEP_1) | instskip(SKIP_1) | instid1(SALU_CYCLE_1)
	v_cmp_ne_u16_e32 vcc_lo, 0, v1
	s_and_b32 s26, vcc_lo, exec_lo
	s_or_b32 s26, s0, s26
.LBB14_2714:
	s_mov_b32 s0, 0
.LBB14_2715:
	s_delay_alu instid0(SALU_CYCLE_1)
	s_and_not1_b32 vcc_lo, exec_lo, s0
	s_cbranch_vccnz .LBB14_2735
; %bb.2716:
	s_cmp_lt_i32 s27, 2
	s_cbranch_scc1 .LBB14_2720
; %bb.2717:
	s_cmp_lt_i32 s27, 3
	s_cbranch_scc1 .LBB14_2721
; %bb.2718:
	s_cmp_gt_i32 s27, 3
	s_cbranch_scc0 .LBB14_2722
; %bb.2719:
	global_load_b64 v[10:11], v[6:7], off
	s_mov_b32 s0, 0
	s_wait_loadcnt 0x0
	v_cmp_ne_u64_e64 s26, 0, v[10:11]
	s_branch .LBB14_2723
.LBB14_2720:
	s_mov_b32 s0, -1
                                        ; implicit-def: $sgpr26
	s_branch .LBB14_2729
.LBB14_2721:
	s_mov_b32 s0, -1
                                        ; implicit-def: $sgpr26
	s_branch .LBB14_2726
.LBB14_2722:
	s_mov_b32 s0, -1
                                        ; implicit-def: $sgpr26
.LBB14_2723:
	s_delay_alu instid0(SALU_CYCLE_1)
	s_and_not1_b32 vcc_lo, exec_lo, s0
	s_cbranch_vccnz .LBB14_2725
; %bb.2724:
	global_load_b32 v1, v[6:7], off
	s_and_not1_b32 s0, s26, exec_lo
	s_wait_loadcnt 0x0
	v_cmp_ne_u32_e32 vcc_lo, 0, v1
	s_and_b32 s26, vcc_lo, exec_lo
	s_delay_alu instid0(SALU_CYCLE_1)
	s_or_b32 s26, s0, s26
.LBB14_2725:
	s_mov_b32 s0, 0
.LBB14_2726:
	s_delay_alu instid0(SALU_CYCLE_1)
	s_and_not1_b32 vcc_lo, exec_lo, s0
	s_cbranch_vccnz .LBB14_2728
; %bb.2727:
	global_load_u16 v1, v[6:7], off
	s_and_not1_b32 s0, s26, exec_lo
	s_wait_loadcnt 0x0
	v_cmp_ne_u16_e32 vcc_lo, 0, v1
	s_and_b32 s26, vcc_lo, exec_lo
	s_delay_alu instid0(SALU_CYCLE_1)
	s_or_b32 s26, s0, s26
.LBB14_2728:
	s_mov_b32 s0, 0
.LBB14_2729:
	s_delay_alu instid0(SALU_CYCLE_1)
	s_and_not1_b32 vcc_lo, exec_lo, s0
	s_cbranch_vccnz .LBB14_2735
; %bb.2730:
	s_cmp_gt_i32 s27, 0
	s_mov_b32 s0, 0
	s_cbranch_scc0 .LBB14_2732
; %bb.2731:
	global_load_u8 v1, v[6:7], off
	s_wait_loadcnt 0x0
	v_cmp_ne_u16_e64 s26, 0, v1
	s_branch .LBB14_2733
.LBB14_2732:
	s_mov_b32 s0, -1
                                        ; implicit-def: $sgpr26
.LBB14_2733:
	s_delay_alu instid0(SALU_CYCLE_1)
	s_and_not1_b32 vcc_lo, exec_lo, s0
	s_cbranch_vccnz .LBB14_2735
; %bb.2734:
	global_load_u8 v1, v[6:7], off
	s_and_not1_b32 s0, s26, exec_lo
	s_wait_loadcnt 0x0
	v_cmp_ne_u16_e32 vcc_lo, 0, v1
	s_and_b32 s26, vcc_lo, exec_lo
	s_delay_alu instid0(SALU_CYCLE_1)
	s_or_b32 s26, s0, s26
.LBB14_2735:
	s_mov_b32 s31, -1
.LBB14_2736:
	s_delay_alu instid0(SALU_CYCLE_1)
	s_and_not1_b32 vcc_lo, exec_lo, s31
	s_cbranch_vccnz .LBB14_3622
; %bb.2737:
	v_add_nc_u32_e32 v4, s30, v4
	s_cmp_lt_i32 s24, 11
	s_delay_alu instid0(VALU_DEP_1) | instskip(SKIP_1) | instid1(VALU_DEP_1)
	v_ashrrev_i32_e32 v5, 31, v4
	s_wait_xcnt 0x0
	v_add_nc_u64_e32 v[6:7], s[10:11], v[4:5]
	s_cbranch_scc1 .LBB14_2744
; %bb.2738:
	s_and_b32 s0, 0xffff, s24
	s_mov_b32 s34, 0
	s_cmp_gt_i32 s0, 25
	s_cbranch_scc0 .LBB14_2745
; %bb.2739:
	s_cmp_gt_i32 s0, 28
	s_cbranch_scc0 .LBB14_2746
; %bb.2740:
	;; [unrolled: 3-line block ×4, first 2 shown]
	s_cmp_eq_u32 s0, 46
	s_mov_b32 s35, 0
	s_cbranch_scc0 .LBB14_2750
; %bb.2743:
	global_load_b32 v1, v[6:7], off
	s_mov_b32 s31, 0
	s_mov_b32 s33, -1
	s_wait_loadcnt 0x0
	v_and_b32_e32 v1, 0x7fff7fff, v1
	s_delay_alu instid0(VALU_DEP_1)
	v_cmp_ne_u32_e64 s27, 0, v1
	s_branch .LBB14_2752
.LBB14_2744:
	s_mov_b32 s0, -1
	s_mov_b32 s33, 0
                                        ; implicit-def: $sgpr27
	s_branch .LBB14_2800
.LBB14_2745:
	s_mov_b32 s35, -1
	s_mov_b32 s33, 0
	s_mov_b32 s31, 0
                                        ; implicit-def: $sgpr27
	s_branch .LBB14_2773
.LBB14_2746:
	s_mov_b32 s35, -1
	s_mov_b32 s33, 0
	s_mov_b32 s31, 0
                                        ; implicit-def: $sgpr27
	s_branch .LBB14_2760
.LBB14_2747:
	s_mov_b32 s35, -1
	s_mov_b32 s33, 0
	s_mov_b32 s31, 0
                                        ; implicit-def: $sgpr27
	s_branch .LBB14_2755
.LBB14_2748:
	s_mov_b32 s31, 0
	s_or_b32 s16, s16, exec_lo
	s_trap 2
	s_cbranch_execz .LBB14_2685
	s_branch .LBB14_2686
.LBB14_2749:
	s_mov_b32 s35, -1
	s_mov_b32 s33, 0
	s_mov_b32 s31, 0
	s_branch .LBB14_2751
.LBB14_2750:
	s_mov_b32 s31, -1
	s_mov_b32 s33, 0
.LBB14_2751:
                                        ; implicit-def: $sgpr27
.LBB14_2752:
	s_and_b32 vcc_lo, exec_lo, s35
	s_cbranch_vccz .LBB14_2754
; %bb.2753:
	s_cmp_lg_u32 s0, 44
	s_mov_b32 s33, -1
	s_cselect_b32 s31, -1, 0
	s_or_b32 s27, s27, exec_lo
.LBB14_2754:
	s_mov_b32 s35, 0
.LBB14_2755:
	s_delay_alu instid0(SALU_CYCLE_1)
	s_and_b32 vcc_lo, exec_lo, s35
	s_cbranch_vccz .LBB14_2759
; %bb.2756:
	s_cmp_eq_u32 s0, 29
	s_cbranch_scc0 .LBB14_2758
; %bb.2757:
	global_load_b64 v[10:11], v[6:7], off
	s_mov_b32 s31, 0
	s_mov_b32 s33, -1
	s_mov_b32 s35, 0
	s_wait_loadcnt 0x0
	v_cmp_ne_u64_e64 s27, 0, v[10:11]
	s_branch .LBB14_2760
.LBB14_2758:
	s_mov_b32 s31, -1
                                        ; implicit-def: $sgpr27
.LBB14_2759:
	s_mov_b32 s35, 0
.LBB14_2760:
	s_delay_alu instid0(SALU_CYCLE_1)
	s_and_b32 vcc_lo, exec_lo, s35
	s_cbranch_vccz .LBB14_2772
; %bb.2761:
	s_cmp_lt_i32 s0, 27
	s_cbranch_scc1 .LBB14_2764
; %bb.2762:
	s_cmp_gt_i32 s0, 27
	s_cbranch_scc0 .LBB14_2765
; %bb.2763:
	global_load_b32 v1, v[6:7], off
	s_mov_b32 s33, 0
	s_wait_loadcnt 0x0
	v_cmp_ne_u32_e64 s27, 0, v1
	s_branch .LBB14_2766
.LBB14_2764:
	s_mov_b32 s33, -1
                                        ; implicit-def: $sgpr27
	s_branch .LBB14_2769
.LBB14_2765:
	s_mov_b32 s33, -1
                                        ; implicit-def: $sgpr27
.LBB14_2766:
	s_delay_alu instid0(SALU_CYCLE_1)
	s_and_not1_b32 vcc_lo, exec_lo, s33
	s_cbranch_vccnz .LBB14_2768
; %bb.2767:
	global_load_u16 v1, v[6:7], off
	s_and_not1_b32 s27, s27, exec_lo
	s_wait_loadcnt 0x0
	v_cmp_ne_u16_e32 vcc_lo, 0, v1
	s_and_b32 s33, vcc_lo, exec_lo
	s_delay_alu instid0(SALU_CYCLE_1)
	s_or_b32 s27, s27, s33
.LBB14_2768:
	s_mov_b32 s33, 0
.LBB14_2769:
	s_delay_alu instid0(SALU_CYCLE_1)
	s_and_not1_b32 vcc_lo, exec_lo, s33
	s_cbranch_vccnz .LBB14_2771
; %bb.2770:
	global_load_u8 v1, v[6:7], off
	s_and_not1_b32 s27, s27, exec_lo
	s_wait_loadcnt 0x0
	v_cmp_ne_u16_e32 vcc_lo, 0, v1
	s_and_b32 s33, vcc_lo, exec_lo
	s_delay_alu instid0(SALU_CYCLE_1)
	s_or_b32 s27, s27, s33
.LBB14_2771:
	s_mov_b32 s33, -1
.LBB14_2772:
	s_mov_b32 s35, 0
.LBB14_2773:
	s_delay_alu instid0(SALU_CYCLE_1)
	s_and_b32 vcc_lo, exec_lo, s35
	s_cbranch_vccz .LBB14_2796
; %bb.2774:
	s_cmp_gt_i32 s0, 22
	s_cbranch_scc0 .LBB14_2778
; %bb.2775:
	s_cmp_lt_i32 s0, 24
	s_cbranch_scc1 .LBB14_2779
; %bb.2776:
	s_cmp_gt_i32 s0, 24
	s_cbranch_scc0 .LBB14_2780
; %bb.2777:
	global_load_u8 v1, v[6:7], off
	s_mov_b32 s33, 0
	s_wait_loadcnt 0x0
	v_cmp_ne_u16_e64 s27, 0, v1
	s_branch .LBB14_2781
.LBB14_2778:
	s_mov_b32 s34, -1
                                        ; implicit-def: $sgpr27
	s_branch .LBB14_2787
.LBB14_2779:
	s_mov_b32 s33, -1
                                        ; implicit-def: $sgpr27
	s_branch .LBB14_2784
.LBB14_2780:
	s_mov_b32 s33, -1
                                        ; implicit-def: $sgpr27
.LBB14_2781:
	s_delay_alu instid0(SALU_CYCLE_1)
	s_and_not1_b32 vcc_lo, exec_lo, s33
	s_cbranch_vccnz .LBB14_2783
; %bb.2782:
	global_load_u8 v1, v[6:7], off
	s_and_not1_b32 s27, s27, exec_lo
	s_wait_loadcnt 0x0
	v_and_b32_e32 v1, 0x7f, v1
	s_delay_alu instid0(VALU_DEP_1) | instskip(SKIP_1) | instid1(SALU_CYCLE_1)
	v_cmp_ne_u16_e32 vcc_lo, 0, v1
	s_and_b32 s33, vcc_lo, exec_lo
	s_or_b32 s27, s27, s33
.LBB14_2783:
	s_mov_b32 s33, 0
.LBB14_2784:
	s_delay_alu instid0(SALU_CYCLE_1)
	s_and_not1_b32 vcc_lo, exec_lo, s33
	s_cbranch_vccnz .LBB14_2786
; %bb.2785:
	global_load_u8 v1, v[6:7], off
	s_and_not1_b32 s27, s27, exec_lo
	s_wait_loadcnt 0x0
	v_dual_lshlrev_b32 v3, 25, v1 :: v_dual_lshlrev_b32 v1, 8, v1
	s_delay_alu instid0(VALU_DEP_1) | instskip(NEXT) | instid1(VALU_DEP_2)
	v_cmp_gt_u32_e32 vcc_lo, 0x8000000, v3
	v_and_or_b32 v1, 0x7f00, v1, 0.5
	s_delay_alu instid0(VALU_DEP_1) | instskip(NEXT) | instid1(VALU_DEP_1)
	v_dual_lshrrev_b32 v5, 4, v3 :: v_dual_add_f32 v1, -0.5, v1
	v_or_b32_e32 v5, 0x70000000, v5
	s_delay_alu instid0(VALU_DEP_1) | instskip(NEXT) | instid1(VALU_DEP_1)
	v_mul_f32_e32 v5, 0x7800000, v5
	v_cndmask_b32_e32 v1, v5, v1, vcc_lo
	s_delay_alu instid0(VALU_DEP_1) | instskip(SKIP_1) | instid1(SALU_CYCLE_1)
	v_cmp_neq_f32_e32 vcc_lo, 0, v1
	s_and_b32 s33, vcc_lo, exec_lo
	s_or_b32 s27, s27, s33
.LBB14_2786:
	s_mov_b32 s33, -1
.LBB14_2787:
	s_and_not1_b32 vcc_lo, exec_lo, s34
	s_mov_b32 s34, 0
	s_cbranch_vccnz .LBB14_2796
; %bb.2788:
	s_cmp_gt_i32 s0, 14
	s_cbranch_scc0 .LBB14_2791
; %bb.2789:
	s_cmp_eq_u32 s0, 15
	s_cbranch_scc0 .LBB14_2792
; %bb.2790:
	global_load_u16 v1, v[6:7], off
	s_mov_b32 s31, 0
	s_mov_b32 s33, -1
	s_wait_loadcnt 0x0
	v_and_b32_e32 v1, 0x7fff, v1
	s_delay_alu instid0(VALU_DEP_1)
	v_cmp_ne_u16_e64 s27, 0, v1
	s_branch .LBB14_2794
.LBB14_2791:
	s_mov_b32 s34, -1
	s_branch .LBB14_2793
.LBB14_2792:
	s_mov_b32 s31, -1
.LBB14_2793:
                                        ; implicit-def: $sgpr27
.LBB14_2794:
	s_and_b32 vcc_lo, exec_lo, s34
	s_mov_b32 s34, 0
	s_cbranch_vccz .LBB14_2796
; %bb.2795:
	s_cmp_lg_u32 s0, 11
	s_mov_b32 s34, -1
	s_cselect_b32 s31, -1, 0
.LBB14_2796:
	s_delay_alu instid0(SALU_CYCLE_1)
	s_and_b32 vcc_lo, exec_lo, s31
	s_cbranch_vccnz .LBB14_2861
; %bb.2797:
	s_and_not1_b32 vcc_lo, exec_lo, s34
	s_cbranch_vccnz .LBB14_2799
.LBB14_2798:
	global_load_u8 v1, v[6:7], off
	s_and_not1_b32 s0, s27, exec_lo
	s_mov_b32 s33, -1
	s_wait_loadcnt 0x0
	v_cmp_ne_u16_e32 vcc_lo, 0, v1
	s_and_b32 s27, vcc_lo, exec_lo
	s_delay_alu instid0(SALU_CYCLE_1)
	s_or_b32 s27, s0, s27
.LBB14_2799:
	s_mov_b32 s0, 0
.LBB14_2800:
	s_delay_alu instid0(SALU_CYCLE_1)
	s_and_b32 vcc_lo, exec_lo, s0
	s_cbranch_vccz .LBB14_2849
; %bb.2801:
	s_and_b32 s31, 0xffff, s24
	s_delay_alu instid0(SALU_CYCLE_1)
	s_cmp_lt_i32 s31, 5
	s_cbranch_scc1 .LBB14_2806
; %bb.2802:
	s_cmp_lt_i32 s31, 8
	s_cbranch_scc1 .LBB14_2807
; %bb.2803:
	;; [unrolled: 3-line block ×3, first 2 shown]
	s_cmp_gt_i32 s31, 9
	s_cbranch_scc0 .LBB14_2809
; %bb.2805:
	global_load_b128 v[10:13], v[6:7], off
	s_wait_loadcnt 0x0
	v_cmp_neq_f64_e32 vcc_lo, 0, v[10:11]
	v_cmp_neq_f64_e64 s0, 0, v[12:13]
	s_or_b32 s27, vcc_lo, s0
	s_mov_b32 s0, 0
	s_branch .LBB14_2810
.LBB14_2806:
	s_mov_b32 s0, -1
                                        ; implicit-def: $sgpr27
	s_branch .LBB14_2828
.LBB14_2807:
	s_mov_b32 s0, -1
                                        ; implicit-def: $sgpr27
	s_branch .LBB14_2816
.LBB14_2808:
	s_mov_b32 s0, -1
                                        ; implicit-def: $sgpr27
	s_branch .LBB14_2813
.LBB14_2809:
	s_mov_b32 s0, -1
                                        ; implicit-def: $sgpr27
.LBB14_2810:
	s_delay_alu instid0(SALU_CYCLE_1)
	s_and_not1_b32 vcc_lo, exec_lo, s0
	s_cbranch_vccnz .LBB14_2812
; %bb.2811:
	global_load_b64 v[10:11], v[6:7], off
	s_and_not1_b32 s0, s27, exec_lo
	s_wait_loadcnt 0x0
	v_bitop3_b32 v1, v10, 0x7fffffff, v11 bitop3:0xc8
	s_delay_alu instid0(VALU_DEP_1) | instskip(SKIP_1) | instid1(SALU_CYCLE_1)
	v_cmp_ne_u32_e32 vcc_lo, 0, v1
	s_and_b32 s27, vcc_lo, exec_lo
	s_or_b32 s27, s0, s27
.LBB14_2812:
	s_mov_b32 s0, 0
.LBB14_2813:
	s_delay_alu instid0(SALU_CYCLE_1)
	s_and_not1_b32 vcc_lo, exec_lo, s0
	s_cbranch_vccnz .LBB14_2815
; %bb.2814:
	global_load_b32 v1, v[6:7], off
	s_and_not1_b32 s0, s27, exec_lo
	s_wait_loadcnt 0x0
	v_and_b32_e32 v1, 0x7fff7fff, v1
	s_delay_alu instid0(VALU_DEP_1) | instskip(SKIP_1) | instid1(SALU_CYCLE_1)
	v_cmp_ne_u32_e32 vcc_lo, 0, v1
	s_and_b32 s27, vcc_lo, exec_lo
	s_or_b32 s27, s0, s27
.LBB14_2815:
	s_mov_b32 s0, 0
.LBB14_2816:
	s_delay_alu instid0(SALU_CYCLE_1)
	s_and_not1_b32 vcc_lo, exec_lo, s0
	s_cbranch_vccnz .LBB14_2827
; %bb.2817:
	s_cmp_lt_i32 s31, 6
	s_cbranch_scc1 .LBB14_2820
; %bb.2818:
	s_cmp_gt_i32 s31, 6
	s_cbranch_scc0 .LBB14_2821
; %bb.2819:
	global_load_b64 v[10:11], v[6:7], off
	s_mov_b32 s0, 0
	s_wait_loadcnt 0x0
	v_cmp_neq_f64_e64 s27, 0, v[10:11]
	s_branch .LBB14_2822
.LBB14_2820:
	s_mov_b32 s0, -1
                                        ; implicit-def: $sgpr27
	s_branch .LBB14_2825
.LBB14_2821:
	s_mov_b32 s0, -1
                                        ; implicit-def: $sgpr27
.LBB14_2822:
	s_delay_alu instid0(SALU_CYCLE_1)
	s_and_not1_b32 vcc_lo, exec_lo, s0
	s_cbranch_vccnz .LBB14_2824
; %bb.2823:
	global_load_b32 v1, v[6:7], off
	s_and_not1_b32 s0, s27, exec_lo
	s_wait_loadcnt 0x0
	v_cmp_neq_f32_e32 vcc_lo, 0, v1
	s_and_b32 s27, vcc_lo, exec_lo
	s_delay_alu instid0(SALU_CYCLE_1)
	s_or_b32 s27, s0, s27
.LBB14_2824:
	s_mov_b32 s0, 0
.LBB14_2825:
	s_delay_alu instid0(SALU_CYCLE_1)
	s_and_not1_b32 vcc_lo, exec_lo, s0
	s_cbranch_vccnz .LBB14_2827
; %bb.2826:
	global_load_u16 v1, v[6:7], off
	s_and_not1_b32 s0, s27, exec_lo
	s_wait_loadcnt 0x0
	v_and_b32_e32 v1, 0x7fff, v1
	s_delay_alu instid0(VALU_DEP_1) | instskip(SKIP_1) | instid1(SALU_CYCLE_1)
	v_cmp_ne_u16_e32 vcc_lo, 0, v1
	s_and_b32 s27, vcc_lo, exec_lo
	s_or_b32 s27, s0, s27
.LBB14_2827:
	s_mov_b32 s0, 0
.LBB14_2828:
	s_delay_alu instid0(SALU_CYCLE_1)
	s_and_not1_b32 vcc_lo, exec_lo, s0
	s_cbranch_vccnz .LBB14_2848
; %bb.2829:
	s_cmp_lt_i32 s31, 2
	s_cbranch_scc1 .LBB14_2833
; %bb.2830:
	s_cmp_lt_i32 s31, 3
	s_cbranch_scc1 .LBB14_2834
; %bb.2831:
	s_cmp_gt_i32 s31, 3
	s_cbranch_scc0 .LBB14_2835
; %bb.2832:
	global_load_b64 v[10:11], v[6:7], off
	s_mov_b32 s0, 0
	s_wait_loadcnt 0x0
	v_cmp_ne_u64_e64 s27, 0, v[10:11]
	s_branch .LBB14_2836
.LBB14_2833:
	s_mov_b32 s0, -1
                                        ; implicit-def: $sgpr27
	s_branch .LBB14_2842
.LBB14_2834:
	s_mov_b32 s0, -1
                                        ; implicit-def: $sgpr27
	s_branch .LBB14_2839
.LBB14_2835:
	s_mov_b32 s0, -1
                                        ; implicit-def: $sgpr27
.LBB14_2836:
	s_delay_alu instid0(SALU_CYCLE_1)
	s_and_not1_b32 vcc_lo, exec_lo, s0
	s_cbranch_vccnz .LBB14_2838
; %bb.2837:
	global_load_b32 v1, v[6:7], off
	s_and_not1_b32 s0, s27, exec_lo
	s_wait_loadcnt 0x0
	v_cmp_ne_u32_e32 vcc_lo, 0, v1
	s_and_b32 s27, vcc_lo, exec_lo
	s_delay_alu instid0(SALU_CYCLE_1)
	s_or_b32 s27, s0, s27
.LBB14_2838:
	s_mov_b32 s0, 0
.LBB14_2839:
	s_delay_alu instid0(SALU_CYCLE_1)
	s_and_not1_b32 vcc_lo, exec_lo, s0
	s_cbranch_vccnz .LBB14_2841
; %bb.2840:
	global_load_u16 v1, v[6:7], off
	s_and_not1_b32 s0, s27, exec_lo
	s_wait_loadcnt 0x0
	v_cmp_ne_u16_e32 vcc_lo, 0, v1
	s_and_b32 s27, vcc_lo, exec_lo
	s_delay_alu instid0(SALU_CYCLE_1)
	s_or_b32 s27, s0, s27
.LBB14_2841:
	s_mov_b32 s0, 0
.LBB14_2842:
	s_delay_alu instid0(SALU_CYCLE_1)
	s_and_not1_b32 vcc_lo, exec_lo, s0
	s_cbranch_vccnz .LBB14_2848
; %bb.2843:
	s_cmp_gt_i32 s31, 0
	s_mov_b32 s0, 0
	s_cbranch_scc0 .LBB14_2845
; %bb.2844:
	global_load_u8 v1, v[6:7], off
	s_wait_loadcnt 0x0
	v_cmp_ne_u16_e64 s27, 0, v1
	s_branch .LBB14_2846
.LBB14_2845:
	s_mov_b32 s0, -1
                                        ; implicit-def: $sgpr27
.LBB14_2846:
	s_delay_alu instid0(SALU_CYCLE_1)
	s_and_not1_b32 vcc_lo, exec_lo, s0
	s_cbranch_vccnz .LBB14_2848
; %bb.2847:
	global_load_u8 v1, v[6:7], off
	s_and_not1_b32 s0, s27, exec_lo
	s_wait_loadcnt 0x0
	v_cmp_ne_u16_e32 vcc_lo, 0, v1
	s_and_b32 s27, vcc_lo, exec_lo
	s_delay_alu instid0(SALU_CYCLE_1)
	s_or_b32 s27, s0, s27
.LBB14_2848:
	s_mov_b32 s33, -1
.LBB14_2849:
	s_delay_alu instid0(SALU_CYCLE_1)
	s_and_not1_b32 vcc_lo, exec_lo, s33
	s_cbranch_vccnz .LBB14_3622
; %bb.2850:
	v_add_nc_u32_e32 v0, s28, v0
	s_cmp_lt_i32 s22, 11
	s_delay_alu instid0(VALU_DEP_1) | instskip(NEXT) | instid1(VALU_DEP_1)
	v_ashrrev_i32_e32 v1, 31, v0
	v_add_nc_u64_e32 v[0:1], s[6:7], v[0:1]
	s_cbranch_scc1 .LBB14_2857
; %bb.2851:
	s_and_b32 s0, 0xffff, s22
	s_mov_b32 s31, 0
	s_cmp_gt_i32 s0, 25
	s_cbranch_scc0 .LBB14_2858
; %bb.2852:
	s_cmp_gt_i32 s0, 28
	s_cbranch_scc0 .LBB14_2859
; %bb.2853:
	;; [unrolled: 3-line block ×4, first 2 shown]
	s_cmp_eq_u32 s0, 46
	s_mov_b32 s33, 0
	s_cbranch_scc0 .LBB14_2863
; %bb.2856:
	global_load_b32 v3, v[0:1], off
	s_mov_b32 s7, 0
	s_mov_b32 s28, -1
	s_wait_loadcnt 0x0
	v_and_b32_e32 v3, 0x7fff7fff, v3
	s_delay_alu instid0(VALU_DEP_1)
	v_cmp_ne_u32_e64 s6, 0, v3
	s_branch .LBB14_2865
.LBB14_2857:
	s_mov_b32 s0, -1
	s_mov_b32 s28, 0
                                        ; implicit-def: $sgpr6
	s_branch .LBB14_2913
.LBB14_2858:
	s_mov_b32 s33, -1
	s_mov_b32 s28, 0
	s_mov_b32 s7, 0
                                        ; implicit-def: $sgpr6
	s_branch .LBB14_2886
.LBB14_2859:
	s_mov_b32 s33, -1
	s_mov_b32 s28, 0
	s_mov_b32 s7, 0
                                        ; implicit-def: $sgpr6
	s_branch .LBB14_2873
.LBB14_2860:
	s_mov_b32 s33, -1
	s_mov_b32 s28, 0
	s_mov_b32 s7, 0
                                        ; implicit-def: $sgpr6
	s_branch .LBB14_2868
.LBB14_2861:
	s_mov_b32 s33, 0
	s_or_b32 s16, s16, exec_lo
	s_trap 2
	s_cbranch_execz .LBB14_2798
	s_branch .LBB14_2799
.LBB14_2862:
	s_mov_b32 s33, -1
	s_mov_b32 s28, 0
	s_mov_b32 s7, 0
	s_branch .LBB14_2864
.LBB14_2863:
	s_mov_b32 s7, -1
	s_mov_b32 s28, 0
.LBB14_2864:
                                        ; implicit-def: $sgpr6
.LBB14_2865:
	s_and_b32 vcc_lo, exec_lo, s33
	s_cbranch_vccz .LBB14_2867
; %bb.2866:
	s_cmp_lg_u32 s0, 44
	s_mov_b32 s28, -1
	s_cselect_b32 s7, -1, 0
	s_or_b32 s6, s6, exec_lo
.LBB14_2867:
	s_mov_b32 s33, 0
.LBB14_2868:
	s_delay_alu instid0(SALU_CYCLE_1)
	s_and_b32 vcc_lo, exec_lo, s33
	s_cbranch_vccz .LBB14_2872
; %bb.2869:
	s_cmp_eq_u32 s0, 29
	s_cbranch_scc0 .LBB14_2871
; %bb.2870:
	global_load_b64 v[6:7], v[0:1], off
	s_mov_b32 s7, 0
	s_mov_b32 s28, -1
	s_mov_b32 s33, 0
	s_wait_loadcnt 0x0
	v_cmp_ne_u64_e64 s6, 0, v[6:7]
	s_branch .LBB14_2873
.LBB14_2871:
	s_mov_b32 s7, -1
                                        ; implicit-def: $sgpr6
.LBB14_2872:
	s_mov_b32 s33, 0
.LBB14_2873:
	s_delay_alu instid0(SALU_CYCLE_1)
	s_and_b32 vcc_lo, exec_lo, s33
	s_cbranch_vccz .LBB14_2885
; %bb.2874:
	s_cmp_lt_i32 s0, 27
	s_cbranch_scc1 .LBB14_2877
; %bb.2875:
	s_cmp_gt_i32 s0, 27
	s_cbranch_scc0 .LBB14_2878
; %bb.2876:
	global_load_b32 v3, v[0:1], off
	s_mov_b32 s28, 0
	s_wait_loadcnt 0x0
	v_cmp_ne_u32_e64 s6, 0, v3
	s_branch .LBB14_2879
.LBB14_2877:
	s_mov_b32 s28, -1
                                        ; implicit-def: $sgpr6
	s_branch .LBB14_2882
.LBB14_2878:
	s_mov_b32 s28, -1
                                        ; implicit-def: $sgpr6
.LBB14_2879:
	s_delay_alu instid0(SALU_CYCLE_1)
	s_and_not1_b32 vcc_lo, exec_lo, s28
	s_cbranch_vccnz .LBB14_2881
; %bb.2880:
	global_load_u16 v3, v[0:1], off
	s_and_not1_b32 s6, s6, exec_lo
	s_wait_loadcnt 0x0
	v_cmp_ne_u16_e32 vcc_lo, 0, v3
	s_and_b32 s28, vcc_lo, exec_lo
	s_delay_alu instid0(SALU_CYCLE_1)
	s_or_b32 s6, s6, s28
.LBB14_2881:
	s_mov_b32 s28, 0
.LBB14_2882:
	s_delay_alu instid0(SALU_CYCLE_1)
	s_and_not1_b32 vcc_lo, exec_lo, s28
	s_cbranch_vccnz .LBB14_2884
; %bb.2883:
	global_load_u8 v3, v[0:1], off
	s_and_not1_b32 s6, s6, exec_lo
	s_wait_loadcnt 0x0
	v_cmp_ne_u16_e32 vcc_lo, 0, v3
	s_and_b32 s28, vcc_lo, exec_lo
	s_delay_alu instid0(SALU_CYCLE_1)
	s_or_b32 s6, s6, s28
.LBB14_2884:
	s_mov_b32 s28, -1
.LBB14_2885:
	s_mov_b32 s33, 0
.LBB14_2886:
	s_delay_alu instid0(SALU_CYCLE_1)
	s_and_b32 vcc_lo, exec_lo, s33
	s_cbranch_vccz .LBB14_2909
; %bb.2887:
	s_cmp_gt_i32 s0, 22
	s_cbranch_scc0 .LBB14_2891
; %bb.2888:
	s_cmp_lt_i32 s0, 24
	s_cbranch_scc1 .LBB14_2892
; %bb.2889:
	s_cmp_gt_i32 s0, 24
	s_cbranch_scc0 .LBB14_2893
; %bb.2890:
	global_load_u8 v3, v[0:1], off
	s_mov_b32 s28, 0
	s_wait_loadcnt 0x0
	v_cmp_ne_u16_e64 s6, 0, v3
	s_branch .LBB14_2894
.LBB14_2891:
	s_mov_b32 s31, -1
                                        ; implicit-def: $sgpr6
	s_branch .LBB14_2900
.LBB14_2892:
	s_mov_b32 s28, -1
                                        ; implicit-def: $sgpr6
	s_branch .LBB14_2897
.LBB14_2893:
	s_mov_b32 s28, -1
                                        ; implicit-def: $sgpr6
.LBB14_2894:
	s_delay_alu instid0(SALU_CYCLE_1)
	s_and_not1_b32 vcc_lo, exec_lo, s28
	s_cbranch_vccnz .LBB14_2896
; %bb.2895:
	global_load_u8 v3, v[0:1], off
	s_and_not1_b32 s6, s6, exec_lo
	s_wait_loadcnt 0x0
	v_and_b32_e32 v3, 0x7f, v3
	s_delay_alu instid0(VALU_DEP_1) | instskip(SKIP_1) | instid1(SALU_CYCLE_1)
	v_cmp_ne_u16_e32 vcc_lo, 0, v3
	s_and_b32 s28, vcc_lo, exec_lo
	s_or_b32 s6, s6, s28
.LBB14_2896:
	s_mov_b32 s28, 0
.LBB14_2897:
	s_delay_alu instid0(SALU_CYCLE_1)
	s_and_not1_b32 vcc_lo, exec_lo, s28
	s_cbranch_vccnz .LBB14_2899
; %bb.2898:
	global_load_u8 v3, v[0:1], off
	s_and_not1_b32 s6, s6, exec_lo
	s_wait_loadcnt 0x0
	v_dual_lshlrev_b32 v5, 25, v3 :: v_dual_lshlrev_b32 v3, 8, v3
	s_delay_alu instid0(VALU_DEP_1) | instskip(NEXT) | instid1(VALU_DEP_2)
	v_cmp_gt_u32_e32 vcc_lo, 0x8000000, v5
	v_and_or_b32 v3, 0x7f00, v3, 0.5
	s_wait_xcnt 0x1
	s_delay_alu instid0(VALU_DEP_1) | instskip(NEXT) | instid1(VALU_DEP_1)
	v_dual_add_f32 v3, -0.5, v3 :: v_dual_lshrrev_b32 v6, 4, v5
	v_or_b32_e32 v6, 0x70000000, v6
	s_delay_alu instid0(VALU_DEP_1) | instskip(NEXT) | instid1(VALU_DEP_1)
	v_mul_f32_e32 v6, 0x7800000, v6
	v_cndmask_b32_e32 v3, v6, v3, vcc_lo
	s_delay_alu instid0(VALU_DEP_1) | instskip(SKIP_1) | instid1(SALU_CYCLE_1)
	v_cmp_neq_f32_e32 vcc_lo, 0, v3
	s_and_b32 s28, vcc_lo, exec_lo
	s_or_b32 s6, s6, s28
.LBB14_2899:
	s_mov_b32 s28, -1
.LBB14_2900:
	s_and_not1_b32 vcc_lo, exec_lo, s31
	s_mov_b32 s31, 0
	s_cbranch_vccnz .LBB14_2909
; %bb.2901:
	s_cmp_gt_i32 s0, 14
	s_cbranch_scc0 .LBB14_2904
; %bb.2902:
	s_cmp_eq_u32 s0, 15
	s_cbranch_scc0 .LBB14_2905
; %bb.2903:
	global_load_u16 v3, v[0:1], off
	s_mov_b32 s7, 0
	s_mov_b32 s28, -1
	s_wait_loadcnt 0x0
	v_and_b32_e32 v3, 0x7fff, v3
	s_delay_alu instid0(VALU_DEP_1)
	v_cmp_ne_u16_e64 s6, 0, v3
	s_branch .LBB14_2907
.LBB14_2904:
	s_mov_b32 s31, -1
	s_branch .LBB14_2906
.LBB14_2905:
	s_mov_b32 s7, -1
.LBB14_2906:
                                        ; implicit-def: $sgpr6
.LBB14_2907:
	s_and_b32 vcc_lo, exec_lo, s31
	s_mov_b32 s31, 0
	s_cbranch_vccz .LBB14_2909
; %bb.2908:
	s_cmp_lg_u32 s0, 11
	s_mov_b32 s31, -1
	s_cselect_b32 s7, -1, 0
.LBB14_2909:
	s_delay_alu instid0(SALU_CYCLE_1)
	s_and_b32 vcc_lo, exec_lo, s7
	s_cbranch_vccnz .LBB14_2974
; %bb.2910:
	s_and_not1_b32 vcc_lo, exec_lo, s31
	s_cbranch_vccnz .LBB14_2912
.LBB14_2911:
	global_load_u8 v3, v[0:1], off
	s_and_not1_b32 s0, s6, exec_lo
	s_mov_b32 s28, -1
	s_wait_loadcnt 0x0
	v_cmp_ne_u16_e32 vcc_lo, 0, v3
	s_and_b32 s6, vcc_lo, exec_lo
	s_delay_alu instid0(SALU_CYCLE_1)
	s_or_b32 s6, s0, s6
.LBB14_2912:
	s_mov_b32 s0, 0
.LBB14_2913:
	s_delay_alu instid0(SALU_CYCLE_1)
	s_and_b32 vcc_lo, exec_lo, s0
	s_cbranch_vccz .LBB14_2962
; %bb.2914:
	s_and_b32 s7, 0xffff, s22
	s_delay_alu instid0(SALU_CYCLE_1)
	s_cmp_lt_i32 s7, 5
	s_cbranch_scc1 .LBB14_2919
; %bb.2915:
	s_cmp_lt_i32 s7, 8
	s_cbranch_scc1 .LBB14_2920
; %bb.2916:
	;; [unrolled: 3-line block ×3, first 2 shown]
	s_cmp_gt_i32 s7, 9
	s_cbranch_scc0 .LBB14_2922
; %bb.2918:
	global_load_b128 v[10:13], v[0:1], off
	s_wait_loadcnt 0x0
	v_cmp_neq_f64_e32 vcc_lo, 0, v[10:11]
	v_cmp_neq_f64_e64 s0, 0, v[12:13]
	s_or_b32 s6, vcc_lo, s0
	s_mov_b32 s0, 0
	s_branch .LBB14_2923
.LBB14_2919:
	s_mov_b32 s0, -1
                                        ; implicit-def: $sgpr6
	s_branch .LBB14_2941
.LBB14_2920:
	s_mov_b32 s0, -1
                                        ; implicit-def: $sgpr6
	s_branch .LBB14_2929
.LBB14_2921:
	s_mov_b32 s0, -1
                                        ; implicit-def: $sgpr6
	s_branch .LBB14_2926
.LBB14_2922:
	s_mov_b32 s0, -1
                                        ; implicit-def: $sgpr6
.LBB14_2923:
	s_delay_alu instid0(SALU_CYCLE_1)
	s_and_not1_b32 vcc_lo, exec_lo, s0
	s_cbranch_vccnz .LBB14_2925
; %bb.2924:
	global_load_b64 v[6:7], v[0:1], off
	s_and_not1_b32 s0, s6, exec_lo
	s_wait_loadcnt 0x0
	v_bitop3_b32 v3, v6, 0x7fffffff, v7 bitop3:0xc8
	s_delay_alu instid0(VALU_DEP_1) | instskip(SKIP_1) | instid1(SALU_CYCLE_1)
	v_cmp_ne_u32_e32 vcc_lo, 0, v3
	s_and_b32 s6, vcc_lo, exec_lo
	s_or_b32 s6, s0, s6
.LBB14_2925:
	s_mov_b32 s0, 0
.LBB14_2926:
	s_delay_alu instid0(SALU_CYCLE_1)
	s_and_not1_b32 vcc_lo, exec_lo, s0
	s_cbranch_vccnz .LBB14_2928
; %bb.2927:
	global_load_b32 v3, v[0:1], off
	s_and_not1_b32 s0, s6, exec_lo
	s_wait_loadcnt 0x0
	v_and_b32_e32 v3, 0x7fff7fff, v3
	s_delay_alu instid0(VALU_DEP_1) | instskip(SKIP_1) | instid1(SALU_CYCLE_1)
	v_cmp_ne_u32_e32 vcc_lo, 0, v3
	s_and_b32 s6, vcc_lo, exec_lo
	s_or_b32 s6, s0, s6
.LBB14_2928:
	s_mov_b32 s0, 0
.LBB14_2929:
	s_delay_alu instid0(SALU_CYCLE_1)
	s_and_not1_b32 vcc_lo, exec_lo, s0
	s_cbranch_vccnz .LBB14_2940
; %bb.2930:
	s_cmp_lt_i32 s7, 6
	s_cbranch_scc1 .LBB14_2933
; %bb.2931:
	s_cmp_gt_i32 s7, 6
	s_cbranch_scc0 .LBB14_2934
; %bb.2932:
	global_load_b64 v[6:7], v[0:1], off
	s_mov_b32 s0, 0
	s_wait_loadcnt 0x0
	v_cmp_neq_f64_e64 s6, 0, v[6:7]
	s_branch .LBB14_2935
.LBB14_2933:
	s_mov_b32 s0, -1
                                        ; implicit-def: $sgpr6
	s_branch .LBB14_2938
.LBB14_2934:
	s_mov_b32 s0, -1
                                        ; implicit-def: $sgpr6
.LBB14_2935:
	s_delay_alu instid0(SALU_CYCLE_1)
	s_and_not1_b32 vcc_lo, exec_lo, s0
	s_cbranch_vccnz .LBB14_2937
; %bb.2936:
	global_load_b32 v3, v[0:1], off
	s_and_not1_b32 s0, s6, exec_lo
	s_wait_loadcnt 0x0
	v_cmp_neq_f32_e32 vcc_lo, 0, v3
	s_and_b32 s6, vcc_lo, exec_lo
	s_delay_alu instid0(SALU_CYCLE_1)
	s_or_b32 s6, s0, s6
.LBB14_2937:
	s_mov_b32 s0, 0
.LBB14_2938:
	s_delay_alu instid0(SALU_CYCLE_1)
	s_and_not1_b32 vcc_lo, exec_lo, s0
	s_cbranch_vccnz .LBB14_2940
; %bb.2939:
	global_load_u16 v3, v[0:1], off
	s_and_not1_b32 s0, s6, exec_lo
	s_wait_loadcnt 0x0
	v_and_b32_e32 v3, 0x7fff, v3
	s_delay_alu instid0(VALU_DEP_1) | instskip(SKIP_1) | instid1(SALU_CYCLE_1)
	v_cmp_ne_u16_e32 vcc_lo, 0, v3
	s_and_b32 s6, vcc_lo, exec_lo
	s_or_b32 s6, s0, s6
.LBB14_2940:
	s_mov_b32 s0, 0
.LBB14_2941:
	s_delay_alu instid0(SALU_CYCLE_1)
	s_and_not1_b32 vcc_lo, exec_lo, s0
	s_cbranch_vccnz .LBB14_2961
; %bb.2942:
	s_cmp_lt_i32 s7, 2
	s_cbranch_scc1 .LBB14_2946
; %bb.2943:
	s_cmp_lt_i32 s7, 3
	s_cbranch_scc1 .LBB14_2947
; %bb.2944:
	s_cmp_gt_i32 s7, 3
	s_cbranch_scc0 .LBB14_2948
; %bb.2945:
	global_load_b64 v[6:7], v[0:1], off
	s_mov_b32 s0, 0
	s_wait_loadcnt 0x0
	v_cmp_ne_u64_e64 s6, 0, v[6:7]
	s_branch .LBB14_2949
.LBB14_2946:
	s_mov_b32 s0, -1
                                        ; implicit-def: $sgpr6
	s_branch .LBB14_2955
.LBB14_2947:
	s_mov_b32 s0, -1
                                        ; implicit-def: $sgpr6
	s_branch .LBB14_2952
.LBB14_2948:
	s_mov_b32 s0, -1
                                        ; implicit-def: $sgpr6
.LBB14_2949:
	s_delay_alu instid0(SALU_CYCLE_1)
	s_and_not1_b32 vcc_lo, exec_lo, s0
	s_cbranch_vccnz .LBB14_2951
; %bb.2950:
	global_load_b32 v3, v[0:1], off
	s_and_not1_b32 s0, s6, exec_lo
	s_wait_loadcnt 0x0
	v_cmp_ne_u32_e32 vcc_lo, 0, v3
	s_and_b32 s6, vcc_lo, exec_lo
	s_delay_alu instid0(SALU_CYCLE_1)
	s_or_b32 s6, s0, s6
.LBB14_2951:
	s_mov_b32 s0, 0
.LBB14_2952:
	s_delay_alu instid0(SALU_CYCLE_1)
	s_and_not1_b32 vcc_lo, exec_lo, s0
	s_cbranch_vccnz .LBB14_2954
; %bb.2953:
	global_load_u16 v3, v[0:1], off
	s_and_not1_b32 s0, s6, exec_lo
	s_wait_loadcnt 0x0
	v_cmp_ne_u16_e32 vcc_lo, 0, v3
	s_and_b32 s6, vcc_lo, exec_lo
	s_delay_alu instid0(SALU_CYCLE_1)
	s_or_b32 s6, s0, s6
.LBB14_2954:
	s_mov_b32 s0, 0
.LBB14_2955:
	s_delay_alu instid0(SALU_CYCLE_1)
	s_and_not1_b32 vcc_lo, exec_lo, s0
	s_cbranch_vccnz .LBB14_2961
; %bb.2956:
	s_cmp_gt_i32 s7, 0
	s_mov_b32 s0, 0
	s_cbranch_scc0 .LBB14_2958
; %bb.2957:
	global_load_u8 v3, v[0:1], off
	s_wait_loadcnt 0x0
	v_cmp_ne_u16_e64 s6, 0, v3
	s_branch .LBB14_2959
.LBB14_2958:
	s_mov_b32 s0, -1
                                        ; implicit-def: $sgpr6
.LBB14_2959:
	s_delay_alu instid0(SALU_CYCLE_1)
	s_and_not1_b32 vcc_lo, exec_lo, s0
	s_cbranch_vccnz .LBB14_2961
; %bb.2960:
	global_load_u8 v0, v[0:1], off
	s_and_not1_b32 s0, s6, exec_lo
	s_wait_loadcnt 0x0
	v_cmp_ne_u16_e32 vcc_lo, 0, v0
	s_and_b32 s6, vcc_lo, exec_lo
	s_delay_alu instid0(SALU_CYCLE_1)
	s_or_b32 s6, s0, s6
.LBB14_2961:
	s_mov_b32 s28, -1
.LBB14_2962:
	s_delay_alu instid0(SALU_CYCLE_1)
	s_and_not1_b32 vcc_lo, exec_lo, s28
	s_cbranch_vccnz .LBB14_3622
; %bb.2963:
	s_wait_xcnt 0x0
	v_add_nc_u32_e32 v0, s29, v2
	s_cmp_lt_i32 s23, 11
	s_delay_alu instid0(VALU_DEP_1) | instskip(NEXT) | instid1(VALU_DEP_1)
	v_ashrrev_i32_e32 v1, 31, v0
	v_add_nc_u64_e32 v[0:1], s[8:9], v[0:1]
	s_cbranch_scc1 .LBB14_2970
; %bb.2964:
	s_and_b32 s0, 0xffff, s23
	s_mov_b32 s22, 0
	s_cmp_gt_i32 s0, 25
	s_cbranch_scc0 .LBB14_2971
; %bb.2965:
	s_cmp_gt_i32 s0, 28
	s_cbranch_scc0 .LBB14_2972
; %bb.2966:
	;; [unrolled: 3-line block ×4, first 2 shown]
	s_cmp_eq_u32 s0, 46
	s_mov_b32 s28, 0
	s_cbranch_scc0 .LBB14_2976
; %bb.2969:
	global_load_b32 v2, v[0:1], off
	s_mov_b32 s8, 0
	s_mov_b32 s9, -1
	s_wait_loadcnt 0x0
	v_and_b32_e32 v2, 0x7fff7fff, v2
	s_delay_alu instid0(VALU_DEP_1)
	v_cmp_ne_u32_e64 s7, 0, v2
	s_branch .LBB14_2978
.LBB14_2970:
	s_mov_b32 s0, -1
	s_mov_b32 s9, 0
                                        ; implicit-def: $sgpr7
	s_branch .LBB14_3026
.LBB14_2971:
	s_mov_b32 s28, -1
	s_mov_b32 s9, 0
	s_mov_b32 s8, 0
                                        ; implicit-def: $sgpr7
	s_branch .LBB14_2999
.LBB14_2972:
	s_mov_b32 s28, -1
	s_mov_b32 s9, 0
	s_mov_b32 s8, 0
                                        ; implicit-def: $sgpr7
	s_branch .LBB14_2986
.LBB14_2973:
	s_mov_b32 s28, -1
	s_mov_b32 s9, 0
	s_mov_b32 s8, 0
                                        ; implicit-def: $sgpr7
	s_branch .LBB14_2981
.LBB14_2974:
	s_mov_b32 s28, 0
	s_or_b32 s16, s16, exec_lo
	s_trap 2
	s_cbranch_execz .LBB14_2911
	s_branch .LBB14_2912
.LBB14_2975:
	s_mov_b32 s28, -1
	s_mov_b32 s9, 0
	s_mov_b32 s8, 0
	s_branch .LBB14_2977
.LBB14_2976:
	s_mov_b32 s8, -1
	s_mov_b32 s9, 0
.LBB14_2977:
                                        ; implicit-def: $sgpr7
.LBB14_2978:
	s_and_b32 vcc_lo, exec_lo, s28
	s_cbranch_vccz .LBB14_2980
; %bb.2979:
	s_cmp_lg_u32 s0, 44
	s_mov_b32 s9, -1
	s_cselect_b32 s8, -1, 0
	s_or_b32 s7, s7, exec_lo
.LBB14_2980:
	s_mov_b32 s28, 0
.LBB14_2981:
	s_delay_alu instid0(SALU_CYCLE_1)
	s_and_b32 vcc_lo, exec_lo, s28
	s_cbranch_vccz .LBB14_2985
; %bb.2982:
	s_cmp_eq_u32 s0, 29
	s_cbranch_scc0 .LBB14_2984
; %bb.2983:
	global_load_b64 v[2:3], v[0:1], off
	s_mov_b32 s8, 0
	s_mov_b32 s9, -1
	s_mov_b32 s28, 0
	s_wait_loadcnt 0x0
	v_cmp_ne_u64_e64 s7, 0, v[2:3]
	s_branch .LBB14_2986
.LBB14_2984:
	s_mov_b32 s8, -1
                                        ; implicit-def: $sgpr7
.LBB14_2985:
	s_mov_b32 s28, 0
.LBB14_2986:
	s_delay_alu instid0(SALU_CYCLE_1)
	s_and_b32 vcc_lo, exec_lo, s28
	s_cbranch_vccz .LBB14_2998
; %bb.2987:
	s_cmp_lt_i32 s0, 27
	s_cbranch_scc1 .LBB14_2990
; %bb.2988:
	s_cmp_gt_i32 s0, 27
	s_cbranch_scc0 .LBB14_2991
; %bb.2989:
	global_load_b32 v2, v[0:1], off
	s_mov_b32 s9, 0
	s_wait_loadcnt 0x0
	v_cmp_ne_u32_e64 s7, 0, v2
	s_branch .LBB14_2992
.LBB14_2990:
	s_mov_b32 s9, -1
                                        ; implicit-def: $sgpr7
	s_branch .LBB14_2995
.LBB14_2991:
	s_mov_b32 s9, -1
                                        ; implicit-def: $sgpr7
.LBB14_2992:
	s_delay_alu instid0(SALU_CYCLE_1)
	s_and_not1_b32 vcc_lo, exec_lo, s9
	s_cbranch_vccnz .LBB14_2994
; %bb.2993:
	global_load_u16 v2, v[0:1], off
	s_and_not1_b32 s7, s7, exec_lo
	s_wait_loadcnt 0x0
	v_cmp_ne_u16_e32 vcc_lo, 0, v2
	s_and_b32 s9, vcc_lo, exec_lo
	s_delay_alu instid0(SALU_CYCLE_1)
	s_or_b32 s7, s7, s9
.LBB14_2994:
	s_mov_b32 s9, 0
.LBB14_2995:
	s_delay_alu instid0(SALU_CYCLE_1)
	s_and_not1_b32 vcc_lo, exec_lo, s9
	s_cbranch_vccnz .LBB14_2997
; %bb.2996:
	global_load_u8 v2, v[0:1], off
	s_and_not1_b32 s7, s7, exec_lo
	s_wait_loadcnt 0x0
	v_cmp_ne_u16_e32 vcc_lo, 0, v2
	s_and_b32 s9, vcc_lo, exec_lo
	s_delay_alu instid0(SALU_CYCLE_1)
	s_or_b32 s7, s7, s9
.LBB14_2997:
	s_mov_b32 s9, -1
.LBB14_2998:
	s_mov_b32 s28, 0
.LBB14_2999:
	s_delay_alu instid0(SALU_CYCLE_1)
	s_and_b32 vcc_lo, exec_lo, s28
	s_cbranch_vccz .LBB14_3022
; %bb.3000:
	s_cmp_gt_i32 s0, 22
	s_cbranch_scc0 .LBB14_3004
; %bb.3001:
	s_cmp_lt_i32 s0, 24
	s_cbranch_scc1 .LBB14_3005
; %bb.3002:
	s_cmp_gt_i32 s0, 24
	s_cbranch_scc0 .LBB14_3006
; %bb.3003:
	global_load_u8 v2, v[0:1], off
	s_mov_b32 s9, 0
	s_wait_loadcnt 0x0
	v_cmp_ne_u16_e64 s7, 0, v2
	s_branch .LBB14_3007
.LBB14_3004:
	s_mov_b32 s22, -1
                                        ; implicit-def: $sgpr7
	s_branch .LBB14_3013
.LBB14_3005:
	s_mov_b32 s9, -1
                                        ; implicit-def: $sgpr7
	s_branch .LBB14_3010
.LBB14_3006:
	s_mov_b32 s9, -1
                                        ; implicit-def: $sgpr7
.LBB14_3007:
	s_delay_alu instid0(SALU_CYCLE_1)
	s_and_not1_b32 vcc_lo, exec_lo, s9
	s_cbranch_vccnz .LBB14_3009
; %bb.3008:
	global_load_u8 v2, v[0:1], off
	s_and_not1_b32 s7, s7, exec_lo
	s_wait_loadcnt 0x0
	v_and_b32_e32 v2, 0x7f, v2
	s_delay_alu instid0(VALU_DEP_1) | instskip(SKIP_1) | instid1(SALU_CYCLE_1)
	v_cmp_ne_u16_e32 vcc_lo, 0, v2
	s_and_b32 s9, vcc_lo, exec_lo
	s_or_b32 s7, s7, s9
.LBB14_3009:
	s_mov_b32 s9, 0
.LBB14_3010:
	s_delay_alu instid0(SALU_CYCLE_1)
	s_and_not1_b32 vcc_lo, exec_lo, s9
	s_cbranch_vccnz .LBB14_3012
; %bb.3011:
	global_load_u8 v2, v[0:1], off
	s_and_not1_b32 s7, s7, exec_lo
	s_wait_loadcnt 0x0
	v_dual_lshlrev_b32 v3, 25, v2 :: v_dual_lshlrev_b32 v2, 8, v2
	s_delay_alu instid0(VALU_DEP_1) | instskip(NEXT) | instid1(VALU_DEP_2)
	v_cmp_gt_u32_e32 vcc_lo, 0x8000000, v3
	v_and_or_b32 v2, 0x7f00, v2, 0.5
	s_delay_alu instid0(VALU_DEP_1) | instskip(NEXT) | instid1(VALU_DEP_1)
	v_dual_add_f32 v2, -0.5, v2 :: v_dual_lshrrev_b32 v5, 4, v3
	v_or_b32_e32 v5, 0x70000000, v5
	s_delay_alu instid0(VALU_DEP_1) | instskip(NEXT) | instid1(VALU_DEP_1)
	v_mul_f32_e32 v5, 0x7800000, v5
	v_cndmask_b32_e32 v2, v5, v2, vcc_lo
	s_delay_alu instid0(VALU_DEP_1) | instskip(SKIP_1) | instid1(SALU_CYCLE_1)
	v_cmp_neq_f32_e32 vcc_lo, 0, v2
	s_and_b32 s9, vcc_lo, exec_lo
	s_or_b32 s7, s7, s9
.LBB14_3012:
	s_mov_b32 s9, -1
.LBB14_3013:
	s_and_not1_b32 vcc_lo, exec_lo, s22
	s_mov_b32 s22, 0
	s_cbranch_vccnz .LBB14_3022
; %bb.3014:
	s_cmp_gt_i32 s0, 14
	s_cbranch_scc0 .LBB14_3017
; %bb.3015:
	s_cmp_eq_u32 s0, 15
	s_cbranch_scc0 .LBB14_3018
; %bb.3016:
	global_load_u16 v2, v[0:1], off
	s_mov_b32 s8, 0
	s_mov_b32 s9, -1
	s_wait_loadcnt 0x0
	v_and_b32_e32 v2, 0x7fff, v2
	s_delay_alu instid0(VALU_DEP_1)
	v_cmp_ne_u16_e64 s7, 0, v2
	s_branch .LBB14_3020
.LBB14_3017:
	s_mov_b32 s22, -1
	s_branch .LBB14_3019
.LBB14_3018:
	s_mov_b32 s8, -1
.LBB14_3019:
                                        ; implicit-def: $sgpr7
.LBB14_3020:
	s_and_b32 vcc_lo, exec_lo, s22
	s_mov_b32 s22, 0
	s_cbranch_vccz .LBB14_3022
; %bb.3021:
	s_cmp_lg_u32 s0, 11
	s_mov_b32 s22, -1
	s_cselect_b32 s8, -1, 0
.LBB14_3022:
	s_delay_alu instid0(SALU_CYCLE_1)
	s_and_b32 vcc_lo, exec_lo, s8
	s_cbranch_vccnz .LBB14_3087
; %bb.3023:
	s_and_not1_b32 vcc_lo, exec_lo, s22
	s_cbranch_vccnz .LBB14_3025
.LBB14_3024:
	global_load_u8 v2, v[0:1], off
	s_and_not1_b32 s0, s7, exec_lo
	s_mov_b32 s9, -1
	s_wait_loadcnt 0x0
	v_cmp_ne_u16_e32 vcc_lo, 0, v2
	s_and_b32 s7, vcc_lo, exec_lo
	s_delay_alu instid0(SALU_CYCLE_1)
	s_or_b32 s7, s0, s7
.LBB14_3025:
	s_mov_b32 s0, 0
.LBB14_3026:
	s_delay_alu instid0(SALU_CYCLE_1)
	s_and_b32 vcc_lo, exec_lo, s0
	s_cbranch_vccz .LBB14_3075
; %bb.3027:
	s_and_b32 s8, 0xffff, s23
	s_delay_alu instid0(SALU_CYCLE_1)
	s_cmp_lt_i32 s8, 5
	s_cbranch_scc1 .LBB14_3032
; %bb.3028:
	s_cmp_lt_i32 s8, 8
	s_cbranch_scc1 .LBB14_3033
; %bb.3029:
	;; [unrolled: 3-line block ×3, first 2 shown]
	s_cmp_gt_i32 s8, 9
	s_cbranch_scc0 .LBB14_3035
; %bb.3031:
	global_load_b128 v[10:13], v[0:1], off
	s_wait_loadcnt 0x0
	v_cmp_neq_f64_e32 vcc_lo, 0, v[10:11]
	v_cmp_neq_f64_e64 s0, 0, v[12:13]
	s_or_b32 s7, vcc_lo, s0
	s_mov_b32 s0, 0
	s_branch .LBB14_3036
.LBB14_3032:
	s_mov_b32 s0, -1
                                        ; implicit-def: $sgpr7
	s_branch .LBB14_3054
.LBB14_3033:
	s_mov_b32 s0, -1
                                        ; implicit-def: $sgpr7
	s_branch .LBB14_3042
.LBB14_3034:
	s_mov_b32 s0, -1
                                        ; implicit-def: $sgpr7
	s_branch .LBB14_3039
.LBB14_3035:
	s_mov_b32 s0, -1
                                        ; implicit-def: $sgpr7
.LBB14_3036:
	s_delay_alu instid0(SALU_CYCLE_1)
	s_and_not1_b32 vcc_lo, exec_lo, s0
	s_cbranch_vccnz .LBB14_3038
; %bb.3037:
	global_load_b64 v[2:3], v[0:1], off
	s_and_not1_b32 s0, s7, exec_lo
	s_wait_loadcnt 0x0
	v_bitop3_b32 v2, v2, 0x7fffffff, v3 bitop3:0xc8
	s_delay_alu instid0(VALU_DEP_1) | instskip(SKIP_1) | instid1(SALU_CYCLE_1)
	v_cmp_ne_u32_e32 vcc_lo, 0, v2
	s_and_b32 s7, vcc_lo, exec_lo
	s_or_b32 s7, s0, s7
.LBB14_3038:
	s_mov_b32 s0, 0
.LBB14_3039:
	s_delay_alu instid0(SALU_CYCLE_1)
	s_and_not1_b32 vcc_lo, exec_lo, s0
	s_cbranch_vccnz .LBB14_3041
; %bb.3040:
	global_load_b32 v2, v[0:1], off
	s_and_not1_b32 s0, s7, exec_lo
	s_wait_loadcnt 0x0
	v_and_b32_e32 v2, 0x7fff7fff, v2
	s_delay_alu instid0(VALU_DEP_1) | instskip(SKIP_1) | instid1(SALU_CYCLE_1)
	v_cmp_ne_u32_e32 vcc_lo, 0, v2
	s_and_b32 s7, vcc_lo, exec_lo
	s_or_b32 s7, s0, s7
.LBB14_3041:
	s_mov_b32 s0, 0
.LBB14_3042:
	s_delay_alu instid0(SALU_CYCLE_1)
	s_and_not1_b32 vcc_lo, exec_lo, s0
	s_cbranch_vccnz .LBB14_3053
; %bb.3043:
	s_cmp_lt_i32 s8, 6
	s_cbranch_scc1 .LBB14_3046
; %bb.3044:
	s_cmp_gt_i32 s8, 6
	s_cbranch_scc0 .LBB14_3047
; %bb.3045:
	global_load_b64 v[2:3], v[0:1], off
	s_mov_b32 s0, 0
	s_wait_loadcnt 0x0
	v_cmp_neq_f64_e64 s7, 0, v[2:3]
	s_branch .LBB14_3048
.LBB14_3046:
	s_mov_b32 s0, -1
                                        ; implicit-def: $sgpr7
	s_branch .LBB14_3051
.LBB14_3047:
	s_mov_b32 s0, -1
                                        ; implicit-def: $sgpr7
.LBB14_3048:
	s_delay_alu instid0(SALU_CYCLE_1)
	s_and_not1_b32 vcc_lo, exec_lo, s0
	s_cbranch_vccnz .LBB14_3050
; %bb.3049:
	global_load_b32 v2, v[0:1], off
	s_and_not1_b32 s0, s7, exec_lo
	s_wait_loadcnt 0x0
	v_cmp_neq_f32_e32 vcc_lo, 0, v2
	s_and_b32 s7, vcc_lo, exec_lo
	s_delay_alu instid0(SALU_CYCLE_1)
	s_or_b32 s7, s0, s7
.LBB14_3050:
	s_mov_b32 s0, 0
.LBB14_3051:
	s_delay_alu instid0(SALU_CYCLE_1)
	s_and_not1_b32 vcc_lo, exec_lo, s0
	s_cbranch_vccnz .LBB14_3053
; %bb.3052:
	global_load_u16 v2, v[0:1], off
	s_and_not1_b32 s0, s7, exec_lo
	s_wait_loadcnt 0x0
	v_and_b32_e32 v2, 0x7fff, v2
	s_delay_alu instid0(VALU_DEP_1) | instskip(SKIP_1) | instid1(SALU_CYCLE_1)
	v_cmp_ne_u16_e32 vcc_lo, 0, v2
	s_and_b32 s7, vcc_lo, exec_lo
	s_or_b32 s7, s0, s7
.LBB14_3053:
	s_mov_b32 s0, 0
.LBB14_3054:
	s_delay_alu instid0(SALU_CYCLE_1)
	s_and_not1_b32 vcc_lo, exec_lo, s0
	s_cbranch_vccnz .LBB14_3074
; %bb.3055:
	s_cmp_lt_i32 s8, 2
	s_cbranch_scc1 .LBB14_3059
; %bb.3056:
	s_cmp_lt_i32 s8, 3
	s_cbranch_scc1 .LBB14_3060
; %bb.3057:
	s_cmp_gt_i32 s8, 3
	s_cbranch_scc0 .LBB14_3061
; %bb.3058:
	global_load_b64 v[2:3], v[0:1], off
	s_mov_b32 s0, 0
	s_wait_loadcnt 0x0
	v_cmp_ne_u64_e64 s7, 0, v[2:3]
	s_branch .LBB14_3062
.LBB14_3059:
	s_mov_b32 s0, -1
                                        ; implicit-def: $sgpr7
	s_branch .LBB14_3068
.LBB14_3060:
	s_mov_b32 s0, -1
                                        ; implicit-def: $sgpr7
	s_branch .LBB14_3065
.LBB14_3061:
	s_mov_b32 s0, -1
                                        ; implicit-def: $sgpr7
.LBB14_3062:
	s_delay_alu instid0(SALU_CYCLE_1)
	s_and_not1_b32 vcc_lo, exec_lo, s0
	s_cbranch_vccnz .LBB14_3064
; %bb.3063:
	global_load_b32 v2, v[0:1], off
	s_and_not1_b32 s0, s7, exec_lo
	s_wait_loadcnt 0x0
	v_cmp_ne_u32_e32 vcc_lo, 0, v2
	s_and_b32 s7, vcc_lo, exec_lo
	s_delay_alu instid0(SALU_CYCLE_1)
	s_or_b32 s7, s0, s7
.LBB14_3064:
	s_mov_b32 s0, 0
.LBB14_3065:
	s_delay_alu instid0(SALU_CYCLE_1)
	s_and_not1_b32 vcc_lo, exec_lo, s0
	s_cbranch_vccnz .LBB14_3067
; %bb.3066:
	global_load_u16 v2, v[0:1], off
	s_and_not1_b32 s0, s7, exec_lo
	s_wait_loadcnt 0x0
	v_cmp_ne_u16_e32 vcc_lo, 0, v2
	s_and_b32 s7, vcc_lo, exec_lo
	s_delay_alu instid0(SALU_CYCLE_1)
	s_or_b32 s7, s0, s7
.LBB14_3067:
	s_mov_b32 s0, 0
.LBB14_3068:
	s_delay_alu instid0(SALU_CYCLE_1)
	s_and_not1_b32 vcc_lo, exec_lo, s0
	s_cbranch_vccnz .LBB14_3074
; %bb.3069:
	s_cmp_gt_i32 s8, 0
	s_mov_b32 s0, 0
	s_cbranch_scc0 .LBB14_3071
; %bb.3070:
	global_load_u8 v2, v[0:1], off
	s_wait_loadcnt 0x0
	v_cmp_ne_u16_e64 s7, 0, v2
	s_branch .LBB14_3072
.LBB14_3071:
	s_mov_b32 s0, -1
                                        ; implicit-def: $sgpr7
.LBB14_3072:
	s_delay_alu instid0(SALU_CYCLE_1)
	s_and_not1_b32 vcc_lo, exec_lo, s0
	s_cbranch_vccnz .LBB14_3074
; %bb.3073:
	global_load_u8 v0, v[0:1], off
	s_and_not1_b32 s0, s7, exec_lo
	s_wait_loadcnt 0x0
	v_cmp_ne_u16_e32 vcc_lo, 0, v0
	s_and_b32 s7, vcc_lo, exec_lo
	s_delay_alu instid0(SALU_CYCLE_1)
	s_or_b32 s7, s0, s7
.LBB14_3074:
	s_mov_b32 s9, -1
.LBB14_3075:
	s_delay_alu instid0(SALU_CYCLE_1)
	s_and_not1_b32 vcc_lo, exec_lo, s9
	s_cbranch_vccnz .LBB14_3622
; %bb.3076:
	s_wait_xcnt 0x0
	v_add_nc_u32_e32 v0, s30, v4
	s_cmp_lt_i32 s24, 11
	s_delay_alu instid0(VALU_DEP_1) | instskip(NEXT) | instid1(VALU_DEP_1)
	v_ashrrev_i32_e32 v1, 31, v0
	v_add_nc_u64_e32 v[0:1], s[10:11], v[0:1]
	s_cbranch_scc1 .LBB14_3083
; %bb.3077:
	s_and_b32 s0, 0xffff, s24
	s_mov_b32 s11, 0
	s_cmp_gt_i32 s0, 25
	s_cbranch_scc0 .LBB14_3084
; %bb.3078:
	s_cmp_gt_i32 s0, 28
	s_cbranch_scc0 .LBB14_3085
; %bb.3079:
	s_cmp_gt_i32 s0, 43
	s_cbranch_scc0 .LBB14_3086
; %bb.3080:
	s_cmp_gt_i32 s0, 45
	s_cbranch_scc0 .LBB14_3088
; %bb.3081:
	s_cmp_eq_u32 s0, 46
	s_mov_b32 s22, 0
	s_cbranch_scc0 .LBB14_3089
; %bb.3082:
	global_load_b32 v2, v[0:1], off
	s_mov_b32 s9, 0
	s_mov_b32 s10, -1
	s_wait_loadcnt 0x0
	v_and_b32_e32 v2, 0x7fff7fff, v2
	s_delay_alu instid0(VALU_DEP_1)
	v_cmp_ne_u32_e64 s8, 0, v2
	s_branch .LBB14_3091
.LBB14_3083:
	s_mov_b32 s0, -1
	s_mov_b32 s10, 0
                                        ; implicit-def: $sgpr8
	s_branch .LBB14_3139
.LBB14_3084:
	s_mov_b32 s22, -1
	s_mov_b32 s10, 0
	s_mov_b32 s9, 0
                                        ; implicit-def: $sgpr8
	s_branch .LBB14_3112
.LBB14_3085:
	s_mov_b32 s22, -1
	s_mov_b32 s10, 0
	s_mov_b32 s9, 0
                                        ; implicit-def: $sgpr8
	s_branch .LBB14_3099
.LBB14_3086:
	s_mov_b32 s22, -1
	s_mov_b32 s10, 0
	s_mov_b32 s9, 0
                                        ; implicit-def: $sgpr8
	s_branch .LBB14_3094
.LBB14_3087:
	s_mov_b32 s9, 0
	s_or_b32 s16, s16, exec_lo
	s_trap 2
	s_cbranch_execz .LBB14_3024
	s_branch .LBB14_3025
.LBB14_3088:
	s_mov_b32 s22, -1
	s_mov_b32 s10, 0
	s_mov_b32 s9, 0
	s_branch .LBB14_3090
.LBB14_3089:
	s_mov_b32 s9, -1
	s_mov_b32 s10, 0
.LBB14_3090:
                                        ; implicit-def: $sgpr8
.LBB14_3091:
	s_and_b32 vcc_lo, exec_lo, s22
	s_cbranch_vccz .LBB14_3093
; %bb.3092:
	s_cmp_lg_u32 s0, 44
	s_mov_b32 s10, -1
	s_cselect_b32 s9, -1, 0
	s_or_b32 s8, s8, exec_lo
.LBB14_3093:
	s_mov_b32 s22, 0
.LBB14_3094:
	s_delay_alu instid0(SALU_CYCLE_1)
	s_and_b32 vcc_lo, exec_lo, s22
	s_cbranch_vccz .LBB14_3098
; %bb.3095:
	s_cmp_eq_u32 s0, 29
	s_cbranch_scc0 .LBB14_3097
; %bb.3096:
	global_load_b64 v[2:3], v[0:1], off
	s_mov_b32 s9, 0
	s_mov_b32 s10, -1
	s_mov_b32 s22, 0
	s_wait_loadcnt 0x0
	v_cmp_ne_u64_e64 s8, 0, v[2:3]
	s_branch .LBB14_3099
.LBB14_3097:
	s_mov_b32 s9, -1
                                        ; implicit-def: $sgpr8
.LBB14_3098:
	s_mov_b32 s22, 0
.LBB14_3099:
	s_delay_alu instid0(SALU_CYCLE_1)
	s_and_b32 vcc_lo, exec_lo, s22
	s_cbranch_vccz .LBB14_3111
; %bb.3100:
	s_cmp_lt_i32 s0, 27
	s_cbranch_scc1 .LBB14_3103
; %bb.3101:
	s_cmp_gt_i32 s0, 27
	s_cbranch_scc0 .LBB14_3104
; %bb.3102:
	global_load_b32 v2, v[0:1], off
	s_mov_b32 s10, 0
	s_wait_loadcnt 0x0
	v_cmp_ne_u32_e64 s8, 0, v2
	s_branch .LBB14_3105
.LBB14_3103:
	s_mov_b32 s10, -1
                                        ; implicit-def: $sgpr8
	s_branch .LBB14_3108
.LBB14_3104:
	s_mov_b32 s10, -1
                                        ; implicit-def: $sgpr8
.LBB14_3105:
	s_delay_alu instid0(SALU_CYCLE_1)
	s_and_not1_b32 vcc_lo, exec_lo, s10
	s_cbranch_vccnz .LBB14_3107
; %bb.3106:
	global_load_u16 v2, v[0:1], off
	s_and_not1_b32 s8, s8, exec_lo
	s_wait_loadcnt 0x0
	v_cmp_ne_u16_e32 vcc_lo, 0, v2
	s_and_b32 s10, vcc_lo, exec_lo
	s_delay_alu instid0(SALU_CYCLE_1)
	s_or_b32 s8, s8, s10
.LBB14_3107:
	s_mov_b32 s10, 0
.LBB14_3108:
	s_delay_alu instid0(SALU_CYCLE_1)
	s_and_not1_b32 vcc_lo, exec_lo, s10
	s_cbranch_vccnz .LBB14_3110
; %bb.3109:
	global_load_u8 v2, v[0:1], off
	s_and_not1_b32 s8, s8, exec_lo
	s_wait_loadcnt 0x0
	v_cmp_ne_u16_e32 vcc_lo, 0, v2
	s_and_b32 s10, vcc_lo, exec_lo
	s_delay_alu instid0(SALU_CYCLE_1)
	s_or_b32 s8, s8, s10
.LBB14_3110:
	s_mov_b32 s10, -1
.LBB14_3111:
	s_mov_b32 s22, 0
.LBB14_3112:
	s_delay_alu instid0(SALU_CYCLE_1)
	s_and_b32 vcc_lo, exec_lo, s22
	s_cbranch_vccz .LBB14_3135
; %bb.3113:
	s_cmp_gt_i32 s0, 22
	s_cbranch_scc0 .LBB14_3117
; %bb.3114:
	s_cmp_lt_i32 s0, 24
	s_cbranch_scc1 .LBB14_3118
; %bb.3115:
	s_cmp_gt_i32 s0, 24
	s_cbranch_scc0 .LBB14_3119
; %bb.3116:
	global_load_u8 v2, v[0:1], off
	s_mov_b32 s10, 0
	s_wait_loadcnt 0x0
	v_cmp_ne_u16_e64 s8, 0, v2
	s_branch .LBB14_3120
.LBB14_3117:
	s_mov_b32 s11, -1
                                        ; implicit-def: $sgpr8
	s_branch .LBB14_3126
.LBB14_3118:
	s_mov_b32 s10, -1
                                        ; implicit-def: $sgpr8
	s_branch .LBB14_3123
.LBB14_3119:
	s_mov_b32 s10, -1
                                        ; implicit-def: $sgpr8
.LBB14_3120:
	s_delay_alu instid0(SALU_CYCLE_1)
	s_and_not1_b32 vcc_lo, exec_lo, s10
	s_cbranch_vccnz .LBB14_3122
; %bb.3121:
	global_load_u8 v2, v[0:1], off
	s_and_not1_b32 s8, s8, exec_lo
	s_wait_loadcnt 0x0
	v_and_b32_e32 v2, 0x7f, v2
	s_delay_alu instid0(VALU_DEP_1) | instskip(SKIP_1) | instid1(SALU_CYCLE_1)
	v_cmp_ne_u16_e32 vcc_lo, 0, v2
	s_and_b32 s10, vcc_lo, exec_lo
	s_or_b32 s8, s8, s10
.LBB14_3122:
	s_mov_b32 s10, 0
.LBB14_3123:
	s_delay_alu instid0(SALU_CYCLE_1)
	s_and_not1_b32 vcc_lo, exec_lo, s10
	s_cbranch_vccnz .LBB14_3125
; %bb.3124:
	global_load_u8 v2, v[0:1], off
	s_and_not1_b32 s8, s8, exec_lo
	s_wait_loadcnt 0x0
	v_dual_lshlrev_b32 v3, 25, v2 :: v_dual_lshlrev_b32 v2, 8, v2
	s_delay_alu instid0(VALU_DEP_1) | instskip(NEXT) | instid1(VALU_DEP_2)
	v_cmp_gt_u32_e32 vcc_lo, 0x8000000, v3
	v_and_or_b32 v2, 0x7f00, v2, 0.5
	s_delay_alu instid0(VALU_DEP_1) | instskip(NEXT) | instid1(VALU_DEP_1)
	v_dual_lshrrev_b32 v4, 4, v3 :: v_dual_add_f32 v2, -0.5, v2
	v_or_b32_e32 v4, 0x70000000, v4
	s_delay_alu instid0(VALU_DEP_1) | instskip(NEXT) | instid1(VALU_DEP_1)
	v_mul_f32_e32 v4, 0x7800000, v4
	v_cndmask_b32_e32 v2, v4, v2, vcc_lo
	s_delay_alu instid0(VALU_DEP_1) | instskip(SKIP_1) | instid1(SALU_CYCLE_1)
	v_cmp_neq_f32_e32 vcc_lo, 0, v2
	s_and_b32 s10, vcc_lo, exec_lo
	s_or_b32 s8, s8, s10
.LBB14_3125:
	s_mov_b32 s10, -1
.LBB14_3126:
	s_and_not1_b32 vcc_lo, exec_lo, s11
	s_mov_b32 s11, 0
	s_cbranch_vccnz .LBB14_3135
; %bb.3127:
	s_cmp_gt_i32 s0, 14
	s_cbranch_scc0 .LBB14_3130
; %bb.3128:
	s_cmp_eq_u32 s0, 15
	s_cbranch_scc0 .LBB14_3131
; %bb.3129:
	global_load_u16 v2, v[0:1], off
	s_mov_b32 s9, 0
	s_mov_b32 s10, -1
	s_wait_loadcnt 0x0
	v_and_b32_e32 v2, 0x7fff, v2
	s_delay_alu instid0(VALU_DEP_1)
	v_cmp_ne_u16_e64 s8, 0, v2
	s_branch .LBB14_3133
.LBB14_3130:
	s_mov_b32 s11, -1
	s_branch .LBB14_3132
.LBB14_3131:
	s_mov_b32 s9, -1
.LBB14_3132:
                                        ; implicit-def: $sgpr8
.LBB14_3133:
	s_and_b32 vcc_lo, exec_lo, s11
	s_mov_b32 s11, 0
	s_cbranch_vccz .LBB14_3135
; %bb.3134:
	s_cmp_lg_u32 s0, 11
	s_mov_b32 s11, -1
	s_cselect_b32 s9, -1, 0
.LBB14_3135:
	s_delay_alu instid0(SALU_CYCLE_1)
	s_and_b32 vcc_lo, exec_lo, s9
	s_cbranch_vccnz .LBB14_3668
; %bb.3136:
	s_and_not1_b32 vcc_lo, exec_lo, s11
	s_cbranch_vccnz .LBB14_3138
.LBB14_3137:
	global_load_u8 v2, v[0:1], off
	s_and_not1_b32 s0, s8, exec_lo
	s_mov_b32 s10, -1
	s_wait_loadcnt 0x0
	v_cmp_ne_u16_e32 vcc_lo, 0, v2
	s_and_b32 s8, vcc_lo, exec_lo
	s_delay_alu instid0(SALU_CYCLE_1)
	s_or_b32 s8, s0, s8
.LBB14_3138:
	s_mov_b32 s0, 0
.LBB14_3139:
	s_delay_alu instid0(SALU_CYCLE_1)
	s_and_b32 vcc_lo, exec_lo, s0
	s_cbranch_vccz .LBB14_3188
; %bb.3140:
	s_and_b32 s9, 0xffff, s24
	s_delay_alu instid0(SALU_CYCLE_1)
	s_cmp_lt_i32 s9, 5
	s_cbranch_scc1 .LBB14_3145
; %bb.3141:
	s_cmp_lt_i32 s9, 8
	s_cbranch_scc1 .LBB14_3146
; %bb.3142:
	;; [unrolled: 3-line block ×3, first 2 shown]
	s_cmp_gt_i32 s9, 9
	s_cbranch_scc0 .LBB14_3148
; %bb.3144:
	global_load_b128 v[2:5], v[0:1], off
	s_wait_loadcnt 0x0
	v_cmp_neq_f64_e32 vcc_lo, 0, v[2:3]
	v_cmp_neq_f64_e64 s0, 0, v[4:5]
	s_or_b32 s8, vcc_lo, s0
	s_mov_b32 s0, 0
	s_branch .LBB14_3149
.LBB14_3145:
	s_mov_b32 s0, -1
                                        ; implicit-def: $sgpr8
	s_branch .LBB14_3167
.LBB14_3146:
	s_mov_b32 s0, -1
                                        ; implicit-def: $sgpr8
	s_branch .LBB14_3155
.LBB14_3147:
	s_mov_b32 s0, -1
                                        ; implicit-def: $sgpr8
	s_branch .LBB14_3152
.LBB14_3148:
	s_mov_b32 s0, -1
                                        ; implicit-def: $sgpr8
.LBB14_3149:
	s_delay_alu instid0(SALU_CYCLE_1)
	s_and_not1_b32 vcc_lo, exec_lo, s0
	s_cbranch_vccnz .LBB14_3151
; %bb.3150:
	global_load_b64 v[2:3], v[0:1], off
	s_and_not1_b32 s0, s8, exec_lo
	s_wait_loadcnt 0x0
	v_bitop3_b32 v2, v2, 0x7fffffff, v3 bitop3:0xc8
	s_delay_alu instid0(VALU_DEP_1) | instskip(SKIP_1) | instid1(SALU_CYCLE_1)
	v_cmp_ne_u32_e32 vcc_lo, 0, v2
	s_and_b32 s8, vcc_lo, exec_lo
	s_or_b32 s8, s0, s8
.LBB14_3151:
	s_mov_b32 s0, 0
.LBB14_3152:
	s_delay_alu instid0(SALU_CYCLE_1)
	s_and_not1_b32 vcc_lo, exec_lo, s0
	s_cbranch_vccnz .LBB14_3154
; %bb.3153:
	global_load_b32 v2, v[0:1], off
	s_and_not1_b32 s0, s8, exec_lo
	s_wait_loadcnt 0x0
	v_and_b32_e32 v2, 0x7fff7fff, v2
	s_delay_alu instid0(VALU_DEP_1) | instskip(SKIP_1) | instid1(SALU_CYCLE_1)
	v_cmp_ne_u32_e32 vcc_lo, 0, v2
	s_and_b32 s8, vcc_lo, exec_lo
	s_or_b32 s8, s0, s8
.LBB14_3154:
	s_mov_b32 s0, 0
.LBB14_3155:
	s_delay_alu instid0(SALU_CYCLE_1)
	s_and_not1_b32 vcc_lo, exec_lo, s0
	s_cbranch_vccnz .LBB14_3166
; %bb.3156:
	s_cmp_lt_i32 s9, 6
	s_cbranch_scc1 .LBB14_3159
; %bb.3157:
	s_cmp_gt_i32 s9, 6
	s_cbranch_scc0 .LBB14_3160
; %bb.3158:
	global_load_b64 v[2:3], v[0:1], off
	s_mov_b32 s0, 0
	s_wait_loadcnt 0x0
	v_cmp_neq_f64_e64 s8, 0, v[2:3]
	s_branch .LBB14_3161
.LBB14_3159:
	s_mov_b32 s0, -1
                                        ; implicit-def: $sgpr8
	s_branch .LBB14_3164
.LBB14_3160:
	s_mov_b32 s0, -1
                                        ; implicit-def: $sgpr8
.LBB14_3161:
	s_delay_alu instid0(SALU_CYCLE_1)
	s_and_not1_b32 vcc_lo, exec_lo, s0
	s_cbranch_vccnz .LBB14_3163
; %bb.3162:
	global_load_b32 v2, v[0:1], off
	s_and_not1_b32 s0, s8, exec_lo
	s_wait_loadcnt 0x0
	v_cmp_neq_f32_e32 vcc_lo, 0, v2
	s_and_b32 s8, vcc_lo, exec_lo
	s_delay_alu instid0(SALU_CYCLE_1)
	s_or_b32 s8, s0, s8
.LBB14_3163:
	s_mov_b32 s0, 0
.LBB14_3164:
	s_delay_alu instid0(SALU_CYCLE_1)
	s_and_not1_b32 vcc_lo, exec_lo, s0
	s_cbranch_vccnz .LBB14_3166
; %bb.3165:
	global_load_u16 v2, v[0:1], off
	s_and_not1_b32 s0, s8, exec_lo
	s_wait_loadcnt 0x0
	v_and_b32_e32 v2, 0x7fff, v2
	s_delay_alu instid0(VALU_DEP_1) | instskip(SKIP_1) | instid1(SALU_CYCLE_1)
	v_cmp_ne_u16_e32 vcc_lo, 0, v2
	s_and_b32 s8, vcc_lo, exec_lo
	s_or_b32 s8, s0, s8
.LBB14_3166:
	s_mov_b32 s0, 0
.LBB14_3167:
	s_delay_alu instid0(SALU_CYCLE_1)
	s_and_not1_b32 vcc_lo, exec_lo, s0
	s_cbranch_vccnz .LBB14_3187
; %bb.3168:
	s_cmp_lt_i32 s9, 2
	s_cbranch_scc1 .LBB14_3172
; %bb.3169:
	s_cmp_lt_i32 s9, 3
	s_cbranch_scc1 .LBB14_3173
; %bb.3170:
	s_cmp_gt_i32 s9, 3
	s_cbranch_scc0 .LBB14_3174
; %bb.3171:
	global_load_b64 v[2:3], v[0:1], off
	s_mov_b32 s0, 0
	s_wait_loadcnt 0x0
	v_cmp_ne_u64_e64 s8, 0, v[2:3]
	s_branch .LBB14_3175
.LBB14_3172:
	s_mov_b32 s0, -1
                                        ; implicit-def: $sgpr8
	s_branch .LBB14_3181
.LBB14_3173:
	s_mov_b32 s0, -1
                                        ; implicit-def: $sgpr8
	s_branch .LBB14_3178
.LBB14_3174:
	s_mov_b32 s0, -1
                                        ; implicit-def: $sgpr8
.LBB14_3175:
	s_delay_alu instid0(SALU_CYCLE_1)
	s_and_not1_b32 vcc_lo, exec_lo, s0
	s_cbranch_vccnz .LBB14_3177
; %bb.3176:
	global_load_b32 v2, v[0:1], off
	s_and_not1_b32 s0, s8, exec_lo
	s_wait_loadcnt 0x0
	v_cmp_ne_u32_e32 vcc_lo, 0, v2
	s_and_b32 s8, vcc_lo, exec_lo
	s_delay_alu instid0(SALU_CYCLE_1)
	s_or_b32 s8, s0, s8
.LBB14_3177:
	s_mov_b32 s0, 0
.LBB14_3178:
	s_delay_alu instid0(SALU_CYCLE_1)
	s_and_not1_b32 vcc_lo, exec_lo, s0
	s_cbranch_vccnz .LBB14_3180
; %bb.3179:
	global_load_u16 v2, v[0:1], off
	s_and_not1_b32 s0, s8, exec_lo
	s_wait_loadcnt 0x0
	v_cmp_ne_u16_e32 vcc_lo, 0, v2
	s_and_b32 s8, vcc_lo, exec_lo
	s_delay_alu instid0(SALU_CYCLE_1)
	s_or_b32 s8, s0, s8
.LBB14_3180:
	s_mov_b32 s0, 0
.LBB14_3181:
	s_delay_alu instid0(SALU_CYCLE_1)
	s_and_not1_b32 vcc_lo, exec_lo, s0
	s_cbranch_vccnz .LBB14_3187
; %bb.3182:
	s_cmp_gt_i32 s9, 0
	s_mov_b32 s0, 0
	s_cbranch_scc0 .LBB14_3184
; %bb.3183:
	global_load_u8 v2, v[0:1], off
	s_wait_loadcnt 0x0
	v_cmp_ne_u16_e64 s8, 0, v2
	s_branch .LBB14_3185
.LBB14_3184:
	s_mov_b32 s0, -1
                                        ; implicit-def: $sgpr8
.LBB14_3185:
	s_delay_alu instid0(SALU_CYCLE_1)
	s_and_not1_b32 vcc_lo, exec_lo, s0
	s_cbranch_vccnz .LBB14_3187
; %bb.3186:
	global_load_u8 v0, v[0:1], off
	s_and_not1_b32 s0, s8, exec_lo
	s_wait_loadcnt 0x0
	v_cmp_ne_u16_e32 vcc_lo, 0, v0
	s_and_b32 s8, vcc_lo, exec_lo
	s_delay_alu instid0(SALU_CYCLE_1)
	s_or_b32 s8, s0, s8
.LBB14_3187:
	s_mov_b32 s10, -1
.LBB14_3188:
	s_delay_alu instid0(SALU_CYCLE_1)
	s_and_not1_b32 vcc_lo, exec_lo, s10
	s_cbranch_vccnz .LBB14_3622
; %bb.3189:
	s_wait_xcnt 0x0
	v_mul_lo_u32 v0, s12, v8
	s_bitcmp1_b32 s2, 0
	s_cselect_b32 s9, -1, 0
	s_bitcmp1_b32 s18, 0
	s_cselect_b32 s2, -1, 0
	s_and_b32 s3, s3, s17
	s_and_b32 s0, s19, s9
	;; [unrolled: 1-line block ×4, first 2 shown]
	s_delay_alu instid0(VALU_DEP_1) | instskip(SKIP_2) | instid1(VALU_DEP_1)
	v_ashrrev_i32_e32 v1, 31, v0
	s_or_b32 s1, s0, s3
	s_cmp_lt_i32 s22, 11
	v_add_nc_u64_e32 v[2:3], s[4:5], v[0:1]
	s_cbranch_scc1 .LBB14_3267
; %bb.3190:
	s_and_b32 s3, 0xffff, s22
	s_mov_b32 s17, -1
	s_mov_b32 s10, 0
	s_cmp_gt_i32 s3, 25
	s_mov_b32 s11, 0
	s_mov_b32 s0, 0
	s_cbranch_scc0 .LBB14_3223
; %bb.3191:
	s_cmp_gt_i32 s3, 28
	s_cbranch_scc0 .LBB14_3206
; %bb.3192:
	s_cmp_gt_i32 s3, 43
	;; [unrolled: 3-line block ×3, first 2 shown]
	s_cbranch_scc0 .LBB14_3196
; %bb.3194:
	s_mov_b32 s0, -1
	s_mov_b32 s17, 0
	s_cmp_eq_u32 s3, 46
	s_cbranch_scc0 .LBB14_3196
; %bb.3195:
	v_cndmask_b32_e64 v1, 0, 1.0, s1
	s_mov_b32 s0, 0
	s_mov_b32 s11, -1
	s_delay_alu instid0(VALU_DEP_1) | instskip(NEXT) | instid1(VALU_DEP_1)
	v_bfe_u32 v4, v1, 16, 1
	v_add3_u32 v1, v1, v4, 0x7fff
	s_delay_alu instid0(VALU_DEP_1)
	v_lshrrev_b32_e32 v1, 16, v1
	global_store_b32 v[2:3], v1, off
.LBB14_3196:
	s_and_b32 vcc_lo, exec_lo, s17
	s_cbranch_vccz .LBB14_3201
; %bb.3197:
	s_cmp_eq_u32 s3, 44
	s_mov_b32 s0, -1
	s_cbranch_scc0 .LBB14_3201
; %bb.3198:
	v_cndmask_b32_e64 v5, 0, 1.0, s1
	s_mov_b32 s11, exec_lo
	s_wait_xcnt 0x0
	s_delay_alu instid0(VALU_DEP_1) | instskip(NEXT) | instid1(VALU_DEP_1)
	v_dual_mov_b32 v4, 0xff :: v_dual_lshrrev_b32 v1, 23, v5
	v_cmpx_ne_u32_e32 0xff, v1
; %bb.3199:
	v_and_b32_e32 v4, 0x400000, v5
	v_and_or_b32 v5, 0x3fffff, v5, v1
	s_delay_alu instid0(VALU_DEP_2) | instskip(NEXT) | instid1(VALU_DEP_2)
	v_cmp_ne_u32_e32 vcc_lo, 0, v4
	v_cmp_ne_u32_e64 s0, 0, v5
	s_and_b32 s0, vcc_lo, s0
	s_delay_alu instid0(SALU_CYCLE_1) | instskip(NEXT) | instid1(VALU_DEP_1)
	v_cndmask_b32_e64 v4, 0, 1, s0
	v_add_nc_u32_e32 v4, v1, v4
; %bb.3200:
	s_or_b32 exec_lo, exec_lo, s11
	s_mov_b32 s0, 0
	s_mov_b32 s11, -1
	global_store_b8 v[2:3], v4, off
.LBB14_3201:
	s_mov_b32 s17, 0
.LBB14_3202:
	s_delay_alu instid0(SALU_CYCLE_1)
	s_and_b32 vcc_lo, exec_lo, s17
	s_cbranch_vccz .LBB14_3205
; %bb.3203:
	s_cmp_eq_u32 s3, 29
	s_mov_b32 s0, -1
	s_cbranch_scc0 .LBB14_3205
; %bb.3204:
	s_mov_b32 s0, 0
	s_wait_xcnt 0x0
	v_cndmask_b32_e64 v4, 0, 1, s1
	v_mov_b32_e32 v5, s0
	s_mov_b32 s11, -1
	global_store_b64 v[2:3], v[4:5], off
.LBB14_3205:
	s_mov_b32 s17, 0
.LBB14_3206:
	s_delay_alu instid0(SALU_CYCLE_1)
	s_and_b32 vcc_lo, exec_lo, s17
	s_cbranch_vccz .LBB14_3222
; %bb.3207:
	s_cmp_lt_i32 s3, 27
	s_mov_b32 s11, -1
	s_cbranch_scc1 .LBB14_3213
; %bb.3208:
	s_cmp_gt_i32 s3, 27
	s_cbranch_scc0 .LBB14_3210
; %bb.3209:
	s_wait_xcnt 0x0
	v_cndmask_b32_e64 v1, 0, 1, s1
	s_mov_b32 s11, 0
	global_store_b32 v[2:3], v1, off
.LBB14_3210:
	s_and_not1_b32 vcc_lo, exec_lo, s11
	s_cbranch_vccnz .LBB14_3212
; %bb.3211:
	s_wait_xcnt 0x0
	v_cndmask_b32_e64 v1, 0, 1, s1
	global_store_b16 v[2:3], v1, off
.LBB14_3212:
	s_mov_b32 s11, 0
.LBB14_3213:
	s_delay_alu instid0(SALU_CYCLE_1)
	s_and_not1_b32 vcc_lo, exec_lo, s11
	s_cbranch_vccnz .LBB14_3221
; %bb.3214:
	s_wait_xcnt 0x0
	v_cndmask_b32_e64 v4, 0, 1.0, s1
	v_mov_b32_e32 v5, 0x80
	s_mov_b32 s11, exec_lo
	s_delay_alu instid0(VALU_DEP_2)
	v_cmpx_gt_u32_e32 0x43800000, v4
	s_cbranch_execz .LBB14_3220
; %bb.3215:
	s_mov_b32 s17, 0
	s_mov_b32 s18, exec_lo
                                        ; implicit-def: $vgpr1
	v_cmpx_lt_u32_e32 0x3bffffff, v4
	s_xor_b32 s18, exec_lo, s18
	s_cbranch_execnz .LBB14_3670
; %bb.3216:
	s_and_not1_saveexec_b32 s18, s18
	s_cbranch_execnz .LBB14_3671
.LBB14_3217:
	s_or_b32 exec_lo, exec_lo, s18
	v_mov_b32_e32 v5, 0
	s_and_saveexec_b32 s18, s17
.LBB14_3218:
	v_mov_b32_e32 v5, v1
.LBB14_3219:
	s_or_b32 exec_lo, exec_lo, s18
.LBB14_3220:
	s_delay_alu instid0(SALU_CYCLE_1)
	s_or_b32 exec_lo, exec_lo, s11
	global_store_b8 v[2:3], v5, off
.LBB14_3221:
	s_mov_b32 s11, -1
.LBB14_3222:
	s_mov_b32 s17, 0
.LBB14_3223:
	s_delay_alu instid0(SALU_CYCLE_1)
	s_and_b32 vcc_lo, exec_lo, s17
	s_cbranch_vccz .LBB14_3263
; %bb.3224:
	s_cmp_gt_i32 s3, 22
	s_mov_b32 s10, -1
	s_cbranch_scc0 .LBB14_3256
; %bb.3225:
	s_cmp_lt_i32 s3, 24
	s_cbranch_scc1 .LBB14_3245
; %bb.3226:
	s_cmp_gt_i32 s3, 24
	s_cbranch_scc0 .LBB14_3234
; %bb.3227:
	s_wait_xcnt 0x0
	v_cndmask_b32_e64 v4, 0, 1.0, s1
	v_mov_b32_e32 v5, 0x80
	s_mov_b32 s10, exec_lo
	s_delay_alu instid0(VALU_DEP_2)
	v_cmpx_gt_u32_e32 0x47800000, v4
	s_cbranch_execz .LBB14_3233
; %bb.3228:
	s_mov_b32 s11, 0
	s_mov_b32 s17, exec_lo
                                        ; implicit-def: $vgpr1
	v_cmpx_lt_u32_e32 0x37ffffff, v4
	s_xor_b32 s17, exec_lo, s17
	s_cbranch_execnz .LBB14_3673
; %bb.3229:
	s_and_not1_saveexec_b32 s17, s17
	s_cbranch_execnz .LBB14_3674
.LBB14_3230:
	s_or_b32 exec_lo, exec_lo, s17
	v_mov_b32_e32 v5, 0
	s_and_saveexec_b32 s17, s11
.LBB14_3231:
	v_mov_b32_e32 v5, v1
.LBB14_3232:
	s_or_b32 exec_lo, exec_lo, s17
.LBB14_3233:
	s_delay_alu instid0(SALU_CYCLE_1)
	s_or_b32 exec_lo, exec_lo, s10
	s_mov_b32 s10, 0
	global_store_b8 v[2:3], v5, off
.LBB14_3234:
	s_and_b32 vcc_lo, exec_lo, s10
	s_cbranch_vccz .LBB14_3244
; %bb.3235:
	s_wait_xcnt 0x0
	v_cndmask_b32_e64 v4, 0, 1.0, s1
	s_mov_b32 s10, exec_lo
                                        ; implicit-def: $vgpr1
	s_delay_alu instid0(VALU_DEP_1)
	v_cmpx_gt_u32_e32 0x43f00000, v4
	s_xor_b32 s10, exec_lo, s10
	s_cbranch_execz .LBB14_3241
; %bb.3236:
	s_mov_b32 s11, exec_lo
                                        ; implicit-def: $vgpr1
	v_cmpx_lt_u32_e32 0x3c7fffff, v4
	s_xor_b32 s11, exec_lo, s11
; %bb.3237:
	v_bfe_u32 v1, v4, 20, 1
	s_delay_alu instid0(VALU_DEP_1) | instskip(NEXT) | instid1(VALU_DEP_1)
	v_add3_u32 v1, v4, v1, 0x407ffff
	v_and_b32_e32 v4, 0xff00000, v1
	v_lshrrev_b32_e32 v1, 20, v1
	s_delay_alu instid0(VALU_DEP_2) | instskip(NEXT) | instid1(VALU_DEP_2)
	v_cmp_ne_u32_e32 vcc_lo, 0x7f00000, v4
                                        ; implicit-def: $vgpr4
	v_cndmask_b32_e32 v1, 0x7e, v1, vcc_lo
; %bb.3238:
	s_and_not1_saveexec_b32 s11, s11
; %bb.3239:
	v_add_f32_e32 v1, 0x46800000, v4
; %bb.3240:
	s_or_b32 exec_lo, exec_lo, s11
                                        ; implicit-def: $vgpr4
.LBB14_3241:
	s_and_not1_saveexec_b32 s10, s10
; %bb.3242:
	v_mov_b32_e32 v1, 0x7f
	v_cmp_lt_u32_e32 vcc_lo, 0x7f800000, v4
	s_delay_alu instid0(VALU_DEP_2)
	v_cndmask_b32_e32 v1, 0x7e, v1, vcc_lo
; %bb.3243:
	s_or_b32 exec_lo, exec_lo, s10
	global_store_b8 v[2:3], v1, off
.LBB14_3244:
	s_mov_b32 s10, 0
.LBB14_3245:
	s_delay_alu instid0(SALU_CYCLE_1)
	s_and_not1_b32 vcc_lo, exec_lo, s10
	s_cbranch_vccnz .LBB14_3255
; %bb.3246:
	s_wait_xcnt 0x0
	v_cndmask_b32_e64 v4, 0, 1.0, s1
	s_mov_b32 s10, exec_lo
                                        ; implicit-def: $vgpr1
	s_delay_alu instid0(VALU_DEP_1)
	v_cmpx_gt_u32_e32 0x47800000, v4
	s_xor_b32 s10, exec_lo, s10
	s_cbranch_execz .LBB14_3252
; %bb.3247:
	s_mov_b32 s11, exec_lo
                                        ; implicit-def: $vgpr1
	v_cmpx_lt_u32_e32 0x387fffff, v4
	s_xor_b32 s11, exec_lo, s11
; %bb.3248:
	v_bfe_u32 v1, v4, 21, 1
	s_delay_alu instid0(VALU_DEP_1) | instskip(NEXT) | instid1(VALU_DEP_1)
	v_add3_u32 v1, v4, v1, 0x80fffff
                                        ; implicit-def: $vgpr4
	v_lshrrev_b32_e32 v1, 21, v1
; %bb.3249:
	s_and_not1_saveexec_b32 s11, s11
; %bb.3250:
	v_add_f32_e32 v1, 0x43000000, v4
; %bb.3251:
	s_or_b32 exec_lo, exec_lo, s11
                                        ; implicit-def: $vgpr4
.LBB14_3252:
	s_and_not1_saveexec_b32 s10, s10
; %bb.3253:
	v_mov_b32_e32 v1, 0x7f
	v_cmp_lt_u32_e32 vcc_lo, 0x7f800000, v4
	s_delay_alu instid0(VALU_DEP_2)
	v_cndmask_b32_e32 v1, 0x7c, v1, vcc_lo
; %bb.3254:
	s_or_b32 exec_lo, exec_lo, s10
	global_store_b8 v[2:3], v1, off
.LBB14_3255:
	s_mov_b32 s10, 0
	s_mov_b32 s11, -1
.LBB14_3256:
	s_and_not1_b32 vcc_lo, exec_lo, s10
	s_mov_b32 s10, 0
	s_cbranch_vccnz .LBB14_3263
; %bb.3257:
	s_cmp_gt_i32 s3, 14
	s_mov_b32 s10, -1
	s_cbranch_scc0 .LBB14_3261
; %bb.3258:
	s_cmp_eq_u32 s3, 15
	s_mov_b32 s0, -1
	s_cbranch_scc0 .LBB14_3260
; %bb.3259:
	s_wait_xcnt 0x0
	v_cndmask_b32_e64 v1, 0, 1.0, s1
	s_mov_b32 s0, 0
	s_mov_b32 s11, -1
	s_delay_alu instid0(VALU_DEP_1) | instskip(NEXT) | instid1(VALU_DEP_1)
	v_bfe_u32 v4, v1, 16, 1
	v_add3_u32 v1, v1, v4, 0x7fff
	global_store_d16_hi_b16 v[2:3], v1, off
.LBB14_3260:
	s_mov_b32 s10, 0
.LBB14_3261:
	s_delay_alu instid0(SALU_CYCLE_1)
	s_and_b32 vcc_lo, exec_lo, s10
	s_mov_b32 s10, 0
	s_cbranch_vccz .LBB14_3263
; %bb.3262:
	s_cmp_lg_u32 s3, 11
	s_mov_b32 s10, -1
	s_cselect_b32 s0, -1, 0
.LBB14_3263:
	s_delay_alu instid0(SALU_CYCLE_1)
	s_and_b32 vcc_lo, exec_lo, s0
	s_cbranch_vccnz .LBB14_3669
; %bb.3264:
	s_and_not1_b32 vcc_lo, exec_lo, s10
	s_cbranch_vccnz .LBB14_3266
.LBB14_3265:
	s_wait_xcnt 0x0
	v_cndmask_b32_e64 v1, 0, 1, s1
	s_mov_b32 s11, -1
	global_store_b8 v[2:3], v1, off
.LBB14_3266:
	s_mov_b32 s0, 0
	s_branch .LBB14_3268
.LBB14_3267:
	s_mov_b32 s0, -1
	s_mov_b32 s11, 0
.LBB14_3268:
	s_and_b32 vcc_lo, exec_lo, s0
	s_cbranch_vccz .LBB14_3307
; %bb.3269:
	s_and_b32 s0, 0xffff, s22
	s_mov_b32 s3, -1
	s_cmp_lt_i32 s0, 5
	s_cbranch_scc1 .LBB14_3290
; %bb.3270:
	s_cmp_lt_i32 s0, 8
	s_cbranch_scc1 .LBB14_3280
; %bb.3271:
	;; [unrolled: 3-line block ×3, first 2 shown]
	s_cmp_gt_i32 s0, 9
	s_cbranch_scc0 .LBB14_3274
; %bb.3273:
	s_wait_xcnt 0x0
	v_cndmask_b32_e64 v1, 0, 1, s1
	v_mov_b32_e32 v6, 0
	s_mov_b32 s3, 0
	s_delay_alu instid0(VALU_DEP_2) | instskip(NEXT) | instid1(VALU_DEP_2)
	v_cvt_f64_u32_e32 v[4:5], v1
	v_mov_b32_e32 v7, v6
	global_store_b128 v[2:3], v[4:7], off
.LBB14_3274:
	s_and_not1_b32 vcc_lo, exec_lo, s3
	s_cbranch_vccnz .LBB14_3276
; %bb.3275:
	s_wait_xcnt 0x0
	v_cndmask_b32_e64 v4, 0, 1.0, s1
	v_mov_b32_e32 v5, 0
	global_store_b64 v[2:3], v[4:5], off
.LBB14_3276:
	s_mov_b32 s3, 0
.LBB14_3277:
	s_delay_alu instid0(SALU_CYCLE_1)
	s_and_not1_b32 vcc_lo, exec_lo, s3
	s_cbranch_vccnz .LBB14_3279
; %bb.3278:
	s_wait_xcnt 0x0
	v_cndmask_b32_e64 v1, 0, 1.0, s1
	s_delay_alu instid0(VALU_DEP_1) | instskip(NEXT) | instid1(VALU_DEP_1)
	v_cvt_f16_f32_e32 v1, v1
	v_and_b32_e32 v1, 0xffff, v1
	global_store_b32 v[2:3], v1, off
.LBB14_3279:
	s_mov_b32 s3, 0
.LBB14_3280:
	s_delay_alu instid0(SALU_CYCLE_1)
	s_and_not1_b32 vcc_lo, exec_lo, s3
	s_cbranch_vccnz .LBB14_3289
; %bb.3281:
	s_cmp_lt_i32 s0, 6
	s_mov_b32 s3, -1
	s_cbranch_scc1 .LBB14_3287
; %bb.3282:
	s_cmp_gt_i32 s0, 6
	s_cbranch_scc0 .LBB14_3284
; %bb.3283:
	s_wait_xcnt 0x0
	v_cndmask_b32_e64 v1, 0, 1, s1
	s_mov_b32 s3, 0
	s_delay_alu instid0(VALU_DEP_1)
	v_cvt_f64_u32_e32 v[4:5], v1
	global_store_b64 v[2:3], v[4:5], off
.LBB14_3284:
	s_and_not1_b32 vcc_lo, exec_lo, s3
	s_cbranch_vccnz .LBB14_3286
; %bb.3285:
	s_wait_xcnt 0x0
	v_cndmask_b32_e64 v1, 0, 1.0, s1
	global_store_b32 v[2:3], v1, off
.LBB14_3286:
	s_mov_b32 s3, 0
.LBB14_3287:
	s_delay_alu instid0(SALU_CYCLE_1)
	s_and_not1_b32 vcc_lo, exec_lo, s3
	s_cbranch_vccnz .LBB14_3289
; %bb.3288:
	s_wait_xcnt 0x0
	v_cndmask_b32_e64 v1, 0, 1.0, s1
	s_delay_alu instid0(VALU_DEP_1)
	v_cvt_f16_f32_e32 v1, v1
	global_store_b16 v[2:3], v1, off
.LBB14_3289:
	s_mov_b32 s3, 0
.LBB14_3290:
	s_delay_alu instid0(SALU_CYCLE_1)
	s_and_not1_b32 vcc_lo, exec_lo, s3
	s_cbranch_vccnz .LBB14_3306
; %bb.3291:
	s_cmp_lt_i32 s0, 2
	s_mov_b32 s3, -1
	s_cbranch_scc1 .LBB14_3301
; %bb.3292:
	s_cmp_lt_i32 s0, 3
	s_cbranch_scc1 .LBB14_3298
; %bb.3293:
	s_cmp_gt_i32 s0, 3
	s_cbranch_scc0 .LBB14_3295
; %bb.3294:
	s_mov_b32 s3, 0
	s_wait_xcnt 0x0
	v_cndmask_b32_e64 v4, 0, 1, s1
	v_mov_b32_e32 v5, s3
	global_store_b64 v[2:3], v[4:5], off
.LBB14_3295:
	s_and_not1_b32 vcc_lo, exec_lo, s3
	s_cbranch_vccnz .LBB14_3297
; %bb.3296:
	s_wait_xcnt 0x0
	v_cndmask_b32_e64 v1, 0, 1, s1
	global_store_b32 v[2:3], v1, off
.LBB14_3297:
	s_mov_b32 s3, 0
.LBB14_3298:
	s_delay_alu instid0(SALU_CYCLE_1)
	s_and_not1_b32 vcc_lo, exec_lo, s3
	s_cbranch_vccnz .LBB14_3300
; %bb.3299:
	s_wait_xcnt 0x0
	v_cndmask_b32_e64 v1, 0, 1, s1
	global_store_b16 v[2:3], v1, off
.LBB14_3300:
	s_mov_b32 s3, 0
.LBB14_3301:
	s_delay_alu instid0(SALU_CYCLE_1)
	s_and_not1_b32 vcc_lo, exec_lo, s3
	s_cbranch_vccnz .LBB14_3306
; %bb.3302:
	s_wait_xcnt 0x0
	v_cndmask_b32_e64 v1, 0, 1, s1
	s_cmp_gt_i32 s0, 0
	s_mov_b32 s0, -1
	s_cbranch_scc0 .LBB14_3304
; %bb.3303:
	s_mov_b32 s0, 0
	global_store_b8 v[2:3], v1, off
.LBB14_3304:
	s_and_not1_b32 vcc_lo, exec_lo, s0
	s_cbranch_vccnz .LBB14_3306
; %bb.3305:
	global_store_b8 v[2:3], v1, off
.LBB14_3306:
	s_mov_b32 s11, -1
.LBB14_3307:
	s_delay_alu instid0(SALU_CYCLE_1)
	s_and_not1_b32 vcc_lo, exec_lo, s11
	s_cbranch_vccnz .LBB14_3622
; %bb.3308:
	s_lshl_b32 s1, s12, 7
	s_and_b32 s3, s14, s25
	v_add_nc_u32_e32 v0, s1, v0
	s_and_b32 s0, s13, s9
	s_and_b32 s3, s3, s2
	s_delay_alu instid0(SALU_CYCLE_1) | instskip(SKIP_3) | instid1(VALU_DEP_1)
	s_or_b32 s3, s0, s3
	s_wait_xcnt 0x0
	v_ashrrev_i32_e32 v1, 31, v0
	s_cmp_lt_i32 s22, 11
	v_add_nc_u64_e32 v[2:3], s[4:5], v[0:1]
	s_cbranch_scc1 .LBB14_3386
; %bb.3309:
	s_and_b32 s10, 0xffff, s22
	s_mov_b32 s13, -1
	s_mov_b32 s11, 0
	s_cmp_gt_i32 s10, 25
	s_mov_b32 s12, 0
	s_mov_b32 s0, 0
	s_cbranch_scc0 .LBB14_3342
; %bb.3310:
	s_cmp_gt_i32 s10, 28
	s_cbranch_scc0 .LBB14_3325
; %bb.3311:
	s_cmp_gt_i32 s10, 43
	;; [unrolled: 3-line block ×3, first 2 shown]
	s_cbranch_scc0 .LBB14_3315
; %bb.3313:
	s_mov_b32 s0, -1
	s_mov_b32 s13, 0
	s_cmp_eq_u32 s10, 46
	s_cbranch_scc0 .LBB14_3315
; %bb.3314:
	v_cndmask_b32_e64 v1, 0, 1.0, s3
	s_mov_b32 s0, 0
	s_mov_b32 s12, -1
	s_delay_alu instid0(VALU_DEP_1) | instskip(NEXT) | instid1(VALU_DEP_1)
	v_bfe_u32 v4, v1, 16, 1
	v_add3_u32 v1, v1, v4, 0x7fff
	s_delay_alu instid0(VALU_DEP_1)
	v_lshrrev_b32_e32 v1, 16, v1
	global_store_b32 v[2:3], v1, off
.LBB14_3315:
	s_and_b32 vcc_lo, exec_lo, s13
	s_cbranch_vccz .LBB14_3320
; %bb.3316:
	s_cmp_eq_u32 s10, 44
	s_mov_b32 s0, -1
	s_cbranch_scc0 .LBB14_3320
; %bb.3317:
	v_cndmask_b32_e64 v5, 0, 1.0, s3
	s_mov_b32 s12, exec_lo
	s_wait_xcnt 0x0
	s_delay_alu instid0(VALU_DEP_1) | instskip(NEXT) | instid1(VALU_DEP_1)
	v_dual_mov_b32 v4, 0xff :: v_dual_lshrrev_b32 v1, 23, v5
	v_cmpx_ne_u32_e32 0xff, v1
; %bb.3318:
	v_and_b32_e32 v4, 0x400000, v5
	v_and_or_b32 v5, 0x3fffff, v5, v1
	s_delay_alu instid0(VALU_DEP_2) | instskip(NEXT) | instid1(VALU_DEP_2)
	v_cmp_ne_u32_e32 vcc_lo, 0, v4
	v_cmp_ne_u32_e64 s0, 0, v5
	s_and_b32 s0, vcc_lo, s0
	s_delay_alu instid0(SALU_CYCLE_1) | instskip(NEXT) | instid1(VALU_DEP_1)
	v_cndmask_b32_e64 v4, 0, 1, s0
	v_add_nc_u32_e32 v4, v1, v4
; %bb.3319:
	s_or_b32 exec_lo, exec_lo, s12
	s_mov_b32 s0, 0
	s_mov_b32 s12, -1
	global_store_b8 v[2:3], v4, off
.LBB14_3320:
	s_mov_b32 s13, 0
.LBB14_3321:
	s_delay_alu instid0(SALU_CYCLE_1)
	s_and_b32 vcc_lo, exec_lo, s13
	s_cbranch_vccz .LBB14_3324
; %bb.3322:
	s_cmp_eq_u32 s10, 29
	s_mov_b32 s0, -1
	s_cbranch_scc0 .LBB14_3324
; %bb.3323:
	s_mov_b32 s0, 0
	s_wait_xcnt 0x0
	v_cndmask_b32_e64 v4, 0, 1, s3
	v_mov_b32_e32 v5, s0
	s_mov_b32 s12, -1
	global_store_b64 v[2:3], v[4:5], off
.LBB14_3324:
	s_mov_b32 s13, 0
.LBB14_3325:
	s_delay_alu instid0(SALU_CYCLE_1)
	s_and_b32 vcc_lo, exec_lo, s13
	s_cbranch_vccz .LBB14_3341
; %bb.3326:
	s_cmp_lt_i32 s10, 27
	s_mov_b32 s12, -1
	s_cbranch_scc1 .LBB14_3332
; %bb.3327:
	s_cmp_gt_i32 s10, 27
	s_cbranch_scc0 .LBB14_3329
; %bb.3328:
	s_wait_xcnt 0x0
	v_cndmask_b32_e64 v1, 0, 1, s3
	s_mov_b32 s12, 0
	global_store_b32 v[2:3], v1, off
.LBB14_3329:
	s_and_not1_b32 vcc_lo, exec_lo, s12
	s_cbranch_vccnz .LBB14_3331
; %bb.3330:
	s_wait_xcnt 0x0
	v_cndmask_b32_e64 v1, 0, 1, s3
	global_store_b16 v[2:3], v1, off
.LBB14_3331:
	s_mov_b32 s12, 0
.LBB14_3332:
	s_delay_alu instid0(SALU_CYCLE_1)
	s_and_not1_b32 vcc_lo, exec_lo, s12
	s_cbranch_vccnz .LBB14_3340
; %bb.3333:
	s_wait_xcnt 0x0
	v_cndmask_b32_e64 v4, 0, 1.0, s3
	v_mov_b32_e32 v5, 0x80
	s_mov_b32 s12, exec_lo
	s_delay_alu instid0(VALU_DEP_2)
	v_cmpx_gt_u32_e32 0x43800000, v4
	s_cbranch_execz .LBB14_3339
; %bb.3334:
	s_mov_b32 s13, 0
	s_mov_b32 s14, exec_lo
                                        ; implicit-def: $vgpr1
	v_cmpx_lt_u32_e32 0x3bffffff, v4
	s_xor_b32 s14, exec_lo, s14
	s_cbranch_execnz .LBB14_3675
; %bb.3335:
	s_and_not1_saveexec_b32 s14, s14
	s_cbranch_execnz .LBB14_3676
.LBB14_3336:
	s_or_b32 exec_lo, exec_lo, s14
	v_mov_b32_e32 v5, 0
	s_and_saveexec_b32 s14, s13
.LBB14_3337:
	v_mov_b32_e32 v5, v1
.LBB14_3338:
	s_or_b32 exec_lo, exec_lo, s14
.LBB14_3339:
	s_delay_alu instid0(SALU_CYCLE_1)
	s_or_b32 exec_lo, exec_lo, s12
	global_store_b8 v[2:3], v5, off
.LBB14_3340:
	s_mov_b32 s12, -1
.LBB14_3341:
	s_mov_b32 s13, 0
.LBB14_3342:
	s_delay_alu instid0(SALU_CYCLE_1)
	s_and_b32 vcc_lo, exec_lo, s13
	s_cbranch_vccz .LBB14_3382
; %bb.3343:
	s_cmp_gt_i32 s10, 22
	s_mov_b32 s11, -1
	s_cbranch_scc0 .LBB14_3375
; %bb.3344:
	s_cmp_lt_i32 s10, 24
	s_cbranch_scc1 .LBB14_3364
; %bb.3345:
	s_cmp_gt_i32 s10, 24
	s_cbranch_scc0 .LBB14_3353
; %bb.3346:
	s_wait_xcnt 0x0
	v_cndmask_b32_e64 v4, 0, 1.0, s3
	v_mov_b32_e32 v5, 0x80
	s_mov_b32 s11, exec_lo
	s_delay_alu instid0(VALU_DEP_2)
	v_cmpx_gt_u32_e32 0x47800000, v4
	s_cbranch_execz .LBB14_3352
; %bb.3347:
	s_mov_b32 s12, 0
	s_mov_b32 s13, exec_lo
                                        ; implicit-def: $vgpr1
	v_cmpx_lt_u32_e32 0x37ffffff, v4
	s_xor_b32 s13, exec_lo, s13
	s_cbranch_execnz .LBB14_3678
; %bb.3348:
	s_and_not1_saveexec_b32 s13, s13
	s_cbranch_execnz .LBB14_3679
.LBB14_3349:
	s_or_b32 exec_lo, exec_lo, s13
	v_mov_b32_e32 v5, 0
	s_and_saveexec_b32 s13, s12
.LBB14_3350:
	v_mov_b32_e32 v5, v1
.LBB14_3351:
	s_or_b32 exec_lo, exec_lo, s13
.LBB14_3352:
	s_delay_alu instid0(SALU_CYCLE_1)
	s_or_b32 exec_lo, exec_lo, s11
	s_mov_b32 s11, 0
	global_store_b8 v[2:3], v5, off
.LBB14_3353:
	s_and_b32 vcc_lo, exec_lo, s11
	s_cbranch_vccz .LBB14_3363
; %bb.3354:
	s_wait_xcnt 0x0
	v_cndmask_b32_e64 v4, 0, 1.0, s3
	s_mov_b32 s11, exec_lo
                                        ; implicit-def: $vgpr1
	s_delay_alu instid0(VALU_DEP_1)
	v_cmpx_gt_u32_e32 0x43f00000, v4
	s_xor_b32 s11, exec_lo, s11
	s_cbranch_execz .LBB14_3360
; %bb.3355:
	s_mov_b32 s12, exec_lo
                                        ; implicit-def: $vgpr1
	v_cmpx_lt_u32_e32 0x3c7fffff, v4
	s_xor_b32 s12, exec_lo, s12
; %bb.3356:
	v_bfe_u32 v1, v4, 20, 1
	s_delay_alu instid0(VALU_DEP_1) | instskip(NEXT) | instid1(VALU_DEP_1)
	v_add3_u32 v1, v4, v1, 0x407ffff
	v_and_b32_e32 v4, 0xff00000, v1
	v_lshrrev_b32_e32 v1, 20, v1
	s_delay_alu instid0(VALU_DEP_2) | instskip(NEXT) | instid1(VALU_DEP_2)
	v_cmp_ne_u32_e32 vcc_lo, 0x7f00000, v4
                                        ; implicit-def: $vgpr4
	v_cndmask_b32_e32 v1, 0x7e, v1, vcc_lo
; %bb.3357:
	s_and_not1_saveexec_b32 s12, s12
; %bb.3358:
	v_add_f32_e32 v1, 0x46800000, v4
; %bb.3359:
	s_or_b32 exec_lo, exec_lo, s12
                                        ; implicit-def: $vgpr4
.LBB14_3360:
	s_and_not1_saveexec_b32 s11, s11
; %bb.3361:
	v_mov_b32_e32 v1, 0x7f
	v_cmp_lt_u32_e32 vcc_lo, 0x7f800000, v4
	s_delay_alu instid0(VALU_DEP_2)
	v_cndmask_b32_e32 v1, 0x7e, v1, vcc_lo
; %bb.3362:
	s_or_b32 exec_lo, exec_lo, s11
	global_store_b8 v[2:3], v1, off
.LBB14_3363:
	s_mov_b32 s11, 0
.LBB14_3364:
	s_delay_alu instid0(SALU_CYCLE_1)
	s_and_not1_b32 vcc_lo, exec_lo, s11
	s_cbranch_vccnz .LBB14_3374
; %bb.3365:
	s_wait_xcnt 0x0
	v_cndmask_b32_e64 v4, 0, 1.0, s3
	s_mov_b32 s11, exec_lo
                                        ; implicit-def: $vgpr1
	s_delay_alu instid0(VALU_DEP_1)
	v_cmpx_gt_u32_e32 0x47800000, v4
	s_xor_b32 s11, exec_lo, s11
	s_cbranch_execz .LBB14_3371
; %bb.3366:
	s_mov_b32 s12, exec_lo
                                        ; implicit-def: $vgpr1
	v_cmpx_lt_u32_e32 0x387fffff, v4
	s_xor_b32 s12, exec_lo, s12
; %bb.3367:
	v_bfe_u32 v1, v4, 21, 1
	s_delay_alu instid0(VALU_DEP_1) | instskip(NEXT) | instid1(VALU_DEP_1)
	v_add3_u32 v1, v4, v1, 0x80fffff
                                        ; implicit-def: $vgpr4
	v_lshrrev_b32_e32 v1, 21, v1
; %bb.3368:
	s_and_not1_saveexec_b32 s12, s12
; %bb.3369:
	v_add_f32_e32 v1, 0x43000000, v4
; %bb.3370:
	s_or_b32 exec_lo, exec_lo, s12
                                        ; implicit-def: $vgpr4
.LBB14_3371:
	s_and_not1_saveexec_b32 s11, s11
; %bb.3372:
	v_mov_b32_e32 v1, 0x7f
	v_cmp_lt_u32_e32 vcc_lo, 0x7f800000, v4
	s_delay_alu instid0(VALU_DEP_2)
	v_cndmask_b32_e32 v1, 0x7c, v1, vcc_lo
; %bb.3373:
	s_or_b32 exec_lo, exec_lo, s11
	global_store_b8 v[2:3], v1, off
.LBB14_3374:
	s_mov_b32 s11, 0
	s_mov_b32 s12, -1
.LBB14_3375:
	s_and_not1_b32 vcc_lo, exec_lo, s11
	s_mov_b32 s11, 0
	s_cbranch_vccnz .LBB14_3382
; %bb.3376:
	s_cmp_gt_i32 s10, 14
	s_mov_b32 s11, -1
	s_cbranch_scc0 .LBB14_3380
; %bb.3377:
	s_cmp_eq_u32 s10, 15
	s_mov_b32 s0, -1
	s_cbranch_scc0 .LBB14_3379
; %bb.3378:
	s_wait_xcnt 0x0
	v_cndmask_b32_e64 v1, 0, 1.0, s3
	s_mov_b32 s0, 0
	s_mov_b32 s12, -1
	s_delay_alu instid0(VALU_DEP_1) | instskip(NEXT) | instid1(VALU_DEP_1)
	v_bfe_u32 v4, v1, 16, 1
	v_add3_u32 v1, v1, v4, 0x7fff
	global_store_d16_hi_b16 v[2:3], v1, off
.LBB14_3379:
	s_mov_b32 s11, 0
.LBB14_3380:
	s_delay_alu instid0(SALU_CYCLE_1)
	s_and_b32 vcc_lo, exec_lo, s11
	s_mov_b32 s11, 0
	s_cbranch_vccz .LBB14_3382
; %bb.3381:
	s_cmp_lg_u32 s10, 11
	s_mov_b32 s11, -1
	s_cselect_b32 s0, -1, 0
.LBB14_3382:
	s_delay_alu instid0(SALU_CYCLE_1)
	s_and_b32 vcc_lo, exec_lo, s0
	s_cbranch_vccnz .LBB14_3672
; %bb.3383:
	s_and_not1_b32 vcc_lo, exec_lo, s11
	s_cbranch_vccnz .LBB14_3385
.LBB14_3384:
	s_wait_xcnt 0x0
	v_cndmask_b32_e64 v1, 0, 1, s3
	s_mov_b32 s12, -1
	global_store_b8 v[2:3], v1, off
.LBB14_3385:
	s_mov_b32 s0, 0
	s_branch .LBB14_3387
.LBB14_3386:
	s_mov_b32 s0, -1
	s_mov_b32 s12, 0
.LBB14_3387:
	s_and_b32 vcc_lo, exec_lo, s0
	s_cbranch_vccz .LBB14_3426
; %bb.3388:
	s_and_b32 s0, 0xffff, s22
	s_mov_b32 s10, -1
	s_cmp_lt_i32 s0, 5
	s_cbranch_scc1 .LBB14_3409
; %bb.3389:
	s_cmp_lt_i32 s0, 8
	s_cbranch_scc1 .LBB14_3399
; %bb.3390:
	;; [unrolled: 3-line block ×3, first 2 shown]
	s_cmp_gt_i32 s0, 9
	s_cbranch_scc0 .LBB14_3393
; %bb.3392:
	s_wait_xcnt 0x0
	v_cndmask_b32_e64 v1, 0, 1, s3
	v_mov_b32_e32 v6, 0
	s_mov_b32 s10, 0
	s_delay_alu instid0(VALU_DEP_2) | instskip(NEXT) | instid1(VALU_DEP_2)
	v_cvt_f64_u32_e32 v[4:5], v1
	v_mov_b32_e32 v7, v6
	global_store_b128 v[2:3], v[4:7], off
.LBB14_3393:
	s_and_not1_b32 vcc_lo, exec_lo, s10
	s_cbranch_vccnz .LBB14_3395
; %bb.3394:
	s_wait_xcnt 0x0
	v_cndmask_b32_e64 v4, 0, 1.0, s3
	v_mov_b32_e32 v5, 0
	global_store_b64 v[2:3], v[4:5], off
.LBB14_3395:
	s_mov_b32 s10, 0
.LBB14_3396:
	s_delay_alu instid0(SALU_CYCLE_1)
	s_and_not1_b32 vcc_lo, exec_lo, s10
	s_cbranch_vccnz .LBB14_3398
; %bb.3397:
	s_wait_xcnt 0x0
	v_cndmask_b32_e64 v1, 0, 1.0, s3
	s_delay_alu instid0(VALU_DEP_1) | instskip(NEXT) | instid1(VALU_DEP_1)
	v_cvt_f16_f32_e32 v1, v1
	v_and_b32_e32 v1, 0xffff, v1
	global_store_b32 v[2:3], v1, off
.LBB14_3398:
	s_mov_b32 s10, 0
.LBB14_3399:
	s_delay_alu instid0(SALU_CYCLE_1)
	s_and_not1_b32 vcc_lo, exec_lo, s10
	s_cbranch_vccnz .LBB14_3408
; %bb.3400:
	s_cmp_lt_i32 s0, 6
	s_mov_b32 s10, -1
	s_cbranch_scc1 .LBB14_3406
; %bb.3401:
	s_cmp_gt_i32 s0, 6
	s_cbranch_scc0 .LBB14_3403
; %bb.3402:
	s_wait_xcnt 0x0
	v_cndmask_b32_e64 v1, 0, 1, s3
	s_mov_b32 s10, 0
	s_delay_alu instid0(VALU_DEP_1)
	v_cvt_f64_u32_e32 v[4:5], v1
	global_store_b64 v[2:3], v[4:5], off
.LBB14_3403:
	s_and_not1_b32 vcc_lo, exec_lo, s10
	s_cbranch_vccnz .LBB14_3405
; %bb.3404:
	s_wait_xcnt 0x0
	v_cndmask_b32_e64 v1, 0, 1.0, s3
	global_store_b32 v[2:3], v1, off
.LBB14_3405:
	s_mov_b32 s10, 0
.LBB14_3406:
	s_delay_alu instid0(SALU_CYCLE_1)
	s_and_not1_b32 vcc_lo, exec_lo, s10
	s_cbranch_vccnz .LBB14_3408
; %bb.3407:
	s_wait_xcnt 0x0
	v_cndmask_b32_e64 v1, 0, 1.0, s3
	s_delay_alu instid0(VALU_DEP_1)
	v_cvt_f16_f32_e32 v1, v1
	global_store_b16 v[2:3], v1, off
.LBB14_3408:
	s_mov_b32 s10, 0
.LBB14_3409:
	s_delay_alu instid0(SALU_CYCLE_1)
	s_and_not1_b32 vcc_lo, exec_lo, s10
	s_cbranch_vccnz .LBB14_3425
; %bb.3410:
	s_cmp_lt_i32 s0, 2
	s_mov_b32 s10, -1
	s_cbranch_scc1 .LBB14_3420
; %bb.3411:
	s_cmp_lt_i32 s0, 3
	s_cbranch_scc1 .LBB14_3417
; %bb.3412:
	s_cmp_gt_i32 s0, 3
	s_cbranch_scc0 .LBB14_3414
; %bb.3413:
	s_mov_b32 s10, 0
	s_wait_xcnt 0x0
	v_cndmask_b32_e64 v4, 0, 1, s3
	v_mov_b32_e32 v5, s10
	global_store_b64 v[2:3], v[4:5], off
.LBB14_3414:
	s_and_not1_b32 vcc_lo, exec_lo, s10
	s_cbranch_vccnz .LBB14_3416
; %bb.3415:
	s_wait_xcnt 0x0
	v_cndmask_b32_e64 v1, 0, 1, s3
	global_store_b32 v[2:3], v1, off
.LBB14_3416:
	s_mov_b32 s10, 0
.LBB14_3417:
	s_delay_alu instid0(SALU_CYCLE_1)
	s_and_not1_b32 vcc_lo, exec_lo, s10
	s_cbranch_vccnz .LBB14_3419
; %bb.3418:
	s_wait_xcnt 0x0
	v_cndmask_b32_e64 v1, 0, 1, s3
	global_store_b16 v[2:3], v1, off
.LBB14_3419:
	s_mov_b32 s10, 0
.LBB14_3420:
	s_delay_alu instid0(SALU_CYCLE_1)
	s_and_not1_b32 vcc_lo, exec_lo, s10
	s_cbranch_vccnz .LBB14_3425
; %bb.3421:
	s_wait_xcnt 0x0
	v_cndmask_b32_e64 v1, 0, 1, s3
	s_cmp_gt_i32 s0, 0
	s_mov_b32 s0, -1
	s_cbranch_scc0 .LBB14_3423
; %bb.3422:
	s_mov_b32 s0, 0
	global_store_b8 v[2:3], v1, off
.LBB14_3423:
	s_and_not1_b32 vcc_lo, exec_lo, s0
	s_cbranch_vccnz .LBB14_3425
; %bb.3424:
	global_store_b8 v[2:3], v1, off
.LBB14_3425:
	s_mov_b32 s12, -1
.LBB14_3426:
	s_delay_alu instid0(SALU_CYCLE_1)
	s_and_not1_b32 vcc_lo, exec_lo, s12
	s_cbranch_vccnz .LBB14_3622
; %bb.3427:
	v_add_nc_u32_e32 v0, s1, v0
	s_and_b32 s3, s26, s27
	s_and_b32 s0, s15, s9
	;; [unrolled: 1-line block ×3, first 2 shown]
	s_delay_alu instid0(SALU_CYCLE_1) | instskip(SKIP_3) | instid1(VALU_DEP_1)
	s_or_b32 s3, s0, s3
	s_wait_xcnt 0x0
	v_ashrrev_i32_e32 v1, 31, v0
	s_cmp_lt_i32 s22, 11
	v_add_nc_u64_e32 v[2:3], s[4:5], v[0:1]
	s_cbranch_scc1 .LBB14_3505
; %bb.3428:
	s_and_b32 s10, 0xffff, s22
	s_mov_b32 s13, -1
	s_mov_b32 s11, 0
	s_cmp_gt_i32 s10, 25
	s_mov_b32 s12, 0
	s_mov_b32 s0, 0
	s_cbranch_scc0 .LBB14_3461
; %bb.3429:
	s_cmp_gt_i32 s10, 28
	s_cbranch_scc0 .LBB14_3444
; %bb.3430:
	s_cmp_gt_i32 s10, 43
	;; [unrolled: 3-line block ×3, first 2 shown]
	s_cbranch_scc0 .LBB14_3434
; %bb.3432:
	s_mov_b32 s0, -1
	s_mov_b32 s13, 0
	s_cmp_eq_u32 s10, 46
	s_cbranch_scc0 .LBB14_3434
; %bb.3433:
	v_cndmask_b32_e64 v1, 0, 1.0, s3
	s_mov_b32 s0, 0
	s_mov_b32 s12, -1
	s_delay_alu instid0(VALU_DEP_1) | instskip(NEXT) | instid1(VALU_DEP_1)
	v_bfe_u32 v4, v1, 16, 1
	v_add3_u32 v1, v1, v4, 0x7fff
	s_delay_alu instid0(VALU_DEP_1)
	v_lshrrev_b32_e32 v1, 16, v1
	global_store_b32 v[2:3], v1, off
.LBB14_3434:
	s_and_b32 vcc_lo, exec_lo, s13
	s_cbranch_vccz .LBB14_3439
; %bb.3435:
	s_cmp_eq_u32 s10, 44
	s_mov_b32 s0, -1
	s_cbranch_scc0 .LBB14_3439
; %bb.3436:
	v_cndmask_b32_e64 v5, 0, 1.0, s3
	s_mov_b32 s12, exec_lo
	s_wait_xcnt 0x0
	s_delay_alu instid0(VALU_DEP_1) | instskip(NEXT) | instid1(VALU_DEP_1)
	v_dual_mov_b32 v4, 0xff :: v_dual_lshrrev_b32 v1, 23, v5
	v_cmpx_ne_u32_e32 0xff, v1
; %bb.3437:
	v_and_b32_e32 v4, 0x400000, v5
	v_and_or_b32 v5, 0x3fffff, v5, v1
	s_delay_alu instid0(VALU_DEP_2) | instskip(NEXT) | instid1(VALU_DEP_2)
	v_cmp_ne_u32_e32 vcc_lo, 0, v4
	v_cmp_ne_u32_e64 s0, 0, v5
	s_and_b32 s0, vcc_lo, s0
	s_delay_alu instid0(SALU_CYCLE_1) | instskip(NEXT) | instid1(VALU_DEP_1)
	v_cndmask_b32_e64 v4, 0, 1, s0
	v_add_nc_u32_e32 v4, v1, v4
; %bb.3438:
	s_or_b32 exec_lo, exec_lo, s12
	s_mov_b32 s0, 0
	s_mov_b32 s12, -1
	global_store_b8 v[2:3], v4, off
.LBB14_3439:
	s_mov_b32 s13, 0
.LBB14_3440:
	s_delay_alu instid0(SALU_CYCLE_1)
	s_and_b32 vcc_lo, exec_lo, s13
	s_cbranch_vccz .LBB14_3443
; %bb.3441:
	s_cmp_eq_u32 s10, 29
	s_mov_b32 s0, -1
	s_cbranch_scc0 .LBB14_3443
; %bb.3442:
	s_mov_b32 s0, 0
	s_wait_xcnt 0x0
	v_cndmask_b32_e64 v4, 0, 1, s3
	v_mov_b32_e32 v5, s0
	s_mov_b32 s12, -1
	global_store_b64 v[2:3], v[4:5], off
.LBB14_3443:
	s_mov_b32 s13, 0
.LBB14_3444:
	s_delay_alu instid0(SALU_CYCLE_1)
	s_and_b32 vcc_lo, exec_lo, s13
	s_cbranch_vccz .LBB14_3460
; %bb.3445:
	s_cmp_lt_i32 s10, 27
	s_mov_b32 s12, -1
	s_cbranch_scc1 .LBB14_3451
; %bb.3446:
	s_cmp_gt_i32 s10, 27
	s_cbranch_scc0 .LBB14_3448
; %bb.3447:
	s_wait_xcnt 0x0
	v_cndmask_b32_e64 v1, 0, 1, s3
	s_mov_b32 s12, 0
	global_store_b32 v[2:3], v1, off
.LBB14_3448:
	s_and_not1_b32 vcc_lo, exec_lo, s12
	s_cbranch_vccnz .LBB14_3450
; %bb.3449:
	s_wait_xcnt 0x0
	v_cndmask_b32_e64 v1, 0, 1, s3
	global_store_b16 v[2:3], v1, off
.LBB14_3450:
	s_mov_b32 s12, 0
.LBB14_3451:
	s_delay_alu instid0(SALU_CYCLE_1)
	s_and_not1_b32 vcc_lo, exec_lo, s12
	s_cbranch_vccnz .LBB14_3459
; %bb.3452:
	s_wait_xcnt 0x0
	v_cndmask_b32_e64 v4, 0, 1.0, s3
	v_mov_b32_e32 v5, 0x80
	s_mov_b32 s12, exec_lo
	s_delay_alu instid0(VALU_DEP_2)
	v_cmpx_gt_u32_e32 0x43800000, v4
	s_cbranch_execz .LBB14_3458
; %bb.3453:
	s_mov_b32 s13, 0
	s_mov_b32 s14, exec_lo
                                        ; implicit-def: $vgpr1
	v_cmpx_lt_u32_e32 0x3bffffff, v4
	s_xor_b32 s14, exec_lo, s14
	s_cbranch_execnz .LBB14_3680
; %bb.3454:
	s_and_not1_saveexec_b32 s14, s14
	s_cbranch_execnz .LBB14_3681
.LBB14_3455:
	s_or_b32 exec_lo, exec_lo, s14
	v_mov_b32_e32 v5, 0
	s_and_saveexec_b32 s14, s13
.LBB14_3456:
	v_mov_b32_e32 v5, v1
.LBB14_3457:
	s_or_b32 exec_lo, exec_lo, s14
.LBB14_3458:
	s_delay_alu instid0(SALU_CYCLE_1)
	s_or_b32 exec_lo, exec_lo, s12
	global_store_b8 v[2:3], v5, off
.LBB14_3459:
	s_mov_b32 s12, -1
.LBB14_3460:
	s_mov_b32 s13, 0
.LBB14_3461:
	s_delay_alu instid0(SALU_CYCLE_1)
	s_and_b32 vcc_lo, exec_lo, s13
	s_cbranch_vccz .LBB14_3501
; %bb.3462:
	s_cmp_gt_i32 s10, 22
	s_mov_b32 s11, -1
	s_cbranch_scc0 .LBB14_3494
; %bb.3463:
	s_cmp_lt_i32 s10, 24
	s_cbranch_scc1 .LBB14_3483
; %bb.3464:
	s_cmp_gt_i32 s10, 24
	s_cbranch_scc0 .LBB14_3472
; %bb.3465:
	s_wait_xcnt 0x0
	v_cndmask_b32_e64 v4, 0, 1.0, s3
	v_mov_b32_e32 v5, 0x80
	s_mov_b32 s11, exec_lo
	s_delay_alu instid0(VALU_DEP_2)
	v_cmpx_gt_u32_e32 0x47800000, v4
	s_cbranch_execz .LBB14_3471
; %bb.3466:
	s_mov_b32 s12, 0
	s_mov_b32 s13, exec_lo
                                        ; implicit-def: $vgpr1
	v_cmpx_lt_u32_e32 0x37ffffff, v4
	s_xor_b32 s13, exec_lo, s13
	s_cbranch_execnz .LBB14_3683
; %bb.3467:
	s_and_not1_saveexec_b32 s13, s13
	s_cbranch_execnz .LBB14_3684
.LBB14_3468:
	s_or_b32 exec_lo, exec_lo, s13
	v_mov_b32_e32 v5, 0
	s_and_saveexec_b32 s13, s12
.LBB14_3469:
	v_mov_b32_e32 v5, v1
.LBB14_3470:
	s_or_b32 exec_lo, exec_lo, s13
.LBB14_3471:
	s_delay_alu instid0(SALU_CYCLE_1)
	s_or_b32 exec_lo, exec_lo, s11
	s_mov_b32 s11, 0
	global_store_b8 v[2:3], v5, off
.LBB14_3472:
	s_and_b32 vcc_lo, exec_lo, s11
	s_cbranch_vccz .LBB14_3482
; %bb.3473:
	s_wait_xcnt 0x0
	v_cndmask_b32_e64 v4, 0, 1.0, s3
	s_mov_b32 s11, exec_lo
                                        ; implicit-def: $vgpr1
	s_delay_alu instid0(VALU_DEP_1)
	v_cmpx_gt_u32_e32 0x43f00000, v4
	s_xor_b32 s11, exec_lo, s11
	s_cbranch_execz .LBB14_3479
; %bb.3474:
	s_mov_b32 s12, exec_lo
                                        ; implicit-def: $vgpr1
	v_cmpx_lt_u32_e32 0x3c7fffff, v4
	s_xor_b32 s12, exec_lo, s12
; %bb.3475:
	v_bfe_u32 v1, v4, 20, 1
	s_delay_alu instid0(VALU_DEP_1) | instskip(NEXT) | instid1(VALU_DEP_1)
	v_add3_u32 v1, v4, v1, 0x407ffff
	v_and_b32_e32 v4, 0xff00000, v1
	v_lshrrev_b32_e32 v1, 20, v1
	s_delay_alu instid0(VALU_DEP_2) | instskip(NEXT) | instid1(VALU_DEP_2)
	v_cmp_ne_u32_e32 vcc_lo, 0x7f00000, v4
                                        ; implicit-def: $vgpr4
	v_cndmask_b32_e32 v1, 0x7e, v1, vcc_lo
; %bb.3476:
	s_and_not1_saveexec_b32 s12, s12
; %bb.3477:
	v_add_f32_e32 v1, 0x46800000, v4
; %bb.3478:
	s_or_b32 exec_lo, exec_lo, s12
                                        ; implicit-def: $vgpr4
.LBB14_3479:
	s_and_not1_saveexec_b32 s11, s11
; %bb.3480:
	v_mov_b32_e32 v1, 0x7f
	v_cmp_lt_u32_e32 vcc_lo, 0x7f800000, v4
	s_delay_alu instid0(VALU_DEP_2)
	v_cndmask_b32_e32 v1, 0x7e, v1, vcc_lo
; %bb.3481:
	s_or_b32 exec_lo, exec_lo, s11
	global_store_b8 v[2:3], v1, off
.LBB14_3482:
	s_mov_b32 s11, 0
.LBB14_3483:
	s_delay_alu instid0(SALU_CYCLE_1)
	s_and_not1_b32 vcc_lo, exec_lo, s11
	s_cbranch_vccnz .LBB14_3493
; %bb.3484:
	s_wait_xcnt 0x0
	v_cndmask_b32_e64 v4, 0, 1.0, s3
	s_mov_b32 s11, exec_lo
                                        ; implicit-def: $vgpr1
	s_delay_alu instid0(VALU_DEP_1)
	v_cmpx_gt_u32_e32 0x47800000, v4
	s_xor_b32 s11, exec_lo, s11
	s_cbranch_execz .LBB14_3490
; %bb.3485:
	s_mov_b32 s12, exec_lo
                                        ; implicit-def: $vgpr1
	v_cmpx_lt_u32_e32 0x387fffff, v4
	s_xor_b32 s12, exec_lo, s12
; %bb.3486:
	v_bfe_u32 v1, v4, 21, 1
	s_delay_alu instid0(VALU_DEP_1) | instskip(NEXT) | instid1(VALU_DEP_1)
	v_add3_u32 v1, v4, v1, 0x80fffff
                                        ; implicit-def: $vgpr4
	v_lshrrev_b32_e32 v1, 21, v1
; %bb.3487:
	s_and_not1_saveexec_b32 s12, s12
; %bb.3488:
	v_add_f32_e32 v1, 0x43000000, v4
; %bb.3489:
	s_or_b32 exec_lo, exec_lo, s12
                                        ; implicit-def: $vgpr4
.LBB14_3490:
	s_and_not1_saveexec_b32 s11, s11
; %bb.3491:
	v_mov_b32_e32 v1, 0x7f
	v_cmp_lt_u32_e32 vcc_lo, 0x7f800000, v4
	s_delay_alu instid0(VALU_DEP_2)
	v_cndmask_b32_e32 v1, 0x7c, v1, vcc_lo
; %bb.3492:
	s_or_b32 exec_lo, exec_lo, s11
	global_store_b8 v[2:3], v1, off
.LBB14_3493:
	s_mov_b32 s11, 0
	s_mov_b32 s12, -1
.LBB14_3494:
	s_and_not1_b32 vcc_lo, exec_lo, s11
	s_mov_b32 s11, 0
	s_cbranch_vccnz .LBB14_3501
; %bb.3495:
	s_cmp_gt_i32 s10, 14
	s_mov_b32 s11, -1
	s_cbranch_scc0 .LBB14_3499
; %bb.3496:
	s_cmp_eq_u32 s10, 15
	s_mov_b32 s0, -1
	s_cbranch_scc0 .LBB14_3498
; %bb.3497:
	s_wait_xcnt 0x0
	v_cndmask_b32_e64 v1, 0, 1.0, s3
	s_mov_b32 s0, 0
	s_mov_b32 s12, -1
	s_delay_alu instid0(VALU_DEP_1) | instskip(NEXT) | instid1(VALU_DEP_1)
	v_bfe_u32 v4, v1, 16, 1
	v_add3_u32 v1, v1, v4, 0x7fff
	global_store_d16_hi_b16 v[2:3], v1, off
.LBB14_3498:
	s_mov_b32 s11, 0
.LBB14_3499:
	s_delay_alu instid0(SALU_CYCLE_1)
	s_and_b32 vcc_lo, exec_lo, s11
	s_mov_b32 s11, 0
	s_cbranch_vccz .LBB14_3501
; %bb.3500:
	s_cmp_lg_u32 s10, 11
	s_mov_b32 s11, -1
	s_cselect_b32 s0, -1, 0
.LBB14_3501:
	s_delay_alu instid0(SALU_CYCLE_1)
	s_and_b32 vcc_lo, exec_lo, s0
	s_cbranch_vccnz .LBB14_3677
; %bb.3502:
	s_and_not1_b32 vcc_lo, exec_lo, s11
	s_cbranch_vccnz .LBB14_3504
.LBB14_3503:
	s_wait_xcnt 0x0
	v_cndmask_b32_e64 v1, 0, 1, s3
	s_mov_b32 s12, -1
	global_store_b8 v[2:3], v1, off
.LBB14_3504:
	s_mov_b32 s0, 0
	s_branch .LBB14_3506
.LBB14_3505:
	s_mov_b32 s0, -1
	s_mov_b32 s12, 0
.LBB14_3506:
	s_and_b32 vcc_lo, exec_lo, s0
	s_cbranch_vccz .LBB14_3545
; %bb.3507:
	s_and_b32 s0, 0xffff, s22
	s_mov_b32 s10, -1
	s_cmp_lt_i32 s0, 5
	s_cbranch_scc1 .LBB14_3528
; %bb.3508:
	s_cmp_lt_i32 s0, 8
	s_cbranch_scc1 .LBB14_3518
; %bb.3509:
	;; [unrolled: 3-line block ×3, first 2 shown]
	s_cmp_gt_i32 s0, 9
	s_cbranch_scc0 .LBB14_3512
; %bb.3511:
	s_wait_xcnt 0x0
	v_cndmask_b32_e64 v1, 0, 1, s3
	v_mov_b32_e32 v6, 0
	s_mov_b32 s10, 0
	s_delay_alu instid0(VALU_DEP_2) | instskip(NEXT) | instid1(VALU_DEP_2)
	v_cvt_f64_u32_e32 v[4:5], v1
	v_mov_b32_e32 v7, v6
	global_store_b128 v[2:3], v[4:7], off
.LBB14_3512:
	s_and_not1_b32 vcc_lo, exec_lo, s10
	s_cbranch_vccnz .LBB14_3514
; %bb.3513:
	s_wait_xcnt 0x0
	v_cndmask_b32_e64 v4, 0, 1.0, s3
	v_mov_b32_e32 v5, 0
	global_store_b64 v[2:3], v[4:5], off
.LBB14_3514:
	s_mov_b32 s10, 0
.LBB14_3515:
	s_delay_alu instid0(SALU_CYCLE_1)
	s_and_not1_b32 vcc_lo, exec_lo, s10
	s_cbranch_vccnz .LBB14_3517
; %bb.3516:
	s_wait_xcnt 0x0
	v_cndmask_b32_e64 v1, 0, 1.0, s3
	s_delay_alu instid0(VALU_DEP_1) | instskip(NEXT) | instid1(VALU_DEP_1)
	v_cvt_f16_f32_e32 v1, v1
	v_and_b32_e32 v1, 0xffff, v1
	global_store_b32 v[2:3], v1, off
.LBB14_3517:
	s_mov_b32 s10, 0
.LBB14_3518:
	s_delay_alu instid0(SALU_CYCLE_1)
	s_and_not1_b32 vcc_lo, exec_lo, s10
	s_cbranch_vccnz .LBB14_3527
; %bb.3519:
	s_cmp_lt_i32 s0, 6
	s_mov_b32 s10, -1
	s_cbranch_scc1 .LBB14_3525
; %bb.3520:
	s_cmp_gt_i32 s0, 6
	s_cbranch_scc0 .LBB14_3522
; %bb.3521:
	s_wait_xcnt 0x0
	v_cndmask_b32_e64 v1, 0, 1, s3
	s_mov_b32 s10, 0
	s_delay_alu instid0(VALU_DEP_1)
	v_cvt_f64_u32_e32 v[4:5], v1
	global_store_b64 v[2:3], v[4:5], off
.LBB14_3522:
	s_and_not1_b32 vcc_lo, exec_lo, s10
	s_cbranch_vccnz .LBB14_3524
; %bb.3523:
	s_wait_xcnt 0x0
	v_cndmask_b32_e64 v1, 0, 1.0, s3
	global_store_b32 v[2:3], v1, off
.LBB14_3524:
	s_mov_b32 s10, 0
.LBB14_3525:
	s_delay_alu instid0(SALU_CYCLE_1)
	s_and_not1_b32 vcc_lo, exec_lo, s10
	s_cbranch_vccnz .LBB14_3527
; %bb.3526:
	s_wait_xcnt 0x0
	v_cndmask_b32_e64 v1, 0, 1.0, s3
	s_delay_alu instid0(VALU_DEP_1)
	v_cvt_f16_f32_e32 v1, v1
	global_store_b16 v[2:3], v1, off
.LBB14_3527:
	s_mov_b32 s10, 0
.LBB14_3528:
	s_delay_alu instid0(SALU_CYCLE_1)
	s_and_not1_b32 vcc_lo, exec_lo, s10
	s_cbranch_vccnz .LBB14_3544
; %bb.3529:
	s_cmp_lt_i32 s0, 2
	s_mov_b32 s10, -1
	s_cbranch_scc1 .LBB14_3539
; %bb.3530:
	s_cmp_lt_i32 s0, 3
	s_cbranch_scc1 .LBB14_3536
; %bb.3531:
	s_cmp_gt_i32 s0, 3
	s_cbranch_scc0 .LBB14_3533
; %bb.3532:
	s_mov_b32 s10, 0
	s_wait_xcnt 0x0
	v_cndmask_b32_e64 v4, 0, 1, s3
	v_mov_b32_e32 v5, s10
	global_store_b64 v[2:3], v[4:5], off
.LBB14_3533:
	s_and_not1_b32 vcc_lo, exec_lo, s10
	s_cbranch_vccnz .LBB14_3535
; %bb.3534:
	s_wait_xcnt 0x0
	v_cndmask_b32_e64 v1, 0, 1, s3
	global_store_b32 v[2:3], v1, off
.LBB14_3535:
	s_mov_b32 s10, 0
.LBB14_3536:
	s_delay_alu instid0(SALU_CYCLE_1)
	s_and_not1_b32 vcc_lo, exec_lo, s10
	s_cbranch_vccnz .LBB14_3538
; %bb.3537:
	s_wait_xcnt 0x0
	v_cndmask_b32_e64 v1, 0, 1, s3
	global_store_b16 v[2:3], v1, off
.LBB14_3538:
	s_mov_b32 s10, 0
.LBB14_3539:
	s_delay_alu instid0(SALU_CYCLE_1)
	s_and_not1_b32 vcc_lo, exec_lo, s10
	s_cbranch_vccnz .LBB14_3544
; %bb.3540:
	s_wait_xcnt 0x0
	v_cndmask_b32_e64 v1, 0, 1, s3
	s_cmp_gt_i32 s0, 0
	s_mov_b32 s0, -1
	s_cbranch_scc0 .LBB14_3542
; %bb.3541:
	s_mov_b32 s0, 0
	global_store_b8 v[2:3], v1, off
.LBB14_3542:
	s_and_not1_b32 vcc_lo, exec_lo, s0
	s_cbranch_vccnz .LBB14_3544
; %bb.3543:
	global_store_b8 v[2:3], v1, off
.LBB14_3544:
	s_mov_b32 s12, -1
.LBB14_3545:
	s_delay_alu instid0(SALU_CYCLE_1)
	s_and_not1_b32 vcc_lo, exec_lo, s12
	s_cbranch_vccnz .LBB14_3622
; %bb.3546:
	v_add_nc_u32_e32 v0, s1, v0
	s_and_b32 s1, s7, s8
	s_and_b32 s0, s6, s9
	;; [unrolled: 1-line block ×3, first 2 shown]
	s_delay_alu instid0(SALU_CYCLE_1) | instskip(SKIP_3) | instid1(VALU_DEP_1)
	s_or_b32 s23, s0, s1
	s_wait_xcnt 0x0
	v_ashrrev_i32_e32 v1, 31, v0
	s_cmp_lt_i32 s22, 11
	v_add_nc_u64_e32 v[0:1], s[4:5], v[0:1]
	s_cbranch_scc1 .LBB14_3667
; %bb.3547:
	s_and_b32 s2, 0xffff, s22
	s_mov_b32 s3, -1
	s_mov_b32 s1, 0
	s_cmp_gt_i32 s2, 25
	s_mov_b32 s0, 0
	s_cbranch_scc0 .LBB14_3580
; %bb.3548:
	s_cmp_gt_i32 s2, 28
	s_cbranch_scc0 .LBB14_3564
; %bb.3549:
	s_cmp_gt_i32 s2, 43
	;; [unrolled: 3-line block ×3, first 2 shown]
	s_cbranch_scc0 .LBB14_3554
; %bb.3551:
	s_cmp_eq_u32 s2, 46
	s_mov_b32 s0, -1
	s_cbranch_scc0 .LBB14_3553
; %bb.3552:
	v_cndmask_b32_e64 v2, 0, 1.0, s23
	s_mov_b32 s0, 0
	s_delay_alu instid0(VALU_DEP_1) | instskip(NEXT) | instid1(VALU_DEP_1)
	v_bfe_u32 v3, v2, 16, 1
	v_add3_u32 v2, v2, v3, 0x7fff
	s_delay_alu instid0(VALU_DEP_1)
	v_lshrrev_b32_e32 v2, 16, v2
	global_store_b32 v[0:1], v2, off
.LBB14_3553:
	s_mov_b32 s3, 0
.LBB14_3554:
	s_delay_alu instid0(SALU_CYCLE_1)
	s_and_b32 vcc_lo, exec_lo, s3
	s_cbranch_vccz .LBB14_3559
; %bb.3555:
	s_cmp_eq_u32 s2, 44
	s_mov_b32 s0, -1
	s_cbranch_scc0 .LBB14_3559
; %bb.3556:
	v_cndmask_b32_e64 v4, 0, 1.0, s23
	s_mov_b32 s3, exec_lo
	s_wait_xcnt 0x0
	s_delay_alu instid0(VALU_DEP_1) | instskip(NEXT) | instid1(VALU_DEP_1)
	v_dual_mov_b32 v3, 0xff :: v_dual_lshrrev_b32 v2, 23, v4
	v_cmpx_ne_u32_e32 0xff, v2
; %bb.3557:
	v_and_b32_e32 v3, 0x400000, v4
	v_and_or_b32 v4, 0x3fffff, v4, v2
	s_delay_alu instid0(VALU_DEP_2) | instskip(NEXT) | instid1(VALU_DEP_2)
	v_cmp_ne_u32_e32 vcc_lo, 0, v3
	v_cmp_ne_u32_e64 s0, 0, v4
	s_and_b32 s0, vcc_lo, s0
	s_delay_alu instid0(SALU_CYCLE_1) | instskip(NEXT) | instid1(VALU_DEP_1)
	v_cndmask_b32_e64 v3, 0, 1, s0
	v_add_nc_u32_e32 v3, v2, v3
; %bb.3558:
	s_or_b32 exec_lo, exec_lo, s3
	s_mov_b32 s0, 0
	global_store_b8 v[0:1], v3, off
.LBB14_3559:
	s_mov_b32 s3, 0
.LBB14_3560:
	s_delay_alu instid0(SALU_CYCLE_1)
	s_and_b32 vcc_lo, exec_lo, s3
	s_cbranch_vccz .LBB14_3563
; %bb.3561:
	s_cmp_eq_u32 s2, 29
	s_mov_b32 s0, -1
	s_cbranch_scc0 .LBB14_3563
; %bb.3562:
	s_mov_b32 s0, 0
	s_wait_xcnt 0x0
	v_cndmask_b32_e64 v2, 0, 1, s23
	v_mov_b32_e32 v3, s0
	global_store_b64 v[0:1], v[2:3], off
.LBB14_3563:
	s_mov_b32 s3, 0
.LBB14_3564:
	s_delay_alu instid0(SALU_CYCLE_1)
	s_and_b32 vcc_lo, exec_lo, s3
	s_cbranch_vccz .LBB14_3579
; %bb.3565:
	s_cmp_lt_i32 s2, 27
	s_mov_b32 s3, -1
	s_cbranch_scc1 .LBB14_3571
; %bb.3566:
	s_wait_xcnt 0x0
	v_cndmask_b32_e64 v2, 0, 1, s23
	s_cmp_gt_i32 s2, 27
	s_cbranch_scc0 .LBB14_3568
; %bb.3567:
	s_mov_b32 s3, 0
	global_store_b32 v[0:1], v2, off
.LBB14_3568:
	s_and_not1_b32 vcc_lo, exec_lo, s3
	s_cbranch_vccnz .LBB14_3570
; %bb.3569:
	global_store_b16 v[0:1], v2, off
.LBB14_3570:
	s_mov_b32 s3, 0
.LBB14_3571:
	s_delay_alu instid0(SALU_CYCLE_1)
	s_and_not1_b32 vcc_lo, exec_lo, s3
	s_cbranch_vccnz .LBB14_3579
; %bb.3572:
	s_wait_xcnt 0x0
	v_cndmask_b32_e64 v3, 0, 1.0, s23
	v_mov_b32_e32 v4, 0x80
	s_mov_b32 s3, exec_lo
	s_delay_alu instid0(VALU_DEP_2)
	v_cmpx_gt_u32_e32 0x43800000, v3
	s_cbranch_execz .LBB14_3578
; %bb.3573:
	s_mov_b32 s4, 0
	s_mov_b32 s5, exec_lo
                                        ; implicit-def: $vgpr2
	v_cmpx_lt_u32_e32 0x3bffffff, v3
	s_xor_b32 s5, exec_lo, s5
	s_cbranch_execnz .LBB14_3685
; %bb.3574:
	s_and_not1_saveexec_b32 s5, s5
	s_cbranch_execnz .LBB14_3686
.LBB14_3575:
	s_or_b32 exec_lo, exec_lo, s5
	v_mov_b32_e32 v4, 0
	s_and_saveexec_b32 s5, s4
.LBB14_3576:
	v_mov_b32_e32 v4, v2
.LBB14_3577:
	s_or_b32 exec_lo, exec_lo, s5
.LBB14_3578:
	s_delay_alu instid0(SALU_CYCLE_1)
	s_or_b32 exec_lo, exec_lo, s3
	global_store_b8 v[0:1], v4, off
.LBB14_3579:
	s_mov_b32 s3, 0
.LBB14_3580:
	s_delay_alu instid0(SALU_CYCLE_1)
	s_and_b32 vcc_lo, exec_lo, s3
	s_cbranch_vccz .LBB14_3620
; %bb.3581:
	s_cmp_gt_i32 s2, 22
	s_mov_b32 s1, -1
	s_cbranch_scc0 .LBB14_3613
; %bb.3582:
	s_cmp_lt_i32 s2, 24
	s_cbranch_scc1 .LBB14_3602
; %bb.3583:
	s_cmp_gt_i32 s2, 24
	s_cbranch_scc0 .LBB14_3591
; %bb.3584:
	s_wait_xcnt 0x0
	v_cndmask_b32_e64 v3, 0, 1.0, s23
	v_mov_b32_e32 v4, 0x80
	s_mov_b32 s1, exec_lo
	s_delay_alu instid0(VALU_DEP_2)
	v_cmpx_gt_u32_e32 0x47800000, v3
	s_cbranch_execz .LBB14_3590
; %bb.3585:
	s_mov_b32 s3, 0
	s_mov_b32 s4, exec_lo
                                        ; implicit-def: $vgpr2
	v_cmpx_lt_u32_e32 0x37ffffff, v3
	s_xor_b32 s4, exec_lo, s4
	s_cbranch_execnz .LBB14_3687
; %bb.3586:
	s_and_not1_saveexec_b32 s4, s4
	s_cbranch_execnz .LBB14_3688
.LBB14_3587:
	s_or_b32 exec_lo, exec_lo, s4
	v_mov_b32_e32 v4, 0
	s_and_saveexec_b32 s4, s3
.LBB14_3588:
	v_mov_b32_e32 v4, v2
.LBB14_3589:
	s_or_b32 exec_lo, exec_lo, s4
.LBB14_3590:
	s_delay_alu instid0(SALU_CYCLE_1)
	s_or_b32 exec_lo, exec_lo, s1
	s_mov_b32 s1, 0
	global_store_b8 v[0:1], v4, off
.LBB14_3591:
	s_and_b32 vcc_lo, exec_lo, s1
	s_cbranch_vccz .LBB14_3601
; %bb.3592:
	s_wait_xcnt 0x0
	v_cndmask_b32_e64 v3, 0, 1.0, s23
	s_mov_b32 s1, exec_lo
                                        ; implicit-def: $vgpr2
	s_delay_alu instid0(VALU_DEP_1)
	v_cmpx_gt_u32_e32 0x43f00000, v3
	s_xor_b32 s1, exec_lo, s1
	s_cbranch_execz .LBB14_3598
; %bb.3593:
	s_mov_b32 s3, exec_lo
                                        ; implicit-def: $vgpr2
	v_cmpx_lt_u32_e32 0x3c7fffff, v3
	s_xor_b32 s3, exec_lo, s3
; %bb.3594:
	v_bfe_u32 v2, v3, 20, 1
	s_delay_alu instid0(VALU_DEP_1) | instskip(NEXT) | instid1(VALU_DEP_1)
	v_add3_u32 v2, v3, v2, 0x407ffff
	v_and_b32_e32 v3, 0xff00000, v2
	v_lshrrev_b32_e32 v2, 20, v2
	s_delay_alu instid0(VALU_DEP_2) | instskip(NEXT) | instid1(VALU_DEP_2)
	v_cmp_ne_u32_e32 vcc_lo, 0x7f00000, v3
                                        ; implicit-def: $vgpr3
	v_cndmask_b32_e32 v2, 0x7e, v2, vcc_lo
; %bb.3595:
	s_and_not1_saveexec_b32 s3, s3
; %bb.3596:
	v_add_f32_e32 v2, 0x46800000, v3
; %bb.3597:
	s_or_b32 exec_lo, exec_lo, s3
                                        ; implicit-def: $vgpr3
.LBB14_3598:
	s_and_not1_saveexec_b32 s1, s1
; %bb.3599:
	v_mov_b32_e32 v2, 0x7f
	v_cmp_lt_u32_e32 vcc_lo, 0x7f800000, v3
	s_delay_alu instid0(VALU_DEP_2)
	v_cndmask_b32_e32 v2, 0x7e, v2, vcc_lo
; %bb.3600:
	s_or_b32 exec_lo, exec_lo, s1
	global_store_b8 v[0:1], v2, off
.LBB14_3601:
	s_mov_b32 s1, 0
.LBB14_3602:
	s_delay_alu instid0(SALU_CYCLE_1)
	s_and_not1_b32 vcc_lo, exec_lo, s1
	s_cbranch_vccnz .LBB14_3612
; %bb.3603:
	s_wait_xcnt 0x0
	v_cndmask_b32_e64 v3, 0, 1.0, s23
	s_mov_b32 s1, exec_lo
                                        ; implicit-def: $vgpr2
	s_delay_alu instid0(VALU_DEP_1)
	v_cmpx_gt_u32_e32 0x47800000, v3
	s_xor_b32 s1, exec_lo, s1
	s_cbranch_execz .LBB14_3609
; %bb.3604:
	s_mov_b32 s3, exec_lo
                                        ; implicit-def: $vgpr2
	v_cmpx_lt_u32_e32 0x387fffff, v3
	s_xor_b32 s3, exec_lo, s3
; %bb.3605:
	v_bfe_u32 v2, v3, 21, 1
	s_delay_alu instid0(VALU_DEP_1) | instskip(NEXT) | instid1(VALU_DEP_1)
	v_add3_u32 v2, v3, v2, 0x80fffff
                                        ; implicit-def: $vgpr3
	v_lshrrev_b32_e32 v2, 21, v2
; %bb.3606:
	s_and_not1_saveexec_b32 s3, s3
; %bb.3607:
	v_add_f32_e32 v2, 0x43000000, v3
; %bb.3608:
	s_or_b32 exec_lo, exec_lo, s3
                                        ; implicit-def: $vgpr3
.LBB14_3609:
	s_and_not1_saveexec_b32 s1, s1
; %bb.3610:
	v_mov_b32_e32 v2, 0x7f
	v_cmp_lt_u32_e32 vcc_lo, 0x7f800000, v3
	s_delay_alu instid0(VALU_DEP_2)
	v_cndmask_b32_e32 v2, 0x7c, v2, vcc_lo
; %bb.3611:
	s_or_b32 exec_lo, exec_lo, s1
	global_store_b8 v[0:1], v2, off
.LBB14_3612:
	s_mov_b32 s1, 0
.LBB14_3613:
	s_delay_alu instid0(SALU_CYCLE_1)
	s_and_not1_b32 vcc_lo, exec_lo, s1
	s_mov_b32 s1, 0
	s_cbranch_vccnz .LBB14_3620
; %bb.3614:
	s_cmp_gt_i32 s2, 14
	s_mov_b32 s1, -1
	s_cbranch_scc0 .LBB14_3618
; %bb.3615:
	s_cmp_eq_u32 s2, 15
	s_mov_b32 s0, -1
	s_cbranch_scc0 .LBB14_3617
; %bb.3616:
	s_wait_xcnt 0x0
	v_cndmask_b32_e64 v2, 0, 1.0, s23
	s_mov_b32 s0, 0
	s_delay_alu instid0(VALU_DEP_1) | instskip(NEXT) | instid1(VALU_DEP_1)
	v_bfe_u32 v3, v2, 16, 1
	v_add3_u32 v2, v2, v3, 0x7fff
	global_store_d16_hi_b16 v[0:1], v2, off
.LBB14_3617:
	s_mov_b32 s1, 0
.LBB14_3618:
	s_delay_alu instid0(SALU_CYCLE_1)
	s_and_b32 vcc_lo, exec_lo, s1
	s_mov_b32 s1, 0
	s_cbranch_vccz .LBB14_3620
; %bb.3619:
	s_cmp_lg_u32 s2, 11
	s_mov_b32 s1, -1
	s_cselect_b32 s0, -1, 0
.LBB14_3620:
	s_delay_alu instid0(SALU_CYCLE_1)
	s_and_b32 vcc_lo, exec_lo, s0
	s_cbranch_vccnz .LBB14_3682
.LBB14_3621:
	s_mov_b32 s0, 0
	s_branch .LBB14_3623
.LBB14_3622:
	s_mov_b32 s0, 0
	s_mov_b32 s1, 0
                                        ; implicit-def: $sgpr23
                                        ; implicit-def: $sgpr22
                                        ; implicit-def: $vgpr0_vgpr1
.LBB14_3623:
	s_and_not1_b32 s2, s21, exec_lo
	s_and_b32 s3, s16, exec_lo
	s_and_b32 s0, s0, exec_lo
	;; [unrolled: 1-line block ×3, first 2 shown]
	s_or_b32 s21, s2, s3
.LBB14_3624:
	s_wait_xcnt 0x0
	s_or_b32 exec_lo, exec_lo, s20
	s_and_saveexec_b32 s1, s21
	s_cbranch_execnz .LBB14_3628
; %bb.3625:
	s_or_b32 exec_lo, exec_lo, s1
	s_and_saveexec_b32 s1, s19
	s_delay_alu instid0(SALU_CYCLE_1)
	s_xor_b32 s1, exec_lo, s1
	s_cbranch_execnz .LBB14_3629
.LBB14_3626:
	s_or_b32 exec_lo, exec_lo, s1
	s_and_saveexec_b32 s1, s0
	s_cbranch_execnz .LBB14_3630
.LBB14_3627:
	s_endpgm
.LBB14_3628:
	; divergent unreachable
	s_or_b32 exec_lo, exec_lo, s1
	s_and_saveexec_b32 s1, s19
	s_delay_alu instid0(SALU_CYCLE_1)
	s_xor_b32 s1, exec_lo, s1
	s_cbranch_execz .LBB14_3626
.LBB14_3629:
	v_cndmask_b32_e64 v2, 0, 1, s23
	global_store_b8 v[0:1], v2, off
	s_wait_xcnt 0x0
	s_or_b32 exec_lo, exec_lo, s1
	s_and_saveexec_b32 s1, s0
	s_cbranch_execz .LBB14_3627
.LBB14_3630:
	s_sext_i32_i16 s1, s22
	s_mov_b32 s0, -1
	s_cmp_lt_i32 s1, 5
	s_cbranch_scc1 .LBB14_3651
; %bb.3631:
	s_cmp_lt_i32 s1, 8
	s_cbranch_scc1 .LBB14_3641
; %bb.3632:
	s_cmp_lt_i32 s1, 9
	s_cbranch_scc1 .LBB14_3638
; %bb.3633:
	s_cmp_gt_i32 s1, 9
	s_cbranch_scc0 .LBB14_3635
; %bb.3634:
	v_cndmask_b32_e64 v2, 0, 1, s23
	v_mov_b32_e32 v4, 0
	s_mov_b32 s0, 0
	s_delay_alu instid0(VALU_DEP_2) | instskip(NEXT) | instid1(VALU_DEP_2)
	v_cvt_f64_u32_e32 v[2:3], v2
	v_mov_b32_e32 v5, v4
	global_store_b128 v[0:1], v[2:5], off
.LBB14_3635:
	s_and_not1_b32 vcc_lo, exec_lo, s0
	s_cbranch_vccnz .LBB14_3637
; %bb.3636:
	s_wait_xcnt 0x0
	v_cndmask_b32_e64 v2, 0, 1.0, s23
	v_mov_b32_e32 v3, 0
	global_store_b64 v[0:1], v[2:3], off
.LBB14_3637:
	s_mov_b32 s0, 0
.LBB14_3638:
	s_delay_alu instid0(SALU_CYCLE_1)
	s_and_not1_b32 vcc_lo, exec_lo, s0
	s_cbranch_vccnz .LBB14_3640
; %bb.3639:
	s_wait_xcnt 0x0
	v_cndmask_b32_e64 v2, 0, 1.0, s23
	s_delay_alu instid0(VALU_DEP_1) | instskip(NEXT) | instid1(VALU_DEP_1)
	v_cvt_f16_f32_e32 v2, v2
	v_and_b32_e32 v2, 0xffff, v2
	global_store_b32 v[0:1], v2, off
.LBB14_3640:
	s_mov_b32 s0, 0
.LBB14_3641:
	s_delay_alu instid0(SALU_CYCLE_1)
	s_and_not1_b32 vcc_lo, exec_lo, s0
	s_cbranch_vccnz .LBB14_3650
; %bb.3642:
	s_sext_i32_i16 s1, s22
	s_mov_b32 s0, -1
	s_cmp_lt_i32 s1, 6
	s_cbranch_scc1 .LBB14_3648
; %bb.3643:
	s_cmp_gt_i32 s1, 6
	s_cbranch_scc0 .LBB14_3645
; %bb.3644:
	s_wait_xcnt 0x0
	v_cndmask_b32_e64 v2, 0, 1, s23
	s_mov_b32 s0, 0
	s_delay_alu instid0(VALU_DEP_1)
	v_cvt_f64_u32_e32 v[2:3], v2
	global_store_b64 v[0:1], v[2:3], off
.LBB14_3645:
	s_and_not1_b32 vcc_lo, exec_lo, s0
	s_cbranch_vccnz .LBB14_3647
; %bb.3646:
	s_wait_xcnt 0x0
	v_cndmask_b32_e64 v2, 0, 1.0, s23
	global_store_b32 v[0:1], v2, off
.LBB14_3647:
	s_mov_b32 s0, 0
.LBB14_3648:
	s_delay_alu instid0(SALU_CYCLE_1)
	s_and_not1_b32 vcc_lo, exec_lo, s0
	s_cbranch_vccnz .LBB14_3650
; %bb.3649:
	s_wait_xcnt 0x0
	v_cndmask_b32_e64 v2, 0, 1.0, s23
	s_delay_alu instid0(VALU_DEP_1)
	v_cvt_f16_f32_e32 v2, v2
	global_store_b16 v[0:1], v2, off
.LBB14_3650:
	s_mov_b32 s0, 0
.LBB14_3651:
	s_delay_alu instid0(SALU_CYCLE_1)
	s_and_not1_b32 vcc_lo, exec_lo, s0
	s_cbranch_vccnz .LBB14_3627
; %bb.3652:
	s_sext_i32_i16 s1, s22
	s_mov_b32 s0, -1
	s_cmp_lt_i32 s1, 2
	s_cbranch_scc1 .LBB14_3662
; %bb.3653:
	s_cmp_lt_i32 s1, 3
	s_cbranch_scc1 .LBB14_3659
; %bb.3654:
	s_cmp_gt_i32 s1, 3
	s_cbranch_scc0 .LBB14_3656
; %bb.3655:
	s_mov_b32 s0, 0
	s_wait_xcnt 0x0
	v_cndmask_b32_e64 v2, 0, 1, s23
	v_mov_b32_e32 v3, s0
	global_store_b64 v[0:1], v[2:3], off
.LBB14_3656:
	s_and_not1_b32 vcc_lo, exec_lo, s0
	s_cbranch_vccnz .LBB14_3658
; %bb.3657:
	s_wait_xcnt 0x0
	v_cndmask_b32_e64 v2, 0, 1, s23
	global_store_b32 v[0:1], v2, off
.LBB14_3658:
	s_mov_b32 s0, 0
.LBB14_3659:
	s_delay_alu instid0(SALU_CYCLE_1)
	s_and_not1_b32 vcc_lo, exec_lo, s0
	s_cbranch_vccnz .LBB14_3661
; %bb.3660:
	s_wait_xcnt 0x0
	v_cndmask_b32_e64 v2, 0, 1, s23
	global_store_b16 v[0:1], v2, off
.LBB14_3661:
	s_mov_b32 s0, 0
.LBB14_3662:
	s_delay_alu instid0(SALU_CYCLE_1)
	s_and_not1_b32 vcc_lo, exec_lo, s0
	s_cbranch_vccnz .LBB14_3627
; %bb.3663:
	s_wait_xcnt 0x0
	v_cndmask_b32_e64 v2, 0, 1, s23
	s_sext_i32_i16 s0, s22
	s_delay_alu instid0(SALU_CYCLE_1)
	s_cmp_gt_i32 s0, 0
	s_mov_b32 s0, -1
	s_cbranch_scc0 .LBB14_3665
; %bb.3664:
	s_mov_b32 s0, 0
	global_store_b8 v[0:1], v2, off
.LBB14_3665:
	s_and_not1_b32 vcc_lo, exec_lo, s0
	s_cbranch_vccnz .LBB14_3627
; %bb.3666:
	global_store_b8 v[0:1], v2, off
	s_endpgm
.LBB14_3667:
	s_mov_b32 s1, 0
	s_mov_b32 s0, -1
	s_branch .LBB14_3623
.LBB14_3668:
	s_mov_b32 s10, 0
	s_or_b32 s16, s16, exec_lo
	s_trap 2
	s_cbranch_execz .LBB14_3137
	s_branch .LBB14_3138
.LBB14_3669:
	s_or_b32 s16, s16, exec_lo
	s_trap 2
	s_cbranch_execz .LBB14_3265
	s_branch .LBB14_3266
.LBB14_3670:
	v_bfe_u32 v1, v4, 20, 1
	s_mov_b32 s17, exec_lo
	s_delay_alu instid0(VALU_DEP_1) | instskip(NEXT) | instid1(VALU_DEP_1)
	v_add3_u32 v1, v4, v1, 0x487ffff
                                        ; implicit-def: $vgpr4
	v_lshrrev_b32_e32 v1, 20, v1
	s_and_not1_saveexec_b32 s18, s18
	s_cbranch_execz .LBB14_3217
.LBB14_3671:
	v_add_f32_e32 v1, 0x46000000, v4
	s_and_not1_b32 s17, s17, exec_lo
	s_delay_alu instid0(VALU_DEP_1) | instskip(NEXT) | instid1(VALU_DEP_1)
	v_and_b32_e32 v1, 0xff, v1
	v_cmp_ne_u32_e32 vcc_lo, 0, v1
	s_and_b32 s19, vcc_lo, exec_lo
	s_delay_alu instid0(SALU_CYCLE_1)
	s_or_b32 s17, s17, s19
	s_or_b32 exec_lo, exec_lo, s18
	v_mov_b32_e32 v5, 0
	s_and_saveexec_b32 s18, s17
	s_cbranch_execnz .LBB14_3218
	s_branch .LBB14_3219
.LBB14_3672:
	s_or_b32 s16, s16, exec_lo
	s_trap 2
	s_cbranch_execz .LBB14_3384
	s_branch .LBB14_3385
.LBB14_3673:
	v_bfe_u32 v1, v4, 21, 1
	s_mov_b32 s11, exec_lo
	s_delay_alu instid0(VALU_DEP_1) | instskip(NEXT) | instid1(VALU_DEP_1)
	v_add3_u32 v1, v4, v1, 0x88fffff
                                        ; implicit-def: $vgpr4
	v_lshrrev_b32_e32 v1, 21, v1
	s_and_not1_saveexec_b32 s17, s17
	s_cbranch_execz .LBB14_3230
.LBB14_3674:
	v_add_f32_e32 v1, 0x42800000, v4
	s_and_not1_b32 s11, s11, exec_lo
	s_delay_alu instid0(VALU_DEP_1) | instskip(NEXT) | instid1(VALU_DEP_1)
	v_and_b32_e32 v1, 0xff, v1
	v_cmp_ne_u32_e32 vcc_lo, 0, v1
	s_and_b32 s18, vcc_lo, exec_lo
	s_delay_alu instid0(SALU_CYCLE_1)
	s_or_b32 s11, s11, s18
	s_or_b32 exec_lo, exec_lo, s17
	v_mov_b32_e32 v5, 0
	s_and_saveexec_b32 s17, s11
	s_cbranch_execnz .LBB14_3231
	s_branch .LBB14_3232
.LBB14_3675:
	v_bfe_u32 v1, v4, 20, 1
	s_mov_b32 s13, exec_lo
	s_delay_alu instid0(VALU_DEP_1) | instskip(NEXT) | instid1(VALU_DEP_1)
	v_add3_u32 v1, v4, v1, 0x487ffff
                                        ; implicit-def: $vgpr4
	v_lshrrev_b32_e32 v1, 20, v1
	s_and_not1_saveexec_b32 s14, s14
	s_cbranch_execz .LBB14_3336
.LBB14_3676:
	v_add_f32_e32 v1, 0x46000000, v4
	s_and_not1_b32 s13, s13, exec_lo
	s_delay_alu instid0(VALU_DEP_1) | instskip(NEXT) | instid1(VALU_DEP_1)
	v_and_b32_e32 v1, 0xff, v1
	v_cmp_ne_u32_e32 vcc_lo, 0, v1
	s_and_b32 s17, vcc_lo, exec_lo
	s_delay_alu instid0(SALU_CYCLE_1)
	s_or_b32 s13, s13, s17
	s_or_b32 exec_lo, exec_lo, s14
	v_mov_b32_e32 v5, 0
	s_and_saveexec_b32 s14, s13
	s_cbranch_execnz .LBB14_3337
	s_branch .LBB14_3338
.LBB14_3677:
	s_or_b32 s16, s16, exec_lo
	s_trap 2
	s_cbranch_execz .LBB14_3503
	s_branch .LBB14_3504
.LBB14_3678:
	v_bfe_u32 v1, v4, 21, 1
	s_mov_b32 s12, exec_lo
	s_delay_alu instid0(VALU_DEP_1) | instskip(NEXT) | instid1(VALU_DEP_1)
	v_add3_u32 v1, v4, v1, 0x88fffff
                                        ; implicit-def: $vgpr4
	v_lshrrev_b32_e32 v1, 21, v1
	s_and_not1_saveexec_b32 s13, s13
	s_cbranch_execz .LBB14_3349
.LBB14_3679:
	v_add_f32_e32 v1, 0x42800000, v4
	s_and_not1_b32 s12, s12, exec_lo
	s_delay_alu instid0(VALU_DEP_1) | instskip(NEXT) | instid1(VALU_DEP_1)
	v_and_b32_e32 v1, 0xff, v1
	v_cmp_ne_u32_e32 vcc_lo, 0, v1
	s_and_b32 s14, vcc_lo, exec_lo
	s_delay_alu instid0(SALU_CYCLE_1)
	s_or_b32 s12, s12, s14
	s_or_b32 exec_lo, exec_lo, s13
	v_mov_b32_e32 v5, 0
	s_and_saveexec_b32 s13, s12
	s_cbranch_execnz .LBB14_3350
	s_branch .LBB14_3351
.LBB14_3680:
	v_bfe_u32 v1, v4, 20, 1
	s_mov_b32 s13, exec_lo
	s_delay_alu instid0(VALU_DEP_1) | instskip(NEXT) | instid1(VALU_DEP_1)
	v_add3_u32 v1, v4, v1, 0x487ffff
                                        ; implicit-def: $vgpr4
	v_lshrrev_b32_e32 v1, 20, v1
	s_and_not1_saveexec_b32 s14, s14
	s_cbranch_execz .LBB14_3455
.LBB14_3681:
	v_add_f32_e32 v1, 0x46000000, v4
	s_and_not1_b32 s13, s13, exec_lo
	s_delay_alu instid0(VALU_DEP_1) | instskip(NEXT) | instid1(VALU_DEP_1)
	v_and_b32_e32 v1, 0xff, v1
	v_cmp_ne_u32_e32 vcc_lo, 0, v1
	s_and_b32 s15, vcc_lo, exec_lo
	s_delay_alu instid0(SALU_CYCLE_1)
	s_or_b32 s13, s13, s15
	s_or_b32 exec_lo, exec_lo, s14
	v_mov_b32_e32 v5, 0
	s_and_saveexec_b32 s14, s13
	s_cbranch_execnz .LBB14_3456
	s_branch .LBB14_3457
.LBB14_3682:
	s_mov_b32 s1, 0
	s_or_b32 s16, s16, exec_lo
	s_trap 2
	s_branch .LBB14_3621
.LBB14_3683:
	v_bfe_u32 v1, v4, 21, 1
	s_mov_b32 s12, exec_lo
	s_delay_alu instid0(VALU_DEP_1) | instskip(NEXT) | instid1(VALU_DEP_1)
	v_add3_u32 v1, v4, v1, 0x88fffff
                                        ; implicit-def: $vgpr4
	v_lshrrev_b32_e32 v1, 21, v1
	s_and_not1_saveexec_b32 s13, s13
	s_cbranch_execz .LBB14_3468
.LBB14_3684:
	v_add_f32_e32 v1, 0x42800000, v4
	s_and_not1_b32 s12, s12, exec_lo
	s_delay_alu instid0(VALU_DEP_1) | instskip(NEXT) | instid1(VALU_DEP_1)
	v_and_b32_e32 v1, 0xff, v1
	v_cmp_ne_u32_e32 vcc_lo, 0, v1
	s_and_b32 s14, vcc_lo, exec_lo
	s_delay_alu instid0(SALU_CYCLE_1)
	s_or_b32 s12, s12, s14
	s_or_b32 exec_lo, exec_lo, s13
	v_mov_b32_e32 v5, 0
	s_and_saveexec_b32 s13, s12
	s_cbranch_execnz .LBB14_3469
	s_branch .LBB14_3470
.LBB14_3685:
	v_bfe_u32 v2, v3, 20, 1
	s_mov_b32 s4, exec_lo
	s_delay_alu instid0(VALU_DEP_1) | instskip(NEXT) | instid1(VALU_DEP_1)
	v_add3_u32 v2, v3, v2, 0x487ffff
                                        ; implicit-def: $vgpr3
	v_lshrrev_b32_e32 v2, 20, v2
	s_and_not1_saveexec_b32 s5, s5
	s_cbranch_execz .LBB14_3575
.LBB14_3686:
	v_add_f32_e32 v2, 0x46000000, v3
	s_and_not1_b32 s4, s4, exec_lo
	s_delay_alu instid0(VALU_DEP_1) | instskip(NEXT) | instid1(VALU_DEP_1)
	v_and_b32_e32 v2, 0xff, v2
	v_cmp_ne_u32_e32 vcc_lo, 0, v2
	s_and_b32 s6, vcc_lo, exec_lo
	s_delay_alu instid0(SALU_CYCLE_1)
	s_or_b32 s4, s4, s6
	s_or_b32 exec_lo, exec_lo, s5
	v_mov_b32_e32 v4, 0
	s_and_saveexec_b32 s5, s4
	s_cbranch_execnz .LBB14_3576
	s_branch .LBB14_3577
.LBB14_3687:
	v_bfe_u32 v2, v3, 21, 1
	s_mov_b32 s3, exec_lo
	s_delay_alu instid0(VALU_DEP_1) | instskip(NEXT) | instid1(VALU_DEP_1)
	v_add3_u32 v2, v3, v2, 0x88fffff
                                        ; implicit-def: $vgpr3
	v_lshrrev_b32_e32 v2, 21, v2
	s_and_not1_saveexec_b32 s4, s4
	s_cbranch_execz .LBB14_3587
.LBB14_3688:
	v_add_f32_e32 v2, 0x42800000, v3
	s_and_not1_b32 s3, s3, exec_lo
	s_delay_alu instid0(VALU_DEP_1) | instskip(NEXT) | instid1(VALU_DEP_1)
	v_and_b32_e32 v2, 0xff, v2
	v_cmp_ne_u32_e32 vcc_lo, 0, v2
	s_and_b32 s5, vcc_lo, exec_lo
	s_delay_alu instid0(SALU_CYCLE_1)
	s_or_b32 s3, s3, s5
	s_or_b32 exec_lo, exec_lo, s4
	v_mov_b32_e32 v4, 0
	s_and_saveexec_b32 s4, s3
	s_cbranch_execnz .LBB14_3588
	s_branch .LBB14_3589
	.section	.rodata,"a",@progbits
	.p2align	6, 0x0
	.amdhsa_kernel _ZN2at6native32elementwise_kernel_manual_unrollILi128ELi4EZNS0_15gpu_kernel_implIZNS0_12_GLOBAL__N_116addr_kernel_cudaERNS_14TensorIteratorERKN3c106ScalarES9_EUlbbbE0_EEvRNS_18TensorIteratorBaseERKT_EUlibE_EEviT1_
		.amdhsa_group_segment_fixed_size 0
		.amdhsa_private_segment_fixed_size 0
		.amdhsa_kernarg_size 64
		.amdhsa_user_sgpr_count 2
		.amdhsa_user_sgpr_dispatch_ptr 0
		.amdhsa_user_sgpr_queue_ptr 0
		.amdhsa_user_sgpr_kernarg_segment_ptr 1
		.amdhsa_user_sgpr_dispatch_id 0
		.amdhsa_user_sgpr_kernarg_preload_length 0
		.amdhsa_user_sgpr_kernarg_preload_offset 0
		.amdhsa_user_sgpr_private_segment_size 0
		.amdhsa_wavefront_size32 1
		.amdhsa_uses_dynamic_stack 0
		.amdhsa_enable_private_segment 0
		.amdhsa_system_sgpr_workgroup_id_x 1
		.amdhsa_system_sgpr_workgroup_id_y 0
		.amdhsa_system_sgpr_workgroup_id_z 0
		.amdhsa_system_sgpr_workgroup_info 0
		.amdhsa_system_vgpr_workitem_id 0
		.amdhsa_next_free_vgpr 14
		.amdhsa_next_free_sgpr 47
		.amdhsa_named_barrier_count 0
		.amdhsa_reserve_vcc 1
		.amdhsa_float_round_mode_32 0
		.amdhsa_float_round_mode_16_64 0
		.amdhsa_float_denorm_mode_32 3
		.amdhsa_float_denorm_mode_16_64 3
		.amdhsa_fp16_overflow 0
		.amdhsa_memory_ordered 1
		.amdhsa_forward_progress 1
		.amdhsa_inst_pref_size 255
		.amdhsa_round_robin_scheduling 0
		.amdhsa_exception_fp_ieee_invalid_op 0
		.amdhsa_exception_fp_denorm_src 0
		.amdhsa_exception_fp_ieee_div_zero 0
		.amdhsa_exception_fp_ieee_overflow 0
		.amdhsa_exception_fp_ieee_underflow 0
		.amdhsa_exception_fp_ieee_inexact 0
		.amdhsa_exception_int_div_zero 0
	.end_amdhsa_kernel
	.section	.text._ZN2at6native32elementwise_kernel_manual_unrollILi128ELi4EZNS0_15gpu_kernel_implIZNS0_12_GLOBAL__N_116addr_kernel_cudaERNS_14TensorIteratorERKN3c106ScalarES9_EUlbbbE0_EEvRNS_18TensorIteratorBaseERKT_EUlibE_EEviT1_,"axG",@progbits,_ZN2at6native32elementwise_kernel_manual_unrollILi128ELi4EZNS0_15gpu_kernel_implIZNS0_12_GLOBAL__N_116addr_kernel_cudaERNS_14TensorIteratorERKN3c106ScalarES9_EUlbbbE0_EEvRNS_18TensorIteratorBaseERKT_EUlibE_EEviT1_,comdat
.Lfunc_end14:
	.size	_ZN2at6native32elementwise_kernel_manual_unrollILi128ELi4EZNS0_15gpu_kernel_implIZNS0_12_GLOBAL__N_116addr_kernel_cudaERNS_14TensorIteratorERKN3c106ScalarES9_EUlbbbE0_EEvRNS_18TensorIteratorBaseERKT_EUlibE_EEviT1_, .Lfunc_end14-_ZN2at6native32elementwise_kernel_manual_unrollILi128ELi4EZNS0_15gpu_kernel_implIZNS0_12_GLOBAL__N_116addr_kernel_cudaERNS_14TensorIteratorERKN3c106ScalarES9_EUlbbbE0_EEvRNS_18TensorIteratorBaseERKT_EUlibE_EEviT1_
                                        ; -- End function
	.set _ZN2at6native32elementwise_kernel_manual_unrollILi128ELi4EZNS0_15gpu_kernel_implIZNS0_12_GLOBAL__N_116addr_kernel_cudaERNS_14TensorIteratorERKN3c106ScalarES9_EUlbbbE0_EEvRNS_18TensorIteratorBaseERKT_EUlibE_EEviT1_.num_vgpr, 14
	.set _ZN2at6native32elementwise_kernel_manual_unrollILi128ELi4EZNS0_15gpu_kernel_implIZNS0_12_GLOBAL__N_116addr_kernel_cudaERNS_14TensorIteratorERKN3c106ScalarES9_EUlbbbE0_EEvRNS_18TensorIteratorBaseERKT_EUlibE_EEviT1_.num_agpr, 0
	.set _ZN2at6native32elementwise_kernel_manual_unrollILi128ELi4EZNS0_15gpu_kernel_implIZNS0_12_GLOBAL__N_116addr_kernel_cudaERNS_14TensorIteratorERKN3c106ScalarES9_EUlbbbE0_EEvRNS_18TensorIteratorBaseERKT_EUlibE_EEviT1_.numbered_sgpr, 47
	.set _ZN2at6native32elementwise_kernel_manual_unrollILi128ELi4EZNS0_15gpu_kernel_implIZNS0_12_GLOBAL__N_116addr_kernel_cudaERNS_14TensorIteratorERKN3c106ScalarES9_EUlbbbE0_EEvRNS_18TensorIteratorBaseERKT_EUlibE_EEviT1_.num_named_barrier, 0
	.set _ZN2at6native32elementwise_kernel_manual_unrollILi128ELi4EZNS0_15gpu_kernel_implIZNS0_12_GLOBAL__N_116addr_kernel_cudaERNS_14TensorIteratorERKN3c106ScalarES9_EUlbbbE0_EEvRNS_18TensorIteratorBaseERKT_EUlibE_EEviT1_.private_seg_size, 0
	.set _ZN2at6native32elementwise_kernel_manual_unrollILi128ELi4EZNS0_15gpu_kernel_implIZNS0_12_GLOBAL__N_116addr_kernel_cudaERNS_14TensorIteratorERKN3c106ScalarES9_EUlbbbE0_EEvRNS_18TensorIteratorBaseERKT_EUlibE_EEviT1_.uses_vcc, 1
	.set _ZN2at6native32elementwise_kernel_manual_unrollILi128ELi4EZNS0_15gpu_kernel_implIZNS0_12_GLOBAL__N_116addr_kernel_cudaERNS_14TensorIteratorERKN3c106ScalarES9_EUlbbbE0_EEvRNS_18TensorIteratorBaseERKT_EUlibE_EEviT1_.uses_flat_scratch, 0
	.set _ZN2at6native32elementwise_kernel_manual_unrollILi128ELi4EZNS0_15gpu_kernel_implIZNS0_12_GLOBAL__N_116addr_kernel_cudaERNS_14TensorIteratorERKN3c106ScalarES9_EUlbbbE0_EEvRNS_18TensorIteratorBaseERKT_EUlibE_EEviT1_.has_dyn_sized_stack, 0
	.set _ZN2at6native32elementwise_kernel_manual_unrollILi128ELi4EZNS0_15gpu_kernel_implIZNS0_12_GLOBAL__N_116addr_kernel_cudaERNS_14TensorIteratorERKN3c106ScalarES9_EUlbbbE0_EEvRNS_18TensorIteratorBaseERKT_EUlibE_EEviT1_.has_recursion, 0
	.set _ZN2at6native32elementwise_kernel_manual_unrollILi128ELi4EZNS0_15gpu_kernel_implIZNS0_12_GLOBAL__N_116addr_kernel_cudaERNS_14TensorIteratorERKN3c106ScalarES9_EUlbbbE0_EEvRNS_18TensorIteratorBaseERKT_EUlibE_EEviT1_.has_indirect_call, 0
	.section	.AMDGPU.csdata,"",@progbits
; Kernel info:
; codeLenInByte = 58776
; TotalNumSgprs: 49
; NumVgprs: 14
; ScratchSize: 0
; MemoryBound: 1
; FloatMode: 240
; IeeeMode: 1
; LDSByteSize: 0 bytes/workgroup (compile time only)
; SGPRBlocks: 0
; VGPRBlocks: 0
; NumSGPRsForWavesPerEU: 49
; NumVGPRsForWavesPerEU: 14
; NamedBarCnt: 0
; Occupancy: 16
; WaveLimiterHint : 0
; COMPUTE_PGM_RSRC2:SCRATCH_EN: 0
; COMPUTE_PGM_RSRC2:USER_SGPR: 2
; COMPUTE_PGM_RSRC2:TRAP_HANDLER: 0
; COMPUTE_PGM_RSRC2:TGID_X_EN: 1
; COMPUTE_PGM_RSRC2:TGID_Y_EN: 0
; COMPUTE_PGM_RSRC2:TGID_Z_EN: 0
; COMPUTE_PGM_RSRC2:TIDIG_COMP_CNT: 0
	.section	.text._ZN2at6native32elementwise_kernel_manual_unrollILi128ELi4EZNS0_15gpu_kernel_implIZNS0_12_GLOBAL__N_116addr_kernel_cudaERNS_14TensorIteratorERKN3c106ScalarES9_EUlbbbE0_EEvRNS_18TensorIteratorBaseERKT_EUlibE0_EEviT1_,"axG",@progbits,_ZN2at6native32elementwise_kernel_manual_unrollILi128ELi4EZNS0_15gpu_kernel_implIZNS0_12_GLOBAL__N_116addr_kernel_cudaERNS_14TensorIteratorERKN3c106ScalarES9_EUlbbbE0_EEvRNS_18TensorIteratorBaseERKT_EUlibE0_EEviT1_,comdat
	.globl	_ZN2at6native32elementwise_kernel_manual_unrollILi128ELi4EZNS0_15gpu_kernel_implIZNS0_12_GLOBAL__N_116addr_kernel_cudaERNS_14TensorIteratorERKN3c106ScalarES9_EUlbbbE0_EEvRNS_18TensorIteratorBaseERKT_EUlibE0_EEviT1_ ; -- Begin function _ZN2at6native32elementwise_kernel_manual_unrollILi128ELi4EZNS0_15gpu_kernel_implIZNS0_12_GLOBAL__N_116addr_kernel_cudaERNS_14TensorIteratorERKN3c106ScalarES9_EUlbbbE0_EEvRNS_18TensorIteratorBaseERKT_EUlibE0_EEviT1_
	.p2align	8
	.type	_ZN2at6native32elementwise_kernel_manual_unrollILi128ELi4EZNS0_15gpu_kernel_implIZNS0_12_GLOBAL__N_116addr_kernel_cudaERNS_14TensorIteratorERKN3c106ScalarES9_EUlbbbE0_EEvRNS_18TensorIteratorBaseERKT_EUlibE0_EEviT1_,@function
_ZN2at6native32elementwise_kernel_manual_unrollILi128ELi4EZNS0_15gpu_kernel_implIZNS0_12_GLOBAL__N_116addr_kernel_cudaERNS_14TensorIteratorERKN3c106ScalarES9_EUlbbbE0_EEvRNS_18TensorIteratorBaseERKT_EUlibE0_EEviT1_: ; @_ZN2at6native32elementwise_kernel_manual_unrollILi128ELi4EZNS0_15gpu_kernel_implIZNS0_12_GLOBAL__N_116addr_kernel_cudaERNS_14TensorIteratorERKN3c106ScalarES9_EUlbbbE0_EEvRNS_18TensorIteratorBaseERKT_EUlibE0_EEviT1_
; %bb.0:
	s_clause 0x1
	s_load_b32 s33, s[0:1], 0x8
	s_load_b32 s46, s[0:1], 0x0
	s_bfe_u32 s2, ttmp6, 0x4000c
	s_and_b32 s3, ttmp6, 15
	s_add_co_i32 s2, s2, 1
	s_getreg_b32 s4, hwreg(HW_REG_IB_STS2, 6, 4)
	s_mul_i32 s2, ttmp9, s2
	s_mov_b32 s39, 0
	s_add_co_i32 s3, s3, s2
	s_cmp_eq_u32 s4, 0
	s_mov_b32 s37, -1
	s_cselect_b32 s2, ttmp9, s3
	s_mov_b32 s12, 0
	v_lshl_or_b32 v0, s2, 9, v0
	s_add_nc_u64 s[2:3], s[0:1], 8
	s_wait_xcnt 0x0
	s_mov_b32 s0, exec_lo
	s_delay_alu instid0(VALU_DEP_1) | instskip(SKIP_2) | instid1(SALU_CYCLE_1)
	v_or_b32_e32 v1, 0x180, v0
	s_wait_kmcnt 0x0
	s_add_co_i32 s38, s33, -1
	s_cmp_gt_u32 s38, 1
	s_cselect_b32 s40, -1, 0
	v_cmpx_le_i32_e64 s46, v1
	s_xor_b32 s41, exec_lo, s0
	s_cbranch_execz .LBB15_1880
; %bb.1:
	s_clause 0x4
	s_load_b64 s[0:1], s[2:3], 0x1e8
	s_load_b128 s[20:23], s[2:3], 0x4
	s_load_b64 s[28:29], s[2:3], 0x14
	s_load_b256 s[12:19], s[2:3], 0xc4
	s_load_b256 s[4:11], s[2:3], 0x1c8
	s_cmp_lg_u32 s33, 0
	s_mov_b32 s25, 0
	s_cselect_b32 s47, -1, 0
	s_min_u32 s45, s38, 15
	s_cmp_gt_u32 s33, 1
	s_mov_b32 s31, s25
	s_cselect_b32 s44, -1, 0
	s_mov_b32 s50, s25
	s_mov_b32 s49, s25
	;; [unrolled: 1-line block ×3, first 2 shown]
	s_mov_b32 s51, exec_lo
	s_wait_kmcnt 0x0
	s_lshr_b32 s42, s0, 16
	s_lshr_b64 s[26:27], s[0:1], 24
	s_lshr_b32 s43, s1, 8
	s_bitcmp1_b32 s0, 0
	s_mov_b32 s24, s21
	s_cselect_b32 s27, -1, 0
	s_bitcmp1_b32 s0, 8
	s_mov_b32 s30, s28
	s_cselect_b32 s21, -1, 0
	s_mov_b32 s28, s25
	v_cmpx_gt_i32_e64 s46, v0
	s_cbranch_execz .LBB15_466
; %bb.2:
	s_and_not1_b32 vcc_lo, exec_lo, s40
	s_cbranch_vccnz .LBB15_8
; %bb.3:
	s_and_not1_b32 vcc_lo, exec_lo, s47
	s_cbranch_vccnz .LBB15_9
; %bb.4:
	v_dual_mov_b32 v6, 0 :: v_dual_mov_b32 v1, v0
	v_dual_mov_b32 v4, 0 :: v_dual_mov_b32 v2, 0
	v_mov_b32_e32 v8, 0
	s_add_co_i32 s0, s45, 1
	s_mov_b64 s[34:35], 0xffffffffffffffe0
	s_and_b32 s0, s0, 30
	s_add_nc_u64 s[34:35], s[2:3], s[34:35]
	s_mov_b64 s[36:37], s[2:3]
.LBB15_5:                               ; =>This Inner Loop Header: Depth=1
	s_clause 0x1
	s_load_b128 s[60:63], s[36:37], 0x4
	s_load_b64 s[48:49], s[36:37], 0x14
	s_load_b256 s[52:59], s[34:35], 0xe4
	s_add_co_i32 s0, s0, -2
	s_wait_xcnt 0x0
	s_add_nc_u64 s[36:37], s[36:37], 24
	s_cmp_lg_u32 s0, 0
	s_add_nc_u64 s[34:35], s[34:35], 32
	s_wait_kmcnt 0x0
	v_mul_hi_u32 v3, s61, v1
	s_delay_alu instid0(VALU_DEP_1) | instskip(NEXT) | instid1(VALU_DEP_1)
	v_add_nc_u32_e32 v3, v1, v3
	v_lshrrev_b32_e32 v3, s62, v3
	s_delay_alu instid0(VALU_DEP_1) | instskip(SKIP_1) | instid1(VALU_DEP_1)
	v_mul_hi_u32 v5, s48, v3
	v_mul_lo_u32 v7, v3, s60
	v_dual_add_nc_u32 v5, v3, v5 :: v_dual_sub_nc_u32 v7, v1, v7
	s_delay_alu instid0(VALU_DEP_1) | instskip(NEXT) | instid1(VALU_DEP_2)
	v_lshrrev_b32_e32 v1, s49, v5
	v_mad_u32 v8, v7, s53, v8
	v_mad_u32 v2, v7, s52, v2
	;; [unrolled: 1-line block ×4, first 2 shown]
	v_mul_lo_u32 v5, v1, s63
	s_delay_alu instid0(VALU_DEP_1) | instskip(NEXT) | instid1(VALU_DEP_1)
	v_sub_nc_u32_e32 v3, v3, v5
	v_mad_u32 v8, v3, s57, v8
	v_mad_u32 v2, v3, s56, v2
	;; [unrolled: 1-line block ×4, first 2 shown]
	s_cbranch_scc1 .LBB15_5
; %bb.6:
	s_bitcmp1_b32 s45, 0
	s_cselect_b32 s0, -1, 0
	s_delay_alu instid0(SALU_CYCLE_1)
	s_and_b32 vcc_lo, exec_lo, s0
	s_cbranch_vccnz .LBB15_10
; %bb.7:
	s_load_b96 s[48:50], s[36:37], 0x4
	s_load_b128 s[52:55], s[34:35], 0xe4
	s_wait_kmcnt 0x0
	v_mul_hi_u32 v3, s49, v1
	s_delay_alu instid0(VALU_DEP_1) | instskip(NEXT) | instid1(VALU_DEP_1)
	v_add_nc_u32_e32 v3, v1, v3
	v_lshrrev_b32_e32 v3, s50, v3
	s_delay_alu instid0(VALU_DEP_1) | instskip(NEXT) | instid1(VALU_DEP_1)
	v_mul_lo_u32 v3, v3, s48
	v_sub_nc_u32_e32 v1, v1, v3
	s_delay_alu instid0(VALU_DEP_1)
	v_mad_u32 v2, v1, s52, v2
	v_mad_u32 v8, v1, s53, v8
	;; [unrolled: 1-line block ×4, first 2 shown]
	s_cbranch_execz .LBB15_11
	s_branch .LBB15_13
.LBB15_8:
                                        ; implicit-def: $vgpr8
                                        ; implicit-def: $vgpr2
                                        ; implicit-def: $vgpr4
                                        ; implicit-def: $vgpr6
	s_branch .LBB15_11
.LBB15_9:
	v_dual_mov_b32 v8, 0 :: v_dual_mov_b32 v2, 0
	v_dual_mov_b32 v4, 0 :: v_dual_mov_b32 v6, 0
.LBB15_10:
	s_cbranch_execnz .LBB15_13
.LBB15_11:
	v_mov_b32_e32 v1, 0
	s_and_not1_b32 vcc_lo, exec_lo, s44
	s_delay_alu instid0(VALU_DEP_1) | instskip(NEXT) | instid1(VALU_DEP_1)
	v_mul_u64_e32 v[2:3], s[24:25], v[0:1]
	v_add_nc_u32_e32 v2, v0, v3
	s_delay_alu instid0(VALU_DEP_1) | instskip(NEXT) | instid1(VALU_DEP_1)
	v_lshrrev_b32_e32 v10, s22, v2
	v_mul_lo_u32 v2, v10, s20
	s_delay_alu instid0(VALU_DEP_1) | instskip(NEXT) | instid1(VALU_DEP_1)
	v_sub_nc_u32_e32 v3, v0, v2
	v_mul_lo_u32 v8, v3, s13
	v_mul_lo_u32 v2, v3, s12
	v_mul_lo_u32 v4, v3, s15
	v_mul_lo_u32 v6, v3, s14
	s_cbranch_vccnz .LBB15_13
; %bb.12:
	v_mov_b32_e32 v11, v1
	s_delay_alu instid0(VALU_DEP_1) | instskip(NEXT) | instid1(VALU_DEP_1)
	v_mul_u64_e32 v[12:13], s[30:31], v[10:11]
	v_add_nc_u32_e32 v1, v10, v13
	s_delay_alu instid0(VALU_DEP_1) | instskip(NEXT) | instid1(VALU_DEP_1)
	v_lshrrev_b32_e32 v1, s29, v1
	v_mul_lo_u32 v1, v1, s23
	s_delay_alu instid0(VALU_DEP_1) | instskip(NEXT) | instid1(VALU_DEP_1)
	v_sub_nc_u32_e32 v1, v10, v1
	v_mad_u32 v2, v1, s16, v2
	v_mad_u32 v8, v1, s17, v8
	;; [unrolled: 1-line block ×4, first 2 shown]
.LBB15_13:
	v_mov_b32_e32 v9, 0
	s_and_b32 s0, s26, 0xff
	s_delay_alu instid0(SALU_CYCLE_1) | instskip(NEXT) | instid1(VALU_DEP_1)
	s_cmp_lt_i32 s0, 11
	v_add_nc_u64_e32 v[8:9], s[6:7], v[8:9]
	s_cbranch_scc1 .LBB15_20
; %bb.14:
	s_and_b32 s35, 0xffff, s0
	s_delay_alu instid0(SALU_CYCLE_1)
	s_cmp_gt_i32 s35, 25
	s_cbranch_scc0 .LBB15_29
; %bb.15:
	s_cmp_gt_i32 s35, 28
	s_cbranch_scc0 .LBB15_31
; %bb.16:
	s_cmp_gt_i32 s35, 43
	s_cbranch_scc0 .LBB15_33
; %bb.17:
	s_cmp_gt_i32 s35, 45
	s_cbranch_scc0 .LBB15_35
; %bb.18:
	s_cmp_eq_u32 s35, 46
	s_mov_b32 s37, 0
	s_cbranch_scc0 .LBB15_37
; %bb.19:
	global_load_b32 v1, v[8:9], off
	s_mov_b32 s34, 0
	s_mov_b32 s36, -1
	s_wait_loadcnt 0x0
	v_and_b32_e32 v1, 0x7fff7fff, v1
	s_delay_alu instid0(VALU_DEP_1)
	v_cmp_ne_u32_e64 s28, 0, v1
	s_branch .LBB15_39
.LBB15_20:
	s_mov_b32 s34, 0
	s_mov_b32 s36, 0
                                        ; implicit-def: $sgpr28
	s_cbranch_execnz .LBB15_85
.LBB15_21:
	s_and_not1_b32 vcc_lo, exec_lo, s36
	s_cbranch_vccnz .LBB15_132
.LBB15_22:
	v_mov_b32_e32 v7, 0
	s_and_b32 s0, s1, 0xff
	s_delay_alu instid0(SALU_CYCLE_1) | instskip(NEXT) | instid1(VALU_DEP_1)
	s_cmp_lt_i32 s0, 11
	v_add_nc_u64_e32 v[6:7], s[8:9], v[6:7]
	s_cbranch_scc1 .LBB15_30
; %bb.23:
	s_and_b32 s34, 0xffff, s0
	s_delay_alu instid0(SALU_CYCLE_1)
	s_cmp_gt_i32 s34, 25
	s_cbranch_scc0 .LBB15_32
; %bb.24:
	s_cmp_gt_i32 s34, 28
	s_cbranch_scc0 .LBB15_34
; %bb.25:
	;; [unrolled: 3-line block ×4, first 2 shown]
	s_cmp_eq_u32 s34, 46
	s_mov_b32 s48, 0
	s_cbranch_scc0 .LBB15_134
; %bb.28:
	global_load_b32 v1, v[6:7], off
	s_mov_b32 s35, 0
	s_mov_b32 s37, -1
	s_wait_loadcnt 0x0
	v_and_b32_e32 v1, 0x7fff7fff, v1
	s_delay_alu instid0(VALU_DEP_1)
	v_cmp_ne_u32_e64 s36, 0, v1
	s_branch .LBB15_136
.LBB15_29:
	s_mov_b32 s34, 0
	s_mov_b32 s36, 0
                                        ; implicit-def: $sgpr28
	s_cbranch_execnz .LBB15_60
	s_branch .LBB15_84
.LBB15_30:
	s_mov_b32 s35, 0
	s_mov_b32 s37, 0
                                        ; implicit-def: $sgpr36
	s_cbranch_execnz .LBB15_183
	s_branch .LBB15_231
.LBB15_31:
	s_mov_b32 s37, -1
	s_mov_b32 s34, 0
	s_mov_b32 s36, 0
                                        ; implicit-def: $sgpr28
	s_branch .LBB15_47
.LBB15_32:
	s_mov_b32 s48, -1
	s_mov_b32 s35, 0
	s_mov_b32 s37, 0
                                        ; implicit-def: $sgpr36
	s_branch .LBB15_157
.LBB15_33:
	s_mov_b32 s37, -1
	s_mov_b32 s34, 0
	s_mov_b32 s36, 0
                                        ; implicit-def: $sgpr28
	s_branch .LBB15_42
.LBB15_34:
	s_mov_b32 s48, -1
	s_mov_b32 s35, 0
	s_mov_b32 s37, 0
                                        ; implicit-def: $sgpr36
	s_branch .LBB15_144
.LBB15_35:
	s_mov_b32 s37, -1
	s_mov_b32 s34, 0
	s_branch .LBB15_38
.LBB15_36:
	s_mov_b32 s48, -1
	s_mov_b32 s35, 0
	s_mov_b32 s37, 0
                                        ; implicit-def: $sgpr36
	s_branch .LBB15_139
.LBB15_37:
	s_mov_b32 s34, -1
.LBB15_38:
	s_mov_b32 s36, 0
                                        ; implicit-def: $sgpr28
.LBB15_39:
	s_and_b32 vcc_lo, exec_lo, s37
	s_cbranch_vccz .LBB15_41
; %bb.40:
	s_cmp_eq_u32 s35, 44
	s_mov_b32 s34, -1
	s_cselect_b32 s36, -1, 0
	s_or_b32 s28, s28, exec_lo
.LBB15_41:
	s_mov_b32 s37, 0
.LBB15_42:
	s_delay_alu instid0(SALU_CYCLE_1)
	s_and_b32 vcc_lo, exec_lo, s37
	s_cbranch_vccz .LBB15_46
; %bb.43:
	s_cmp_eq_u32 s35, 29
	s_cbranch_scc0 .LBB15_45
; %bb.44:
	global_load_b64 v[10:11], v[8:9], off
	s_mov_b32 s36, -1
	s_mov_b32 s34, 0
	s_mov_b32 s37, 0
	s_wait_loadcnt 0x0
	v_cmp_ne_u64_e64 s28, 0, v[10:11]
	s_branch .LBB15_47
.LBB15_45:
	s_mov_b32 s34, -1
                                        ; implicit-def: $sgpr28
.LBB15_46:
	s_mov_b32 s37, 0
.LBB15_47:
	s_delay_alu instid0(SALU_CYCLE_1)
	s_and_b32 vcc_lo, exec_lo, s37
	s_cbranch_vccz .LBB15_59
; %bb.48:
	s_cmp_lt_i32 s35, 27
	s_cbranch_scc1 .LBB15_51
; %bb.49:
	s_cmp_gt_i32 s35, 27
	s_cbranch_scc0 .LBB15_52
; %bb.50:
	global_load_b32 v1, v[8:9], off
	s_mov_b32 s36, 0
	s_wait_loadcnt 0x0
	v_cmp_ne_u32_e64 s28, 0, v1
	s_branch .LBB15_53
.LBB15_51:
	s_mov_b32 s36, -1
                                        ; implicit-def: $sgpr28
	s_branch .LBB15_56
.LBB15_52:
	s_mov_b32 s36, -1
                                        ; implicit-def: $sgpr28
.LBB15_53:
	s_delay_alu instid0(SALU_CYCLE_1)
	s_and_not1_b32 vcc_lo, exec_lo, s36
	s_cbranch_vccnz .LBB15_55
; %bb.54:
	global_load_u16 v1, v[8:9], off
	s_and_not1_b32 s28, s28, exec_lo
	s_wait_loadcnt 0x0
	v_cmp_ne_u16_e32 vcc_lo, 0, v1
	s_and_b32 s36, vcc_lo, exec_lo
	s_delay_alu instid0(SALU_CYCLE_1)
	s_or_b32 s28, s28, s36
.LBB15_55:
	s_mov_b32 s36, 0
.LBB15_56:
	s_delay_alu instid0(SALU_CYCLE_1)
	s_and_not1_b32 vcc_lo, exec_lo, s36
	s_cbranch_vccnz .LBB15_58
; %bb.57:
	global_load_u8 v1, v[8:9], off
	s_and_not1_b32 s28, s28, exec_lo
	s_wait_loadcnt 0x0
	v_cmp_ne_u16_e32 vcc_lo, 0, v1
	s_and_b32 s36, vcc_lo, exec_lo
	s_delay_alu instid0(SALU_CYCLE_1)
	s_or_b32 s28, s28, s36
.LBB15_58:
	s_mov_b32 s36, -1
.LBB15_59:
	s_branch .LBB15_84
.LBB15_60:
	s_cmp_gt_i32 s35, 22
	s_cbranch_scc0 .LBB15_64
; %bb.61:
	s_cmp_lt_i32 s35, 24
	s_cbranch_scc1 .LBB15_65
; %bb.62:
	s_cmp_gt_i32 s35, 24
	s_cbranch_scc0 .LBB15_66
; %bb.63:
	global_load_u8 v1, v[8:9], off
	s_mov_b32 s36, 0
	s_wait_loadcnt 0x0
	v_cmp_ne_u16_e64 s28, 0, v1
	s_branch .LBB15_67
.LBB15_64:
	s_mov_b32 s37, -1
                                        ; implicit-def: $sgpr28
	s_branch .LBB15_73
.LBB15_65:
	s_mov_b32 s36, -1
                                        ; implicit-def: $sgpr28
	s_branch .LBB15_70
.LBB15_66:
	s_mov_b32 s36, -1
                                        ; implicit-def: $sgpr28
.LBB15_67:
	s_delay_alu instid0(SALU_CYCLE_1)
	s_and_not1_b32 vcc_lo, exec_lo, s36
	s_cbranch_vccnz .LBB15_69
; %bb.68:
	global_load_u8 v1, v[8:9], off
	s_and_not1_b32 s28, s28, exec_lo
	s_wait_loadcnt 0x0
	v_and_b32_e32 v1, 0x7f, v1
	s_delay_alu instid0(VALU_DEP_1) | instskip(SKIP_1) | instid1(SALU_CYCLE_1)
	v_cmp_ne_u16_e32 vcc_lo, 0, v1
	s_and_b32 s36, vcc_lo, exec_lo
	s_or_b32 s28, s28, s36
.LBB15_69:
	s_mov_b32 s36, 0
.LBB15_70:
	s_delay_alu instid0(SALU_CYCLE_1)
	s_and_not1_b32 vcc_lo, exec_lo, s36
	s_cbranch_vccnz .LBB15_72
; %bb.71:
	global_load_u8 v1, v[8:9], off
	s_and_not1_b32 s28, s28, exec_lo
	s_wait_loadcnt 0x0
	v_dual_lshlrev_b32 v3, 25, v1 :: v_dual_lshlrev_b32 v1, 8, v1
	s_delay_alu instid0(VALU_DEP_1) | instskip(NEXT) | instid1(VALU_DEP_2)
	v_cmp_gt_u32_e32 vcc_lo, 0x8000000, v3
	v_and_or_b32 v1, 0x7f00, v1, 0.5
	s_delay_alu instid0(VALU_DEP_1) | instskip(NEXT) | instid1(VALU_DEP_1)
	v_dual_lshrrev_b32 v5, 4, v3 :: v_dual_add_f32 v1, -0.5, v1
	v_or_b32_e32 v5, 0x70000000, v5
	s_delay_alu instid0(VALU_DEP_1) | instskip(NEXT) | instid1(VALU_DEP_1)
	v_mul_f32_e32 v5, 0x7800000, v5
	v_cndmask_b32_e32 v1, v5, v1, vcc_lo
	s_delay_alu instid0(VALU_DEP_1) | instskip(SKIP_1) | instid1(SALU_CYCLE_1)
	v_cmp_neq_f32_e32 vcc_lo, 0, v1
	s_and_b32 s36, vcc_lo, exec_lo
	s_or_b32 s28, s28, s36
.LBB15_72:
	s_mov_b32 s37, 0
	s_mov_b32 s36, -1
.LBB15_73:
	s_and_not1_b32 vcc_lo, exec_lo, s37
	s_cbranch_vccnz .LBB15_84
; %bb.74:
	s_cmp_gt_i32 s35, 14
	s_cbranch_scc0 .LBB15_77
; %bb.75:
	s_cmp_eq_u32 s35, 15
	s_cbranch_scc0 .LBB15_78
; %bb.76:
	global_load_u16 v1, v[8:9], off
	s_mov_b32 s34, 0
	s_mov_b32 s36, -1
	s_wait_loadcnt 0x0
	v_and_b32_e32 v1, 0x7fff, v1
	s_delay_alu instid0(VALU_DEP_1)
	v_cmp_ne_u16_e64 s28, 0, v1
	s_branch .LBB15_79
.LBB15_77:
	s_mov_b32 s37, -1
                                        ; implicit-def: $sgpr28
	s_branch .LBB15_80
.LBB15_78:
	s_mov_b32 s34, -1
                                        ; implicit-def: $sgpr28
.LBB15_79:
	s_mov_b32 s37, 0
.LBB15_80:
	s_delay_alu instid0(SALU_CYCLE_1)
	s_and_b32 vcc_lo, exec_lo, s37
	s_cbranch_vccz .LBB15_84
; %bb.81:
	s_cmp_eq_u32 s35, 11
	s_cbranch_scc0 .LBB15_83
; %bb.82:
	global_load_u8 v1, v[8:9], off
	s_mov_b32 s34, 0
	s_mov_b32 s36, -1
	s_wait_loadcnt 0x0
	v_cmp_ne_u16_e64 s28, 0, v1
	s_branch .LBB15_84
.LBB15_83:
	s_mov_b32 s34, -1
                                        ; implicit-def: $sgpr28
.LBB15_84:
	s_branch .LBB15_21
.LBB15_85:
	s_and_b32 s35, 0xffff, s0
	s_delay_alu instid0(SALU_CYCLE_1)
	s_cmp_lt_i32 s35, 5
	s_cbranch_scc1 .LBB15_90
; %bb.86:
	s_cmp_lt_i32 s35, 8
	s_cbranch_scc1 .LBB15_91
; %bb.87:
	;; [unrolled: 3-line block ×3, first 2 shown]
	s_cmp_gt_i32 s35, 9
	s_cbranch_scc0 .LBB15_93
; %bb.89:
	global_load_b128 v[10:13], v[8:9], off
	s_wait_loadcnt 0x0
	v_cmp_neq_f64_e32 vcc_lo, 0, v[10:11]
	v_cmp_neq_f64_e64 s0, 0, v[12:13]
	s_or_b32 s28, vcc_lo, s0
	s_mov_b32 s0, 0
	s_branch .LBB15_94
.LBB15_90:
                                        ; implicit-def: $sgpr28
	s_branch .LBB15_112
.LBB15_91:
	s_mov_b32 s0, -1
                                        ; implicit-def: $sgpr28
	s_branch .LBB15_100
.LBB15_92:
	s_mov_b32 s0, -1
                                        ; implicit-def: $sgpr28
	s_branch .LBB15_97
.LBB15_93:
	s_mov_b32 s0, -1
                                        ; implicit-def: $sgpr28
.LBB15_94:
	s_delay_alu instid0(SALU_CYCLE_1)
	s_and_not1_b32 vcc_lo, exec_lo, s0
	s_cbranch_vccnz .LBB15_96
; %bb.95:
	global_load_b64 v[10:11], v[8:9], off
	s_and_not1_b32 s0, s28, exec_lo
	s_wait_loadcnt 0x0
	v_bitop3_b32 v1, v10, 0x7fffffff, v11 bitop3:0xc8
	s_delay_alu instid0(VALU_DEP_1) | instskip(SKIP_1) | instid1(SALU_CYCLE_1)
	v_cmp_ne_u32_e32 vcc_lo, 0, v1
	s_and_b32 s28, vcc_lo, exec_lo
	s_or_b32 s28, s0, s28
.LBB15_96:
	s_mov_b32 s0, 0
.LBB15_97:
	s_delay_alu instid0(SALU_CYCLE_1)
	s_and_not1_b32 vcc_lo, exec_lo, s0
	s_cbranch_vccnz .LBB15_99
; %bb.98:
	global_load_b32 v1, v[8:9], off
	s_and_not1_b32 s0, s28, exec_lo
	s_wait_loadcnt 0x0
	v_and_b32_e32 v1, 0x7fff7fff, v1
	s_delay_alu instid0(VALU_DEP_1) | instskip(SKIP_1) | instid1(SALU_CYCLE_1)
	v_cmp_ne_u32_e32 vcc_lo, 0, v1
	s_and_b32 s28, vcc_lo, exec_lo
	s_or_b32 s28, s0, s28
.LBB15_99:
	s_mov_b32 s0, 0
.LBB15_100:
	s_delay_alu instid0(SALU_CYCLE_1)
	s_and_not1_b32 vcc_lo, exec_lo, s0
	s_cbranch_vccnz .LBB15_111
; %bb.101:
	s_cmp_lt_i32 s35, 6
	s_cbranch_scc1 .LBB15_104
; %bb.102:
	s_cmp_gt_i32 s35, 6
	s_cbranch_scc0 .LBB15_105
; %bb.103:
	global_load_b64 v[10:11], v[8:9], off
	s_mov_b32 s0, 0
	s_wait_loadcnt 0x0
	v_cmp_neq_f64_e64 s28, 0, v[10:11]
	s_branch .LBB15_106
.LBB15_104:
	s_mov_b32 s0, -1
                                        ; implicit-def: $sgpr28
	s_branch .LBB15_109
.LBB15_105:
	s_mov_b32 s0, -1
                                        ; implicit-def: $sgpr28
.LBB15_106:
	s_delay_alu instid0(SALU_CYCLE_1)
	s_and_not1_b32 vcc_lo, exec_lo, s0
	s_cbranch_vccnz .LBB15_108
; %bb.107:
	global_load_b32 v1, v[8:9], off
	s_and_not1_b32 s0, s28, exec_lo
	s_wait_loadcnt 0x0
	v_cmp_neq_f32_e32 vcc_lo, 0, v1
	s_and_b32 s28, vcc_lo, exec_lo
	s_delay_alu instid0(SALU_CYCLE_1)
	s_or_b32 s28, s0, s28
.LBB15_108:
	s_mov_b32 s0, 0
.LBB15_109:
	s_delay_alu instid0(SALU_CYCLE_1)
	s_and_not1_b32 vcc_lo, exec_lo, s0
	s_cbranch_vccnz .LBB15_111
; %bb.110:
	global_load_u16 v1, v[8:9], off
	s_and_not1_b32 s0, s28, exec_lo
	s_wait_loadcnt 0x0
	v_and_b32_e32 v1, 0x7fff, v1
	s_delay_alu instid0(VALU_DEP_1) | instskip(SKIP_1) | instid1(SALU_CYCLE_1)
	v_cmp_ne_u16_e32 vcc_lo, 0, v1
	s_and_b32 s28, vcc_lo, exec_lo
	s_or_b32 s28, s0, s28
.LBB15_111:
	s_cbranch_execnz .LBB15_131
.LBB15_112:
	s_cmp_lt_i32 s35, 2
	s_cbranch_scc1 .LBB15_116
; %bb.113:
	s_cmp_lt_i32 s35, 3
	s_cbranch_scc1 .LBB15_117
; %bb.114:
	s_cmp_gt_i32 s35, 3
	s_cbranch_scc0 .LBB15_118
; %bb.115:
	global_load_b64 v[10:11], v[8:9], off
	s_mov_b32 s0, 0
	s_wait_loadcnt 0x0
	v_cmp_ne_u64_e64 s28, 0, v[10:11]
	s_branch .LBB15_119
.LBB15_116:
	s_mov_b32 s0, -1
                                        ; implicit-def: $sgpr28
	s_branch .LBB15_125
.LBB15_117:
	s_mov_b32 s0, -1
                                        ; implicit-def: $sgpr28
	s_branch .LBB15_122
.LBB15_118:
	s_mov_b32 s0, -1
                                        ; implicit-def: $sgpr28
.LBB15_119:
	s_delay_alu instid0(SALU_CYCLE_1)
	s_and_not1_b32 vcc_lo, exec_lo, s0
	s_cbranch_vccnz .LBB15_121
; %bb.120:
	global_load_b32 v1, v[8:9], off
	s_and_not1_b32 s0, s28, exec_lo
	s_wait_loadcnt 0x0
	v_cmp_ne_u32_e32 vcc_lo, 0, v1
	s_and_b32 s28, vcc_lo, exec_lo
	s_delay_alu instid0(SALU_CYCLE_1)
	s_or_b32 s28, s0, s28
.LBB15_121:
	s_mov_b32 s0, 0
.LBB15_122:
	s_delay_alu instid0(SALU_CYCLE_1)
	s_and_not1_b32 vcc_lo, exec_lo, s0
	s_cbranch_vccnz .LBB15_124
; %bb.123:
	global_load_u16 v1, v[8:9], off
	s_and_not1_b32 s0, s28, exec_lo
	s_wait_loadcnt 0x0
	v_cmp_ne_u16_e32 vcc_lo, 0, v1
	s_and_b32 s28, vcc_lo, exec_lo
	s_delay_alu instid0(SALU_CYCLE_1)
	s_or_b32 s28, s0, s28
.LBB15_124:
	s_mov_b32 s0, 0
.LBB15_125:
	s_delay_alu instid0(SALU_CYCLE_1)
	s_and_not1_b32 vcc_lo, exec_lo, s0
	s_cbranch_vccnz .LBB15_131
; %bb.126:
	s_cmp_gt_i32 s35, 0
	s_mov_b32 s0, 0
	s_cbranch_scc0 .LBB15_128
; %bb.127:
	global_load_u8 v1, v[8:9], off
	s_wait_loadcnt 0x0
	v_cmp_ne_u16_e64 s28, 0, v1
	s_branch .LBB15_129
.LBB15_128:
	s_mov_b32 s0, -1
                                        ; implicit-def: $sgpr28
.LBB15_129:
	s_delay_alu instid0(SALU_CYCLE_1)
	s_and_not1_b32 vcc_lo, exec_lo, s0
	s_cbranch_vccnz .LBB15_131
; %bb.130:
	global_load_u8 v1, v[8:9], off
	s_and_not1_b32 s0, s28, exec_lo
	s_wait_loadcnt 0x0
	v_cmp_ne_u16_e32 vcc_lo, 0, v1
	s_and_b32 s28, vcc_lo, exec_lo
	s_delay_alu instid0(SALU_CYCLE_1)
	s_or_b32 s28, s0, s28
.LBB15_131:
	s_branch .LBB15_22
.LBB15_132:
	s_mov_b32 s0, 0
	s_mov_b32 s37, 0
	;; [unrolled: 1-line block ×4, first 2 shown]
                                        ; implicit-def: $vgpr0
	s_branch .LBB15_465
.LBB15_133:
	s_mov_b32 s48, -1
	s_mov_b32 s35, 0
	s_branch .LBB15_135
.LBB15_134:
	s_mov_b32 s35, -1
.LBB15_135:
	s_mov_b32 s37, 0
                                        ; implicit-def: $sgpr36
.LBB15_136:
	s_and_b32 vcc_lo, exec_lo, s48
	s_cbranch_vccz .LBB15_138
; %bb.137:
	s_cmp_eq_u32 s34, 44
	s_mov_b32 s35, -1
	s_cselect_b32 s37, -1, 0
	s_or_b32 s36, s36, exec_lo
.LBB15_138:
	s_mov_b32 s48, 0
.LBB15_139:
	s_delay_alu instid0(SALU_CYCLE_1)
	s_and_b32 vcc_lo, exec_lo, s48
	s_cbranch_vccz .LBB15_143
; %bb.140:
	s_cmp_eq_u32 s34, 29
	s_cbranch_scc0 .LBB15_142
; %bb.141:
	global_load_b64 v[8:9], v[6:7], off
	s_mov_b32 s37, -1
	s_mov_b32 s35, 0
	s_mov_b32 s48, 0
	s_wait_loadcnt 0x0
	v_cmp_ne_u64_e64 s36, 0, v[8:9]
	s_branch .LBB15_144
.LBB15_142:
	s_mov_b32 s35, -1
                                        ; implicit-def: $sgpr36
.LBB15_143:
	s_mov_b32 s48, 0
.LBB15_144:
	s_delay_alu instid0(SALU_CYCLE_1)
	s_and_b32 vcc_lo, exec_lo, s48
	s_cbranch_vccz .LBB15_156
; %bb.145:
	s_cmp_lt_i32 s34, 27
	s_cbranch_scc1 .LBB15_148
; %bb.146:
	s_cmp_gt_i32 s34, 27
	s_cbranch_scc0 .LBB15_149
; %bb.147:
	global_load_b32 v1, v[6:7], off
	s_mov_b32 s37, 0
	s_wait_loadcnt 0x0
	v_cmp_ne_u32_e64 s36, 0, v1
	s_branch .LBB15_150
.LBB15_148:
	s_mov_b32 s37, -1
                                        ; implicit-def: $sgpr36
	s_branch .LBB15_153
.LBB15_149:
	s_mov_b32 s37, -1
                                        ; implicit-def: $sgpr36
.LBB15_150:
	s_delay_alu instid0(SALU_CYCLE_1)
	s_and_not1_b32 vcc_lo, exec_lo, s37
	s_cbranch_vccnz .LBB15_152
; %bb.151:
	global_load_u16 v1, v[6:7], off
	s_and_not1_b32 s36, s36, exec_lo
	s_wait_loadcnt 0x0
	v_cmp_ne_u16_e32 vcc_lo, 0, v1
	s_and_b32 s37, vcc_lo, exec_lo
	s_delay_alu instid0(SALU_CYCLE_1)
	s_or_b32 s36, s36, s37
.LBB15_152:
	s_mov_b32 s37, 0
.LBB15_153:
	s_delay_alu instid0(SALU_CYCLE_1)
	s_and_not1_b32 vcc_lo, exec_lo, s37
	s_cbranch_vccnz .LBB15_155
; %bb.154:
	global_load_u8 v1, v[6:7], off
	s_and_not1_b32 s36, s36, exec_lo
	s_wait_loadcnt 0x0
	v_cmp_ne_u16_e32 vcc_lo, 0, v1
	s_and_b32 s37, vcc_lo, exec_lo
	s_delay_alu instid0(SALU_CYCLE_1)
	s_or_b32 s36, s36, s37
.LBB15_155:
	s_mov_b32 s37, -1
.LBB15_156:
	s_mov_b32 s48, 0
.LBB15_157:
	s_delay_alu instid0(SALU_CYCLE_1)
	s_and_b32 vcc_lo, exec_lo, s48
	s_cbranch_vccz .LBB15_182
; %bb.158:
	s_cmp_gt_i32 s34, 22
	s_cbranch_scc0 .LBB15_162
; %bb.159:
	s_cmp_lt_i32 s34, 24
	s_cbranch_scc1 .LBB15_163
; %bb.160:
	s_cmp_gt_i32 s34, 24
	s_cbranch_scc0 .LBB15_164
; %bb.161:
	global_load_u8 v1, v[6:7], off
	s_mov_b32 s37, 0
	s_wait_loadcnt 0x0
	v_cmp_ne_u16_e64 s36, 0, v1
	s_branch .LBB15_165
.LBB15_162:
	s_mov_b32 s48, -1
                                        ; implicit-def: $sgpr36
	s_branch .LBB15_171
.LBB15_163:
	s_mov_b32 s37, -1
                                        ; implicit-def: $sgpr36
	s_branch .LBB15_168
.LBB15_164:
	s_mov_b32 s37, -1
                                        ; implicit-def: $sgpr36
.LBB15_165:
	s_delay_alu instid0(SALU_CYCLE_1)
	s_and_not1_b32 vcc_lo, exec_lo, s37
	s_cbranch_vccnz .LBB15_167
; %bb.166:
	global_load_u8 v1, v[6:7], off
	s_and_not1_b32 s36, s36, exec_lo
	s_wait_loadcnt 0x0
	v_and_b32_e32 v1, 0x7f, v1
	s_delay_alu instid0(VALU_DEP_1) | instskip(SKIP_1) | instid1(SALU_CYCLE_1)
	v_cmp_ne_u16_e32 vcc_lo, 0, v1
	s_and_b32 s37, vcc_lo, exec_lo
	s_or_b32 s36, s36, s37
.LBB15_167:
	s_mov_b32 s37, 0
.LBB15_168:
	s_delay_alu instid0(SALU_CYCLE_1)
	s_and_not1_b32 vcc_lo, exec_lo, s37
	s_cbranch_vccnz .LBB15_170
; %bb.169:
	global_load_u8 v1, v[6:7], off
	s_and_not1_b32 s36, s36, exec_lo
	s_wait_loadcnt 0x0
	v_dual_lshlrev_b32 v3, 25, v1 :: v_dual_lshlrev_b32 v1, 8, v1
	s_delay_alu instid0(VALU_DEP_1) | instskip(NEXT) | instid1(VALU_DEP_2)
	v_cmp_gt_u32_e32 vcc_lo, 0x8000000, v3
	v_and_or_b32 v1, 0x7f00, v1, 0.5
	s_delay_alu instid0(VALU_DEP_1) | instskip(NEXT) | instid1(VALU_DEP_1)
	v_dual_lshrrev_b32 v5, 4, v3 :: v_dual_add_f32 v1, -0.5, v1
	v_or_b32_e32 v5, 0x70000000, v5
	s_delay_alu instid0(VALU_DEP_1) | instskip(NEXT) | instid1(VALU_DEP_1)
	v_mul_f32_e32 v5, 0x7800000, v5
	v_cndmask_b32_e32 v1, v5, v1, vcc_lo
	s_delay_alu instid0(VALU_DEP_1) | instskip(SKIP_1) | instid1(SALU_CYCLE_1)
	v_cmp_neq_f32_e32 vcc_lo, 0, v1
	s_and_b32 s37, vcc_lo, exec_lo
	s_or_b32 s36, s36, s37
.LBB15_170:
	s_mov_b32 s48, 0
	s_mov_b32 s37, -1
.LBB15_171:
	s_and_not1_b32 vcc_lo, exec_lo, s48
	s_cbranch_vccnz .LBB15_182
; %bb.172:
	s_cmp_gt_i32 s34, 14
	s_cbranch_scc0 .LBB15_175
; %bb.173:
	s_cmp_eq_u32 s34, 15
	s_cbranch_scc0 .LBB15_176
; %bb.174:
	global_load_u16 v1, v[6:7], off
	s_mov_b32 s35, 0
	s_mov_b32 s37, -1
	s_wait_loadcnt 0x0
	v_and_b32_e32 v1, 0x7fff, v1
	s_delay_alu instid0(VALU_DEP_1)
	v_cmp_ne_u16_e64 s36, 0, v1
	s_branch .LBB15_177
.LBB15_175:
	s_mov_b32 s48, -1
                                        ; implicit-def: $sgpr36
	s_branch .LBB15_178
.LBB15_176:
	s_mov_b32 s35, -1
                                        ; implicit-def: $sgpr36
.LBB15_177:
	s_mov_b32 s48, 0
.LBB15_178:
	s_delay_alu instid0(SALU_CYCLE_1)
	s_and_b32 vcc_lo, exec_lo, s48
	s_cbranch_vccz .LBB15_182
; %bb.179:
	s_cmp_eq_u32 s34, 11
	s_cbranch_scc0 .LBB15_181
; %bb.180:
	global_load_u8 v1, v[6:7], off
	s_mov_b32 s35, 0
	s_mov_b32 s37, -1
	s_wait_loadcnt 0x0
	v_cmp_ne_u16_e64 s36, 0, v1
	s_branch .LBB15_182
.LBB15_181:
	s_mov_b32 s35, -1
                                        ; implicit-def: $sgpr36
.LBB15_182:
	s_branch .LBB15_231
.LBB15_183:
	s_and_b32 s34, 0xffff, s0
	s_delay_alu instid0(SALU_CYCLE_1)
	s_cmp_lt_i32 s34, 5
	s_cbranch_scc1 .LBB15_188
; %bb.184:
	s_cmp_lt_i32 s34, 8
	s_cbranch_scc1 .LBB15_189
; %bb.185:
	;; [unrolled: 3-line block ×3, first 2 shown]
	s_cmp_gt_i32 s34, 9
	s_cbranch_scc0 .LBB15_191
; %bb.187:
	global_load_b128 v[8:11], v[6:7], off
	s_wait_loadcnt 0x0
	v_cmp_neq_f64_e32 vcc_lo, 0, v[8:9]
	v_cmp_neq_f64_e64 s0, 0, v[10:11]
	s_or_b32 s36, vcc_lo, s0
	s_mov_b32 s0, 0
	s_branch .LBB15_192
.LBB15_188:
	s_mov_b32 s0, -1
                                        ; implicit-def: $sgpr36
	s_branch .LBB15_210
.LBB15_189:
	s_mov_b32 s0, -1
                                        ; implicit-def: $sgpr36
	s_branch .LBB15_198
.LBB15_190:
	s_mov_b32 s0, -1
                                        ; implicit-def: $sgpr36
	s_branch .LBB15_195
.LBB15_191:
	s_mov_b32 s0, -1
                                        ; implicit-def: $sgpr36
.LBB15_192:
	s_delay_alu instid0(SALU_CYCLE_1)
	s_and_not1_b32 vcc_lo, exec_lo, s0
	s_cbranch_vccnz .LBB15_194
; %bb.193:
	global_load_b64 v[8:9], v[6:7], off
	s_and_not1_b32 s0, s36, exec_lo
	s_wait_loadcnt 0x0
	v_bitop3_b32 v1, v8, 0x7fffffff, v9 bitop3:0xc8
	s_delay_alu instid0(VALU_DEP_1) | instskip(SKIP_1) | instid1(SALU_CYCLE_1)
	v_cmp_ne_u32_e32 vcc_lo, 0, v1
	s_and_b32 s36, vcc_lo, exec_lo
	s_or_b32 s36, s0, s36
.LBB15_194:
	s_mov_b32 s0, 0
.LBB15_195:
	s_delay_alu instid0(SALU_CYCLE_1)
	s_and_not1_b32 vcc_lo, exec_lo, s0
	s_cbranch_vccnz .LBB15_197
; %bb.196:
	global_load_b32 v1, v[6:7], off
	s_and_not1_b32 s0, s36, exec_lo
	s_wait_loadcnt 0x0
	v_and_b32_e32 v1, 0x7fff7fff, v1
	s_delay_alu instid0(VALU_DEP_1) | instskip(SKIP_1) | instid1(SALU_CYCLE_1)
	v_cmp_ne_u32_e32 vcc_lo, 0, v1
	s_and_b32 s36, vcc_lo, exec_lo
	s_or_b32 s36, s0, s36
.LBB15_197:
	s_mov_b32 s0, 0
.LBB15_198:
	s_delay_alu instid0(SALU_CYCLE_1)
	s_and_not1_b32 vcc_lo, exec_lo, s0
	s_cbranch_vccnz .LBB15_209
; %bb.199:
	s_cmp_lt_i32 s34, 6
	s_cbranch_scc1 .LBB15_202
; %bb.200:
	s_cmp_gt_i32 s34, 6
	s_cbranch_scc0 .LBB15_203
; %bb.201:
	global_load_b64 v[8:9], v[6:7], off
	s_mov_b32 s0, 0
	s_wait_loadcnt 0x0
	v_cmp_neq_f64_e64 s36, 0, v[8:9]
	s_branch .LBB15_204
.LBB15_202:
	s_mov_b32 s0, -1
                                        ; implicit-def: $sgpr36
	s_branch .LBB15_207
.LBB15_203:
	s_mov_b32 s0, -1
                                        ; implicit-def: $sgpr36
.LBB15_204:
	s_delay_alu instid0(SALU_CYCLE_1)
	s_and_not1_b32 vcc_lo, exec_lo, s0
	s_cbranch_vccnz .LBB15_206
; %bb.205:
	global_load_b32 v1, v[6:7], off
	s_and_not1_b32 s0, s36, exec_lo
	s_wait_loadcnt 0x0
	v_cmp_neq_f32_e32 vcc_lo, 0, v1
	s_and_b32 s36, vcc_lo, exec_lo
	s_delay_alu instid0(SALU_CYCLE_1)
	s_or_b32 s36, s0, s36
.LBB15_206:
	s_mov_b32 s0, 0
.LBB15_207:
	s_delay_alu instid0(SALU_CYCLE_1)
	s_and_not1_b32 vcc_lo, exec_lo, s0
	s_cbranch_vccnz .LBB15_209
; %bb.208:
	global_load_u16 v1, v[6:7], off
	s_and_not1_b32 s0, s36, exec_lo
	s_wait_loadcnt 0x0
	v_and_b32_e32 v1, 0x7fff, v1
	s_delay_alu instid0(VALU_DEP_1) | instskip(SKIP_1) | instid1(SALU_CYCLE_1)
	v_cmp_ne_u16_e32 vcc_lo, 0, v1
	s_and_b32 s36, vcc_lo, exec_lo
	s_or_b32 s36, s0, s36
.LBB15_209:
	s_mov_b32 s0, 0
.LBB15_210:
	s_delay_alu instid0(SALU_CYCLE_1)
	s_and_not1_b32 vcc_lo, exec_lo, s0
	s_cbranch_vccnz .LBB15_230
; %bb.211:
	s_cmp_lt_i32 s34, 2
	s_cbranch_scc1 .LBB15_215
; %bb.212:
	s_cmp_lt_i32 s34, 3
	s_cbranch_scc1 .LBB15_216
; %bb.213:
	s_cmp_gt_i32 s34, 3
	s_cbranch_scc0 .LBB15_217
; %bb.214:
	global_load_b64 v[8:9], v[6:7], off
	s_mov_b32 s0, 0
	s_wait_loadcnt 0x0
	v_cmp_ne_u64_e64 s36, 0, v[8:9]
	s_branch .LBB15_218
.LBB15_215:
	s_mov_b32 s0, -1
                                        ; implicit-def: $sgpr36
	s_branch .LBB15_224
.LBB15_216:
	s_mov_b32 s0, -1
                                        ; implicit-def: $sgpr36
	s_branch .LBB15_221
.LBB15_217:
	s_mov_b32 s0, -1
                                        ; implicit-def: $sgpr36
.LBB15_218:
	s_delay_alu instid0(SALU_CYCLE_1)
	s_and_not1_b32 vcc_lo, exec_lo, s0
	s_cbranch_vccnz .LBB15_220
; %bb.219:
	global_load_b32 v1, v[6:7], off
	s_and_not1_b32 s0, s36, exec_lo
	s_wait_loadcnt 0x0
	v_cmp_ne_u32_e32 vcc_lo, 0, v1
	s_and_b32 s36, vcc_lo, exec_lo
	s_delay_alu instid0(SALU_CYCLE_1)
	s_or_b32 s36, s0, s36
.LBB15_220:
	s_mov_b32 s0, 0
.LBB15_221:
	s_delay_alu instid0(SALU_CYCLE_1)
	s_and_not1_b32 vcc_lo, exec_lo, s0
	s_cbranch_vccnz .LBB15_223
; %bb.222:
	global_load_u16 v1, v[6:7], off
	s_and_not1_b32 s0, s36, exec_lo
	s_wait_loadcnt 0x0
	v_cmp_ne_u16_e32 vcc_lo, 0, v1
	s_and_b32 s36, vcc_lo, exec_lo
	s_delay_alu instid0(SALU_CYCLE_1)
	s_or_b32 s36, s0, s36
.LBB15_223:
	s_mov_b32 s0, 0
.LBB15_224:
	s_delay_alu instid0(SALU_CYCLE_1)
	s_and_not1_b32 vcc_lo, exec_lo, s0
	s_cbranch_vccnz .LBB15_230
; %bb.225:
	s_cmp_gt_i32 s34, 0
	s_mov_b32 s0, 0
	s_cbranch_scc0 .LBB15_227
; %bb.226:
	global_load_u8 v1, v[6:7], off
	s_wait_loadcnt 0x0
	v_cmp_ne_u16_e64 s36, 0, v1
	s_branch .LBB15_228
.LBB15_227:
	s_mov_b32 s0, -1
                                        ; implicit-def: $sgpr36
.LBB15_228:
	s_delay_alu instid0(SALU_CYCLE_1)
	s_and_not1_b32 vcc_lo, exec_lo, s0
	s_cbranch_vccnz .LBB15_230
; %bb.229:
	global_load_u8 v1, v[6:7], off
	s_and_not1_b32 s0, s36, exec_lo
	s_wait_loadcnt 0x0
	v_cmp_ne_u16_e32 vcc_lo, 0, v1
	s_and_b32 s34, vcc_lo, exec_lo
	s_delay_alu instid0(SALU_CYCLE_1)
	s_or_b32 s36, s0, s34
.LBB15_230:
	s_mov_b32 s37, -1
.LBB15_231:
	s_mov_b32 s34, 0
	s_mov_b32 s0, 0
	s_and_not1_b32 vcc_lo, exec_lo, s37
	s_mov_b32 s37, 0
	s_mov_b32 s52, 0
	s_cbranch_vccnz .LBB15_465
; %bb.232:
	v_mov_b32_e32 v5, 0
	s_and_b32 s0, s43, 0xff
	s_delay_alu instid0(SALU_CYCLE_1) | instskip(NEXT) | instid1(VALU_DEP_1)
	s_cmp_lt_i32 s0, 11
	v_add_nc_u64_e32 v[4:5], s[10:11], v[4:5]
	s_cbranch_scc1 .LBB15_239
; %bb.233:
	s_and_b32 s35, 0xffff, s0
	s_delay_alu instid0(SALU_CYCLE_1)
	s_cmp_gt_i32 s35, 25
	s_cbranch_scc0 .LBB15_240
; %bb.234:
	s_cmp_gt_i32 s35, 28
	s_cbranch_scc0 .LBB15_241
; %bb.235:
	s_cmp_gt_i32 s35, 43
	s_cbranch_scc0 .LBB15_242
; %bb.236:
	s_cmp_gt_i32 s35, 45
	s_cbranch_scc0 .LBB15_243
; %bb.237:
	s_cmp_eq_u32 s35, 46
	s_mov_b32 s50, 0
	s_cbranch_scc0 .LBB15_244
; %bb.238:
	global_load_b32 v1, v[4:5], off
	s_mov_b32 s49, -1
	s_wait_loadcnt 0x0
	v_and_b32_e32 v1, 0x7fff7fff, v1
	s_delay_alu instid0(VALU_DEP_1)
	v_cmp_ne_u32_e64 s48, 0, v1
	s_branch .LBB15_246
.LBB15_239:
	s_mov_b32 s35, -1
	s_mov_b32 s49, 0
                                        ; implicit-def: $sgpr48
	s_branch .LBB15_293
.LBB15_240:
	s_mov_b32 s50, -1
	s_mov_b32 s49, 0
                                        ; implicit-def: $sgpr48
	s_branch .LBB15_267
.LBB15_241:
	s_mov_b32 s50, -1
	s_mov_b32 s49, 0
                                        ; implicit-def: $sgpr48
	s_branch .LBB15_254
.LBB15_242:
	s_mov_b32 s50, -1
	s_mov_b32 s49, 0
                                        ; implicit-def: $sgpr48
	s_branch .LBB15_249
.LBB15_243:
	s_mov_b32 s50, -1
	s_branch .LBB15_245
.LBB15_244:
	s_mov_b32 s37, -1
.LBB15_245:
	s_mov_b32 s49, 0
                                        ; implicit-def: $sgpr48
.LBB15_246:
	s_and_b32 vcc_lo, exec_lo, s50
	s_cbranch_vccz .LBB15_248
; %bb.247:
	s_cmp_eq_u32 s35, 44
	s_mov_b32 s37, -1
	s_cselect_b32 s49, -1, 0
	s_or_b32 s48, s48, exec_lo
.LBB15_248:
	s_mov_b32 s50, 0
.LBB15_249:
	s_delay_alu instid0(SALU_CYCLE_1)
	s_and_b32 vcc_lo, exec_lo, s50
	s_cbranch_vccz .LBB15_253
; %bb.250:
	s_cmp_eq_u32 s35, 29
	s_cbranch_scc0 .LBB15_252
; %bb.251:
	global_load_b64 v[6:7], v[4:5], off
	s_mov_b32 s49, -1
	s_mov_b32 s37, 0
	s_mov_b32 s50, 0
	s_wait_loadcnt 0x0
	v_cmp_ne_u64_e64 s48, 0, v[6:7]
	s_branch .LBB15_254
.LBB15_252:
	s_mov_b32 s37, -1
                                        ; implicit-def: $sgpr48
.LBB15_253:
	s_mov_b32 s50, 0
.LBB15_254:
	s_delay_alu instid0(SALU_CYCLE_1)
	s_and_b32 vcc_lo, exec_lo, s50
	s_cbranch_vccz .LBB15_266
; %bb.255:
	s_cmp_lt_i32 s35, 27
	s_cbranch_scc1 .LBB15_258
; %bb.256:
	s_cmp_gt_i32 s35, 27
	s_cbranch_scc0 .LBB15_259
; %bb.257:
	global_load_b32 v1, v[4:5], off
	s_mov_b32 s49, 0
	s_wait_loadcnt 0x0
	v_cmp_ne_u32_e64 s48, 0, v1
	s_branch .LBB15_260
.LBB15_258:
	s_mov_b32 s49, -1
                                        ; implicit-def: $sgpr48
	s_branch .LBB15_263
.LBB15_259:
	s_mov_b32 s49, -1
                                        ; implicit-def: $sgpr48
.LBB15_260:
	s_delay_alu instid0(SALU_CYCLE_1)
	s_and_not1_b32 vcc_lo, exec_lo, s49
	s_cbranch_vccnz .LBB15_262
; %bb.261:
	global_load_u16 v1, v[4:5], off
	s_and_not1_b32 s48, s48, exec_lo
	s_wait_loadcnt 0x0
	v_cmp_ne_u16_e32 vcc_lo, 0, v1
	s_and_b32 s49, vcc_lo, exec_lo
	s_delay_alu instid0(SALU_CYCLE_1)
	s_or_b32 s48, s48, s49
.LBB15_262:
	s_mov_b32 s49, 0
.LBB15_263:
	s_delay_alu instid0(SALU_CYCLE_1)
	s_and_not1_b32 vcc_lo, exec_lo, s49
	s_cbranch_vccnz .LBB15_265
; %bb.264:
	global_load_u8 v1, v[4:5], off
	s_and_not1_b32 s48, s48, exec_lo
	s_wait_loadcnt 0x0
	v_cmp_ne_u16_e32 vcc_lo, 0, v1
	s_and_b32 s49, vcc_lo, exec_lo
	s_delay_alu instid0(SALU_CYCLE_1)
	s_or_b32 s48, s48, s49
.LBB15_265:
	s_mov_b32 s49, -1
.LBB15_266:
	s_mov_b32 s50, 0
.LBB15_267:
	s_delay_alu instid0(SALU_CYCLE_1)
	s_and_b32 vcc_lo, exec_lo, s50
	s_cbranch_vccz .LBB15_292
; %bb.268:
	s_cmp_gt_i32 s35, 22
	s_cbranch_scc0 .LBB15_272
; %bb.269:
	s_cmp_lt_i32 s35, 24
	s_cbranch_scc1 .LBB15_273
; %bb.270:
	s_cmp_gt_i32 s35, 24
	s_cbranch_scc0 .LBB15_274
; %bb.271:
	global_load_u8 v1, v[4:5], off
	s_mov_b32 s49, 0
	s_wait_loadcnt 0x0
	v_cmp_ne_u16_e64 s48, 0, v1
	s_branch .LBB15_275
.LBB15_272:
	s_mov_b32 s50, -1
                                        ; implicit-def: $sgpr48
	s_branch .LBB15_281
.LBB15_273:
	s_mov_b32 s49, -1
                                        ; implicit-def: $sgpr48
	s_branch .LBB15_278
.LBB15_274:
	s_mov_b32 s49, -1
                                        ; implicit-def: $sgpr48
.LBB15_275:
	s_delay_alu instid0(SALU_CYCLE_1)
	s_and_not1_b32 vcc_lo, exec_lo, s49
	s_cbranch_vccnz .LBB15_277
; %bb.276:
	global_load_u8 v1, v[4:5], off
	s_and_not1_b32 s48, s48, exec_lo
	s_wait_loadcnt 0x0
	v_and_b32_e32 v1, 0x7f, v1
	s_delay_alu instid0(VALU_DEP_1) | instskip(SKIP_1) | instid1(SALU_CYCLE_1)
	v_cmp_ne_u16_e32 vcc_lo, 0, v1
	s_and_b32 s49, vcc_lo, exec_lo
	s_or_b32 s48, s48, s49
.LBB15_277:
	s_mov_b32 s49, 0
.LBB15_278:
	s_delay_alu instid0(SALU_CYCLE_1)
	s_and_not1_b32 vcc_lo, exec_lo, s49
	s_cbranch_vccnz .LBB15_280
; %bb.279:
	global_load_u8 v1, v[4:5], off
	s_and_not1_b32 s48, s48, exec_lo
	s_wait_loadcnt 0x0
	v_dual_lshlrev_b32 v3, 25, v1 :: v_dual_lshlrev_b32 v1, 8, v1
	s_delay_alu instid0(VALU_DEP_1) | instskip(NEXT) | instid1(VALU_DEP_2)
	v_cmp_gt_u32_e32 vcc_lo, 0x8000000, v3
	v_and_or_b32 v1, 0x7f00, v1, 0.5
	s_delay_alu instid0(VALU_DEP_1) | instskip(NEXT) | instid1(VALU_DEP_1)
	v_dual_add_f32 v1, -0.5, v1 :: v_dual_lshrrev_b32 v6, 4, v3
	v_or_b32_e32 v6, 0x70000000, v6
	s_delay_alu instid0(VALU_DEP_1) | instskip(NEXT) | instid1(VALU_DEP_1)
	v_mul_f32_e32 v6, 0x7800000, v6
	v_cndmask_b32_e32 v1, v6, v1, vcc_lo
	s_delay_alu instid0(VALU_DEP_1) | instskip(SKIP_1) | instid1(SALU_CYCLE_1)
	v_cmp_neq_f32_e32 vcc_lo, 0, v1
	s_and_b32 s49, vcc_lo, exec_lo
	s_or_b32 s48, s48, s49
.LBB15_280:
	s_mov_b32 s50, 0
	s_mov_b32 s49, -1
.LBB15_281:
	s_and_not1_b32 vcc_lo, exec_lo, s50
	s_cbranch_vccnz .LBB15_292
; %bb.282:
	s_cmp_gt_i32 s35, 14
	s_cbranch_scc0 .LBB15_285
; %bb.283:
	s_cmp_eq_u32 s35, 15
	s_cbranch_scc0 .LBB15_286
; %bb.284:
	global_load_u16 v1, v[4:5], off
	s_mov_b32 s37, 0
	s_mov_b32 s49, -1
	s_wait_loadcnt 0x0
	v_and_b32_e32 v1, 0x7fff, v1
	s_delay_alu instid0(VALU_DEP_1)
	v_cmp_ne_u16_e64 s48, 0, v1
	s_branch .LBB15_287
.LBB15_285:
	s_mov_b32 s50, -1
                                        ; implicit-def: $sgpr48
	s_branch .LBB15_288
.LBB15_286:
	s_mov_b32 s37, -1
                                        ; implicit-def: $sgpr48
.LBB15_287:
	s_mov_b32 s50, 0
.LBB15_288:
	s_delay_alu instid0(SALU_CYCLE_1)
	s_and_b32 vcc_lo, exec_lo, s50
	s_cbranch_vccz .LBB15_292
; %bb.289:
	s_cmp_eq_u32 s35, 11
	s_cbranch_scc0 .LBB15_291
; %bb.290:
	global_load_u8 v1, v[4:5], off
	s_mov_b32 s37, 0
	s_mov_b32 s49, -1
	s_wait_loadcnt 0x0
	v_cmp_ne_u16_e64 s48, 0, v1
	s_branch .LBB15_292
.LBB15_291:
	s_mov_b32 s37, -1
                                        ; implicit-def: $sgpr48
.LBB15_292:
	s_mov_b32 s35, 0
.LBB15_293:
	s_delay_alu instid0(SALU_CYCLE_1)
	s_and_b32 vcc_lo, exec_lo, s35
	s_cbranch_vccz .LBB15_342
; %bb.294:
	s_and_b32 s35, 0xffff, s0
	s_delay_alu instid0(SALU_CYCLE_1)
	s_cmp_lt_i32 s35, 5
	s_cbranch_scc1 .LBB15_299
; %bb.295:
	s_cmp_lt_i32 s35, 8
	s_cbranch_scc1 .LBB15_300
; %bb.296:
	;; [unrolled: 3-line block ×3, first 2 shown]
	s_cmp_gt_i32 s35, 9
	s_cbranch_scc0 .LBB15_302
; %bb.298:
	global_load_b128 v[6:9], v[4:5], off
	s_wait_loadcnt 0x0
	v_cmp_neq_f64_e32 vcc_lo, 0, v[6:7]
	v_cmp_neq_f64_e64 s0, 0, v[8:9]
	s_or_b32 s48, vcc_lo, s0
	s_mov_b32 s0, 0
	s_branch .LBB15_303
.LBB15_299:
	s_mov_b32 s0, -1
                                        ; implicit-def: $sgpr48
	s_branch .LBB15_321
.LBB15_300:
	s_mov_b32 s0, -1
                                        ; implicit-def: $sgpr48
	s_branch .LBB15_309
.LBB15_301:
	s_mov_b32 s0, -1
                                        ; implicit-def: $sgpr48
	s_branch .LBB15_306
.LBB15_302:
	s_mov_b32 s0, -1
                                        ; implicit-def: $sgpr48
.LBB15_303:
	s_delay_alu instid0(SALU_CYCLE_1)
	s_and_not1_b32 vcc_lo, exec_lo, s0
	s_cbranch_vccnz .LBB15_305
; %bb.304:
	global_load_b64 v[6:7], v[4:5], off
	s_and_not1_b32 s0, s48, exec_lo
	s_wait_loadcnt 0x0
	v_bitop3_b32 v1, v6, 0x7fffffff, v7 bitop3:0xc8
	s_delay_alu instid0(VALU_DEP_1) | instskip(SKIP_1) | instid1(SALU_CYCLE_1)
	v_cmp_ne_u32_e32 vcc_lo, 0, v1
	s_and_b32 s48, vcc_lo, exec_lo
	s_or_b32 s48, s0, s48
.LBB15_305:
	s_mov_b32 s0, 0
.LBB15_306:
	s_delay_alu instid0(SALU_CYCLE_1)
	s_and_not1_b32 vcc_lo, exec_lo, s0
	s_cbranch_vccnz .LBB15_308
; %bb.307:
	global_load_b32 v1, v[4:5], off
	s_and_not1_b32 s0, s48, exec_lo
	s_wait_loadcnt 0x0
	v_and_b32_e32 v1, 0x7fff7fff, v1
	s_delay_alu instid0(VALU_DEP_1) | instskip(SKIP_1) | instid1(SALU_CYCLE_1)
	v_cmp_ne_u32_e32 vcc_lo, 0, v1
	s_and_b32 s48, vcc_lo, exec_lo
	s_or_b32 s48, s0, s48
.LBB15_308:
	s_mov_b32 s0, 0
.LBB15_309:
	s_delay_alu instid0(SALU_CYCLE_1)
	s_and_not1_b32 vcc_lo, exec_lo, s0
	s_cbranch_vccnz .LBB15_320
; %bb.310:
	s_cmp_lt_i32 s35, 6
	s_cbranch_scc1 .LBB15_313
; %bb.311:
	s_cmp_gt_i32 s35, 6
	s_cbranch_scc0 .LBB15_314
; %bb.312:
	global_load_b64 v[6:7], v[4:5], off
	s_mov_b32 s0, 0
	s_wait_loadcnt 0x0
	v_cmp_neq_f64_e64 s48, 0, v[6:7]
	s_branch .LBB15_315
.LBB15_313:
	s_mov_b32 s0, -1
                                        ; implicit-def: $sgpr48
	s_branch .LBB15_318
.LBB15_314:
	s_mov_b32 s0, -1
                                        ; implicit-def: $sgpr48
.LBB15_315:
	s_delay_alu instid0(SALU_CYCLE_1)
	s_and_not1_b32 vcc_lo, exec_lo, s0
	s_cbranch_vccnz .LBB15_317
; %bb.316:
	global_load_b32 v1, v[4:5], off
	s_and_not1_b32 s0, s48, exec_lo
	s_wait_loadcnt 0x0
	v_cmp_neq_f32_e32 vcc_lo, 0, v1
	s_and_b32 s48, vcc_lo, exec_lo
	s_delay_alu instid0(SALU_CYCLE_1)
	s_or_b32 s48, s0, s48
.LBB15_317:
	s_mov_b32 s0, 0
.LBB15_318:
	s_delay_alu instid0(SALU_CYCLE_1)
	s_and_not1_b32 vcc_lo, exec_lo, s0
	s_cbranch_vccnz .LBB15_320
; %bb.319:
	global_load_u16 v1, v[4:5], off
	s_and_not1_b32 s0, s48, exec_lo
	s_wait_loadcnt 0x0
	v_and_b32_e32 v1, 0x7fff, v1
	s_delay_alu instid0(VALU_DEP_1) | instskip(SKIP_1) | instid1(SALU_CYCLE_1)
	v_cmp_ne_u16_e32 vcc_lo, 0, v1
	s_and_b32 s48, vcc_lo, exec_lo
	s_or_b32 s48, s0, s48
.LBB15_320:
	s_mov_b32 s0, 0
.LBB15_321:
	s_delay_alu instid0(SALU_CYCLE_1)
	s_and_not1_b32 vcc_lo, exec_lo, s0
	s_cbranch_vccnz .LBB15_341
; %bb.322:
	s_cmp_lt_i32 s35, 2
	s_cbranch_scc1 .LBB15_326
; %bb.323:
	s_cmp_lt_i32 s35, 3
	s_cbranch_scc1 .LBB15_327
; %bb.324:
	s_cmp_gt_i32 s35, 3
	s_cbranch_scc0 .LBB15_328
; %bb.325:
	global_load_b64 v[6:7], v[4:5], off
	s_mov_b32 s0, 0
	s_wait_loadcnt 0x0
	v_cmp_ne_u64_e64 s48, 0, v[6:7]
	s_branch .LBB15_329
.LBB15_326:
	s_mov_b32 s0, -1
                                        ; implicit-def: $sgpr48
	s_branch .LBB15_335
.LBB15_327:
	s_mov_b32 s0, -1
                                        ; implicit-def: $sgpr48
	s_branch .LBB15_332
.LBB15_328:
	s_mov_b32 s0, -1
                                        ; implicit-def: $sgpr48
.LBB15_329:
	s_delay_alu instid0(SALU_CYCLE_1)
	s_and_not1_b32 vcc_lo, exec_lo, s0
	s_cbranch_vccnz .LBB15_331
; %bb.330:
	global_load_b32 v1, v[4:5], off
	s_and_not1_b32 s0, s48, exec_lo
	s_wait_loadcnt 0x0
	v_cmp_ne_u32_e32 vcc_lo, 0, v1
	s_and_b32 s48, vcc_lo, exec_lo
	s_delay_alu instid0(SALU_CYCLE_1)
	s_or_b32 s48, s0, s48
.LBB15_331:
	s_mov_b32 s0, 0
.LBB15_332:
	s_delay_alu instid0(SALU_CYCLE_1)
	s_and_not1_b32 vcc_lo, exec_lo, s0
	s_cbranch_vccnz .LBB15_334
; %bb.333:
	global_load_u16 v1, v[4:5], off
	s_and_not1_b32 s0, s48, exec_lo
	s_wait_loadcnt 0x0
	v_cmp_ne_u16_e32 vcc_lo, 0, v1
	s_and_b32 s48, vcc_lo, exec_lo
	s_delay_alu instid0(SALU_CYCLE_1)
	s_or_b32 s48, s0, s48
.LBB15_334:
	s_mov_b32 s0, 0
.LBB15_335:
	s_delay_alu instid0(SALU_CYCLE_1)
	s_and_not1_b32 vcc_lo, exec_lo, s0
	s_cbranch_vccnz .LBB15_341
; %bb.336:
	s_cmp_gt_i32 s35, 0
	s_mov_b32 s0, 0
	s_cbranch_scc0 .LBB15_338
; %bb.337:
	global_load_u8 v1, v[4:5], off
	s_wait_loadcnt 0x0
	v_cmp_ne_u16_e64 s48, 0, v1
	s_branch .LBB15_339
.LBB15_338:
	s_mov_b32 s0, -1
                                        ; implicit-def: $sgpr48
.LBB15_339:
	s_delay_alu instid0(SALU_CYCLE_1)
	s_and_not1_b32 vcc_lo, exec_lo, s0
	s_cbranch_vccnz .LBB15_341
; %bb.340:
	global_load_u8 v1, v[4:5], off
	s_and_not1_b32 s0, s48, exec_lo
	s_wait_loadcnt 0x0
	v_cmp_ne_u16_e32 vcc_lo, 0, v1
	s_and_b32 s35, vcc_lo, exec_lo
	s_delay_alu instid0(SALU_CYCLE_1)
	s_or_b32 s48, s0, s35
.LBB15_341:
	s_mov_b32 s49, -1
.LBB15_342:
	s_mov_b32 s35, 0
	s_and_not1_b32 vcc_lo, exec_lo, s49
	s_mov_b32 s0, 0
	s_cbranch_vccnz .LBB15_465
; %bb.343:
	v_mov_b32_e32 v3, 0
	s_and_b32 s0, s28, s27
	s_delay_alu instid0(VALU_DEP_2)
	s_and_b32 s28, s36, s48
	s_and_b32 s36, s42, 0xff
	;; [unrolled: 1-line block ×3, first 2 shown]
	v_add_nc_u64_e32 v[2:3], s[4:5], v[2:3]
	s_or_b32 s28, s0, s28
	s_cmp_lt_i32 s36, 11
	s_cbranch_scc1 .LBB15_350
; %bb.344:
	s_and_b32 s37, 0xffff, s36
	s_delay_alu instid0(SALU_CYCLE_1)
	s_cmp_gt_i32 s37, 25
	s_cbranch_scc0 .LBB15_351
; %bb.345:
	s_cmp_gt_i32 s37, 28
	s_cbranch_scc0 .LBB15_352
; %bb.346:
	;; [unrolled: 3-line block ×4, first 2 shown]
	s_mov_b32 s49, 0
	s_mov_b32 s0, -1
	s_cmp_eq_u32 s37, 46
	s_mov_b32 s48, 0
	s_cbranch_scc0 .LBB15_355
; %bb.349:
	v_cndmask_b32_e64 v1, 0, 1.0, s28
	s_mov_b32 s48, -1
	s_mov_b32 s0, 0
	s_delay_alu instid0(VALU_DEP_1) | instskip(NEXT) | instid1(VALU_DEP_1)
	v_bfe_u32 v4, v1, 16, 1
	v_add3_u32 v1, v1, v4, 0x7fff
	s_delay_alu instid0(VALU_DEP_1)
	v_lshrrev_b32_e32 v1, 16, v1
	global_store_b32 v[2:3], v1, off
	s_branch .LBB15_355
.LBB15_350:
	s_mov_b32 s37, -1
	s_mov_b32 s0, 0
	s_mov_b32 s48, 0
	s_branch .LBB15_424
.LBB15_351:
	s_mov_b32 s49, -1
	s_mov_b32 s0, 0
	s_mov_b32 s48, 0
	s_branch .LBB15_382
.LBB15_352:
	s_mov_b32 s49, -1
	s_mov_b32 s0, 0
	s_mov_b32 s48, 0
	s_branch .LBB15_365
.LBB15_353:
	s_mov_b32 s49, -1
	s_mov_b32 s0, 0
	s_mov_b32 s48, 0
	s_branch .LBB15_361
.LBB15_354:
	s_mov_b32 s49, -1
	s_mov_b32 s0, 0
	s_mov_b32 s48, 0
.LBB15_355:
	s_and_b32 vcc_lo, exec_lo, s49
	s_cbranch_vccz .LBB15_360
; %bb.356:
	s_cmp_eq_u32 s37, 44
	s_mov_b32 s0, -1
	s_cbranch_scc0 .LBB15_360
; %bb.357:
	v_cndmask_b32_e64 v5, 0, 1.0, s28
	s_mov_b32 s48, exec_lo
	s_wait_xcnt 0x0
	s_delay_alu instid0(VALU_DEP_1) | instskip(NEXT) | instid1(VALU_DEP_1)
	v_dual_mov_b32 v4, 0xff :: v_dual_lshrrev_b32 v1, 23, v5
	v_cmpx_ne_u32_e32 0xff, v1
; %bb.358:
	v_and_b32_e32 v4, 0x400000, v5
	v_and_or_b32 v5, 0x3fffff, v5, v1
	s_delay_alu instid0(VALU_DEP_2) | instskip(NEXT) | instid1(VALU_DEP_2)
	v_cmp_ne_u32_e32 vcc_lo, 0, v4
	v_cmp_ne_u32_e64 s0, 0, v5
	s_and_b32 s0, vcc_lo, s0
	s_delay_alu instid0(SALU_CYCLE_1) | instskip(NEXT) | instid1(VALU_DEP_1)
	v_cndmask_b32_e64 v4, 0, 1, s0
	v_add_nc_u32_e32 v4, v1, v4
; %bb.359:
	s_or_b32 exec_lo, exec_lo, s48
	s_mov_b32 s48, -1
	s_mov_b32 s0, 0
	global_store_b8 v[2:3], v4, off
.LBB15_360:
	s_mov_b32 s49, 0
.LBB15_361:
	s_delay_alu instid0(SALU_CYCLE_1)
	s_and_b32 vcc_lo, exec_lo, s49
	s_cbranch_vccz .LBB15_364
; %bb.362:
	s_cmp_eq_u32 s37, 29
	s_mov_b32 s0, -1
	s_cbranch_scc0 .LBB15_364
; %bb.363:
	s_mov_b32 s0, 0
	s_wait_xcnt 0x0
	v_cndmask_b32_e64 v4, 0, 1, s28
	v_mov_b32_e32 v5, s0
	s_mov_b32 s48, -1
	s_mov_b32 s49, 0
	global_store_b64 v[2:3], v[4:5], off
	s_branch .LBB15_365
.LBB15_364:
	s_mov_b32 s49, 0
.LBB15_365:
	s_delay_alu instid0(SALU_CYCLE_1)
	s_and_b32 vcc_lo, exec_lo, s49
	s_cbranch_vccz .LBB15_381
; %bb.366:
	s_cmp_lt_i32 s37, 27
	s_mov_b32 s48, -1
	s_cbranch_scc1 .LBB15_372
; %bb.367:
	s_cmp_gt_i32 s37, 27
	s_cbranch_scc0 .LBB15_369
; %bb.368:
	s_wait_xcnt 0x0
	v_cndmask_b32_e64 v1, 0, 1, s28
	s_mov_b32 s48, 0
	global_store_b32 v[2:3], v1, off
.LBB15_369:
	s_and_not1_b32 vcc_lo, exec_lo, s48
	s_cbranch_vccnz .LBB15_371
; %bb.370:
	s_wait_xcnt 0x0
	v_cndmask_b32_e64 v1, 0, 1, s28
	global_store_b16 v[2:3], v1, off
.LBB15_371:
	s_mov_b32 s48, 0
.LBB15_372:
	s_delay_alu instid0(SALU_CYCLE_1)
	s_and_not1_b32 vcc_lo, exec_lo, s48
	s_cbranch_vccnz .LBB15_380
; %bb.373:
	s_wait_xcnt 0x0
	v_cndmask_b32_e64 v4, 0, 1.0, s28
	v_mov_b32_e32 v5, 0x80
	s_mov_b32 s48, exec_lo
	s_delay_alu instid0(VALU_DEP_2)
	v_cmpx_gt_u32_e32 0x43800000, v4
	s_cbranch_execz .LBB15_379
; %bb.374:
	s_mov_b32 s49, 0
	s_mov_b32 s50, exec_lo
                                        ; implicit-def: $vgpr1
	v_cmpx_lt_u32_e32 0x3bffffff, v4
	s_xor_b32 s50, exec_lo, s50
	s_cbranch_execnz .LBB15_716
; %bb.375:
	s_and_not1_saveexec_b32 s50, s50
	s_cbranch_execnz .LBB15_717
.LBB15_376:
	s_or_b32 exec_lo, exec_lo, s50
	v_mov_b32_e32 v5, 0
	s_and_saveexec_b32 s50, s49
.LBB15_377:
	v_mov_b32_e32 v5, v1
.LBB15_378:
	s_or_b32 exec_lo, exec_lo, s50
.LBB15_379:
	s_delay_alu instid0(SALU_CYCLE_1)
	s_or_b32 exec_lo, exec_lo, s48
	global_store_b8 v[2:3], v5, off
.LBB15_380:
	s_mov_b32 s48, -1
.LBB15_381:
	s_mov_b32 s49, 0
.LBB15_382:
	s_delay_alu instid0(SALU_CYCLE_1)
	s_and_b32 vcc_lo, exec_lo, s49
	s_cbranch_vccz .LBB15_423
; %bb.383:
	s_cmp_gt_i32 s37, 22
	s_mov_b32 s49, -1
	s_cbranch_scc0 .LBB15_415
; %bb.384:
	s_cmp_lt_i32 s37, 24
	s_mov_b32 s48, -1
	s_cbranch_scc1 .LBB15_404
; %bb.385:
	s_cmp_gt_i32 s37, 24
	s_cbranch_scc0 .LBB15_393
; %bb.386:
	s_wait_xcnt 0x0
	v_cndmask_b32_e64 v4, 0, 1.0, s28
	v_mov_b32_e32 v5, 0x80
	s_mov_b32 s48, exec_lo
	s_delay_alu instid0(VALU_DEP_2)
	v_cmpx_gt_u32_e32 0x47800000, v4
	s_cbranch_execz .LBB15_392
; %bb.387:
	s_mov_b32 s49, 0
	s_mov_b32 s50, exec_lo
                                        ; implicit-def: $vgpr1
	v_cmpx_lt_u32_e32 0x37ffffff, v4
	s_xor_b32 s50, exec_lo, s50
	s_cbranch_execnz .LBB15_1189
; %bb.388:
	s_and_not1_saveexec_b32 s50, s50
	s_cbranch_execnz .LBB15_1190
.LBB15_389:
	s_or_b32 exec_lo, exec_lo, s50
	v_mov_b32_e32 v5, 0
	s_and_saveexec_b32 s50, s49
.LBB15_390:
	v_mov_b32_e32 v5, v1
.LBB15_391:
	s_or_b32 exec_lo, exec_lo, s50
.LBB15_392:
	s_delay_alu instid0(SALU_CYCLE_1)
	s_or_b32 exec_lo, exec_lo, s48
	s_mov_b32 s48, 0
	global_store_b8 v[2:3], v5, off
.LBB15_393:
	s_and_b32 vcc_lo, exec_lo, s48
	s_cbranch_vccz .LBB15_403
; %bb.394:
	s_wait_xcnt 0x0
	v_cndmask_b32_e64 v4, 0, 1.0, s28
	s_mov_b32 s48, exec_lo
                                        ; implicit-def: $vgpr1
	s_delay_alu instid0(VALU_DEP_1)
	v_cmpx_gt_u32_e32 0x43f00000, v4
	s_xor_b32 s48, exec_lo, s48
	s_cbranch_execz .LBB15_400
; %bb.395:
	s_mov_b32 s49, exec_lo
                                        ; implicit-def: $vgpr1
	v_cmpx_lt_u32_e32 0x3c7fffff, v4
	s_xor_b32 s49, exec_lo, s49
; %bb.396:
	v_bfe_u32 v1, v4, 20, 1
	s_delay_alu instid0(VALU_DEP_1) | instskip(NEXT) | instid1(VALU_DEP_1)
	v_add3_u32 v1, v4, v1, 0x407ffff
	v_and_b32_e32 v4, 0xff00000, v1
	v_lshrrev_b32_e32 v1, 20, v1
	s_delay_alu instid0(VALU_DEP_2) | instskip(NEXT) | instid1(VALU_DEP_2)
	v_cmp_ne_u32_e32 vcc_lo, 0x7f00000, v4
                                        ; implicit-def: $vgpr4
	v_cndmask_b32_e32 v1, 0x7e, v1, vcc_lo
; %bb.397:
	s_and_not1_saveexec_b32 s49, s49
; %bb.398:
	v_add_f32_e32 v1, 0x46800000, v4
; %bb.399:
	s_or_b32 exec_lo, exec_lo, s49
                                        ; implicit-def: $vgpr4
.LBB15_400:
	s_and_not1_saveexec_b32 s48, s48
; %bb.401:
	v_mov_b32_e32 v1, 0x7f
	v_cmp_lt_u32_e32 vcc_lo, 0x7f800000, v4
	s_delay_alu instid0(VALU_DEP_2)
	v_cndmask_b32_e32 v1, 0x7e, v1, vcc_lo
; %bb.402:
	s_or_b32 exec_lo, exec_lo, s48
	global_store_b8 v[2:3], v1, off
.LBB15_403:
	s_mov_b32 s48, 0
.LBB15_404:
	s_delay_alu instid0(SALU_CYCLE_1)
	s_and_not1_b32 vcc_lo, exec_lo, s48
	s_cbranch_vccnz .LBB15_414
; %bb.405:
	s_wait_xcnt 0x0
	v_cndmask_b32_e64 v4, 0, 1.0, s28
	s_mov_b32 s48, exec_lo
                                        ; implicit-def: $vgpr1
	s_delay_alu instid0(VALU_DEP_1)
	v_cmpx_gt_u32_e32 0x47800000, v4
	s_xor_b32 s48, exec_lo, s48
	s_cbranch_execz .LBB15_411
; %bb.406:
	s_mov_b32 s49, exec_lo
                                        ; implicit-def: $vgpr1
	v_cmpx_lt_u32_e32 0x387fffff, v4
	s_xor_b32 s49, exec_lo, s49
; %bb.407:
	v_bfe_u32 v1, v4, 21, 1
	s_delay_alu instid0(VALU_DEP_1) | instskip(NEXT) | instid1(VALU_DEP_1)
	v_add3_u32 v1, v4, v1, 0x80fffff
                                        ; implicit-def: $vgpr4
	v_lshrrev_b32_e32 v1, 21, v1
; %bb.408:
	s_and_not1_saveexec_b32 s49, s49
; %bb.409:
	v_add_f32_e32 v1, 0x43000000, v4
; %bb.410:
	s_or_b32 exec_lo, exec_lo, s49
                                        ; implicit-def: $vgpr4
.LBB15_411:
	s_and_not1_saveexec_b32 s48, s48
; %bb.412:
	v_mov_b32_e32 v1, 0x7f
	v_cmp_lt_u32_e32 vcc_lo, 0x7f800000, v4
	s_delay_alu instid0(VALU_DEP_2)
	v_cndmask_b32_e32 v1, 0x7c, v1, vcc_lo
; %bb.413:
	s_or_b32 exec_lo, exec_lo, s48
	global_store_b8 v[2:3], v1, off
.LBB15_414:
	s_mov_b32 s49, 0
	s_mov_b32 s48, -1
.LBB15_415:
	s_and_not1_b32 vcc_lo, exec_lo, s49
	s_cbranch_vccnz .LBB15_423
; %bb.416:
	s_cmp_gt_i32 s37, 14
	s_mov_b32 s49, -1
	s_cbranch_scc0 .LBB15_420
; %bb.417:
	s_cmp_eq_u32 s37, 15
	s_mov_b32 s0, -1
	s_cbranch_scc0 .LBB15_419
; %bb.418:
	s_wait_xcnt 0x0
	v_cndmask_b32_e64 v1, 0, 1.0, s28
	s_mov_b32 s48, -1
	s_mov_b32 s0, 0
	s_delay_alu instid0(VALU_DEP_1) | instskip(NEXT) | instid1(VALU_DEP_1)
	v_bfe_u32 v4, v1, 16, 1
	v_add3_u32 v1, v1, v4, 0x7fff
	global_store_d16_hi_b16 v[2:3], v1, off
.LBB15_419:
	s_mov_b32 s49, 0
.LBB15_420:
	s_delay_alu instid0(SALU_CYCLE_1)
	s_and_b32 vcc_lo, exec_lo, s49
	s_cbranch_vccz .LBB15_423
; %bb.421:
	s_cmp_eq_u32 s37, 11
	s_mov_b32 s0, -1
	s_cbranch_scc0 .LBB15_423
; %bb.422:
	s_wait_xcnt 0x0
	v_cndmask_b32_e64 v1, 0, 1, s28
	s_mov_b32 s48, -1
	s_mov_b32 s0, 0
	global_store_b8 v[2:3], v1, off
.LBB15_423:
	s_mov_b32 s37, 0
.LBB15_424:
	s_delay_alu instid0(SALU_CYCLE_1)
	s_and_b32 vcc_lo, exec_lo, s37
	s_cbranch_vccz .LBB15_463
; %bb.425:
	s_and_b32 s36, 0xffff, s36
	s_mov_b32 s37, -1
	s_cmp_lt_i32 s36, 5
	s_cbranch_scc1 .LBB15_446
; %bb.426:
	s_cmp_lt_i32 s36, 8
	s_cbranch_scc1 .LBB15_436
; %bb.427:
	;; [unrolled: 3-line block ×3, first 2 shown]
	s_cmp_gt_i32 s36, 9
	s_cbranch_scc0 .LBB15_430
; %bb.429:
	s_wait_xcnt 0x0
	v_cndmask_b32_e64 v1, 0, 1, s28
	v_mov_b32_e32 v6, 0
	s_mov_b32 s37, 0
	s_delay_alu instid0(VALU_DEP_2) | instskip(NEXT) | instid1(VALU_DEP_2)
	v_cvt_f64_u32_e32 v[4:5], v1
	v_mov_b32_e32 v7, v6
	global_store_b128 v[2:3], v[4:7], off
.LBB15_430:
	s_and_not1_b32 vcc_lo, exec_lo, s37
	s_cbranch_vccnz .LBB15_432
; %bb.431:
	s_wait_xcnt 0x0
	v_cndmask_b32_e64 v4, 0, 1.0, s28
	v_mov_b32_e32 v5, 0
	global_store_b64 v[2:3], v[4:5], off
.LBB15_432:
	s_mov_b32 s37, 0
.LBB15_433:
	s_delay_alu instid0(SALU_CYCLE_1)
	s_and_not1_b32 vcc_lo, exec_lo, s37
	s_cbranch_vccnz .LBB15_435
; %bb.434:
	s_wait_xcnt 0x0
	v_cndmask_b32_e64 v1, 0, 1.0, s28
	s_delay_alu instid0(VALU_DEP_1) | instskip(NEXT) | instid1(VALU_DEP_1)
	v_cvt_f16_f32_e32 v1, v1
	v_and_b32_e32 v1, 0xffff, v1
	global_store_b32 v[2:3], v1, off
.LBB15_435:
	s_mov_b32 s37, 0
.LBB15_436:
	s_delay_alu instid0(SALU_CYCLE_1)
	s_and_not1_b32 vcc_lo, exec_lo, s37
	s_cbranch_vccnz .LBB15_445
; %bb.437:
	s_cmp_lt_i32 s36, 6
	s_mov_b32 s37, -1
	s_cbranch_scc1 .LBB15_443
; %bb.438:
	s_cmp_gt_i32 s36, 6
	s_cbranch_scc0 .LBB15_440
; %bb.439:
	s_wait_xcnt 0x0
	v_cndmask_b32_e64 v1, 0, 1, s28
	s_mov_b32 s37, 0
	s_delay_alu instid0(VALU_DEP_1)
	v_cvt_f64_u32_e32 v[4:5], v1
	global_store_b64 v[2:3], v[4:5], off
.LBB15_440:
	s_and_not1_b32 vcc_lo, exec_lo, s37
	s_cbranch_vccnz .LBB15_442
; %bb.441:
	s_wait_xcnt 0x0
	v_cndmask_b32_e64 v1, 0, 1.0, s28
	global_store_b32 v[2:3], v1, off
.LBB15_442:
	s_mov_b32 s37, 0
.LBB15_443:
	s_delay_alu instid0(SALU_CYCLE_1)
	s_and_not1_b32 vcc_lo, exec_lo, s37
	s_cbranch_vccnz .LBB15_445
; %bb.444:
	s_wait_xcnt 0x0
	v_cndmask_b32_e64 v1, 0, 1.0, s28
	s_delay_alu instid0(VALU_DEP_1)
	v_cvt_f16_f32_e32 v1, v1
	global_store_b16 v[2:3], v1, off
.LBB15_445:
	s_mov_b32 s37, 0
.LBB15_446:
	s_delay_alu instid0(SALU_CYCLE_1)
	s_and_not1_b32 vcc_lo, exec_lo, s37
	s_cbranch_vccnz .LBB15_462
; %bb.447:
	s_cmp_lt_i32 s36, 2
	s_mov_b32 s37, -1
	s_cbranch_scc1 .LBB15_457
; %bb.448:
	s_cmp_lt_i32 s36, 3
	s_cbranch_scc1 .LBB15_454
; %bb.449:
	s_cmp_gt_i32 s36, 3
	s_cbranch_scc0 .LBB15_451
; %bb.450:
	s_mov_b32 s37, 0
	s_wait_xcnt 0x0
	v_cndmask_b32_e64 v4, 0, 1, s28
	v_mov_b32_e32 v5, s37
	global_store_b64 v[2:3], v[4:5], off
.LBB15_451:
	s_and_not1_b32 vcc_lo, exec_lo, s37
	s_cbranch_vccnz .LBB15_453
; %bb.452:
	s_wait_xcnt 0x0
	v_cndmask_b32_e64 v1, 0, 1, s28
	global_store_b32 v[2:3], v1, off
.LBB15_453:
	s_mov_b32 s37, 0
.LBB15_454:
	s_delay_alu instid0(SALU_CYCLE_1)
	s_and_not1_b32 vcc_lo, exec_lo, s37
	s_cbranch_vccnz .LBB15_456
; %bb.455:
	s_wait_xcnt 0x0
	v_cndmask_b32_e64 v1, 0, 1, s28
	global_store_b16 v[2:3], v1, off
.LBB15_456:
	s_mov_b32 s37, 0
.LBB15_457:
	s_delay_alu instid0(SALU_CYCLE_1)
	s_and_not1_b32 vcc_lo, exec_lo, s37
	s_cbranch_vccnz .LBB15_462
; %bb.458:
	s_wait_xcnt 0x0
	v_cndmask_b32_e64 v1, 0, 1, s28
	s_cmp_gt_i32 s36, 0
	s_mov_b32 s28, -1
	s_cbranch_scc0 .LBB15_460
; %bb.459:
	s_mov_b32 s28, 0
	global_store_b8 v[2:3], v1, off
.LBB15_460:
	s_and_not1_b32 vcc_lo, exec_lo, s28
	s_cbranch_vccnz .LBB15_462
; %bb.461:
	global_store_b8 v[2:3], v1, off
.LBB15_462:
	s_mov_b32 s48, -1
.LBB15_463:
	s_mov_b32 s37, 0
	s_and_not1_b32 vcc_lo, exec_lo, s48
	s_mov_b32 s52, 0
	s_cbranch_vccnz .LBB15_465
; %bb.464:
	v_add_nc_u32_e32 v0, 0x80, v0
	s_mov_b32 s52, -1
.LBB15_465:
	s_and_b32 s28, s0, exec_lo
	s_and_b32 s48, s37, exec_lo
	;; [unrolled: 1-line block ×4, first 2 shown]
	s_or_not1_b32 s37, s52, exec_lo
.LBB15_466:
	s_wait_xcnt 0x0
	s_or_b32 exec_lo, exec_lo, s51
	s_mov_b32 s0, 0
	s_mov_b32 s36, 0
                                        ; implicit-def: $sgpr34
                                        ; implicit-def: $sgpr35
                                        ; implicit-def: $vgpr8_vgpr9
                                        ; implicit-def: $vgpr2
                                        ; implicit-def: $vgpr4
                                        ; implicit-def: $vgpr6
	s_and_saveexec_b32 s51, s37
	s_cbranch_execnz .LBB15_470
; %bb.467:
	s_or_b32 exec_lo, exec_lo, s51
	s_mov_b32 s6, 0
	s_and_saveexec_b32 s7, s50
	s_cbranch_execnz .LBB15_1492
.LBB15_468:
	s_or_b32 exec_lo, exec_lo, s7
	s_and_saveexec_b32 s7, s25
	s_delay_alu instid0(SALU_CYCLE_1)
	s_xor_b32 s7, exec_lo, s7
	s_cbranch_execnz .LBB15_1493
.LBB15_469:
	s_or_b32 exec_lo, exec_lo, s7
	s_and_saveexec_b32 s7, s0
	s_cbranch_execnz .LBB15_1494
	s_branch .LBB15_1539
.LBB15_470:
	s_mov_b32 s0, -1
	s_mov_b32 s52, s50
	s_mov_b32 s55, s49
	;; [unrolled: 1-line block ×4, first 2 shown]
	s_mov_b32 s56, exec_lo
	v_cmpx_gt_i32_e64 s46, v0
	s_cbranch_execz .LBB15_940
; %bb.471:
	s_and_not1_b32 vcc_lo, exec_lo, s40
	s_cbranch_vccnz .LBB15_477
; %bb.472:
	s_and_not1_b32 vcc_lo, exec_lo, s47
	s_cbranch_vccnz .LBB15_478
; %bb.473:
	v_dual_mov_b32 v6, 0 :: v_dual_mov_b32 v1, v0
	v_dual_mov_b32 v4, 0 :: v_dual_mov_b32 v2, 0
	v_mov_b32_e32 v8, 0
	s_add_co_i32 s0, s45, 1
	s_mov_b64 s[34:35], 0xffffffffffffffe0
	s_and_b32 s0, s0, 30
	s_add_nc_u64 s[34:35], s[2:3], s[34:35]
	s_mov_b64 s[36:37], s[2:3]
.LBB15_474:                             ; =>This Inner Loop Header: Depth=1
	s_clause 0x1
	s_load_b128 s[52:55], s[36:37], 0x4
	s_load_b64 s[58:59], s[36:37], 0x14
	s_load_b256 s[60:67], s[34:35], 0xe4
	s_add_co_i32 s0, s0, -2
	s_wait_xcnt 0x0
	s_add_nc_u64 s[36:37], s[36:37], 24
	s_cmp_eq_u32 s0, 0
	s_add_nc_u64 s[34:35], s[34:35], 32
	s_wait_kmcnt 0x0
	v_mul_hi_u32 v3, s53, v1
	s_delay_alu instid0(VALU_DEP_1) | instskip(NEXT) | instid1(VALU_DEP_1)
	v_add_nc_u32_e32 v3, v1, v3
	v_lshrrev_b32_e32 v3, s54, v3
	s_delay_alu instid0(VALU_DEP_1) | instskip(SKIP_1) | instid1(VALU_DEP_1)
	v_mul_hi_u32 v5, s58, v3
	v_mul_lo_u32 v7, v3, s52
	v_dual_add_nc_u32 v5, v3, v5 :: v_dual_sub_nc_u32 v7, v1, v7
	s_delay_alu instid0(VALU_DEP_1) | instskip(NEXT) | instid1(VALU_DEP_2)
	v_lshrrev_b32_e32 v1, s59, v5
	v_mad_u32 v8, v7, s61, v8
	v_mad_u32 v2, v7, s60, v2
	;; [unrolled: 1-line block ×4, first 2 shown]
	v_mul_lo_u32 v5, v1, s55
	s_delay_alu instid0(VALU_DEP_1) | instskip(NEXT) | instid1(VALU_DEP_1)
	v_sub_nc_u32_e32 v3, v3, v5
	v_mad_u32 v8, v3, s65, v8
	v_mad_u32 v2, v3, s64, v2
	;; [unrolled: 1-line block ×4, first 2 shown]
	s_cbranch_scc0 .LBB15_474
; %bb.475:
	s_bitcmp1_b32 s45, 0
	s_cselect_b32 s0, -1, 0
	s_delay_alu instid0(SALU_CYCLE_1)
	s_and_b32 vcc_lo, exec_lo, s0
	s_cbranch_vccnz .LBB15_479
; %bb.476:
	s_load_b96 s[60:62], s[36:37], 0x4
	s_load_b128 s[52:55], s[34:35], 0xe4
	s_wait_kmcnt 0x0
	v_mul_hi_u32 v3, s61, v1
	s_delay_alu instid0(VALU_DEP_1) | instskip(NEXT) | instid1(VALU_DEP_1)
	v_add_nc_u32_e32 v3, v1, v3
	v_lshrrev_b32_e32 v3, s62, v3
	s_delay_alu instid0(VALU_DEP_1) | instskip(NEXT) | instid1(VALU_DEP_1)
	v_mul_lo_u32 v3, v3, s60
	v_sub_nc_u32_e32 v1, v1, v3
	s_delay_alu instid0(VALU_DEP_1)
	v_mad_u32 v2, v1, s52, v2
	v_mad_u32 v8, v1, s53, v8
	;; [unrolled: 1-line block ×4, first 2 shown]
	s_branch .LBB15_479
.LBB15_477:
                                        ; implicit-def: $vgpr8
                                        ; implicit-def: $vgpr2
                                        ; implicit-def: $vgpr4
                                        ; implicit-def: $vgpr6
	s_and_not1_b32 vcc_lo, exec_lo, s0
	s_cbranch_vccz .LBB15_480
	s_branch .LBB15_482
.LBB15_478:
	v_dual_mov_b32 v8, 0 :: v_dual_mov_b32 v2, 0
	v_dual_mov_b32 v4, 0 :: v_dual_mov_b32 v6, 0
.LBB15_479:
	s_cbranch_execnz .LBB15_482
.LBB15_480:
	v_mov_b32_e32 v1, 0
	s_and_not1_b32 vcc_lo, exec_lo, s44
	s_delay_alu instid0(VALU_DEP_1) | instskip(NEXT) | instid1(VALU_DEP_1)
	v_mul_u64_e32 v[2:3], s[24:25], v[0:1]
	v_add_nc_u32_e32 v2, v0, v3
	s_delay_alu instid0(VALU_DEP_1) | instskip(NEXT) | instid1(VALU_DEP_1)
	v_lshrrev_b32_e32 v10, s22, v2
	v_mul_lo_u32 v2, v10, s20
	s_delay_alu instid0(VALU_DEP_1) | instskip(NEXT) | instid1(VALU_DEP_1)
	v_sub_nc_u32_e32 v3, v0, v2
	v_mul_lo_u32 v8, v3, s13
	v_mul_lo_u32 v2, v3, s12
	;; [unrolled: 1-line block ×4, first 2 shown]
	s_cbranch_vccnz .LBB15_482
; %bb.481:
	v_mov_b32_e32 v11, v1
	s_delay_alu instid0(VALU_DEP_1) | instskip(NEXT) | instid1(VALU_DEP_1)
	v_mul_u64_e32 v[12:13], s[30:31], v[10:11]
	v_add_nc_u32_e32 v1, v10, v13
	s_delay_alu instid0(VALU_DEP_1) | instskip(NEXT) | instid1(VALU_DEP_1)
	v_lshrrev_b32_e32 v1, s29, v1
	v_mul_lo_u32 v1, v1, s23
	s_delay_alu instid0(VALU_DEP_1) | instskip(NEXT) | instid1(VALU_DEP_1)
	v_sub_nc_u32_e32 v1, v10, v1
	v_mad_u32 v2, v1, s16, v2
	v_mad_u32 v8, v1, s17, v8
	;; [unrolled: 1-line block ×4, first 2 shown]
.LBB15_482:
	v_mov_b32_e32 v9, 0
	s_and_b32 s0, s26, 0xff
	s_delay_alu instid0(SALU_CYCLE_1) | instskip(NEXT) | instid1(VALU_DEP_1)
	s_cmp_lt_i32 s0, 11
	v_add_nc_u64_e32 v[8:9], s[6:7], v[8:9]
	s_cbranch_scc1 .LBB15_489
; %bb.483:
	s_and_b32 s36, 0xffff, s0
	s_delay_alu instid0(SALU_CYCLE_1)
	s_cmp_gt_i32 s36, 25
	s_cbranch_scc0 .LBB15_498
; %bb.484:
	s_cmp_gt_i32 s36, 28
	s_cbranch_scc0 .LBB15_500
; %bb.485:
	;; [unrolled: 3-line block ×4, first 2 shown]
	s_cmp_eq_u32 s36, 46
	s_mov_b32 s52, 0
	s_cbranch_scc0 .LBB15_506
; %bb.488:
	global_load_b32 v1, v[8:9], off
	s_mov_b32 s34, 0
	s_mov_b32 s37, -1
	s_wait_loadcnt 0x0
	v_and_b32_e32 v1, 0x7fff7fff, v1
	s_delay_alu instid0(VALU_DEP_1)
	v_cmp_ne_u32_e64 s35, 0, v1
	s_branch .LBB15_508
.LBB15_489:
	s_mov_b32 s37, 0
	s_mov_b32 s34, s50
                                        ; implicit-def: $sgpr35
	s_cbranch_execnz .LBB15_555
.LBB15_490:
	s_and_not1_b32 vcc_lo, exec_lo, s37
	s_cbranch_vccnz .LBB15_603
.LBB15_491:
	v_mov_b32_e32 v7, 0
	s_and_b32 s0, s1, 0xff
	s_delay_alu instid0(SALU_CYCLE_1) | instskip(NEXT) | instid1(VALU_DEP_1)
	s_cmp_lt_i32 s0, 11
	v_add_nc_u64_e32 v[6:7], s[8:9], v[6:7]
	s_cbranch_scc1 .LBB15_499
; %bb.492:
	s_and_b32 s34, 0xffff, s0
	s_delay_alu instid0(SALU_CYCLE_1)
	s_cmp_gt_i32 s34, 25
	s_cbranch_scc0 .LBB15_501
; %bb.493:
	s_cmp_gt_i32 s34, 28
	s_cbranch_scc0 .LBB15_503
; %bb.494:
	;; [unrolled: 3-line block ×4, first 2 shown]
	s_cmp_eq_u32 s34, 46
	s_mov_b32 s53, 0
	s_cbranch_scc0 .LBB15_605
; %bb.497:
	global_load_b32 v1, v[6:7], off
	s_mov_b32 s36, 0
	s_mov_b32 s52, -1
	s_wait_loadcnt 0x0
	v_and_b32_e32 v1, 0x7fff7fff, v1
	s_delay_alu instid0(VALU_DEP_1)
	v_cmp_ne_u32_e64 s37, 0, v1
	s_branch .LBB15_607
.LBB15_498:
	s_mov_b32 s52, -1
	s_mov_b32 s37, 0
	s_mov_b32 s34, s50
                                        ; implicit-def: $sgpr35
	s_branch .LBB15_529
.LBB15_499:
	s_mov_b32 s34, -1
	s_mov_b32 s52, 0
	s_mov_b32 s36, s49
                                        ; implicit-def: $sgpr37
	s_branch .LBB15_654
.LBB15_500:
	s_mov_b32 s52, -1
	s_mov_b32 s37, 0
	s_mov_b32 s34, s50
                                        ; implicit-def: $sgpr35
	s_branch .LBB15_516
.LBB15_501:
	s_mov_b32 s53, -1
	s_mov_b32 s52, 0
	s_mov_b32 s36, s49
                                        ; implicit-def: $sgpr37
	s_branch .LBB15_628
.LBB15_502:
	s_mov_b32 s52, -1
	s_mov_b32 s37, 0
	s_mov_b32 s34, s50
                                        ; implicit-def: $sgpr35
	s_branch .LBB15_511
.LBB15_503:
	s_mov_b32 s53, -1
	s_mov_b32 s52, 0
	s_mov_b32 s36, s49
                                        ; implicit-def: $sgpr37
	s_branch .LBB15_615
.LBB15_504:
	s_mov_b32 s52, -1
	s_mov_b32 s37, 0
	s_mov_b32 s34, s50
	s_branch .LBB15_507
.LBB15_505:
	s_mov_b32 s53, -1
	s_mov_b32 s52, 0
	s_mov_b32 s36, s49
                                        ; implicit-def: $sgpr37
	s_branch .LBB15_610
.LBB15_506:
	s_mov_b32 s34, -1
	s_mov_b32 s37, 0
.LBB15_507:
                                        ; implicit-def: $sgpr35
.LBB15_508:
	s_and_b32 vcc_lo, exec_lo, s52
	s_cbranch_vccz .LBB15_510
; %bb.509:
	s_cmp_eq_u32 s36, 44
	s_cselect_b32 s37, -1, 0
	s_or_b32 s35, s35, exec_lo
	s_or_b32 s34, s34, exec_lo
.LBB15_510:
	s_mov_b32 s52, 0
.LBB15_511:
	s_delay_alu instid0(SALU_CYCLE_1)
	s_and_b32 vcc_lo, exec_lo, s52
	s_cbranch_vccz .LBB15_515
; %bb.512:
	s_cmp_eq_u32 s36, 29
	s_cbranch_scc0 .LBB15_514
; %bb.513:
	global_load_b64 v[10:11], v[8:9], off
	s_mov_b32 s37, -1
	s_mov_b32 s34, 0
	s_mov_b32 s52, 0
	s_wait_loadcnt 0x0
	v_cmp_ne_u64_e64 s35, 0, v[10:11]
	s_branch .LBB15_516
.LBB15_514:
	s_mov_b32 s34, -1
                                        ; implicit-def: $sgpr35
.LBB15_515:
	s_mov_b32 s52, 0
.LBB15_516:
	s_delay_alu instid0(SALU_CYCLE_1)
	s_and_b32 vcc_lo, exec_lo, s52
	s_cbranch_vccz .LBB15_528
; %bb.517:
	s_cmp_lt_i32 s36, 27
	s_cbranch_scc1 .LBB15_520
; %bb.518:
	s_cmp_gt_i32 s36, 27
	s_cbranch_scc0 .LBB15_521
; %bb.519:
	global_load_b32 v1, v[8:9], off
	s_mov_b32 s37, 0
	s_wait_loadcnt 0x0
	v_cmp_ne_u32_e64 s35, 0, v1
	s_branch .LBB15_522
.LBB15_520:
	s_mov_b32 s37, -1
                                        ; implicit-def: $sgpr35
	s_branch .LBB15_525
.LBB15_521:
	s_mov_b32 s37, -1
                                        ; implicit-def: $sgpr35
.LBB15_522:
	s_delay_alu instid0(SALU_CYCLE_1)
	s_and_not1_b32 vcc_lo, exec_lo, s37
	s_cbranch_vccnz .LBB15_524
; %bb.523:
	global_load_u16 v1, v[8:9], off
	s_and_not1_b32 s35, s35, exec_lo
	s_wait_loadcnt 0x0
	v_cmp_ne_u16_e32 vcc_lo, 0, v1
	s_and_b32 s37, vcc_lo, exec_lo
	s_delay_alu instid0(SALU_CYCLE_1)
	s_or_b32 s35, s35, s37
.LBB15_524:
	s_mov_b32 s37, 0
.LBB15_525:
	s_delay_alu instid0(SALU_CYCLE_1)
	s_and_not1_b32 vcc_lo, exec_lo, s37
	s_cbranch_vccnz .LBB15_527
; %bb.526:
	global_load_u8 v1, v[8:9], off
	s_and_not1_b32 s35, s35, exec_lo
	s_wait_loadcnt 0x0
	v_cmp_ne_u16_e32 vcc_lo, 0, v1
	s_and_b32 s37, vcc_lo, exec_lo
	s_delay_alu instid0(SALU_CYCLE_1)
	s_or_b32 s35, s35, s37
.LBB15_527:
	s_mov_b32 s37, -1
.LBB15_528:
	s_mov_b32 s52, 0
.LBB15_529:
	s_delay_alu instid0(SALU_CYCLE_1)
	s_and_b32 vcc_lo, exec_lo, s52
	s_cbranch_vccz .LBB15_554
; %bb.530:
	s_cmp_gt_i32 s36, 22
	s_cbranch_scc0 .LBB15_534
; %bb.531:
	s_cmp_lt_i32 s36, 24
	s_cbranch_scc1 .LBB15_535
; %bb.532:
	s_cmp_gt_i32 s36, 24
	s_cbranch_scc0 .LBB15_536
; %bb.533:
	global_load_u8 v1, v[8:9], off
	s_mov_b32 s37, 0
	s_wait_loadcnt 0x0
	v_cmp_ne_u16_e64 s35, 0, v1
	s_branch .LBB15_537
.LBB15_534:
	s_mov_b32 s52, -1
                                        ; implicit-def: $sgpr35
	s_branch .LBB15_543
.LBB15_535:
	s_mov_b32 s37, -1
                                        ; implicit-def: $sgpr35
	s_branch .LBB15_540
.LBB15_536:
	s_mov_b32 s37, -1
                                        ; implicit-def: $sgpr35
.LBB15_537:
	s_delay_alu instid0(SALU_CYCLE_1)
	s_and_not1_b32 vcc_lo, exec_lo, s37
	s_cbranch_vccnz .LBB15_539
; %bb.538:
	global_load_u8 v1, v[8:9], off
	s_and_not1_b32 s35, s35, exec_lo
	s_wait_loadcnt 0x0
	v_and_b32_e32 v1, 0x7f, v1
	s_delay_alu instid0(VALU_DEP_1) | instskip(SKIP_1) | instid1(SALU_CYCLE_1)
	v_cmp_ne_u16_e32 vcc_lo, 0, v1
	s_and_b32 s37, vcc_lo, exec_lo
	s_or_b32 s35, s35, s37
.LBB15_539:
	s_mov_b32 s37, 0
.LBB15_540:
	s_delay_alu instid0(SALU_CYCLE_1)
	s_and_not1_b32 vcc_lo, exec_lo, s37
	s_cbranch_vccnz .LBB15_542
; %bb.541:
	global_load_u8 v1, v[8:9], off
	s_and_not1_b32 s35, s35, exec_lo
	s_wait_loadcnt 0x0
	v_dual_lshlrev_b32 v3, 25, v1 :: v_dual_lshlrev_b32 v1, 8, v1
	s_delay_alu instid0(VALU_DEP_1) | instskip(NEXT) | instid1(VALU_DEP_2)
	v_cmp_gt_u32_e32 vcc_lo, 0x8000000, v3
	v_and_or_b32 v1, 0x7f00, v1, 0.5
	s_delay_alu instid0(VALU_DEP_1) | instskip(NEXT) | instid1(VALU_DEP_1)
	v_dual_lshrrev_b32 v5, 4, v3 :: v_dual_add_f32 v1, -0.5, v1
	v_or_b32_e32 v5, 0x70000000, v5
	s_delay_alu instid0(VALU_DEP_1) | instskip(NEXT) | instid1(VALU_DEP_1)
	v_mul_f32_e32 v5, 0x7800000, v5
	v_cndmask_b32_e32 v1, v5, v1, vcc_lo
	s_delay_alu instid0(VALU_DEP_1) | instskip(SKIP_1) | instid1(SALU_CYCLE_1)
	v_cmp_neq_f32_e32 vcc_lo, 0, v1
	s_and_b32 s37, vcc_lo, exec_lo
	s_or_b32 s35, s35, s37
.LBB15_542:
	s_mov_b32 s52, 0
	s_mov_b32 s37, -1
.LBB15_543:
	s_and_not1_b32 vcc_lo, exec_lo, s52
	s_cbranch_vccnz .LBB15_554
; %bb.544:
	s_cmp_gt_i32 s36, 14
	s_cbranch_scc0 .LBB15_547
; %bb.545:
	s_cmp_eq_u32 s36, 15
	s_cbranch_scc0 .LBB15_548
; %bb.546:
	global_load_u16 v1, v[8:9], off
	s_mov_b32 s34, 0
	s_mov_b32 s37, -1
	s_wait_loadcnt 0x0
	v_and_b32_e32 v1, 0x7fff, v1
	s_delay_alu instid0(VALU_DEP_1)
	v_cmp_ne_u16_e64 s35, 0, v1
	s_branch .LBB15_549
.LBB15_547:
	s_mov_b32 s52, -1
                                        ; implicit-def: $sgpr35
	s_branch .LBB15_550
.LBB15_548:
	s_mov_b32 s34, -1
                                        ; implicit-def: $sgpr35
.LBB15_549:
	s_mov_b32 s52, 0
.LBB15_550:
	s_delay_alu instid0(SALU_CYCLE_1)
	s_and_b32 vcc_lo, exec_lo, s52
	s_cbranch_vccz .LBB15_554
; %bb.551:
	s_cmp_eq_u32 s36, 11
	s_cbranch_scc0 .LBB15_553
; %bb.552:
	global_load_u8 v1, v[8:9], off
	s_mov_b32 s34, 0
	s_mov_b32 s37, -1
	s_wait_loadcnt 0x0
	v_cmp_ne_u16_e64 s35, 0, v1
	s_branch .LBB15_554
.LBB15_553:
	s_mov_b32 s34, -1
                                        ; implicit-def: $sgpr35
.LBB15_554:
	s_branch .LBB15_490
.LBB15_555:
	s_and_b32 s36, 0xffff, s0
	s_delay_alu instid0(SALU_CYCLE_1)
	s_cmp_lt_i32 s36, 5
	s_cbranch_scc1 .LBB15_560
; %bb.556:
	s_cmp_lt_i32 s36, 8
	s_cbranch_scc1 .LBB15_561
; %bb.557:
	;; [unrolled: 3-line block ×3, first 2 shown]
	s_cmp_gt_i32 s36, 9
	s_cbranch_scc0 .LBB15_563
; %bb.559:
	global_load_b128 v[10:13], v[8:9], off
	s_wait_loadcnt 0x0
	v_cmp_neq_f64_e32 vcc_lo, 0, v[10:11]
	v_cmp_neq_f64_e64 s0, 0, v[12:13]
	s_or_b32 s35, vcc_lo, s0
	s_mov_b32 s0, 0
	s_branch .LBB15_564
.LBB15_560:
	s_mov_b32 s0, -1
                                        ; implicit-def: $sgpr35
	s_branch .LBB15_582
.LBB15_561:
	s_mov_b32 s0, -1
                                        ; implicit-def: $sgpr35
	s_branch .LBB15_570
.LBB15_562:
	s_mov_b32 s0, -1
                                        ; implicit-def: $sgpr35
	s_branch .LBB15_567
.LBB15_563:
	s_mov_b32 s0, -1
                                        ; implicit-def: $sgpr35
.LBB15_564:
	s_delay_alu instid0(SALU_CYCLE_1)
	s_and_not1_b32 vcc_lo, exec_lo, s0
	s_cbranch_vccnz .LBB15_566
; %bb.565:
	global_load_b64 v[10:11], v[8:9], off
	s_and_not1_b32 s0, s35, exec_lo
	s_wait_loadcnt 0x0
	v_bitop3_b32 v1, v10, 0x7fffffff, v11 bitop3:0xc8
	s_delay_alu instid0(VALU_DEP_1) | instskip(SKIP_1) | instid1(SALU_CYCLE_1)
	v_cmp_ne_u32_e32 vcc_lo, 0, v1
	s_and_b32 s35, vcc_lo, exec_lo
	s_or_b32 s35, s0, s35
.LBB15_566:
	s_mov_b32 s0, 0
.LBB15_567:
	s_delay_alu instid0(SALU_CYCLE_1)
	s_and_not1_b32 vcc_lo, exec_lo, s0
	s_cbranch_vccnz .LBB15_569
; %bb.568:
	global_load_b32 v1, v[8:9], off
	s_and_not1_b32 s0, s35, exec_lo
	s_wait_loadcnt 0x0
	v_and_b32_e32 v1, 0x7fff7fff, v1
	s_delay_alu instid0(VALU_DEP_1) | instskip(SKIP_1) | instid1(SALU_CYCLE_1)
	v_cmp_ne_u32_e32 vcc_lo, 0, v1
	s_and_b32 s35, vcc_lo, exec_lo
	s_or_b32 s35, s0, s35
.LBB15_569:
	s_mov_b32 s0, 0
.LBB15_570:
	s_delay_alu instid0(SALU_CYCLE_1)
	s_and_not1_b32 vcc_lo, exec_lo, s0
	s_cbranch_vccnz .LBB15_581
; %bb.571:
	s_cmp_lt_i32 s36, 6
	s_cbranch_scc1 .LBB15_574
; %bb.572:
	s_cmp_gt_i32 s36, 6
	s_cbranch_scc0 .LBB15_575
; %bb.573:
	global_load_b64 v[10:11], v[8:9], off
	s_mov_b32 s0, 0
	s_wait_loadcnt 0x0
	v_cmp_neq_f64_e64 s35, 0, v[10:11]
	s_branch .LBB15_576
.LBB15_574:
	s_mov_b32 s0, -1
                                        ; implicit-def: $sgpr35
	s_branch .LBB15_579
.LBB15_575:
	s_mov_b32 s0, -1
                                        ; implicit-def: $sgpr35
.LBB15_576:
	s_delay_alu instid0(SALU_CYCLE_1)
	s_and_not1_b32 vcc_lo, exec_lo, s0
	s_cbranch_vccnz .LBB15_578
; %bb.577:
	global_load_b32 v1, v[8:9], off
	s_and_not1_b32 s0, s35, exec_lo
	s_wait_loadcnt 0x0
	v_cmp_neq_f32_e32 vcc_lo, 0, v1
	s_and_b32 s35, vcc_lo, exec_lo
	s_delay_alu instid0(SALU_CYCLE_1)
	s_or_b32 s35, s0, s35
.LBB15_578:
	s_mov_b32 s0, 0
.LBB15_579:
	s_delay_alu instid0(SALU_CYCLE_1)
	s_and_not1_b32 vcc_lo, exec_lo, s0
	s_cbranch_vccnz .LBB15_581
; %bb.580:
	global_load_u16 v1, v[8:9], off
	s_and_not1_b32 s0, s35, exec_lo
	s_wait_loadcnt 0x0
	v_and_b32_e32 v1, 0x7fff, v1
	s_delay_alu instid0(VALU_DEP_1) | instskip(SKIP_1) | instid1(SALU_CYCLE_1)
	v_cmp_ne_u16_e32 vcc_lo, 0, v1
	s_and_b32 s35, vcc_lo, exec_lo
	s_or_b32 s35, s0, s35
.LBB15_581:
	s_mov_b32 s0, 0
.LBB15_582:
	s_delay_alu instid0(SALU_CYCLE_1)
	s_and_not1_b32 vcc_lo, exec_lo, s0
	s_cbranch_vccnz .LBB15_602
; %bb.583:
	s_cmp_lt_i32 s36, 2
	s_cbranch_scc1 .LBB15_587
; %bb.584:
	s_cmp_lt_i32 s36, 3
	s_cbranch_scc1 .LBB15_588
; %bb.585:
	s_cmp_gt_i32 s36, 3
	s_cbranch_scc0 .LBB15_589
; %bb.586:
	global_load_b64 v[10:11], v[8:9], off
	s_mov_b32 s0, 0
	s_wait_loadcnt 0x0
	v_cmp_ne_u64_e64 s35, 0, v[10:11]
	s_branch .LBB15_590
.LBB15_587:
	s_mov_b32 s0, -1
                                        ; implicit-def: $sgpr35
	s_branch .LBB15_596
.LBB15_588:
	s_mov_b32 s0, -1
                                        ; implicit-def: $sgpr35
	s_branch .LBB15_593
.LBB15_589:
	s_mov_b32 s0, -1
                                        ; implicit-def: $sgpr35
.LBB15_590:
	s_delay_alu instid0(SALU_CYCLE_1)
	s_and_not1_b32 vcc_lo, exec_lo, s0
	s_cbranch_vccnz .LBB15_592
; %bb.591:
	global_load_b32 v1, v[8:9], off
	s_and_not1_b32 s0, s35, exec_lo
	s_wait_loadcnt 0x0
	v_cmp_ne_u32_e32 vcc_lo, 0, v1
	s_and_b32 s35, vcc_lo, exec_lo
	s_delay_alu instid0(SALU_CYCLE_1)
	s_or_b32 s35, s0, s35
.LBB15_592:
	s_mov_b32 s0, 0
.LBB15_593:
	s_delay_alu instid0(SALU_CYCLE_1)
	s_and_not1_b32 vcc_lo, exec_lo, s0
	s_cbranch_vccnz .LBB15_595
; %bb.594:
	global_load_u16 v1, v[8:9], off
	s_and_not1_b32 s0, s35, exec_lo
	s_wait_loadcnt 0x0
	v_cmp_ne_u16_e32 vcc_lo, 0, v1
	s_and_b32 s35, vcc_lo, exec_lo
	s_delay_alu instid0(SALU_CYCLE_1)
	s_or_b32 s35, s0, s35
.LBB15_595:
	s_mov_b32 s0, 0
.LBB15_596:
	s_delay_alu instid0(SALU_CYCLE_1)
	s_and_not1_b32 vcc_lo, exec_lo, s0
	s_cbranch_vccnz .LBB15_602
; %bb.597:
	s_cmp_gt_i32 s36, 0
	s_mov_b32 s0, 0
	s_cbranch_scc0 .LBB15_599
; %bb.598:
	global_load_u8 v1, v[8:9], off
	s_wait_loadcnt 0x0
	v_cmp_ne_u16_e64 s35, 0, v1
	s_branch .LBB15_600
.LBB15_599:
	s_mov_b32 s0, -1
                                        ; implicit-def: $sgpr35
.LBB15_600:
	s_delay_alu instid0(SALU_CYCLE_1)
	s_and_not1_b32 vcc_lo, exec_lo, s0
	s_cbranch_vccnz .LBB15_602
; %bb.601:
	global_load_u8 v1, v[8:9], off
	s_and_not1_b32 s0, s35, exec_lo
	s_wait_loadcnt 0x0
	v_cmp_ne_u16_e32 vcc_lo, 0, v1
	s_and_b32 s35, vcc_lo, exec_lo
	s_delay_alu instid0(SALU_CYCLE_1)
	s_or_b32 s35, s0, s35
.LBB15_602:
	s_branch .LBB15_491
.LBB15_603:
	s_mov_b32 s57, 0
	s_mov_b32 s0, s28
	;; [unrolled: 1-line block ×4, first 2 shown]
                                        ; implicit-def: $vgpr0
	s_branch .LBB15_939
.LBB15_604:
	s_mov_b32 s53, -1
	s_mov_b32 s52, 0
	s_mov_b32 s36, s49
	s_branch .LBB15_606
.LBB15_605:
	s_mov_b32 s36, -1
	s_mov_b32 s52, 0
.LBB15_606:
                                        ; implicit-def: $sgpr37
.LBB15_607:
	s_and_b32 vcc_lo, exec_lo, s53
	s_cbranch_vccz .LBB15_609
; %bb.608:
	s_cmp_eq_u32 s34, 44
	s_cselect_b32 s52, -1, 0
	s_or_b32 s37, s37, exec_lo
	s_or_b32 s36, s36, exec_lo
.LBB15_609:
	s_mov_b32 s53, 0
.LBB15_610:
	s_delay_alu instid0(SALU_CYCLE_1)
	s_and_b32 vcc_lo, exec_lo, s53
	s_cbranch_vccz .LBB15_614
; %bb.611:
	s_cmp_eq_u32 s34, 29
	s_cbranch_scc0 .LBB15_613
; %bb.612:
	global_load_b64 v[8:9], v[6:7], off
	s_mov_b32 s52, -1
	s_mov_b32 s36, 0
	s_mov_b32 s53, 0
	s_wait_loadcnt 0x0
	v_cmp_ne_u64_e64 s37, 0, v[8:9]
	s_branch .LBB15_615
.LBB15_613:
	s_mov_b32 s36, -1
                                        ; implicit-def: $sgpr37
.LBB15_614:
	s_mov_b32 s53, 0
.LBB15_615:
	s_delay_alu instid0(SALU_CYCLE_1)
	s_and_b32 vcc_lo, exec_lo, s53
	s_cbranch_vccz .LBB15_627
; %bb.616:
	s_cmp_lt_i32 s34, 27
	s_cbranch_scc1 .LBB15_619
; %bb.617:
	s_cmp_gt_i32 s34, 27
	s_cbranch_scc0 .LBB15_620
; %bb.618:
	global_load_b32 v1, v[6:7], off
	s_mov_b32 s52, 0
	s_wait_loadcnt 0x0
	v_cmp_ne_u32_e64 s37, 0, v1
	s_branch .LBB15_621
.LBB15_619:
	s_mov_b32 s52, -1
                                        ; implicit-def: $sgpr37
	s_branch .LBB15_624
.LBB15_620:
	s_mov_b32 s52, -1
                                        ; implicit-def: $sgpr37
.LBB15_621:
	s_delay_alu instid0(SALU_CYCLE_1)
	s_and_not1_b32 vcc_lo, exec_lo, s52
	s_cbranch_vccnz .LBB15_623
; %bb.622:
	global_load_u16 v1, v[6:7], off
	s_and_not1_b32 s37, s37, exec_lo
	s_wait_loadcnt 0x0
	v_cmp_ne_u16_e32 vcc_lo, 0, v1
	s_and_b32 s52, vcc_lo, exec_lo
	s_delay_alu instid0(SALU_CYCLE_1)
	s_or_b32 s37, s37, s52
.LBB15_623:
	s_mov_b32 s52, 0
.LBB15_624:
	s_delay_alu instid0(SALU_CYCLE_1)
	s_and_not1_b32 vcc_lo, exec_lo, s52
	s_cbranch_vccnz .LBB15_626
; %bb.625:
	global_load_u8 v1, v[6:7], off
	s_and_not1_b32 s37, s37, exec_lo
	s_wait_loadcnt 0x0
	v_cmp_ne_u16_e32 vcc_lo, 0, v1
	s_and_b32 s52, vcc_lo, exec_lo
	s_delay_alu instid0(SALU_CYCLE_1)
	s_or_b32 s37, s37, s52
.LBB15_626:
	s_mov_b32 s52, -1
.LBB15_627:
	s_mov_b32 s53, 0
.LBB15_628:
	s_delay_alu instid0(SALU_CYCLE_1)
	s_and_b32 vcc_lo, exec_lo, s53
	s_cbranch_vccz .LBB15_653
; %bb.629:
	s_cmp_gt_i32 s34, 22
	s_cbranch_scc0 .LBB15_633
; %bb.630:
	s_cmp_lt_i32 s34, 24
	s_cbranch_scc1 .LBB15_634
; %bb.631:
	s_cmp_gt_i32 s34, 24
	s_cbranch_scc0 .LBB15_635
; %bb.632:
	global_load_u8 v1, v[6:7], off
	s_mov_b32 s52, 0
	s_wait_loadcnt 0x0
	v_cmp_ne_u16_e64 s37, 0, v1
	s_branch .LBB15_636
.LBB15_633:
	s_mov_b32 s53, -1
                                        ; implicit-def: $sgpr37
	s_branch .LBB15_642
.LBB15_634:
	s_mov_b32 s52, -1
                                        ; implicit-def: $sgpr37
	s_branch .LBB15_639
.LBB15_635:
	s_mov_b32 s52, -1
                                        ; implicit-def: $sgpr37
.LBB15_636:
	s_delay_alu instid0(SALU_CYCLE_1)
	s_and_not1_b32 vcc_lo, exec_lo, s52
	s_cbranch_vccnz .LBB15_638
; %bb.637:
	global_load_u8 v1, v[6:7], off
	s_and_not1_b32 s37, s37, exec_lo
	s_wait_loadcnt 0x0
	v_and_b32_e32 v1, 0x7f, v1
	s_delay_alu instid0(VALU_DEP_1) | instskip(SKIP_1) | instid1(SALU_CYCLE_1)
	v_cmp_ne_u16_e32 vcc_lo, 0, v1
	s_and_b32 s52, vcc_lo, exec_lo
	s_or_b32 s37, s37, s52
.LBB15_638:
	s_mov_b32 s52, 0
.LBB15_639:
	s_delay_alu instid0(SALU_CYCLE_1)
	s_and_not1_b32 vcc_lo, exec_lo, s52
	s_cbranch_vccnz .LBB15_641
; %bb.640:
	global_load_u8 v1, v[6:7], off
	s_and_not1_b32 s37, s37, exec_lo
	s_wait_loadcnt 0x0
	v_dual_lshlrev_b32 v3, 25, v1 :: v_dual_lshlrev_b32 v1, 8, v1
	s_delay_alu instid0(VALU_DEP_1) | instskip(NEXT) | instid1(VALU_DEP_2)
	v_cmp_gt_u32_e32 vcc_lo, 0x8000000, v3
	v_and_or_b32 v1, 0x7f00, v1, 0.5
	s_delay_alu instid0(VALU_DEP_1) | instskip(NEXT) | instid1(VALU_DEP_1)
	v_dual_lshrrev_b32 v5, 4, v3 :: v_dual_add_f32 v1, -0.5, v1
	v_or_b32_e32 v5, 0x70000000, v5
	s_delay_alu instid0(VALU_DEP_1) | instskip(NEXT) | instid1(VALU_DEP_1)
	v_mul_f32_e32 v5, 0x7800000, v5
	v_cndmask_b32_e32 v1, v5, v1, vcc_lo
	s_delay_alu instid0(VALU_DEP_1) | instskip(SKIP_1) | instid1(SALU_CYCLE_1)
	v_cmp_neq_f32_e32 vcc_lo, 0, v1
	s_and_b32 s52, vcc_lo, exec_lo
	s_or_b32 s37, s37, s52
.LBB15_641:
	s_mov_b32 s53, 0
	s_mov_b32 s52, -1
.LBB15_642:
	s_and_not1_b32 vcc_lo, exec_lo, s53
	s_cbranch_vccnz .LBB15_653
; %bb.643:
	s_cmp_gt_i32 s34, 14
	s_cbranch_scc0 .LBB15_646
; %bb.644:
	s_cmp_eq_u32 s34, 15
	s_cbranch_scc0 .LBB15_647
; %bb.645:
	global_load_u16 v1, v[6:7], off
	s_mov_b32 s36, 0
	s_mov_b32 s52, -1
	s_wait_loadcnt 0x0
	v_and_b32_e32 v1, 0x7fff, v1
	s_delay_alu instid0(VALU_DEP_1)
	v_cmp_ne_u16_e64 s37, 0, v1
	s_branch .LBB15_648
.LBB15_646:
	s_mov_b32 s53, -1
                                        ; implicit-def: $sgpr37
	s_branch .LBB15_649
.LBB15_647:
	s_mov_b32 s36, -1
                                        ; implicit-def: $sgpr37
.LBB15_648:
	s_mov_b32 s53, 0
.LBB15_649:
	s_delay_alu instid0(SALU_CYCLE_1)
	s_and_b32 vcc_lo, exec_lo, s53
	s_cbranch_vccz .LBB15_653
; %bb.650:
	s_cmp_eq_u32 s34, 11
	s_cbranch_scc0 .LBB15_652
; %bb.651:
	global_load_u8 v1, v[6:7], off
	s_mov_b32 s36, 0
	s_mov_b32 s52, -1
	s_wait_loadcnt 0x0
	v_cmp_ne_u16_e64 s37, 0, v1
	s_branch .LBB15_653
.LBB15_652:
	s_mov_b32 s36, -1
                                        ; implicit-def: $sgpr37
.LBB15_653:
	s_mov_b32 s34, 0
.LBB15_654:
	s_delay_alu instid0(SALU_CYCLE_1)
	s_and_b32 vcc_lo, exec_lo, s34
	s_cbranch_vccz .LBB15_703
; %bb.655:
	s_and_b32 s34, 0xffff, s0
	s_delay_alu instid0(SALU_CYCLE_1)
	s_cmp_lt_i32 s34, 5
	s_cbranch_scc1 .LBB15_660
; %bb.656:
	s_cmp_lt_i32 s34, 8
	s_cbranch_scc1 .LBB15_661
; %bb.657:
	;; [unrolled: 3-line block ×3, first 2 shown]
	s_cmp_gt_i32 s34, 9
	s_cbranch_scc0 .LBB15_663
; %bb.659:
	global_load_b128 v[8:11], v[6:7], off
	s_wait_loadcnt 0x0
	v_cmp_neq_f64_e32 vcc_lo, 0, v[8:9]
	v_cmp_neq_f64_e64 s0, 0, v[10:11]
	s_or_b32 s37, vcc_lo, s0
	s_mov_b32 s0, 0
	s_branch .LBB15_664
.LBB15_660:
	s_mov_b32 s0, -1
                                        ; implicit-def: $sgpr37
	s_branch .LBB15_682
.LBB15_661:
	s_mov_b32 s0, -1
                                        ; implicit-def: $sgpr37
	s_branch .LBB15_670
.LBB15_662:
	s_mov_b32 s0, -1
                                        ; implicit-def: $sgpr37
	s_branch .LBB15_667
.LBB15_663:
	s_mov_b32 s0, -1
                                        ; implicit-def: $sgpr37
.LBB15_664:
	s_delay_alu instid0(SALU_CYCLE_1)
	s_and_not1_b32 vcc_lo, exec_lo, s0
	s_cbranch_vccnz .LBB15_666
; %bb.665:
	global_load_b64 v[8:9], v[6:7], off
	s_and_not1_b32 s0, s37, exec_lo
	s_wait_loadcnt 0x0
	v_bitop3_b32 v1, v8, 0x7fffffff, v9 bitop3:0xc8
	s_delay_alu instid0(VALU_DEP_1) | instskip(SKIP_1) | instid1(SALU_CYCLE_1)
	v_cmp_ne_u32_e32 vcc_lo, 0, v1
	s_and_b32 s37, vcc_lo, exec_lo
	s_or_b32 s37, s0, s37
.LBB15_666:
	s_mov_b32 s0, 0
.LBB15_667:
	s_delay_alu instid0(SALU_CYCLE_1)
	s_and_not1_b32 vcc_lo, exec_lo, s0
	s_cbranch_vccnz .LBB15_669
; %bb.668:
	global_load_b32 v1, v[6:7], off
	s_and_not1_b32 s0, s37, exec_lo
	s_wait_loadcnt 0x0
	v_and_b32_e32 v1, 0x7fff7fff, v1
	s_delay_alu instid0(VALU_DEP_1) | instskip(SKIP_1) | instid1(SALU_CYCLE_1)
	v_cmp_ne_u32_e32 vcc_lo, 0, v1
	s_and_b32 s37, vcc_lo, exec_lo
	s_or_b32 s37, s0, s37
.LBB15_669:
	s_mov_b32 s0, 0
.LBB15_670:
	s_delay_alu instid0(SALU_CYCLE_1)
	s_and_not1_b32 vcc_lo, exec_lo, s0
	s_cbranch_vccnz .LBB15_681
; %bb.671:
	s_cmp_lt_i32 s34, 6
	s_cbranch_scc1 .LBB15_674
; %bb.672:
	s_cmp_gt_i32 s34, 6
	s_cbranch_scc0 .LBB15_675
; %bb.673:
	global_load_b64 v[8:9], v[6:7], off
	s_mov_b32 s0, 0
	s_wait_loadcnt 0x0
	v_cmp_neq_f64_e64 s37, 0, v[8:9]
	s_branch .LBB15_676
.LBB15_674:
	s_mov_b32 s0, -1
                                        ; implicit-def: $sgpr37
	s_branch .LBB15_679
.LBB15_675:
	s_mov_b32 s0, -1
                                        ; implicit-def: $sgpr37
.LBB15_676:
	s_delay_alu instid0(SALU_CYCLE_1)
	s_and_not1_b32 vcc_lo, exec_lo, s0
	s_cbranch_vccnz .LBB15_678
; %bb.677:
	global_load_b32 v1, v[6:7], off
	s_and_not1_b32 s0, s37, exec_lo
	s_wait_loadcnt 0x0
	v_cmp_neq_f32_e32 vcc_lo, 0, v1
	s_and_b32 s37, vcc_lo, exec_lo
	s_delay_alu instid0(SALU_CYCLE_1)
	s_or_b32 s37, s0, s37
.LBB15_678:
	s_mov_b32 s0, 0
.LBB15_679:
	s_delay_alu instid0(SALU_CYCLE_1)
	s_and_not1_b32 vcc_lo, exec_lo, s0
	s_cbranch_vccnz .LBB15_681
; %bb.680:
	global_load_u16 v1, v[6:7], off
	s_and_not1_b32 s0, s37, exec_lo
	s_wait_loadcnt 0x0
	v_and_b32_e32 v1, 0x7fff, v1
	s_delay_alu instid0(VALU_DEP_1) | instskip(SKIP_1) | instid1(SALU_CYCLE_1)
	v_cmp_ne_u16_e32 vcc_lo, 0, v1
	s_and_b32 s37, vcc_lo, exec_lo
	s_or_b32 s37, s0, s37
.LBB15_681:
	s_mov_b32 s0, 0
.LBB15_682:
	s_delay_alu instid0(SALU_CYCLE_1)
	s_and_not1_b32 vcc_lo, exec_lo, s0
	s_cbranch_vccnz .LBB15_702
; %bb.683:
	s_cmp_lt_i32 s34, 2
	s_cbranch_scc1 .LBB15_687
; %bb.684:
	s_cmp_lt_i32 s34, 3
	s_cbranch_scc1 .LBB15_688
; %bb.685:
	s_cmp_gt_i32 s34, 3
	s_cbranch_scc0 .LBB15_689
; %bb.686:
	global_load_b64 v[8:9], v[6:7], off
	s_mov_b32 s0, 0
	s_wait_loadcnt 0x0
	v_cmp_ne_u64_e64 s37, 0, v[8:9]
	s_branch .LBB15_690
.LBB15_687:
	s_mov_b32 s0, -1
                                        ; implicit-def: $sgpr37
	s_branch .LBB15_696
.LBB15_688:
	s_mov_b32 s0, -1
                                        ; implicit-def: $sgpr37
	s_branch .LBB15_693
.LBB15_689:
	s_mov_b32 s0, -1
                                        ; implicit-def: $sgpr37
.LBB15_690:
	s_delay_alu instid0(SALU_CYCLE_1)
	s_and_not1_b32 vcc_lo, exec_lo, s0
	s_cbranch_vccnz .LBB15_692
; %bb.691:
	global_load_b32 v1, v[6:7], off
	s_and_not1_b32 s0, s37, exec_lo
	s_wait_loadcnt 0x0
	v_cmp_ne_u32_e32 vcc_lo, 0, v1
	s_and_b32 s37, vcc_lo, exec_lo
	s_delay_alu instid0(SALU_CYCLE_1)
	s_or_b32 s37, s0, s37
.LBB15_692:
	s_mov_b32 s0, 0
.LBB15_693:
	s_delay_alu instid0(SALU_CYCLE_1)
	s_and_not1_b32 vcc_lo, exec_lo, s0
	s_cbranch_vccnz .LBB15_695
; %bb.694:
	global_load_u16 v1, v[6:7], off
	s_and_not1_b32 s0, s37, exec_lo
	s_wait_loadcnt 0x0
	v_cmp_ne_u16_e32 vcc_lo, 0, v1
	s_and_b32 s37, vcc_lo, exec_lo
	s_delay_alu instid0(SALU_CYCLE_1)
	s_or_b32 s37, s0, s37
.LBB15_695:
	s_mov_b32 s0, 0
.LBB15_696:
	s_delay_alu instid0(SALU_CYCLE_1)
	s_and_not1_b32 vcc_lo, exec_lo, s0
	s_cbranch_vccnz .LBB15_702
; %bb.697:
	s_cmp_gt_i32 s34, 0
	s_mov_b32 s0, 0
	s_cbranch_scc0 .LBB15_699
; %bb.698:
	global_load_u8 v1, v[6:7], off
	s_wait_loadcnt 0x0
	v_cmp_ne_u16_e64 s37, 0, v1
	s_branch .LBB15_700
.LBB15_699:
	s_mov_b32 s0, -1
                                        ; implicit-def: $sgpr37
.LBB15_700:
	s_delay_alu instid0(SALU_CYCLE_1)
	s_and_not1_b32 vcc_lo, exec_lo, s0
	s_cbranch_vccnz .LBB15_702
; %bb.701:
	global_load_u8 v1, v[6:7], off
	s_and_not1_b32 s0, s37, exec_lo
	s_wait_loadcnt 0x0
	v_cmp_ne_u16_e32 vcc_lo, 0, v1
	s_and_b32 s34, vcc_lo, exec_lo
	s_delay_alu instid0(SALU_CYCLE_1)
	s_or_b32 s37, s0, s34
.LBB15_702:
	s_mov_b32 s52, -1
.LBB15_703:
	s_mov_b32 s34, 0
	s_mov_b32 s0, s28
	s_and_not1_b32 vcc_lo, exec_lo, s52
	s_mov_b32 s52, s48
	s_mov_b32 s57, 0
	s_cbranch_vccnz .LBB15_939
; %bb.704:
	v_mov_b32_e32 v5, 0
	s_and_b32 s0, s43, 0xff
	s_delay_alu instid0(SALU_CYCLE_1) | instskip(NEXT) | instid1(VALU_DEP_1)
	s_cmp_lt_i32 s0, 11
	v_add_nc_u64_e32 v[4:5], s[10:11], v[4:5]
	s_cbranch_scc1 .LBB15_711
; %bb.705:
	s_and_b32 s36, 0xffff, s0
	s_delay_alu instid0(SALU_CYCLE_1)
	s_cmp_gt_i32 s36, 25
	s_cbranch_scc0 .LBB15_712
; %bb.706:
	s_cmp_gt_i32 s36, 28
	s_cbranch_scc0 .LBB15_713
; %bb.707:
	;; [unrolled: 3-line block ×4, first 2 shown]
	s_cmp_eq_u32 s36, 46
	s_mov_b32 s55, 0
	s_cbranch_scc0 .LBB15_718
; %bb.710:
	global_load_b32 v1, v[4:5], off
	s_mov_b32 s52, 0
	s_mov_b32 s54, -1
	s_wait_loadcnt 0x0
	v_and_b32_e32 v1, 0x7fff7fff, v1
	s_delay_alu instid0(VALU_DEP_1)
	v_cmp_ne_u32_e64 s53, 0, v1
	s_branch .LBB15_720
.LBB15_711:
	s_mov_b32 s36, -1
	s_mov_b32 s54, 0
	s_mov_b32 s52, s48
                                        ; implicit-def: $sgpr53
	s_branch .LBB15_767
.LBB15_712:
	s_mov_b32 s55, -1
	s_mov_b32 s54, 0
	s_mov_b32 s52, s48
                                        ; implicit-def: $sgpr53
	s_branch .LBB15_741
.LBB15_713:
	s_mov_b32 s55, -1
	s_mov_b32 s54, 0
	s_mov_b32 s52, s48
                                        ; implicit-def: $sgpr53
	s_branch .LBB15_728
.LBB15_714:
	s_mov_b32 s55, -1
	s_mov_b32 s54, 0
	s_mov_b32 s52, s48
                                        ; implicit-def: $sgpr53
	s_branch .LBB15_723
.LBB15_715:
	s_mov_b32 s55, -1
	s_mov_b32 s54, 0
	s_mov_b32 s52, s48
	s_branch .LBB15_719
.LBB15_716:
	v_bfe_u32 v1, v4, 20, 1
	s_mov_b32 s49, exec_lo
	s_delay_alu instid0(VALU_DEP_1) | instskip(NEXT) | instid1(VALU_DEP_1)
	v_add3_u32 v1, v4, v1, 0x487ffff
                                        ; implicit-def: $vgpr4
	v_lshrrev_b32_e32 v1, 20, v1
	s_and_not1_saveexec_b32 s50, s50
	s_cbranch_execz .LBB15_376
.LBB15_717:
	v_add_f32_e32 v1, 0x46000000, v4
	s_and_not1_b32 s49, s49, exec_lo
	s_delay_alu instid0(VALU_DEP_1) | instskip(NEXT) | instid1(VALU_DEP_1)
	v_and_b32_e32 v1, 0xff, v1
	v_cmp_ne_u32_e32 vcc_lo, 0, v1
	s_and_b32 s52, vcc_lo, exec_lo
	s_delay_alu instid0(SALU_CYCLE_1)
	s_or_b32 s49, s49, s52
	s_or_b32 exec_lo, exec_lo, s50
	v_mov_b32_e32 v5, 0
	s_and_saveexec_b32 s50, s49
	s_cbranch_execnz .LBB15_377
	s_branch .LBB15_378
.LBB15_718:
	s_mov_b32 s52, -1
	s_mov_b32 s54, 0
.LBB15_719:
                                        ; implicit-def: $sgpr53
.LBB15_720:
	s_and_b32 vcc_lo, exec_lo, s55
	s_cbranch_vccz .LBB15_722
; %bb.721:
	s_cmp_eq_u32 s36, 44
	s_cselect_b32 s54, -1, 0
	s_or_b32 s53, s53, exec_lo
	s_or_b32 s52, s52, exec_lo
.LBB15_722:
	s_mov_b32 s55, 0
.LBB15_723:
	s_delay_alu instid0(SALU_CYCLE_1)
	s_and_b32 vcc_lo, exec_lo, s55
	s_cbranch_vccz .LBB15_727
; %bb.724:
	s_cmp_eq_u32 s36, 29
	s_cbranch_scc0 .LBB15_726
; %bb.725:
	global_load_b64 v[6:7], v[4:5], off
	s_mov_b32 s54, -1
	s_mov_b32 s52, 0
	s_mov_b32 s55, 0
	s_wait_loadcnt 0x0
	v_cmp_ne_u64_e64 s53, 0, v[6:7]
	s_branch .LBB15_728
.LBB15_726:
	s_mov_b32 s52, -1
                                        ; implicit-def: $sgpr53
.LBB15_727:
	s_mov_b32 s55, 0
.LBB15_728:
	s_delay_alu instid0(SALU_CYCLE_1)
	s_and_b32 vcc_lo, exec_lo, s55
	s_cbranch_vccz .LBB15_740
; %bb.729:
	s_cmp_lt_i32 s36, 27
	s_cbranch_scc1 .LBB15_732
; %bb.730:
	s_cmp_gt_i32 s36, 27
	s_cbranch_scc0 .LBB15_733
; %bb.731:
	global_load_b32 v1, v[4:5], off
	s_mov_b32 s54, 0
	s_wait_loadcnt 0x0
	v_cmp_ne_u32_e64 s53, 0, v1
	s_branch .LBB15_734
.LBB15_732:
	s_mov_b32 s54, -1
                                        ; implicit-def: $sgpr53
	s_branch .LBB15_737
.LBB15_733:
	s_mov_b32 s54, -1
                                        ; implicit-def: $sgpr53
.LBB15_734:
	s_delay_alu instid0(SALU_CYCLE_1)
	s_and_not1_b32 vcc_lo, exec_lo, s54
	s_cbranch_vccnz .LBB15_736
; %bb.735:
	global_load_u16 v1, v[4:5], off
	s_and_not1_b32 s53, s53, exec_lo
	s_wait_loadcnt 0x0
	v_cmp_ne_u16_e32 vcc_lo, 0, v1
	s_and_b32 s54, vcc_lo, exec_lo
	s_delay_alu instid0(SALU_CYCLE_1)
	s_or_b32 s53, s53, s54
.LBB15_736:
	s_mov_b32 s54, 0
.LBB15_737:
	s_delay_alu instid0(SALU_CYCLE_1)
	s_and_not1_b32 vcc_lo, exec_lo, s54
	s_cbranch_vccnz .LBB15_739
; %bb.738:
	global_load_u8 v1, v[4:5], off
	s_and_not1_b32 s53, s53, exec_lo
	s_wait_loadcnt 0x0
	v_cmp_ne_u16_e32 vcc_lo, 0, v1
	s_and_b32 s54, vcc_lo, exec_lo
	s_delay_alu instid0(SALU_CYCLE_1)
	s_or_b32 s53, s53, s54
.LBB15_739:
	s_mov_b32 s54, -1
.LBB15_740:
	s_mov_b32 s55, 0
.LBB15_741:
	s_delay_alu instid0(SALU_CYCLE_1)
	s_and_b32 vcc_lo, exec_lo, s55
	s_cbranch_vccz .LBB15_766
; %bb.742:
	s_cmp_gt_i32 s36, 22
	s_cbranch_scc0 .LBB15_746
; %bb.743:
	s_cmp_lt_i32 s36, 24
	s_cbranch_scc1 .LBB15_747
; %bb.744:
	s_cmp_gt_i32 s36, 24
	s_cbranch_scc0 .LBB15_748
; %bb.745:
	global_load_u8 v1, v[4:5], off
	s_mov_b32 s54, 0
	s_wait_loadcnt 0x0
	v_cmp_ne_u16_e64 s53, 0, v1
	s_branch .LBB15_749
.LBB15_746:
	s_mov_b32 s55, -1
                                        ; implicit-def: $sgpr53
	s_branch .LBB15_755
.LBB15_747:
	s_mov_b32 s54, -1
                                        ; implicit-def: $sgpr53
	s_branch .LBB15_752
.LBB15_748:
	s_mov_b32 s54, -1
                                        ; implicit-def: $sgpr53
.LBB15_749:
	s_delay_alu instid0(SALU_CYCLE_1)
	s_and_not1_b32 vcc_lo, exec_lo, s54
	s_cbranch_vccnz .LBB15_751
; %bb.750:
	global_load_u8 v1, v[4:5], off
	s_and_not1_b32 s53, s53, exec_lo
	s_wait_loadcnt 0x0
	v_and_b32_e32 v1, 0x7f, v1
	s_delay_alu instid0(VALU_DEP_1) | instskip(SKIP_1) | instid1(SALU_CYCLE_1)
	v_cmp_ne_u16_e32 vcc_lo, 0, v1
	s_and_b32 s54, vcc_lo, exec_lo
	s_or_b32 s53, s53, s54
.LBB15_751:
	s_mov_b32 s54, 0
.LBB15_752:
	s_delay_alu instid0(SALU_CYCLE_1)
	s_and_not1_b32 vcc_lo, exec_lo, s54
	s_cbranch_vccnz .LBB15_754
; %bb.753:
	global_load_u8 v1, v[4:5], off
	s_and_not1_b32 s53, s53, exec_lo
	s_wait_loadcnt 0x0
	v_dual_lshlrev_b32 v3, 25, v1 :: v_dual_lshlrev_b32 v1, 8, v1
	s_delay_alu instid0(VALU_DEP_1) | instskip(NEXT) | instid1(VALU_DEP_2)
	v_cmp_gt_u32_e32 vcc_lo, 0x8000000, v3
	v_and_or_b32 v1, 0x7f00, v1, 0.5
	s_wait_xcnt 0x1
	s_delay_alu instid0(VALU_DEP_1) | instskip(NEXT) | instid1(VALU_DEP_1)
	v_dual_add_f32 v1, -0.5, v1 :: v_dual_lshrrev_b32 v6, 4, v3
	v_or_b32_e32 v6, 0x70000000, v6
	s_delay_alu instid0(VALU_DEP_1) | instskip(NEXT) | instid1(VALU_DEP_1)
	v_mul_f32_e32 v6, 0x7800000, v6
	v_cndmask_b32_e32 v1, v6, v1, vcc_lo
	s_delay_alu instid0(VALU_DEP_1) | instskip(SKIP_1) | instid1(SALU_CYCLE_1)
	v_cmp_neq_f32_e32 vcc_lo, 0, v1
	s_and_b32 s54, vcc_lo, exec_lo
	s_or_b32 s53, s53, s54
.LBB15_754:
	s_mov_b32 s55, 0
	s_mov_b32 s54, -1
.LBB15_755:
	s_and_not1_b32 vcc_lo, exec_lo, s55
	s_cbranch_vccnz .LBB15_766
; %bb.756:
	s_cmp_gt_i32 s36, 14
	s_cbranch_scc0 .LBB15_759
; %bb.757:
	s_cmp_eq_u32 s36, 15
	s_cbranch_scc0 .LBB15_760
; %bb.758:
	global_load_u16 v1, v[4:5], off
	s_mov_b32 s52, 0
	s_mov_b32 s54, -1
	s_wait_loadcnt 0x0
	v_and_b32_e32 v1, 0x7fff, v1
	s_delay_alu instid0(VALU_DEP_1)
	v_cmp_ne_u16_e64 s53, 0, v1
	s_branch .LBB15_761
.LBB15_759:
	s_mov_b32 s55, -1
                                        ; implicit-def: $sgpr53
	s_branch .LBB15_762
.LBB15_760:
	s_mov_b32 s52, -1
                                        ; implicit-def: $sgpr53
.LBB15_761:
	s_mov_b32 s55, 0
.LBB15_762:
	s_delay_alu instid0(SALU_CYCLE_1)
	s_and_b32 vcc_lo, exec_lo, s55
	s_cbranch_vccz .LBB15_766
; %bb.763:
	s_cmp_eq_u32 s36, 11
	s_cbranch_scc0 .LBB15_765
; %bb.764:
	global_load_u8 v1, v[4:5], off
	s_mov_b32 s52, 0
	s_mov_b32 s54, -1
	s_wait_loadcnt 0x0
	v_cmp_ne_u16_e64 s53, 0, v1
	s_branch .LBB15_766
.LBB15_765:
	s_mov_b32 s52, -1
                                        ; implicit-def: $sgpr53
.LBB15_766:
	s_mov_b32 s36, 0
.LBB15_767:
	s_delay_alu instid0(SALU_CYCLE_1)
	s_and_b32 vcc_lo, exec_lo, s36
	s_cbranch_vccz .LBB15_816
; %bb.768:
	s_and_b32 s36, 0xffff, s0
	s_delay_alu instid0(SALU_CYCLE_1)
	s_cmp_lt_i32 s36, 5
	s_cbranch_scc1 .LBB15_773
; %bb.769:
	s_cmp_lt_i32 s36, 8
	s_cbranch_scc1 .LBB15_774
; %bb.770:
	;; [unrolled: 3-line block ×3, first 2 shown]
	s_cmp_gt_i32 s36, 9
	s_cbranch_scc0 .LBB15_776
; %bb.772:
	global_load_b128 v[6:9], v[4:5], off
	s_wait_loadcnt 0x0
	v_cmp_neq_f64_e32 vcc_lo, 0, v[6:7]
	v_cmp_neq_f64_e64 s0, 0, v[8:9]
	s_or_b32 s53, vcc_lo, s0
	s_mov_b32 s0, 0
	s_branch .LBB15_777
.LBB15_773:
	s_mov_b32 s0, -1
                                        ; implicit-def: $sgpr53
	s_branch .LBB15_795
.LBB15_774:
	s_mov_b32 s0, -1
                                        ; implicit-def: $sgpr53
	s_branch .LBB15_783
.LBB15_775:
	s_mov_b32 s0, -1
                                        ; implicit-def: $sgpr53
	s_branch .LBB15_780
.LBB15_776:
	s_mov_b32 s0, -1
                                        ; implicit-def: $sgpr53
.LBB15_777:
	s_delay_alu instid0(SALU_CYCLE_1)
	s_and_not1_b32 vcc_lo, exec_lo, s0
	s_cbranch_vccnz .LBB15_779
; %bb.778:
	global_load_b64 v[6:7], v[4:5], off
	s_and_not1_b32 s0, s53, exec_lo
	s_wait_loadcnt 0x0
	v_bitop3_b32 v1, v6, 0x7fffffff, v7 bitop3:0xc8
	s_delay_alu instid0(VALU_DEP_1) | instskip(SKIP_1) | instid1(SALU_CYCLE_1)
	v_cmp_ne_u32_e32 vcc_lo, 0, v1
	s_and_b32 s53, vcc_lo, exec_lo
	s_or_b32 s53, s0, s53
.LBB15_779:
	s_mov_b32 s0, 0
.LBB15_780:
	s_delay_alu instid0(SALU_CYCLE_1)
	s_and_not1_b32 vcc_lo, exec_lo, s0
	s_cbranch_vccnz .LBB15_782
; %bb.781:
	global_load_b32 v1, v[4:5], off
	s_and_not1_b32 s0, s53, exec_lo
	s_wait_loadcnt 0x0
	v_and_b32_e32 v1, 0x7fff7fff, v1
	s_delay_alu instid0(VALU_DEP_1) | instskip(SKIP_1) | instid1(SALU_CYCLE_1)
	v_cmp_ne_u32_e32 vcc_lo, 0, v1
	s_and_b32 s53, vcc_lo, exec_lo
	s_or_b32 s53, s0, s53
.LBB15_782:
	s_mov_b32 s0, 0
.LBB15_783:
	s_delay_alu instid0(SALU_CYCLE_1)
	s_and_not1_b32 vcc_lo, exec_lo, s0
	s_cbranch_vccnz .LBB15_794
; %bb.784:
	s_cmp_lt_i32 s36, 6
	s_cbranch_scc1 .LBB15_787
; %bb.785:
	s_cmp_gt_i32 s36, 6
	s_cbranch_scc0 .LBB15_788
; %bb.786:
	global_load_b64 v[6:7], v[4:5], off
	s_mov_b32 s0, 0
	s_wait_loadcnt 0x0
	v_cmp_neq_f64_e64 s53, 0, v[6:7]
	s_branch .LBB15_789
.LBB15_787:
	s_mov_b32 s0, -1
                                        ; implicit-def: $sgpr53
	s_branch .LBB15_792
.LBB15_788:
	s_mov_b32 s0, -1
                                        ; implicit-def: $sgpr53
.LBB15_789:
	s_delay_alu instid0(SALU_CYCLE_1)
	s_and_not1_b32 vcc_lo, exec_lo, s0
	s_cbranch_vccnz .LBB15_791
; %bb.790:
	global_load_b32 v1, v[4:5], off
	s_and_not1_b32 s0, s53, exec_lo
	s_wait_loadcnt 0x0
	v_cmp_neq_f32_e32 vcc_lo, 0, v1
	s_and_b32 s53, vcc_lo, exec_lo
	s_delay_alu instid0(SALU_CYCLE_1)
	s_or_b32 s53, s0, s53
.LBB15_791:
	s_mov_b32 s0, 0
.LBB15_792:
	s_delay_alu instid0(SALU_CYCLE_1)
	s_and_not1_b32 vcc_lo, exec_lo, s0
	s_cbranch_vccnz .LBB15_794
; %bb.793:
	global_load_u16 v1, v[4:5], off
	s_and_not1_b32 s0, s53, exec_lo
	s_wait_loadcnt 0x0
	v_and_b32_e32 v1, 0x7fff, v1
	s_delay_alu instid0(VALU_DEP_1) | instskip(SKIP_1) | instid1(SALU_CYCLE_1)
	v_cmp_ne_u16_e32 vcc_lo, 0, v1
	s_and_b32 s53, vcc_lo, exec_lo
	s_or_b32 s53, s0, s53
.LBB15_794:
	s_mov_b32 s0, 0
.LBB15_795:
	s_delay_alu instid0(SALU_CYCLE_1)
	s_and_not1_b32 vcc_lo, exec_lo, s0
	s_cbranch_vccnz .LBB15_815
; %bb.796:
	s_cmp_lt_i32 s36, 2
	s_cbranch_scc1 .LBB15_800
; %bb.797:
	s_cmp_lt_i32 s36, 3
	s_cbranch_scc1 .LBB15_801
; %bb.798:
	s_cmp_gt_i32 s36, 3
	s_cbranch_scc0 .LBB15_802
; %bb.799:
	global_load_b64 v[6:7], v[4:5], off
	s_mov_b32 s0, 0
	s_wait_loadcnt 0x0
	v_cmp_ne_u64_e64 s53, 0, v[6:7]
	s_branch .LBB15_803
.LBB15_800:
	s_mov_b32 s0, -1
                                        ; implicit-def: $sgpr53
	s_branch .LBB15_809
.LBB15_801:
	s_mov_b32 s0, -1
                                        ; implicit-def: $sgpr53
	s_branch .LBB15_806
.LBB15_802:
	s_mov_b32 s0, -1
                                        ; implicit-def: $sgpr53
.LBB15_803:
	s_delay_alu instid0(SALU_CYCLE_1)
	s_and_not1_b32 vcc_lo, exec_lo, s0
	s_cbranch_vccnz .LBB15_805
; %bb.804:
	global_load_b32 v1, v[4:5], off
	s_and_not1_b32 s0, s53, exec_lo
	s_wait_loadcnt 0x0
	v_cmp_ne_u32_e32 vcc_lo, 0, v1
	s_and_b32 s53, vcc_lo, exec_lo
	s_delay_alu instid0(SALU_CYCLE_1)
	s_or_b32 s53, s0, s53
.LBB15_805:
	s_mov_b32 s0, 0
.LBB15_806:
	s_delay_alu instid0(SALU_CYCLE_1)
	s_and_not1_b32 vcc_lo, exec_lo, s0
	s_cbranch_vccnz .LBB15_808
; %bb.807:
	global_load_u16 v1, v[4:5], off
	s_and_not1_b32 s0, s53, exec_lo
	s_wait_loadcnt 0x0
	v_cmp_ne_u16_e32 vcc_lo, 0, v1
	s_and_b32 s53, vcc_lo, exec_lo
	s_delay_alu instid0(SALU_CYCLE_1)
	s_or_b32 s53, s0, s53
.LBB15_808:
	s_mov_b32 s0, 0
.LBB15_809:
	s_delay_alu instid0(SALU_CYCLE_1)
	s_and_not1_b32 vcc_lo, exec_lo, s0
	s_cbranch_vccnz .LBB15_815
; %bb.810:
	s_cmp_gt_i32 s36, 0
	s_mov_b32 s0, 0
	s_cbranch_scc0 .LBB15_812
; %bb.811:
	global_load_u8 v1, v[4:5], off
	s_wait_loadcnt 0x0
	v_cmp_ne_u16_e64 s53, 0, v1
	s_branch .LBB15_813
.LBB15_812:
	s_mov_b32 s0, -1
                                        ; implicit-def: $sgpr53
.LBB15_813:
	s_delay_alu instid0(SALU_CYCLE_1)
	s_and_not1_b32 vcc_lo, exec_lo, s0
	s_cbranch_vccnz .LBB15_815
; %bb.814:
	global_load_u8 v1, v[4:5], off
	s_and_not1_b32 s0, s53, exec_lo
	s_wait_loadcnt 0x0
	v_cmp_ne_u16_e32 vcc_lo, 0, v1
	s_and_b32 s36, vcc_lo, exec_lo
	s_delay_alu instid0(SALU_CYCLE_1)
	s_or_b32 s53, s0, s36
.LBB15_815:
	s_mov_b32 s54, -1
.LBB15_816:
	s_mov_b32 s36, 0
	s_and_not1_b32 vcc_lo, exec_lo, s54
	s_mov_b32 s0, s28
	s_cbranch_vccnz .LBB15_939
; %bb.817:
	v_mov_b32_e32 v3, 0
	s_and_b32 s0, s35, s27
	s_delay_alu instid0(VALU_DEP_2)
	s_and_b32 s35, s37, s53
	s_and_b32 s37, s42, 0xff
	;; [unrolled: 1-line block ×3, first 2 shown]
	v_add_nc_u64_e32 v[2:3], s[4:5], v[2:3]
	s_or_b32 s35, s0, s35
	s_cmp_lt_i32 s37, 11
	s_cbranch_scc1 .LBB15_824
; %bb.818:
	s_and_b32 s52, 0xffff, s37
	s_delay_alu instid0(SALU_CYCLE_1)
	s_cmp_gt_i32 s52, 25
	s_cbranch_scc0 .LBB15_825
; %bb.819:
	s_cmp_gt_i32 s52, 28
	s_cbranch_scc0 .LBB15_826
; %bb.820:
	;; [unrolled: 3-line block ×4, first 2 shown]
	s_mov_b32 s54, 0
	s_mov_b32 s0, -1
	s_cmp_eq_u32 s52, 46
	s_mov_b32 s53, 0
	s_cbranch_scc0 .LBB15_829
; %bb.823:
	v_cndmask_b32_e64 v1, 0, 1.0, s35
	s_mov_b32 s53, -1
	s_mov_b32 s0, 0
	s_wait_xcnt 0x0
	s_delay_alu instid0(VALU_DEP_1) | instskip(NEXT) | instid1(VALU_DEP_1)
	v_bfe_u32 v4, v1, 16, 1
	v_add3_u32 v1, v1, v4, 0x7fff
	s_delay_alu instid0(VALU_DEP_1)
	v_lshrrev_b32_e32 v1, 16, v1
	global_store_b32 v[2:3], v1, off
	s_branch .LBB15_829
.LBB15_824:
	s_mov_b32 s52, -1
	s_mov_b32 s53, 0
	s_mov_b32 s0, s28
	s_branch .LBB15_898
.LBB15_825:
	s_mov_b32 s54, -1
	s_mov_b32 s53, 0
	s_mov_b32 s0, s28
	s_branch .LBB15_856
.LBB15_826:
	s_mov_b32 s54, -1
	s_mov_b32 s53, 0
	s_mov_b32 s0, s28
	s_branch .LBB15_839
.LBB15_827:
	s_mov_b32 s54, -1
	s_mov_b32 s53, 0
	s_mov_b32 s0, s28
	s_branch .LBB15_835
.LBB15_828:
	s_mov_b32 s54, -1
	s_mov_b32 s53, 0
	s_mov_b32 s0, s28
.LBB15_829:
	s_and_b32 vcc_lo, exec_lo, s54
	s_cbranch_vccz .LBB15_834
; %bb.830:
	s_cmp_eq_u32 s52, 44
	s_mov_b32 s0, -1
	s_cbranch_scc0 .LBB15_834
; %bb.831:
	s_wait_xcnt 0x0
	v_cndmask_b32_e64 v5, 0, 1.0, s35
	s_mov_b32 s53, exec_lo
	s_delay_alu instid0(VALU_DEP_1) | instskip(NEXT) | instid1(VALU_DEP_1)
	v_dual_mov_b32 v4, 0xff :: v_dual_lshrrev_b32 v1, 23, v5
	v_cmpx_ne_u32_e32 0xff, v1
; %bb.832:
	v_and_b32_e32 v4, 0x400000, v5
	v_and_or_b32 v5, 0x3fffff, v5, v1
	s_delay_alu instid0(VALU_DEP_2) | instskip(NEXT) | instid1(VALU_DEP_2)
	v_cmp_ne_u32_e32 vcc_lo, 0, v4
	v_cmp_ne_u32_e64 s0, 0, v5
	s_and_b32 s0, vcc_lo, s0
	s_delay_alu instid0(SALU_CYCLE_1) | instskip(NEXT) | instid1(VALU_DEP_1)
	v_cndmask_b32_e64 v4, 0, 1, s0
	v_add_nc_u32_e32 v4, v1, v4
; %bb.833:
	s_or_b32 exec_lo, exec_lo, s53
	s_mov_b32 s53, -1
	s_mov_b32 s0, 0
	global_store_b8 v[2:3], v4, off
.LBB15_834:
	s_mov_b32 s54, 0
.LBB15_835:
	s_delay_alu instid0(SALU_CYCLE_1)
	s_and_b32 vcc_lo, exec_lo, s54
	s_cbranch_vccz .LBB15_838
; %bb.836:
	s_cmp_eq_u32 s52, 29
	s_mov_b32 s0, -1
	s_cbranch_scc0 .LBB15_838
; %bb.837:
	s_mov_b32 s0, 0
	s_wait_xcnt 0x0
	v_cndmask_b32_e64 v4, 0, 1, s35
	v_mov_b32_e32 v5, s0
	s_mov_b32 s53, -1
	s_mov_b32 s54, 0
	global_store_b64 v[2:3], v[4:5], off
	s_branch .LBB15_839
.LBB15_838:
	s_mov_b32 s54, 0
.LBB15_839:
	s_delay_alu instid0(SALU_CYCLE_1)
	s_and_b32 vcc_lo, exec_lo, s54
	s_cbranch_vccz .LBB15_855
; %bb.840:
	s_cmp_lt_i32 s52, 27
	s_mov_b32 s53, -1
	s_cbranch_scc1 .LBB15_846
; %bb.841:
	s_cmp_gt_i32 s52, 27
	s_cbranch_scc0 .LBB15_843
; %bb.842:
	s_wait_xcnt 0x0
	v_cndmask_b32_e64 v1, 0, 1, s35
	s_mov_b32 s53, 0
	global_store_b32 v[2:3], v1, off
.LBB15_843:
	s_and_not1_b32 vcc_lo, exec_lo, s53
	s_cbranch_vccnz .LBB15_845
; %bb.844:
	s_wait_xcnt 0x0
	v_cndmask_b32_e64 v1, 0, 1, s35
	global_store_b16 v[2:3], v1, off
.LBB15_845:
	s_mov_b32 s53, 0
.LBB15_846:
	s_delay_alu instid0(SALU_CYCLE_1)
	s_and_not1_b32 vcc_lo, exec_lo, s53
	s_cbranch_vccnz .LBB15_854
; %bb.847:
	s_wait_xcnt 0x0
	v_cndmask_b32_e64 v4, 0, 1.0, s35
	v_mov_b32_e32 v5, 0x80
	s_mov_b32 s53, exec_lo
	s_delay_alu instid0(VALU_DEP_2)
	v_cmpx_gt_u32_e32 0x43800000, v4
	s_cbranch_execz .LBB15_853
; %bb.848:
	s_mov_b32 s54, 0
	s_mov_b32 s55, exec_lo
                                        ; implicit-def: $vgpr1
	v_cmpx_lt_u32_e32 0x3bffffff, v4
	s_xor_b32 s55, exec_lo, s55
	s_cbranch_execnz .LBB15_1191
; %bb.849:
	s_and_not1_saveexec_b32 s55, s55
	s_cbranch_execnz .LBB15_1192
.LBB15_850:
	s_or_b32 exec_lo, exec_lo, s55
	v_mov_b32_e32 v5, 0
	s_and_saveexec_b32 s55, s54
.LBB15_851:
	v_mov_b32_e32 v5, v1
.LBB15_852:
	s_or_b32 exec_lo, exec_lo, s55
.LBB15_853:
	s_delay_alu instid0(SALU_CYCLE_1)
	s_or_b32 exec_lo, exec_lo, s53
	global_store_b8 v[2:3], v5, off
.LBB15_854:
	s_mov_b32 s53, -1
.LBB15_855:
	s_mov_b32 s54, 0
.LBB15_856:
	s_delay_alu instid0(SALU_CYCLE_1)
	s_and_b32 vcc_lo, exec_lo, s54
	s_cbranch_vccz .LBB15_897
; %bb.857:
	s_cmp_gt_i32 s52, 22
	s_mov_b32 s54, -1
	s_cbranch_scc0 .LBB15_889
; %bb.858:
	s_cmp_lt_i32 s52, 24
	s_mov_b32 s53, -1
	s_cbranch_scc1 .LBB15_878
; %bb.859:
	s_cmp_gt_i32 s52, 24
	s_cbranch_scc0 .LBB15_867
; %bb.860:
	s_wait_xcnt 0x0
	v_cndmask_b32_e64 v4, 0, 1.0, s35
	v_mov_b32_e32 v5, 0x80
	s_mov_b32 s53, exec_lo
	s_delay_alu instid0(VALU_DEP_2)
	v_cmpx_gt_u32_e32 0x47800000, v4
	s_cbranch_execz .LBB15_866
; %bb.861:
	s_mov_b32 s54, 0
	s_mov_b32 s55, exec_lo
                                        ; implicit-def: $vgpr1
	v_cmpx_lt_u32_e32 0x37ffffff, v4
	s_xor_b32 s55, exec_lo, s55
	s_cbranch_execnz .LBB15_2608
; %bb.862:
	s_and_not1_saveexec_b32 s55, s55
	s_cbranch_execnz .LBB15_2609
.LBB15_863:
	s_or_b32 exec_lo, exec_lo, s55
	v_mov_b32_e32 v5, 0
	s_and_saveexec_b32 s55, s54
.LBB15_864:
	v_mov_b32_e32 v5, v1
.LBB15_865:
	s_or_b32 exec_lo, exec_lo, s55
.LBB15_866:
	s_delay_alu instid0(SALU_CYCLE_1)
	s_or_b32 exec_lo, exec_lo, s53
	s_mov_b32 s53, 0
	global_store_b8 v[2:3], v5, off
.LBB15_867:
	s_and_b32 vcc_lo, exec_lo, s53
	s_cbranch_vccz .LBB15_877
; %bb.868:
	s_wait_xcnt 0x0
	v_cndmask_b32_e64 v4, 0, 1.0, s35
	s_mov_b32 s53, exec_lo
                                        ; implicit-def: $vgpr1
	s_delay_alu instid0(VALU_DEP_1)
	v_cmpx_gt_u32_e32 0x43f00000, v4
	s_xor_b32 s53, exec_lo, s53
	s_cbranch_execz .LBB15_874
; %bb.869:
	s_mov_b32 s54, exec_lo
                                        ; implicit-def: $vgpr1
	v_cmpx_lt_u32_e32 0x3c7fffff, v4
	s_xor_b32 s54, exec_lo, s54
; %bb.870:
	v_bfe_u32 v1, v4, 20, 1
	s_delay_alu instid0(VALU_DEP_1) | instskip(NEXT) | instid1(VALU_DEP_1)
	v_add3_u32 v1, v4, v1, 0x407ffff
	v_and_b32_e32 v4, 0xff00000, v1
	v_lshrrev_b32_e32 v1, 20, v1
	s_delay_alu instid0(VALU_DEP_2) | instskip(NEXT) | instid1(VALU_DEP_2)
	v_cmp_ne_u32_e32 vcc_lo, 0x7f00000, v4
                                        ; implicit-def: $vgpr4
	v_cndmask_b32_e32 v1, 0x7e, v1, vcc_lo
; %bb.871:
	s_and_not1_saveexec_b32 s54, s54
; %bb.872:
	v_add_f32_e32 v1, 0x46800000, v4
; %bb.873:
	s_or_b32 exec_lo, exec_lo, s54
                                        ; implicit-def: $vgpr4
.LBB15_874:
	s_and_not1_saveexec_b32 s53, s53
; %bb.875:
	v_mov_b32_e32 v1, 0x7f
	v_cmp_lt_u32_e32 vcc_lo, 0x7f800000, v4
	s_delay_alu instid0(VALU_DEP_2)
	v_cndmask_b32_e32 v1, 0x7e, v1, vcc_lo
; %bb.876:
	s_or_b32 exec_lo, exec_lo, s53
	global_store_b8 v[2:3], v1, off
.LBB15_877:
	s_mov_b32 s53, 0
.LBB15_878:
	s_delay_alu instid0(SALU_CYCLE_1)
	s_and_not1_b32 vcc_lo, exec_lo, s53
	s_cbranch_vccnz .LBB15_888
; %bb.879:
	s_wait_xcnt 0x0
	v_cndmask_b32_e64 v4, 0, 1.0, s35
	s_mov_b32 s53, exec_lo
                                        ; implicit-def: $vgpr1
	s_delay_alu instid0(VALU_DEP_1)
	v_cmpx_gt_u32_e32 0x47800000, v4
	s_xor_b32 s53, exec_lo, s53
	s_cbranch_execz .LBB15_885
; %bb.880:
	s_mov_b32 s54, exec_lo
                                        ; implicit-def: $vgpr1
	v_cmpx_lt_u32_e32 0x387fffff, v4
	s_xor_b32 s54, exec_lo, s54
; %bb.881:
	v_bfe_u32 v1, v4, 21, 1
	s_delay_alu instid0(VALU_DEP_1) | instskip(NEXT) | instid1(VALU_DEP_1)
	v_add3_u32 v1, v4, v1, 0x80fffff
                                        ; implicit-def: $vgpr4
	v_lshrrev_b32_e32 v1, 21, v1
; %bb.882:
	s_and_not1_saveexec_b32 s54, s54
; %bb.883:
	v_add_f32_e32 v1, 0x43000000, v4
; %bb.884:
	s_or_b32 exec_lo, exec_lo, s54
                                        ; implicit-def: $vgpr4
.LBB15_885:
	s_and_not1_saveexec_b32 s53, s53
; %bb.886:
	v_mov_b32_e32 v1, 0x7f
	v_cmp_lt_u32_e32 vcc_lo, 0x7f800000, v4
	s_delay_alu instid0(VALU_DEP_2)
	v_cndmask_b32_e32 v1, 0x7c, v1, vcc_lo
; %bb.887:
	s_or_b32 exec_lo, exec_lo, s53
	global_store_b8 v[2:3], v1, off
.LBB15_888:
	s_mov_b32 s54, 0
	s_mov_b32 s53, -1
.LBB15_889:
	s_and_not1_b32 vcc_lo, exec_lo, s54
	s_cbranch_vccnz .LBB15_897
; %bb.890:
	s_cmp_gt_i32 s52, 14
	s_mov_b32 s54, -1
	s_cbranch_scc0 .LBB15_894
; %bb.891:
	s_cmp_eq_u32 s52, 15
	s_mov_b32 s0, -1
	s_cbranch_scc0 .LBB15_893
; %bb.892:
	s_wait_xcnt 0x0
	v_cndmask_b32_e64 v1, 0, 1.0, s35
	s_mov_b32 s53, -1
	s_mov_b32 s0, 0
	s_delay_alu instid0(VALU_DEP_1) | instskip(NEXT) | instid1(VALU_DEP_1)
	v_bfe_u32 v4, v1, 16, 1
	v_add3_u32 v1, v1, v4, 0x7fff
	global_store_d16_hi_b16 v[2:3], v1, off
.LBB15_893:
	s_mov_b32 s54, 0
.LBB15_894:
	s_delay_alu instid0(SALU_CYCLE_1)
	s_and_b32 vcc_lo, exec_lo, s54
	s_cbranch_vccz .LBB15_897
; %bb.895:
	s_cmp_eq_u32 s52, 11
	s_mov_b32 s0, -1
	s_cbranch_scc0 .LBB15_897
; %bb.896:
	s_wait_xcnt 0x0
	v_cndmask_b32_e64 v1, 0, 1, s35
	s_mov_b32 s53, -1
	s_mov_b32 s0, 0
	global_store_b8 v[2:3], v1, off
.LBB15_897:
	s_mov_b32 s52, 0
.LBB15_898:
	s_delay_alu instid0(SALU_CYCLE_1)
	s_and_b32 vcc_lo, exec_lo, s52
	s_cbranch_vccz .LBB15_937
; %bb.899:
	s_and_b32 s37, 0xffff, s37
	s_mov_b32 s52, -1
	s_cmp_lt_i32 s37, 5
	s_cbranch_scc1 .LBB15_920
; %bb.900:
	s_cmp_lt_i32 s37, 8
	s_cbranch_scc1 .LBB15_910
; %bb.901:
	;; [unrolled: 3-line block ×3, first 2 shown]
	s_cmp_gt_i32 s37, 9
	s_cbranch_scc0 .LBB15_904
; %bb.903:
	s_wait_xcnt 0x0
	v_cndmask_b32_e64 v1, 0, 1, s35
	v_mov_b32_e32 v6, 0
	s_mov_b32 s52, 0
	s_delay_alu instid0(VALU_DEP_2) | instskip(NEXT) | instid1(VALU_DEP_2)
	v_cvt_f64_u32_e32 v[4:5], v1
	v_mov_b32_e32 v7, v6
	global_store_b128 v[2:3], v[4:7], off
.LBB15_904:
	s_and_not1_b32 vcc_lo, exec_lo, s52
	s_cbranch_vccnz .LBB15_906
; %bb.905:
	s_wait_xcnt 0x0
	v_cndmask_b32_e64 v4, 0, 1.0, s35
	v_mov_b32_e32 v5, 0
	global_store_b64 v[2:3], v[4:5], off
.LBB15_906:
	s_mov_b32 s52, 0
.LBB15_907:
	s_delay_alu instid0(SALU_CYCLE_1)
	s_and_not1_b32 vcc_lo, exec_lo, s52
	s_cbranch_vccnz .LBB15_909
; %bb.908:
	s_wait_xcnt 0x0
	v_cndmask_b32_e64 v1, 0, 1.0, s35
	s_delay_alu instid0(VALU_DEP_1) | instskip(NEXT) | instid1(VALU_DEP_1)
	v_cvt_f16_f32_e32 v1, v1
	v_and_b32_e32 v1, 0xffff, v1
	global_store_b32 v[2:3], v1, off
.LBB15_909:
	s_mov_b32 s52, 0
.LBB15_910:
	s_delay_alu instid0(SALU_CYCLE_1)
	s_and_not1_b32 vcc_lo, exec_lo, s52
	s_cbranch_vccnz .LBB15_919
; %bb.911:
	s_cmp_lt_i32 s37, 6
	s_mov_b32 s52, -1
	s_cbranch_scc1 .LBB15_917
; %bb.912:
	s_cmp_gt_i32 s37, 6
	s_cbranch_scc0 .LBB15_914
; %bb.913:
	s_wait_xcnt 0x0
	v_cndmask_b32_e64 v1, 0, 1, s35
	s_mov_b32 s52, 0
	s_delay_alu instid0(VALU_DEP_1)
	v_cvt_f64_u32_e32 v[4:5], v1
	global_store_b64 v[2:3], v[4:5], off
.LBB15_914:
	s_and_not1_b32 vcc_lo, exec_lo, s52
	s_cbranch_vccnz .LBB15_916
; %bb.915:
	s_wait_xcnt 0x0
	v_cndmask_b32_e64 v1, 0, 1.0, s35
	global_store_b32 v[2:3], v1, off
.LBB15_916:
	s_mov_b32 s52, 0
.LBB15_917:
	s_delay_alu instid0(SALU_CYCLE_1)
	s_and_not1_b32 vcc_lo, exec_lo, s52
	s_cbranch_vccnz .LBB15_919
; %bb.918:
	s_wait_xcnt 0x0
	v_cndmask_b32_e64 v1, 0, 1.0, s35
	s_delay_alu instid0(VALU_DEP_1)
	v_cvt_f16_f32_e32 v1, v1
	global_store_b16 v[2:3], v1, off
.LBB15_919:
	s_mov_b32 s52, 0
.LBB15_920:
	s_delay_alu instid0(SALU_CYCLE_1)
	s_and_not1_b32 vcc_lo, exec_lo, s52
	s_cbranch_vccnz .LBB15_936
; %bb.921:
	s_cmp_lt_i32 s37, 2
	s_mov_b32 s52, -1
	s_cbranch_scc1 .LBB15_931
; %bb.922:
	s_cmp_lt_i32 s37, 3
	s_cbranch_scc1 .LBB15_928
; %bb.923:
	s_cmp_gt_i32 s37, 3
	s_cbranch_scc0 .LBB15_925
; %bb.924:
	s_mov_b32 s52, 0
	s_wait_xcnt 0x0
	v_cndmask_b32_e64 v4, 0, 1, s35
	v_mov_b32_e32 v5, s52
	global_store_b64 v[2:3], v[4:5], off
.LBB15_925:
	s_and_not1_b32 vcc_lo, exec_lo, s52
	s_cbranch_vccnz .LBB15_927
; %bb.926:
	s_wait_xcnt 0x0
	v_cndmask_b32_e64 v1, 0, 1, s35
	global_store_b32 v[2:3], v1, off
.LBB15_927:
	s_mov_b32 s52, 0
.LBB15_928:
	s_delay_alu instid0(SALU_CYCLE_1)
	s_and_not1_b32 vcc_lo, exec_lo, s52
	s_cbranch_vccnz .LBB15_930
; %bb.929:
	s_wait_xcnt 0x0
	v_cndmask_b32_e64 v1, 0, 1, s35
	global_store_b16 v[2:3], v1, off
.LBB15_930:
	s_mov_b32 s52, 0
.LBB15_931:
	s_delay_alu instid0(SALU_CYCLE_1)
	s_and_not1_b32 vcc_lo, exec_lo, s52
	s_cbranch_vccnz .LBB15_936
; %bb.932:
	s_wait_xcnt 0x0
	v_cndmask_b32_e64 v1, 0, 1, s35
	s_cmp_gt_i32 s37, 0
	s_mov_b32 s35, -1
	s_cbranch_scc0 .LBB15_934
; %bb.933:
	s_mov_b32 s35, 0
	global_store_b8 v[2:3], v1, off
.LBB15_934:
	s_and_not1_b32 vcc_lo, exec_lo, s35
	s_cbranch_vccnz .LBB15_936
; %bb.935:
	global_store_b8 v[2:3], v1, off
.LBB15_936:
	s_mov_b32 s53, -1
.LBB15_937:
	s_mov_b32 s52, 0
	s_and_not1_b32 vcc_lo, exec_lo, s53
	s_mov_b32 s57, 0
	s_cbranch_vccnz .LBB15_939
; %bb.938:
	v_add_nc_u32_e32 v0, 0x80, v0
	s_mov_b32 s57, -1
.LBB15_939:
	s_and_not1_b32 s35, s28, exec_lo
	s_and_b32 s0, s0, exec_lo
	s_and_not1_b32 s37, s48, exec_lo
	s_and_b32 s52, s52, exec_lo
	s_or_b32 s53, s35, s0
	s_and_not1_b32 s0, s49, exec_lo
	s_and_b32 s35, s36, exec_lo
	s_and_not1_b32 s36, s50, exec_lo
	s_and_b32 s34, s34, exec_lo
	s_or_b32 s54, s37, s52
	s_or_b32 s55, s0, s35
	;; [unrolled: 1-line block ×3, first 2 shown]
	s_or_not1_b32 s0, s57, exec_lo
.LBB15_940:
	s_wait_xcnt 0x0
	s_or_b32 exec_lo, exec_lo, s56
	s_mov_b32 s37, 0
	s_mov_b32 s57, 0
	;; [unrolled: 1-line block ×3, first 2 shown]
                                        ; implicit-def: $sgpr34
                                        ; implicit-def: $sgpr35
                                        ; implicit-def: $vgpr8_vgpr9
                                        ; implicit-def: $vgpr2
                                        ; implicit-def: $vgpr4
                                        ; implicit-def: $vgpr6
	s_and_saveexec_b32 s56, s0
	s_cbranch_execz .LBB15_1491
; %bb.941:
	s_mov_b32 s62, -1
	s_mov_b32 s0, s52
	s_mov_b32 s59, s55
	;; [unrolled: 1-line block ×4, first 2 shown]
	s_mov_b32 s57, exec_lo
	v_cmpx_gt_i32_e64 s46, v0
	s_cbranch_execz .LBB15_1415
; %bb.942:
	s_and_not1_b32 vcc_lo, exec_lo, s40
	s_cbranch_vccnz .LBB15_948
; %bb.943:
	s_and_not1_b32 vcc_lo, exec_lo, s47
	s_cbranch_vccnz .LBB15_949
; %bb.944:
	v_dual_mov_b32 v6, 0 :: v_dual_mov_b32 v1, v0
	v_dual_mov_b32 v4, 0 :: v_dual_mov_b32 v2, 0
	v_mov_b32_e32 v8, 0
	s_add_co_i32 s0, s45, 1
	s_mov_b64 s[34:35], 0xffffffffffffffe0
	s_and_b32 s0, s0, 30
	s_add_nc_u64 s[34:35], s[2:3], s[34:35]
	s_mov_b64 s[36:37], s[2:3]
.LBB15_945:                             ; =>This Inner Loop Header: Depth=1
	s_clause 0x1
	s_load_b128 s[68:71], s[36:37], 0x4
	s_load_b64 s[58:59], s[36:37], 0x14
	s_load_b256 s[60:67], s[34:35], 0xe4
	s_add_co_i32 s0, s0, -2
	s_wait_xcnt 0x0
	s_add_nc_u64 s[36:37], s[36:37], 24
	s_cmp_eq_u32 s0, 0
	s_add_nc_u64 s[34:35], s[34:35], 32
	s_wait_kmcnt 0x0
	v_mul_hi_u32 v3, s69, v1
	s_delay_alu instid0(VALU_DEP_1) | instskip(NEXT) | instid1(VALU_DEP_1)
	v_add_nc_u32_e32 v3, v1, v3
	v_lshrrev_b32_e32 v3, s70, v3
	s_delay_alu instid0(VALU_DEP_1) | instskip(SKIP_1) | instid1(VALU_DEP_1)
	v_mul_hi_u32 v5, s58, v3
	v_mul_lo_u32 v7, v3, s68
	v_dual_add_nc_u32 v5, v3, v5 :: v_dual_sub_nc_u32 v7, v1, v7
	s_delay_alu instid0(VALU_DEP_1) | instskip(NEXT) | instid1(VALU_DEP_2)
	v_lshrrev_b32_e32 v1, s59, v5
	v_mad_u32 v8, v7, s61, v8
	v_mad_u32 v2, v7, s60, v2
	;; [unrolled: 1-line block ×4, first 2 shown]
	v_mul_lo_u32 v5, v1, s71
	s_delay_alu instid0(VALU_DEP_1) | instskip(NEXT) | instid1(VALU_DEP_1)
	v_sub_nc_u32_e32 v3, v3, v5
	v_mad_u32 v8, v3, s65, v8
	v_mad_u32 v2, v3, s64, v2
	;; [unrolled: 1-line block ×4, first 2 shown]
	s_cbranch_scc0 .LBB15_945
; %bb.946:
	s_bitcmp1_b32 s45, 0
	s_cselect_b32 s0, -1, 0
	s_delay_alu instid0(SALU_CYCLE_1)
	s_and_b32 vcc_lo, exec_lo, s0
	s_cbranch_vccnz .LBB15_950
; %bb.947:
	s_load_b96 s[64:66], s[36:37], 0x4
	s_load_b128 s[60:63], s[34:35], 0xe4
	s_wait_kmcnt 0x0
	v_mul_hi_u32 v3, s65, v1
	s_delay_alu instid0(VALU_DEP_1) | instskip(NEXT) | instid1(VALU_DEP_1)
	v_add_nc_u32_e32 v3, v1, v3
	v_lshrrev_b32_e32 v3, s66, v3
	s_delay_alu instid0(VALU_DEP_1) | instskip(NEXT) | instid1(VALU_DEP_1)
	v_mul_lo_u32 v3, v3, s64
	v_sub_nc_u32_e32 v1, v1, v3
	s_delay_alu instid0(VALU_DEP_1)
	v_mad_u32 v2, v1, s60, v2
	v_mad_u32 v8, v1, s61, v8
	;; [unrolled: 1-line block ×4, first 2 shown]
	s_branch .LBB15_950
.LBB15_948:
	s_mov_b32 s0, -1
                                        ; implicit-def: $vgpr8
                                        ; implicit-def: $vgpr2
                                        ; implicit-def: $vgpr4
                                        ; implicit-def: $vgpr6
	s_branch .LBB15_951
.LBB15_949:
	v_dual_mov_b32 v8, 0 :: v_dual_mov_b32 v2, 0
	v_dual_mov_b32 v4, 0 :: v_dual_mov_b32 v6, 0
.LBB15_950:
	s_mov_b32 s0, 0
.LBB15_951:
	s_delay_alu instid0(SALU_CYCLE_1)
	s_and_not1_b32 vcc_lo, exec_lo, s0
	s_cbranch_vccnz .LBB15_954
; %bb.952:
	v_mov_b32_e32 v1, 0
	s_and_not1_b32 vcc_lo, exec_lo, s44
	s_delay_alu instid0(VALU_DEP_1) | instskip(NEXT) | instid1(VALU_DEP_1)
	v_mul_u64_e32 v[2:3], s[24:25], v[0:1]
	v_add_nc_u32_e32 v2, v0, v3
	s_delay_alu instid0(VALU_DEP_1) | instskip(NEXT) | instid1(VALU_DEP_1)
	v_lshrrev_b32_e32 v10, s22, v2
	v_mul_lo_u32 v2, v10, s20
	s_delay_alu instid0(VALU_DEP_1) | instskip(NEXT) | instid1(VALU_DEP_1)
	v_sub_nc_u32_e32 v3, v0, v2
	v_mul_lo_u32 v8, v3, s13
	v_mul_lo_u32 v2, v3, s12
	v_mul_lo_u32 v4, v3, s15
	v_mul_lo_u32 v6, v3, s14
	s_cbranch_vccnz .LBB15_954
; %bb.953:
	v_mov_b32_e32 v11, v1
	s_delay_alu instid0(VALU_DEP_1) | instskip(NEXT) | instid1(VALU_DEP_1)
	v_mul_u64_e32 v[12:13], s[30:31], v[10:11]
	v_add_nc_u32_e32 v1, v10, v13
	s_delay_alu instid0(VALU_DEP_1) | instskip(NEXT) | instid1(VALU_DEP_1)
	v_lshrrev_b32_e32 v1, s29, v1
	v_mul_lo_u32 v1, v1, s23
	s_delay_alu instid0(VALU_DEP_1) | instskip(NEXT) | instid1(VALU_DEP_1)
	v_sub_nc_u32_e32 v1, v10, v1
	v_mad_u32 v2, v1, s16, v2
	v_mad_u32 v8, v1, s17, v8
	;; [unrolled: 1-line block ×4, first 2 shown]
.LBB15_954:
	v_mov_b32_e32 v9, 0
	s_and_b32 s0, s26, 0xff
	s_delay_alu instid0(SALU_CYCLE_1) | instskip(NEXT) | instid1(VALU_DEP_1)
	s_cmp_lt_i32 s0, 11
	v_add_nc_u64_e32 v[8:9], s[6:7], v[8:9]
	s_cbranch_scc1 .LBB15_961
; %bb.955:
	s_and_b32 s36, 0xffff, s0
	s_delay_alu instid0(SALU_CYCLE_1)
	s_cmp_gt_i32 s36, 25
	s_cbranch_scc0 .LBB15_962
; %bb.956:
	s_cmp_gt_i32 s36, 28
	s_cbranch_scc0 .LBB15_963
; %bb.957:
	;; [unrolled: 3-line block ×4, first 2 shown]
	s_cmp_eq_u32 s36, 46
	s_mov_b32 s58, 0
	s_cbranch_scc0 .LBB15_966
; %bb.960:
	global_load_b32 v1, v[8:9], off
	s_mov_b32 s34, 0
	s_mov_b32 s37, -1
	s_wait_loadcnt 0x0
	v_and_b32_e32 v1, 0x7fff7fff, v1
	s_delay_alu instid0(VALU_DEP_1)
	v_cmp_ne_u32_e64 s35, 0, v1
	s_branch .LBB15_968
.LBB15_961:
	s_mov_b32 s36, -1
	s_mov_b32 s37, 0
	s_mov_b32 s34, s52
                                        ; implicit-def: $sgpr35
	s_branch .LBB15_1015
.LBB15_962:
	s_mov_b32 s58, -1
	s_mov_b32 s37, 0
	s_mov_b32 s34, s52
                                        ; implicit-def: $sgpr35
	s_branch .LBB15_989
.LBB15_963:
	s_mov_b32 s58, -1
	s_mov_b32 s37, 0
	s_mov_b32 s34, s52
                                        ; implicit-def: $sgpr35
	s_branch .LBB15_976
.LBB15_964:
	s_mov_b32 s58, -1
	s_mov_b32 s37, 0
	s_mov_b32 s34, s52
                                        ; implicit-def: $sgpr35
	s_branch .LBB15_971
.LBB15_965:
	s_mov_b32 s58, -1
	s_mov_b32 s37, 0
	s_mov_b32 s34, s52
	s_branch .LBB15_967
.LBB15_966:
	s_mov_b32 s34, -1
	s_mov_b32 s37, 0
.LBB15_967:
                                        ; implicit-def: $sgpr35
.LBB15_968:
	s_and_b32 vcc_lo, exec_lo, s58
	s_cbranch_vccz .LBB15_970
; %bb.969:
	s_cmp_eq_u32 s36, 44
	s_cselect_b32 s37, -1, 0
	s_or_b32 s35, s35, exec_lo
	s_or_b32 s34, s34, exec_lo
.LBB15_970:
	s_mov_b32 s58, 0
.LBB15_971:
	s_delay_alu instid0(SALU_CYCLE_1)
	s_and_b32 vcc_lo, exec_lo, s58
	s_cbranch_vccz .LBB15_975
; %bb.972:
	s_cmp_eq_u32 s36, 29
	s_cbranch_scc0 .LBB15_974
; %bb.973:
	global_load_b64 v[10:11], v[8:9], off
	s_mov_b32 s37, -1
	s_mov_b32 s34, 0
	s_mov_b32 s58, 0
	s_wait_loadcnt 0x0
	v_cmp_ne_u64_e64 s35, 0, v[10:11]
	s_branch .LBB15_976
.LBB15_974:
	s_mov_b32 s34, -1
                                        ; implicit-def: $sgpr35
.LBB15_975:
	s_mov_b32 s58, 0
.LBB15_976:
	s_delay_alu instid0(SALU_CYCLE_1)
	s_and_b32 vcc_lo, exec_lo, s58
	s_cbranch_vccz .LBB15_988
; %bb.977:
	s_cmp_lt_i32 s36, 27
	s_cbranch_scc1 .LBB15_980
; %bb.978:
	s_cmp_gt_i32 s36, 27
	s_cbranch_scc0 .LBB15_981
; %bb.979:
	global_load_b32 v1, v[8:9], off
	s_mov_b32 s37, 0
	s_wait_loadcnt 0x0
	v_cmp_ne_u32_e64 s35, 0, v1
	s_branch .LBB15_982
.LBB15_980:
	s_mov_b32 s37, -1
                                        ; implicit-def: $sgpr35
	s_branch .LBB15_985
.LBB15_981:
	s_mov_b32 s37, -1
                                        ; implicit-def: $sgpr35
.LBB15_982:
	s_delay_alu instid0(SALU_CYCLE_1)
	s_and_not1_b32 vcc_lo, exec_lo, s37
	s_cbranch_vccnz .LBB15_984
; %bb.983:
	global_load_u16 v1, v[8:9], off
	s_and_not1_b32 s35, s35, exec_lo
	s_wait_loadcnt 0x0
	v_cmp_ne_u16_e32 vcc_lo, 0, v1
	s_and_b32 s37, vcc_lo, exec_lo
	s_delay_alu instid0(SALU_CYCLE_1)
	s_or_b32 s35, s35, s37
.LBB15_984:
	s_mov_b32 s37, 0
.LBB15_985:
	s_delay_alu instid0(SALU_CYCLE_1)
	s_and_not1_b32 vcc_lo, exec_lo, s37
	s_cbranch_vccnz .LBB15_987
; %bb.986:
	global_load_u8 v1, v[8:9], off
	s_and_not1_b32 s35, s35, exec_lo
	s_wait_loadcnt 0x0
	v_cmp_ne_u16_e32 vcc_lo, 0, v1
	s_and_b32 s37, vcc_lo, exec_lo
	s_delay_alu instid0(SALU_CYCLE_1)
	s_or_b32 s35, s35, s37
.LBB15_987:
	s_mov_b32 s37, -1
.LBB15_988:
	s_mov_b32 s58, 0
.LBB15_989:
	s_delay_alu instid0(SALU_CYCLE_1)
	s_and_b32 vcc_lo, exec_lo, s58
	s_cbranch_vccz .LBB15_1014
; %bb.990:
	s_cmp_gt_i32 s36, 22
	s_cbranch_scc0 .LBB15_994
; %bb.991:
	s_cmp_lt_i32 s36, 24
	s_cbranch_scc1 .LBB15_995
; %bb.992:
	s_cmp_gt_i32 s36, 24
	s_cbranch_scc0 .LBB15_996
; %bb.993:
	global_load_u8 v1, v[8:9], off
	s_mov_b32 s37, 0
	s_wait_loadcnt 0x0
	v_cmp_ne_u16_e64 s35, 0, v1
	s_branch .LBB15_997
.LBB15_994:
	s_mov_b32 s58, -1
                                        ; implicit-def: $sgpr35
	s_branch .LBB15_1003
.LBB15_995:
	s_mov_b32 s37, -1
                                        ; implicit-def: $sgpr35
	s_branch .LBB15_1000
.LBB15_996:
	s_mov_b32 s37, -1
                                        ; implicit-def: $sgpr35
.LBB15_997:
	s_delay_alu instid0(SALU_CYCLE_1)
	s_and_not1_b32 vcc_lo, exec_lo, s37
	s_cbranch_vccnz .LBB15_999
; %bb.998:
	global_load_u8 v1, v[8:9], off
	s_and_not1_b32 s35, s35, exec_lo
	s_wait_loadcnt 0x0
	v_and_b32_e32 v1, 0x7f, v1
	s_delay_alu instid0(VALU_DEP_1) | instskip(SKIP_1) | instid1(SALU_CYCLE_1)
	v_cmp_ne_u16_e32 vcc_lo, 0, v1
	s_and_b32 s37, vcc_lo, exec_lo
	s_or_b32 s35, s35, s37
.LBB15_999:
	s_mov_b32 s37, 0
.LBB15_1000:
	s_delay_alu instid0(SALU_CYCLE_1)
	s_and_not1_b32 vcc_lo, exec_lo, s37
	s_cbranch_vccnz .LBB15_1002
; %bb.1001:
	global_load_u8 v1, v[8:9], off
	s_and_not1_b32 s35, s35, exec_lo
	s_wait_loadcnt 0x0
	v_dual_lshlrev_b32 v3, 25, v1 :: v_dual_lshlrev_b32 v1, 8, v1
	s_delay_alu instid0(VALU_DEP_1) | instskip(NEXT) | instid1(VALU_DEP_2)
	v_cmp_gt_u32_e32 vcc_lo, 0x8000000, v3
	v_and_or_b32 v1, 0x7f00, v1, 0.5
	s_delay_alu instid0(VALU_DEP_1) | instskip(NEXT) | instid1(VALU_DEP_1)
	v_dual_lshrrev_b32 v5, 4, v3 :: v_dual_add_f32 v1, -0.5, v1
	v_or_b32_e32 v5, 0x70000000, v5
	s_delay_alu instid0(VALU_DEP_1) | instskip(NEXT) | instid1(VALU_DEP_1)
	v_mul_f32_e32 v5, 0x7800000, v5
	v_cndmask_b32_e32 v1, v5, v1, vcc_lo
	s_delay_alu instid0(VALU_DEP_1) | instskip(SKIP_1) | instid1(SALU_CYCLE_1)
	v_cmp_neq_f32_e32 vcc_lo, 0, v1
	s_and_b32 s37, vcc_lo, exec_lo
	s_or_b32 s35, s35, s37
.LBB15_1002:
	s_mov_b32 s58, 0
	s_mov_b32 s37, -1
.LBB15_1003:
	s_and_not1_b32 vcc_lo, exec_lo, s58
	s_cbranch_vccnz .LBB15_1014
; %bb.1004:
	s_cmp_gt_i32 s36, 14
	s_cbranch_scc0 .LBB15_1007
; %bb.1005:
	s_cmp_eq_u32 s36, 15
	s_cbranch_scc0 .LBB15_1008
; %bb.1006:
	global_load_u16 v1, v[8:9], off
	s_mov_b32 s34, 0
	s_mov_b32 s37, -1
	s_wait_loadcnt 0x0
	v_and_b32_e32 v1, 0x7fff, v1
	s_delay_alu instid0(VALU_DEP_1)
	v_cmp_ne_u16_e64 s35, 0, v1
	s_branch .LBB15_1009
.LBB15_1007:
	s_mov_b32 s58, -1
                                        ; implicit-def: $sgpr35
	s_branch .LBB15_1010
.LBB15_1008:
	s_mov_b32 s34, -1
                                        ; implicit-def: $sgpr35
.LBB15_1009:
	s_mov_b32 s58, 0
.LBB15_1010:
	s_delay_alu instid0(SALU_CYCLE_1)
	s_and_b32 vcc_lo, exec_lo, s58
	s_cbranch_vccz .LBB15_1014
; %bb.1011:
	s_cmp_eq_u32 s36, 11
	s_cbranch_scc0 .LBB15_1013
; %bb.1012:
	global_load_u8 v1, v[8:9], off
	s_mov_b32 s34, 0
	s_mov_b32 s37, -1
	s_wait_loadcnt 0x0
	v_cmp_ne_u16_e64 s35, 0, v1
	s_branch .LBB15_1014
.LBB15_1013:
	s_mov_b32 s34, -1
                                        ; implicit-def: $sgpr35
.LBB15_1014:
	s_mov_b32 s36, 0
.LBB15_1015:
	s_delay_alu instid0(SALU_CYCLE_1)
	s_and_b32 vcc_lo, exec_lo, s36
	s_cbranch_vccz .LBB15_1064
; %bb.1016:
	s_and_b32 s36, 0xffff, s0
	s_delay_alu instid0(SALU_CYCLE_1)
	s_cmp_lt_i32 s36, 5
	s_cbranch_scc1 .LBB15_1021
; %bb.1017:
	s_cmp_lt_i32 s36, 8
	s_cbranch_scc1 .LBB15_1022
; %bb.1018:
	;; [unrolled: 3-line block ×3, first 2 shown]
	s_cmp_gt_i32 s36, 9
	s_cbranch_scc0 .LBB15_1024
; %bb.1020:
	global_load_b128 v[10:13], v[8:9], off
	s_wait_loadcnt 0x0
	v_cmp_neq_f64_e32 vcc_lo, 0, v[10:11]
	v_cmp_neq_f64_e64 s0, 0, v[12:13]
	s_or_b32 s35, vcc_lo, s0
	s_mov_b32 s0, 0
	s_branch .LBB15_1025
.LBB15_1021:
	s_mov_b32 s0, -1
                                        ; implicit-def: $sgpr35
	s_branch .LBB15_1043
.LBB15_1022:
	s_mov_b32 s0, -1
                                        ; implicit-def: $sgpr35
	s_branch .LBB15_1031
.LBB15_1023:
	s_mov_b32 s0, -1
                                        ; implicit-def: $sgpr35
	s_branch .LBB15_1028
.LBB15_1024:
	s_mov_b32 s0, -1
                                        ; implicit-def: $sgpr35
.LBB15_1025:
	s_delay_alu instid0(SALU_CYCLE_1)
	s_and_not1_b32 vcc_lo, exec_lo, s0
	s_cbranch_vccnz .LBB15_1027
; %bb.1026:
	global_load_b64 v[10:11], v[8:9], off
	s_and_not1_b32 s0, s35, exec_lo
	s_wait_loadcnt 0x0
	v_bitop3_b32 v1, v10, 0x7fffffff, v11 bitop3:0xc8
	s_delay_alu instid0(VALU_DEP_1) | instskip(SKIP_1) | instid1(SALU_CYCLE_1)
	v_cmp_ne_u32_e32 vcc_lo, 0, v1
	s_and_b32 s35, vcc_lo, exec_lo
	s_or_b32 s35, s0, s35
.LBB15_1027:
	s_mov_b32 s0, 0
.LBB15_1028:
	s_delay_alu instid0(SALU_CYCLE_1)
	s_and_not1_b32 vcc_lo, exec_lo, s0
	s_cbranch_vccnz .LBB15_1030
; %bb.1029:
	global_load_b32 v1, v[8:9], off
	s_and_not1_b32 s0, s35, exec_lo
	s_wait_loadcnt 0x0
	v_and_b32_e32 v1, 0x7fff7fff, v1
	s_delay_alu instid0(VALU_DEP_1) | instskip(SKIP_1) | instid1(SALU_CYCLE_1)
	v_cmp_ne_u32_e32 vcc_lo, 0, v1
	s_and_b32 s35, vcc_lo, exec_lo
	s_or_b32 s35, s0, s35
.LBB15_1030:
	s_mov_b32 s0, 0
.LBB15_1031:
	s_delay_alu instid0(SALU_CYCLE_1)
	s_and_not1_b32 vcc_lo, exec_lo, s0
	s_cbranch_vccnz .LBB15_1042
; %bb.1032:
	s_cmp_lt_i32 s36, 6
	s_cbranch_scc1 .LBB15_1035
; %bb.1033:
	s_cmp_gt_i32 s36, 6
	s_cbranch_scc0 .LBB15_1036
; %bb.1034:
	global_load_b64 v[10:11], v[8:9], off
	s_mov_b32 s0, 0
	s_wait_loadcnt 0x0
	v_cmp_neq_f64_e64 s35, 0, v[10:11]
	s_branch .LBB15_1037
.LBB15_1035:
	s_mov_b32 s0, -1
                                        ; implicit-def: $sgpr35
	s_branch .LBB15_1040
.LBB15_1036:
	s_mov_b32 s0, -1
                                        ; implicit-def: $sgpr35
.LBB15_1037:
	s_delay_alu instid0(SALU_CYCLE_1)
	s_and_not1_b32 vcc_lo, exec_lo, s0
	s_cbranch_vccnz .LBB15_1039
; %bb.1038:
	global_load_b32 v1, v[8:9], off
	s_and_not1_b32 s0, s35, exec_lo
	s_wait_loadcnt 0x0
	v_cmp_neq_f32_e32 vcc_lo, 0, v1
	s_and_b32 s35, vcc_lo, exec_lo
	s_delay_alu instid0(SALU_CYCLE_1)
	s_or_b32 s35, s0, s35
.LBB15_1039:
	s_mov_b32 s0, 0
.LBB15_1040:
	s_delay_alu instid0(SALU_CYCLE_1)
	s_and_not1_b32 vcc_lo, exec_lo, s0
	s_cbranch_vccnz .LBB15_1042
; %bb.1041:
	global_load_u16 v1, v[8:9], off
	s_and_not1_b32 s0, s35, exec_lo
	s_wait_loadcnt 0x0
	v_and_b32_e32 v1, 0x7fff, v1
	s_delay_alu instid0(VALU_DEP_1) | instskip(SKIP_1) | instid1(SALU_CYCLE_1)
	v_cmp_ne_u16_e32 vcc_lo, 0, v1
	s_and_b32 s35, vcc_lo, exec_lo
	s_or_b32 s35, s0, s35
.LBB15_1042:
	s_mov_b32 s0, 0
.LBB15_1043:
	s_delay_alu instid0(SALU_CYCLE_1)
	s_and_not1_b32 vcc_lo, exec_lo, s0
	s_cbranch_vccnz .LBB15_1063
; %bb.1044:
	s_cmp_lt_i32 s36, 2
	s_cbranch_scc1 .LBB15_1048
; %bb.1045:
	s_cmp_lt_i32 s36, 3
	s_cbranch_scc1 .LBB15_1049
; %bb.1046:
	s_cmp_gt_i32 s36, 3
	s_cbranch_scc0 .LBB15_1050
; %bb.1047:
	global_load_b64 v[10:11], v[8:9], off
	s_mov_b32 s0, 0
	s_wait_loadcnt 0x0
	v_cmp_ne_u64_e64 s35, 0, v[10:11]
	s_branch .LBB15_1051
.LBB15_1048:
	s_mov_b32 s0, -1
                                        ; implicit-def: $sgpr35
	s_branch .LBB15_1057
.LBB15_1049:
	s_mov_b32 s0, -1
                                        ; implicit-def: $sgpr35
	s_branch .LBB15_1054
.LBB15_1050:
	s_mov_b32 s0, -1
                                        ; implicit-def: $sgpr35
.LBB15_1051:
	s_delay_alu instid0(SALU_CYCLE_1)
	s_and_not1_b32 vcc_lo, exec_lo, s0
	s_cbranch_vccnz .LBB15_1053
; %bb.1052:
	global_load_b32 v1, v[8:9], off
	s_and_not1_b32 s0, s35, exec_lo
	s_wait_loadcnt 0x0
	v_cmp_ne_u32_e32 vcc_lo, 0, v1
	s_and_b32 s35, vcc_lo, exec_lo
	s_delay_alu instid0(SALU_CYCLE_1)
	s_or_b32 s35, s0, s35
.LBB15_1053:
	s_mov_b32 s0, 0
.LBB15_1054:
	s_delay_alu instid0(SALU_CYCLE_1)
	s_and_not1_b32 vcc_lo, exec_lo, s0
	s_cbranch_vccnz .LBB15_1056
; %bb.1055:
	global_load_u16 v1, v[8:9], off
	s_and_not1_b32 s0, s35, exec_lo
	s_wait_loadcnt 0x0
	v_cmp_ne_u16_e32 vcc_lo, 0, v1
	s_and_b32 s35, vcc_lo, exec_lo
	s_delay_alu instid0(SALU_CYCLE_1)
	s_or_b32 s35, s0, s35
.LBB15_1056:
	s_mov_b32 s0, 0
.LBB15_1057:
	s_delay_alu instid0(SALU_CYCLE_1)
	s_and_not1_b32 vcc_lo, exec_lo, s0
	s_cbranch_vccnz .LBB15_1063
; %bb.1058:
	s_cmp_gt_i32 s36, 0
	s_mov_b32 s0, 0
	s_cbranch_scc0 .LBB15_1060
; %bb.1059:
	global_load_u8 v1, v[8:9], off
	s_wait_loadcnt 0x0
	v_cmp_ne_u16_e64 s35, 0, v1
	s_branch .LBB15_1061
.LBB15_1060:
	s_mov_b32 s0, -1
                                        ; implicit-def: $sgpr35
.LBB15_1061:
	s_delay_alu instid0(SALU_CYCLE_1)
	s_and_not1_b32 vcc_lo, exec_lo, s0
	s_cbranch_vccnz .LBB15_1063
; %bb.1062:
	global_load_u8 v1, v[8:9], off
	s_and_not1_b32 s0, s35, exec_lo
	s_wait_loadcnt 0x0
	v_cmp_ne_u16_e32 vcc_lo, 0, v1
	s_and_b32 s35, vcc_lo, exec_lo
	s_delay_alu instid0(SALU_CYCLE_1)
	s_or_b32 s35, s0, s35
.LBB15_1063:
	s_mov_b32 s37, -1
.LBB15_1064:
	s_delay_alu instid0(SALU_CYCLE_1)
	s_and_not1_b32 vcc_lo, exec_lo, s37
	s_cbranch_vccnz .LBB15_1072
; %bb.1065:
	v_mov_b32_e32 v7, 0
	s_and_b32 s0, s1, 0xff
	s_delay_alu instid0(SALU_CYCLE_1) | instskip(NEXT) | instid1(VALU_DEP_1)
	s_cmp_lt_i32 s0, 11
	v_add_nc_u64_e32 v[6:7], s[8:9], v[6:7]
	s_cbranch_scc1 .LBB15_1073
; %bb.1066:
	s_and_b32 s34, 0xffff, s0
	s_delay_alu instid0(SALU_CYCLE_1)
	s_cmp_gt_i32 s34, 25
	s_cbranch_scc0 .LBB15_1074
; %bb.1067:
	s_cmp_gt_i32 s34, 28
	s_cbranch_scc0 .LBB15_1075
; %bb.1068:
	;; [unrolled: 3-line block ×4, first 2 shown]
	s_cmp_eq_u32 s34, 46
	s_mov_b32 s59, 0
	s_cbranch_scc0 .LBB15_1078
; %bb.1071:
	global_load_b32 v1, v[6:7], off
	s_mov_b32 s36, 0
	s_mov_b32 s58, -1
	s_wait_loadcnt 0x0
	v_and_b32_e32 v1, 0x7fff7fff, v1
	s_delay_alu instid0(VALU_DEP_1)
	v_cmp_ne_u32_e64 s37, 0, v1
	s_branch .LBB15_1080
.LBB15_1072:
	s_mov_b32 s61, 0
	s_mov_b32 s0, s53
	;; [unrolled: 1-line block ×4, first 2 shown]
                                        ; implicit-def: $vgpr0
	s_branch .LBB15_1414
.LBB15_1073:
	s_mov_b32 s34, -1
	s_mov_b32 s58, 0
	s_mov_b32 s36, s55
                                        ; implicit-def: $sgpr37
	s_branch .LBB15_1127
.LBB15_1074:
	s_mov_b32 s59, -1
	s_mov_b32 s58, 0
	s_mov_b32 s36, s55
                                        ; implicit-def: $sgpr37
	s_branch .LBB15_1101
.LBB15_1075:
	s_mov_b32 s59, -1
	s_mov_b32 s58, 0
	s_mov_b32 s36, s55
                                        ; implicit-def: $sgpr37
	s_branch .LBB15_1088
.LBB15_1076:
	s_mov_b32 s59, -1
	s_mov_b32 s58, 0
	s_mov_b32 s36, s55
                                        ; implicit-def: $sgpr37
	s_branch .LBB15_1083
.LBB15_1077:
	s_mov_b32 s59, -1
	s_mov_b32 s58, 0
	s_mov_b32 s36, s55
	s_branch .LBB15_1079
.LBB15_1078:
	s_mov_b32 s36, -1
	s_mov_b32 s58, 0
.LBB15_1079:
                                        ; implicit-def: $sgpr37
.LBB15_1080:
	s_and_b32 vcc_lo, exec_lo, s59
	s_cbranch_vccz .LBB15_1082
; %bb.1081:
	s_cmp_eq_u32 s34, 44
	s_cselect_b32 s58, -1, 0
	s_or_b32 s37, s37, exec_lo
	s_or_b32 s36, s36, exec_lo
.LBB15_1082:
	s_mov_b32 s59, 0
.LBB15_1083:
	s_delay_alu instid0(SALU_CYCLE_1)
	s_and_b32 vcc_lo, exec_lo, s59
	s_cbranch_vccz .LBB15_1087
; %bb.1084:
	s_cmp_eq_u32 s34, 29
	s_cbranch_scc0 .LBB15_1086
; %bb.1085:
	global_load_b64 v[8:9], v[6:7], off
	s_mov_b32 s58, -1
	s_mov_b32 s36, 0
	s_mov_b32 s59, 0
	s_wait_loadcnt 0x0
	v_cmp_ne_u64_e64 s37, 0, v[8:9]
	s_branch .LBB15_1088
.LBB15_1086:
	s_mov_b32 s36, -1
                                        ; implicit-def: $sgpr37
.LBB15_1087:
	s_mov_b32 s59, 0
.LBB15_1088:
	s_delay_alu instid0(SALU_CYCLE_1)
	s_and_b32 vcc_lo, exec_lo, s59
	s_cbranch_vccz .LBB15_1100
; %bb.1089:
	s_cmp_lt_i32 s34, 27
	s_cbranch_scc1 .LBB15_1092
; %bb.1090:
	s_cmp_gt_i32 s34, 27
	s_cbranch_scc0 .LBB15_1093
; %bb.1091:
	global_load_b32 v1, v[6:7], off
	s_mov_b32 s58, 0
	s_wait_loadcnt 0x0
	v_cmp_ne_u32_e64 s37, 0, v1
	s_branch .LBB15_1094
.LBB15_1092:
	s_mov_b32 s58, -1
                                        ; implicit-def: $sgpr37
	s_branch .LBB15_1097
.LBB15_1093:
	s_mov_b32 s58, -1
                                        ; implicit-def: $sgpr37
.LBB15_1094:
	s_delay_alu instid0(SALU_CYCLE_1)
	s_and_not1_b32 vcc_lo, exec_lo, s58
	s_cbranch_vccnz .LBB15_1096
; %bb.1095:
	global_load_u16 v1, v[6:7], off
	s_and_not1_b32 s37, s37, exec_lo
	s_wait_loadcnt 0x0
	v_cmp_ne_u16_e32 vcc_lo, 0, v1
	s_and_b32 s58, vcc_lo, exec_lo
	s_delay_alu instid0(SALU_CYCLE_1)
	s_or_b32 s37, s37, s58
.LBB15_1096:
	s_mov_b32 s58, 0
.LBB15_1097:
	s_delay_alu instid0(SALU_CYCLE_1)
	s_and_not1_b32 vcc_lo, exec_lo, s58
	s_cbranch_vccnz .LBB15_1099
; %bb.1098:
	global_load_u8 v1, v[6:7], off
	s_and_not1_b32 s37, s37, exec_lo
	s_wait_loadcnt 0x0
	v_cmp_ne_u16_e32 vcc_lo, 0, v1
	s_and_b32 s58, vcc_lo, exec_lo
	s_delay_alu instid0(SALU_CYCLE_1)
	s_or_b32 s37, s37, s58
.LBB15_1099:
	s_mov_b32 s58, -1
.LBB15_1100:
	s_mov_b32 s59, 0
.LBB15_1101:
	s_delay_alu instid0(SALU_CYCLE_1)
	s_and_b32 vcc_lo, exec_lo, s59
	s_cbranch_vccz .LBB15_1126
; %bb.1102:
	s_cmp_gt_i32 s34, 22
	s_cbranch_scc0 .LBB15_1106
; %bb.1103:
	s_cmp_lt_i32 s34, 24
	s_cbranch_scc1 .LBB15_1107
; %bb.1104:
	s_cmp_gt_i32 s34, 24
	s_cbranch_scc0 .LBB15_1108
; %bb.1105:
	global_load_u8 v1, v[6:7], off
	s_mov_b32 s58, 0
	s_wait_loadcnt 0x0
	v_cmp_ne_u16_e64 s37, 0, v1
	s_branch .LBB15_1109
.LBB15_1106:
	s_mov_b32 s59, -1
                                        ; implicit-def: $sgpr37
	s_branch .LBB15_1115
.LBB15_1107:
	s_mov_b32 s58, -1
                                        ; implicit-def: $sgpr37
	s_branch .LBB15_1112
.LBB15_1108:
	s_mov_b32 s58, -1
                                        ; implicit-def: $sgpr37
.LBB15_1109:
	s_delay_alu instid0(SALU_CYCLE_1)
	s_and_not1_b32 vcc_lo, exec_lo, s58
	s_cbranch_vccnz .LBB15_1111
; %bb.1110:
	global_load_u8 v1, v[6:7], off
	s_and_not1_b32 s37, s37, exec_lo
	s_wait_loadcnt 0x0
	v_and_b32_e32 v1, 0x7f, v1
	s_delay_alu instid0(VALU_DEP_1) | instskip(SKIP_1) | instid1(SALU_CYCLE_1)
	v_cmp_ne_u16_e32 vcc_lo, 0, v1
	s_and_b32 s58, vcc_lo, exec_lo
	s_or_b32 s37, s37, s58
.LBB15_1111:
	s_mov_b32 s58, 0
.LBB15_1112:
	s_delay_alu instid0(SALU_CYCLE_1)
	s_and_not1_b32 vcc_lo, exec_lo, s58
	s_cbranch_vccnz .LBB15_1114
; %bb.1113:
	global_load_u8 v1, v[6:7], off
	s_and_not1_b32 s37, s37, exec_lo
	s_wait_loadcnt 0x0
	v_dual_lshlrev_b32 v3, 25, v1 :: v_dual_lshlrev_b32 v1, 8, v1
	s_delay_alu instid0(VALU_DEP_1) | instskip(NEXT) | instid1(VALU_DEP_2)
	v_cmp_gt_u32_e32 vcc_lo, 0x8000000, v3
	v_and_or_b32 v1, 0x7f00, v1, 0.5
	s_delay_alu instid0(VALU_DEP_1) | instskip(NEXT) | instid1(VALU_DEP_1)
	v_dual_lshrrev_b32 v5, 4, v3 :: v_dual_add_f32 v1, -0.5, v1
	v_or_b32_e32 v5, 0x70000000, v5
	s_delay_alu instid0(VALU_DEP_1) | instskip(NEXT) | instid1(VALU_DEP_1)
	v_mul_f32_e32 v5, 0x7800000, v5
	v_cndmask_b32_e32 v1, v5, v1, vcc_lo
	s_delay_alu instid0(VALU_DEP_1) | instskip(SKIP_1) | instid1(SALU_CYCLE_1)
	v_cmp_neq_f32_e32 vcc_lo, 0, v1
	s_and_b32 s58, vcc_lo, exec_lo
	s_or_b32 s37, s37, s58
.LBB15_1114:
	s_mov_b32 s59, 0
	s_mov_b32 s58, -1
.LBB15_1115:
	s_and_not1_b32 vcc_lo, exec_lo, s59
	s_cbranch_vccnz .LBB15_1126
; %bb.1116:
	s_cmp_gt_i32 s34, 14
	s_cbranch_scc0 .LBB15_1119
; %bb.1117:
	s_cmp_eq_u32 s34, 15
	s_cbranch_scc0 .LBB15_1120
; %bb.1118:
	global_load_u16 v1, v[6:7], off
	s_mov_b32 s36, 0
	s_mov_b32 s58, -1
	s_wait_loadcnt 0x0
	v_and_b32_e32 v1, 0x7fff, v1
	s_delay_alu instid0(VALU_DEP_1)
	v_cmp_ne_u16_e64 s37, 0, v1
	s_branch .LBB15_1121
.LBB15_1119:
	s_mov_b32 s59, -1
                                        ; implicit-def: $sgpr37
	s_branch .LBB15_1122
.LBB15_1120:
	s_mov_b32 s36, -1
                                        ; implicit-def: $sgpr37
.LBB15_1121:
	s_mov_b32 s59, 0
.LBB15_1122:
	s_delay_alu instid0(SALU_CYCLE_1)
	s_and_b32 vcc_lo, exec_lo, s59
	s_cbranch_vccz .LBB15_1126
; %bb.1123:
	s_cmp_eq_u32 s34, 11
	s_cbranch_scc0 .LBB15_1125
; %bb.1124:
	global_load_u8 v1, v[6:7], off
	s_mov_b32 s36, 0
	s_mov_b32 s58, -1
	s_wait_loadcnt 0x0
	v_cmp_ne_u16_e64 s37, 0, v1
	s_branch .LBB15_1126
.LBB15_1125:
	s_mov_b32 s36, -1
                                        ; implicit-def: $sgpr37
.LBB15_1126:
	s_mov_b32 s34, 0
.LBB15_1127:
	s_delay_alu instid0(SALU_CYCLE_1)
	s_and_b32 vcc_lo, exec_lo, s34
	s_cbranch_vccz .LBB15_1176
; %bb.1128:
	s_and_b32 s34, 0xffff, s0
	s_delay_alu instid0(SALU_CYCLE_1)
	s_cmp_lt_i32 s34, 5
	s_cbranch_scc1 .LBB15_1133
; %bb.1129:
	s_cmp_lt_i32 s34, 8
	s_cbranch_scc1 .LBB15_1134
; %bb.1130:
	;; [unrolled: 3-line block ×3, first 2 shown]
	s_cmp_gt_i32 s34, 9
	s_cbranch_scc0 .LBB15_1136
; %bb.1132:
	global_load_b128 v[8:11], v[6:7], off
	s_wait_loadcnt 0x0
	v_cmp_neq_f64_e32 vcc_lo, 0, v[8:9]
	v_cmp_neq_f64_e64 s0, 0, v[10:11]
	s_or_b32 s37, vcc_lo, s0
	s_mov_b32 s0, 0
	s_branch .LBB15_1137
.LBB15_1133:
	s_mov_b32 s0, -1
                                        ; implicit-def: $sgpr37
	s_branch .LBB15_1155
.LBB15_1134:
	s_mov_b32 s0, -1
                                        ; implicit-def: $sgpr37
	s_branch .LBB15_1143
.LBB15_1135:
	s_mov_b32 s0, -1
                                        ; implicit-def: $sgpr37
	s_branch .LBB15_1140
.LBB15_1136:
	s_mov_b32 s0, -1
                                        ; implicit-def: $sgpr37
.LBB15_1137:
	s_delay_alu instid0(SALU_CYCLE_1)
	s_and_not1_b32 vcc_lo, exec_lo, s0
	s_cbranch_vccnz .LBB15_1139
; %bb.1138:
	global_load_b64 v[8:9], v[6:7], off
	s_and_not1_b32 s0, s37, exec_lo
	s_wait_loadcnt 0x0
	v_bitop3_b32 v1, v8, 0x7fffffff, v9 bitop3:0xc8
	s_delay_alu instid0(VALU_DEP_1) | instskip(SKIP_1) | instid1(SALU_CYCLE_1)
	v_cmp_ne_u32_e32 vcc_lo, 0, v1
	s_and_b32 s37, vcc_lo, exec_lo
	s_or_b32 s37, s0, s37
.LBB15_1139:
	s_mov_b32 s0, 0
.LBB15_1140:
	s_delay_alu instid0(SALU_CYCLE_1)
	s_and_not1_b32 vcc_lo, exec_lo, s0
	s_cbranch_vccnz .LBB15_1142
; %bb.1141:
	global_load_b32 v1, v[6:7], off
	s_and_not1_b32 s0, s37, exec_lo
	s_wait_loadcnt 0x0
	v_and_b32_e32 v1, 0x7fff7fff, v1
	s_delay_alu instid0(VALU_DEP_1) | instskip(SKIP_1) | instid1(SALU_CYCLE_1)
	v_cmp_ne_u32_e32 vcc_lo, 0, v1
	s_and_b32 s37, vcc_lo, exec_lo
	s_or_b32 s37, s0, s37
.LBB15_1142:
	s_mov_b32 s0, 0
.LBB15_1143:
	s_delay_alu instid0(SALU_CYCLE_1)
	s_and_not1_b32 vcc_lo, exec_lo, s0
	s_cbranch_vccnz .LBB15_1154
; %bb.1144:
	s_cmp_lt_i32 s34, 6
	s_cbranch_scc1 .LBB15_1147
; %bb.1145:
	s_cmp_gt_i32 s34, 6
	s_cbranch_scc0 .LBB15_1148
; %bb.1146:
	global_load_b64 v[8:9], v[6:7], off
	s_mov_b32 s0, 0
	s_wait_loadcnt 0x0
	v_cmp_neq_f64_e64 s37, 0, v[8:9]
	s_branch .LBB15_1149
.LBB15_1147:
	s_mov_b32 s0, -1
                                        ; implicit-def: $sgpr37
	s_branch .LBB15_1152
.LBB15_1148:
	s_mov_b32 s0, -1
                                        ; implicit-def: $sgpr37
.LBB15_1149:
	s_delay_alu instid0(SALU_CYCLE_1)
	s_and_not1_b32 vcc_lo, exec_lo, s0
	s_cbranch_vccnz .LBB15_1151
; %bb.1150:
	global_load_b32 v1, v[6:7], off
	s_and_not1_b32 s0, s37, exec_lo
	s_wait_loadcnt 0x0
	v_cmp_neq_f32_e32 vcc_lo, 0, v1
	s_and_b32 s37, vcc_lo, exec_lo
	s_delay_alu instid0(SALU_CYCLE_1)
	s_or_b32 s37, s0, s37
.LBB15_1151:
	s_mov_b32 s0, 0
.LBB15_1152:
	s_delay_alu instid0(SALU_CYCLE_1)
	s_and_not1_b32 vcc_lo, exec_lo, s0
	s_cbranch_vccnz .LBB15_1154
; %bb.1153:
	global_load_u16 v1, v[6:7], off
	s_and_not1_b32 s0, s37, exec_lo
	s_wait_loadcnt 0x0
	v_and_b32_e32 v1, 0x7fff, v1
	s_delay_alu instid0(VALU_DEP_1) | instskip(SKIP_1) | instid1(SALU_CYCLE_1)
	v_cmp_ne_u16_e32 vcc_lo, 0, v1
	s_and_b32 s37, vcc_lo, exec_lo
	s_or_b32 s37, s0, s37
.LBB15_1154:
	s_mov_b32 s0, 0
.LBB15_1155:
	s_delay_alu instid0(SALU_CYCLE_1)
	s_and_not1_b32 vcc_lo, exec_lo, s0
	s_cbranch_vccnz .LBB15_1175
; %bb.1156:
	s_cmp_lt_i32 s34, 2
	s_cbranch_scc1 .LBB15_1160
; %bb.1157:
	s_cmp_lt_i32 s34, 3
	s_cbranch_scc1 .LBB15_1161
; %bb.1158:
	s_cmp_gt_i32 s34, 3
	s_cbranch_scc0 .LBB15_1162
; %bb.1159:
	global_load_b64 v[8:9], v[6:7], off
	s_mov_b32 s0, 0
	s_wait_loadcnt 0x0
	v_cmp_ne_u64_e64 s37, 0, v[8:9]
	s_branch .LBB15_1163
.LBB15_1160:
	s_mov_b32 s0, -1
                                        ; implicit-def: $sgpr37
	s_branch .LBB15_1169
.LBB15_1161:
	s_mov_b32 s0, -1
                                        ; implicit-def: $sgpr37
	s_branch .LBB15_1166
.LBB15_1162:
	s_mov_b32 s0, -1
                                        ; implicit-def: $sgpr37
.LBB15_1163:
	s_delay_alu instid0(SALU_CYCLE_1)
	s_and_not1_b32 vcc_lo, exec_lo, s0
	s_cbranch_vccnz .LBB15_1165
; %bb.1164:
	global_load_b32 v1, v[6:7], off
	s_and_not1_b32 s0, s37, exec_lo
	s_wait_loadcnt 0x0
	v_cmp_ne_u32_e32 vcc_lo, 0, v1
	s_and_b32 s37, vcc_lo, exec_lo
	s_delay_alu instid0(SALU_CYCLE_1)
	s_or_b32 s37, s0, s37
.LBB15_1165:
	s_mov_b32 s0, 0
.LBB15_1166:
	s_delay_alu instid0(SALU_CYCLE_1)
	s_and_not1_b32 vcc_lo, exec_lo, s0
	s_cbranch_vccnz .LBB15_1168
; %bb.1167:
	global_load_u16 v1, v[6:7], off
	s_and_not1_b32 s0, s37, exec_lo
	s_wait_loadcnt 0x0
	v_cmp_ne_u16_e32 vcc_lo, 0, v1
	s_and_b32 s37, vcc_lo, exec_lo
	s_delay_alu instid0(SALU_CYCLE_1)
	s_or_b32 s37, s0, s37
.LBB15_1168:
	s_mov_b32 s0, 0
.LBB15_1169:
	s_delay_alu instid0(SALU_CYCLE_1)
	s_and_not1_b32 vcc_lo, exec_lo, s0
	s_cbranch_vccnz .LBB15_1175
; %bb.1170:
	s_cmp_gt_i32 s34, 0
	s_mov_b32 s0, 0
	s_cbranch_scc0 .LBB15_1172
; %bb.1171:
	global_load_u8 v1, v[6:7], off
	s_wait_loadcnt 0x0
	v_cmp_ne_u16_e64 s37, 0, v1
	s_branch .LBB15_1173
.LBB15_1172:
	s_mov_b32 s0, -1
                                        ; implicit-def: $sgpr37
.LBB15_1173:
	s_delay_alu instid0(SALU_CYCLE_1)
	s_and_not1_b32 vcc_lo, exec_lo, s0
	s_cbranch_vccnz .LBB15_1175
; %bb.1174:
	global_load_u8 v1, v[6:7], off
	s_and_not1_b32 s0, s37, exec_lo
	s_wait_loadcnt 0x0
	v_cmp_ne_u16_e32 vcc_lo, 0, v1
	s_and_b32 s34, vcc_lo, exec_lo
	s_delay_alu instid0(SALU_CYCLE_1)
	s_or_b32 s37, s0, s34
.LBB15_1175:
	s_mov_b32 s58, -1
.LBB15_1176:
	s_mov_b32 s34, 0
	s_mov_b32 s0, s53
	s_and_not1_b32 vcc_lo, exec_lo, s58
	s_mov_b32 s58, s54
	s_mov_b32 s61, 0
	s_cbranch_vccnz .LBB15_1414
; %bb.1177:
	v_mov_b32_e32 v5, 0
	s_and_b32 s0, s43, 0xff
	s_delay_alu instid0(SALU_CYCLE_1) | instskip(NEXT) | instid1(VALU_DEP_1)
	s_cmp_lt_i32 s0, 11
	v_add_nc_u64_e32 v[4:5], s[10:11], v[4:5]
	s_cbranch_scc1 .LBB15_1184
; %bb.1178:
	s_and_b32 s36, 0xffff, s0
	s_delay_alu instid0(SALU_CYCLE_1)
	s_cmp_gt_i32 s36, 25
	s_cbranch_scc0 .LBB15_1185
; %bb.1179:
	s_cmp_gt_i32 s36, 28
	s_cbranch_scc0 .LBB15_1186
; %bb.1180:
	;; [unrolled: 3-line block ×4, first 2 shown]
	s_cmp_eq_u32 s36, 46
	s_cbranch_scc0 .LBB15_1193
; %bb.1183:
	global_load_b32 v1, v[4:5], off
	s_mov_b32 s58, 0
	s_mov_b32 s60, -1
	s_wait_loadcnt 0x0
	v_and_b32_e32 v1, 0x7fff7fff, v1
	s_delay_alu instid0(VALU_DEP_1)
	v_cmp_ne_u32_e64 s59, 0, v1
	s_branch .LBB15_1195
.LBB15_1184:
	s_mov_b32 s36, -1
	s_mov_b32 s60, 0
	s_mov_b32 s58, s54
                                        ; implicit-def: $sgpr59
	s_branch .LBB15_1242
.LBB15_1185:
	s_mov_b32 s61, -1
	s_mov_b32 s60, 0
	s_mov_b32 s58, s54
                                        ; implicit-def: $sgpr59
	s_branch .LBB15_1216
.LBB15_1186:
	s_mov_b32 s61, -1
	s_mov_b32 s60, 0
	s_mov_b32 s58, s54
                                        ; implicit-def: $sgpr59
	s_branch .LBB15_1203
.LBB15_1187:
	s_mov_b32 s61, -1
	s_mov_b32 s60, 0
	s_mov_b32 s58, s54
                                        ; implicit-def: $sgpr59
	s_branch .LBB15_1198
.LBB15_1188:
	s_mov_b32 s61, -1
	s_mov_b32 s60, 0
	s_mov_b32 s58, s54
	s_branch .LBB15_1194
.LBB15_1189:
	v_bfe_u32 v1, v4, 21, 1
	s_mov_b32 s49, exec_lo
	s_delay_alu instid0(VALU_DEP_1) | instskip(NEXT) | instid1(VALU_DEP_1)
	v_add3_u32 v1, v4, v1, 0x88fffff
                                        ; implicit-def: $vgpr4
	v_lshrrev_b32_e32 v1, 21, v1
	s_and_not1_saveexec_b32 s50, s50
	s_cbranch_execz .LBB15_389
.LBB15_1190:
	v_add_f32_e32 v1, 0x42800000, v4
	s_and_not1_b32 s49, s49, exec_lo
	s_delay_alu instid0(VALU_DEP_1) | instskip(NEXT) | instid1(VALU_DEP_1)
	v_and_b32_e32 v1, 0xff, v1
	v_cmp_ne_u32_e32 vcc_lo, 0, v1
	s_and_b32 s52, vcc_lo, exec_lo
	s_delay_alu instid0(SALU_CYCLE_1)
	s_or_b32 s49, s49, s52
	s_or_b32 exec_lo, exec_lo, s50
	v_mov_b32_e32 v5, 0
	s_and_saveexec_b32 s50, s49
	s_cbranch_execnz .LBB15_390
	s_branch .LBB15_391
.LBB15_1191:
	v_bfe_u32 v1, v4, 20, 1
	s_mov_b32 s54, exec_lo
	s_delay_alu instid0(VALU_DEP_1) | instskip(NEXT) | instid1(VALU_DEP_1)
	v_add3_u32 v1, v4, v1, 0x487ffff
                                        ; implicit-def: $vgpr4
	v_lshrrev_b32_e32 v1, 20, v1
	s_and_not1_saveexec_b32 s55, s55
	s_cbranch_execz .LBB15_850
.LBB15_1192:
	v_add_f32_e32 v1, 0x46000000, v4
	s_and_not1_b32 s54, s54, exec_lo
	s_delay_alu instid0(VALU_DEP_1) | instskip(NEXT) | instid1(VALU_DEP_1)
	v_and_b32_e32 v1, 0xff, v1
	v_cmp_ne_u32_e32 vcc_lo, 0, v1
	s_and_b32 s57, vcc_lo, exec_lo
	s_delay_alu instid0(SALU_CYCLE_1)
	s_or_b32 s54, s54, s57
	s_or_b32 exec_lo, exec_lo, s55
	v_mov_b32_e32 v5, 0
	s_and_saveexec_b32 s55, s54
	s_cbranch_execnz .LBB15_851
	s_branch .LBB15_852
.LBB15_1193:
	s_mov_b32 s58, -1
	s_mov_b32 s60, 0
.LBB15_1194:
                                        ; implicit-def: $sgpr59
.LBB15_1195:
	s_and_b32 vcc_lo, exec_lo, s61
	s_cbranch_vccz .LBB15_1197
; %bb.1196:
	s_cmp_eq_u32 s36, 44
	s_cselect_b32 s60, -1, 0
	s_or_b32 s59, s59, exec_lo
	s_or_b32 s58, s58, exec_lo
.LBB15_1197:
	s_mov_b32 s61, 0
.LBB15_1198:
	s_delay_alu instid0(SALU_CYCLE_1)
	s_and_b32 vcc_lo, exec_lo, s61
	s_cbranch_vccz .LBB15_1202
; %bb.1199:
	s_cmp_eq_u32 s36, 29
	s_cbranch_scc0 .LBB15_1201
; %bb.1200:
	global_load_b64 v[6:7], v[4:5], off
	s_mov_b32 s60, -1
	s_mov_b32 s58, 0
	s_mov_b32 s61, 0
	s_wait_loadcnt 0x0
	v_cmp_ne_u64_e64 s59, 0, v[6:7]
	s_branch .LBB15_1203
.LBB15_1201:
	s_mov_b32 s58, -1
                                        ; implicit-def: $sgpr59
.LBB15_1202:
	s_mov_b32 s61, 0
.LBB15_1203:
	s_delay_alu instid0(SALU_CYCLE_1)
	s_and_b32 vcc_lo, exec_lo, s61
	s_cbranch_vccz .LBB15_1215
; %bb.1204:
	s_cmp_lt_i32 s36, 27
	s_cbranch_scc1 .LBB15_1207
; %bb.1205:
	s_cmp_gt_i32 s36, 27
	s_cbranch_scc0 .LBB15_1208
; %bb.1206:
	global_load_b32 v1, v[4:5], off
	s_mov_b32 s60, 0
	s_wait_loadcnt 0x0
	v_cmp_ne_u32_e64 s59, 0, v1
	s_branch .LBB15_1209
.LBB15_1207:
	s_mov_b32 s60, -1
                                        ; implicit-def: $sgpr59
	s_branch .LBB15_1212
.LBB15_1208:
	s_mov_b32 s60, -1
                                        ; implicit-def: $sgpr59
.LBB15_1209:
	s_delay_alu instid0(SALU_CYCLE_1)
	s_and_not1_b32 vcc_lo, exec_lo, s60
	s_cbranch_vccnz .LBB15_1211
; %bb.1210:
	global_load_u16 v1, v[4:5], off
	s_and_not1_b32 s59, s59, exec_lo
	s_wait_loadcnt 0x0
	v_cmp_ne_u16_e32 vcc_lo, 0, v1
	s_and_b32 s60, vcc_lo, exec_lo
	s_delay_alu instid0(SALU_CYCLE_1)
	s_or_b32 s59, s59, s60
.LBB15_1211:
	s_mov_b32 s60, 0
.LBB15_1212:
	s_delay_alu instid0(SALU_CYCLE_1)
	s_and_not1_b32 vcc_lo, exec_lo, s60
	s_cbranch_vccnz .LBB15_1214
; %bb.1213:
	global_load_u8 v1, v[4:5], off
	s_and_not1_b32 s59, s59, exec_lo
	s_wait_loadcnt 0x0
	v_cmp_ne_u16_e32 vcc_lo, 0, v1
	s_and_b32 s60, vcc_lo, exec_lo
	s_delay_alu instid0(SALU_CYCLE_1)
	s_or_b32 s59, s59, s60
.LBB15_1214:
	s_mov_b32 s60, -1
.LBB15_1215:
	s_mov_b32 s61, 0
.LBB15_1216:
	s_delay_alu instid0(SALU_CYCLE_1)
	s_and_b32 vcc_lo, exec_lo, s61
	s_cbranch_vccz .LBB15_1241
; %bb.1217:
	s_cmp_gt_i32 s36, 22
	s_cbranch_scc0 .LBB15_1221
; %bb.1218:
	s_cmp_lt_i32 s36, 24
	s_cbranch_scc1 .LBB15_1222
; %bb.1219:
	s_cmp_gt_i32 s36, 24
	s_cbranch_scc0 .LBB15_1223
; %bb.1220:
	global_load_u8 v1, v[4:5], off
	s_mov_b32 s60, 0
	s_wait_loadcnt 0x0
	v_cmp_ne_u16_e64 s59, 0, v1
	s_branch .LBB15_1224
.LBB15_1221:
	s_mov_b32 s61, -1
                                        ; implicit-def: $sgpr59
	s_branch .LBB15_1230
.LBB15_1222:
	s_mov_b32 s60, -1
                                        ; implicit-def: $sgpr59
	s_branch .LBB15_1227
.LBB15_1223:
	s_mov_b32 s60, -1
                                        ; implicit-def: $sgpr59
.LBB15_1224:
	s_delay_alu instid0(SALU_CYCLE_1)
	s_and_not1_b32 vcc_lo, exec_lo, s60
	s_cbranch_vccnz .LBB15_1226
; %bb.1225:
	global_load_u8 v1, v[4:5], off
	s_and_not1_b32 s59, s59, exec_lo
	s_wait_loadcnt 0x0
	v_and_b32_e32 v1, 0x7f, v1
	s_delay_alu instid0(VALU_DEP_1) | instskip(SKIP_1) | instid1(SALU_CYCLE_1)
	v_cmp_ne_u16_e32 vcc_lo, 0, v1
	s_and_b32 s60, vcc_lo, exec_lo
	s_or_b32 s59, s59, s60
.LBB15_1226:
	s_mov_b32 s60, 0
.LBB15_1227:
	s_delay_alu instid0(SALU_CYCLE_1)
	s_and_not1_b32 vcc_lo, exec_lo, s60
	s_cbranch_vccnz .LBB15_1229
; %bb.1228:
	global_load_u8 v1, v[4:5], off
	s_and_not1_b32 s59, s59, exec_lo
	s_wait_loadcnt 0x0
	v_dual_lshlrev_b32 v3, 25, v1 :: v_dual_lshlrev_b32 v1, 8, v1
	s_delay_alu instid0(VALU_DEP_1) | instskip(NEXT) | instid1(VALU_DEP_2)
	v_cmp_gt_u32_e32 vcc_lo, 0x8000000, v3
	v_and_or_b32 v1, 0x7f00, v1, 0.5
	s_wait_xcnt 0x1
	s_delay_alu instid0(VALU_DEP_1) | instskip(NEXT) | instid1(VALU_DEP_1)
	v_dual_add_f32 v1, -0.5, v1 :: v_dual_lshrrev_b32 v6, 4, v3
	v_or_b32_e32 v6, 0x70000000, v6
	s_delay_alu instid0(VALU_DEP_1) | instskip(NEXT) | instid1(VALU_DEP_1)
	v_mul_f32_e32 v6, 0x7800000, v6
	v_cndmask_b32_e32 v1, v6, v1, vcc_lo
	s_delay_alu instid0(VALU_DEP_1) | instskip(SKIP_1) | instid1(SALU_CYCLE_1)
	v_cmp_neq_f32_e32 vcc_lo, 0, v1
	s_and_b32 s60, vcc_lo, exec_lo
	s_or_b32 s59, s59, s60
.LBB15_1229:
	s_mov_b32 s61, 0
	s_mov_b32 s60, -1
.LBB15_1230:
	s_and_not1_b32 vcc_lo, exec_lo, s61
	s_cbranch_vccnz .LBB15_1241
; %bb.1231:
	s_cmp_gt_i32 s36, 14
	s_cbranch_scc0 .LBB15_1234
; %bb.1232:
	s_cmp_eq_u32 s36, 15
	s_cbranch_scc0 .LBB15_1235
; %bb.1233:
	global_load_u16 v1, v[4:5], off
	s_mov_b32 s58, 0
	s_mov_b32 s60, -1
	s_wait_loadcnt 0x0
	v_and_b32_e32 v1, 0x7fff, v1
	s_delay_alu instid0(VALU_DEP_1)
	v_cmp_ne_u16_e64 s59, 0, v1
	s_branch .LBB15_1236
.LBB15_1234:
	s_mov_b32 s61, -1
                                        ; implicit-def: $sgpr59
	s_branch .LBB15_1237
.LBB15_1235:
	s_mov_b32 s58, -1
                                        ; implicit-def: $sgpr59
.LBB15_1236:
	s_mov_b32 s61, 0
.LBB15_1237:
	s_delay_alu instid0(SALU_CYCLE_1)
	s_and_b32 vcc_lo, exec_lo, s61
	s_cbranch_vccz .LBB15_1241
; %bb.1238:
	s_cmp_eq_u32 s36, 11
	s_cbranch_scc0 .LBB15_1240
; %bb.1239:
	global_load_u8 v1, v[4:5], off
	s_mov_b32 s58, 0
	s_mov_b32 s60, -1
	s_wait_loadcnt 0x0
	v_cmp_ne_u16_e64 s59, 0, v1
	s_branch .LBB15_1241
.LBB15_1240:
	s_mov_b32 s58, -1
                                        ; implicit-def: $sgpr59
.LBB15_1241:
	s_mov_b32 s36, 0
.LBB15_1242:
	s_delay_alu instid0(SALU_CYCLE_1)
	s_and_b32 vcc_lo, exec_lo, s36
	s_cbranch_vccz .LBB15_1291
; %bb.1243:
	s_and_b32 s36, 0xffff, s0
	s_delay_alu instid0(SALU_CYCLE_1)
	s_cmp_lt_i32 s36, 5
	s_cbranch_scc1 .LBB15_1248
; %bb.1244:
	s_cmp_lt_i32 s36, 8
	s_cbranch_scc1 .LBB15_1249
; %bb.1245:
	;; [unrolled: 3-line block ×3, first 2 shown]
	s_cmp_gt_i32 s36, 9
	s_cbranch_scc0 .LBB15_1251
; %bb.1247:
	global_load_b128 v[6:9], v[4:5], off
	s_wait_loadcnt 0x0
	v_cmp_neq_f64_e32 vcc_lo, 0, v[6:7]
	v_cmp_neq_f64_e64 s0, 0, v[8:9]
	s_or_b32 s59, vcc_lo, s0
	s_mov_b32 s0, 0
	s_branch .LBB15_1252
.LBB15_1248:
	s_mov_b32 s0, -1
                                        ; implicit-def: $sgpr59
	s_branch .LBB15_1270
.LBB15_1249:
	s_mov_b32 s0, -1
                                        ; implicit-def: $sgpr59
	s_branch .LBB15_1258
.LBB15_1250:
	s_mov_b32 s0, -1
                                        ; implicit-def: $sgpr59
	s_branch .LBB15_1255
.LBB15_1251:
	s_mov_b32 s0, -1
                                        ; implicit-def: $sgpr59
.LBB15_1252:
	s_delay_alu instid0(SALU_CYCLE_1)
	s_and_not1_b32 vcc_lo, exec_lo, s0
	s_cbranch_vccnz .LBB15_1254
; %bb.1253:
	global_load_b64 v[6:7], v[4:5], off
	s_and_not1_b32 s0, s59, exec_lo
	s_wait_loadcnt 0x0
	v_bitop3_b32 v1, v6, 0x7fffffff, v7 bitop3:0xc8
	s_delay_alu instid0(VALU_DEP_1) | instskip(SKIP_1) | instid1(SALU_CYCLE_1)
	v_cmp_ne_u32_e32 vcc_lo, 0, v1
	s_and_b32 s59, vcc_lo, exec_lo
	s_or_b32 s59, s0, s59
.LBB15_1254:
	s_mov_b32 s0, 0
.LBB15_1255:
	s_delay_alu instid0(SALU_CYCLE_1)
	s_and_not1_b32 vcc_lo, exec_lo, s0
	s_cbranch_vccnz .LBB15_1257
; %bb.1256:
	global_load_b32 v1, v[4:5], off
	s_and_not1_b32 s0, s59, exec_lo
	s_wait_loadcnt 0x0
	v_and_b32_e32 v1, 0x7fff7fff, v1
	s_delay_alu instid0(VALU_DEP_1) | instskip(SKIP_1) | instid1(SALU_CYCLE_1)
	v_cmp_ne_u32_e32 vcc_lo, 0, v1
	s_and_b32 s59, vcc_lo, exec_lo
	s_or_b32 s59, s0, s59
.LBB15_1257:
	s_mov_b32 s0, 0
.LBB15_1258:
	s_delay_alu instid0(SALU_CYCLE_1)
	s_and_not1_b32 vcc_lo, exec_lo, s0
	s_cbranch_vccnz .LBB15_1269
; %bb.1259:
	s_cmp_lt_i32 s36, 6
	s_cbranch_scc1 .LBB15_1262
; %bb.1260:
	s_cmp_gt_i32 s36, 6
	s_cbranch_scc0 .LBB15_1263
; %bb.1261:
	global_load_b64 v[6:7], v[4:5], off
	s_mov_b32 s0, 0
	s_wait_loadcnt 0x0
	v_cmp_neq_f64_e64 s59, 0, v[6:7]
	s_branch .LBB15_1264
.LBB15_1262:
	s_mov_b32 s0, -1
                                        ; implicit-def: $sgpr59
	s_branch .LBB15_1267
.LBB15_1263:
	s_mov_b32 s0, -1
                                        ; implicit-def: $sgpr59
.LBB15_1264:
	s_delay_alu instid0(SALU_CYCLE_1)
	s_and_not1_b32 vcc_lo, exec_lo, s0
	s_cbranch_vccnz .LBB15_1266
; %bb.1265:
	global_load_b32 v1, v[4:5], off
	s_and_not1_b32 s0, s59, exec_lo
	s_wait_loadcnt 0x0
	v_cmp_neq_f32_e32 vcc_lo, 0, v1
	s_and_b32 s59, vcc_lo, exec_lo
	s_delay_alu instid0(SALU_CYCLE_1)
	s_or_b32 s59, s0, s59
.LBB15_1266:
	s_mov_b32 s0, 0
.LBB15_1267:
	s_delay_alu instid0(SALU_CYCLE_1)
	s_and_not1_b32 vcc_lo, exec_lo, s0
	s_cbranch_vccnz .LBB15_1269
; %bb.1268:
	global_load_u16 v1, v[4:5], off
	s_and_not1_b32 s0, s59, exec_lo
	s_wait_loadcnt 0x0
	v_and_b32_e32 v1, 0x7fff, v1
	s_delay_alu instid0(VALU_DEP_1) | instskip(SKIP_1) | instid1(SALU_CYCLE_1)
	v_cmp_ne_u16_e32 vcc_lo, 0, v1
	s_and_b32 s59, vcc_lo, exec_lo
	s_or_b32 s59, s0, s59
.LBB15_1269:
	s_mov_b32 s0, 0
.LBB15_1270:
	s_delay_alu instid0(SALU_CYCLE_1)
	s_and_not1_b32 vcc_lo, exec_lo, s0
	s_cbranch_vccnz .LBB15_1290
; %bb.1271:
	s_cmp_lt_i32 s36, 2
	s_cbranch_scc1 .LBB15_1275
; %bb.1272:
	s_cmp_lt_i32 s36, 3
	s_cbranch_scc1 .LBB15_1276
; %bb.1273:
	s_cmp_gt_i32 s36, 3
	s_cbranch_scc0 .LBB15_1277
; %bb.1274:
	global_load_b64 v[6:7], v[4:5], off
	s_mov_b32 s0, 0
	s_wait_loadcnt 0x0
	v_cmp_ne_u64_e64 s59, 0, v[6:7]
	s_branch .LBB15_1278
.LBB15_1275:
	s_mov_b32 s0, -1
                                        ; implicit-def: $sgpr59
	s_branch .LBB15_1284
.LBB15_1276:
	s_mov_b32 s0, -1
                                        ; implicit-def: $sgpr59
	s_branch .LBB15_1281
.LBB15_1277:
	s_mov_b32 s0, -1
                                        ; implicit-def: $sgpr59
.LBB15_1278:
	s_delay_alu instid0(SALU_CYCLE_1)
	s_and_not1_b32 vcc_lo, exec_lo, s0
	s_cbranch_vccnz .LBB15_1280
; %bb.1279:
	global_load_b32 v1, v[4:5], off
	s_and_not1_b32 s0, s59, exec_lo
	s_wait_loadcnt 0x0
	v_cmp_ne_u32_e32 vcc_lo, 0, v1
	s_and_b32 s59, vcc_lo, exec_lo
	s_delay_alu instid0(SALU_CYCLE_1)
	s_or_b32 s59, s0, s59
.LBB15_1280:
	s_mov_b32 s0, 0
.LBB15_1281:
	s_delay_alu instid0(SALU_CYCLE_1)
	s_and_not1_b32 vcc_lo, exec_lo, s0
	s_cbranch_vccnz .LBB15_1283
; %bb.1282:
	global_load_u16 v1, v[4:5], off
	s_and_not1_b32 s0, s59, exec_lo
	s_wait_loadcnt 0x0
	v_cmp_ne_u16_e32 vcc_lo, 0, v1
	s_and_b32 s59, vcc_lo, exec_lo
	s_delay_alu instid0(SALU_CYCLE_1)
	s_or_b32 s59, s0, s59
.LBB15_1283:
	s_mov_b32 s0, 0
.LBB15_1284:
	s_delay_alu instid0(SALU_CYCLE_1)
	s_and_not1_b32 vcc_lo, exec_lo, s0
	s_cbranch_vccnz .LBB15_1290
; %bb.1285:
	s_cmp_gt_i32 s36, 0
	s_mov_b32 s0, 0
	s_cbranch_scc0 .LBB15_1287
; %bb.1286:
	global_load_u8 v1, v[4:5], off
	s_wait_loadcnt 0x0
	v_cmp_ne_u16_e64 s59, 0, v1
	s_branch .LBB15_1288
.LBB15_1287:
	s_mov_b32 s0, -1
                                        ; implicit-def: $sgpr59
.LBB15_1288:
	s_delay_alu instid0(SALU_CYCLE_1)
	s_and_not1_b32 vcc_lo, exec_lo, s0
	s_cbranch_vccnz .LBB15_1290
; %bb.1289:
	global_load_u8 v1, v[4:5], off
	s_and_not1_b32 s0, s59, exec_lo
	s_wait_loadcnt 0x0
	v_cmp_ne_u16_e32 vcc_lo, 0, v1
	s_and_b32 s36, vcc_lo, exec_lo
	s_delay_alu instid0(SALU_CYCLE_1)
	s_or_b32 s59, s0, s36
.LBB15_1290:
	s_mov_b32 s60, -1
.LBB15_1291:
	s_mov_b32 s36, 0
	s_and_not1_b32 vcc_lo, exec_lo, s60
	s_mov_b32 s0, s53
	s_mov_b32 s61, 0
	s_cbranch_vccnz .LBB15_1414
; %bb.1292:
	v_mov_b32_e32 v3, 0
	s_and_b32 s0, s35, s27
	s_delay_alu instid0(VALU_DEP_2)
	s_and_b32 s35, s37, s59
	s_and_b32 s37, s42, 0xff
	;; [unrolled: 1-line block ×3, first 2 shown]
	v_add_nc_u64_e32 v[2:3], s[4:5], v[2:3]
	s_or_b32 s35, s0, s35
	s_cmp_lt_i32 s37, 11
	s_cbranch_scc1 .LBB15_1299
; %bb.1293:
	s_and_b32 s58, 0xffff, s37
	s_delay_alu instid0(SALU_CYCLE_1)
	s_cmp_gt_i32 s58, 25
	s_cbranch_scc0 .LBB15_1300
; %bb.1294:
	s_cmp_gt_i32 s58, 28
	s_cbranch_scc0 .LBB15_1301
; %bb.1295:
	;; [unrolled: 3-line block ×4, first 2 shown]
	s_mov_b32 s60, 0
	s_mov_b32 s0, -1
	s_cmp_eq_u32 s58, 46
	s_mov_b32 s59, 0
	s_cbranch_scc0 .LBB15_1304
; %bb.1298:
	v_cndmask_b32_e64 v1, 0, 1.0, s35
	s_mov_b32 s59, -1
	s_mov_b32 s0, 0
	s_wait_xcnt 0x0
	s_delay_alu instid0(VALU_DEP_1) | instskip(NEXT) | instid1(VALU_DEP_1)
	v_bfe_u32 v4, v1, 16, 1
	v_add3_u32 v1, v1, v4, 0x7fff
	s_delay_alu instid0(VALU_DEP_1)
	v_lshrrev_b32_e32 v1, 16, v1
	global_store_b32 v[2:3], v1, off
	s_branch .LBB15_1304
.LBB15_1299:
	s_mov_b32 s58, -1
	s_mov_b32 s59, 0
	s_mov_b32 s0, s53
	s_branch .LBB15_1373
.LBB15_1300:
	s_mov_b32 s60, -1
	s_mov_b32 s59, 0
	s_mov_b32 s0, s53
	s_branch .LBB15_1331
.LBB15_1301:
	s_mov_b32 s60, -1
	s_mov_b32 s59, 0
	s_mov_b32 s0, s53
	s_branch .LBB15_1314
.LBB15_1302:
	s_mov_b32 s60, -1
	s_mov_b32 s59, 0
	s_mov_b32 s0, s53
	s_branch .LBB15_1310
.LBB15_1303:
	s_mov_b32 s60, -1
	s_mov_b32 s59, 0
	s_mov_b32 s0, s53
.LBB15_1304:
	s_and_b32 vcc_lo, exec_lo, s60
	s_cbranch_vccz .LBB15_1309
; %bb.1305:
	s_cmp_eq_u32 s58, 44
	s_mov_b32 s0, -1
	s_cbranch_scc0 .LBB15_1309
; %bb.1306:
	s_wait_xcnt 0x0
	v_cndmask_b32_e64 v5, 0, 1.0, s35
	s_mov_b32 s59, exec_lo
	s_delay_alu instid0(VALU_DEP_1) | instskip(NEXT) | instid1(VALU_DEP_1)
	v_dual_mov_b32 v4, 0xff :: v_dual_lshrrev_b32 v1, 23, v5
	v_cmpx_ne_u32_e32 0xff, v1
; %bb.1307:
	v_and_b32_e32 v4, 0x400000, v5
	v_and_or_b32 v5, 0x3fffff, v5, v1
	s_delay_alu instid0(VALU_DEP_2) | instskip(NEXT) | instid1(VALU_DEP_2)
	v_cmp_ne_u32_e32 vcc_lo, 0, v4
	v_cmp_ne_u32_e64 s0, 0, v5
	s_and_b32 s0, vcc_lo, s0
	s_delay_alu instid0(SALU_CYCLE_1) | instskip(NEXT) | instid1(VALU_DEP_1)
	v_cndmask_b32_e64 v4, 0, 1, s0
	v_add_nc_u32_e32 v4, v1, v4
; %bb.1308:
	s_or_b32 exec_lo, exec_lo, s59
	s_mov_b32 s59, -1
	s_mov_b32 s0, 0
	global_store_b8 v[2:3], v4, off
.LBB15_1309:
	s_mov_b32 s60, 0
.LBB15_1310:
	s_delay_alu instid0(SALU_CYCLE_1)
	s_and_b32 vcc_lo, exec_lo, s60
	s_cbranch_vccz .LBB15_1313
; %bb.1311:
	s_cmp_eq_u32 s58, 29
	s_mov_b32 s0, -1
	s_cbranch_scc0 .LBB15_1313
; %bb.1312:
	s_mov_b32 s0, 0
	s_wait_xcnt 0x0
	v_cndmask_b32_e64 v4, 0, 1, s35
	v_mov_b32_e32 v5, s0
	s_mov_b32 s59, -1
	s_mov_b32 s60, 0
	global_store_b64 v[2:3], v[4:5], off
	s_branch .LBB15_1314
.LBB15_1313:
	s_mov_b32 s60, 0
.LBB15_1314:
	s_delay_alu instid0(SALU_CYCLE_1)
	s_and_b32 vcc_lo, exec_lo, s60
	s_cbranch_vccz .LBB15_1330
; %bb.1315:
	s_cmp_lt_i32 s58, 27
	s_mov_b32 s59, -1
	s_cbranch_scc1 .LBB15_1321
; %bb.1316:
	s_cmp_gt_i32 s58, 27
	s_cbranch_scc0 .LBB15_1318
; %bb.1317:
	s_wait_xcnt 0x0
	v_cndmask_b32_e64 v1, 0, 1, s35
	s_mov_b32 s59, 0
	global_store_b32 v[2:3], v1, off
.LBB15_1318:
	s_and_not1_b32 vcc_lo, exec_lo, s59
	s_cbranch_vccnz .LBB15_1320
; %bb.1319:
	s_wait_xcnt 0x0
	v_cndmask_b32_e64 v1, 0, 1, s35
	global_store_b16 v[2:3], v1, off
.LBB15_1320:
	s_mov_b32 s59, 0
.LBB15_1321:
	s_delay_alu instid0(SALU_CYCLE_1)
	s_and_not1_b32 vcc_lo, exec_lo, s59
	s_cbranch_vccnz .LBB15_1329
; %bb.1322:
	s_wait_xcnt 0x0
	v_cndmask_b32_e64 v4, 0, 1.0, s35
	v_mov_b32_e32 v5, 0x80
	s_mov_b32 s59, exec_lo
	s_delay_alu instid0(VALU_DEP_2)
	v_cmpx_gt_u32_e32 0x43800000, v4
	s_cbranch_execz .LBB15_1328
; %bb.1323:
	s_mov_b32 s60, 0
	s_mov_b32 s61, exec_lo
                                        ; implicit-def: $vgpr1
	v_cmpx_lt_u32_e32 0x3bffffff, v4
	s_xor_b32 s61, exec_lo, s61
	s_cbranch_execnz .LBB15_2610
; %bb.1324:
	s_and_not1_saveexec_b32 s61, s61
	s_cbranch_execnz .LBB15_2611
.LBB15_1325:
	s_or_b32 exec_lo, exec_lo, s61
	v_mov_b32_e32 v5, 0
	s_and_saveexec_b32 s61, s60
.LBB15_1326:
	v_mov_b32_e32 v5, v1
.LBB15_1327:
	s_or_b32 exec_lo, exec_lo, s61
.LBB15_1328:
	s_delay_alu instid0(SALU_CYCLE_1)
	s_or_b32 exec_lo, exec_lo, s59
	global_store_b8 v[2:3], v5, off
.LBB15_1329:
	s_mov_b32 s59, -1
.LBB15_1330:
	s_mov_b32 s60, 0
.LBB15_1331:
	s_delay_alu instid0(SALU_CYCLE_1)
	s_and_b32 vcc_lo, exec_lo, s60
	s_cbranch_vccz .LBB15_1372
; %bb.1332:
	s_cmp_gt_i32 s58, 22
	s_mov_b32 s60, -1
	s_cbranch_scc0 .LBB15_1364
; %bb.1333:
	s_cmp_lt_i32 s58, 24
	s_mov_b32 s59, -1
	s_cbranch_scc1 .LBB15_1353
; %bb.1334:
	s_cmp_gt_i32 s58, 24
	s_cbranch_scc0 .LBB15_1342
; %bb.1335:
	s_wait_xcnt 0x0
	v_cndmask_b32_e64 v4, 0, 1.0, s35
	v_mov_b32_e32 v5, 0x80
	s_mov_b32 s59, exec_lo
	s_delay_alu instid0(VALU_DEP_2)
	v_cmpx_gt_u32_e32 0x47800000, v4
	s_cbranch_execz .LBB15_1341
; %bb.1336:
	s_mov_b32 s60, 0
	s_mov_b32 s61, exec_lo
                                        ; implicit-def: $vgpr1
	v_cmpx_lt_u32_e32 0x37ffffff, v4
	s_xor_b32 s61, exec_lo, s61
	s_cbranch_execnz .LBB15_2725
; %bb.1337:
	s_and_not1_saveexec_b32 s61, s61
	s_cbranch_execnz .LBB15_2726
.LBB15_1338:
	s_or_b32 exec_lo, exec_lo, s61
	v_mov_b32_e32 v5, 0
	s_and_saveexec_b32 s61, s60
.LBB15_1339:
	v_mov_b32_e32 v5, v1
.LBB15_1340:
	s_or_b32 exec_lo, exec_lo, s61
.LBB15_1341:
	s_delay_alu instid0(SALU_CYCLE_1)
	s_or_b32 exec_lo, exec_lo, s59
	s_mov_b32 s59, 0
	global_store_b8 v[2:3], v5, off
.LBB15_1342:
	s_and_b32 vcc_lo, exec_lo, s59
	s_cbranch_vccz .LBB15_1352
; %bb.1343:
	s_wait_xcnt 0x0
	v_cndmask_b32_e64 v4, 0, 1.0, s35
	s_mov_b32 s59, exec_lo
                                        ; implicit-def: $vgpr1
	s_delay_alu instid0(VALU_DEP_1)
	v_cmpx_gt_u32_e32 0x43f00000, v4
	s_xor_b32 s59, exec_lo, s59
	s_cbranch_execz .LBB15_1349
; %bb.1344:
	s_mov_b32 s60, exec_lo
                                        ; implicit-def: $vgpr1
	v_cmpx_lt_u32_e32 0x3c7fffff, v4
	s_xor_b32 s60, exec_lo, s60
; %bb.1345:
	v_bfe_u32 v1, v4, 20, 1
	s_delay_alu instid0(VALU_DEP_1) | instskip(NEXT) | instid1(VALU_DEP_1)
	v_add3_u32 v1, v4, v1, 0x407ffff
	v_and_b32_e32 v4, 0xff00000, v1
	v_lshrrev_b32_e32 v1, 20, v1
	s_delay_alu instid0(VALU_DEP_2) | instskip(NEXT) | instid1(VALU_DEP_2)
	v_cmp_ne_u32_e32 vcc_lo, 0x7f00000, v4
                                        ; implicit-def: $vgpr4
	v_cndmask_b32_e32 v1, 0x7e, v1, vcc_lo
; %bb.1346:
	s_and_not1_saveexec_b32 s60, s60
; %bb.1347:
	v_add_f32_e32 v1, 0x46800000, v4
; %bb.1348:
	s_or_b32 exec_lo, exec_lo, s60
                                        ; implicit-def: $vgpr4
.LBB15_1349:
	s_and_not1_saveexec_b32 s59, s59
; %bb.1350:
	v_mov_b32_e32 v1, 0x7f
	v_cmp_lt_u32_e32 vcc_lo, 0x7f800000, v4
	s_delay_alu instid0(VALU_DEP_2)
	v_cndmask_b32_e32 v1, 0x7e, v1, vcc_lo
; %bb.1351:
	s_or_b32 exec_lo, exec_lo, s59
	global_store_b8 v[2:3], v1, off
.LBB15_1352:
	s_mov_b32 s59, 0
.LBB15_1353:
	s_delay_alu instid0(SALU_CYCLE_1)
	s_and_not1_b32 vcc_lo, exec_lo, s59
	s_cbranch_vccnz .LBB15_1363
; %bb.1354:
	s_wait_xcnt 0x0
	v_cndmask_b32_e64 v4, 0, 1.0, s35
	s_mov_b32 s59, exec_lo
                                        ; implicit-def: $vgpr1
	s_delay_alu instid0(VALU_DEP_1)
	v_cmpx_gt_u32_e32 0x47800000, v4
	s_xor_b32 s59, exec_lo, s59
	s_cbranch_execz .LBB15_1360
; %bb.1355:
	s_mov_b32 s60, exec_lo
                                        ; implicit-def: $vgpr1
	v_cmpx_lt_u32_e32 0x387fffff, v4
	s_xor_b32 s60, exec_lo, s60
; %bb.1356:
	v_bfe_u32 v1, v4, 21, 1
	s_delay_alu instid0(VALU_DEP_1) | instskip(NEXT) | instid1(VALU_DEP_1)
	v_add3_u32 v1, v4, v1, 0x80fffff
                                        ; implicit-def: $vgpr4
	v_lshrrev_b32_e32 v1, 21, v1
; %bb.1357:
	s_and_not1_saveexec_b32 s60, s60
; %bb.1358:
	v_add_f32_e32 v1, 0x43000000, v4
; %bb.1359:
	s_or_b32 exec_lo, exec_lo, s60
                                        ; implicit-def: $vgpr4
.LBB15_1360:
	s_and_not1_saveexec_b32 s59, s59
; %bb.1361:
	v_mov_b32_e32 v1, 0x7f
	v_cmp_lt_u32_e32 vcc_lo, 0x7f800000, v4
	s_delay_alu instid0(VALU_DEP_2)
	v_cndmask_b32_e32 v1, 0x7c, v1, vcc_lo
; %bb.1362:
	s_or_b32 exec_lo, exec_lo, s59
	global_store_b8 v[2:3], v1, off
.LBB15_1363:
	s_mov_b32 s60, 0
	s_mov_b32 s59, -1
.LBB15_1364:
	s_and_not1_b32 vcc_lo, exec_lo, s60
	s_cbranch_vccnz .LBB15_1372
; %bb.1365:
	s_cmp_gt_i32 s58, 14
	s_mov_b32 s60, -1
	s_cbranch_scc0 .LBB15_1369
; %bb.1366:
	s_cmp_eq_u32 s58, 15
	s_mov_b32 s0, -1
	s_cbranch_scc0 .LBB15_1368
; %bb.1367:
	s_wait_xcnt 0x0
	v_cndmask_b32_e64 v1, 0, 1.0, s35
	s_mov_b32 s59, -1
	s_mov_b32 s0, 0
	s_delay_alu instid0(VALU_DEP_1) | instskip(NEXT) | instid1(VALU_DEP_1)
	v_bfe_u32 v4, v1, 16, 1
	v_add3_u32 v1, v1, v4, 0x7fff
	global_store_d16_hi_b16 v[2:3], v1, off
.LBB15_1368:
	s_mov_b32 s60, 0
.LBB15_1369:
	s_delay_alu instid0(SALU_CYCLE_1)
	s_and_b32 vcc_lo, exec_lo, s60
	s_cbranch_vccz .LBB15_1372
; %bb.1370:
	s_cmp_eq_u32 s58, 11
	s_mov_b32 s0, -1
	s_cbranch_scc0 .LBB15_1372
; %bb.1371:
	s_wait_xcnt 0x0
	v_cndmask_b32_e64 v1, 0, 1, s35
	s_mov_b32 s59, -1
	s_mov_b32 s0, 0
	global_store_b8 v[2:3], v1, off
.LBB15_1372:
	s_mov_b32 s58, 0
.LBB15_1373:
	s_delay_alu instid0(SALU_CYCLE_1)
	s_and_b32 vcc_lo, exec_lo, s58
	s_cbranch_vccz .LBB15_1412
; %bb.1374:
	s_and_b32 s37, 0xffff, s37
	s_mov_b32 s58, -1
	s_cmp_lt_i32 s37, 5
	s_cbranch_scc1 .LBB15_1395
; %bb.1375:
	s_cmp_lt_i32 s37, 8
	s_cbranch_scc1 .LBB15_1385
; %bb.1376:
	;; [unrolled: 3-line block ×3, first 2 shown]
	s_cmp_gt_i32 s37, 9
	s_cbranch_scc0 .LBB15_1379
; %bb.1378:
	s_wait_xcnt 0x0
	v_cndmask_b32_e64 v1, 0, 1, s35
	v_mov_b32_e32 v6, 0
	s_mov_b32 s58, 0
	s_delay_alu instid0(VALU_DEP_2) | instskip(NEXT) | instid1(VALU_DEP_2)
	v_cvt_f64_u32_e32 v[4:5], v1
	v_mov_b32_e32 v7, v6
	global_store_b128 v[2:3], v[4:7], off
.LBB15_1379:
	s_and_not1_b32 vcc_lo, exec_lo, s58
	s_cbranch_vccnz .LBB15_1381
; %bb.1380:
	s_wait_xcnt 0x0
	v_cndmask_b32_e64 v4, 0, 1.0, s35
	v_mov_b32_e32 v5, 0
	global_store_b64 v[2:3], v[4:5], off
.LBB15_1381:
	s_mov_b32 s58, 0
.LBB15_1382:
	s_delay_alu instid0(SALU_CYCLE_1)
	s_and_not1_b32 vcc_lo, exec_lo, s58
	s_cbranch_vccnz .LBB15_1384
; %bb.1383:
	s_wait_xcnt 0x0
	v_cndmask_b32_e64 v1, 0, 1.0, s35
	s_delay_alu instid0(VALU_DEP_1) | instskip(NEXT) | instid1(VALU_DEP_1)
	v_cvt_f16_f32_e32 v1, v1
	v_and_b32_e32 v1, 0xffff, v1
	global_store_b32 v[2:3], v1, off
.LBB15_1384:
	s_mov_b32 s58, 0
.LBB15_1385:
	s_delay_alu instid0(SALU_CYCLE_1)
	s_and_not1_b32 vcc_lo, exec_lo, s58
	s_cbranch_vccnz .LBB15_1394
; %bb.1386:
	s_cmp_lt_i32 s37, 6
	s_mov_b32 s58, -1
	s_cbranch_scc1 .LBB15_1392
; %bb.1387:
	s_cmp_gt_i32 s37, 6
	s_cbranch_scc0 .LBB15_1389
; %bb.1388:
	s_wait_xcnt 0x0
	v_cndmask_b32_e64 v1, 0, 1, s35
	s_mov_b32 s58, 0
	s_delay_alu instid0(VALU_DEP_1)
	v_cvt_f64_u32_e32 v[4:5], v1
	global_store_b64 v[2:3], v[4:5], off
.LBB15_1389:
	s_and_not1_b32 vcc_lo, exec_lo, s58
	s_cbranch_vccnz .LBB15_1391
; %bb.1390:
	s_wait_xcnt 0x0
	v_cndmask_b32_e64 v1, 0, 1.0, s35
	global_store_b32 v[2:3], v1, off
.LBB15_1391:
	s_mov_b32 s58, 0
.LBB15_1392:
	s_delay_alu instid0(SALU_CYCLE_1)
	s_and_not1_b32 vcc_lo, exec_lo, s58
	s_cbranch_vccnz .LBB15_1394
; %bb.1393:
	s_wait_xcnt 0x0
	v_cndmask_b32_e64 v1, 0, 1.0, s35
	s_delay_alu instid0(VALU_DEP_1)
	v_cvt_f16_f32_e32 v1, v1
	global_store_b16 v[2:3], v1, off
.LBB15_1394:
	s_mov_b32 s58, 0
.LBB15_1395:
	s_delay_alu instid0(SALU_CYCLE_1)
	s_and_not1_b32 vcc_lo, exec_lo, s58
	s_cbranch_vccnz .LBB15_1411
; %bb.1396:
	s_cmp_lt_i32 s37, 2
	s_mov_b32 s58, -1
	s_cbranch_scc1 .LBB15_1406
; %bb.1397:
	s_cmp_lt_i32 s37, 3
	s_cbranch_scc1 .LBB15_1403
; %bb.1398:
	s_cmp_gt_i32 s37, 3
	s_cbranch_scc0 .LBB15_1400
; %bb.1399:
	s_mov_b32 s58, 0
	s_wait_xcnt 0x0
	v_cndmask_b32_e64 v4, 0, 1, s35
	v_mov_b32_e32 v5, s58
	global_store_b64 v[2:3], v[4:5], off
.LBB15_1400:
	s_and_not1_b32 vcc_lo, exec_lo, s58
	s_cbranch_vccnz .LBB15_1402
; %bb.1401:
	s_wait_xcnt 0x0
	v_cndmask_b32_e64 v1, 0, 1, s35
	global_store_b32 v[2:3], v1, off
.LBB15_1402:
	s_mov_b32 s58, 0
.LBB15_1403:
	s_delay_alu instid0(SALU_CYCLE_1)
	s_and_not1_b32 vcc_lo, exec_lo, s58
	s_cbranch_vccnz .LBB15_1405
; %bb.1404:
	s_wait_xcnt 0x0
	v_cndmask_b32_e64 v1, 0, 1, s35
	global_store_b16 v[2:3], v1, off
.LBB15_1405:
	s_mov_b32 s58, 0
.LBB15_1406:
	s_delay_alu instid0(SALU_CYCLE_1)
	s_and_not1_b32 vcc_lo, exec_lo, s58
	s_cbranch_vccnz .LBB15_1411
; %bb.1407:
	s_cmp_gt_i32 s37, 0
	s_mov_b32 s37, -1
	s_cbranch_scc0 .LBB15_1409
; %bb.1408:
	s_wait_xcnt 0x0
	v_cndmask_b32_e64 v1, 0, 1, s35
	s_mov_b32 s37, 0
	global_store_b8 v[2:3], v1, off
.LBB15_1409:
	s_and_not1_b32 vcc_lo, exec_lo, s37
	s_cbranch_vccnz .LBB15_1411
; %bb.1410:
	s_wait_xcnt 0x0
	v_cndmask_b32_e64 v1, 0, 1, s35
	global_store_b8 v[2:3], v1, off
.LBB15_1411:
	s_mov_b32 s59, -1
.LBB15_1412:
	s_mov_b32 s58, 0
	s_and_not1_b32 vcc_lo, exec_lo, s59
	s_mov_b32 s61, 0
	s_cbranch_vccnz .LBB15_1414
; %bb.1413:
	v_add_nc_u32_e32 v0, 0x80, v0
	s_mov_b32 s61, -1
.LBB15_1414:
	s_and_not1_b32 s35, s53, exec_lo
	s_and_b32 s0, s0, exec_lo
	s_and_not1_b32 s37, s54, exec_lo
	s_and_b32 s58, s58, exec_lo
	s_or_b32 s60, s35, s0
	s_and_not1_b32 s0, s55, exec_lo
	s_and_b32 s35, s36, exec_lo
	s_and_not1_b32 s36, s52, exec_lo
	s_and_b32 s34, s34, exec_lo
	s_or_b32 s58, s37, s58
	s_or_b32 s59, s0, s35
	;; [unrolled: 1-line block ×3, first 2 shown]
	s_or_not1_b32 s62, s61, exec_lo
.LBB15_1415:
	s_wait_xcnt 0x0
	s_or_b32 exec_lo, exec_lo, s57
	s_mov_b32 s37, 0
	s_mov_b32 s61, 0
	;; [unrolled: 1-line block ×3, first 2 shown]
                                        ; implicit-def: $sgpr34
                                        ; implicit-def: $sgpr35
                                        ; implicit-def: $vgpr8_vgpr9
                                        ; implicit-def: $vgpr2
                                        ; implicit-def: $vgpr4
                                        ; implicit-def: $vgpr6
	s_and_saveexec_b32 s57, s62
	s_cbranch_execz .LBB15_1490
; %bb.1416:
	v_cmp_gt_i32_e32 vcc_lo, s46, v0
	s_mov_b32 s62, s0
                                        ; implicit-def: $sgpr34
                                        ; implicit-def: $sgpr35
                                        ; implicit-def: $vgpr8_vgpr9
                                        ; implicit-def: $vgpr2
                                        ; implicit-def: $vgpr4
                                        ; implicit-def: $vgpr6
	s_and_saveexec_b32 s46, vcc_lo
	s_cbranch_execz .LBB15_1489
; %bb.1417:
	s_and_not1_b32 vcc_lo, exec_lo, s40
	s_cbranch_vccnz .LBB15_1423
; %bb.1418:
	s_and_not1_b32 vcc_lo, exec_lo, s47
	s_cbranch_vccnz .LBB15_1424
; %bb.1419:
	v_dual_mov_b32 v6, 0 :: v_dual_mov_b32 v1, v0
	v_dual_mov_b32 v4, 0 :: v_dual_mov_b32 v2, 0
	v_mov_b32_e32 v8, 0
	s_add_co_i32 s36, s45, 1
	s_mov_b64 s[34:35], 0xffffffffffffffe0
	s_and_b32 s47, s36, 30
	s_add_nc_u64 s[34:35], s[2:3], s[34:35]
	s_mov_b64 s[36:37], s[2:3]
.LBB15_1420:                            ; =>This Inner Loop Header: Depth=1
	s_clause 0x1
	s_load_b128 s[72:75], s[36:37], 0x4
	s_load_b64 s[62:63], s[36:37], 0x14
	s_load_b256 s[64:71], s[34:35], 0xe4
	s_add_co_i32 s47, s47, -2
	s_wait_xcnt 0x0
	s_add_nc_u64 s[36:37], s[36:37], 24
	s_cmp_eq_u32 s47, 0
	s_add_nc_u64 s[34:35], s[34:35], 32
	s_wait_kmcnt 0x0
	v_mul_hi_u32 v3, s73, v1
	s_delay_alu instid0(VALU_DEP_1) | instskip(NEXT) | instid1(VALU_DEP_1)
	v_add_nc_u32_e32 v3, v1, v3
	v_lshrrev_b32_e32 v3, s74, v3
	s_delay_alu instid0(VALU_DEP_1) | instskip(SKIP_1) | instid1(VALU_DEP_1)
	v_mul_hi_u32 v5, s62, v3
	v_mul_lo_u32 v7, v3, s72
	v_dual_add_nc_u32 v5, v3, v5 :: v_dual_sub_nc_u32 v7, v1, v7
	s_delay_alu instid0(VALU_DEP_1) | instskip(NEXT) | instid1(VALU_DEP_2)
	v_lshrrev_b32_e32 v1, s63, v5
	v_mad_u32 v8, v7, s65, v8
	v_mad_u32 v2, v7, s64, v2
	v_mad_u32 v4, v7, s67, v4
	v_mad_u32 v6, v7, s66, v6
	v_mul_lo_u32 v5, v1, s75
	s_delay_alu instid0(VALU_DEP_1) | instskip(NEXT) | instid1(VALU_DEP_1)
	v_sub_nc_u32_e32 v3, v3, v5
	v_mad_u32 v8, v3, s69, v8
	v_mad_u32 v2, v3, s68, v2
	;; [unrolled: 1-line block ×4, first 2 shown]
	s_cbranch_scc0 .LBB15_1420
; %bb.1421:
	s_bitcmp1_b32 s45, 0
	s_cselect_b32 s45, -1, 0
	s_delay_alu instid0(SALU_CYCLE_1)
	s_and_b32 vcc_lo, exec_lo, s45
	s_cbranch_vccnz .LBB15_1425
; %bb.1422:
	s_load_b96 s[68:70], s[36:37], 0x4
	s_load_b128 s[64:67], s[34:35], 0xe4
	s_wait_kmcnt 0x0
	v_mul_hi_u32 v3, s69, v1
	s_delay_alu instid0(VALU_DEP_1) | instskip(NEXT) | instid1(VALU_DEP_1)
	v_add_nc_u32_e32 v3, v1, v3
	v_lshrrev_b32_e32 v3, s70, v3
	s_delay_alu instid0(VALU_DEP_1) | instskip(NEXT) | instid1(VALU_DEP_1)
	v_mul_lo_u32 v3, v3, s68
	v_sub_nc_u32_e32 v1, v1, v3
	s_delay_alu instid0(VALU_DEP_1)
	v_mad_u32 v2, v1, s64, v2
	v_mad_u32 v8, v1, s65, v8
	;; [unrolled: 1-line block ×4, first 2 shown]
	s_branch .LBB15_1425
.LBB15_1423:
	s_mov_b32 s34, -1
                                        ; implicit-def: $vgpr8
                                        ; implicit-def: $vgpr2
                                        ; implicit-def: $vgpr4
                                        ; implicit-def: $vgpr6
	s_branch .LBB15_1426
.LBB15_1424:
	v_dual_mov_b32 v8, 0 :: v_dual_mov_b32 v2, 0
	v_dual_mov_b32 v4, 0 :: v_dual_mov_b32 v6, 0
.LBB15_1425:
	s_mov_b32 s34, 0
.LBB15_1426:
	s_delay_alu instid0(SALU_CYCLE_1)
	s_and_not1_b32 vcc_lo, exec_lo, s34
	s_cbranch_vccnz .LBB15_1429
; %bb.1427:
	v_mov_b32_e32 v1, 0
	s_and_not1_b32 vcc_lo, exec_lo, s44
	s_delay_alu instid0(VALU_DEP_1) | instskip(NEXT) | instid1(VALU_DEP_1)
	v_mul_u64_e32 v[2:3], s[24:25], v[0:1]
	v_add_nc_u32_e32 v2, v0, v3
	s_delay_alu instid0(VALU_DEP_1) | instskip(NEXT) | instid1(VALU_DEP_1)
	v_lshrrev_b32_e32 v10, s22, v2
	v_mul_lo_u32 v2, v10, s20
	s_delay_alu instid0(VALU_DEP_1) | instskip(NEXT) | instid1(VALU_DEP_1)
	v_sub_nc_u32_e32 v0, v0, v2
	v_mul_lo_u32 v8, v0, s13
	v_mul_lo_u32 v2, v0, s12
	;; [unrolled: 1-line block ×4, first 2 shown]
	s_cbranch_vccnz .LBB15_1429
; %bb.1428:
	v_mov_b32_e32 v11, v1
	s_delay_alu instid0(VALU_DEP_1) | instskip(NEXT) | instid1(VALU_DEP_1)
	v_mul_u64_e32 v[0:1], s[30:31], v[10:11]
	v_add_nc_u32_e32 v0, v10, v1
	s_delay_alu instid0(VALU_DEP_1) | instskip(NEXT) | instid1(VALU_DEP_1)
	v_lshrrev_b32_e32 v0, s29, v0
	v_mul_lo_u32 v0, v0, s23
	s_delay_alu instid0(VALU_DEP_1) | instskip(NEXT) | instid1(VALU_DEP_1)
	v_sub_nc_u32_e32 v0, v10, v0
	v_mad_u32 v2, v0, s16, v2
	v_mad_u32 v8, v0, s17, v8
	;; [unrolled: 1-line block ×4, first 2 shown]
.LBB15_1429:
	v_mov_b32_e32 v9, 0
	s_and_b32 s35, s26, 0xff
	s_delay_alu instid0(SALU_CYCLE_1) | instskip(NEXT) | instid1(VALU_DEP_1)
	s_cmp_lt_i32 s35, 11
	v_add_nc_u64_e32 v[8:9], s[6:7], v[8:9]
	s_cbranch_scc1 .LBB15_1436
; %bb.1430:
	s_and_b32 s7, 0xffff, s35
	s_mov_b32 s12, 0
	s_cmp_gt_i32 s7, 25
	s_cbranch_scc0 .LBB15_1437
; %bb.1431:
	s_cmp_gt_i32 s7, 28
	s_cbranch_scc0 .LBB15_1438
; %bb.1432:
	;; [unrolled: 3-line block ×4, first 2 shown]
	s_cmp_eq_u32 s7, 46
	s_mov_b32 s14, 0
	s_cbranch_scc0 .LBB15_1441
; %bb.1435:
	global_load_b32 v0, v[8:9], off
	s_mov_b32 s6, 0
	s_mov_b32 s13, -1
	s_wait_loadcnt 0x0
	v_and_b32_e32 v0, 0x7fff7fff, v0
	s_delay_alu instid0(VALU_DEP_1)
	v_cmp_ne_u32_e64 s34, 0, v0
	s_branch .LBB15_1443
.LBB15_1436:
	s_mov_b32 s7, -1
	s_mov_b32 s13, 0
	s_mov_b32 s12, 0
	;; [unrolled: 1-line block ×3, first 2 shown]
                                        ; implicit-def: $sgpr34
	s_branch .LBB15_1488
.LBB15_1437:
	s_mov_b32 s14, -1
	s_mov_b32 s13, 0
	s_mov_b32 s6, s0
                                        ; implicit-def: $sgpr34
	s_branch .LBB15_1464
.LBB15_1438:
	s_mov_b32 s14, -1
	s_mov_b32 s13, 0
	s_mov_b32 s6, s0
                                        ; implicit-def: $sgpr34
	s_branch .LBB15_1451
.LBB15_1439:
	s_mov_b32 s14, -1
	s_mov_b32 s13, 0
	s_mov_b32 s6, s0
                                        ; implicit-def: $sgpr34
	s_branch .LBB15_1446
.LBB15_1440:
	s_mov_b32 s14, -1
	s_mov_b32 s13, 0
	s_mov_b32 s6, s0
	s_branch .LBB15_1442
.LBB15_1441:
	s_mov_b32 s6, -1
	s_mov_b32 s13, 0
.LBB15_1442:
                                        ; implicit-def: $sgpr34
.LBB15_1443:
	s_and_b32 vcc_lo, exec_lo, s14
	s_cbranch_vccz .LBB15_1445
; %bb.1444:
	s_cmp_lg_u32 s7, 44
	s_mov_b32 s13, -1
	s_cselect_b32 s14, -1, 0
	s_and_not1_b32 s6, s6, exec_lo
	s_and_b32 s14, s14, exec_lo
	s_or_b32 s34, s34, exec_lo
	s_or_b32 s6, s6, s14
.LBB15_1445:
	s_mov_b32 s14, 0
.LBB15_1446:
	s_delay_alu instid0(SALU_CYCLE_1)
	s_and_b32 vcc_lo, exec_lo, s14
	s_cbranch_vccz .LBB15_1450
; %bb.1447:
	s_cmp_eq_u32 s7, 29
	s_cbranch_scc0 .LBB15_1449
; %bb.1448:
	global_load_b64 v[0:1], v[8:9], off
	s_mov_b32 s6, 0
	s_mov_b32 s13, -1
	s_mov_b32 s14, 0
	s_wait_loadcnt 0x0
	v_cmp_ne_u64_e64 s34, 0, v[0:1]
	s_branch .LBB15_1451
.LBB15_1449:
	s_mov_b32 s6, -1
                                        ; implicit-def: $sgpr34
.LBB15_1450:
	s_mov_b32 s14, 0
.LBB15_1451:
	s_delay_alu instid0(SALU_CYCLE_1)
	s_and_b32 vcc_lo, exec_lo, s14
	s_cbranch_vccz .LBB15_1463
; %bb.1452:
	s_cmp_lt_i32 s7, 27
	s_cbranch_scc1 .LBB15_1455
; %bb.1453:
	s_cmp_gt_i32 s7, 27
	s_cbranch_scc0 .LBB15_1456
; %bb.1454:
	global_load_b32 v0, v[8:9], off
	s_mov_b32 s13, 0
	s_wait_loadcnt 0x0
	v_cmp_ne_u32_e64 s34, 0, v0
	s_branch .LBB15_1457
.LBB15_1455:
	s_mov_b32 s13, -1
                                        ; implicit-def: $sgpr34
	s_branch .LBB15_1460
.LBB15_1456:
	s_mov_b32 s13, -1
                                        ; implicit-def: $sgpr34
.LBB15_1457:
	s_delay_alu instid0(SALU_CYCLE_1)
	s_and_not1_b32 vcc_lo, exec_lo, s13
	s_cbranch_vccnz .LBB15_1459
; %bb.1458:
	global_load_u16 v0, v[8:9], off
	s_and_not1_b32 s13, s34, exec_lo
	s_wait_loadcnt 0x0
	v_cmp_ne_u16_e32 vcc_lo, 0, v0
	s_and_b32 s14, vcc_lo, exec_lo
	s_delay_alu instid0(SALU_CYCLE_1)
	s_or_b32 s34, s13, s14
.LBB15_1459:
	s_mov_b32 s13, 0
.LBB15_1460:
	s_delay_alu instid0(SALU_CYCLE_1)
	s_and_not1_b32 vcc_lo, exec_lo, s13
	s_cbranch_vccnz .LBB15_1462
; %bb.1461:
	global_load_u8 v0, v[8:9], off
	s_and_not1_b32 s13, s34, exec_lo
	s_wait_loadcnt 0x0
	v_cmp_ne_u16_e32 vcc_lo, 0, v0
	s_and_b32 s14, vcc_lo, exec_lo
	s_delay_alu instid0(SALU_CYCLE_1)
	s_or_b32 s34, s13, s14
.LBB15_1462:
	s_mov_b32 s13, -1
.LBB15_1463:
	s_mov_b32 s14, 0
.LBB15_1464:
	s_delay_alu instid0(SALU_CYCLE_1)
	s_and_b32 vcc_lo, exec_lo, s14
	s_cbranch_vccz .LBB15_1487
; %bb.1465:
	s_cmp_gt_i32 s7, 22
	s_cbranch_scc0 .LBB15_1469
; %bb.1466:
	s_cmp_lt_i32 s7, 24
	s_cbranch_scc1 .LBB15_1470
; %bb.1467:
	s_cmp_gt_i32 s7, 24
	s_cbranch_scc0 .LBB15_1471
; %bb.1468:
	global_load_u8 v0, v[8:9], off
	s_wait_loadcnt 0x0
	v_cmp_ne_u16_e64 s34, 0, v0
	s_branch .LBB15_1472
.LBB15_1469:
	s_mov_b32 s12, -1
                                        ; implicit-def: $sgpr34
	s_branch .LBB15_1478
.LBB15_1470:
	s_mov_b32 s12, -1
                                        ; implicit-def: $sgpr34
	s_branch .LBB15_1475
.LBB15_1471:
	s_mov_b32 s12, -1
                                        ; implicit-def: $sgpr34
.LBB15_1472:
	s_delay_alu instid0(SALU_CYCLE_1)
	s_and_not1_b32 vcc_lo, exec_lo, s12
	s_cbranch_vccnz .LBB15_1474
; %bb.1473:
	global_load_u8 v0, v[8:9], off
	s_and_not1_b32 s12, s34, exec_lo
	s_wait_loadcnt 0x0
	v_and_b32_e32 v0, 0x7f, v0
	s_delay_alu instid0(VALU_DEP_1) | instskip(SKIP_1) | instid1(SALU_CYCLE_1)
	v_cmp_ne_u16_e32 vcc_lo, 0, v0
	s_and_b32 s13, vcc_lo, exec_lo
	s_or_b32 s34, s12, s13
.LBB15_1474:
	s_mov_b32 s12, 0
.LBB15_1475:
	s_delay_alu instid0(SALU_CYCLE_1)
	s_and_not1_b32 vcc_lo, exec_lo, s12
	s_cbranch_vccnz .LBB15_1477
; %bb.1476:
	global_load_u8 v0, v[8:9], off
	s_and_not1_b32 s12, s34, exec_lo
	s_wait_loadcnt 0x0
	v_dual_lshlrev_b32 v1, 25, v0 :: v_dual_lshlrev_b32 v0, 8, v0
	s_delay_alu instid0(VALU_DEP_1) | instskip(NEXT) | instid1(VALU_DEP_2)
	v_cmp_gt_u32_e32 vcc_lo, 0x8000000, v1
	v_and_or_b32 v0, 0x7f00, v0, 0.5
	s_delay_alu instid0(VALU_DEP_1) | instskip(NEXT) | instid1(VALU_DEP_1)
	v_dual_add_f32 v0, -0.5, v0 :: v_dual_lshrrev_b32 v3, 4, v1
	v_or_b32_e32 v3, 0x70000000, v3
	s_delay_alu instid0(VALU_DEP_1) | instskip(NEXT) | instid1(VALU_DEP_1)
	v_mul_f32_e32 v3, 0x7800000, v3
	v_cndmask_b32_e32 v0, v3, v0, vcc_lo
	s_delay_alu instid0(VALU_DEP_1) | instskip(SKIP_1) | instid1(SALU_CYCLE_1)
	v_cmp_neq_f32_e32 vcc_lo, 0, v0
	s_and_b32 s13, vcc_lo, exec_lo
	s_or_b32 s34, s12, s13
.LBB15_1477:
	s_mov_b32 s12, 0
	s_mov_b32 s13, -1
.LBB15_1478:
	s_and_not1_b32 vcc_lo, exec_lo, s12
	s_mov_b32 s12, 0
	s_cbranch_vccnz .LBB15_1487
; %bb.1479:
	s_cmp_gt_i32 s7, 14
	s_cbranch_scc0 .LBB15_1482
; %bb.1480:
	s_cmp_eq_u32 s7, 15
	s_cbranch_scc0 .LBB15_1483
; %bb.1481:
	global_load_u16 v0, v[8:9], off
	s_mov_b32 s6, 0
	s_mov_b32 s13, -1
	s_wait_loadcnt 0x0
	v_and_b32_e32 v0, 0x7fff, v0
	s_delay_alu instid0(VALU_DEP_1)
	v_cmp_ne_u16_e64 s34, 0, v0
	s_branch .LBB15_1485
.LBB15_1482:
	s_mov_b32 s12, -1
	s_branch .LBB15_1484
.LBB15_1483:
	s_mov_b32 s6, -1
.LBB15_1484:
                                        ; implicit-def: $sgpr34
.LBB15_1485:
	s_and_b32 vcc_lo, exec_lo, s12
	s_mov_b32 s12, 0
	s_cbranch_vccz .LBB15_1487
; %bb.1486:
	s_cmp_lg_u32 s7, 11
	s_mov_b32 s12, -1
	s_cselect_b32 s7, -1, 0
	s_and_not1_b32 s6, s6, exec_lo
	s_and_b32 s7, s7, exec_lo
	s_delay_alu instid0(SALU_CYCLE_1)
	s_or_b32 s6, s6, s7
.LBB15_1487:
	s_mov_b32 s7, 0
.LBB15_1488:
	s_delay_alu instid0(SALU_CYCLE_1)
	s_and_b32 s61, s7, exec_lo
	s_and_not1_b32 s7, s0, exec_lo
	s_and_b32 s6, s6, exec_lo
	s_and_b32 s36, s13, exec_lo
	;; [unrolled: 1-line block ×3, first 2 shown]
	s_or_b32 s62, s7, s6
.LBB15_1489:
	s_wait_xcnt 0x0
	s_or_b32 exec_lo, exec_lo, s46
	s_delay_alu instid0(SALU_CYCLE_1)
	s_and_not1_b32 s0, s0, exec_lo
	s_and_b32 s6, s62, exec_lo
	s_and_b32 s36, s36, exec_lo
	;; [unrolled: 1-line block ×4, first 2 shown]
	s_or_b32 s0, s0, s6
.LBB15_1490:
	s_or_b32 exec_lo, exec_lo, s57
	s_delay_alu instid0(SALU_CYCLE_1)
	s_and_not1_b32 s6, s53, exec_lo
	s_and_b32 s7, s60, exec_lo
	s_and_not1_b32 s12, s55, exec_lo
	s_or_b32 s53, s6, s7
	s_and_not1_b32 s6, s54, exec_lo
	s_and_b32 s7, s58, exec_lo
	s_and_b32 s13, s59, exec_lo
	s_or_b32 s54, s6, s7
	s_and_not1_b32 s6, s52, exec_lo
	s_and_b32 s0, s0, exec_lo
	s_or_b32 s55, s12, s13
	s_and_b32 s36, s36, exec_lo
	s_and_b32 s57, s61, exec_lo
	s_and_b32 s37, s37, exec_lo
	s_or_b32 s52, s6, s0
.LBB15_1491:
	s_or_b32 exec_lo, exec_lo, s56
	s_delay_alu instid0(SALU_CYCLE_1)
	s_and_not1_b32 s0, s28, exec_lo
	s_and_b32 s6, s53, exec_lo
	s_and_not1_b32 s7, s49, exec_lo
	s_or_b32 s28, s0, s6
	s_and_not1_b32 s0, s48, exec_lo
	s_and_b32 s6, s54, exec_lo
	s_and_b32 s12, s55, exec_lo
	s_or_b32 s48, s0, s6
	s_or_b32 s49, s7, s12
	s_and_not1_b32 s6, s50, exec_lo
	s_and_b32 s7, s52, exec_lo
	s_and_b32 s36, s36, exec_lo
	s_and_b32 s0, s57, exec_lo
	s_and_b32 s25, s37, exec_lo
	s_or_b32 s50, s6, s7
	s_or_b32 exec_lo, exec_lo, s51
	s_mov_b32 s6, 0
	s_and_saveexec_b32 s7, s50
	s_cbranch_execz .LBB15_468
.LBB15_1492:
	s_mov_b32 s6, exec_lo
	s_and_not1_b32 s36, s36, exec_lo
	s_and_not1_b32 s25, s25, exec_lo
	s_trap 2
	s_or_b32 exec_lo, exec_lo, s7
	s_and_saveexec_b32 s7, s25
	s_delay_alu instid0(SALU_CYCLE_1)
	s_xor_b32 s7, exec_lo, s7
	s_cbranch_execz .LBB15_469
.LBB15_1493:
	global_load_u8 v0, v[8:9], off
	s_and_not1_b32 s12, s34, exec_lo
	s_or_b32 s36, s36, exec_lo
	s_wait_loadcnt 0x0
	v_cmp_ne_u16_e32 vcc_lo, 0, v0
	s_and_b32 s13, vcc_lo, exec_lo
	s_delay_alu instid0(SALU_CYCLE_1)
	s_or_b32 s34, s12, s13
	s_wait_xcnt 0x0
	s_or_b32 exec_lo, exec_lo, s7
	s_and_saveexec_b32 s7, s0
	s_cbranch_execz .LBB15_1539
.LBB15_1494:
	s_sext_i32_i16 s0, s35
	s_delay_alu instid0(SALU_CYCLE_1)
	s_cmp_lt_i32 s0, 5
	s_cbranch_scc1 .LBB15_1499
; %bb.1495:
	s_cmp_lt_i32 s0, 8
	s_cbranch_scc1 .LBB15_1500
; %bb.1496:
	;; [unrolled: 3-line block ×3, first 2 shown]
	s_cmp_gt_i32 s0, 9
	s_cbranch_scc0 .LBB15_1502
; %bb.1498:
	global_load_b128 v[10:13], v[8:9], off
	s_mov_b32 s12, 0
	s_wait_loadcnt 0x0
	v_cmp_neq_f64_e32 vcc_lo, 0, v[10:11]
	v_cmp_neq_f64_e64 s0, 0, v[12:13]
	s_or_b32 s0, vcc_lo, s0
	s_branch .LBB15_1503
.LBB15_1499:
                                        ; implicit-def: $sgpr0
	s_branch .LBB15_1520
.LBB15_1500:
                                        ; implicit-def: $sgpr0
	s_branch .LBB15_1509
.LBB15_1501:
	s_mov_b32 s12, -1
                                        ; implicit-def: $sgpr0
	s_branch .LBB15_1506
.LBB15_1502:
	s_mov_b32 s12, -1
                                        ; implicit-def: $sgpr0
.LBB15_1503:
	s_delay_alu instid0(SALU_CYCLE_1)
	s_and_not1_b32 vcc_lo, exec_lo, s12
	s_cbranch_vccnz .LBB15_1505
; %bb.1504:
	global_load_b64 v[0:1], v[8:9], off
	s_and_not1_b32 s0, s0, exec_lo
	s_wait_loadcnt 0x0
	v_bitop3_b32 v0, v0, 0x7fffffff, v1 bitop3:0xc8
	s_delay_alu instid0(VALU_DEP_1) | instskip(SKIP_1) | instid1(SALU_CYCLE_1)
	v_cmp_ne_u32_e32 vcc_lo, 0, v0
	s_and_b32 s12, vcc_lo, exec_lo
	s_or_b32 s0, s0, s12
.LBB15_1505:
	s_mov_b32 s12, 0
.LBB15_1506:
	s_delay_alu instid0(SALU_CYCLE_1)
	s_and_not1_b32 vcc_lo, exec_lo, s12
	s_cbranch_vccnz .LBB15_1508
; %bb.1507:
	global_load_b32 v0, v[8:9], off
	s_and_not1_b32 s0, s0, exec_lo
	s_wait_loadcnt 0x0
	v_and_b32_e32 v0, 0x7fff7fff, v0
	s_delay_alu instid0(VALU_DEP_1) | instskip(SKIP_1) | instid1(SALU_CYCLE_1)
	v_cmp_ne_u32_e32 vcc_lo, 0, v0
	s_and_b32 s12, vcc_lo, exec_lo
	s_or_b32 s0, s0, s12
.LBB15_1508:
	s_cbranch_execnz .LBB15_1519
.LBB15_1509:
	s_sext_i32_i16 s0, s35
	s_delay_alu instid0(SALU_CYCLE_1)
	s_cmp_lt_i32 s0, 6
	s_cbranch_scc1 .LBB15_1512
; %bb.1510:
	s_cmp_gt_i32 s0, 6
	s_cbranch_scc0 .LBB15_1513
; %bb.1511:
	global_load_b64 v[0:1], v[8:9], off
	s_mov_b32 s12, 0
	s_wait_loadcnt 0x0
	v_cmp_neq_f64_e64 s0, 0, v[0:1]
	s_branch .LBB15_1514
.LBB15_1512:
	s_mov_b32 s12, -1
                                        ; implicit-def: $sgpr0
	s_branch .LBB15_1517
.LBB15_1513:
	s_mov_b32 s12, -1
                                        ; implicit-def: $sgpr0
.LBB15_1514:
	s_delay_alu instid0(SALU_CYCLE_1)
	s_and_not1_b32 vcc_lo, exec_lo, s12
	s_cbranch_vccnz .LBB15_1516
; %bb.1515:
	global_load_b32 v0, v[8:9], off
	s_and_not1_b32 s0, s0, exec_lo
	s_wait_loadcnt 0x0
	v_cmp_neq_f32_e32 vcc_lo, 0, v0
	s_and_b32 s12, vcc_lo, exec_lo
	s_delay_alu instid0(SALU_CYCLE_1)
	s_or_b32 s0, s0, s12
.LBB15_1516:
	s_mov_b32 s12, 0
.LBB15_1517:
	s_delay_alu instid0(SALU_CYCLE_1)
	s_and_not1_b32 vcc_lo, exec_lo, s12
	s_cbranch_vccnz .LBB15_1519
; %bb.1518:
	global_load_u16 v0, v[8:9], off
	s_and_not1_b32 s0, s0, exec_lo
	s_wait_loadcnt 0x0
	v_and_b32_e32 v0, 0x7fff, v0
	s_delay_alu instid0(VALU_DEP_1) | instskip(SKIP_1) | instid1(SALU_CYCLE_1)
	v_cmp_ne_u16_e32 vcc_lo, 0, v0
	s_and_b32 s12, vcc_lo, exec_lo
	s_or_b32 s0, s0, s12
.LBB15_1519:
	s_cbranch_execnz .LBB15_1538
.LBB15_1520:
	s_sext_i32_i16 s0, s35
	s_delay_alu instid0(SALU_CYCLE_1)
	s_cmp_lt_i32 s0, 2
	s_cbranch_scc1 .LBB15_1524
; %bb.1521:
	s_cmp_lt_i32 s0, 3
	s_cbranch_scc1 .LBB15_1525
; %bb.1522:
	s_cmp_gt_i32 s0, 3
	s_cbranch_scc0 .LBB15_1526
; %bb.1523:
	global_load_b64 v[0:1], v[8:9], off
	s_mov_b32 s12, 0
	s_wait_loadcnt 0x0
	v_cmp_ne_u64_e64 s0, 0, v[0:1]
	s_branch .LBB15_1527
.LBB15_1524:
                                        ; implicit-def: $sgpr0
	s_branch .LBB15_1533
.LBB15_1525:
	s_mov_b32 s12, -1
                                        ; implicit-def: $sgpr0
	s_branch .LBB15_1530
.LBB15_1526:
	s_mov_b32 s12, -1
                                        ; implicit-def: $sgpr0
.LBB15_1527:
	s_delay_alu instid0(SALU_CYCLE_1)
	s_and_not1_b32 vcc_lo, exec_lo, s12
	s_cbranch_vccnz .LBB15_1529
; %bb.1528:
	global_load_b32 v0, v[8:9], off
	s_and_not1_b32 s0, s0, exec_lo
	s_wait_loadcnt 0x0
	v_cmp_ne_u32_e32 vcc_lo, 0, v0
	s_and_b32 s12, vcc_lo, exec_lo
	s_delay_alu instid0(SALU_CYCLE_1)
	s_or_b32 s0, s0, s12
.LBB15_1529:
	s_mov_b32 s12, 0
.LBB15_1530:
	s_delay_alu instid0(SALU_CYCLE_1)
	s_and_not1_b32 vcc_lo, exec_lo, s12
	s_cbranch_vccnz .LBB15_1532
; %bb.1531:
	global_load_u16 v0, v[8:9], off
	s_and_not1_b32 s0, s0, exec_lo
	s_wait_loadcnt 0x0
	v_cmp_ne_u16_e32 vcc_lo, 0, v0
	s_and_b32 s12, vcc_lo, exec_lo
	s_delay_alu instid0(SALU_CYCLE_1)
	s_or_b32 s0, s0, s12
.LBB15_1532:
	s_cbranch_execnz .LBB15_1538
.LBB15_1533:
	s_sext_i32_i16 s0, s35
	s_mov_b32 s12, 0
	s_cmp_gt_i32 s0, 0
	s_cbranch_scc0 .LBB15_1535
; %bb.1534:
	global_load_u8 v0, v[8:9], off
	s_wait_loadcnt 0x0
	v_cmp_ne_u16_e64 s0, 0, v0
	s_branch .LBB15_1536
.LBB15_1535:
	s_mov_b32 s12, -1
                                        ; implicit-def: $sgpr0
.LBB15_1536:
	s_delay_alu instid0(SALU_CYCLE_1)
	s_and_not1_b32 vcc_lo, exec_lo, s12
	s_cbranch_vccnz .LBB15_1538
; %bb.1537:
	global_load_u8 v0, v[8:9], off
	s_and_not1_b32 s0, s0, exec_lo
	s_wait_loadcnt 0x0
	v_cmp_ne_u16_e32 vcc_lo, 0, v0
	s_and_b32 s12, vcc_lo, exec_lo
	s_delay_alu instid0(SALU_CYCLE_1)
	s_or_b32 s0, s0, s12
.LBB15_1538:
	s_and_not1_b32 s12, s34, exec_lo
	s_delay_alu instid0(VALU_DEP_1)
	s_and_b32 s0, s0, exec_lo
	s_or_b32 s36, s36, exec_lo
	s_or_b32 s34, s12, s0
.LBB15_1539:
	s_wait_xcnt 0x0
	s_or_b32 exec_lo, exec_lo, s7
	s_mov_b32 s15, 0
	s_mov_b32 s14, 0
	;; [unrolled: 1-line block ×3, first 2 shown]
                                        ; implicit-def: $sgpr7
                                        ; implicit-def: $sgpr12
                                        ; implicit-def: $vgpr0_vgpr1
	s_and_saveexec_b32 s0, s36
	s_cbranch_execnz .LBB15_1543
; %bb.1540:
	s_or_b32 exec_lo, exec_lo, s0
	s_and_saveexec_b32 s0, s49
	s_cbranch_execnz .LBB15_1602
.LBB15_1541:
	s_or_b32 exec_lo, exec_lo, s0
	s_and_saveexec_b32 s0, s15
	s_delay_alu instid0(SALU_CYCLE_1)
	s_xor_b32 s0, exec_lo, s0
	s_cbranch_execnz .LBB15_1603
.LBB15_1542:
	s_or_b32 exec_lo, exec_lo, s0
	s_and_saveexec_b32 s1, s14
	s_cbranch_execnz .LBB15_1604
	s_branch .LBB15_1649
.LBB15_1543:
	v_mov_b32_e32 v7, 0
	s_and_b32 s12, s1, 0xff
	s_delay_alu instid0(SALU_CYCLE_1) | instskip(NEXT) | instid1(VALU_DEP_1)
	s_cmp_lt_i32 s12, 11
	v_add_nc_u64_e32 v[0:1], s[8:9], v[6:7]
	s_cbranch_scc1 .LBB15_1550
; %bb.1544:
	s_and_b32 s8, 0xffff, s12
	s_mov_b32 s9, 0
	s_cmp_gt_i32 s8, 25
	s_cbranch_scc0 .LBB15_1551
; %bb.1545:
	s_cmp_gt_i32 s8, 28
	s_cbranch_scc0 .LBB15_1552
; %bb.1546:
	;; [unrolled: 3-line block ×4, first 2 shown]
	s_cmp_eq_u32 s8, 46
	s_cbranch_scc0 .LBB15_1555
; %bb.1549:
	global_load_b32 v3, v[0:1], off
	s_mov_b32 s1, 0
	s_mov_b32 s13, -1
	s_wait_loadcnt 0x0
	v_and_b32_e32 v3, 0x7fff7fff, v3
	s_delay_alu instid0(VALU_DEP_1)
	v_cmp_ne_u32_e64 s7, 0, v3
	s_branch .LBB15_1557
.LBB15_1550:
	s_mov_b32 s8, -1
	s_mov_b32 s9, 0
	s_mov_b32 s1, s49
                                        ; implicit-def: $sgpr7
	s_branch .LBB15_1601
.LBB15_1551:
	s_mov_b32 s1, s49
                                        ; implicit-def: $sgpr7
	s_cbranch_execnz .LBB15_1578
	s_branch .LBB15_1600
.LBB15_1552:
	s_mov_b32 s14, -1
	s_mov_b32 s1, s49
                                        ; implicit-def: $sgpr7
	s_branch .LBB15_1565
.LBB15_1553:
	s_mov_b32 s14, -1
	s_mov_b32 s1, s49
                                        ; implicit-def: $sgpr7
	s_branch .LBB15_1560
.LBB15_1554:
	s_mov_b32 s14, -1
	s_mov_b32 s1, s49
	s_branch .LBB15_1556
.LBB15_1555:
	s_mov_b32 s1, -1
.LBB15_1556:
                                        ; implicit-def: $sgpr7
.LBB15_1557:
	s_and_b32 vcc_lo, exec_lo, s14
	s_cbranch_vccz .LBB15_1559
; %bb.1558:
	s_cmp_lg_u32 s8, 44
	s_mov_b32 s13, -1
	s_cselect_b32 s14, -1, 0
	s_and_not1_b32 s1, s1, exec_lo
	s_and_b32 s14, s14, exec_lo
	s_or_b32 s7, s7, exec_lo
	s_or_b32 s1, s1, s14
.LBB15_1559:
	s_mov_b32 s14, 0
.LBB15_1560:
	s_delay_alu instid0(SALU_CYCLE_1)
	s_and_b32 vcc_lo, exec_lo, s14
	s_cbranch_vccz .LBB15_1564
; %bb.1561:
	s_cmp_eq_u32 s8, 29
	s_cbranch_scc0 .LBB15_1563
; %bb.1562:
	global_load_b64 v[6:7], v[0:1], off
	s_mov_b32 s1, 0
	s_mov_b32 s13, -1
	s_mov_b32 s14, 0
	s_wait_loadcnt 0x0
	v_cmp_ne_u64_e64 s7, 0, v[6:7]
	s_branch .LBB15_1565
.LBB15_1563:
	s_mov_b32 s1, -1
                                        ; implicit-def: $sgpr7
.LBB15_1564:
	s_mov_b32 s14, 0
.LBB15_1565:
	s_delay_alu instid0(SALU_CYCLE_1)
	s_and_b32 vcc_lo, exec_lo, s14
	s_cbranch_vccz .LBB15_1577
; %bb.1566:
	s_cmp_lt_i32 s8, 27
	s_cbranch_scc1 .LBB15_1569
; %bb.1567:
	s_cmp_gt_i32 s8, 27
	s_cbranch_scc0 .LBB15_1570
; %bb.1568:
	global_load_b32 v3, v[0:1], off
	s_mov_b32 s13, 0
	s_wait_loadcnt 0x0
	v_cmp_ne_u32_e64 s7, 0, v3
	s_branch .LBB15_1571
.LBB15_1569:
	s_mov_b32 s13, -1
                                        ; implicit-def: $sgpr7
	s_branch .LBB15_1574
.LBB15_1570:
	s_mov_b32 s13, -1
                                        ; implicit-def: $sgpr7
.LBB15_1571:
	s_delay_alu instid0(SALU_CYCLE_1)
	s_and_not1_b32 vcc_lo, exec_lo, s13
	s_cbranch_vccnz .LBB15_1573
; %bb.1572:
	global_load_u16 v3, v[0:1], off
	s_and_not1_b32 s7, s7, exec_lo
	s_wait_loadcnt 0x0
	v_cmp_ne_u16_e32 vcc_lo, 0, v3
	s_and_b32 s13, vcc_lo, exec_lo
	s_delay_alu instid0(SALU_CYCLE_1)
	s_or_b32 s7, s7, s13
.LBB15_1573:
	s_mov_b32 s13, 0
.LBB15_1574:
	s_delay_alu instid0(SALU_CYCLE_1)
	s_and_not1_b32 vcc_lo, exec_lo, s13
	s_cbranch_vccnz .LBB15_1576
; %bb.1575:
	global_load_u8 v3, v[0:1], off
	s_and_not1_b32 s7, s7, exec_lo
	s_wait_loadcnt 0x0
	v_cmp_ne_u16_e32 vcc_lo, 0, v3
	s_and_b32 s13, vcc_lo, exec_lo
	s_delay_alu instid0(SALU_CYCLE_1)
	s_or_b32 s7, s7, s13
.LBB15_1576:
	s_mov_b32 s13, -1
.LBB15_1577:
	s_branch .LBB15_1600
.LBB15_1578:
	s_cmp_gt_i32 s8, 22
	s_cbranch_scc0 .LBB15_1582
; %bb.1579:
	s_cmp_lt_i32 s8, 24
	s_cbranch_scc1 .LBB15_1583
; %bb.1580:
	s_cmp_gt_i32 s8, 24
	s_cbranch_scc0 .LBB15_1584
; %bb.1581:
	global_load_u8 v3, v[0:1], off
	s_wait_loadcnt 0x0
	v_cmp_ne_u16_e64 s7, 0, v3
	s_branch .LBB15_1585
.LBB15_1582:
	s_mov_b32 s9, -1
                                        ; implicit-def: $sgpr7
	s_branch .LBB15_1591
.LBB15_1583:
	s_mov_b32 s9, -1
                                        ; implicit-def: $sgpr7
	s_branch .LBB15_1588
.LBB15_1584:
	s_mov_b32 s9, -1
                                        ; implicit-def: $sgpr7
.LBB15_1585:
	s_delay_alu instid0(SALU_CYCLE_1)
	s_and_not1_b32 vcc_lo, exec_lo, s9
	s_cbranch_vccnz .LBB15_1587
; %bb.1586:
	global_load_u8 v3, v[0:1], off
	s_and_not1_b32 s7, s7, exec_lo
	s_wait_loadcnt 0x0
	v_and_b32_e32 v3, 0x7f, v3
	s_delay_alu instid0(VALU_DEP_1) | instskip(SKIP_1) | instid1(SALU_CYCLE_1)
	v_cmp_ne_u16_e32 vcc_lo, 0, v3
	s_and_b32 s9, vcc_lo, exec_lo
	s_or_b32 s7, s7, s9
.LBB15_1587:
	s_mov_b32 s9, 0
.LBB15_1588:
	s_delay_alu instid0(SALU_CYCLE_1)
	s_and_not1_b32 vcc_lo, exec_lo, s9
	s_cbranch_vccnz .LBB15_1590
; %bb.1589:
	global_load_u8 v3, v[0:1], off
	s_and_not1_b32 s7, s7, exec_lo
	s_wait_loadcnt 0x0
	v_dual_lshlrev_b32 v5, 25, v3 :: v_dual_lshlrev_b32 v3, 8, v3
	s_delay_alu instid0(VALU_DEP_1) | instskip(NEXT) | instid1(VALU_DEP_2)
	v_cmp_gt_u32_e32 vcc_lo, 0x8000000, v5
	v_and_or_b32 v3, 0x7f00, v3, 0.5
	s_delay_alu instid0(VALU_DEP_1) | instskip(NEXT) | instid1(VALU_DEP_1)
	v_dual_add_f32 v3, -0.5, v3 :: v_dual_lshrrev_b32 v6, 4, v5
	v_or_b32_e32 v6, 0x70000000, v6
	s_delay_alu instid0(VALU_DEP_1) | instskip(NEXT) | instid1(VALU_DEP_1)
	v_mul_f32_e32 v6, 0x7800000, v6
	v_cndmask_b32_e32 v3, v6, v3, vcc_lo
	s_delay_alu instid0(VALU_DEP_1) | instskip(SKIP_1) | instid1(SALU_CYCLE_1)
	v_cmp_neq_f32_e32 vcc_lo, 0, v3
	s_and_b32 s9, vcc_lo, exec_lo
	s_or_b32 s7, s7, s9
.LBB15_1590:
	s_mov_b32 s9, 0
	s_mov_b32 s13, -1
.LBB15_1591:
	s_and_not1_b32 vcc_lo, exec_lo, s9
	s_mov_b32 s9, 0
	s_cbranch_vccnz .LBB15_1600
; %bb.1592:
	s_cmp_gt_i32 s8, 14
	s_cbranch_scc0 .LBB15_1595
; %bb.1593:
	s_cmp_eq_u32 s8, 15
	s_cbranch_scc0 .LBB15_1596
; %bb.1594:
	global_load_u16 v3, v[0:1], off
	s_mov_b32 s1, 0
	s_mov_b32 s13, -1
	s_wait_loadcnt 0x0
	v_and_b32_e32 v3, 0x7fff, v3
	s_delay_alu instid0(VALU_DEP_1)
	v_cmp_ne_u16_e64 s7, 0, v3
	s_branch .LBB15_1598
.LBB15_1595:
	s_mov_b32 s9, -1
	s_branch .LBB15_1597
.LBB15_1596:
	s_mov_b32 s1, -1
.LBB15_1597:
                                        ; implicit-def: $sgpr7
.LBB15_1598:
	s_and_b32 vcc_lo, exec_lo, s9
	s_mov_b32 s9, 0
	s_cbranch_vccz .LBB15_1600
; %bb.1599:
	s_cmp_lg_u32 s8, 11
	s_mov_b32 s9, -1
	s_cselect_b32 s8, -1, 0
	s_and_not1_b32 s1, s1, exec_lo
	s_and_b32 s8, s8, exec_lo
	s_delay_alu instid0(SALU_CYCLE_1)
	s_or_b32 s1, s1, s8
.LBB15_1600:
	s_mov_b32 s8, 0
.LBB15_1601:
	s_delay_alu instid0(SALU_CYCLE_1)
	s_and_b32 s14, s8, exec_lo
	s_and_not1_b32 s8, s49, exec_lo
	s_and_b32 s1, s1, exec_lo
	s_and_b32 s13, s13, exec_lo
	;; [unrolled: 1-line block ×3, first 2 shown]
	s_or_b32 s49, s8, s1
	s_wait_xcnt 0x0
	s_or_b32 exec_lo, exec_lo, s0
	s_and_saveexec_b32 s0, s49
	s_cbranch_execz .LBB15_1541
.LBB15_1602:
	s_or_b32 s6, s6, exec_lo
	s_and_not1_b32 s13, s13, exec_lo
	s_and_not1_b32 s15, s15, exec_lo
	s_trap 2
	s_or_b32 exec_lo, exec_lo, s0
	s_and_saveexec_b32 s0, s15
	s_delay_alu instid0(SALU_CYCLE_1)
	s_xor_b32 s0, exec_lo, s0
	s_cbranch_execz .LBB15_1542
.LBB15_1603:
	global_load_u8 v3, v[0:1], off
	s_and_not1_b32 s1, s7, exec_lo
	s_or_b32 s13, s13, exec_lo
	s_wait_loadcnt 0x0
	v_cmp_ne_u16_e32 vcc_lo, 0, v3
	s_and_b32 s7, vcc_lo, exec_lo
	s_delay_alu instid0(SALU_CYCLE_1)
	s_or_b32 s7, s1, s7
	s_wait_xcnt 0x0
	s_or_b32 exec_lo, exec_lo, s0
	s_and_saveexec_b32 s1, s14
	s_cbranch_execz .LBB15_1649
.LBB15_1604:
	s_sext_i32_i16 s0, s12
	s_delay_alu instid0(SALU_CYCLE_1)
	s_cmp_lt_i32 s0, 5
	s_cbranch_scc1 .LBB15_1609
; %bb.1605:
	s_cmp_lt_i32 s0, 8
	s_cbranch_scc1 .LBB15_1610
; %bb.1606:
	;; [unrolled: 3-line block ×3, first 2 shown]
	s_cmp_gt_i32 s0, 9
	s_cbranch_scc0 .LBB15_1612
; %bb.1608:
	global_load_b128 v[6:9], v[0:1], off
	s_mov_b32 s8, 0
	s_wait_loadcnt 0x0
	v_cmp_neq_f64_e32 vcc_lo, 0, v[6:7]
	v_cmp_neq_f64_e64 s0, 0, v[8:9]
	s_or_b32 s0, vcc_lo, s0
	s_branch .LBB15_1613
.LBB15_1609:
                                        ; implicit-def: $sgpr0
	s_branch .LBB15_1630
.LBB15_1610:
                                        ; implicit-def: $sgpr0
	s_branch .LBB15_1619
.LBB15_1611:
	s_mov_b32 s8, -1
                                        ; implicit-def: $sgpr0
	s_branch .LBB15_1616
.LBB15_1612:
	s_mov_b32 s8, -1
                                        ; implicit-def: $sgpr0
.LBB15_1613:
	s_delay_alu instid0(SALU_CYCLE_1)
	s_and_not1_b32 vcc_lo, exec_lo, s8
	s_cbranch_vccnz .LBB15_1615
; %bb.1614:
	global_load_b64 v[6:7], v[0:1], off
	s_and_not1_b32 s0, s0, exec_lo
	s_wait_loadcnt 0x0
	v_bitop3_b32 v3, v6, 0x7fffffff, v7 bitop3:0xc8
	s_delay_alu instid0(VALU_DEP_1) | instskip(SKIP_1) | instid1(SALU_CYCLE_1)
	v_cmp_ne_u32_e32 vcc_lo, 0, v3
	s_and_b32 s8, vcc_lo, exec_lo
	s_or_b32 s0, s0, s8
.LBB15_1615:
	s_mov_b32 s8, 0
.LBB15_1616:
	s_delay_alu instid0(SALU_CYCLE_1)
	s_and_not1_b32 vcc_lo, exec_lo, s8
	s_cbranch_vccnz .LBB15_1618
; %bb.1617:
	global_load_b32 v3, v[0:1], off
	s_and_not1_b32 s0, s0, exec_lo
	s_wait_loadcnt 0x0
	v_and_b32_e32 v3, 0x7fff7fff, v3
	s_delay_alu instid0(VALU_DEP_1) | instskip(SKIP_1) | instid1(SALU_CYCLE_1)
	v_cmp_ne_u32_e32 vcc_lo, 0, v3
	s_and_b32 s8, vcc_lo, exec_lo
	s_or_b32 s0, s0, s8
.LBB15_1618:
	s_cbranch_execnz .LBB15_1629
.LBB15_1619:
	s_sext_i32_i16 s0, s12
	s_delay_alu instid0(SALU_CYCLE_1)
	s_cmp_lt_i32 s0, 6
	s_cbranch_scc1 .LBB15_1622
; %bb.1620:
	s_cmp_gt_i32 s0, 6
	s_cbranch_scc0 .LBB15_1623
; %bb.1621:
	global_load_b64 v[6:7], v[0:1], off
	s_mov_b32 s8, 0
	s_wait_loadcnt 0x0
	v_cmp_neq_f64_e64 s0, 0, v[6:7]
	s_branch .LBB15_1624
.LBB15_1622:
	s_mov_b32 s8, -1
                                        ; implicit-def: $sgpr0
	s_branch .LBB15_1627
.LBB15_1623:
	s_mov_b32 s8, -1
                                        ; implicit-def: $sgpr0
.LBB15_1624:
	s_delay_alu instid0(SALU_CYCLE_1)
	s_and_not1_b32 vcc_lo, exec_lo, s8
	s_cbranch_vccnz .LBB15_1626
; %bb.1625:
	global_load_b32 v3, v[0:1], off
	s_and_not1_b32 s0, s0, exec_lo
	s_wait_loadcnt 0x0
	v_cmp_neq_f32_e32 vcc_lo, 0, v3
	s_and_b32 s8, vcc_lo, exec_lo
	s_delay_alu instid0(SALU_CYCLE_1)
	s_or_b32 s0, s0, s8
.LBB15_1626:
	s_mov_b32 s8, 0
.LBB15_1627:
	s_delay_alu instid0(SALU_CYCLE_1)
	s_and_not1_b32 vcc_lo, exec_lo, s8
	s_cbranch_vccnz .LBB15_1629
; %bb.1628:
	global_load_u16 v3, v[0:1], off
	s_and_not1_b32 s0, s0, exec_lo
	s_wait_loadcnt 0x0
	v_and_b32_e32 v3, 0x7fff, v3
	s_delay_alu instid0(VALU_DEP_1) | instskip(SKIP_1) | instid1(SALU_CYCLE_1)
	v_cmp_ne_u16_e32 vcc_lo, 0, v3
	s_and_b32 s8, vcc_lo, exec_lo
	s_or_b32 s0, s0, s8
.LBB15_1629:
	s_cbranch_execnz .LBB15_1648
.LBB15_1630:
	s_sext_i32_i16 s0, s12
	s_delay_alu instid0(SALU_CYCLE_1)
	s_cmp_lt_i32 s0, 2
	s_cbranch_scc1 .LBB15_1634
; %bb.1631:
	s_cmp_lt_i32 s0, 3
	s_cbranch_scc1 .LBB15_1635
; %bb.1632:
	s_cmp_gt_i32 s0, 3
	s_cbranch_scc0 .LBB15_1636
; %bb.1633:
	global_load_b64 v[6:7], v[0:1], off
	s_mov_b32 s8, 0
	s_wait_loadcnt 0x0
	v_cmp_ne_u64_e64 s0, 0, v[6:7]
	s_branch .LBB15_1637
.LBB15_1634:
                                        ; implicit-def: $sgpr0
	s_branch .LBB15_1643
.LBB15_1635:
	s_mov_b32 s8, -1
                                        ; implicit-def: $sgpr0
	s_branch .LBB15_1640
.LBB15_1636:
	s_mov_b32 s8, -1
                                        ; implicit-def: $sgpr0
.LBB15_1637:
	s_delay_alu instid0(SALU_CYCLE_1)
	s_and_not1_b32 vcc_lo, exec_lo, s8
	s_cbranch_vccnz .LBB15_1639
; %bb.1638:
	global_load_b32 v3, v[0:1], off
	s_and_not1_b32 s0, s0, exec_lo
	s_wait_loadcnt 0x0
	v_cmp_ne_u32_e32 vcc_lo, 0, v3
	s_and_b32 s8, vcc_lo, exec_lo
	s_delay_alu instid0(SALU_CYCLE_1)
	s_or_b32 s0, s0, s8
.LBB15_1639:
	s_mov_b32 s8, 0
.LBB15_1640:
	s_delay_alu instid0(SALU_CYCLE_1)
	s_and_not1_b32 vcc_lo, exec_lo, s8
	s_cbranch_vccnz .LBB15_1642
; %bb.1641:
	global_load_u16 v3, v[0:1], off
	s_and_not1_b32 s0, s0, exec_lo
	s_wait_loadcnt 0x0
	v_cmp_ne_u16_e32 vcc_lo, 0, v3
	s_and_b32 s8, vcc_lo, exec_lo
	s_delay_alu instid0(SALU_CYCLE_1)
	s_or_b32 s0, s0, s8
.LBB15_1642:
	s_cbranch_execnz .LBB15_1648
.LBB15_1643:
	s_sext_i32_i16 s0, s12
	s_mov_b32 s8, 0
	s_cmp_gt_i32 s0, 0
	s_cbranch_scc0 .LBB15_1645
; %bb.1644:
	global_load_u8 v3, v[0:1], off
	s_wait_loadcnt 0x0
	v_cmp_ne_u16_e64 s0, 0, v3
	s_branch .LBB15_1646
.LBB15_1645:
	s_mov_b32 s8, -1
                                        ; implicit-def: $sgpr0
.LBB15_1646:
	s_delay_alu instid0(SALU_CYCLE_1)
	s_and_not1_b32 vcc_lo, exec_lo, s8
	s_cbranch_vccnz .LBB15_1648
; %bb.1647:
	global_load_u8 v0, v[0:1], off
	s_and_not1_b32 s0, s0, exec_lo
	s_wait_loadcnt 0x0
	v_cmp_ne_u16_e32 vcc_lo, 0, v0
	s_and_b32 s8, vcc_lo, exec_lo
	s_delay_alu instid0(SALU_CYCLE_1)
	s_or_b32 s0, s0, s8
.LBB15_1648:
	s_and_not1_b32 s7, s7, exec_lo
	s_delay_alu instid0(VALU_DEP_1)
	s_and_b32 s0, s0, exec_lo
	s_or_b32 s13, s13, exec_lo
	s_or_b32 s7, s7, s0
.LBB15_1649:
	s_wait_xcnt 0x0
	s_or_b32 exec_lo, exec_lo, s1
	s_mov_b32 s8, 0
	s_mov_b32 s14, 0
	;; [unrolled: 1-line block ×3, first 2 shown]
                                        ; implicit-def: $sgpr9
                                        ; implicit-def: $sgpr1
                                        ; implicit-def: $vgpr0_vgpr1
	s_and_saveexec_b32 s0, s13
	s_cbranch_execnz .LBB15_1653
; %bb.1650:
	s_or_b32 exec_lo, exec_lo, s0
	s_and_saveexec_b32 s0, s48
	s_cbranch_execnz .LBB15_1712
.LBB15_1651:
	s_or_b32 exec_lo, exec_lo, s0
	s_and_saveexec_b32 s0, s8
	s_delay_alu instid0(SALU_CYCLE_1)
	s_xor_b32 s0, exec_lo, s0
	s_cbranch_execnz .LBB15_1713
.LBB15_1652:
	s_or_b32 exec_lo, exec_lo, s0
	s_and_saveexec_b32 s8, s14
	s_cbranch_execnz .LBB15_1714
	s_branch .LBB15_1759
.LBB15_1653:
	v_mov_b32_e32 v5, 0
	s_and_b32 s1, s43, 0xff
	s_delay_alu instid0(SALU_CYCLE_1) | instskip(NEXT) | instid1(VALU_DEP_1)
	s_cmp_lt_i32 s1, 11
	v_add_nc_u64_e32 v[0:1], s[10:11], v[4:5]
	s_cbranch_scc1 .LBB15_1660
; %bb.1654:
	s_and_b32 s10, 0xffff, s1
	s_mov_b32 s11, 0
	s_cmp_gt_i32 s10, 25
	s_cbranch_scc0 .LBB15_1661
; %bb.1655:
	s_cmp_gt_i32 s10, 28
	s_cbranch_scc0 .LBB15_1662
; %bb.1656:
	;; [unrolled: 3-line block ×4, first 2 shown]
	s_cmp_eq_u32 s10, 46
	s_mov_b32 s13, 0
	s_cbranch_scc0 .LBB15_1665
; %bb.1659:
	global_load_b32 v3, v[0:1], off
	s_mov_b32 s12, -1
	s_wait_loadcnt 0x0
	v_and_b32_e32 v3, 0x7fff7fff, v3
	s_delay_alu instid0(VALU_DEP_1)
	v_cmp_ne_u32_e64 s9, 0, v3
	s_branch .LBB15_1667
.LBB15_1660:
	s_mov_b32 s10, -1
	s_mov_b32 s11, 0
	s_mov_b32 s8, s48
                                        ; implicit-def: $sgpr9
	s_branch .LBB15_1711
.LBB15_1661:
	s_mov_b32 s8, s48
                                        ; implicit-def: $sgpr9
	s_cbranch_execnz .LBB15_1688
	s_branch .LBB15_1710
.LBB15_1662:
	s_mov_b32 s13, -1
	s_mov_b32 s8, s48
                                        ; implicit-def: $sgpr9
	s_branch .LBB15_1675
.LBB15_1663:
	s_mov_b32 s13, -1
	s_mov_b32 s8, s48
                                        ; implicit-def: $sgpr9
	s_branch .LBB15_1670
.LBB15_1664:
	s_mov_b32 s13, -1
	s_mov_b32 s8, s48
	s_branch .LBB15_1666
.LBB15_1665:
	s_mov_b32 s8, -1
.LBB15_1666:
                                        ; implicit-def: $sgpr9
.LBB15_1667:
	s_and_b32 vcc_lo, exec_lo, s13
	s_cbranch_vccz .LBB15_1669
; %bb.1668:
	s_cmp_lg_u32 s10, 44
	s_mov_b32 s12, -1
	s_cselect_b32 s13, -1, 0
	s_and_not1_b32 s8, s8, exec_lo
	s_and_b32 s13, s13, exec_lo
	s_or_b32 s9, s9, exec_lo
	s_or_b32 s8, s8, s13
.LBB15_1669:
	s_mov_b32 s13, 0
.LBB15_1670:
	s_delay_alu instid0(SALU_CYCLE_1)
	s_and_b32 vcc_lo, exec_lo, s13
	s_cbranch_vccz .LBB15_1674
; %bb.1671:
	s_cmp_eq_u32 s10, 29
	s_cbranch_scc0 .LBB15_1673
; %bb.1672:
	global_load_b64 v[4:5], v[0:1], off
	s_mov_b32 s8, 0
	s_mov_b32 s12, -1
	s_mov_b32 s13, 0
	s_wait_loadcnt 0x0
	v_cmp_ne_u64_e64 s9, 0, v[4:5]
	s_branch .LBB15_1675
.LBB15_1673:
	s_mov_b32 s8, -1
                                        ; implicit-def: $sgpr9
.LBB15_1674:
	s_mov_b32 s13, 0
.LBB15_1675:
	s_delay_alu instid0(SALU_CYCLE_1)
	s_and_b32 vcc_lo, exec_lo, s13
	s_cbranch_vccz .LBB15_1687
; %bb.1676:
	s_cmp_lt_i32 s10, 27
	s_cbranch_scc1 .LBB15_1679
; %bb.1677:
	s_cmp_gt_i32 s10, 27
	s_cbranch_scc0 .LBB15_1680
; %bb.1678:
	global_load_b32 v3, v[0:1], off
	s_mov_b32 s12, 0
	s_wait_loadcnt 0x0
	v_cmp_ne_u32_e64 s9, 0, v3
	s_branch .LBB15_1681
.LBB15_1679:
	s_mov_b32 s12, -1
                                        ; implicit-def: $sgpr9
	s_branch .LBB15_1684
.LBB15_1680:
	s_mov_b32 s12, -1
                                        ; implicit-def: $sgpr9
.LBB15_1681:
	s_delay_alu instid0(SALU_CYCLE_1)
	s_and_not1_b32 vcc_lo, exec_lo, s12
	s_cbranch_vccnz .LBB15_1683
; %bb.1682:
	global_load_u16 v3, v[0:1], off
	s_and_not1_b32 s9, s9, exec_lo
	s_wait_loadcnt 0x0
	v_cmp_ne_u16_e32 vcc_lo, 0, v3
	s_and_b32 s12, vcc_lo, exec_lo
	s_delay_alu instid0(SALU_CYCLE_1)
	s_or_b32 s9, s9, s12
.LBB15_1683:
	s_mov_b32 s12, 0
.LBB15_1684:
	s_delay_alu instid0(SALU_CYCLE_1)
	s_and_not1_b32 vcc_lo, exec_lo, s12
	s_cbranch_vccnz .LBB15_1686
; %bb.1685:
	global_load_u8 v3, v[0:1], off
	s_and_not1_b32 s9, s9, exec_lo
	s_wait_loadcnt 0x0
	v_cmp_ne_u16_e32 vcc_lo, 0, v3
	s_and_b32 s12, vcc_lo, exec_lo
	s_delay_alu instid0(SALU_CYCLE_1)
	s_or_b32 s9, s9, s12
.LBB15_1686:
	s_mov_b32 s12, -1
.LBB15_1687:
	s_branch .LBB15_1710
.LBB15_1688:
	s_cmp_gt_i32 s10, 22
	s_cbranch_scc0 .LBB15_1692
; %bb.1689:
	s_cmp_lt_i32 s10, 24
	s_cbranch_scc1 .LBB15_1693
; %bb.1690:
	s_cmp_gt_i32 s10, 24
	s_cbranch_scc0 .LBB15_1694
; %bb.1691:
	global_load_u8 v3, v[0:1], off
	s_wait_loadcnt 0x0
	v_cmp_ne_u16_e64 s9, 0, v3
	s_branch .LBB15_1695
.LBB15_1692:
	s_mov_b32 s11, -1
                                        ; implicit-def: $sgpr9
	s_branch .LBB15_1701
.LBB15_1693:
	s_mov_b32 s11, -1
                                        ; implicit-def: $sgpr9
	s_branch .LBB15_1698
.LBB15_1694:
	s_mov_b32 s11, -1
                                        ; implicit-def: $sgpr9
.LBB15_1695:
	s_delay_alu instid0(SALU_CYCLE_1)
	s_and_not1_b32 vcc_lo, exec_lo, s11
	s_cbranch_vccnz .LBB15_1697
; %bb.1696:
	global_load_u8 v3, v[0:1], off
	s_and_not1_b32 s9, s9, exec_lo
	s_wait_loadcnt 0x0
	v_and_b32_e32 v3, 0x7f, v3
	s_delay_alu instid0(VALU_DEP_1) | instskip(SKIP_1) | instid1(SALU_CYCLE_1)
	v_cmp_ne_u16_e32 vcc_lo, 0, v3
	s_and_b32 s11, vcc_lo, exec_lo
	s_or_b32 s9, s9, s11
.LBB15_1697:
	s_mov_b32 s11, 0
.LBB15_1698:
	s_delay_alu instid0(SALU_CYCLE_1)
	s_and_not1_b32 vcc_lo, exec_lo, s11
	s_cbranch_vccnz .LBB15_1700
; %bb.1699:
	global_load_u8 v3, v[0:1], off
	s_and_not1_b32 s9, s9, exec_lo
	s_wait_loadcnt 0x0
	v_dual_lshlrev_b32 v4, 25, v3 :: v_dual_lshlrev_b32 v3, 8, v3
	s_delay_alu instid0(VALU_DEP_1) | instskip(NEXT) | instid1(VALU_DEP_2)
	v_cmp_gt_u32_e32 vcc_lo, 0x8000000, v4
	v_and_or_b32 v3, 0x7f00, v3, 0.5
	s_delay_alu instid0(VALU_DEP_1) | instskip(NEXT) | instid1(VALU_DEP_1)
	v_dual_lshrrev_b32 v5, 4, v4 :: v_dual_add_f32 v3, -0.5, v3
	v_or_b32_e32 v5, 0x70000000, v5
	s_delay_alu instid0(VALU_DEP_1) | instskip(NEXT) | instid1(VALU_DEP_1)
	v_mul_f32_e32 v5, 0x7800000, v5
	v_cndmask_b32_e32 v3, v5, v3, vcc_lo
	s_delay_alu instid0(VALU_DEP_1) | instskip(SKIP_1) | instid1(SALU_CYCLE_1)
	v_cmp_neq_f32_e32 vcc_lo, 0, v3
	s_and_b32 s11, vcc_lo, exec_lo
	s_or_b32 s9, s9, s11
.LBB15_1700:
	s_mov_b32 s11, 0
	s_mov_b32 s12, -1
.LBB15_1701:
	s_and_not1_b32 vcc_lo, exec_lo, s11
	s_mov_b32 s11, 0
	s_cbranch_vccnz .LBB15_1710
; %bb.1702:
	s_cmp_gt_i32 s10, 14
	s_cbranch_scc0 .LBB15_1705
; %bb.1703:
	s_cmp_eq_u32 s10, 15
	s_cbranch_scc0 .LBB15_1706
; %bb.1704:
	global_load_u16 v3, v[0:1], off
	s_mov_b32 s8, 0
	s_mov_b32 s12, -1
	s_wait_loadcnt 0x0
	v_and_b32_e32 v3, 0x7fff, v3
	s_delay_alu instid0(VALU_DEP_1)
	v_cmp_ne_u16_e64 s9, 0, v3
	s_branch .LBB15_1708
.LBB15_1705:
	s_mov_b32 s11, -1
	s_branch .LBB15_1707
.LBB15_1706:
	s_mov_b32 s8, -1
.LBB15_1707:
                                        ; implicit-def: $sgpr9
.LBB15_1708:
	s_and_b32 vcc_lo, exec_lo, s11
	s_mov_b32 s11, 0
	s_cbranch_vccz .LBB15_1710
; %bb.1709:
	s_cmp_lg_u32 s10, 11
	s_mov_b32 s11, -1
	s_cselect_b32 s10, -1, 0
	s_and_not1_b32 s8, s8, exec_lo
	s_and_b32 s10, s10, exec_lo
	s_delay_alu instid0(SALU_CYCLE_1)
	s_or_b32 s8, s8, s10
.LBB15_1710:
	s_mov_b32 s10, 0
.LBB15_1711:
	s_delay_alu instid0(SALU_CYCLE_1)
	s_and_b32 s14, s10, exec_lo
	s_and_not1_b32 s10, s48, exec_lo
	s_and_b32 s13, s8, exec_lo
	s_and_b32 s12, s12, exec_lo
	;; [unrolled: 1-line block ×3, first 2 shown]
	s_or_b32 s48, s10, s13
	s_wait_xcnt 0x0
	s_or_b32 exec_lo, exec_lo, s0
	s_and_saveexec_b32 s0, s48
	s_cbranch_execz .LBB15_1651
.LBB15_1712:
	s_or_b32 s6, s6, exec_lo
	s_and_not1_b32 s12, s12, exec_lo
	s_and_not1_b32 s8, s8, exec_lo
	s_trap 2
	s_or_b32 exec_lo, exec_lo, s0
	s_and_saveexec_b32 s0, s8
	s_delay_alu instid0(SALU_CYCLE_1)
	s_xor_b32 s0, exec_lo, s0
	s_cbranch_execz .LBB15_1652
.LBB15_1713:
	global_load_u8 v3, v[0:1], off
	s_and_not1_b32 s8, s9, exec_lo
	s_or_b32 s12, s12, exec_lo
	s_wait_loadcnt 0x0
	v_cmp_ne_u16_e32 vcc_lo, 0, v3
	s_and_b32 s9, vcc_lo, exec_lo
	s_delay_alu instid0(SALU_CYCLE_1)
	s_or_b32 s9, s8, s9
	s_wait_xcnt 0x0
	s_or_b32 exec_lo, exec_lo, s0
	s_and_saveexec_b32 s8, s14
	s_cbranch_execz .LBB15_1759
.LBB15_1714:
	s_sext_i32_i16 s0, s1
	s_delay_alu instid0(SALU_CYCLE_1)
	s_cmp_lt_i32 s0, 5
	s_cbranch_scc1 .LBB15_1719
; %bb.1715:
	s_cmp_lt_i32 s0, 8
	s_cbranch_scc1 .LBB15_1720
; %bb.1716:
	;; [unrolled: 3-line block ×3, first 2 shown]
	s_cmp_gt_i32 s0, 9
	s_cbranch_scc0 .LBB15_1722
; %bb.1718:
	global_load_b128 v[4:7], v[0:1], off
	s_mov_b32 s10, 0
	s_wait_loadcnt 0x0
	v_cmp_neq_f64_e32 vcc_lo, 0, v[4:5]
	v_cmp_neq_f64_e64 s0, 0, v[6:7]
	s_or_b32 s0, vcc_lo, s0
	s_branch .LBB15_1723
.LBB15_1719:
                                        ; implicit-def: $sgpr0
	s_branch .LBB15_1740
.LBB15_1720:
                                        ; implicit-def: $sgpr0
	s_branch .LBB15_1729
.LBB15_1721:
	s_mov_b32 s10, -1
                                        ; implicit-def: $sgpr0
	s_branch .LBB15_1726
.LBB15_1722:
	s_mov_b32 s10, -1
                                        ; implicit-def: $sgpr0
.LBB15_1723:
	s_delay_alu instid0(SALU_CYCLE_1)
	s_and_not1_b32 vcc_lo, exec_lo, s10
	s_cbranch_vccnz .LBB15_1725
; %bb.1724:
	global_load_b64 v[4:5], v[0:1], off
	s_and_not1_b32 s0, s0, exec_lo
	s_wait_loadcnt 0x0
	v_bitop3_b32 v3, v4, 0x7fffffff, v5 bitop3:0xc8
	s_delay_alu instid0(VALU_DEP_1) | instskip(SKIP_1) | instid1(SALU_CYCLE_1)
	v_cmp_ne_u32_e32 vcc_lo, 0, v3
	s_and_b32 s10, vcc_lo, exec_lo
	s_or_b32 s0, s0, s10
.LBB15_1725:
	s_mov_b32 s10, 0
.LBB15_1726:
	s_delay_alu instid0(SALU_CYCLE_1)
	s_and_not1_b32 vcc_lo, exec_lo, s10
	s_cbranch_vccnz .LBB15_1728
; %bb.1727:
	global_load_b32 v3, v[0:1], off
	s_and_not1_b32 s0, s0, exec_lo
	s_wait_loadcnt 0x0
	v_and_b32_e32 v3, 0x7fff7fff, v3
	s_delay_alu instid0(VALU_DEP_1) | instskip(SKIP_1) | instid1(SALU_CYCLE_1)
	v_cmp_ne_u32_e32 vcc_lo, 0, v3
	s_and_b32 s10, vcc_lo, exec_lo
	s_or_b32 s0, s0, s10
.LBB15_1728:
	s_cbranch_execnz .LBB15_1739
.LBB15_1729:
	s_sext_i32_i16 s0, s1
	s_delay_alu instid0(SALU_CYCLE_1)
	s_cmp_lt_i32 s0, 6
	s_cbranch_scc1 .LBB15_1732
; %bb.1730:
	s_cmp_gt_i32 s0, 6
	s_cbranch_scc0 .LBB15_1733
; %bb.1731:
	global_load_b64 v[4:5], v[0:1], off
	s_mov_b32 s10, 0
	s_wait_loadcnt 0x0
	v_cmp_neq_f64_e64 s0, 0, v[4:5]
	s_branch .LBB15_1734
.LBB15_1732:
	s_mov_b32 s10, -1
                                        ; implicit-def: $sgpr0
	s_branch .LBB15_1737
.LBB15_1733:
	s_mov_b32 s10, -1
                                        ; implicit-def: $sgpr0
.LBB15_1734:
	s_delay_alu instid0(SALU_CYCLE_1)
	s_and_not1_b32 vcc_lo, exec_lo, s10
	s_cbranch_vccnz .LBB15_1736
; %bb.1735:
	global_load_b32 v3, v[0:1], off
	s_and_not1_b32 s0, s0, exec_lo
	s_wait_loadcnt 0x0
	v_cmp_neq_f32_e32 vcc_lo, 0, v3
	s_and_b32 s10, vcc_lo, exec_lo
	s_delay_alu instid0(SALU_CYCLE_1)
	s_or_b32 s0, s0, s10
.LBB15_1736:
	s_mov_b32 s10, 0
.LBB15_1737:
	s_delay_alu instid0(SALU_CYCLE_1)
	s_and_not1_b32 vcc_lo, exec_lo, s10
	s_cbranch_vccnz .LBB15_1739
; %bb.1738:
	global_load_u16 v3, v[0:1], off
	s_and_not1_b32 s0, s0, exec_lo
	s_wait_loadcnt 0x0
	v_and_b32_e32 v3, 0x7fff, v3
	s_delay_alu instid0(VALU_DEP_1) | instskip(SKIP_1) | instid1(SALU_CYCLE_1)
	v_cmp_ne_u16_e32 vcc_lo, 0, v3
	s_and_b32 s10, vcc_lo, exec_lo
	s_or_b32 s0, s0, s10
.LBB15_1739:
	s_cbranch_execnz .LBB15_1758
.LBB15_1740:
	s_sext_i32_i16 s0, s1
	s_delay_alu instid0(SALU_CYCLE_1)
	s_cmp_lt_i32 s0, 2
	s_cbranch_scc1 .LBB15_1744
; %bb.1741:
	s_cmp_lt_i32 s0, 3
	s_cbranch_scc1 .LBB15_1745
; %bb.1742:
	s_cmp_gt_i32 s0, 3
	s_cbranch_scc0 .LBB15_1746
; %bb.1743:
	global_load_b64 v[4:5], v[0:1], off
	s_mov_b32 s10, 0
	s_wait_loadcnt 0x0
	v_cmp_ne_u64_e64 s0, 0, v[4:5]
	s_branch .LBB15_1747
.LBB15_1744:
                                        ; implicit-def: $sgpr0
	s_branch .LBB15_1753
.LBB15_1745:
	s_mov_b32 s10, -1
                                        ; implicit-def: $sgpr0
	s_branch .LBB15_1750
.LBB15_1746:
	s_mov_b32 s10, -1
                                        ; implicit-def: $sgpr0
.LBB15_1747:
	s_delay_alu instid0(SALU_CYCLE_1)
	s_and_not1_b32 vcc_lo, exec_lo, s10
	s_cbranch_vccnz .LBB15_1749
; %bb.1748:
	global_load_b32 v3, v[0:1], off
	s_and_not1_b32 s0, s0, exec_lo
	s_wait_loadcnt 0x0
	v_cmp_ne_u32_e32 vcc_lo, 0, v3
	s_and_b32 s10, vcc_lo, exec_lo
	s_delay_alu instid0(SALU_CYCLE_1)
	s_or_b32 s0, s0, s10
.LBB15_1749:
	s_mov_b32 s10, 0
.LBB15_1750:
	s_delay_alu instid0(SALU_CYCLE_1)
	s_and_not1_b32 vcc_lo, exec_lo, s10
	s_cbranch_vccnz .LBB15_1752
; %bb.1751:
	global_load_u16 v3, v[0:1], off
	s_and_not1_b32 s0, s0, exec_lo
	s_wait_loadcnt 0x0
	v_cmp_ne_u16_e32 vcc_lo, 0, v3
	s_and_b32 s10, vcc_lo, exec_lo
	s_delay_alu instid0(SALU_CYCLE_1)
	s_or_b32 s0, s0, s10
.LBB15_1752:
	s_cbranch_execnz .LBB15_1758
.LBB15_1753:
	s_sext_i32_i16 s0, s1
	s_mov_b32 s1, 0
	s_cmp_gt_i32 s0, 0
	s_cbranch_scc0 .LBB15_1755
; %bb.1754:
	global_load_u8 v3, v[0:1], off
	s_wait_loadcnt 0x0
	v_cmp_ne_u16_e64 s0, 0, v3
	s_branch .LBB15_1756
.LBB15_1755:
	s_mov_b32 s1, -1
                                        ; implicit-def: $sgpr0
.LBB15_1756:
	s_delay_alu instid0(SALU_CYCLE_1)
	s_and_not1_b32 vcc_lo, exec_lo, s1
	s_cbranch_vccnz .LBB15_1758
; %bb.1757:
	global_load_u8 v0, v[0:1], off
	s_and_not1_b32 s0, s0, exec_lo
	s_wait_loadcnt 0x0
	v_cmp_ne_u16_e32 vcc_lo, 0, v0
	s_and_b32 s1, vcc_lo, exec_lo
	s_delay_alu instid0(SALU_CYCLE_1)
	s_or_b32 s0, s0, s1
.LBB15_1758:
	s_and_not1_b32 s1, s9, exec_lo
	s_delay_alu instid0(VALU_DEP_1)
	s_and_b32 s0, s0, exec_lo
	s_or_b32 s12, s12, exec_lo
	s_or_b32 s9, s1, s0
.LBB15_1759:
	s_wait_xcnt 0x0
	s_or_b32 exec_lo, exec_lo, s8
	s_mov_b32 s0, 0
	s_mov_b32 s11, 0
                                        ; implicit-def: $sgpr1
                                        ; implicit-def: $sgpr8
                                        ; implicit-def: $vgpr0_vgpr1
	s_and_saveexec_b32 s10, s12
	s_cbranch_execnz .LBB15_1763
; %bb.1760:
	s_or_b32 exec_lo, exec_lo, s10
	s_and_saveexec_b32 s4, s28
	s_cbranch_execnz .LBB15_1840
.LBB15_1761:
	s_or_b32 exec_lo, exec_lo, s4
	s_and_saveexec_b32 s4, s0
	s_delay_alu instid0(SALU_CYCLE_1)
	s_xor_b32 s0, exec_lo, s4
	s_cbranch_execnz .LBB15_1841
.LBB15_1762:
	s_or_b32 exec_lo, exec_lo, s0
	s_and_saveexec_b32 s0, s11
	s_delay_alu instid0(SALU_CYCLE_1)
	s_xor_b32 s0, exec_lo, s0
	s_cbranch_execnz .LBB15_1842
	s_branch .LBB15_1879
.LBB15_1763:
	v_mov_b32_e32 v3, 0
	s_and_b32 s1, s7, s9
	s_and_b32 s0, s34, s27
	;; [unrolled: 1-line block ×4, first 2 shown]
	v_add_nc_u64_e32 v[0:1], s[4:5], v[2:3]
	s_or_b32 s1, s0, s1
	s_cmp_lt_i32 s8, 11
	s_cbranch_scc1 .LBB15_1770
; %bb.1764:
	s_and_b32 s4, 0xffff, s8
	s_mov_b32 s5, -1
	s_cmp_gt_i32 s4, 25
	s_mov_b32 s0, s28
	s_cbranch_scc0 .LBB15_1798
; %bb.1765:
	s_cmp_gt_i32 s4, 28
	s_mov_b32 s0, s28
	s_cbranch_scc0 .LBB15_1782
; %bb.1766:
	;; [unrolled: 4-line block ×4, first 2 shown]
	s_cmp_eq_u32 s4, 46
	s_mov_b32 s0, -1
	s_cbranch_scc0 .LBB15_1771
; %bb.1769:
	v_cndmask_b32_e64 v2, 0, 1.0, s1
	s_mov_b32 s0, 0
	s_mov_b32 s5, 0
	s_delay_alu instid0(VALU_DEP_1) | instskip(NEXT) | instid1(VALU_DEP_1)
	v_bfe_u32 v3, v2, 16, 1
	v_add3_u32 v2, v2, v3, 0x7fff
	s_delay_alu instid0(VALU_DEP_1)
	v_lshrrev_b32_e32 v2, 16, v2
	global_store_b32 v[0:1], v2, off
	s_branch .LBB15_1772
.LBB15_1770:
	s_mov_b32 s7, 0
	s_mov_b32 s5, -1
	s_mov_b32 s0, s28
	s_branch .LBB15_1839
.LBB15_1771:
	s_mov_b32 s5, 0
.LBB15_1772:
	s_delay_alu instid0(SALU_CYCLE_1)
	s_and_b32 vcc_lo, exec_lo, s5
	s_cbranch_vccz .LBB15_1777
; %bb.1773:
	s_cmp_eq_u32 s4, 44
	s_mov_b32 s0, -1
	s_cbranch_scc0 .LBB15_1777
; %bb.1774:
	v_cndmask_b32_e64 v4, 0, 1.0, s1
	s_mov_b32 s5, exec_lo
	s_wait_xcnt 0x0
	s_delay_alu instid0(VALU_DEP_1) | instskip(NEXT) | instid1(VALU_DEP_1)
	v_dual_mov_b32 v3, 0xff :: v_dual_lshrrev_b32 v2, 23, v4
	v_cmpx_ne_u32_e32 0xff, v2
; %bb.1775:
	v_and_b32_e32 v3, 0x400000, v4
	v_and_or_b32 v4, 0x3fffff, v4, v2
	s_delay_alu instid0(VALU_DEP_2) | instskip(NEXT) | instid1(VALU_DEP_2)
	v_cmp_ne_u32_e32 vcc_lo, 0, v3
	v_cmp_ne_u32_e64 s0, 0, v4
	s_and_b32 s0, vcc_lo, s0
	s_delay_alu instid0(SALU_CYCLE_1) | instskip(NEXT) | instid1(VALU_DEP_1)
	v_cndmask_b32_e64 v3, 0, 1, s0
	v_add_nc_u32_e32 v3, v2, v3
; %bb.1776:
	s_or_b32 exec_lo, exec_lo, s5
	s_mov_b32 s0, 0
	global_store_b8 v[0:1], v3, off
.LBB15_1777:
	s_mov_b32 s5, 0
.LBB15_1778:
	s_delay_alu instid0(SALU_CYCLE_1)
	s_and_b32 vcc_lo, exec_lo, s5
	s_cbranch_vccz .LBB15_1781
; %bb.1779:
	s_cmp_eq_u32 s4, 29
	s_mov_b32 s0, -1
	s_cbranch_scc0 .LBB15_1781
; %bb.1780:
	s_mov_b32 s0, 0
	s_wait_xcnt 0x0
	v_cndmask_b32_e64 v2, 0, 1, s1
	v_mov_b32_e32 v3, s0
	s_mov_b32 s5, 0
	global_store_b64 v[0:1], v[2:3], off
	s_branch .LBB15_1782
.LBB15_1781:
	s_mov_b32 s5, 0
.LBB15_1782:
	s_delay_alu instid0(SALU_CYCLE_1)
	s_and_b32 vcc_lo, exec_lo, s5
	s_cbranch_vccz .LBB15_1797
; %bb.1783:
	s_cmp_lt_i32 s4, 27
	s_mov_b32 s5, -1
	s_cbranch_scc1 .LBB15_1789
; %bb.1784:
	s_cmp_gt_i32 s4, 27
	s_cbranch_scc0 .LBB15_1786
; %bb.1785:
	s_wait_xcnt 0x0
	v_cndmask_b32_e64 v2, 0, 1, s1
	s_mov_b32 s5, 0
	global_store_b32 v[0:1], v2, off
.LBB15_1786:
	s_and_not1_b32 vcc_lo, exec_lo, s5
	s_cbranch_vccnz .LBB15_1788
; %bb.1787:
	s_wait_xcnt 0x0
	v_cndmask_b32_e64 v2, 0, 1, s1
	global_store_b16 v[0:1], v2, off
.LBB15_1788:
	s_mov_b32 s5, 0
.LBB15_1789:
	s_delay_alu instid0(SALU_CYCLE_1)
	s_and_not1_b32 vcc_lo, exec_lo, s5
	s_cbranch_vccnz .LBB15_1797
; %bb.1790:
	s_wait_xcnt 0x0
	v_cndmask_b32_e64 v3, 0, 1.0, s1
	v_mov_b32_e32 v4, 0x80
	s_mov_b32 s5, exec_lo
	s_delay_alu instid0(VALU_DEP_2)
	v_cmpx_gt_u32_e32 0x43800000, v3
	s_cbranch_execz .LBB15_1796
; %bb.1791:
	s_mov_b32 s7, 0
	s_mov_b32 s9, exec_lo
                                        ; implicit-def: $vgpr2
	v_cmpx_lt_u32_e32 0x3bffffff, v3
	s_xor_b32 s9, exec_lo, s9
	s_cbranch_execnz .LBB15_2044
; %bb.1792:
	s_and_not1_saveexec_b32 s9, s9
	s_cbranch_execnz .LBB15_2045
.LBB15_1793:
	s_or_b32 exec_lo, exec_lo, s9
	v_mov_b32_e32 v4, 0
	s_and_saveexec_b32 s9, s7
.LBB15_1794:
	v_mov_b32_e32 v4, v2
.LBB15_1795:
	s_or_b32 exec_lo, exec_lo, s9
.LBB15_1796:
	s_delay_alu instid0(SALU_CYCLE_1)
	s_or_b32 exec_lo, exec_lo, s5
	global_store_b8 v[0:1], v4, off
.LBB15_1797:
	s_mov_b32 s5, 0
.LBB15_1798:
	s_delay_alu instid0(SALU_CYCLE_1)
	s_and_b32 vcc_lo, exec_lo, s5
	s_mov_b32 s5, 0
	s_cbranch_vccz .LBB15_1838
; %bb.1799:
	s_cmp_gt_i32 s4, 22
	s_mov_b32 s7, -1
	s_cbranch_scc0 .LBB15_1831
; %bb.1800:
	s_cmp_lt_i32 s4, 24
	s_cbranch_scc1 .LBB15_1820
; %bb.1801:
	s_cmp_gt_i32 s4, 24
	s_cbranch_scc0 .LBB15_1809
; %bb.1802:
	s_wait_xcnt 0x0
	v_cndmask_b32_e64 v3, 0, 1.0, s1
	v_mov_b32_e32 v4, 0x80
	s_mov_b32 s7, exec_lo
	s_delay_alu instid0(VALU_DEP_2)
	v_cmpx_gt_u32_e32 0x47800000, v3
	s_cbranch_execz .LBB15_1808
; %bb.1803:
	s_mov_b32 s9, 0
	s_mov_b32 s11, exec_lo
                                        ; implicit-def: $vgpr2
	v_cmpx_lt_u32_e32 0x37ffffff, v3
	s_xor_b32 s11, exec_lo, s11
	s_cbranch_execnz .LBB15_2156
; %bb.1804:
	s_and_not1_saveexec_b32 s11, s11
	s_cbranch_execnz .LBB15_2157
.LBB15_1805:
	s_or_b32 exec_lo, exec_lo, s11
	v_mov_b32_e32 v4, 0
	s_and_saveexec_b32 s11, s9
.LBB15_1806:
	v_mov_b32_e32 v4, v2
.LBB15_1807:
	s_or_b32 exec_lo, exec_lo, s11
.LBB15_1808:
	s_delay_alu instid0(SALU_CYCLE_1)
	s_or_b32 exec_lo, exec_lo, s7
	s_mov_b32 s7, 0
	global_store_b8 v[0:1], v4, off
.LBB15_1809:
	s_and_b32 vcc_lo, exec_lo, s7
	s_cbranch_vccz .LBB15_1819
; %bb.1810:
	s_wait_xcnt 0x0
	v_cndmask_b32_e64 v3, 0, 1.0, s1
	s_mov_b32 s7, exec_lo
                                        ; implicit-def: $vgpr2
	s_delay_alu instid0(VALU_DEP_1)
	v_cmpx_gt_u32_e32 0x43f00000, v3
	s_xor_b32 s7, exec_lo, s7
	s_cbranch_execz .LBB15_1816
; %bb.1811:
	s_mov_b32 s9, exec_lo
                                        ; implicit-def: $vgpr2
	v_cmpx_lt_u32_e32 0x3c7fffff, v3
	s_xor_b32 s9, exec_lo, s9
; %bb.1812:
	v_bfe_u32 v2, v3, 20, 1
	s_delay_alu instid0(VALU_DEP_1) | instskip(NEXT) | instid1(VALU_DEP_1)
	v_add3_u32 v2, v3, v2, 0x407ffff
	v_and_b32_e32 v3, 0xff00000, v2
	v_lshrrev_b32_e32 v2, 20, v2
	s_delay_alu instid0(VALU_DEP_2) | instskip(NEXT) | instid1(VALU_DEP_2)
	v_cmp_ne_u32_e32 vcc_lo, 0x7f00000, v3
                                        ; implicit-def: $vgpr3
	v_cndmask_b32_e32 v2, 0x7e, v2, vcc_lo
; %bb.1813:
	s_and_not1_saveexec_b32 s9, s9
; %bb.1814:
	v_add_f32_e32 v2, 0x46800000, v3
; %bb.1815:
	s_or_b32 exec_lo, exec_lo, s9
                                        ; implicit-def: $vgpr3
.LBB15_1816:
	s_and_not1_saveexec_b32 s7, s7
; %bb.1817:
	v_mov_b32_e32 v2, 0x7f
	v_cmp_lt_u32_e32 vcc_lo, 0x7f800000, v3
	s_delay_alu instid0(VALU_DEP_2)
	v_cndmask_b32_e32 v2, 0x7e, v2, vcc_lo
; %bb.1818:
	s_or_b32 exec_lo, exec_lo, s7
	global_store_b8 v[0:1], v2, off
.LBB15_1819:
	s_mov_b32 s7, 0
.LBB15_1820:
	s_delay_alu instid0(SALU_CYCLE_1)
	s_and_not1_b32 vcc_lo, exec_lo, s7
	s_cbranch_vccnz .LBB15_1830
; %bb.1821:
	s_wait_xcnt 0x0
	v_cndmask_b32_e64 v3, 0, 1.0, s1
	s_mov_b32 s7, exec_lo
                                        ; implicit-def: $vgpr2
	s_delay_alu instid0(VALU_DEP_1)
	v_cmpx_gt_u32_e32 0x47800000, v3
	s_xor_b32 s7, exec_lo, s7
	s_cbranch_execz .LBB15_1827
; %bb.1822:
	s_mov_b32 s9, exec_lo
                                        ; implicit-def: $vgpr2
	v_cmpx_lt_u32_e32 0x387fffff, v3
	s_xor_b32 s9, exec_lo, s9
; %bb.1823:
	v_bfe_u32 v2, v3, 21, 1
	s_delay_alu instid0(VALU_DEP_1) | instskip(NEXT) | instid1(VALU_DEP_1)
	v_add3_u32 v2, v3, v2, 0x80fffff
                                        ; implicit-def: $vgpr3
	v_lshrrev_b32_e32 v2, 21, v2
; %bb.1824:
	s_and_not1_saveexec_b32 s9, s9
; %bb.1825:
	v_add_f32_e32 v2, 0x43000000, v3
; %bb.1826:
	s_or_b32 exec_lo, exec_lo, s9
                                        ; implicit-def: $vgpr3
.LBB15_1827:
	s_and_not1_saveexec_b32 s7, s7
; %bb.1828:
	v_mov_b32_e32 v2, 0x7f
	v_cmp_lt_u32_e32 vcc_lo, 0x7f800000, v3
	s_delay_alu instid0(VALU_DEP_2)
	v_cndmask_b32_e32 v2, 0x7c, v2, vcc_lo
; %bb.1829:
	s_or_b32 exec_lo, exec_lo, s7
	global_store_b8 v[0:1], v2, off
.LBB15_1830:
	s_mov_b32 s7, 0
.LBB15_1831:
	s_delay_alu instid0(SALU_CYCLE_1)
	s_and_not1_b32 vcc_lo, exec_lo, s7
	s_mov_b32 s7, 0
	s_cbranch_vccnz .LBB15_1839
; %bb.1832:
	s_cmp_gt_i32 s4, 14
	s_mov_b32 s7, -1
	s_cbranch_scc0 .LBB15_1836
; %bb.1833:
	s_cmp_eq_u32 s4, 15
	s_mov_b32 s0, -1
	s_cbranch_scc0 .LBB15_1835
; %bb.1834:
	s_wait_xcnt 0x0
	v_cndmask_b32_e64 v2, 0, 1.0, s1
	s_mov_b32 s0, 0
	s_delay_alu instid0(VALU_DEP_1) | instskip(NEXT) | instid1(VALU_DEP_1)
	v_bfe_u32 v3, v2, 16, 1
	v_add3_u32 v2, v2, v3, 0x7fff
	global_store_d16_hi_b16 v[0:1], v2, off
.LBB15_1835:
	s_mov_b32 s7, 0
.LBB15_1836:
	s_delay_alu instid0(SALU_CYCLE_1)
	s_and_b32 vcc_lo, exec_lo, s7
	s_mov_b32 s7, 0
	s_cbranch_vccz .LBB15_1839
; %bb.1837:
	s_cmp_lg_u32 s4, 11
	s_mov_b32 s7, -1
	s_cselect_b32 s4, -1, 0
	s_and_not1_b32 s0, s0, exec_lo
	s_and_b32 s4, s4, exec_lo
	s_delay_alu instid0(SALU_CYCLE_1)
	s_or_b32 s0, s0, s4
	s_branch .LBB15_1839
.LBB15_1838:
	s_mov_b32 s7, 0
.LBB15_1839:
	s_and_b32 s11, s5, exec_lo
	s_and_not1_b32 s4, s28, exec_lo
	s_and_b32 s5, s0, exec_lo
	s_and_b32 s0, s7, exec_lo
	s_or_b32 s28, s4, s5
	s_wait_xcnt 0x0
	s_or_b32 exec_lo, exec_lo, s10
	s_and_saveexec_b32 s4, s28
	s_cbranch_execz .LBB15_1761
.LBB15_1840:
	s_or_b32 s6, s6, exec_lo
	s_and_not1_b32 s0, s0, exec_lo
	s_trap 2
	s_or_b32 exec_lo, exec_lo, s4
	s_and_saveexec_b32 s4, s0
	s_delay_alu instid0(SALU_CYCLE_1)
	s_xor_b32 s0, exec_lo, s4
	s_cbranch_execz .LBB15_1762
.LBB15_1841:
	v_cndmask_b32_e64 v2, 0, 1, s1
	global_store_b8 v[0:1], v2, off
	s_wait_xcnt 0x0
	s_or_b32 exec_lo, exec_lo, s0
	s_and_saveexec_b32 s0, s11
	s_delay_alu instid0(SALU_CYCLE_1)
	s_xor_b32 s0, exec_lo, s0
	s_cbranch_execz .LBB15_1879
.LBB15_1842:
	s_sext_i32_i16 s5, s8
	s_mov_b32 s4, -1
	s_cmp_lt_i32 s5, 5
	s_cbranch_scc1 .LBB15_1863
; %bb.1843:
	s_cmp_lt_i32 s5, 8
	s_cbranch_scc1 .LBB15_1853
; %bb.1844:
	;; [unrolled: 3-line block ×3, first 2 shown]
	s_cmp_gt_i32 s5, 9
	s_cbranch_scc0 .LBB15_1847
; %bb.1846:
	v_cndmask_b32_e64 v2, 0, 1, s1
	v_mov_b32_e32 v4, 0
	s_mov_b32 s4, 0
	s_delay_alu instid0(VALU_DEP_2) | instskip(NEXT) | instid1(VALU_DEP_2)
	v_cvt_f64_u32_e32 v[2:3], v2
	v_mov_b32_e32 v5, v4
	global_store_b128 v[0:1], v[2:5], off
.LBB15_1847:
	s_and_not1_b32 vcc_lo, exec_lo, s4
	s_cbranch_vccnz .LBB15_1849
; %bb.1848:
	s_wait_xcnt 0x0
	v_cndmask_b32_e64 v2, 0, 1.0, s1
	v_mov_b32_e32 v3, 0
	global_store_b64 v[0:1], v[2:3], off
.LBB15_1849:
	s_mov_b32 s4, 0
.LBB15_1850:
	s_delay_alu instid0(SALU_CYCLE_1)
	s_and_not1_b32 vcc_lo, exec_lo, s4
	s_cbranch_vccnz .LBB15_1852
; %bb.1851:
	s_wait_xcnt 0x0
	v_cndmask_b32_e64 v2, 0, 1.0, s1
	s_delay_alu instid0(VALU_DEP_1) | instskip(NEXT) | instid1(VALU_DEP_1)
	v_cvt_f16_f32_e32 v2, v2
	v_and_b32_e32 v2, 0xffff, v2
	global_store_b32 v[0:1], v2, off
.LBB15_1852:
	s_mov_b32 s4, 0
.LBB15_1853:
	s_delay_alu instid0(SALU_CYCLE_1)
	s_and_not1_b32 vcc_lo, exec_lo, s4
	s_cbranch_vccnz .LBB15_1862
; %bb.1854:
	s_sext_i32_i16 s5, s8
	s_mov_b32 s4, -1
	s_cmp_lt_i32 s5, 6
	s_cbranch_scc1 .LBB15_1860
; %bb.1855:
	s_cmp_gt_i32 s5, 6
	s_cbranch_scc0 .LBB15_1857
; %bb.1856:
	s_wait_xcnt 0x0
	v_cndmask_b32_e64 v2, 0, 1, s1
	s_mov_b32 s4, 0
	s_delay_alu instid0(VALU_DEP_1)
	v_cvt_f64_u32_e32 v[2:3], v2
	global_store_b64 v[0:1], v[2:3], off
.LBB15_1857:
	s_and_not1_b32 vcc_lo, exec_lo, s4
	s_cbranch_vccnz .LBB15_1859
; %bb.1858:
	s_wait_xcnt 0x0
	v_cndmask_b32_e64 v2, 0, 1.0, s1
	global_store_b32 v[0:1], v2, off
.LBB15_1859:
	s_mov_b32 s4, 0
.LBB15_1860:
	s_delay_alu instid0(SALU_CYCLE_1)
	s_and_not1_b32 vcc_lo, exec_lo, s4
	s_cbranch_vccnz .LBB15_1862
; %bb.1861:
	s_wait_xcnt 0x0
	v_cndmask_b32_e64 v2, 0, 1.0, s1
	s_delay_alu instid0(VALU_DEP_1)
	v_cvt_f16_f32_e32 v2, v2
	global_store_b16 v[0:1], v2, off
.LBB15_1862:
	s_mov_b32 s4, 0
.LBB15_1863:
	s_delay_alu instid0(SALU_CYCLE_1)
	s_and_not1_b32 vcc_lo, exec_lo, s4
	s_cbranch_vccnz .LBB15_1879
; %bb.1864:
	s_sext_i32_i16 s5, s8
	s_mov_b32 s4, -1
	s_cmp_lt_i32 s5, 2
	s_cbranch_scc1 .LBB15_1874
; %bb.1865:
	s_cmp_lt_i32 s5, 3
	s_cbranch_scc1 .LBB15_1871
; %bb.1866:
	s_cmp_gt_i32 s5, 3
	s_cbranch_scc0 .LBB15_1868
; %bb.1867:
	s_mov_b32 s4, 0
	s_wait_xcnt 0x0
	v_cndmask_b32_e64 v2, 0, 1, s1
	v_mov_b32_e32 v3, s4
	global_store_b64 v[0:1], v[2:3], off
.LBB15_1868:
	s_and_not1_b32 vcc_lo, exec_lo, s4
	s_cbranch_vccnz .LBB15_1870
; %bb.1869:
	s_wait_xcnt 0x0
	v_cndmask_b32_e64 v2, 0, 1, s1
	global_store_b32 v[0:1], v2, off
.LBB15_1870:
	s_mov_b32 s4, 0
.LBB15_1871:
	s_delay_alu instid0(SALU_CYCLE_1)
	s_and_not1_b32 vcc_lo, exec_lo, s4
	s_cbranch_vccnz .LBB15_1873
; %bb.1872:
	s_wait_xcnt 0x0
	v_cndmask_b32_e64 v2, 0, 1, s1
	global_store_b16 v[0:1], v2, off
.LBB15_1873:
	s_mov_b32 s4, 0
.LBB15_1874:
	s_delay_alu instid0(SALU_CYCLE_1)
	s_and_not1_b32 vcc_lo, exec_lo, s4
	s_cbranch_vccnz .LBB15_1879
; %bb.1875:
	s_wait_xcnt 0x0
	v_cndmask_b32_e64 v2, 0, 1, s1
	s_sext_i32_i16 s4, s8
	s_mov_b32 s1, -1
	s_cmp_gt_i32 s4, 0
	s_cbranch_scc0 .LBB15_1877
; %bb.1876:
	s_mov_b32 s1, 0
	global_store_b8 v[0:1], v2, off
.LBB15_1877:
	s_and_not1_b32 vcc_lo, exec_lo, s1
	s_cbranch_vccnz .LBB15_1879
; %bb.1878:
	global_store_b8 v[0:1], v2, off
.LBB15_1879:
	s_wait_xcnt 0x0
	s_or_b32 exec_lo, exec_lo, s0
	s_delay_alu instid0(SALU_CYCLE_1)
	s_and_b32 s12, s6, exec_lo
                                        ; implicit-def: $vgpr1
                                        ; implicit-def: $vgpr0
.LBB15_1880:
	s_or_saveexec_b32 s13, s41
	s_mov_b32 s0, 0
                                        ; implicit-def: $sgpr4
                                        ; implicit-def: $vgpr2_vgpr3
                                        ; implicit-def: $sgpr8
	s_xor_b32 exec_lo, exec_lo, s13
	s_cbranch_execz .LBB15_3714
; %bb.1881:
	v_cndmask_b32_e64 v3, 0, 1, s40
	s_and_not1_b32 vcc_lo, exec_lo, s40
	s_cbranch_vccnz .LBB15_1887
; %bb.1882:
	s_cmp_lg_u32 s33, 0
	s_mov_b32 s6, 0
	s_cbranch_scc0 .LBB15_1891
; %bb.1883:
	s_min_u32 s7, s38, 15
	v_dual_mov_b32 v28, 0 :: v_dual_mov_b32 v2, v0
	v_dual_mov_b32 v26, 0 :: v_dual_mov_b32 v6, 0
	v_mov_b32_e32 v30, 0
	s_add_co_i32 s4, s7, 1
	s_mov_b64 s[0:1], 0xffffffffffffffe0
	s_and_b32 s8, s4, 30
	s_add_nc_u64 s[0:1], s[2:3], s[0:1]
	s_mov_b64 s[4:5], s[2:3]
.LBB15_1884:                            ; =>This Inner Loop Header: Depth=1
	s_clause 0x1
	s_load_b128 s[24:27], s[4:5], 0x4
	s_load_b64 s[10:11], s[4:5], 0x14
	s_load_b256 s[16:23], s[0:1], 0xe4
	s_add_co_i32 s8, s8, -2
	s_wait_xcnt 0x0
	s_add_nc_u64 s[4:5], s[4:5], 24
	s_cmp_lg_u32 s8, 0
	s_add_nc_u64 s[0:1], s[0:1], 32
	s_wait_kmcnt 0x0
	v_mul_hi_u32 v4, s25, v2
	s_delay_alu instid0(VALU_DEP_1) | instskip(NEXT) | instid1(VALU_DEP_1)
	v_add_nc_u32_e32 v4, v2, v4
	v_lshrrev_b32_e32 v4, s26, v4
	s_delay_alu instid0(VALU_DEP_1) | instskip(SKIP_1) | instid1(VALU_DEP_1)
	v_mul_hi_u32 v5, s10, v4
	v_mul_lo_u32 v7, v4, s24
	v_dual_add_nc_u32 v5, v4, v5 :: v_dual_sub_nc_u32 v7, v2, v7
	s_delay_alu instid0(VALU_DEP_1) | instskip(NEXT) | instid1(VALU_DEP_2)
	v_lshrrev_b32_e32 v2, s11, v5
	v_mad_u32 v8, v7, s17, v30
	v_mad_u32 v6, v7, s16, v6
	;; [unrolled: 1-line block ×4, first 2 shown]
	v_mul_lo_u32 v5, v2, s27
	s_delay_alu instid0(VALU_DEP_1) | instskip(NEXT) | instid1(VALU_DEP_1)
	v_sub_nc_u32_e32 v4, v4, v5
	v_mad_u32 v30, v4, s21, v8
	v_mad_u32 v6, v4, s20, v6
	;; [unrolled: 1-line block ×4, first 2 shown]
	s_cbranch_scc1 .LBB15_1884
; %bb.1885:
	s_bitcmp1_b32 s7, 0
	s_cselect_b32 s7, -1, 0
	s_delay_alu instid0(SALU_CYCLE_1)
	s_and_b32 vcc_lo, exec_lo, s7
	s_cbranch_vccnz .LBB15_1888
; %bb.1886:
	s_load_b96 s[16:18], s[4:5], 0x4
	s_load_b128 s[8:11], s[0:1], 0xe4
	s_wait_kmcnt 0x0
	v_mul_hi_u32 v4, s17, v2
	s_delay_alu instid0(VALU_DEP_1) | instskip(NEXT) | instid1(VALU_DEP_1)
	v_add_nc_u32_e32 v4, v2, v4
	v_lshrrev_b32_e32 v4, s18, v4
	s_delay_alu instid0(VALU_DEP_1) | instskip(NEXT) | instid1(VALU_DEP_1)
	v_mul_lo_u32 v4, v4, s16
	v_sub_nc_u32_e32 v2, v2, v4
	s_delay_alu instid0(VALU_DEP_1)
	v_mad_u32 v6, v2, s8, v6
	v_mad_u32 v30, v2, s9, v30
	;; [unrolled: 1-line block ×4, first 2 shown]
	s_and_not1_b32 vcc_lo, exec_lo, s6
	s_cbranch_vccz .LBB15_1889
	s_branch .LBB15_1892
.LBB15_1887:
	s_mov_b32 s6, -1
                                        ; implicit-def: $vgpr30
                                        ; implicit-def: $vgpr6
                                        ; implicit-def: $vgpr26
                                        ; implicit-def: $vgpr28
.LBB15_1888:
	s_delay_alu instid0(SALU_CYCLE_1)
	s_and_not1_b32 vcc_lo, exec_lo, s6
	s_cbranch_vccnz .LBB15_1892
.LBB15_1889:
	s_clause 0x1
	s_load_b96 s[8:10], s[2:3], 0x4
	s_load_b128 s[4:7], s[2:3], 0xc4
	s_cmp_lt_u32 s33, 2
	s_wait_kmcnt 0x0
	v_mul_hi_u32 v2, s9, v0
	s_delay_alu instid0(VALU_DEP_1) | instskip(NEXT) | instid1(VALU_DEP_1)
	v_add_nc_u32_e32 v2, v0, v2
	v_lshrrev_b32_e32 v2, s10, v2
	s_delay_alu instid0(VALU_DEP_1) | instskip(NEXT) | instid1(VALU_DEP_1)
	v_mul_lo_u32 v4, v2, s8
	v_sub_nc_u32_e32 v4, v0, v4
	s_delay_alu instid0(VALU_DEP_1)
	v_mul_lo_u32 v30, v4, s5
	v_mul_lo_u32 v6, v4, s4
	;; [unrolled: 1-line block ×4, first 2 shown]
	s_cbranch_scc1 .LBB15_1892
; %bb.1890:
	s_clause 0x1
	s_load_b96 s[8:10], s[2:3], 0x10
	s_load_b128 s[4:7], s[2:3], 0xd4
	s_wait_kmcnt 0x0
	v_mul_hi_u32 v4, s9, v2
	s_delay_alu instid0(VALU_DEP_1) | instskip(NEXT) | instid1(VALU_DEP_1)
	v_add_nc_u32_e32 v4, v2, v4
	v_lshrrev_b32_e32 v4, s10, v4
	s_delay_alu instid0(VALU_DEP_1) | instskip(NEXT) | instid1(VALU_DEP_1)
	v_mul_lo_u32 v4, v4, s8
	v_sub_nc_u32_e32 v2, v2, v4
	s_delay_alu instid0(VALU_DEP_1)
	v_mad_u32 v6, v2, s4, v6
	v_mad_u32 v30, v2, s5, v30
	;; [unrolled: 1-line block ×4, first 2 shown]
	s_branch .LBB15_1892
.LBB15_1891:
	v_dual_mov_b32 v30, 0 :: v_dual_mov_b32 v6, 0
	v_dual_mov_b32 v26, 0 :: v_dual_mov_b32 v28, 0
	s_and_not1_b32 vcc_lo, exec_lo, s6
	s_cbranch_vccz .LBB15_1889
.LBB15_1892:
	v_cmp_ne_u32_e32 vcc_lo, 1, v3
	v_add_nc_u32_e32 v2, 0x80, v0
	s_cbranch_vccnz .LBB15_1898
; %bb.1893:
	s_cmp_lg_u32 s33, 0
	s_mov_b32 s6, 0
	s_cbranch_scc0 .LBB15_1902
; %bb.1894:
	s_min_u32 s7, s38, 15
	v_dual_mov_b32 v22, 0 :: v_dual_mov_b32 v5, v2
	v_dual_mov_b32 v20, 0 :: v_dual_mov_b32 v4, 0
	v_mov_b32_e32 v24, 0
	s_add_co_i32 s4, s7, 1
	s_mov_b64 s[0:1], 0xffffffffffffffe0
	s_and_b32 s8, s4, 30
	s_add_nc_u64 s[0:1], s[2:3], s[0:1]
	s_mov_b64 s[4:5], s[2:3]
.LBB15_1895:                            ; =>This Inner Loop Header: Depth=1
	s_clause 0x1
	s_load_b128 s[24:27], s[4:5], 0x4
	s_load_b64 s[10:11], s[4:5], 0x14
	s_load_b256 s[16:23], s[0:1], 0xe4
	s_add_co_i32 s8, s8, -2
	s_wait_xcnt 0x0
	s_add_nc_u64 s[4:5], s[4:5], 24
	s_cmp_lg_u32 s8, 0
	s_add_nc_u64 s[0:1], s[0:1], 32
	s_wait_kmcnt 0x0
	v_mul_hi_u32 v7, s25, v5
	s_delay_alu instid0(VALU_DEP_1) | instskip(NEXT) | instid1(VALU_DEP_1)
	v_add_nc_u32_e32 v7, v5, v7
	v_lshrrev_b32_e32 v7, s26, v7
	s_delay_alu instid0(VALU_DEP_1) | instskip(SKIP_1) | instid1(VALU_DEP_1)
	v_mul_hi_u32 v8, s10, v7
	v_mul_lo_u32 v9, v7, s24
	v_dual_add_nc_u32 v8, v7, v8 :: v_dual_sub_nc_u32 v9, v5, v9
	s_delay_alu instid0(VALU_DEP_1) | instskip(NEXT) | instid1(VALU_DEP_2)
	v_lshrrev_b32_e32 v5, s11, v8
	v_mad_u32 v10, v9, s17, v24
	v_mad_u32 v4, v9, s16, v4
	;; [unrolled: 1-line block ×4, first 2 shown]
	v_mul_lo_u32 v8, v5, s27
	s_delay_alu instid0(VALU_DEP_1) | instskip(NEXT) | instid1(VALU_DEP_1)
	v_sub_nc_u32_e32 v7, v7, v8
	v_mad_u32 v24, v7, s21, v10
	v_mad_u32 v4, v7, s20, v4
	;; [unrolled: 1-line block ×4, first 2 shown]
	s_cbranch_scc1 .LBB15_1895
; %bb.1896:
	s_bitcmp1_b32 s7, 0
	s_cselect_b32 s7, -1, 0
	s_delay_alu instid0(SALU_CYCLE_1)
	s_and_b32 vcc_lo, exec_lo, s7
	s_cbranch_vccnz .LBB15_1899
; %bb.1897:
	s_load_b96 s[16:18], s[4:5], 0x4
	s_load_b128 s[8:11], s[0:1], 0xe4
	s_wait_kmcnt 0x0
	v_mul_hi_u32 v7, s17, v5
	s_delay_alu instid0(VALU_DEP_1) | instskip(NEXT) | instid1(VALU_DEP_1)
	v_add_nc_u32_e32 v7, v5, v7
	v_lshrrev_b32_e32 v7, s18, v7
	s_delay_alu instid0(VALU_DEP_1) | instskip(NEXT) | instid1(VALU_DEP_1)
	v_mul_lo_u32 v7, v7, s16
	v_sub_nc_u32_e32 v5, v5, v7
	s_delay_alu instid0(VALU_DEP_1)
	v_mad_u32 v4, v5, s8, v4
	v_mad_u32 v24, v5, s9, v24
	;; [unrolled: 1-line block ×4, first 2 shown]
	s_and_not1_b32 vcc_lo, exec_lo, s6
	s_cbranch_vccz .LBB15_1900
	s_branch .LBB15_1903
.LBB15_1898:
	s_mov_b32 s6, -1
                                        ; implicit-def: $vgpr24
                                        ; implicit-def: $vgpr4
                                        ; implicit-def: $vgpr20
                                        ; implicit-def: $vgpr22
.LBB15_1899:
	s_delay_alu instid0(SALU_CYCLE_1)
	s_and_not1_b32 vcc_lo, exec_lo, s6
	s_cbranch_vccnz .LBB15_1903
.LBB15_1900:
	s_clause 0x1
	s_load_b96 s[8:10], s[2:3], 0x4
	s_load_b128 s[4:7], s[2:3], 0xc4
	s_cmp_lt_u32 s33, 2
	s_wait_kmcnt 0x0
	v_mul_hi_u32 v4, s9, v2
	s_delay_alu instid0(VALU_DEP_1) | instskip(NEXT) | instid1(VALU_DEP_1)
	v_add_nc_u32_e32 v4, v2, v4
	v_lshrrev_b32_e32 v5, s10, v4
	s_delay_alu instid0(VALU_DEP_1) | instskip(NEXT) | instid1(VALU_DEP_1)
	v_mul_lo_u32 v4, v5, s8
	v_sub_nc_u32_e32 v2, v2, v4
	s_delay_alu instid0(VALU_DEP_1)
	v_mul_lo_u32 v24, v2, s5
	v_mul_lo_u32 v4, v2, s4
	;; [unrolled: 1-line block ×4, first 2 shown]
	s_cbranch_scc1 .LBB15_1903
; %bb.1901:
	s_clause 0x1
	s_load_b96 s[8:10], s[2:3], 0x10
	s_load_b128 s[4:7], s[2:3], 0xd4
	s_wait_kmcnt 0x0
	v_mul_hi_u32 v2, s9, v5
	s_delay_alu instid0(VALU_DEP_1) | instskip(NEXT) | instid1(VALU_DEP_1)
	v_add_nc_u32_e32 v2, v5, v2
	v_lshrrev_b32_e32 v2, s10, v2
	s_delay_alu instid0(VALU_DEP_1) | instskip(NEXT) | instid1(VALU_DEP_1)
	v_mul_lo_u32 v2, v2, s8
	v_sub_nc_u32_e32 v2, v5, v2
	s_delay_alu instid0(VALU_DEP_1)
	v_mad_u32 v4, v2, s4, v4
	v_mad_u32 v24, v2, s5, v24
	;; [unrolled: 1-line block ×4, first 2 shown]
	s_branch .LBB15_1903
.LBB15_1902:
	v_dual_mov_b32 v24, 0 :: v_dual_mov_b32 v4, 0
	v_dual_mov_b32 v20, 0 :: v_dual_mov_b32 v22, 0
	s_and_not1_b32 vcc_lo, exec_lo, s6
	s_cbranch_vccz .LBB15_1900
.LBB15_1903:
	v_cmp_ne_u32_e32 vcc_lo, 1, v3
	v_add_nc_u32_e32 v0, 0x100, v0
	s_cbranch_vccnz .LBB15_1909
; %bb.1904:
	s_cmp_lg_u32 s33, 0
	s_mov_b32 s6, 0
	s_cbranch_scc0 .LBB15_1913
; %bb.1905:
	s_min_u32 s7, s38, 15
	v_dual_mov_b32 v16, 0 :: v_dual_mov_b32 v5, v0
	v_dual_mov_b32 v14, 0 :: v_dual_mov_b32 v2, 0
	v_mov_b32_e32 v18, 0
	s_add_co_i32 s4, s7, 1
	s_mov_b64 s[0:1], 0xffffffffffffffe0
	s_and_b32 s8, s4, 30
	s_add_nc_u64 s[0:1], s[2:3], s[0:1]
	s_mov_b64 s[4:5], s[2:3]
.LBB15_1906:                            ; =>This Inner Loop Header: Depth=1
	s_clause 0x1
	s_load_b128 s[24:27], s[4:5], 0x4
	s_load_b64 s[10:11], s[4:5], 0x14
	s_load_b256 s[16:23], s[0:1], 0xe4
	s_add_co_i32 s8, s8, -2
	s_wait_xcnt 0x0
	s_add_nc_u64 s[4:5], s[4:5], 24
	s_cmp_lg_u32 s8, 0
	s_add_nc_u64 s[0:1], s[0:1], 32
	s_wait_kmcnt 0x0
	v_mul_hi_u32 v7, s25, v5
	s_delay_alu instid0(VALU_DEP_1) | instskip(NEXT) | instid1(VALU_DEP_1)
	v_add_nc_u32_e32 v7, v5, v7
	v_lshrrev_b32_e32 v7, s26, v7
	s_delay_alu instid0(VALU_DEP_1) | instskip(SKIP_1) | instid1(VALU_DEP_1)
	v_mul_hi_u32 v8, s10, v7
	v_mul_lo_u32 v9, v7, s24
	v_dual_add_nc_u32 v8, v7, v8 :: v_dual_sub_nc_u32 v9, v5, v9
	s_delay_alu instid0(VALU_DEP_1) | instskip(NEXT) | instid1(VALU_DEP_2)
	v_lshrrev_b32_e32 v5, s11, v8
	v_mad_u32 v10, v9, s17, v18
	v_mad_u32 v2, v9, s16, v2
	v_mad_u32 v11, v9, s19, v14
	v_mad_u32 v9, v9, s18, v16
	v_mul_lo_u32 v8, v5, s27
	s_delay_alu instid0(VALU_DEP_1) | instskip(NEXT) | instid1(VALU_DEP_1)
	v_sub_nc_u32_e32 v7, v7, v8
	v_mad_u32 v18, v7, s21, v10
	v_mad_u32 v2, v7, s20, v2
	;; [unrolled: 1-line block ×4, first 2 shown]
	s_cbranch_scc1 .LBB15_1906
; %bb.1907:
	s_bitcmp1_b32 s7, 0
	s_cselect_b32 s7, -1, 0
	s_delay_alu instid0(SALU_CYCLE_1)
	s_and_b32 vcc_lo, exec_lo, s7
	s_cbranch_vccnz .LBB15_1910
; %bb.1908:
	s_load_b96 s[16:18], s[4:5], 0x4
	s_load_b128 s[8:11], s[0:1], 0xe4
	s_wait_kmcnt 0x0
	v_mul_hi_u32 v7, s17, v5
	s_delay_alu instid0(VALU_DEP_1) | instskip(NEXT) | instid1(VALU_DEP_1)
	v_add_nc_u32_e32 v7, v5, v7
	v_lshrrev_b32_e32 v7, s18, v7
	s_delay_alu instid0(VALU_DEP_1) | instskip(NEXT) | instid1(VALU_DEP_1)
	v_mul_lo_u32 v7, v7, s16
	v_sub_nc_u32_e32 v5, v5, v7
	s_delay_alu instid0(VALU_DEP_1)
	v_mad_u32 v2, v5, s8, v2
	v_mad_u32 v18, v5, s9, v18
	;; [unrolled: 1-line block ×4, first 2 shown]
	s_and_not1_b32 vcc_lo, exec_lo, s6
	s_cbranch_vccz .LBB15_1911
	s_branch .LBB15_1914
.LBB15_1909:
	s_mov_b32 s6, -1
                                        ; implicit-def: $vgpr18
                                        ; implicit-def: $vgpr2
                                        ; implicit-def: $vgpr14
                                        ; implicit-def: $vgpr16
.LBB15_1910:
	s_delay_alu instid0(SALU_CYCLE_1)
	s_and_not1_b32 vcc_lo, exec_lo, s6
	s_cbranch_vccnz .LBB15_1914
.LBB15_1911:
	s_clause 0x1
	s_load_b96 s[8:10], s[2:3], 0x4
	s_load_b128 s[4:7], s[2:3], 0xc4
	s_cmp_lt_u32 s33, 2
	s_wait_kmcnt 0x0
	v_mul_hi_u32 v2, s9, v0
	s_delay_alu instid0(VALU_DEP_1) | instskip(NEXT) | instid1(VALU_DEP_1)
	v_add_nc_u32_e32 v2, v0, v2
	v_lshrrev_b32_e32 v5, s10, v2
	s_delay_alu instid0(VALU_DEP_1) | instskip(NEXT) | instid1(VALU_DEP_1)
	v_mul_lo_u32 v2, v5, s8
	v_sub_nc_u32_e32 v0, v0, v2
	s_delay_alu instid0(VALU_DEP_1)
	v_mul_lo_u32 v18, v0, s5
	v_mul_lo_u32 v2, v0, s4
	v_mul_lo_u32 v14, v0, s7
	v_mul_lo_u32 v16, v0, s6
	s_cbranch_scc1 .LBB15_1914
; %bb.1912:
	s_clause 0x1
	s_load_b96 s[8:10], s[2:3], 0x10
	s_load_b128 s[4:7], s[2:3], 0xd4
	s_wait_kmcnt 0x0
	v_mul_hi_u32 v0, s9, v5
	s_delay_alu instid0(VALU_DEP_1) | instskip(NEXT) | instid1(VALU_DEP_1)
	v_add_nc_u32_e32 v0, v5, v0
	v_lshrrev_b32_e32 v0, s10, v0
	s_delay_alu instid0(VALU_DEP_1) | instskip(NEXT) | instid1(VALU_DEP_1)
	v_mul_lo_u32 v0, v0, s8
	v_sub_nc_u32_e32 v0, v5, v0
	s_delay_alu instid0(VALU_DEP_1)
	v_mad_u32 v2, v0, s4, v2
	v_mad_u32 v18, v0, s5, v18
	v_mad_u32 v16, v0, s6, v16
	v_mad_u32 v14, v0, s7, v14
	s_branch .LBB15_1914
.LBB15_1913:
	v_dual_mov_b32 v18, 0 :: v_dual_mov_b32 v2, 0
	v_dual_mov_b32 v14, 0 :: v_dual_mov_b32 v16, 0
	s_and_not1_b32 vcc_lo, exec_lo, s6
	s_cbranch_vccz .LBB15_1911
.LBB15_1914:
	v_cmp_ne_u32_e32 vcc_lo, 1, v3
	s_cbranch_vccnz .LBB15_1920
; %bb.1915:
	s_cmp_lg_u32 s33, 0
	s_mov_b32 s6, 0
	s_cbranch_scc0 .LBB15_1924
; %bb.1916:
	s_min_u32 s7, s38, 15
	v_dual_mov_b32 v10, 0 :: v_dual_mov_b32 v3, v1
	v_dual_mov_b32 v8, 0 :: v_dual_mov_b32 v0, 0
	v_mov_b32_e32 v12, 0
	s_add_co_i32 s4, s7, 1
	s_mov_b64 s[0:1], 0xffffffffffffffe0
	s_and_b32 s8, s4, 30
	s_add_nc_u64 s[0:1], s[2:3], s[0:1]
	s_mov_b64 s[4:5], s[2:3]
.LBB15_1917:                            ; =>This Inner Loop Header: Depth=1
	s_clause 0x1
	s_load_b128 s[24:27], s[4:5], 0x4
	s_load_b64 s[10:11], s[4:5], 0x14
	s_load_b256 s[16:23], s[0:1], 0xe4
	s_add_co_i32 s8, s8, -2
	s_wait_xcnt 0x0
	s_add_nc_u64 s[4:5], s[4:5], 24
	s_cmp_lg_u32 s8, 0
	s_add_nc_u64 s[0:1], s[0:1], 32
	s_wait_kmcnt 0x0
	v_mul_hi_u32 v5, s25, v3
	s_delay_alu instid0(VALU_DEP_1) | instskip(NEXT) | instid1(VALU_DEP_1)
	v_add_nc_u32_e32 v5, v3, v5
	v_lshrrev_b32_e32 v5, s26, v5
	s_delay_alu instid0(VALU_DEP_1) | instskip(SKIP_1) | instid1(VALU_DEP_1)
	v_mul_hi_u32 v7, s10, v5
	v_mul_lo_u32 v9, v5, s24
	v_dual_add_nc_u32 v7, v5, v7 :: v_dual_sub_nc_u32 v9, v3, v9
	s_delay_alu instid0(VALU_DEP_1) | instskip(NEXT) | instid1(VALU_DEP_2)
	v_lshrrev_b32_e32 v3, s11, v7
	v_mad_u32 v11, v9, s17, v12
	v_mad_u32 v0, v9, s16, v0
	;; [unrolled: 1-line block ×4, first 2 shown]
	v_mul_lo_u32 v7, v3, s27
	s_delay_alu instid0(VALU_DEP_1) | instskip(NEXT) | instid1(VALU_DEP_1)
	v_sub_nc_u32_e32 v5, v5, v7
	v_mad_u32 v12, v5, s21, v11
	v_mad_u32 v0, v5, s20, v0
	;; [unrolled: 1-line block ×4, first 2 shown]
	s_cbranch_scc1 .LBB15_1917
; %bb.1918:
	s_bitcmp1_b32 s7, 0
	s_cselect_b32 s7, -1, 0
	s_delay_alu instid0(SALU_CYCLE_1)
	s_and_b32 vcc_lo, exec_lo, s7
	s_cbranch_vccnz .LBB15_1921
; %bb.1919:
	s_load_b96 s[16:18], s[4:5], 0x4
	s_load_b128 s[8:11], s[0:1], 0xe4
	s_wait_kmcnt 0x0
	v_mul_hi_u32 v5, s17, v3
	s_delay_alu instid0(VALU_DEP_1) | instskip(NEXT) | instid1(VALU_DEP_1)
	v_add_nc_u32_e32 v5, v3, v5
	v_lshrrev_b32_e32 v5, s18, v5
	s_delay_alu instid0(VALU_DEP_1) | instskip(NEXT) | instid1(VALU_DEP_1)
	v_mul_lo_u32 v5, v5, s16
	v_sub_nc_u32_e32 v3, v3, v5
	s_delay_alu instid0(VALU_DEP_1)
	v_mad_u32 v0, v3, s8, v0
	v_mad_u32 v12, v3, s9, v12
	;; [unrolled: 1-line block ×4, first 2 shown]
	s_and_not1_b32 vcc_lo, exec_lo, s6
	s_cbranch_vccz .LBB15_1922
	s_branch .LBB15_1925
.LBB15_1920:
	s_mov_b32 s6, -1
                                        ; implicit-def: $vgpr12
                                        ; implicit-def: $vgpr0
                                        ; implicit-def: $vgpr8
                                        ; implicit-def: $vgpr10
.LBB15_1921:
	s_delay_alu instid0(SALU_CYCLE_1)
	s_and_not1_b32 vcc_lo, exec_lo, s6
	s_cbranch_vccnz .LBB15_1925
.LBB15_1922:
	s_clause 0x1
	s_load_b96 s[8:10], s[2:3], 0x4
	s_load_b128 s[4:7], s[2:3], 0xc4
	s_cmp_lt_u32 s33, 2
	s_wait_kmcnt 0x0
	v_mul_hi_u32 v0, s9, v1
	s_delay_alu instid0(VALU_DEP_1) | instskip(NEXT) | instid1(VALU_DEP_1)
	v_add_nc_u32_e32 v0, v1, v0
	v_lshrrev_b32_e32 v3, s10, v0
	s_delay_alu instid0(VALU_DEP_1) | instskip(NEXT) | instid1(VALU_DEP_1)
	v_mul_lo_u32 v0, v3, s8
	v_sub_nc_u32_e32 v1, v1, v0
	s_delay_alu instid0(VALU_DEP_1)
	v_mul_lo_u32 v12, v1, s5
	v_mul_lo_u32 v0, v1, s4
	;; [unrolled: 1-line block ×4, first 2 shown]
	s_cbranch_scc1 .LBB15_1925
; %bb.1923:
	s_clause 0x1
	s_load_b96 s[8:10], s[2:3], 0x10
	s_load_b128 s[4:7], s[2:3], 0xd4
	s_wait_kmcnt 0x0
	v_mul_hi_u32 v1, s9, v3
	s_delay_alu instid0(VALU_DEP_1) | instskip(NEXT) | instid1(VALU_DEP_1)
	v_add_nc_u32_e32 v1, v3, v1
	v_lshrrev_b32_e32 v1, s10, v1
	s_delay_alu instid0(VALU_DEP_1) | instskip(NEXT) | instid1(VALU_DEP_1)
	v_mul_lo_u32 v1, v1, s8
	v_sub_nc_u32_e32 v1, v3, v1
	s_delay_alu instid0(VALU_DEP_1)
	v_mad_u32 v0, v1, s4, v0
	v_mad_u32 v12, v1, s5, v12
	;; [unrolled: 1-line block ×4, first 2 shown]
	s_branch .LBB15_1925
.LBB15_1924:
	v_dual_mov_b32 v12, 0 :: v_dual_mov_b32 v0, 0
	v_dual_mov_b32 v8, 0 :: v_dual_mov_b32 v10, 0
	s_and_not1_b32 vcc_lo, exec_lo, s6
	s_cbranch_vccz .LBB15_1922
.LBB15_1925:
	v_mov_b32_e32 v31, 0
	s_load_b128 s[4:7], s[2:3], 0x1c8
	global_load_u8 v1, v31, s[2:3] offset:491
	s_wait_kmcnt 0x0
	v_add_nc_u64_e32 v[30:31], s[6:7], v[30:31]
	s_wait_loadcnt 0x0
	v_and_b32_e32 v3, 0xffff, v1
	v_readfirstlane_b32 s16, v1
	s_delay_alu instid0(VALU_DEP_2)
	v_cmp_gt_i32_e32 vcc_lo, 11, v3
	s_cbranch_vccnz .LBB15_1932
; %bb.1926:
	s_and_b32 s0, 0xffff, s16
	s_mov_b32 s9, 0
	s_cmp_gt_i32 s0, 25
	s_cbranch_scc0 .LBB15_1934
; %bb.1927:
	s_cmp_gt_i32 s0, 28
	s_cbranch_scc0 .LBB15_1935
; %bb.1928:
	;; [unrolled: 3-line block ×4, first 2 shown]
	s_cmp_eq_u32 s0, 46
	s_mov_b32 s10, 0
	s_cbranch_scc0 .LBB15_1938
; %bb.1931:
	global_load_b32 v1, v[30:31], off
	s_mov_b32 s1, 0
	s_mov_b32 s8, -1
	s_wait_loadcnt 0x0
	v_and_b32_e32 v1, 0x7fff7fff, v1
	s_delay_alu instid0(VALU_DEP_1)
	v_cmp_ne_u32_e64 s14, 0, v1
	s_branch .LBB15_1940
.LBB15_1932:
	s_mov_b32 s8, 0
	s_mov_b32 s1, s12
                                        ; implicit-def: $sgpr14
	s_cbranch_execnz .LBB15_1985
.LBB15_1933:
	s_and_not1_b32 vcc_lo, exec_lo, s8
	s_cbranch_vccz .LBB15_2030
	s_branch .LBB15_3712
.LBB15_1934:
	s_mov_b32 s8, 0
	s_mov_b32 s1, 0
                                        ; implicit-def: $sgpr14
	s_cbranch_execnz .LBB15_1960
	s_branch .LBB15_1981
.LBB15_1935:
	s_mov_b32 s10, -1
	s_mov_b32 s8, 0
	s_mov_b32 s1, 0
                                        ; implicit-def: $sgpr14
	s_branch .LBB15_1947
.LBB15_1936:
	s_mov_b32 s8, 0
	s_mov_b32 s1, 0
                                        ; implicit-def: $sgpr14
	s_cbranch_execnz .LBB15_1943
	s_branch .LBB15_1946
.LBB15_1937:
	s_mov_b32 s10, -1
	s_mov_b32 s8, 0
	s_mov_b32 s1, 0
	s_branch .LBB15_1939
.LBB15_1938:
	s_mov_b32 s1, -1
	s_mov_b32 s8, 0
.LBB15_1939:
                                        ; implicit-def: $sgpr14
.LBB15_1940:
	s_and_b32 vcc_lo, exec_lo, s10
	s_cbranch_vccz .LBB15_1942
; %bb.1941:
	s_cmp_lg_u32 s0, 44
	s_mov_b32 s8, -1
	s_cselect_b32 s1, -1, 0
	s_or_b32 s14, s14, exec_lo
.LBB15_1942:
	s_branch .LBB15_1946
.LBB15_1943:
	s_cmp_eq_u32 s0, 29
	s_cbranch_scc0 .LBB15_1945
; %bb.1944:
	global_load_b64 v[32:33], v[30:31], off
	s_mov_b32 s1, 0
	s_mov_b32 s8, -1
	s_mov_b32 s10, 0
	s_wait_loadcnt 0x0
	v_cmp_ne_u64_e64 s14, 0, v[32:33]
	s_branch .LBB15_1947
.LBB15_1945:
	s_mov_b32 s1, -1
                                        ; implicit-def: $sgpr14
.LBB15_1946:
	s_mov_b32 s10, 0
.LBB15_1947:
	s_delay_alu instid0(SALU_CYCLE_1)
	s_and_b32 vcc_lo, exec_lo, s10
	s_cbranch_vccz .LBB15_1959
; %bb.1948:
	s_cmp_lt_i32 s0, 27
	s_cbranch_scc1 .LBB15_1951
; %bb.1949:
	s_cmp_gt_i32 s0, 27
	s_cbranch_scc0 .LBB15_1952
; %bb.1950:
	global_load_b32 v1, v[30:31], off
	s_mov_b32 s8, 0
	s_wait_loadcnt 0x0
	v_cmp_ne_u32_e64 s14, 0, v1
	s_branch .LBB15_1953
.LBB15_1951:
	s_mov_b32 s8, -1
                                        ; implicit-def: $sgpr14
	s_branch .LBB15_1956
.LBB15_1952:
	s_mov_b32 s8, -1
                                        ; implicit-def: $sgpr14
.LBB15_1953:
	s_delay_alu instid0(SALU_CYCLE_1)
	s_and_not1_b32 vcc_lo, exec_lo, s8
	s_cbranch_vccnz .LBB15_1955
; %bb.1954:
	global_load_u16 v1, v[30:31], off
	s_and_not1_b32 s8, s14, exec_lo
	s_wait_loadcnt 0x0
	v_cmp_ne_u16_e32 vcc_lo, 0, v1
	s_and_b32 s10, vcc_lo, exec_lo
	s_delay_alu instid0(SALU_CYCLE_1)
	s_or_b32 s14, s8, s10
.LBB15_1955:
	s_mov_b32 s8, 0
.LBB15_1956:
	s_delay_alu instid0(SALU_CYCLE_1)
	s_and_not1_b32 vcc_lo, exec_lo, s8
	s_cbranch_vccnz .LBB15_1958
; %bb.1957:
	global_load_u8 v1, v[30:31], off
	s_and_not1_b32 s8, s14, exec_lo
	s_wait_loadcnt 0x0
	v_cmp_ne_u16_e32 vcc_lo, 0, v1
	s_and_b32 s10, vcc_lo, exec_lo
	s_delay_alu instid0(SALU_CYCLE_1)
	s_or_b32 s14, s8, s10
.LBB15_1958:
	s_mov_b32 s8, -1
.LBB15_1959:
	s_branch .LBB15_1981
.LBB15_1960:
	s_cmp_gt_i32 s0, 22
	s_cbranch_scc0 .LBB15_1964
; %bb.1961:
	s_cmp_lt_i32 s0, 24
	s_cbranch_scc1 .LBB15_1965
; %bb.1962:
	s_cmp_gt_i32 s0, 24
	s_cbranch_scc0 .LBB15_1966
; %bb.1963:
	global_load_u8 v1, v[30:31], off
	s_mov_b32 s8, 0
	s_wait_loadcnt 0x0
	v_cmp_ne_u16_e64 s14, 0, v1
	s_branch .LBB15_1967
.LBB15_1964:
                                        ; implicit-def: $sgpr14
	s_mov_b32 s9, 0
	s_branch .LBB15_1973
.LBB15_1965:
	s_mov_b32 s8, -1
                                        ; implicit-def: $sgpr14
	s_branch .LBB15_1970
.LBB15_1966:
	s_mov_b32 s8, -1
                                        ; implicit-def: $sgpr14
.LBB15_1967:
	s_delay_alu instid0(SALU_CYCLE_1)
	s_and_not1_b32 vcc_lo, exec_lo, s8
	s_cbranch_vccnz .LBB15_1969
; %bb.1968:
	global_load_u8 v1, v[30:31], off
	s_and_not1_b32 s8, s14, exec_lo
	s_wait_loadcnt 0x0
	v_and_b32_e32 v1, 0x7f, v1
	s_delay_alu instid0(VALU_DEP_1) | instskip(SKIP_1) | instid1(SALU_CYCLE_1)
	v_cmp_ne_u16_e32 vcc_lo, 0, v1
	s_and_b32 s9, vcc_lo, exec_lo
	s_or_b32 s14, s8, s9
.LBB15_1969:
	s_mov_b32 s8, 0
.LBB15_1970:
	s_delay_alu instid0(SALU_CYCLE_1)
	s_and_not1_b32 vcc_lo, exec_lo, s8
	s_cbranch_vccnz .LBB15_1972
; %bb.1971:
	global_load_u8 v1, v[30:31], off
	s_and_not1_b32 s8, s14, exec_lo
	s_wait_loadcnt 0x0
	v_dual_lshlrev_b32 v3, 25, v1 :: v_dual_lshlrev_b32 v1, 8, v1
	s_delay_alu instid0(VALU_DEP_1) | instskip(NEXT) | instid1(VALU_DEP_2)
	v_cmp_gt_u32_e32 vcc_lo, 0x8000000, v3
	v_and_or_b32 v1, 0x7f00, v1, 0.5
	s_delay_alu instid0(VALU_DEP_1) | instskip(NEXT) | instid1(VALU_DEP_1)
	v_dual_lshrrev_b32 v5, 4, v3 :: v_dual_add_f32 v1, -0.5, v1
	v_or_b32_e32 v5, 0x70000000, v5
	s_delay_alu instid0(VALU_DEP_1) | instskip(NEXT) | instid1(VALU_DEP_1)
	v_mul_f32_e32 v5, 0x7800000, v5
	v_cndmask_b32_e32 v1, v5, v1, vcc_lo
	s_delay_alu instid0(VALU_DEP_1) | instskip(SKIP_1) | instid1(SALU_CYCLE_1)
	v_cmp_neq_f32_e32 vcc_lo, 0, v1
	s_and_b32 s9, vcc_lo, exec_lo
	s_or_b32 s14, s8, s9
.LBB15_1972:
	s_mov_b32 s8, -1
	s_mov_b32 s9, 0
	s_cbranch_execnz .LBB15_1981
.LBB15_1973:
	s_cmp_gt_i32 s0, 14
	s_cbranch_scc0 .LBB15_1976
; %bb.1974:
	s_cmp_eq_u32 s0, 15
	s_cbranch_scc0 .LBB15_1977
; %bb.1975:
	global_load_u16 v1, v[30:31], off
	s_mov_b32 s1, 0
	s_mov_b32 s8, -1
	s_wait_loadcnt 0x0
	v_and_b32_e32 v1, 0x7fff, v1
	s_delay_alu instid0(VALU_DEP_1)
	v_cmp_ne_u16_e64 s14, 0, v1
	s_branch .LBB15_1979
.LBB15_1976:
	s_mov_b32 s9, -1
	s_branch .LBB15_1978
.LBB15_1977:
	s_mov_b32 s1, -1
.LBB15_1978:
                                        ; implicit-def: $sgpr14
.LBB15_1979:
	s_and_b32 vcc_lo, exec_lo, s9
	s_mov_b32 s9, 0
	s_cbranch_vccz .LBB15_1981
; %bb.1980:
	s_cmp_lg_u32 s0, 11
	s_mov_b32 s9, -1
	s_cselect_b32 s1, -1, 0
.LBB15_1981:
	s_delay_alu instid0(SALU_CYCLE_1)
	s_and_b32 vcc_lo, exec_lo, s1
	s_mov_b32 s1, s12
	s_cbranch_vccnz .LBB15_2042
; %bb.1982:
	s_and_not1_b32 vcc_lo, exec_lo, s9
	s_cbranch_vccnz .LBB15_1984
.LBB15_1983:
	global_load_u8 v1, v[30:31], off
	s_and_not1_b32 s0, s14, exec_lo
	s_mov_b32 s8, -1
	s_wait_loadcnt 0x0
	v_cmp_ne_u16_e32 vcc_lo, 0, v1
	s_and_b32 s9, vcc_lo, exec_lo
	s_delay_alu instid0(SALU_CYCLE_1)
	s_or_b32 s14, s0, s9
.LBB15_1984:
	s_branch .LBB15_1933
.LBB15_1985:
	s_and_b32 s8, 0xffff, s16
	s_delay_alu instid0(SALU_CYCLE_1)
	s_cmp_lt_i32 s8, 5
	s_cbranch_scc1 .LBB15_1990
; %bb.1986:
	s_cmp_lt_i32 s8, 8
	s_cbranch_scc1 .LBB15_1991
; %bb.1987:
	;; [unrolled: 3-line block ×3, first 2 shown]
	s_cmp_gt_i32 s8, 9
	s_cbranch_scc0 .LBB15_1993
; %bb.1989:
	global_load_b128 v[32:35], v[30:31], off
	s_wait_loadcnt 0x0
	v_cmp_neq_f64_e32 vcc_lo, 0, v[32:33]
	v_cmp_neq_f64_e64 s0, 0, v[34:35]
	s_or_b32 s14, vcc_lo, s0
	s_mov_b32 s0, 0
	s_branch .LBB15_1994
.LBB15_1990:
                                        ; implicit-def: $sgpr14
	s_branch .LBB15_2011
.LBB15_1991:
                                        ; implicit-def: $sgpr14
	s_branch .LBB15_2000
.LBB15_1992:
	s_mov_b32 s0, -1
                                        ; implicit-def: $sgpr14
	s_branch .LBB15_1997
.LBB15_1993:
	s_mov_b32 s0, -1
                                        ; implicit-def: $sgpr14
.LBB15_1994:
	s_delay_alu instid0(SALU_CYCLE_1)
	s_and_not1_b32 vcc_lo, exec_lo, s0
	s_cbranch_vccnz .LBB15_1996
; %bb.1995:
	global_load_b64 v[32:33], v[30:31], off
	s_and_not1_b32 s0, s14, exec_lo
	s_wait_loadcnt 0x0
	v_bitop3_b32 v1, v32, 0x7fffffff, v33 bitop3:0xc8
	s_delay_alu instid0(VALU_DEP_1) | instskip(SKIP_1) | instid1(SALU_CYCLE_1)
	v_cmp_ne_u32_e32 vcc_lo, 0, v1
	s_and_b32 s9, vcc_lo, exec_lo
	s_or_b32 s14, s0, s9
.LBB15_1996:
	s_mov_b32 s0, 0
.LBB15_1997:
	s_delay_alu instid0(SALU_CYCLE_1)
	s_and_not1_b32 vcc_lo, exec_lo, s0
	s_cbranch_vccnz .LBB15_1999
; %bb.1998:
	global_load_b32 v1, v[30:31], off
	s_and_not1_b32 s0, s14, exec_lo
	s_wait_loadcnt 0x0
	v_and_b32_e32 v1, 0x7fff7fff, v1
	s_delay_alu instid0(VALU_DEP_1) | instskip(SKIP_1) | instid1(SALU_CYCLE_1)
	v_cmp_ne_u32_e32 vcc_lo, 0, v1
	s_and_b32 s9, vcc_lo, exec_lo
	s_or_b32 s14, s0, s9
.LBB15_1999:
	s_cbranch_execnz .LBB15_2010
.LBB15_2000:
	s_cmp_lt_i32 s8, 6
	s_cbranch_scc1 .LBB15_2003
; %bb.2001:
	s_cmp_gt_i32 s8, 6
	s_cbranch_scc0 .LBB15_2004
; %bb.2002:
	global_load_b64 v[32:33], v[30:31], off
	s_mov_b32 s0, 0
	s_wait_loadcnt 0x0
	v_cmp_neq_f64_e64 s14, 0, v[32:33]
	s_branch .LBB15_2005
.LBB15_2003:
	s_mov_b32 s0, -1
                                        ; implicit-def: $sgpr14
	s_branch .LBB15_2008
.LBB15_2004:
	s_mov_b32 s0, -1
                                        ; implicit-def: $sgpr14
.LBB15_2005:
	s_delay_alu instid0(SALU_CYCLE_1)
	s_and_not1_b32 vcc_lo, exec_lo, s0
	s_cbranch_vccnz .LBB15_2007
; %bb.2006:
	global_load_b32 v1, v[30:31], off
	s_and_not1_b32 s0, s14, exec_lo
	s_wait_loadcnt 0x0
	v_cmp_neq_f32_e32 vcc_lo, 0, v1
	s_and_b32 s9, vcc_lo, exec_lo
	s_delay_alu instid0(SALU_CYCLE_1)
	s_or_b32 s14, s0, s9
.LBB15_2007:
	s_mov_b32 s0, 0
.LBB15_2008:
	s_delay_alu instid0(SALU_CYCLE_1)
	s_and_not1_b32 vcc_lo, exec_lo, s0
	s_cbranch_vccnz .LBB15_2010
; %bb.2009:
	global_load_u16 v1, v[30:31], off
	s_and_not1_b32 s0, s14, exec_lo
	s_wait_loadcnt 0x0
	v_and_b32_e32 v1, 0x7fff, v1
	s_delay_alu instid0(VALU_DEP_1) | instskip(SKIP_1) | instid1(SALU_CYCLE_1)
	v_cmp_ne_u16_e32 vcc_lo, 0, v1
	s_and_b32 s9, vcc_lo, exec_lo
	s_or_b32 s14, s0, s9
.LBB15_2010:
	s_cbranch_execnz .LBB15_2029
.LBB15_2011:
	s_cmp_lt_i32 s8, 2
	s_cbranch_scc1 .LBB15_2015
; %bb.2012:
	s_cmp_lt_i32 s8, 3
	s_cbranch_scc1 .LBB15_2016
; %bb.2013:
	s_cmp_gt_i32 s8, 3
	s_cbranch_scc0 .LBB15_2017
; %bb.2014:
	global_load_b64 v[32:33], v[30:31], off
	s_mov_b32 s0, 0
	s_wait_loadcnt 0x0
	v_cmp_ne_u64_e64 s14, 0, v[32:33]
	s_branch .LBB15_2018
.LBB15_2015:
                                        ; implicit-def: $sgpr14
	s_branch .LBB15_2024
.LBB15_2016:
	s_mov_b32 s0, -1
                                        ; implicit-def: $sgpr14
	s_branch .LBB15_2021
.LBB15_2017:
	s_mov_b32 s0, -1
                                        ; implicit-def: $sgpr14
.LBB15_2018:
	s_delay_alu instid0(SALU_CYCLE_1)
	s_and_not1_b32 vcc_lo, exec_lo, s0
	s_cbranch_vccnz .LBB15_2020
; %bb.2019:
	global_load_b32 v1, v[30:31], off
	s_and_not1_b32 s0, s14, exec_lo
	s_wait_loadcnt 0x0
	v_cmp_ne_u32_e32 vcc_lo, 0, v1
	s_and_b32 s9, vcc_lo, exec_lo
	s_delay_alu instid0(SALU_CYCLE_1)
	s_or_b32 s14, s0, s9
.LBB15_2020:
	s_mov_b32 s0, 0
.LBB15_2021:
	s_delay_alu instid0(SALU_CYCLE_1)
	s_and_not1_b32 vcc_lo, exec_lo, s0
	s_cbranch_vccnz .LBB15_2023
; %bb.2022:
	global_load_u16 v1, v[30:31], off
	s_and_not1_b32 s0, s14, exec_lo
	s_wait_loadcnt 0x0
	v_cmp_ne_u16_e32 vcc_lo, 0, v1
	s_and_b32 s9, vcc_lo, exec_lo
	s_delay_alu instid0(SALU_CYCLE_1)
	s_or_b32 s14, s0, s9
.LBB15_2023:
	s_cbranch_execnz .LBB15_2029
.LBB15_2024:
	s_cmp_gt_i32 s8, 0
	s_mov_b32 s0, 0
	s_cbranch_scc0 .LBB15_2026
; %bb.2025:
	global_load_u8 v1, v[30:31], off
	s_wait_loadcnt 0x0
	v_cmp_ne_u16_e64 s14, 0, v1
	s_branch .LBB15_2027
.LBB15_2026:
	s_mov_b32 s0, -1
                                        ; implicit-def: $sgpr14
.LBB15_2027:
	s_delay_alu instid0(SALU_CYCLE_1)
	s_and_not1_b32 vcc_lo, exec_lo, s0
	s_cbranch_vccnz .LBB15_2029
; %bb.2028:
	global_load_u8 v1, v[30:31], off
	s_and_not1_b32 s0, s14, exec_lo
	s_wait_loadcnt 0x0
	v_cmp_ne_u16_e32 vcc_lo, 0, v1
	s_and_b32 s8, vcc_lo, exec_lo
	s_delay_alu instid0(SALU_CYCLE_1)
	s_or_b32 s14, s0, s8
.LBB15_2029:
.LBB15_2030:
	s_clause 0x1
	s_load_b64 s[8:9], s[2:3], 0x1d8
	s_load_b32 s0, s[2:3], 0x1ec
	v_mov_b32_e32 v29, 0
	s_wait_kmcnt 0x0
	s_delay_alu instid0(VALU_DEP_1) | instskip(SKIP_1) | instid1(SALU_CYCLE_1)
	v_add_nc_u64_e32 v[28:29], s[8:9], v[28:29]
	s_and_b32 s18, s0, 0xff
	s_cmp_lt_i32 s18, 11
	s_cbranch_scc1 .LBB15_2037
; %bb.2031:
	s_and_b32 s0, 0xffff, s18
	s_mov_b32 s17, 0
	s_cmp_gt_i32 s0, 25
	s_cbranch_scc0 .LBB15_2039
; %bb.2032:
	s_cmp_gt_i32 s0, 28
	s_cbranch_scc0 .LBB15_2040
; %bb.2033:
	;; [unrolled: 3-line block ×4, first 2 shown]
	s_cmp_eq_u32 s0, 46
	s_mov_b32 s19, 0
	s_cbranch_scc0 .LBB15_2046
; %bb.2036:
	global_load_b32 v1, v[28:29], off
	s_mov_b32 s10, 0
	s_mov_b32 s11, -1
	s_wait_loadcnt 0x0
	v_and_b32_e32 v1, 0x7fff7fff, v1
	s_delay_alu instid0(VALU_DEP_1)
	v_cmp_ne_u32_e64 s15, 0, v1
	s_branch .LBB15_2048
.LBB15_2037:
	s_mov_b32 s11, 0
                                        ; implicit-def: $sgpr15
	s_cbranch_execnz .LBB15_2095
.LBB15_2038:
	s_and_not1_b32 vcc_lo, exec_lo, s11
	s_cbranch_vccz .LBB15_2142
	s_branch .LBB15_3712
.LBB15_2039:
	s_mov_b32 s11, 0
	s_mov_b32 s10, 0
                                        ; implicit-def: $sgpr15
	s_cbranch_execnz .LBB15_2069
	s_branch .LBB15_2091
.LBB15_2040:
	s_mov_b32 s19, -1
	s_mov_b32 s11, 0
	s_mov_b32 s10, 0
                                        ; implicit-def: $sgpr15
	s_branch .LBB15_2056
.LBB15_2041:
	s_mov_b32 s19, -1
	s_mov_b32 s11, 0
	s_mov_b32 s10, 0
                                        ; implicit-def: $sgpr15
	s_branch .LBB15_2051
.LBB15_2042:
	s_mov_b32 s8, 0
	s_or_b32 s1, s12, exec_lo
	s_trap 2
	s_cbranch_execz .LBB15_1983
	s_branch .LBB15_1984
.LBB15_2043:
	s_mov_b32 s19, -1
	s_mov_b32 s11, 0
	s_mov_b32 s10, 0
	s_branch .LBB15_2047
.LBB15_2044:
	v_bfe_u32 v2, v3, 20, 1
	s_mov_b32 s7, exec_lo
	s_delay_alu instid0(VALU_DEP_1) | instskip(NEXT) | instid1(VALU_DEP_1)
	v_add3_u32 v2, v3, v2, 0x487ffff
                                        ; implicit-def: $vgpr3
	v_lshrrev_b32_e32 v2, 20, v2
	s_and_not1_saveexec_b32 s9, s9
	s_cbranch_execz .LBB15_1793
.LBB15_2045:
	v_add_f32_e32 v2, 0x46000000, v3
	s_and_not1_b32 s7, s7, exec_lo
	s_delay_alu instid0(VALU_DEP_1) | instskip(NEXT) | instid1(VALU_DEP_1)
	v_and_b32_e32 v2, 0xff, v2
	v_cmp_ne_u32_e32 vcc_lo, 0, v2
	s_and_b32 s11, vcc_lo, exec_lo
	s_delay_alu instid0(SALU_CYCLE_1)
	s_or_b32 s7, s7, s11
	s_or_b32 exec_lo, exec_lo, s9
	v_mov_b32_e32 v4, 0
	s_and_saveexec_b32 s9, s7
	s_cbranch_execnz .LBB15_1794
	s_branch .LBB15_1795
.LBB15_2046:
	s_mov_b32 s10, -1
	s_mov_b32 s11, 0
.LBB15_2047:
                                        ; implicit-def: $sgpr15
.LBB15_2048:
	s_and_b32 vcc_lo, exec_lo, s19
	s_cbranch_vccz .LBB15_2050
; %bb.2049:
	s_cmp_lg_u32 s0, 44
	s_mov_b32 s11, -1
	s_cselect_b32 s10, -1, 0
	s_or_b32 s15, s15, exec_lo
.LBB15_2050:
	s_mov_b32 s19, 0
.LBB15_2051:
	s_delay_alu instid0(SALU_CYCLE_1)
	s_and_b32 vcc_lo, exec_lo, s19
	s_cbranch_vccz .LBB15_2055
; %bb.2052:
	s_cmp_eq_u32 s0, 29
	s_cbranch_scc0 .LBB15_2054
; %bb.2053:
	global_load_b64 v[30:31], v[28:29], off
	s_mov_b32 s10, 0
	s_mov_b32 s11, -1
	s_mov_b32 s19, 0
	s_wait_loadcnt 0x0
	v_cmp_ne_u64_e64 s15, 0, v[30:31]
	s_branch .LBB15_2056
.LBB15_2054:
	s_mov_b32 s10, -1
                                        ; implicit-def: $sgpr15
.LBB15_2055:
	s_mov_b32 s19, 0
.LBB15_2056:
	s_delay_alu instid0(SALU_CYCLE_1)
	s_and_b32 vcc_lo, exec_lo, s19
	s_cbranch_vccz .LBB15_2068
; %bb.2057:
	s_cmp_lt_i32 s0, 27
	s_cbranch_scc1 .LBB15_2060
; %bb.2058:
	s_cmp_gt_i32 s0, 27
	s_cbranch_scc0 .LBB15_2061
; %bb.2059:
	global_load_b32 v1, v[28:29], off
	s_mov_b32 s11, 0
	s_wait_loadcnt 0x0
	v_cmp_ne_u32_e64 s15, 0, v1
	s_branch .LBB15_2062
.LBB15_2060:
	s_mov_b32 s11, -1
                                        ; implicit-def: $sgpr15
	s_branch .LBB15_2065
.LBB15_2061:
	s_mov_b32 s11, -1
                                        ; implicit-def: $sgpr15
.LBB15_2062:
	s_delay_alu instid0(SALU_CYCLE_1)
	s_and_not1_b32 vcc_lo, exec_lo, s11
	s_cbranch_vccnz .LBB15_2064
; %bb.2063:
	global_load_u16 v1, v[28:29], off
	s_and_not1_b32 s11, s15, exec_lo
	s_wait_loadcnt 0x0
	v_cmp_ne_u16_e32 vcc_lo, 0, v1
	s_and_b32 s15, vcc_lo, exec_lo
	s_delay_alu instid0(SALU_CYCLE_1)
	s_or_b32 s15, s11, s15
.LBB15_2064:
	s_mov_b32 s11, 0
.LBB15_2065:
	s_delay_alu instid0(SALU_CYCLE_1)
	s_and_not1_b32 vcc_lo, exec_lo, s11
	s_cbranch_vccnz .LBB15_2067
; %bb.2066:
	global_load_u8 v1, v[28:29], off
	s_and_not1_b32 s11, s15, exec_lo
	s_wait_loadcnt 0x0
	v_cmp_ne_u16_e32 vcc_lo, 0, v1
	s_and_b32 s15, vcc_lo, exec_lo
	s_delay_alu instid0(SALU_CYCLE_1)
	s_or_b32 s15, s11, s15
.LBB15_2067:
	s_mov_b32 s11, -1
.LBB15_2068:
	s_branch .LBB15_2091
.LBB15_2069:
	s_cmp_gt_i32 s0, 22
	s_cbranch_scc0 .LBB15_2073
; %bb.2070:
	s_cmp_lt_i32 s0, 24
	s_cbranch_scc1 .LBB15_2074
; %bb.2071:
	s_cmp_gt_i32 s0, 24
	s_cbranch_scc0 .LBB15_2075
; %bb.2072:
	global_load_u8 v1, v[28:29], off
	s_mov_b32 s11, 0
	s_wait_loadcnt 0x0
	v_cmp_ne_u16_e64 s15, 0, v1
	s_branch .LBB15_2076
.LBB15_2073:
	s_mov_b32 s17, -1
                                        ; implicit-def: $sgpr15
	s_branch .LBB15_2082
.LBB15_2074:
	s_mov_b32 s11, -1
                                        ; implicit-def: $sgpr15
	s_branch .LBB15_2079
.LBB15_2075:
	s_mov_b32 s11, -1
                                        ; implicit-def: $sgpr15
.LBB15_2076:
	s_delay_alu instid0(SALU_CYCLE_1)
	s_and_not1_b32 vcc_lo, exec_lo, s11
	s_cbranch_vccnz .LBB15_2078
; %bb.2077:
	global_load_u8 v1, v[28:29], off
	s_and_not1_b32 s11, s15, exec_lo
	s_wait_loadcnt 0x0
	v_and_b32_e32 v1, 0x7f, v1
	s_delay_alu instid0(VALU_DEP_1) | instskip(SKIP_1) | instid1(SALU_CYCLE_1)
	v_cmp_ne_u16_e32 vcc_lo, 0, v1
	s_and_b32 s15, vcc_lo, exec_lo
	s_or_b32 s15, s11, s15
.LBB15_2078:
	s_mov_b32 s11, 0
.LBB15_2079:
	s_delay_alu instid0(SALU_CYCLE_1)
	s_and_not1_b32 vcc_lo, exec_lo, s11
	s_cbranch_vccnz .LBB15_2081
; %bb.2080:
	global_load_u8 v1, v[28:29], off
	s_and_not1_b32 s11, s15, exec_lo
	s_wait_loadcnt 0x0
	v_dual_lshlrev_b32 v3, 25, v1 :: v_dual_lshlrev_b32 v1, 8, v1
	s_delay_alu instid0(VALU_DEP_1) | instskip(NEXT) | instid1(VALU_DEP_2)
	v_cmp_gt_u32_e32 vcc_lo, 0x8000000, v3
	v_and_or_b32 v1, 0x7f00, v1, 0.5
	s_delay_alu instid0(VALU_DEP_1) | instskip(NEXT) | instid1(VALU_DEP_1)
	v_dual_lshrrev_b32 v5, 4, v3 :: v_dual_add_f32 v1, -0.5, v1
	v_or_b32_e32 v5, 0x70000000, v5
	s_delay_alu instid0(VALU_DEP_1) | instskip(NEXT) | instid1(VALU_DEP_1)
	v_mul_f32_e32 v5, 0x7800000, v5
	v_cndmask_b32_e32 v1, v5, v1, vcc_lo
	s_delay_alu instid0(VALU_DEP_1) | instskip(SKIP_1) | instid1(SALU_CYCLE_1)
	v_cmp_neq_f32_e32 vcc_lo, 0, v1
	s_and_b32 s15, vcc_lo, exec_lo
	s_or_b32 s15, s11, s15
.LBB15_2081:
	s_mov_b32 s11, -1
.LBB15_2082:
	s_and_not1_b32 vcc_lo, exec_lo, s17
	s_mov_b32 s17, 0
	s_cbranch_vccnz .LBB15_2091
; %bb.2083:
	s_cmp_gt_i32 s0, 14
	s_cbranch_scc0 .LBB15_2086
; %bb.2084:
	s_cmp_eq_u32 s0, 15
	s_cbranch_scc0 .LBB15_2087
; %bb.2085:
	global_load_u16 v1, v[28:29], off
	s_mov_b32 s10, 0
	s_mov_b32 s11, -1
	s_wait_loadcnt 0x0
	v_and_b32_e32 v1, 0x7fff, v1
	s_delay_alu instid0(VALU_DEP_1)
	v_cmp_ne_u16_e64 s15, 0, v1
	s_branch .LBB15_2089
.LBB15_2086:
	s_mov_b32 s17, -1
	s_branch .LBB15_2088
.LBB15_2087:
	s_mov_b32 s10, -1
.LBB15_2088:
                                        ; implicit-def: $sgpr15
.LBB15_2089:
	s_and_b32 vcc_lo, exec_lo, s17
	s_mov_b32 s17, 0
	s_cbranch_vccz .LBB15_2091
; %bb.2090:
	s_cmp_lg_u32 s0, 11
	s_mov_b32 s17, -1
	s_cselect_b32 s10, -1, 0
.LBB15_2091:
	s_delay_alu instid0(SALU_CYCLE_1)
	s_and_b32 vcc_lo, exec_lo, s10
	s_cbranch_vccnz .LBB15_2154
; %bb.2092:
	s_and_not1_b32 vcc_lo, exec_lo, s17
	s_cbranch_vccnz .LBB15_2094
.LBB15_2093:
	global_load_u8 v1, v[28:29], off
	s_and_not1_b32 s0, s15, exec_lo
	s_mov_b32 s11, -1
	s_wait_loadcnt 0x0
	v_cmp_ne_u16_e32 vcc_lo, 0, v1
	s_and_b32 s10, vcc_lo, exec_lo
	s_delay_alu instid0(SALU_CYCLE_1)
	s_or_b32 s15, s0, s10
.LBB15_2094:
	s_branch .LBB15_2038
.LBB15_2095:
	s_and_b32 s10, 0xffff, s18
	s_delay_alu instid0(SALU_CYCLE_1)
	s_cmp_lt_i32 s10, 5
	s_cbranch_scc1 .LBB15_2100
; %bb.2096:
	s_cmp_lt_i32 s10, 8
	s_cbranch_scc1 .LBB15_2101
; %bb.2097:
	;; [unrolled: 3-line block ×3, first 2 shown]
	s_cmp_gt_i32 s10, 9
	s_cbranch_scc0 .LBB15_2103
; %bb.2099:
	global_load_b128 v[30:33], v[28:29], off
	s_wait_loadcnt 0x0
	v_cmp_neq_f64_e32 vcc_lo, 0, v[30:31]
	v_cmp_neq_f64_e64 s0, 0, v[32:33]
	s_or_b32 s15, vcc_lo, s0
	s_mov_b32 s0, 0
	s_branch .LBB15_2104
.LBB15_2100:
                                        ; implicit-def: $sgpr15
	s_branch .LBB15_2122
.LBB15_2101:
	s_mov_b32 s0, -1
                                        ; implicit-def: $sgpr15
	s_branch .LBB15_2110
.LBB15_2102:
	s_mov_b32 s0, -1
                                        ; implicit-def: $sgpr15
	s_branch .LBB15_2107
.LBB15_2103:
	s_mov_b32 s0, -1
                                        ; implicit-def: $sgpr15
.LBB15_2104:
	s_delay_alu instid0(SALU_CYCLE_1)
	s_and_not1_b32 vcc_lo, exec_lo, s0
	s_cbranch_vccnz .LBB15_2106
; %bb.2105:
	global_load_b64 v[30:31], v[28:29], off
	s_and_not1_b32 s0, s15, exec_lo
	s_wait_loadcnt 0x0
	v_bitop3_b32 v1, v30, 0x7fffffff, v31 bitop3:0xc8
	s_delay_alu instid0(VALU_DEP_1) | instskip(SKIP_1) | instid1(SALU_CYCLE_1)
	v_cmp_ne_u32_e32 vcc_lo, 0, v1
	s_and_b32 s11, vcc_lo, exec_lo
	s_or_b32 s15, s0, s11
.LBB15_2106:
	s_mov_b32 s0, 0
.LBB15_2107:
	s_delay_alu instid0(SALU_CYCLE_1)
	s_and_not1_b32 vcc_lo, exec_lo, s0
	s_cbranch_vccnz .LBB15_2109
; %bb.2108:
	global_load_b32 v1, v[28:29], off
	s_and_not1_b32 s0, s15, exec_lo
	s_wait_loadcnt 0x0
	v_and_b32_e32 v1, 0x7fff7fff, v1
	s_delay_alu instid0(VALU_DEP_1) | instskip(SKIP_1) | instid1(SALU_CYCLE_1)
	v_cmp_ne_u32_e32 vcc_lo, 0, v1
	s_and_b32 s11, vcc_lo, exec_lo
	s_or_b32 s15, s0, s11
.LBB15_2109:
	s_mov_b32 s0, 0
.LBB15_2110:
	s_delay_alu instid0(SALU_CYCLE_1)
	s_and_not1_b32 vcc_lo, exec_lo, s0
	s_cbranch_vccnz .LBB15_2121
; %bb.2111:
	s_cmp_lt_i32 s10, 6
	s_cbranch_scc1 .LBB15_2114
; %bb.2112:
	s_cmp_gt_i32 s10, 6
	s_cbranch_scc0 .LBB15_2115
; %bb.2113:
	global_load_b64 v[30:31], v[28:29], off
	s_mov_b32 s0, 0
	s_wait_loadcnt 0x0
	v_cmp_neq_f64_e64 s15, 0, v[30:31]
	s_branch .LBB15_2116
.LBB15_2114:
	s_mov_b32 s0, -1
                                        ; implicit-def: $sgpr15
	s_branch .LBB15_2119
.LBB15_2115:
	s_mov_b32 s0, -1
                                        ; implicit-def: $sgpr15
.LBB15_2116:
	s_delay_alu instid0(SALU_CYCLE_1)
	s_and_not1_b32 vcc_lo, exec_lo, s0
	s_cbranch_vccnz .LBB15_2118
; %bb.2117:
	global_load_b32 v1, v[28:29], off
	s_and_not1_b32 s0, s15, exec_lo
	s_wait_loadcnt 0x0
	v_cmp_neq_f32_e32 vcc_lo, 0, v1
	s_and_b32 s11, vcc_lo, exec_lo
	s_delay_alu instid0(SALU_CYCLE_1)
	s_or_b32 s15, s0, s11
.LBB15_2118:
	s_mov_b32 s0, 0
.LBB15_2119:
	s_delay_alu instid0(SALU_CYCLE_1)
	s_and_not1_b32 vcc_lo, exec_lo, s0
	s_cbranch_vccnz .LBB15_2121
; %bb.2120:
	global_load_u16 v1, v[28:29], off
	s_and_not1_b32 s0, s15, exec_lo
	s_wait_loadcnt 0x0
	v_and_b32_e32 v1, 0x7fff, v1
	s_delay_alu instid0(VALU_DEP_1) | instskip(SKIP_1) | instid1(SALU_CYCLE_1)
	v_cmp_ne_u16_e32 vcc_lo, 0, v1
	s_and_b32 s11, vcc_lo, exec_lo
	s_or_b32 s15, s0, s11
.LBB15_2121:
	s_cbranch_execnz .LBB15_2141
.LBB15_2122:
	s_cmp_lt_i32 s10, 2
	s_cbranch_scc1 .LBB15_2126
; %bb.2123:
	s_cmp_lt_i32 s10, 3
	s_cbranch_scc1 .LBB15_2127
; %bb.2124:
	s_cmp_gt_i32 s10, 3
	s_cbranch_scc0 .LBB15_2128
; %bb.2125:
	global_load_b64 v[30:31], v[28:29], off
	s_mov_b32 s0, 0
	s_wait_loadcnt 0x0
	v_cmp_ne_u64_e64 s15, 0, v[30:31]
	s_branch .LBB15_2129
.LBB15_2126:
	s_mov_b32 s0, -1
                                        ; implicit-def: $sgpr15
	s_branch .LBB15_2135
.LBB15_2127:
	s_mov_b32 s0, -1
                                        ; implicit-def: $sgpr15
	s_branch .LBB15_2132
.LBB15_2128:
	s_mov_b32 s0, -1
                                        ; implicit-def: $sgpr15
.LBB15_2129:
	s_delay_alu instid0(SALU_CYCLE_1)
	s_and_not1_b32 vcc_lo, exec_lo, s0
	s_cbranch_vccnz .LBB15_2131
; %bb.2130:
	global_load_b32 v1, v[28:29], off
	s_and_not1_b32 s0, s15, exec_lo
	s_wait_loadcnt 0x0
	v_cmp_ne_u32_e32 vcc_lo, 0, v1
	s_and_b32 s11, vcc_lo, exec_lo
	s_delay_alu instid0(SALU_CYCLE_1)
	s_or_b32 s15, s0, s11
.LBB15_2131:
	s_mov_b32 s0, 0
.LBB15_2132:
	s_delay_alu instid0(SALU_CYCLE_1)
	s_and_not1_b32 vcc_lo, exec_lo, s0
	s_cbranch_vccnz .LBB15_2134
; %bb.2133:
	global_load_u16 v1, v[28:29], off
	s_and_not1_b32 s0, s15, exec_lo
	s_wait_loadcnt 0x0
	v_cmp_ne_u16_e32 vcc_lo, 0, v1
	s_and_b32 s11, vcc_lo, exec_lo
	s_delay_alu instid0(SALU_CYCLE_1)
	s_or_b32 s15, s0, s11
.LBB15_2134:
	s_mov_b32 s0, 0
.LBB15_2135:
	s_delay_alu instid0(SALU_CYCLE_1)
	s_and_not1_b32 vcc_lo, exec_lo, s0
	s_cbranch_vccnz .LBB15_2141
; %bb.2136:
	s_cmp_gt_i32 s10, 0
	s_mov_b32 s0, 0
	s_cbranch_scc0 .LBB15_2138
; %bb.2137:
	global_load_u8 v1, v[28:29], off
	s_wait_loadcnt 0x0
	v_cmp_ne_u16_e64 s15, 0, v1
	s_branch .LBB15_2139
.LBB15_2138:
	s_mov_b32 s0, -1
                                        ; implicit-def: $sgpr15
.LBB15_2139:
	s_delay_alu instid0(SALU_CYCLE_1)
	s_and_not1_b32 vcc_lo, exec_lo, s0
	s_cbranch_vccnz .LBB15_2141
; %bb.2140:
	global_load_u8 v1, v[28:29], off
	s_and_not1_b32 s0, s15, exec_lo
	s_wait_loadcnt 0x0
	v_cmp_ne_u16_e32 vcc_lo, 0, v1
	s_and_b32 s10, vcc_lo, exec_lo
	s_delay_alu instid0(SALU_CYCLE_1)
	s_or_b32 s15, s0, s10
.LBB15_2141:
.LBB15_2142:
	v_mov_b32_e32 v27, 0
	s_load_b64 s[10:11], s[2:3], 0x1e0
	global_load_u8 v1, v27, s[2:3] offset:493
	s_wait_kmcnt 0x0
	v_add_nc_u64_e32 v[26:27], s[10:11], v[26:27]
	s_wait_loadcnt 0x0
	v_and_b32_e32 v3, 0xffff, v1
	v_readfirstlane_b32 s19, v1
	s_delay_alu instid0(VALU_DEP_2)
	v_cmp_gt_i32_e32 vcc_lo, 11, v3
	s_cbranch_vccnz .LBB15_2149
; %bb.2143:
	s_and_b32 s0, 0xffff, s19
	s_mov_b32 s22, 0
	s_cmp_gt_i32 s0, 25
	s_cbranch_scc0 .LBB15_2151
; %bb.2144:
	s_cmp_gt_i32 s0, 28
	s_cbranch_scc0 .LBB15_2152
; %bb.2145:
	;; [unrolled: 3-line block ×4, first 2 shown]
	s_cmp_eq_u32 s0, 46
	s_mov_b32 s23, 0
	s_cbranch_scc0 .LBB15_2158
; %bb.2148:
	global_load_b32 v1, v[26:27], off
	s_mov_b32 s20, 0
	s_mov_b32 s21, -1
	s_wait_loadcnt 0x0
	v_and_b32_e32 v1, 0x7fff7fff, v1
	s_delay_alu instid0(VALU_DEP_1)
	v_cmp_ne_u32_e64 s17, 0, v1
	s_branch .LBB15_2160
.LBB15_2149:
	s_mov_b32 s21, 0
                                        ; implicit-def: $sgpr17
	s_cbranch_execnz .LBB15_2208
.LBB15_2150:
	s_and_not1_b32 vcc_lo, exec_lo, s21
	s_cbranch_vccz .LBB15_2256
	s_branch .LBB15_3712
.LBB15_2151:
	s_mov_b32 s23, -1
	s_mov_b32 s21, 0
	s_mov_b32 s20, 0
                                        ; implicit-def: $sgpr17
	s_branch .LBB15_2181
.LBB15_2152:
	s_mov_b32 s23, -1
	s_mov_b32 s21, 0
	s_mov_b32 s20, 0
                                        ; implicit-def: $sgpr17
	s_branch .LBB15_2168
.LBB15_2153:
	s_mov_b32 s23, -1
	s_mov_b32 s21, 0
	s_mov_b32 s20, 0
                                        ; implicit-def: $sgpr17
	s_branch .LBB15_2163
.LBB15_2154:
	s_mov_b32 s11, 0
	s_or_b32 s1, s1, exec_lo
	s_trap 2
	s_cbranch_execz .LBB15_2093
	s_branch .LBB15_2094
.LBB15_2155:
	s_mov_b32 s23, -1
	s_mov_b32 s21, 0
	s_mov_b32 s20, 0
	s_branch .LBB15_2159
.LBB15_2156:
	v_bfe_u32 v2, v3, 21, 1
	s_mov_b32 s9, exec_lo
	s_delay_alu instid0(VALU_DEP_1) | instskip(NEXT) | instid1(VALU_DEP_1)
	v_add3_u32 v2, v3, v2, 0x88fffff
                                        ; implicit-def: $vgpr3
	v_lshrrev_b32_e32 v2, 21, v2
	s_and_not1_saveexec_b32 s11, s11
	s_cbranch_execz .LBB15_1805
.LBB15_2157:
	v_add_f32_e32 v2, 0x42800000, v3
	s_and_not1_b32 s9, s9, exec_lo
	s_delay_alu instid0(VALU_DEP_1) | instskip(NEXT) | instid1(VALU_DEP_1)
	v_and_b32_e32 v2, 0xff, v2
	v_cmp_ne_u32_e32 vcc_lo, 0, v2
	s_and_b32 s12, vcc_lo, exec_lo
	s_delay_alu instid0(SALU_CYCLE_1)
	s_or_b32 s9, s9, s12
	s_or_b32 exec_lo, exec_lo, s11
	v_mov_b32_e32 v4, 0
	s_and_saveexec_b32 s11, s9
	s_cbranch_execnz .LBB15_1806
	s_branch .LBB15_1807
.LBB15_2158:
	s_mov_b32 s20, -1
	s_mov_b32 s21, 0
.LBB15_2159:
                                        ; implicit-def: $sgpr17
.LBB15_2160:
	s_and_b32 vcc_lo, exec_lo, s23
	s_cbranch_vccz .LBB15_2162
; %bb.2161:
	s_cmp_lg_u32 s0, 44
	s_mov_b32 s21, -1
	s_cselect_b32 s20, -1, 0
	s_or_b32 s17, s17, exec_lo
.LBB15_2162:
	s_mov_b32 s23, 0
.LBB15_2163:
	s_delay_alu instid0(SALU_CYCLE_1)
	s_and_b32 vcc_lo, exec_lo, s23
	s_cbranch_vccz .LBB15_2167
; %bb.2164:
	s_cmp_eq_u32 s0, 29
	s_cbranch_scc0 .LBB15_2166
; %bb.2165:
	global_load_b64 v[28:29], v[26:27], off
	s_mov_b32 s20, 0
	s_mov_b32 s21, -1
	s_mov_b32 s23, 0
	s_wait_loadcnt 0x0
	v_cmp_ne_u64_e64 s17, 0, v[28:29]
	s_branch .LBB15_2168
.LBB15_2166:
	s_mov_b32 s20, -1
                                        ; implicit-def: $sgpr17
.LBB15_2167:
	s_mov_b32 s23, 0
.LBB15_2168:
	s_delay_alu instid0(SALU_CYCLE_1)
	s_and_b32 vcc_lo, exec_lo, s23
	s_cbranch_vccz .LBB15_2180
; %bb.2169:
	s_cmp_lt_i32 s0, 27
	s_cbranch_scc1 .LBB15_2172
; %bb.2170:
	s_cmp_gt_i32 s0, 27
	s_cbranch_scc0 .LBB15_2173
; %bb.2171:
	global_load_b32 v1, v[26:27], off
	s_mov_b32 s21, 0
	s_wait_loadcnt 0x0
	v_cmp_ne_u32_e64 s17, 0, v1
	s_branch .LBB15_2174
.LBB15_2172:
	s_mov_b32 s21, -1
                                        ; implicit-def: $sgpr17
	s_branch .LBB15_2177
.LBB15_2173:
	s_mov_b32 s21, -1
                                        ; implicit-def: $sgpr17
.LBB15_2174:
	s_delay_alu instid0(SALU_CYCLE_1)
	s_and_not1_b32 vcc_lo, exec_lo, s21
	s_cbranch_vccnz .LBB15_2176
; %bb.2175:
	global_load_u16 v1, v[26:27], off
	s_and_not1_b32 s17, s17, exec_lo
	s_wait_loadcnt 0x0
	v_cmp_ne_u16_e32 vcc_lo, 0, v1
	s_and_b32 s21, vcc_lo, exec_lo
	s_delay_alu instid0(SALU_CYCLE_1)
	s_or_b32 s17, s17, s21
.LBB15_2176:
	s_mov_b32 s21, 0
.LBB15_2177:
	s_delay_alu instid0(SALU_CYCLE_1)
	s_and_not1_b32 vcc_lo, exec_lo, s21
	s_cbranch_vccnz .LBB15_2179
; %bb.2178:
	global_load_u8 v1, v[26:27], off
	s_and_not1_b32 s17, s17, exec_lo
	s_wait_loadcnt 0x0
	v_cmp_ne_u16_e32 vcc_lo, 0, v1
	s_and_b32 s21, vcc_lo, exec_lo
	s_delay_alu instid0(SALU_CYCLE_1)
	s_or_b32 s17, s17, s21
.LBB15_2179:
	s_mov_b32 s21, -1
.LBB15_2180:
	s_mov_b32 s23, 0
.LBB15_2181:
	s_delay_alu instid0(SALU_CYCLE_1)
	s_and_b32 vcc_lo, exec_lo, s23
	s_cbranch_vccz .LBB15_2204
; %bb.2182:
	s_cmp_gt_i32 s0, 22
	s_cbranch_scc0 .LBB15_2186
; %bb.2183:
	s_cmp_lt_i32 s0, 24
	s_cbranch_scc1 .LBB15_2187
; %bb.2184:
	s_cmp_gt_i32 s0, 24
	s_cbranch_scc0 .LBB15_2188
; %bb.2185:
	global_load_u8 v1, v[26:27], off
	s_mov_b32 s21, 0
	s_wait_loadcnt 0x0
	v_cmp_ne_u16_e64 s17, 0, v1
	s_branch .LBB15_2189
.LBB15_2186:
	s_mov_b32 s22, -1
                                        ; implicit-def: $sgpr17
	s_branch .LBB15_2195
.LBB15_2187:
	s_mov_b32 s21, -1
                                        ; implicit-def: $sgpr17
	s_branch .LBB15_2192
.LBB15_2188:
	s_mov_b32 s21, -1
                                        ; implicit-def: $sgpr17
.LBB15_2189:
	s_delay_alu instid0(SALU_CYCLE_1)
	s_and_not1_b32 vcc_lo, exec_lo, s21
	s_cbranch_vccnz .LBB15_2191
; %bb.2190:
	global_load_u8 v1, v[26:27], off
	s_and_not1_b32 s17, s17, exec_lo
	s_wait_loadcnt 0x0
	v_and_b32_e32 v1, 0x7f, v1
	s_delay_alu instid0(VALU_DEP_1) | instskip(SKIP_1) | instid1(SALU_CYCLE_1)
	v_cmp_ne_u16_e32 vcc_lo, 0, v1
	s_and_b32 s21, vcc_lo, exec_lo
	s_or_b32 s17, s17, s21
.LBB15_2191:
	s_mov_b32 s21, 0
.LBB15_2192:
	s_delay_alu instid0(SALU_CYCLE_1)
	s_and_not1_b32 vcc_lo, exec_lo, s21
	s_cbranch_vccnz .LBB15_2194
; %bb.2193:
	global_load_u8 v1, v[26:27], off
	s_and_not1_b32 s17, s17, exec_lo
	s_wait_loadcnt 0x0
	v_dual_lshlrev_b32 v3, 25, v1 :: v_dual_lshlrev_b32 v1, 8, v1
	s_delay_alu instid0(VALU_DEP_1) | instskip(NEXT) | instid1(VALU_DEP_2)
	v_cmp_gt_u32_e32 vcc_lo, 0x8000000, v3
	v_and_or_b32 v1, 0x7f00, v1, 0.5
	s_delay_alu instid0(VALU_DEP_1) | instskip(NEXT) | instid1(VALU_DEP_1)
	v_dual_lshrrev_b32 v5, 4, v3 :: v_dual_add_f32 v1, -0.5, v1
	v_or_b32_e32 v5, 0x70000000, v5
	s_delay_alu instid0(VALU_DEP_1) | instskip(NEXT) | instid1(VALU_DEP_1)
	v_mul_f32_e32 v5, 0x7800000, v5
	v_cndmask_b32_e32 v1, v5, v1, vcc_lo
	s_delay_alu instid0(VALU_DEP_1) | instskip(SKIP_1) | instid1(SALU_CYCLE_1)
	v_cmp_neq_f32_e32 vcc_lo, 0, v1
	s_and_b32 s21, vcc_lo, exec_lo
	s_or_b32 s17, s17, s21
.LBB15_2194:
	s_mov_b32 s21, -1
.LBB15_2195:
	s_and_not1_b32 vcc_lo, exec_lo, s22
	s_mov_b32 s22, 0
	s_cbranch_vccnz .LBB15_2204
; %bb.2196:
	s_cmp_gt_i32 s0, 14
	s_cbranch_scc0 .LBB15_2199
; %bb.2197:
	s_cmp_eq_u32 s0, 15
	s_cbranch_scc0 .LBB15_2200
; %bb.2198:
	global_load_u16 v1, v[26:27], off
	s_mov_b32 s20, 0
	s_mov_b32 s21, -1
	s_wait_loadcnt 0x0
	v_and_b32_e32 v1, 0x7fff, v1
	s_delay_alu instid0(VALU_DEP_1)
	v_cmp_ne_u16_e64 s17, 0, v1
	s_branch .LBB15_2202
.LBB15_2199:
	s_mov_b32 s22, -1
	s_branch .LBB15_2201
.LBB15_2200:
	s_mov_b32 s20, -1
.LBB15_2201:
                                        ; implicit-def: $sgpr17
.LBB15_2202:
	s_and_b32 vcc_lo, exec_lo, s22
	s_mov_b32 s22, 0
	s_cbranch_vccz .LBB15_2204
; %bb.2203:
	s_cmp_lg_u32 s0, 11
	s_mov_b32 s22, -1
	s_cselect_b32 s20, -1, 0
.LBB15_2204:
	s_delay_alu instid0(SALU_CYCLE_1)
	s_and_b32 vcc_lo, exec_lo, s20
	s_cbranch_vccnz .LBB15_2267
; %bb.2205:
	s_and_not1_b32 vcc_lo, exec_lo, s22
	s_cbranch_vccnz .LBB15_2207
.LBB15_2206:
	global_load_u8 v1, v[26:27], off
	s_and_not1_b32 s0, s17, exec_lo
	s_mov_b32 s21, -1
	s_wait_loadcnt 0x0
	v_cmp_ne_u16_e32 vcc_lo, 0, v1
	s_and_b32 s17, vcc_lo, exec_lo
	s_delay_alu instid0(SALU_CYCLE_1)
	s_or_b32 s17, s0, s17
.LBB15_2207:
	s_branch .LBB15_2150
.LBB15_2208:
	s_and_b32 s20, 0xffff, s19
	s_delay_alu instid0(SALU_CYCLE_1)
	s_cmp_lt_i32 s20, 5
	s_cbranch_scc1 .LBB15_2213
; %bb.2209:
	s_cmp_lt_i32 s20, 8
	s_cbranch_scc1 .LBB15_2214
; %bb.2210:
	;; [unrolled: 3-line block ×3, first 2 shown]
	s_cmp_gt_i32 s20, 9
	s_cbranch_scc0 .LBB15_2216
; %bb.2212:
	global_load_b128 v[28:31], v[26:27], off
	s_wait_loadcnt 0x0
	v_cmp_neq_f64_e32 vcc_lo, 0, v[28:29]
	v_cmp_neq_f64_e64 s0, 0, v[30:31]
	s_or_b32 s17, vcc_lo, s0
	s_mov_b32 s0, 0
	s_branch .LBB15_2217
.LBB15_2213:
	s_mov_b32 s0, -1
                                        ; implicit-def: $sgpr17
	s_branch .LBB15_2235
.LBB15_2214:
	s_mov_b32 s0, -1
                                        ; implicit-def: $sgpr17
	s_branch .LBB15_2223
.LBB15_2215:
	s_mov_b32 s0, -1
                                        ; implicit-def: $sgpr17
	s_branch .LBB15_2220
.LBB15_2216:
	s_mov_b32 s0, -1
                                        ; implicit-def: $sgpr17
.LBB15_2217:
	s_delay_alu instid0(SALU_CYCLE_1)
	s_and_not1_b32 vcc_lo, exec_lo, s0
	s_cbranch_vccnz .LBB15_2219
; %bb.2218:
	global_load_b64 v[28:29], v[26:27], off
	s_and_not1_b32 s0, s17, exec_lo
	s_wait_loadcnt 0x0
	v_bitop3_b32 v1, v28, 0x7fffffff, v29 bitop3:0xc8
	s_delay_alu instid0(VALU_DEP_1) | instskip(SKIP_1) | instid1(SALU_CYCLE_1)
	v_cmp_ne_u32_e32 vcc_lo, 0, v1
	s_and_b32 s17, vcc_lo, exec_lo
	s_or_b32 s17, s0, s17
.LBB15_2219:
	s_mov_b32 s0, 0
.LBB15_2220:
	s_delay_alu instid0(SALU_CYCLE_1)
	s_and_not1_b32 vcc_lo, exec_lo, s0
	s_cbranch_vccnz .LBB15_2222
; %bb.2221:
	global_load_b32 v1, v[26:27], off
	s_and_not1_b32 s0, s17, exec_lo
	s_wait_loadcnt 0x0
	v_and_b32_e32 v1, 0x7fff7fff, v1
	s_delay_alu instid0(VALU_DEP_1) | instskip(SKIP_1) | instid1(SALU_CYCLE_1)
	v_cmp_ne_u32_e32 vcc_lo, 0, v1
	s_and_b32 s17, vcc_lo, exec_lo
	s_or_b32 s17, s0, s17
.LBB15_2222:
	s_mov_b32 s0, 0
.LBB15_2223:
	s_delay_alu instid0(SALU_CYCLE_1)
	s_and_not1_b32 vcc_lo, exec_lo, s0
	s_cbranch_vccnz .LBB15_2234
; %bb.2224:
	s_cmp_lt_i32 s20, 6
	s_cbranch_scc1 .LBB15_2227
; %bb.2225:
	s_cmp_gt_i32 s20, 6
	s_cbranch_scc0 .LBB15_2228
; %bb.2226:
	global_load_b64 v[28:29], v[26:27], off
	s_mov_b32 s0, 0
	s_wait_loadcnt 0x0
	v_cmp_neq_f64_e64 s17, 0, v[28:29]
	s_branch .LBB15_2229
.LBB15_2227:
	s_mov_b32 s0, -1
                                        ; implicit-def: $sgpr17
	s_branch .LBB15_2232
.LBB15_2228:
	s_mov_b32 s0, -1
                                        ; implicit-def: $sgpr17
.LBB15_2229:
	s_delay_alu instid0(SALU_CYCLE_1)
	s_and_not1_b32 vcc_lo, exec_lo, s0
	s_cbranch_vccnz .LBB15_2231
; %bb.2230:
	global_load_b32 v1, v[26:27], off
	s_and_not1_b32 s0, s17, exec_lo
	s_wait_loadcnt 0x0
	v_cmp_neq_f32_e32 vcc_lo, 0, v1
	s_and_b32 s17, vcc_lo, exec_lo
	s_delay_alu instid0(SALU_CYCLE_1)
	s_or_b32 s17, s0, s17
.LBB15_2231:
	s_mov_b32 s0, 0
.LBB15_2232:
	s_delay_alu instid0(SALU_CYCLE_1)
	s_and_not1_b32 vcc_lo, exec_lo, s0
	s_cbranch_vccnz .LBB15_2234
; %bb.2233:
	global_load_u16 v1, v[26:27], off
	s_and_not1_b32 s0, s17, exec_lo
	s_wait_loadcnt 0x0
	v_and_b32_e32 v1, 0x7fff, v1
	s_delay_alu instid0(VALU_DEP_1) | instskip(SKIP_1) | instid1(SALU_CYCLE_1)
	v_cmp_ne_u16_e32 vcc_lo, 0, v1
	s_and_b32 s17, vcc_lo, exec_lo
	s_or_b32 s17, s0, s17
.LBB15_2234:
	s_mov_b32 s0, 0
.LBB15_2235:
	s_delay_alu instid0(SALU_CYCLE_1)
	s_and_not1_b32 vcc_lo, exec_lo, s0
	s_cbranch_vccnz .LBB15_2255
; %bb.2236:
	s_cmp_lt_i32 s20, 2
	s_cbranch_scc1 .LBB15_2240
; %bb.2237:
	s_cmp_lt_i32 s20, 3
	s_cbranch_scc1 .LBB15_2241
; %bb.2238:
	s_cmp_gt_i32 s20, 3
	s_cbranch_scc0 .LBB15_2242
; %bb.2239:
	global_load_b64 v[28:29], v[26:27], off
	s_mov_b32 s0, 0
	s_wait_loadcnt 0x0
	v_cmp_ne_u64_e64 s17, 0, v[28:29]
	s_branch .LBB15_2243
.LBB15_2240:
	s_mov_b32 s0, -1
                                        ; implicit-def: $sgpr17
	s_branch .LBB15_2249
.LBB15_2241:
	s_mov_b32 s0, -1
                                        ; implicit-def: $sgpr17
	s_branch .LBB15_2246
.LBB15_2242:
	s_mov_b32 s0, -1
                                        ; implicit-def: $sgpr17
.LBB15_2243:
	s_delay_alu instid0(SALU_CYCLE_1)
	s_and_not1_b32 vcc_lo, exec_lo, s0
	s_cbranch_vccnz .LBB15_2245
; %bb.2244:
	global_load_b32 v1, v[26:27], off
	s_and_not1_b32 s0, s17, exec_lo
	s_wait_loadcnt 0x0
	v_cmp_ne_u32_e32 vcc_lo, 0, v1
	s_and_b32 s17, vcc_lo, exec_lo
	s_delay_alu instid0(SALU_CYCLE_1)
	s_or_b32 s17, s0, s17
.LBB15_2245:
	s_mov_b32 s0, 0
.LBB15_2246:
	s_delay_alu instid0(SALU_CYCLE_1)
	s_and_not1_b32 vcc_lo, exec_lo, s0
	s_cbranch_vccnz .LBB15_2248
; %bb.2247:
	global_load_u16 v1, v[26:27], off
	s_and_not1_b32 s0, s17, exec_lo
	s_wait_loadcnt 0x0
	v_cmp_ne_u16_e32 vcc_lo, 0, v1
	s_and_b32 s17, vcc_lo, exec_lo
	s_delay_alu instid0(SALU_CYCLE_1)
	s_or_b32 s17, s0, s17
.LBB15_2248:
	s_mov_b32 s0, 0
.LBB15_2249:
	s_delay_alu instid0(SALU_CYCLE_1)
	s_and_not1_b32 vcc_lo, exec_lo, s0
	s_cbranch_vccnz .LBB15_2255
; %bb.2250:
	s_cmp_gt_i32 s20, 0
	s_mov_b32 s0, 0
	s_cbranch_scc0 .LBB15_2252
; %bb.2251:
	global_load_u8 v1, v[26:27], off
	s_wait_loadcnt 0x0
	v_cmp_ne_u16_e64 s17, 0, v1
	s_branch .LBB15_2253
.LBB15_2252:
	s_mov_b32 s0, -1
                                        ; implicit-def: $sgpr17
.LBB15_2253:
	s_delay_alu instid0(SALU_CYCLE_1)
	s_and_not1_b32 vcc_lo, exec_lo, s0
	s_cbranch_vccnz .LBB15_2255
; %bb.2254:
	global_load_u8 v1, v[26:27], off
	s_and_not1_b32 s0, s17, exec_lo
	s_wait_loadcnt 0x0
	v_cmp_ne_u16_e32 vcc_lo, 0, v1
	s_and_b32 s17, vcc_lo, exec_lo
	s_delay_alu instid0(SALU_CYCLE_1)
	s_or_b32 s17, s0, s17
.LBB15_2255:
.LBB15_2256:
	v_mov_b32_e32 v25, 0
	s_and_b32 s22, 0xffff, s16
	s_delay_alu instid0(SALU_CYCLE_1) | instskip(NEXT) | instid1(VALU_DEP_1)
	s_cmp_lt_i32 s22, 11
	v_add_nc_u64_e32 v[24:25], s[6:7], v[24:25]
	s_cbranch_scc1 .LBB15_2263
; %bb.2257:
	s_cmp_gt_i32 s22, 25
	s_mov_b32 s21, 0
	s_cbranch_scc0 .LBB15_2264
; %bb.2258:
	s_cmp_gt_i32 s22, 28
	s_cbranch_scc0 .LBB15_2265
; %bb.2259:
	s_cmp_gt_i32 s22, 43
	;; [unrolled: 3-line block ×3, first 2 shown]
	s_cbranch_scc0 .LBB15_2268
; %bb.2261:
	s_cmp_eq_u32 s22, 46
	s_mov_b32 s23, 0
	s_cbranch_scc0 .LBB15_2269
; %bb.2262:
	global_load_b32 v1, v[24:25], off
	s_mov_b32 s0, 0
	s_mov_b32 s20, -1
	s_wait_loadcnt 0x0
	v_and_b32_e32 v1, 0x7fff7fff, v1
	s_delay_alu instid0(VALU_DEP_1)
	v_cmp_ne_u32_e64 s16, 0, v1
	s_branch .LBB15_2271
.LBB15_2263:
	s_mov_b32 s0, -1
	s_mov_b32 s20, 0
                                        ; implicit-def: $sgpr16
	s_branch .LBB15_2319
.LBB15_2264:
	s_mov_b32 s23, -1
	s_mov_b32 s20, 0
	s_mov_b32 s0, 0
                                        ; implicit-def: $sgpr16
	s_branch .LBB15_2292
.LBB15_2265:
	s_mov_b32 s23, -1
	s_mov_b32 s20, 0
	s_mov_b32 s0, 0
                                        ; implicit-def: $sgpr16
	s_branch .LBB15_2279
.LBB15_2266:
	s_mov_b32 s23, -1
	s_mov_b32 s20, 0
	s_mov_b32 s0, 0
                                        ; implicit-def: $sgpr16
	s_branch .LBB15_2274
.LBB15_2267:
	s_mov_b32 s21, 0
	s_or_b32 s1, s1, exec_lo
	s_trap 2
	s_cbranch_execz .LBB15_2206
	s_branch .LBB15_2207
.LBB15_2268:
	s_mov_b32 s23, -1
	s_mov_b32 s20, 0
	s_mov_b32 s0, 0
	s_branch .LBB15_2270
.LBB15_2269:
	s_mov_b32 s0, -1
	s_mov_b32 s20, 0
.LBB15_2270:
                                        ; implicit-def: $sgpr16
.LBB15_2271:
	s_and_b32 vcc_lo, exec_lo, s23
	s_cbranch_vccz .LBB15_2273
; %bb.2272:
	s_cmp_lg_u32 s22, 44
	s_mov_b32 s20, -1
	s_cselect_b32 s0, -1, 0
	s_or_b32 s16, s16, exec_lo
.LBB15_2273:
	s_mov_b32 s23, 0
.LBB15_2274:
	s_delay_alu instid0(SALU_CYCLE_1)
	s_and_b32 vcc_lo, exec_lo, s23
	s_cbranch_vccz .LBB15_2278
; %bb.2275:
	s_cmp_eq_u32 s22, 29
	s_cbranch_scc0 .LBB15_2277
; %bb.2276:
	global_load_b64 v[26:27], v[24:25], off
	s_mov_b32 s0, 0
	s_mov_b32 s20, -1
	s_mov_b32 s23, 0
	s_wait_loadcnt 0x0
	v_cmp_ne_u64_e64 s16, 0, v[26:27]
	s_branch .LBB15_2279
.LBB15_2277:
	s_mov_b32 s0, -1
                                        ; implicit-def: $sgpr16
.LBB15_2278:
	s_mov_b32 s23, 0
.LBB15_2279:
	s_delay_alu instid0(SALU_CYCLE_1)
	s_and_b32 vcc_lo, exec_lo, s23
	s_cbranch_vccz .LBB15_2291
; %bb.2280:
	s_cmp_lt_i32 s22, 27
	s_cbranch_scc1 .LBB15_2283
; %bb.2281:
	s_cmp_gt_i32 s22, 27
	s_cbranch_scc0 .LBB15_2284
; %bb.2282:
	global_load_b32 v1, v[24:25], off
	s_mov_b32 s20, 0
	s_wait_loadcnt 0x0
	v_cmp_ne_u32_e64 s16, 0, v1
	s_branch .LBB15_2285
.LBB15_2283:
	s_mov_b32 s20, -1
                                        ; implicit-def: $sgpr16
	s_branch .LBB15_2288
.LBB15_2284:
	s_mov_b32 s20, -1
                                        ; implicit-def: $sgpr16
.LBB15_2285:
	s_delay_alu instid0(SALU_CYCLE_1)
	s_and_not1_b32 vcc_lo, exec_lo, s20
	s_cbranch_vccnz .LBB15_2287
; %bb.2286:
	global_load_u16 v1, v[24:25], off
	s_and_not1_b32 s16, s16, exec_lo
	s_wait_loadcnt 0x0
	v_cmp_ne_u16_e32 vcc_lo, 0, v1
	s_and_b32 s20, vcc_lo, exec_lo
	s_delay_alu instid0(SALU_CYCLE_1)
	s_or_b32 s16, s16, s20
.LBB15_2287:
	s_mov_b32 s20, 0
.LBB15_2288:
	s_delay_alu instid0(SALU_CYCLE_1)
	s_and_not1_b32 vcc_lo, exec_lo, s20
	s_cbranch_vccnz .LBB15_2290
; %bb.2289:
	global_load_u8 v1, v[24:25], off
	s_and_not1_b32 s16, s16, exec_lo
	s_wait_loadcnt 0x0
	v_cmp_ne_u16_e32 vcc_lo, 0, v1
	s_and_b32 s20, vcc_lo, exec_lo
	s_delay_alu instid0(SALU_CYCLE_1)
	s_or_b32 s16, s16, s20
.LBB15_2290:
	s_mov_b32 s20, -1
.LBB15_2291:
	s_mov_b32 s23, 0
.LBB15_2292:
	s_delay_alu instid0(SALU_CYCLE_1)
	s_and_b32 vcc_lo, exec_lo, s23
	s_cbranch_vccz .LBB15_2315
; %bb.2293:
	s_cmp_gt_i32 s22, 22
	s_cbranch_scc0 .LBB15_2297
; %bb.2294:
	s_cmp_lt_i32 s22, 24
	s_cbranch_scc1 .LBB15_2298
; %bb.2295:
	s_cmp_gt_i32 s22, 24
	s_cbranch_scc0 .LBB15_2299
; %bb.2296:
	global_load_u8 v1, v[24:25], off
	s_mov_b32 s20, 0
	s_wait_loadcnt 0x0
	v_cmp_ne_u16_e64 s16, 0, v1
	s_branch .LBB15_2300
.LBB15_2297:
	s_mov_b32 s21, -1
                                        ; implicit-def: $sgpr16
	s_branch .LBB15_2306
.LBB15_2298:
	s_mov_b32 s20, -1
                                        ; implicit-def: $sgpr16
	s_branch .LBB15_2303
.LBB15_2299:
	s_mov_b32 s20, -1
                                        ; implicit-def: $sgpr16
.LBB15_2300:
	s_delay_alu instid0(SALU_CYCLE_1)
	s_and_not1_b32 vcc_lo, exec_lo, s20
	s_cbranch_vccnz .LBB15_2302
; %bb.2301:
	global_load_u8 v1, v[24:25], off
	s_and_not1_b32 s16, s16, exec_lo
	s_wait_loadcnt 0x0
	v_and_b32_e32 v1, 0x7f, v1
	s_delay_alu instid0(VALU_DEP_1) | instskip(SKIP_1) | instid1(SALU_CYCLE_1)
	v_cmp_ne_u16_e32 vcc_lo, 0, v1
	s_and_b32 s20, vcc_lo, exec_lo
	s_or_b32 s16, s16, s20
.LBB15_2302:
	s_mov_b32 s20, 0
.LBB15_2303:
	s_delay_alu instid0(SALU_CYCLE_1)
	s_and_not1_b32 vcc_lo, exec_lo, s20
	s_cbranch_vccnz .LBB15_2305
; %bb.2304:
	global_load_u8 v1, v[24:25], off
	s_and_not1_b32 s16, s16, exec_lo
	s_wait_loadcnt 0x0
	v_dual_lshlrev_b32 v3, 25, v1 :: v_dual_lshlrev_b32 v1, 8, v1
	s_delay_alu instid0(VALU_DEP_1) | instskip(NEXT) | instid1(VALU_DEP_2)
	v_cmp_gt_u32_e32 vcc_lo, 0x8000000, v3
	v_and_or_b32 v1, 0x7f00, v1, 0.5
	s_delay_alu instid0(VALU_DEP_1) | instskip(NEXT) | instid1(VALU_DEP_1)
	v_dual_lshrrev_b32 v5, 4, v3 :: v_dual_add_f32 v1, -0.5, v1
	v_or_b32_e32 v5, 0x70000000, v5
	s_delay_alu instid0(VALU_DEP_1) | instskip(NEXT) | instid1(VALU_DEP_1)
	v_mul_f32_e32 v5, 0x7800000, v5
	v_cndmask_b32_e32 v1, v5, v1, vcc_lo
	s_delay_alu instid0(VALU_DEP_1) | instskip(SKIP_1) | instid1(SALU_CYCLE_1)
	v_cmp_neq_f32_e32 vcc_lo, 0, v1
	s_and_b32 s20, vcc_lo, exec_lo
	s_or_b32 s16, s16, s20
.LBB15_2305:
	s_mov_b32 s20, -1
.LBB15_2306:
	s_and_not1_b32 vcc_lo, exec_lo, s21
	s_mov_b32 s21, 0
	s_cbranch_vccnz .LBB15_2315
; %bb.2307:
	s_cmp_gt_i32 s22, 14
	s_cbranch_scc0 .LBB15_2310
; %bb.2308:
	s_cmp_eq_u32 s22, 15
	s_cbranch_scc0 .LBB15_2311
; %bb.2309:
	global_load_u16 v1, v[24:25], off
	s_mov_b32 s0, 0
	s_mov_b32 s20, -1
	s_wait_loadcnt 0x0
	v_and_b32_e32 v1, 0x7fff, v1
	s_delay_alu instid0(VALU_DEP_1)
	v_cmp_ne_u16_e64 s16, 0, v1
	s_branch .LBB15_2313
.LBB15_2310:
	s_mov_b32 s21, -1
	s_branch .LBB15_2312
.LBB15_2311:
	s_mov_b32 s0, -1
.LBB15_2312:
                                        ; implicit-def: $sgpr16
.LBB15_2313:
	s_and_b32 vcc_lo, exec_lo, s21
	s_mov_b32 s21, 0
	s_cbranch_vccz .LBB15_2315
; %bb.2314:
	s_cmp_lg_u32 s22, 11
	s_mov_b32 s21, -1
	s_cselect_b32 s0, -1, 0
.LBB15_2315:
	s_delay_alu instid0(SALU_CYCLE_1)
	s_and_b32 vcc_lo, exec_lo, s0
	s_cbranch_vccnz .LBB15_2380
; %bb.2316:
	s_and_not1_b32 vcc_lo, exec_lo, s21
	s_cbranch_vccnz .LBB15_2318
.LBB15_2317:
	global_load_u8 v1, v[24:25], off
	s_and_not1_b32 s0, s16, exec_lo
	s_mov_b32 s20, -1
	s_wait_loadcnt 0x0
	v_cmp_ne_u16_e32 vcc_lo, 0, v1
	s_and_b32 s16, vcc_lo, exec_lo
	s_delay_alu instid0(SALU_CYCLE_1)
	s_or_b32 s16, s0, s16
.LBB15_2318:
	s_mov_b32 s0, 0
.LBB15_2319:
	s_delay_alu instid0(SALU_CYCLE_1)
	s_and_b32 vcc_lo, exec_lo, s0
	s_cbranch_vccz .LBB15_2368
; %bb.2320:
	s_cmp_lt_i32 s22, 5
	s_cbranch_scc1 .LBB15_2325
; %bb.2321:
	s_cmp_lt_i32 s22, 8
	s_cbranch_scc1 .LBB15_2326
	;; [unrolled: 3-line block ×3, first 2 shown]
; %bb.2323:
	s_cmp_gt_i32 s22, 9
	s_cbranch_scc0 .LBB15_2328
; %bb.2324:
	global_load_b128 v[26:29], v[24:25], off
	s_wait_loadcnt 0x0
	v_cmp_neq_f64_e32 vcc_lo, 0, v[26:27]
	v_cmp_neq_f64_e64 s0, 0, v[28:29]
	s_or_b32 s16, vcc_lo, s0
	s_mov_b32 s0, 0
	s_branch .LBB15_2329
.LBB15_2325:
	s_mov_b32 s0, -1
                                        ; implicit-def: $sgpr16
	s_branch .LBB15_2347
.LBB15_2326:
	s_mov_b32 s0, -1
                                        ; implicit-def: $sgpr16
	s_branch .LBB15_2335
.LBB15_2327:
	s_mov_b32 s0, -1
                                        ; implicit-def: $sgpr16
	s_branch .LBB15_2332
.LBB15_2328:
	s_mov_b32 s0, -1
                                        ; implicit-def: $sgpr16
.LBB15_2329:
	s_delay_alu instid0(SALU_CYCLE_1)
	s_and_not1_b32 vcc_lo, exec_lo, s0
	s_cbranch_vccnz .LBB15_2331
; %bb.2330:
	global_load_b64 v[26:27], v[24:25], off
	s_and_not1_b32 s0, s16, exec_lo
	s_wait_loadcnt 0x0
	v_bitop3_b32 v1, v26, 0x7fffffff, v27 bitop3:0xc8
	s_delay_alu instid0(VALU_DEP_1) | instskip(SKIP_1) | instid1(SALU_CYCLE_1)
	v_cmp_ne_u32_e32 vcc_lo, 0, v1
	s_and_b32 s16, vcc_lo, exec_lo
	s_or_b32 s16, s0, s16
.LBB15_2331:
	s_mov_b32 s0, 0
.LBB15_2332:
	s_delay_alu instid0(SALU_CYCLE_1)
	s_and_not1_b32 vcc_lo, exec_lo, s0
	s_cbranch_vccnz .LBB15_2334
; %bb.2333:
	global_load_b32 v1, v[24:25], off
	s_and_not1_b32 s0, s16, exec_lo
	s_wait_loadcnt 0x0
	v_and_b32_e32 v1, 0x7fff7fff, v1
	s_delay_alu instid0(VALU_DEP_1) | instskip(SKIP_1) | instid1(SALU_CYCLE_1)
	v_cmp_ne_u32_e32 vcc_lo, 0, v1
	s_and_b32 s16, vcc_lo, exec_lo
	s_or_b32 s16, s0, s16
.LBB15_2334:
	s_mov_b32 s0, 0
.LBB15_2335:
	s_delay_alu instid0(SALU_CYCLE_1)
	s_and_not1_b32 vcc_lo, exec_lo, s0
	s_cbranch_vccnz .LBB15_2346
; %bb.2336:
	s_cmp_lt_i32 s22, 6
	s_cbranch_scc1 .LBB15_2339
; %bb.2337:
	s_cmp_gt_i32 s22, 6
	s_cbranch_scc0 .LBB15_2340
; %bb.2338:
	global_load_b64 v[26:27], v[24:25], off
	s_mov_b32 s0, 0
	s_wait_loadcnt 0x0
	v_cmp_neq_f64_e64 s16, 0, v[26:27]
	s_branch .LBB15_2341
.LBB15_2339:
	s_mov_b32 s0, -1
                                        ; implicit-def: $sgpr16
	s_branch .LBB15_2344
.LBB15_2340:
	s_mov_b32 s0, -1
                                        ; implicit-def: $sgpr16
.LBB15_2341:
	s_delay_alu instid0(SALU_CYCLE_1)
	s_and_not1_b32 vcc_lo, exec_lo, s0
	s_cbranch_vccnz .LBB15_2343
; %bb.2342:
	global_load_b32 v1, v[24:25], off
	s_and_not1_b32 s0, s16, exec_lo
	s_wait_loadcnt 0x0
	v_cmp_neq_f32_e32 vcc_lo, 0, v1
	s_and_b32 s16, vcc_lo, exec_lo
	s_delay_alu instid0(SALU_CYCLE_1)
	s_or_b32 s16, s0, s16
.LBB15_2343:
	s_mov_b32 s0, 0
.LBB15_2344:
	s_delay_alu instid0(SALU_CYCLE_1)
	s_and_not1_b32 vcc_lo, exec_lo, s0
	s_cbranch_vccnz .LBB15_2346
; %bb.2345:
	global_load_u16 v1, v[24:25], off
	s_and_not1_b32 s0, s16, exec_lo
	s_wait_loadcnt 0x0
	v_and_b32_e32 v1, 0x7fff, v1
	s_delay_alu instid0(VALU_DEP_1) | instskip(SKIP_1) | instid1(SALU_CYCLE_1)
	v_cmp_ne_u16_e32 vcc_lo, 0, v1
	s_and_b32 s16, vcc_lo, exec_lo
	s_or_b32 s16, s0, s16
.LBB15_2346:
	s_mov_b32 s0, 0
.LBB15_2347:
	s_delay_alu instid0(SALU_CYCLE_1)
	s_and_not1_b32 vcc_lo, exec_lo, s0
	s_cbranch_vccnz .LBB15_2367
; %bb.2348:
	s_cmp_lt_i32 s22, 2
	s_cbranch_scc1 .LBB15_2352
; %bb.2349:
	s_cmp_lt_i32 s22, 3
	s_cbranch_scc1 .LBB15_2353
; %bb.2350:
	s_cmp_gt_i32 s22, 3
	s_cbranch_scc0 .LBB15_2354
; %bb.2351:
	global_load_b64 v[26:27], v[24:25], off
	s_mov_b32 s0, 0
	s_wait_loadcnt 0x0
	v_cmp_ne_u64_e64 s16, 0, v[26:27]
	s_branch .LBB15_2355
.LBB15_2352:
	s_mov_b32 s0, -1
                                        ; implicit-def: $sgpr16
	s_branch .LBB15_2361
.LBB15_2353:
	s_mov_b32 s0, -1
                                        ; implicit-def: $sgpr16
	s_branch .LBB15_2358
.LBB15_2354:
	s_mov_b32 s0, -1
                                        ; implicit-def: $sgpr16
.LBB15_2355:
	s_delay_alu instid0(SALU_CYCLE_1)
	s_and_not1_b32 vcc_lo, exec_lo, s0
	s_cbranch_vccnz .LBB15_2357
; %bb.2356:
	global_load_b32 v1, v[24:25], off
	s_and_not1_b32 s0, s16, exec_lo
	s_wait_loadcnt 0x0
	v_cmp_ne_u32_e32 vcc_lo, 0, v1
	s_and_b32 s16, vcc_lo, exec_lo
	s_delay_alu instid0(SALU_CYCLE_1)
	s_or_b32 s16, s0, s16
.LBB15_2357:
	s_mov_b32 s0, 0
.LBB15_2358:
	s_delay_alu instid0(SALU_CYCLE_1)
	s_and_not1_b32 vcc_lo, exec_lo, s0
	s_cbranch_vccnz .LBB15_2360
; %bb.2359:
	global_load_u16 v1, v[24:25], off
	s_and_not1_b32 s0, s16, exec_lo
	s_wait_loadcnt 0x0
	v_cmp_ne_u16_e32 vcc_lo, 0, v1
	s_and_b32 s16, vcc_lo, exec_lo
	s_delay_alu instid0(SALU_CYCLE_1)
	s_or_b32 s16, s0, s16
.LBB15_2360:
	s_mov_b32 s0, 0
.LBB15_2361:
	s_delay_alu instid0(SALU_CYCLE_1)
	s_and_not1_b32 vcc_lo, exec_lo, s0
	s_cbranch_vccnz .LBB15_2367
; %bb.2362:
	s_cmp_gt_i32 s22, 0
	s_mov_b32 s0, 0
	s_cbranch_scc0 .LBB15_2364
; %bb.2363:
	global_load_u8 v1, v[24:25], off
	s_wait_loadcnt 0x0
	v_cmp_ne_u16_e64 s16, 0, v1
	s_branch .LBB15_2365
.LBB15_2364:
	s_mov_b32 s0, -1
                                        ; implicit-def: $sgpr16
.LBB15_2365:
	s_delay_alu instid0(SALU_CYCLE_1)
	s_and_not1_b32 vcc_lo, exec_lo, s0
	s_cbranch_vccnz .LBB15_2367
; %bb.2366:
	global_load_u8 v1, v[24:25], off
	s_and_not1_b32 s0, s16, exec_lo
	s_wait_loadcnt 0x0
	v_cmp_ne_u16_e32 vcc_lo, 0, v1
	s_and_b32 s16, vcc_lo, exec_lo
	s_delay_alu instid0(SALU_CYCLE_1)
	s_or_b32 s16, s0, s16
.LBB15_2367:
	s_mov_b32 s20, -1
.LBB15_2368:
	s_delay_alu instid0(SALU_CYCLE_1)
	s_and_not1_b32 vcc_lo, exec_lo, s20
	s_cbranch_vccnz .LBB15_3712
; %bb.2369:
	v_mov_b32_e32 v23, 0
	s_and_b32 s23, 0xffff, s18
	s_delay_alu instid0(SALU_CYCLE_1) | instskip(NEXT) | instid1(VALU_DEP_1)
	s_cmp_lt_i32 s23, 11
	v_add_nc_u64_e32 v[22:23], s[8:9], v[22:23]
	s_cbranch_scc1 .LBB15_2376
; %bb.2370:
	s_cmp_gt_i32 s23, 25
	s_mov_b32 s21, 0
	s_cbranch_scc0 .LBB15_2377
; %bb.2371:
	s_cmp_gt_i32 s23, 28
	s_cbranch_scc0 .LBB15_2378
; %bb.2372:
	s_cmp_gt_i32 s23, 43
	s_cbranch_scc0 .LBB15_2379
; %bb.2373:
	s_cmp_gt_i32 s23, 45
	s_cbranch_scc0 .LBB15_2381
; %bb.2374:
	s_cmp_eq_u32 s23, 46
	s_mov_b32 s24, 0
	s_cbranch_scc0 .LBB15_2382
; %bb.2375:
	global_load_b32 v1, v[22:23], off
	s_mov_b32 s0, 0
	s_mov_b32 s20, -1
	s_wait_loadcnt 0x0
	v_and_b32_e32 v1, 0x7fff7fff, v1
	s_delay_alu instid0(VALU_DEP_1)
	v_cmp_ne_u32_e64 s18, 0, v1
	s_branch .LBB15_2384
.LBB15_2376:
	s_mov_b32 s0, -1
	s_mov_b32 s20, 0
                                        ; implicit-def: $sgpr18
	s_branch .LBB15_2432
.LBB15_2377:
	s_mov_b32 s24, -1
	s_mov_b32 s20, 0
	s_mov_b32 s0, 0
                                        ; implicit-def: $sgpr18
	s_branch .LBB15_2405
.LBB15_2378:
	s_mov_b32 s24, -1
	s_mov_b32 s20, 0
	s_mov_b32 s0, 0
                                        ; implicit-def: $sgpr18
	s_branch .LBB15_2392
.LBB15_2379:
	s_mov_b32 s24, -1
	s_mov_b32 s20, 0
	s_mov_b32 s0, 0
                                        ; implicit-def: $sgpr18
	s_branch .LBB15_2387
.LBB15_2380:
	s_mov_b32 s20, 0
	s_or_b32 s1, s1, exec_lo
	s_trap 2
	s_cbranch_execz .LBB15_2317
	s_branch .LBB15_2318
.LBB15_2381:
	s_mov_b32 s24, -1
	s_mov_b32 s20, 0
	s_mov_b32 s0, 0
	s_branch .LBB15_2383
.LBB15_2382:
	s_mov_b32 s0, -1
	s_mov_b32 s20, 0
.LBB15_2383:
                                        ; implicit-def: $sgpr18
.LBB15_2384:
	s_and_b32 vcc_lo, exec_lo, s24
	s_cbranch_vccz .LBB15_2386
; %bb.2385:
	s_cmp_lg_u32 s23, 44
	s_mov_b32 s20, -1
	s_cselect_b32 s0, -1, 0
	s_or_b32 s18, s18, exec_lo
.LBB15_2386:
	s_mov_b32 s24, 0
.LBB15_2387:
	s_delay_alu instid0(SALU_CYCLE_1)
	s_and_b32 vcc_lo, exec_lo, s24
	s_cbranch_vccz .LBB15_2391
; %bb.2388:
	s_cmp_eq_u32 s23, 29
	s_cbranch_scc0 .LBB15_2390
; %bb.2389:
	global_load_b64 v[24:25], v[22:23], off
	s_mov_b32 s0, 0
	s_mov_b32 s20, -1
	s_mov_b32 s24, 0
	s_wait_loadcnt 0x0
	v_cmp_ne_u64_e64 s18, 0, v[24:25]
	s_branch .LBB15_2392
.LBB15_2390:
	s_mov_b32 s0, -1
                                        ; implicit-def: $sgpr18
.LBB15_2391:
	s_mov_b32 s24, 0
.LBB15_2392:
	s_delay_alu instid0(SALU_CYCLE_1)
	s_and_b32 vcc_lo, exec_lo, s24
	s_cbranch_vccz .LBB15_2404
; %bb.2393:
	s_cmp_lt_i32 s23, 27
	s_cbranch_scc1 .LBB15_2396
; %bb.2394:
	s_cmp_gt_i32 s23, 27
	s_cbranch_scc0 .LBB15_2397
; %bb.2395:
	global_load_b32 v1, v[22:23], off
	s_mov_b32 s20, 0
	s_wait_loadcnt 0x0
	v_cmp_ne_u32_e64 s18, 0, v1
	s_branch .LBB15_2398
.LBB15_2396:
	s_mov_b32 s20, -1
                                        ; implicit-def: $sgpr18
	s_branch .LBB15_2401
.LBB15_2397:
	s_mov_b32 s20, -1
                                        ; implicit-def: $sgpr18
.LBB15_2398:
	s_delay_alu instid0(SALU_CYCLE_1)
	s_and_not1_b32 vcc_lo, exec_lo, s20
	s_cbranch_vccnz .LBB15_2400
; %bb.2399:
	global_load_u16 v1, v[22:23], off
	s_and_not1_b32 s18, s18, exec_lo
	s_wait_loadcnt 0x0
	v_cmp_ne_u16_e32 vcc_lo, 0, v1
	s_and_b32 s20, vcc_lo, exec_lo
	s_delay_alu instid0(SALU_CYCLE_1)
	s_or_b32 s18, s18, s20
.LBB15_2400:
	s_mov_b32 s20, 0
.LBB15_2401:
	s_delay_alu instid0(SALU_CYCLE_1)
	s_and_not1_b32 vcc_lo, exec_lo, s20
	s_cbranch_vccnz .LBB15_2403
; %bb.2402:
	global_load_u8 v1, v[22:23], off
	s_and_not1_b32 s18, s18, exec_lo
	s_wait_loadcnt 0x0
	v_cmp_ne_u16_e32 vcc_lo, 0, v1
	s_and_b32 s20, vcc_lo, exec_lo
	s_delay_alu instid0(SALU_CYCLE_1)
	s_or_b32 s18, s18, s20
.LBB15_2403:
	s_mov_b32 s20, -1
.LBB15_2404:
	s_mov_b32 s24, 0
.LBB15_2405:
	s_delay_alu instid0(SALU_CYCLE_1)
	s_and_b32 vcc_lo, exec_lo, s24
	s_cbranch_vccz .LBB15_2428
; %bb.2406:
	s_cmp_gt_i32 s23, 22
	s_cbranch_scc0 .LBB15_2410
; %bb.2407:
	s_cmp_lt_i32 s23, 24
	s_cbranch_scc1 .LBB15_2411
; %bb.2408:
	s_cmp_gt_i32 s23, 24
	s_cbranch_scc0 .LBB15_2412
; %bb.2409:
	global_load_u8 v1, v[22:23], off
	s_mov_b32 s20, 0
	s_wait_loadcnt 0x0
	v_cmp_ne_u16_e64 s18, 0, v1
	s_branch .LBB15_2413
.LBB15_2410:
	s_mov_b32 s21, -1
                                        ; implicit-def: $sgpr18
	s_branch .LBB15_2419
.LBB15_2411:
	s_mov_b32 s20, -1
                                        ; implicit-def: $sgpr18
	s_branch .LBB15_2416
.LBB15_2412:
	s_mov_b32 s20, -1
                                        ; implicit-def: $sgpr18
.LBB15_2413:
	s_delay_alu instid0(SALU_CYCLE_1)
	s_and_not1_b32 vcc_lo, exec_lo, s20
	s_cbranch_vccnz .LBB15_2415
; %bb.2414:
	global_load_u8 v1, v[22:23], off
	s_and_not1_b32 s18, s18, exec_lo
	s_wait_loadcnt 0x0
	v_and_b32_e32 v1, 0x7f, v1
	s_delay_alu instid0(VALU_DEP_1) | instskip(SKIP_1) | instid1(SALU_CYCLE_1)
	v_cmp_ne_u16_e32 vcc_lo, 0, v1
	s_and_b32 s20, vcc_lo, exec_lo
	s_or_b32 s18, s18, s20
.LBB15_2415:
	s_mov_b32 s20, 0
.LBB15_2416:
	s_delay_alu instid0(SALU_CYCLE_1)
	s_and_not1_b32 vcc_lo, exec_lo, s20
	s_cbranch_vccnz .LBB15_2418
; %bb.2417:
	global_load_u8 v1, v[22:23], off
	s_and_not1_b32 s18, s18, exec_lo
	s_wait_loadcnt 0x0
	v_dual_lshlrev_b32 v3, 25, v1 :: v_dual_lshlrev_b32 v1, 8, v1
	s_delay_alu instid0(VALU_DEP_1) | instskip(NEXT) | instid1(VALU_DEP_2)
	v_cmp_gt_u32_e32 vcc_lo, 0x8000000, v3
	v_and_or_b32 v1, 0x7f00, v1, 0.5
	s_delay_alu instid0(VALU_DEP_1) | instskip(NEXT) | instid1(VALU_DEP_1)
	v_dual_lshrrev_b32 v5, 4, v3 :: v_dual_add_f32 v1, -0.5, v1
	v_or_b32_e32 v5, 0x70000000, v5
	s_delay_alu instid0(VALU_DEP_1) | instskip(NEXT) | instid1(VALU_DEP_1)
	v_mul_f32_e32 v5, 0x7800000, v5
	v_cndmask_b32_e32 v1, v5, v1, vcc_lo
	s_delay_alu instid0(VALU_DEP_1) | instskip(SKIP_1) | instid1(SALU_CYCLE_1)
	v_cmp_neq_f32_e32 vcc_lo, 0, v1
	s_and_b32 s20, vcc_lo, exec_lo
	s_or_b32 s18, s18, s20
.LBB15_2418:
	s_mov_b32 s20, -1
.LBB15_2419:
	s_and_not1_b32 vcc_lo, exec_lo, s21
	s_mov_b32 s21, 0
	s_cbranch_vccnz .LBB15_2428
; %bb.2420:
	s_cmp_gt_i32 s23, 14
	s_cbranch_scc0 .LBB15_2423
; %bb.2421:
	s_cmp_eq_u32 s23, 15
	s_cbranch_scc0 .LBB15_2424
; %bb.2422:
	global_load_u16 v1, v[22:23], off
	s_mov_b32 s0, 0
	s_mov_b32 s20, -1
	s_wait_loadcnt 0x0
	v_and_b32_e32 v1, 0x7fff, v1
	s_delay_alu instid0(VALU_DEP_1)
	v_cmp_ne_u16_e64 s18, 0, v1
	s_branch .LBB15_2426
.LBB15_2423:
	s_mov_b32 s21, -1
	s_branch .LBB15_2425
.LBB15_2424:
	s_mov_b32 s0, -1
.LBB15_2425:
                                        ; implicit-def: $sgpr18
.LBB15_2426:
	s_and_b32 vcc_lo, exec_lo, s21
	s_mov_b32 s21, 0
	s_cbranch_vccz .LBB15_2428
; %bb.2427:
	s_cmp_lg_u32 s23, 11
	s_mov_b32 s21, -1
	s_cselect_b32 s0, -1, 0
.LBB15_2428:
	s_delay_alu instid0(SALU_CYCLE_1)
	s_and_b32 vcc_lo, exec_lo, s0
	s_cbranch_vccnz .LBB15_2493
; %bb.2429:
	s_and_not1_b32 vcc_lo, exec_lo, s21
	s_cbranch_vccnz .LBB15_2431
.LBB15_2430:
	global_load_u8 v1, v[22:23], off
	s_and_not1_b32 s0, s18, exec_lo
	s_mov_b32 s20, -1
	s_wait_loadcnt 0x0
	v_cmp_ne_u16_e32 vcc_lo, 0, v1
	s_and_b32 s18, vcc_lo, exec_lo
	s_delay_alu instid0(SALU_CYCLE_1)
	s_or_b32 s18, s0, s18
.LBB15_2431:
	s_mov_b32 s0, 0
.LBB15_2432:
	s_delay_alu instid0(SALU_CYCLE_1)
	s_and_b32 vcc_lo, exec_lo, s0
	s_cbranch_vccz .LBB15_2481
; %bb.2433:
	s_cmp_lt_i32 s23, 5
	s_cbranch_scc1 .LBB15_2438
; %bb.2434:
	s_cmp_lt_i32 s23, 8
	s_cbranch_scc1 .LBB15_2439
	;; [unrolled: 3-line block ×3, first 2 shown]
; %bb.2436:
	s_cmp_gt_i32 s23, 9
	s_cbranch_scc0 .LBB15_2441
; %bb.2437:
	global_load_b128 v[24:27], v[22:23], off
	s_wait_loadcnt 0x0
	v_cmp_neq_f64_e32 vcc_lo, 0, v[24:25]
	v_cmp_neq_f64_e64 s0, 0, v[26:27]
	s_or_b32 s18, vcc_lo, s0
	s_mov_b32 s0, 0
	s_branch .LBB15_2442
.LBB15_2438:
	s_mov_b32 s0, -1
                                        ; implicit-def: $sgpr18
	s_branch .LBB15_2460
.LBB15_2439:
	s_mov_b32 s0, -1
                                        ; implicit-def: $sgpr18
	s_branch .LBB15_2448
.LBB15_2440:
	s_mov_b32 s0, -1
                                        ; implicit-def: $sgpr18
	s_branch .LBB15_2445
.LBB15_2441:
	s_mov_b32 s0, -1
                                        ; implicit-def: $sgpr18
.LBB15_2442:
	s_delay_alu instid0(SALU_CYCLE_1)
	s_and_not1_b32 vcc_lo, exec_lo, s0
	s_cbranch_vccnz .LBB15_2444
; %bb.2443:
	global_load_b64 v[24:25], v[22:23], off
	s_and_not1_b32 s0, s18, exec_lo
	s_wait_loadcnt 0x0
	v_bitop3_b32 v1, v24, 0x7fffffff, v25 bitop3:0xc8
	s_delay_alu instid0(VALU_DEP_1) | instskip(SKIP_1) | instid1(SALU_CYCLE_1)
	v_cmp_ne_u32_e32 vcc_lo, 0, v1
	s_and_b32 s18, vcc_lo, exec_lo
	s_or_b32 s18, s0, s18
.LBB15_2444:
	s_mov_b32 s0, 0
.LBB15_2445:
	s_delay_alu instid0(SALU_CYCLE_1)
	s_and_not1_b32 vcc_lo, exec_lo, s0
	s_cbranch_vccnz .LBB15_2447
; %bb.2446:
	global_load_b32 v1, v[22:23], off
	s_and_not1_b32 s0, s18, exec_lo
	s_wait_loadcnt 0x0
	v_and_b32_e32 v1, 0x7fff7fff, v1
	s_delay_alu instid0(VALU_DEP_1) | instskip(SKIP_1) | instid1(SALU_CYCLE_1)
	v_cmp_ne_u32_e32 vcc_lo, 0, v1
	s_and_b32 s18, vcc_lo, exec_lo
	s_or_b32 s18, s0, s18
.LBB15_2447:
	s_mov_b32 s0, 0
.LBB15_2448:
	s_delay_alu instid0(SALU_CYCLE_1)
	s_and_not1_b32 vcc_lo, exec_lo, s0
	s_cbranch_vccnz .LBB15_2459
; %bb.2449:
	s_cmp_lt_i32 s23, 6
	s_cbranch_scc1 .LBB15_2452
; %bb.2450:
	s_cmp_gt_i32 s23, 6
	s_cbranch_scc0 .LBB15_2453
; %bb.2451:
	global_load_b64 v[24:25], v[22:23], off
	s_mov_b32 s0, 0
	s_wait_loadcnt 0x0
	v_cmp_neq_f64_e64 s18, 0, v[24:25]
	s_branch .LBB15_2454
.LBB15_2452:
	s_mov_b32 s0, -1
                                        ; implicit-def: $sgpr18
	s_branch .LBB15_2457
.LBB15_2453:
	s_mov_b32 s0, -1
                                        ; implicit-def: $sgpr18
.LBB15_2454:
	s_delay_alu instid0(SALU_CYCLE_1)
	s_and_not1_b32 vcc_lo, exec_lo, s0
	s_cbranch_vccnz .LBB15_2456
; %bb.2455:
	global_load_b32 v1, v[22:23], off
	s_and_not1_b32 s0, s18, exec_lo
	s_wait_loadcnt 0x0
	v_cmp_neq_f32_e32 vcc_lo, 0, v1
	s_and_b32 s18, vcc_lo, exec_lo
	s_delay_alu instid0(SALU_CYCLE_1)
	s_or_b32 s18, s0, s18
.LBB15_2456:
	s_mov_b32 s0, 0
.LBB15_2457:
	s_delay_alu instid0(SALU_CYCLE_1)
	s_and_not1_b32 vcc_lo, exec_lo, s0
	s_cbranch_vccnz .LBB15_2459
; %bb.2458:
	global_load_u16 v1, v[22:23], off
	s_and_not1_b32 s0, s18, exec_lo
	s_wait_loadcnt 0x0
	v_and_b32_e32 v1, 0x7fff, v1
	s_delay_alu instid0(VALU_DEP_1) | instskip(SKIP_1) | instid1(SALU_CYCLE_1)
	v_cmp_ne_u16_e32 vcc_lo, 0, v1
	s_and_b32 s18, vcc_lo, exec_lo
	s_or_b32 s18, s0, s18
.LBB15_2459:
	s_mov_b32 s0, 0
.LBB15_2460:
	s_delay_alu instid0(SALU_CYCLE_1)
	s_and_not1_b32 vcc_lo, exec_lo, s0
	s_cbranch_vccnz .LBB15_2480
; %bb.2461:
	s_cmp_lt_i32 s23, 2
	s_cbranch_scc1 .LBB15_2465
; %bb.2462:
	s_cmp_lt_i32 s23, 3
	s_cbranch_scc1 .LBB15_2466
; %bb.2463:
	s_cmp_gt_i32 s23, 3
	s_cbranch_scc0 .LBB15_2467
; %bb.2464:
	global_load_b64 v[24:25], v[22:23], off
	s_mov_b32 s0, 0
	s_wait_loadcnt 0x0
	v_cmp_ne_u64_e64 s18, 0, v[24:25]
	s_branch .LBB15_2468
.LBB15_2465:
	s_mov_b32 s0, -1
                                        ; implicit-def: $sgpr18
	s_branch .LBB15_2474
.LBB15_2466:
	s_mov_b32 s0, -1
                                        ; implicit-def: $sgpr18
	s_branch .LBB15_2471
.LBB15_2467:
	s_mov_b32 s0, -1
                                        ; implicit-def: $sgpr18
.LBB15_2468:
	s_delay_alu instid0(SALU_CYCLE_1)
	s_and_not1_b32 vcc_lo, exec_lo, s0
	s_cbranch_vccnz .LBB15_2470
; %bb.2469:
	global_load_b32 v1, v[22:23], off
	s_and_not1_b32 s0, s18, exec_lo
	s_wait_loadcnt 0x0
	v_cmp_ne_u32_e32 vcc_lo, 0, v1
	s_and_b32 s18, vcc_lo, exec_lo
	s_delay_alu instid0(SALU_CYCLE_1)
	s_or_b32 s18, s0, s18
.LBB15_2470:
	s_mov_b32 s0, 0
.LBB15_2471:
	s_delay_alu instid0(SALU_CYCLE_1)
	s_and_not1_b32 vcc_lo, exec_lo, s0
	s_cbranch_vccnz .LBB15_2473
; %bb.2472:
	global_load_u16 v1, v[22:23], off
	s_and_not1_b32 s0, s18, exec_lo
	s_wait_loadcnt 0x0
	v_cmp_ne_u16_e32 vcc_lo, 0, v1
	s_and_b32 s18, vcc_lo, exec_lo
	s_delay_alu instid0(SALU_CYCLE_1)
	s_or_b32 s18, s0, s18
.LBB15_2473:
	s_mov_b32 s0, 0
.LBB15_2474:
	s_delay_alu instid0(SALU_CYCLE_1)
	s_and_not1_b32 vcc_lo, exec_lo, s0
	s_cbranch_vccnz .LBB15_2480
; %bb.2475:
	s_cmp_gt_i32 s23, 0
	s_mov_b32 s0, 0
	s_cbranch_scc0 .LBB15_2477
; %bb.2476:
	global_load_u8 v1, v[22:23], off
	s_wait_loadcnt 0x0
	v_cmp_ne_u16_e64 s18, 0, v1
	s_branch .LBB15_2478
.LBB15_2477:
	s_mov_b32 s0, -1
                                        ; implicit-def: $sgpr18
.LBB15_2478:
	s_delay_alu instid0(SALU_CYCLE_1)
	s_and_not1_b32 vcc_lo, exec_lo, s0
	s_cbranch_vccnz .LBB15_2480
; %bb.2479:
	global_load_u8 v1, v[22:23], off
	s_and_not1_b32 s0, s18, exec_lo
	s_wait_loadcnt 0x0
	v_cmp_ne_u16_e32 vcc_lo, 0, v1
	s_and_b32 s18, vcc_lo, exec_lo
	s_delay_alu instid0(SALU_CYCLE_1)
	s_or_b32 s18, s0, s18
.LBB15_2480:
	s_mov_b32 s20, -1
.LBB15_2481:
	s_delay_alu instid0(SALU_CYCLE_1)
	s_and_not1_b32 vcc_lo, exec_lo, s20
	s_cbranch_vccnz .LBB15_3712
; %bb.2482:
	v_mov_b32_e32 v21, 0
	s_and_b32 s24, 0xffff, s19
	s_delay_alu instid0(SALU_CYCLE_1) | instskip(NEXT) | instid1(VALU_DEP_1)
	s_cmp_lt_i32 s24, 11
	v_add_nc_u64_e32 v[20:21], s[10:11], v[20:21]
	s_cbranch_scc1 .LBB15_2489
; %bb.2483:
	s_cmp_gt_i32 s24, 25
	s_mov_b32 s21, 0
	s_cbranch_scc0 .LBB15_2490
; %bb.2484:
	s_cmp_gt_i32 s24, 28
	s_cbranch_scc0 .LBB15_2491
; %bb.2485:
	s_cmp_gt_i32 s24, 43
	;; [unrolled: 3-line block ×3, first 2 shown]
	s_cbranch_scc0 .LBB15_2494
; %bb.2487:
	s_cmp_eq_u32 s24, 46
	s_mov_b32 s25, 0
	s_cbranch_scc0 .LBB15_2495
; %bb.2488:
	global_load_b32 v1, v[20:21], off
	s_mov_b32 s0, 0
	s_mov_b32 s19, -1
	s_wait_loadcnt 0x0
	v_and_b32_e32 v1, 0x7fff7fff, v1
	s_delay_alu instid0(VALU_DEP_1)
	v_cmp_ne_u32_e64 s20, 0, v1
	s_branch .LBB15_2497
.LBB15_2489:
	s_mov_b32 s0, -1
	s_mov_b32 s19, 0
                                        ; implicit-def: $sgpr20
	s_branch .LBB15_2545
.LBB15_2490:
	s_mov_b32 s25, -1
	s_mov_b32 s19, 0
	s_mov_b32 s0, 0
                                        ; implicit-def: $sgpr20
	s_branch .LBB15_2518
.LBB15_2491:
	s_mov_b32 s25, -1
	s_mov_b32 s19, 0
	s_mov_b32 s0, 0
                                        ; implicit-def: $sgpr20
	s_branch .LBB15_2505
.LBB15_2492:
	s_mov_b32 s25, -1
	s_mov_b32 s19, 0
	s_mov_b32 s0, 0
                                        ; implicit-def: $sgpr20
	s_branch .LBB15_2500
.LBB15_2493:
	s_mov_b32 s20, 0
	s_or_b32 s1, s1, exec_lo
	s_trap 2
	s_cbranch_execz .LBB15_2430
	s_branch .LBB15_2431
.LBB15_2494:
	s_mov_b32 s25, -1
	s_mov_b32 s19, 0
	s_mov_b32 s0, 0
	s_branch .LBB15_2496
.LBB15_2495:
	s_mov_b32 s0, -1
	s_mov_b32 s19, 0
.LBB15_2496:
                                        ; implicit-def: $sgpr20
.LBB15_2497:
	s_and_b32 vcc_lo, exec_lo, s25
	s_cbranch_vccz .LBB15_2499
; %bb.2498:
	s_cmp_lg_u32 s24, 44
	s_mov_b32 s19, -1
	s_cselect_b32 s0, -1, 0
	s_or_b32 s20, s20, exec_lo
.LBB15_2499:
	s_mov_b32 s25, 0
.LBB15_2500:
	s_delay_alu instid0(SALU_CYCLE_1)
	s_and_b32 vcc_lo, exec_lo, s25
	s_cbranch_vccz .LBB15_2504
; %bb.2501:
	s_cmp_eq_u32 s24, 29
	s_cbranch_scc0 .LBB15_2503
; %bb.2502:
	global_load_b64 v[22:23], v[20:21], off
	s_mov_b32 s0, 0
	s_mov_b32 s19, -1
	s_mov_b32 s25, 0
	s_wait_loadcnt 0x0
	v_cmp_ne_u64_e64 s20, 0, v[22:23]
	s_branch .LBB15_2505
.LBB15_2503:
	s_mov_b32 s0, -1
                                        ; implicit-def: $sgpr20
.LBB15_2504:
	s_mov_b32 s25, 0
.LBB15_2505:
	s_delay_alu instid0(SALU_CYCLE_1)
	s_and_b32 vcc_lo, exec_lo, s25
	s_cbranch_vccz .LBB15_2517
; %bb.2506:
	s_cmp_lt_i32 s24, 27
	s_cbranch_scc1 .LBB15_2509
; %bb.2507:
	s_cmp_gt_i32 s24, 27
	s_cbranch_scc0 .LBB15_2510
; %bb.2508:
	global_load_b32 v1, v[20:21], off
	s_mov_b32 s19, 0
	s_wait_loadcnt 0x0
	v_cmp_ne_u32_e64 s20, 0, v1
	s_branch .LBB15_2511
.LBB15_2509:
	s_mov_b32 s19, -1
                                        ; implicit-def: $sgpr20
	s_branch .LBB15_2514
.LBB15_2510:
	s_mov_b32 s19, -1
                                        ; implicit-def: $sgpr20
.LBB15_2511:
	s_delay_alu instid0(SALU_CYCLE_1)
	s_and_not1_b32 vcc_lo, exec_lo, s19
	s_cbranch_vccnz .LBB15_2513
; %bb.2512:
	global_load_u16 v1, v[20:21], off
	s_and_not1_b32 s19, s20, exec_lo
	s_wait_loadcnt 0x0
	v_cmp_ne_u16_e32 vcc_lo, 0, v1
	s_and_b32 s20, vcc_lo, exec_lo
	s_delay_alu instid0(SALU_CYCLE_1)
	s_or_b32 s20, s19, s20
.LBB15_2513:
	s_mov_b32 s19, 0
.LBB15_2514:
	s_delay_alu instid0(SALU_CYCLE_1)
	s_and_not1_b32 vcc_lo, exec_lo, s19
	s_cbranch_vccnz .LBB15_2516
; %bb.2515:
	global_load_u8 v1, v[20:21], off
	s_and_not1_b32 s19, s20, exec_lo
	s_wait_loadcnt 0x0
	v_cmp_ne_u16_e32 vcc_lo, 0, v1
	s_and_b32 s20, vcc_lo, exec_lo
	s_delay_alu instid0(SALU_CYCLE_1)
	s_or_b32 s20, s19, s20
.LBB15_2516:
	s_mov_b32 s19, -1
.LBB15_2517:
	s_mov_b32 s25, 0
.LBB15_2518:
	s_delay_alu instid0(SALU_CYCLE_1)
	s_and_b32 vcc_lo, exec_lo, s25
	s_cbranch_vccz .LBB15_2541
; %bb.2519:
	s_cmp_gt_i32 s24, 22
	s_cbranch_scc0 .LBB15_2523
; %bb.2520:
	s_cmp_lt_i32 s24, 24
	s_cbranch_scc1 .LBB15_2524
; %bb.2521:
	s_cmp_gt_i32 s24, 24
	s_cbranch_scc0 .LBB15_2525
; %bb.2522:
	global_load_u8 v1, v[20:21], off
	s_mov_b32 s19, 0
	s_wait_loadcnt 0x0
	v_cmp_ne_u16_e64 s20, 0, v1
	s_branch .LBB15_2526
.LBB15_2523:
	s_mov_b32 s21, -1
                                        ; implicit-def: $sgpr20
	s_branch .LBB15_2532
.LBB15_2524:
	s_mov_b32 s19, -1
                                        ; implicit-def: $sgpr20
	s_branch .LBB15_2529
.LBB15_2525:
	s_mov_b32 s19, -1
                                        ; implicit-def: $sgpr20
.LBB15_2526:
	s_delay_alu instid0(SALU_CYCLE_1)
	s_and_not1_b32 vcc_lo, exec_lo, s19
	s_cbranch_vccnz .LBB15_2528
; %bb.2527:
	global_load_u8 v1, v[20:21], off
	s_and_not1_b32 s19, s20, exec_lo
	s_wait_loadcnt 0x0
	v_and_b32_e32 v1, 0x7f, v1
	s_delay_alu instid0(VALU_DEP_1) | instskip(SKIP_1) | instid1(SALU_CYCLE_1)
	v_cmp_ne_u16_e32 vcc_lo, 0, v1
	s_and_b32 s20, vcc_lo, exec_lo
	s_or_b32 s20, s19, s20
.LBB15_2528:
	s_mov_b32 s19, 0
.LBB15_2529:
	s_delay_alu instid0(SALU_CYCLE_1)
	s_and_not1_b32 vcc_lo, exec_lo, s19
	s_cbranch_vccnz .LBB15_2531
; %bb.2530:
	global_load_u8 v1, v[20:21], off
	s_and_not1_b32 s19, s20, exec_lo
	s_wait_loadcnt 0x0
	v_dual_lshlrev_b32 v3, 25, v1 :: v_dual_lshlrev_b32 v1, 8, v1
	s_delay_alu instid0(VALU_DEP_1) | instskip(NEXT) | instid1(VALU_DEP_2)
	v_cmp_gt_u32_e32 vcc_lo, 0x8000000, v3
	v_and_or_b32 v1, 0x7f00, v1, 0.5
	s_delay_alu instid0(VALU_DEP_1) | instskip(NEXT) | instid1(VALU_DEP_1)
	v_dual_lshrrev_b32 v5, 4, v3 :: v_dual_add_f32 v1, -0.5, v1
	v_or_b32_e32 v5, 0x70000000, v5
	s_delay_alu instid0(VALU_DEP_1) | instskip(NEXT) | instid1(VALU_DEP_1)
	v_mul_f32_e32 v5, 0x7800000, v5
	v_cndmask_b32_e32 v1, v5, v1, vcc_lo
	s_delay_alu instid0(VALU_DEP_1) | instskip(SKIP_1) | instid1(SALU_CYCLE_1)
	v_cmp_neq_f32_e32 vcc_lo, 0, v1
	s_and_b32 s20, vcc_lo, exec_lo
	s_or_b32 s20, s19, s20
.LBB15_2531:
	s_mov_b32 s19, -1
.LBB15_2532:
	s_and_not1_b32 vcc_lo, exec_lo, s21
	s_mov_b32 s21, 0
	s_cbranch_vccnz .LBB15_2541
; %bb.2533:
	s_cmp_gt_i32 s24, 14
	s_cbranch_scc0 .LBB15_2536
; %bb.2534:
	s_cmp_eq_u32 s24, 15
	s_cbranch_scc0 .LBB15_2537
; %bb.2535:
	global_load_u16 v1, v[20:21], off
	s_mov_b32 s0, 0
	s_mov_b32 s19, -1
	s_wait_loadcnt 0x0
	v_and_b32_e32 v1, 0x7fff, v1
	s_delay_alu instid0(VALU_DEP_1)
	v_cmp_ne_u16_e64 s20, 0, v1
	s_branch .LBB15_2539
.LBB15_2536:
	s_mov_b32 s21, -1
	s_branch .LBB15_2538
.LBB15_2537:
	s_mov_b32 s0, -1
.LBB15_2538:
                                        ; implicit-def: $sgpr20
.LBB15_2539:
	s_and_b32 vcc_lo, exec_lo, s21
	s_mov_b32 s21, 0
	s_cbranch_vccz .LBB15_2541
; %bb.2540:
	s_cmp_lg_u32 s24, 11
	s_mov_b32 s21, -1
	s_cselect_b32 s0, -1, 0
.LBB15_2541:
	s_delay_alu instid0(SALU_CYCLE_1)
	s_and_b32 vcc_lo, exec_lo, s0
	s_cbranch_vccnz .LBB15_2606
; %bb.2542:
	s_and_not1_b32 vcc_lo, exec_lo, s21
	s_cbranch_vccnz .LBB15_2544
.LBB15_2543:
	global_load_u8 v1, v[20:21], off
	s_and_not1_b32 s0, s20, exec_lo
	s_mov_b32 s19, -1
	s_wait_loadcnt 0x0
	v_cmp_ne_u16_e32 vcc_lo, 0, v1
	s_and_b32 s20, vcc_lo, exec_lo
	s_delay_alu instid0(SALU_CYCLE_1)
	s_or_b32 s20, s0, s20
.LBB15_2544:
	s_mov_b32 s0, 0
.LBB15_2545:
	s_delay_alu instid0(SALU_CYCLE_1)
	s_and_b32 vcc_lo, exec_lo, s0
	s_cbranch_vccz .LBB15_2594
; %bb.2546:
	s_cmp_lt_i32 s24, 5
	s_cbranch_scc1 .LBB15_2551
; %bb.2547:
	s_cmp_lt_i32 s24, 8
	s_cbranch_scc1 .LBB15_2552
	;; [unrolled: 3-line block ×3, first 2 shown]
; %bb.2549:
	s_cmp_gt_i32 s24, 9
	s_cbranch_scc0 .LBB15_2554
; %bb.2550:
	global_load_b128 v[22:25], v[20:21], off
	s_wait_loadcnt 0x0
	v_cmp_neq_f64_e32 vcc_lo, 0, v[22:23]
	v_cmp_neq_f64_e64 s0, 0, v[24:25]
	s_or_b32 s20, vcc_lo, s0
	s_mov_b32 s0, 0
	s_branch .LBB15_2555
.LBB15_2551:
	s_mov_b32 s0, -1
                                        ; implicit-def: $sgpr20
	s_branch .LBB15_2573
.LBB15_2552:
	s_mov_b32 s0, -1
                                        ; implicit-def: $sgpr20
	s_branch .LBB15_2561
.LBB15_2553:
	s_mov_b32 s0, -1
                                        ; implicit-def: $sgpr20
	s_branch .LBB15_2558
.LBB15_2554:
	s_mov_b32 s0, -1
                                        ; implicit-def: $sgpr20
.LBB15_2555:
	s_delay_alu instid0(SALU_CYCLE_1)
	s_and_not1_b32 vcc_lo, exec_lo, s0
	s_cbranch_vccnz .LBB15_2557
; %bb.2556:
	global_load_b64 v[22:23], v[20:21], off
	s_and_not1_b32 s0, s20, exec_lo
	s_wait_loadcnt 0x0
	v_bitop3_b32 v1, v22, 0x7fffffff, v23 bitop3:0xc8
	s_delay_alu instid0(VALU_DEP_1) | instskip(SKIP_1) | instid1(SALU_CYCLE_1)
	v_cmp_ne_u32_e32 vcc_lo, 0, v1
	s_and_b32 s19, vcc_lo, exec_lo
	s_or_b32 s20, s0, s19
.LBB15_2557:
	s_mov_b32 s0, 0
.LBB15_2558:
	s_delay_alu instid0(SALU_CYCLE_1)
	s_and_not1_b32 vcc_lo, exec_lo, s0
	s_cbranch_vccnz .LBB15_2560
; %bb.2559:
	global_load_b32 v1, v[20:21], off
	s_and_not1_b32 s0, s20, exec_lo
	s_wait_loadcnt 0x0
	v_and_b32_e32 v1, 0x7fff7fff, v1
	s_delay_alu instid0(VALU_DEP_1) | instskip(SKIP_1) | instid1(SALU_CYCLE_1)
	v_cmp_ne_u32_e32 vcc_lo, 0, v1
	s_and_b32 s19, vcc_lo, exec_lo
	s_or_b32 s20, s0, s19
.LBB15_2560:
	s_mov_b32 s0, 0
.LBB15_2561:
	s_delay_alu instid0(SALU_CYCLE_1)
	s_and_not1_b32 vcc_lo, exec_lo, s0
	s_cbranch_vccnz .LBB15_2572
; %bb.2562:
	s_cmp_lt_i32 s24, 6
	s_cbranch_scc1 .LBB15_2565
; %bb.2563:
	s_cmp_gt_i32 s24, 6
	s_cbranch_scc0 .LBB15_2566
; %bb.2564:
	global_load_b64 v[22:23], v[20:21], off
	s_mov_b32 s0, 0
	s_wait_loadcnt 0x0
	v_cmp_neq_f64_e64 s20, 0, v[22:23]
	s_branch .LBB15_2567
.LBB15_2565:
	s_mov_b32 s0, -1
                                        ; implicit-def: $sgpr20
	s_branch .LBB15_2570
.LBB15_2566:
	s_mov_b32 s0, -1
                                        ; implicit-def: $sgpr20
.LBB15_2567:
	s_delay_alu instid0(SALU_CYCLE_1)
	s_and_not1_b32 vcc_lo, exec_lo, s0
	s_cbranch_vccnz .LBB15_2569
; %bb.2568:
	global_load_b32 v1, v[20:21], off
	s_and_not1_b32 s0, s20, exec_lo
	s_wait_loadcnt 0x0
	v_cmp_neq_f32_e32 vcc_lo, 0, v1
	s_and_b32 s19, vcc_lo, exec_lo
	s_delay_alu instid0(SALU_CYCLE_1)
	s_or_b32 s20, s0, s19
.LBB15_2569:
	s_mov_b32 s0, 0
.LBB15_2570:
	s_delay_alu instid0(SALU_CYCLE_1)
	s_and_not1_b32 vcc_lo, exec_lo, s0
	s_cbranch_vccnz .LBB15_2572
; %bb.2571:
	global_load_u16 v1, v[20:21], off
	s_and_not1_b32 s0, s20, exec_lo
	s_wait_loadcnt 0x0
	v_and_b32_e32 v1, 0x7fff, v1
	s_delay_alu instid0(VALU_DEP_1) | instskip(SKIP_1) | instid1(SALU_CYCLE_1)
	v_cmp_ne_u16_e32 vcc_lo, 0, v1
	s_and_b32 s19, vcc_lo, exec_lo
	s_or_b32 s20, s0, s19
.LBB15_2572:
	s_mov_b32 s0, 0
.LBB15_2573:
	s_delay_alu instid0(SALU_CYCLE_1)
	s_and_not1_b32 vcc_lo, exec_lo, s0
	s_cbranch_vccnz .LBB15_2593
; %bb.2574:
	s_cmp_lt_i32 s24, 2
	s_cbranch_scc1 .LBB15_2578
; %bb.2575:
	s_cmp_lt_i32 s24, 3
	s_cbranch_scc1 .LBB15_2579
; %bb.2576:
	s_cmp_gt_i32 s24, 3
	s_cbranch_scc0 .LBB15_2580
; %bb.2577:
	global_load_b64 v[22:23], v[20:21], off
	s_mov_b32 s0, 0
	s_wait_loadcnt 0x0
	v_cmp_ne_u64_e64 s20, 0, v[22:23]
	s_branch .LBB15_2581
.LBB15_2578:
	s_mov_b32 s0, -1
                                        ; implicit-def: $sgpr20
	s_branch .LBB15_2587
.LBB15_2579:
	s_mov_b32 s0, -1
                                        ; implicit-def: $sgpr20
	s_branch .LBB15_2584
.LBB15_2580:
	s_mov_b32 s0, -1
                                        ; implicit-def: $sgpr20
.LBB15_2581:
	s_delay_alu instid0(SALU_CYCLE_1)
	s_and_not1_b32 vcc_lo, exec_lo, s0
	s_cbranch_vccnz .LBB15_2583
; %bb.2582:
	global_load_b32 v1, v[20:21], off
	s_and_not1_b32 s0, s20, exec_lo
	s_wait_loadcnt 0x0
	v_cmp_ne_u32_e32 vcc_lo, 0, v1
	s_and_b32 s19, vcc_lo, exec_lo
	s_delay_alu instid0(SALU_CYCLE_1)
	s_or_b32 s20, s0, s19
.LBB15_2583:
	s_mov_b32 s0, 0
.LBB15_2584:
	s_delay_alu instid0(SALU_CYCLE_1)
	s_and_not1_b32 vcc_lo, exec_lo, s0
	s_cbranch_vccnz .LBB15_2586
; %bb.2585:
	global_load_u16 v1, v[20:21], off
	s_and_not1_b32 s0, s20, exec_lo
	s_wait_loadcnt 0x0
	v_cmp_ne_u16_e32 vcc_lo, 0, v1
	s_and_b32 s19, vcc_lo, exec_lo
	s_delay_alu instid0(SALU_CYCLE_1)
	s_or_b32 s20, s0, s19
.LBB15_2586:
	s_mov_b32 s0, 0
.LBB15_2587:
	s_delay_alu instid0(SALU_CYCLE_1)
	s_and_not1_b32 vcc_lo, exec_lo, s0
	s_cbranch_vccnz .LBB15_2593
; %bb.2588:
	s_cmp_gt_i32 s24, 0
	s_mov_b32 s0, 0
	s_cbranch_scc0 .LBB15_2590
; %bb.2589:
	global_load_u8 v1, v[20:21], off
	s_wait_loadcnt 0x0
	v_cmp_ne_u16_e64 s20, 0, v1
	s_branch .LBB15_2591
.LBB15_2590:
	s_mov_b32 s0, -1
                                        ; implicit-def: $sgpr20
.LBB15_2591:
	s_delay_alu instid0(SALU_CYCLE_1)
	s_and_not1_b32 vcc_lo, exec_lo, s0
	s_cbranch_vccnz .LBB15_2593
; %bb.2592:
	global_load_u8 v1, v[20:21], off
	s_and_not1_b32 s0, s20, exec_lo
	s_wait_loadcnt 0x0
	v_cmp_ne_u16_e32 vcc_lo, 0, v1
	s_and_b32 s19, vcc_lo, exec_lo
	s_delay_alu instid0(SALU_CYCLE_1)
	s_or_b32 s20, s0, s19
.LBB15_2593:
	s_mov_b32 s19, -1
.LBB15_2594:
	s_delay_alu instid0(SALU_CYCLE_1)
	s_and_not1_b32 vcc_lo, exec_lo, s19
	s_cbranch_vccnz .LBB15_3712
; %bb.2595:
	v_mov_b32_e32 v19, 0
	s_cmp_lt_i32 s22, 11
	s_delay_alu instid0(VALU_DEP_1)
	v_add_nc_u64_e32 v[18:19], s[6:7], v[18:19]
	s_cbranch_scc1 .LBB15_2602
; %bb.2596:
	s_cmp_gt_i32 s22, 25
	s_mov_b32 s25, 0
	s_cbranch_scc0 .LBB15_2603
; %bb.2597:
	s_cmp_gt_i32 s22, 28
	s_cbranch_scc0 .LBB15_2604
; %bb.2598:
	s_cmp_gt_i32 s22, 43
	;; [unrolled: 3-line block ×3, first 2 shown]
	s_cbranch_scc0 .LBB15_2607
; %bb.2600:
	s_cmp_eq_u32 s22, 46
	s_mov_b32 s26, 0
	s_cbranch_scc0 .LBB15_2612
; %bb.2601:
	global_load_b32 v1, v[18:19], off
	s_mov_b32 s0, 0
	s_mov_b32 s21, -1
	s_wait_loadcnt 0x0
	v_and_b32_e32 v1, 0x7fff7fff, v1
	s_delay_alu instid0(VALU_DEP_1)
	v_cmp_ne_u32_e64 s19, 0, v1
	s_branch .LBB15_2614
.LBB15_2602:
	s_mov_b32 s0, -1
	s_mov_b32 s21, 0
                                        ; implicit-def: $sgpr19
	s_branch .LBB15_2662
.LBB15_2603:
	s_mov_b32 s26, -1
	s_mov_b32 s21, 0
	s_mov_b32 s0, 0
                                        ; implicit-def: $sgpr19
	s_branch .LBB15_2635
.LBB15_2604:
	s_mov_b32 s26, -1
	s_mov_b32 s21, 0
	s_mov_b32 s0, 0
                                        ; implicit-def: $sgpr19
	s_branch .LBB15_2622
.LBB15_2605:
	s_mov_b32 s26, -1
	s_mov_b32 s21, 0
	s_mov_b32 s0, 0
                                        ; implicit-def: $sgpr19
	s_branch .LBB15_2617
.LBB15_2606:
	s_mov_b32 s19, 0
	s_or_b32 s1, s1, exec_lo
	s_trap 2
	s_cbranch_execz .LBB15_2543
	s_branch .LBB15_2544
.LBB15_2607:
	s_mov_b32 s26, -1
	s_mov_b32 s21, 0
	s_mov_b32 s0, 0
	s_branch .LBB15_2613
.LBB15_2608:
	v_bfe_u32 v1, v4, 21, 1
	s_mov_b32 s54, exec_lo
	s_delay_alu instid0(VALU_DEP_1) | instskip(NEXT) | instid1(VALU_DEP_1)
	v_add3_u32 v1, v4, v1, 0x88fffff
                                        ; implicit-def: $vgpr4
	v_lshrrev_b32_e32 v1, 21, v1
	s_and_not1_saveexec_b32 s55, s55
	s_cbranch_execz .LBB15_863
.LBB15_2609:
	v_add_f32_e32 v1, 0x42800000, v4
	s_and_not1_b32 s54, s54, exec_lo
	s_delay_alu instid0(VALU_DEP_1) | instskip(NEXT) | instid1(VALU_DEP_1)
	v_and_b32_e32 v1, 0xff, v1
	v_cmp_ne_u32_e32 vcc_lo, 0, v1
	s_and_b32 s57, vcc_lo, exec_lo
	s_delay_alu instid0(SALU_CYCLE_1)
	s_or_b32 s54, s54, s57
	s_or_b32 exec_lo, exec_lo, s55
	v_mov_b32_e32 v5, 0
	s_and_saveexec_b32 s55, s54
	s_cbranch_execnz .LBB15_864
	s_branch .LBB15_865
.LBB15_2610:
	v_bfe_u32 v1, v4, 20, 1
	s_mov_b32 s60, exec_lo
	s_delay_alu instid0(VALU_DEP_1) | instskip(NEXT) | instid1(VALU_DEP_1)
	v_add3_u32 v1, v4, v1, 0x487ffff
                                        ; implicit-def: $vgpr4
	v_lshrrev_b32_e32 v1, 20, v1
	s_and_not1_saveexec_b32 s61, s61
	s_cbranch_execz .LBB15_1325
.LBB15_2611:
	v_add_f32_e32 v1, 0x46000000, v4
	s_and_not1_b32 s60, s60, exec_lo
	s_delay_alu instid0(VALU_DEP_1) | instskip(NEXT) | instid1(VALU_DEP_1)
	v_and_b32_e32 v1, 0xff, v1
	v_cmp_ne_u32_e32 vcc_lo, 0, v1
	s_and_b32 s62, vcc_lo, exec_lo
	s_delay_alu instid0(SALU_CYCLE_1)
	s_or_b32 s60, s60, s62
	s_or_b32 exec_lo, exec_lo, s61
	v_mov_b32_e32 v5, 0
	s_and_saveexec_b32 s61, s60
	s_cbranch_execnz .LBB15_1326
	s_branch .LBB15_1327
.LBB15_2612:
	s_mov_b32 s0, -1
	s_mov_b32 s21, 0
.LBB15_2613:
                                        ; implicit-def: $sgpr19
.LBB15_2614:
	s_and_b32 vcc_lo, exec_lo, s26
	s_cbranch_vccz .LBB15_2616
; %bb.2615:
	s_cmp_lg_u32 s22, 44
	s_mov_b32 s21, -1
	s_cselect_b32 s0, -1, 0
	s_or_b32 s19, s19, exec_lo
.LBB15_2616:
	s_mov_b32 s26, 0
.LBB15_2617:
	s_delay_alu instid0(SALU_CYCLE_1)
	s_and_b32 vcc_lo, exec_lo, s26
	s_cbranch_vccz .LBB15_2621
; %bb.2618:
	s_cmp_eq_u32 s22, 29
	s_cbranch_scc0 .LBB15_2620
; %bb.2619:
	global_load_b64 v[20:21], v[18:19], off
	s_mov_b32 s0, 0
	s_mov_b32 s21, -1
	s_mov_b32 s26, 0
	s_wait_loadcnt 0x0
	v_cmp_ne_u64_e64 s19, 0, v[20:21]
	s_branch .LBB15_2622
.LBB15_2620:
	s_mov_b32 s0, -1
                                        ; implicit-def: $sgpr19
.LBB15_2621:
	s_mov_b32 s26, 0
.LBB15_2622:
	s_delay_alu instid0(SALU_CYCLE_1)
	s_and_b32 vcc_lo, exec_lo, s26
	s_cbranch_vccz .LBB15_2634
; %bb.2623:
	s_cmp_lt_i32 s22, 27
	s_cbranch_scc1 .LBB15_2626
; %bb.2624:
	s_cmp_gt_i32 s22, 27
	s_cbranch_scc0 .LBB15_2627
; %bb.2625:
	global_load_b32 v1, v[18:19], off
	s_mov_b32 s21, 0
	s_wait_loadcnt 0x0
	v_cmp_ne_u32_e64 s19, 0, v1
	s_branch .LBB15_2628
.LBB15_2626:
	s_mov_b32 s21, -1
                                        ; implicit-def: $sgpr19
	s_branch .LBB15_2631
.LBB15_2627:
	s_mov_b32 s21, -1
                                        ; implicit-def: $sgpr19
.LBB15_2628:
	s_delay_alu instid0(SALU_CYCLE_1)
	s_and_not1_b32 vcc_lo, exec_lo, s21
	s_cbranch_vccnz .LBB15_2630
; %bb.2629:
	global_load_u16 v1, v[18:19], off
	s_and_not1_b32 s19, s19, exec_lo
	s_wait_loadcnt 0x0
	v_cmp_ne_u16_e32 vcc_lo, 0, v1
	s_and_b32 s21, vcc_lo, exec_lo
	s_delay_alu instid0(SALU_CYCLE_1)
	s_or_b32 s19, s19, s21
.LBB15_2630:
	s_mov_b32 s21, 0
.LBB15_2631:
	s_delay_alu instid0(SALU_CYCLE_1)
	s_and_not1_b32 vcc_lo, exec_lo, s21
	s_cbranch_vccnz .LBB15_2633
; %bb.2632:
	global_load_u8 v1, v[18:19], off
	s_and_not1_b32 s19, s19, exec_lo
	s_wait_loadcnt 0x0
	v_cmp_ne_u16_e32 vcc_lo, 0, v1
	s_and_b32 s21, vcc_lo, exec_lo
	s_delay_alu instid0(SALU_CYCLE_1)
	s_or_b32 s19, s19, s21
.LBB15_2633:
	s_mov_b32 s21, -1
.LBB15_2634:
	s_mov_b32 s26, 0
.LBB15_2635:
	s_delay_alu instid0(SALU_CYCLE_1)
	s_and_b32 vcc_lo, exec_lo, s26
	s_cbranch_vccz .LBB15_2658
; %bb.2636:
	s_cmp_gt_i32 s22, 22
	s_cbranch_scc0 .LBB15_2640
; %bb.2637:
	s_cmp_lt_i32 s22, 24
	s_cbranch_scc1 .LBB15_2641
; %bb.2638:
	s_cmp_gt_i32 s22, 24
	s_cbranch_scc0 .LBB15_2642
; %bb.2639:
	global_load_u8 v1, v[18:19], off
	s_mov_b32 s21, 0
	s_wait_loadcnt 0x0
	v_cmp_ne_u16_e64 s19, 0, v1
	s_branch .LBB15_2643
.LBB15_2640:
	s_mov_b32 s25, -1
                                        ; implicit-def: $sgpr19
	s_branch .LBB15_2649
.LBB15_2641:
	s_mov_b32 s21, -1
                                        ; implicit-def: $sgpr19
	s_branch .LBB15_2646
.LBB15_2642:
	s_mov_b32 s21, -1
                                        ; implicit-def: $sgpr19
.LBB15_2643:
	s_delay_alu instid0(SALU_CYCLE_1)
	s_and_not1_b32 vcc_lo, exec_lo, s21
	s_cbranch_vccnz .LBB15_2645
; %bb.2644:
	global_load_u8 v1, v[18:19], off
	s_and_not1_b32 s19, s19, exec_lo
	s_wait_loadcnt 0x0
	v_and_b32_e32 v1, 0x7f, v1
	s_delay_alu instid0(VALU_DEP_1) | instskip(SKIP_1) | instid1(SALU_CYCLE_1)
	v_cmp_ne_u16_e32 vcc_lo, 0, v1
	s_and_b32 s21, vcc_lo, exec_lo
	s_or_b32 s19, s19, s21
.LBB15_2645:
	s_mov_b32 s21, 0
.LBB15_2646:
	s_delay_alu instid0(SALU_CYCLE_1)
	s_and_not1_b32 vcc_lo, exec_lo, s21
	s_cbranch_vccnz .LBB15_2648
; %bb.2647:
	global_load_u8 v1, v[18:19], off
	s_and_not1_b32 s19, s19, exec_lo
	s_wait_loadcnt 0x0
	v_dual_lshlrev_b32 v3, 25, v1 :: v_dual_lshlrev_b32 v1, 8, v1
	s_delay_alu instid0(VALU_DEP_1) | instskip(NEXT) | instid1(VALU_DEP_2)
	v_cmp_gt_u32_e32 vcc_lo, 0x8000000, v3
	v_and_or_b32 v1, 0x7f00, v1, 0.5
	s_delay_alu instid0(VALU_DEP_1) | instskip(NEXT) | instid1(VALU_DEP_1)
	v_dual_lshrrev_b32 v5, 4, v3 :: v_dual_add_f32 v1, -0.5, v1
	v_or_b32_e32 v5, 0x70000000, v5
	s_delay_alu instid0(VALU_DEP_1) | instskip(NEXT) | instid1(VALU_DEP_1)
	v_mul_f32_e32 v5, 0x7800000, v5
	v_cndmask_b32_e32 v1, v5, v1, vcc_lo
	s_delay_alu instid0(VALU_DEP_1) | instskip(SKIP_1) | instid1(SALU_CYCLE_1)
	v_cmp_neq_f32_e32 vcc_lo, 0, v1
	s_and_b32 s21, vcc_lo, exec_lo
	s_or_b32 s19, s19, s21
.LBB15_2648:
	s_mov_b32 s21, -1
.LBB15_2649:
	s_and_not1_b32 vcc_lo, exec_lo, s25
	s_mov_b32 s25, 0
	s_cbranch_vccnz .LBB15_2658
; %bb.2650:
	s_cmp_gt_i32 s22, 14
	s_cbranch_scc0 .LBB15_2653
; %bb.2651:
	s_cmp_eq_u32 s22, 15
	s_cbranch_scc0 .LBB15_2654
; %bb.2652:
	global_load_u16 v1, v[18:19], off
	s_mov_b32 s0, 0
	s_mov_b32 s21, -1
	s_wait_loadcnt 0x0
	v_and_b32_e32 v1, 0x7fff, v1
	s_delay_alu instid0(VALU_DEP_1)
	v_cmp_ne_u16_e64 s19, 0, v1
	s_branch .LBB15_2656
.LBB15_2653:
	s_mov_b32 s25, -1
	s_branch .LBB15_2655
.LBB15_2654:
	s_mov_b32 s0, -1
.LBB15_2655:
                                        ; implicit-def: $sgpr19
.LBB15_2656:
	s_and_b32 vcc_lo, exec_lo, s25
	s_mov_b32 s25, 0
	s_cbranch_vccz .LBB15_2658
; %bb.2657:
	s_cmp_lg_u32 s22, 11
	s_mov_b32 s25, -1
	s_cselect_b32 s0, -1, 0
.LBB15_2658:
	s_delay_alu instid0(SALU_CYCLE_1)
	s_and_b32 vcc_lo, exec_lo, s0
	s_cbranch_vccnz .LBB15_2723
; %bb.2659:
	s_and_not1_b32 vcc_lo, exec_lo, s25
	s_cbranch_vccnz .LBB15_2661
.LBB15_2660:
	global_load_u8 v1, v[18:19], off
	s_and_not1_b32 s0, s19, exec_lo
	s_mov_b32 s21, -1
	s_wait_loadcnt 0x0
	v_cmp_ne_u16_e32 vcc_lo, 0, v1
	s_and_b32 s19, vcc_lo, exec_lo
	s_delay_alu instid0(SALU_CYCLE_1)
	s_or_b32 s19, s0, s19
.LBB15_2661:
	s_mov_b32 s0, 0
.LBB15_2662:
	s_delay_alu instid0(SALU_CYCLE_1)
	s_and_b32 vcc_lo, exec_lo, s0
	s_cbranch_vccz .LBB15_2711
; %bb.2663:
	s_cmp_lt_i32 s22, 5
	s_cbranch_scc1 .LBB15_2668
; %bb.2664:
	s_cmp_lt_i32 s22, 8
	s_cbranch_scc1 .LBB15_2669
	;; [unrolled: 3-line block ×3, first 2 shown]
; %bb.2666:
	s_cmp_gt_i32 s22, 9
	s_cbranch_scc0 .LBB15_2671
; %bb.2667:
	global_load_b128 v[20:23], v[18:19], off
	s_wait_loadcnt 0x0
	v_cmp_neq_f64_e32 vcc_lo, 0, v[20:21]
	v_cmp_neq_f64_e64 s0, 0, v[22:23]
	s_or_b32 s19, vcc_lo, s0
	s_mov_b32 s0, 0
	s_branch .LBB15_2672
.LBB15_2668:
	s_mov_b32 s0, -1
                                        ; implicit-def: $sgpr19
	s_branch .LBB15_2690
.LBB15_2669:
	s_mov_b32 s0, -1
                                        ; implicit-def: $sgpr19
	s_branch .LBB15_2678
.LBB15_2670:
	s_mov_b32 s0, -1
                                        ; implicit-def: $sgpr19
	s_branch .LBB15_2675
.LBB15_2671:
	s_mov_b32 s0, -1
                                        ; implicit-def: $sgpr19
.LBB15_2672:
	s_delay_alu instid0(SALU_CYCLE_1)
	s_and_not1_b32 vcc_lo, exec_lo, s0
	s_cbranch_vccnz .LBB15_2674
; %bb.2673:
	global_load_b64 v[20:21], v[18:19], off
	s_and_not1_b32 s0, s19, exec_lo
	s_wait_loadcnt 0x0
	v_bitop3_b32 v1, v20, 0x7fffffff, v21 bitop3:0xc8
	s_delay_alu instid0(VALU_DEP_1) | instskip(SKIP_1) | instid1(SALU_CYCLE_1)
	v_cmp_ne_u32_e32 vcc_lo, 0, v1
	s_and_b32 s19, vcc_lo, exec_lo
	s_or_b32 s19, s0, s19
.LBB15_2674:
	s_mov_b32 s0, 0
.LBB15_2675:
	s_delay_alu instid0(SALU_CYCLE_1)
	s_and_not1_b32 vcc_lo, exec_lo, s0
	s_cbranch_vccnz .LBB15_2677
; %bb.2676:
	global_load_b32 v1, v[18:19], off
	s_and_not1_b32 s0, s19, exec_lo
	s_wait_loadcnt 0x0
	v_and_b32_e32 v1, 0x7fff7fff, v1
	s_delay_alu instid0(VALU_DEP_1) | instskip(SKIP_1) | instid1(SALU_CYCLE_1)
	v_cmp_ne_u32_e32 vcc_lo, 0, v1
	s_and_b32 s19, vcc_lo, exec_lo
	s_or_b32 s19, s0, s19
.LBB15_2677:
	s_mov_b32 s0, 0
.LBB15_2678:
	s_delay_alu instid0(SALU_CYCLE_1)
	s_and_not1_b32 vcc_lo, exec_lo, s0
	s_cbranch_vccnz .LBB15_2689
; %bb.2679:
	s_cmp_lt_i32 s22, 6
	s_cbranch_scc1 .LBB15_2682
; %bb.2680:
	s_cmp_gt_i32 s22, 6
	s_cbranch_scc0 .LBB15_2683
; %bb.2681:
	global_load_b64 v[20:21], v[18:19], off
	s_mov_b32 s0, 0
	s_wait_loadcnt 0x0
	v_cmp_neq_f64_e64 s19, 0, v[20:21]
	s_branch .LBB15_2684
.LBB15_2682:
	s_mov_b32 s0, -1
                                        ; implicit-def: $sgpr19
	s_branch .LBB15_2687
.LBB15_2683:
	s_mov_b32 s0, -1
                                        ; implicit-def: $sgpr19
.LBB15_2684:
	s_delay_alu instid0(SALU_CYCLE_1)
	s_and_not1_b32 vcc_lo, exec_lo, s0
	s_cbranch_vccnz .LBB15_2686
; %bb.2685:
	global_load_b32 v1, v[18:19], off
	s_and_not1_b32 s0, s19, exec_lo
	s_wait_loadcnt 0x0
	v_cmp_neq_f32_e32 vcc_lo, 0, v1
	s_and_b32 s19, vcc_lo, exec_lo
	s_delay_alu instid0(SALU_CYCLE_1)
	s_or_b32 s19, s0, s19
.LBB15_2686:
	s_mov_b32 s0, 0
.LBB15_2687:
	s_delay_alu instid0(SALU_CYCLE_1)
	s_and_not1_b32 vcc_lo, exec_lo, s0
	s_cbranch_vccnz .LBB15_2689
; %bb.2688:
	global_load_u16 v1, v[18:19], off
	s_and_not1_b32 s0, s19, exec_lo
	s_wait_loadcnt 0x0
	v_and_b32_e32 v1, 0x7fff, v1
	s_delay_alu instid0(VALU_DEP_1) | instskip(SKIP_1) | instid1(SALU_CYCLE_1)
	v_cmp_ne_u16_e32 vcc_lo, 0, v1
	s_and_b32 s19, vcc_lo, exec_lo
	s_or_b32 s19, s0, s19
.LBB15_2689:
	s_mov_b32 s0, 0
.LBB15_2690:
	s_delay_alu instid0(SALU_CYCLE_1)
	s_and_not1_b32 vcc_lo, exec_lo, s0
	s_cbranch_vccnz .LBB15_2710
; %bb.2691:
	s_cmp_lt_i32 s22, 2
	s_cbranch_scc1 .LBB15_2695
; %bb.2692:
	s_cmp_lt_i32 s22, 3
	s_cbranch_scc1 .LBB15_2696
; %bb.2693:
	s_cmp_gt_i32 s22, 3
	s_cbranch_scc0 .LBB15_2697
; %bb.2694:
	global_load_b64 v[20:21], v[18:19], off
	s_mov_b32 s0, 0
	s_wait_loadcnt 0x0
	v_cmp_ne_u64_e64 s19, 0, v[20:21]
	s_branch .LBB15_2698
.LBB15_2695:
	s_mov_b32 s0, -1
                                        ; implicit-def: $sgpr19
	s_branch .LBB15_2704
.LBB15_2696:
	s_mov_b32 s0, -1
                                        ; implicit-def: $sgpr19
	s_branch .LBB15_2701
.LBB15_2697:
	s_mov_b32 s0, -1
                                        ; implicit-def: $sgpr19
.LBB15_2698:
	s_delay_alu instid0(SALU_CYCLE_1)
	s_and_not1_b32 vcc_lo, exec_lo, s0
	s_cbranch_vccnz .LBB15_2700
; %bb.2699:
	global_load_b32 v1, v[18:19], off
	s_and_not1_b32 s0, s19, exec_lo
	s_wait_loadcnt 0x0
	v_cmp_ne_u32_e32 vcc_lo, 0, v1
	s_and_b32 s19, vcc_lo, exec_lo
	s_delay_alu instid0(SALU_CYCLE_1)
	s_or_b32 s19, s0, s19
.LBB15_2700:
	s_mov_b32 s0, 0
.LBB15_2701:
	s_delay_alu instid0(SALU_CYCLE_1)
	s_and_not1_b32 vcc_lo, exec_lo, s0
	s_cbranch_vccnz .LBB15_2703
; %bb.2702:
	global_load_u16 v1, v[18:19], off
	s_and_not1_b32 s0, s19, exec_lo
	s_wait_loadcnt 0x0
	v_cmp_ne_u16_e32 vcc_lo, 0, v1
	s_and_b32 s19, vcc_lo, exec_lo
	s_delay_alu instid0(SALU_CYCLE_1)
	s_or_b32 s19, s0, s19
.LBB15_2703:
	s_mov_b32 s0, 0
.LBB15_2704:
	s_delay_alu instid0(SALU_CYCLE_1)
	s_and_not1_b32 vcc_lo, exec_lo, s0
	s_cbranch_vccnz .LBB15_2710
; %bb.2705:
	s_cmp_gt_i32 s22, 0
	s_mov_b32 s0, 0
	s_cbranch_scc0 .LBB15_2707
; %bb.2706:
	global_load_u8 v1, v[18:19], off
	s_wait_loadcnt 0x0
	v_cmp_ne_u16_e64 s19, 0, v1
	s_branch .LBB15_2708
.LBB15_2707:
	s_mov_b32 s0, -1
                                        ; implicit-def: $sgpr19
.LBB15_2708:
	s_delay_alu instid0(SALU_CYCLE_1)
	s_and_not1_b32 vcc_lo, exec_lo, s0
	s_cbranch_vccnz .LBB15_2710
; %bb.2709:
	global_load_u8 v1, v[18:19], off
	s_and_not1_b32 s0, s19, exec_lo
	s_wait_loadcnt 0x0
	v_cmp_ne_u16_e32 vcc_lo, 0, v1
	s_and_b32 s19, vcc_lo, exec_lo
	s_delay_alu instid0(SALU_CYCLE_1)
	s_or_b32 s19, s0, s19
.LBB15_2710:
	s_mov_b32 s21, -1
.LBB15_2711:
	s_delay_alu instid0(SALU_CYCLE_1)
	s_and_not1_b32 vcc_lo, exec_lo, s21
	s_cbranch_vccnz .LBB15_3712
; %bb.2712:
	v_mov_b32_e32 v17, 0
	s_cmp_lt_i32 s23, 11
	s_delay_alu instid0(VALU_DEP_1)
	v_add_nc_u64_e32 v[16:17], s[8:9], v[16:17]
	s_cbranch_scc1 .LBB15_2719
; %bb.2713:
	s_cmp_gt_i32 s23, 25
	s_mov_b32 s26, 0
	s_cbranch_scc0 .LBB15_2720
; %bb.2714:
	s_cmp_gt_i32 s23, 28
	s_cbranch_scc0 .LBB15_2721
; %bb.2715:
	s_cmp_gt_i32 s23, 43
	;; [unrolled: 3-line block ×3, first 2 shown]
	s_cbranch_scc0 .LBB15_2724
; %bb.2717:
	s_cmp_eq_u32 s23, 46
	s_mov_b32 s27, 0
	s_cbranch_scc0 .LBB15_2727
; %bb.2718:
	global_load_b32 v1, v[16:17], off
	s_mov_b32 s0, 0
	s_mov_b32 s25, -1
	s_wait_loadcnt 0x0
	v_and_b32_e32 v1, 0x7fff7fff, v1
	s_delay_alu instid0(VALU_DEP_1)
	v_cmp_ne_u32_e64 s21, 0, v1
	s_branch .LBB15_2729
.LBB15_2719:
	s_mov_b32 s0, -1
	s_mov_b32 s25, 0
                                        ; implicit-def: $sgpr21
	s_branch .LBB15_2777
.LBB15_2720:
	s_mov_b32 s27, -1
	s_mov_b32 s25, 0
	s_mov_b32 s0, 0
                                        ; implicit-def: $sgpr21
	s_branch .LBB15_2750
.LBB15_2721:
	s_mov_b32 s27, -1
	s_mov_b32 s25, 0
	s_mov_b32 s0, 0
                                        ; implicit-def: $sgpr21
	s_branch .LBB15_2737
.LBB15_2722:
	s_mov_b32 s27, -1
	s_mov_b32 s25, 0
	s_mov_b32 s0, 0
                                        ; implicit-def: $sgpr21
	s_branch .LBB15_2732
.LBB15_2723:
	s_mov_b32 s21, 0
	s_or_b32 s1, s1, exec_lo
	s_trap 2
	s_cbranch_execz .LBB15_2660
	s_branch .LBB15_2661
.LBB15_2724:
	s_mov_b32 s27, -1
	s_mov_b32 s25, 0
	s_mov_b32 s0, 0
	s_branch .LBB15_2728
.LBB15_2725:
	v_bfe_u32 v1, v4, 21, 1
	s_mov_b32 s60, exec_lo
	s_delay_alu instid0(VALU_DEP_1) | instskip(NEXT) | instid1(VALU_DEP_1)
	v_add3_u32 v1, v4, v1, 0x88fffff
                                        ; implicit-def: $vgpr4
	v_lshrrev_b32_e32 v1, 21, v1
	s_and_not1_saveexec_b32 s61, s61
	s_cbranch_execz .LBB15_1338
.LBB15_2726:
	v_add_f32_e32 v1, 0x42800000, v4
	s_and_not1_b32 s60, s60, exec_lo
	s_delay_alu instid0(VALU_DEP_1) | instskip(NEXT) | instid1(VALU_DEP_1)
	v_and_b32_e32 v1, 0xff, v1
	v_cmp_ne_u32_e32 vcc_lo, 0, v1
	s_and_b32 s62, vcc_lo, exec_lo
	s_delay_alu instid0(SALU_CYCLE_1)
	s_or_b32 s60, s60, s62
	s_or_b32 exec_lo, exec_lo, s61
	v_mov_b32_e32 v5, 0
	s_and_saveexec_b32 s61, s60
	s_cbranch_execnz .LBB15_1339
	s_branch .LBB15_1340
.LBB15_2727:
	s_mov_b32 s0, -1
	s_mov_b32 s25, 0
.LBB15_2728:
                                        ; implicit-def: $sgpr21
.LBB15_2729:
	s_and_b32 vcc_lo, exec_lo, s27
	s_cbranch_vccz .LBB15_2731
; %bb.2730:
	s_cmp_lg_u32 s23, 44
	s_mov_b32 s25, -1
	s_cselect_b32 s0, -1, 0
	s_or_b32 s21, s21, exec_lo
.LBB15_2731:
	s_mov_b32 s27, 0
.LBB15_2732:
	s_delay_alu instid0(SALU_CYCLE_1)
	s_and_b32 vcc_lo, exec_lo, s27
	s_cbranch_vccz .LBB15_2736
; %bb.2733:
	s_cmp_eq_u32 s23, 29
	s_cbranch_scc0 .LBB15_2735
; %bb.2734:
	global_load_b64 v[18:19], v[16:17], off
	s_mov_b32 s0, 0
	s_mov_b32 s25, -1
	s_mov_b32 s27, 0
	s_wait_loadcnt 0x0
	v_cmp_ne_u64_e64 s21, 0, v[18:19]
	s_branch .LBB15_2737
.LBB15_2735:
	s_mov_b32 s0, -1
                                        ; implicit-def: $sgpr21
.LBB15_2736:
	s_mov_b32 s27, 0
.LBB15_2737:
	s_delay_alu instid0(SALU_CYCLE_1)
	s_and_b32 vcc_lo, exec_lo, s27
	s_cbranch_vccz .LBB15_2749
; %bb.2738:
	s_cmp_lt_i32 s23, 27
	s_cbranch_scc1 .LBB15_2741
; %bb.2739:
	s_cmp_gt_i32 s23, 27
	s_cbranch_scc0 .LBB15_2742
; %bb.2740:
	global_load_b32 v1, v[16:17], off
	s_mov_b32 s25, 0
	s_wait_loadcnt 0x0
	v_cmp_ne_u32_e64 s21, 0, v1
	s_branch .LBB15_2743
.LBB15_2741:
	s_mov_b32 s25, -1
                                        ; implicit-def: $sgpr21
	s_branch .LBB15_2746
.LBB15_2742:
	s_mov_b32 s25, -1
                                        ; implicit-def: $sgpr21
.LBB15_2743:
	s_delay_alu instid0(SALU_CYCLE_1)
	s_and_not1_b32 vcc_lo, exec_lo, s25
	s_cbranch_vccnz .LBB15_2745
; %bb.2744:
	global_load_u16 v1, v[16:17], off
	s_and_not1_b32 s21, s21, exec_lo
	s_wait_loadcnt 0x0
	v_cmp_ne_u16_e32 vcc_lo, 0, v1
	s_and_b32 s25, vcc_lo, exec_lo
	s_delay_alu instid0(SALU_CYCLE_1)
	s_or_b32 s21, s21, s25
.LBB15_2745:
	s_mov_b32 s25, 0
.LBB15_2746:
	s_delay_alu instid0(SALU_CYCLE_1)
	s_and_not1_b32 vcc_lo, exec_lo, s25
	s_cbranch_vccnz .LBB15_2748
; %bb.2747:
	global_load_u8 v1, v[16:17], off
	s_and_not1_b32 s21, s21, exec_lo
	s_wait_loadcnt 0x0
	v_cmp_ne_u16_e32 vcc_lo, 0, v1
	s_and_b32 s25, vcc_lo, exec_lo
	s_delay_alu instid0(SALU_CYCLE_1)
	s_or_b32 s21, s21, s25
.LBB15_2748:
	s_mov_b32 s25, -1
.LBB15_2749:
	s_mov_b32 s27, 0
.LBB15_2750:
	s_delay_alu instid0(SALU_CYCLE_1)
	s_and_b32 vcc_lo, exec_lo, s27
	s_cbranch_vccz .LBB15_2773
; %bb.2751:
	s_cmp_gt_i32 s23, 22
	s_cbranch_scc0 .LBB15_2755
; %bb.2752:
	s_cmp_lt_i32 s23, 24
	s_cbranch_scc1 .LBB15_2756
; %bb.2753:
	s_cmp_gt_i32 s23, 24
	s_cbranch_scc0 .LBB15_2757
; %bb.2754:
	global_load_u8 v1, v[16:17], off
	s_mov_b32 s25, 0
	s_wait_loadcnt 0x0
	v_cmp_ne_u16_e64 s21, 0, v1
	s_branch .LBB15_2758
.LBB15_2755:
	s_mov_b32 s26, -1
                                        ; implicit-def: $sgpr21
	s_branch .LBB15_2764
.LBB15_2756:
	s_mov_b32 s25, -1
                                        ; implicit-def: $sgpr21
	s_branch .LBB15_2761
.LBB15_2757:
	s_mov_b32 s25, -1
                                        ; implicit-def: $sgpr21
.LBB15_2758:
	s_delay_alu instid0(SALU_CYCLE_1)
	s_and_not1_b32 vcc_lo, exec_lo, s25
	s_cbranch_vccnz .LBB15_2760
; %bb.2759:
	global_load_u8 v1, v[16:17], off
	s_and_not1_b32 s21, s21, exec_lo
	s_wait_loadcnt 0x0
	v_and_b32_e32 v1, 0x7f, v1
	s_delay_alu instid0(VALU_DEP_1) | instskip(SKIP_1) | instid1(SALU_CYCLE_1)
	v_cmp_ne_u16_e32 vcc_lo, 0, v1
	s_and_b32 s25, vcc_lo, exec_lo
	s_or_b32 s21, s21, s25
.LBB15_2760:
	s_mov_b32 s25, 0
.LBB15_2761:
	s_delay_alu instid0(SALU_CYCLE_1)
	s_and_not1_b32 vcc_lo, exec_lo, s25
	s_cbranch_vccnz .LBB15_2763
; %bb.2762:
	global_load_u8 v1, v[16:17], off
	s_and_not1_b32 s21, s21, exec_lo
	s_wait_loadcnt 0x0
	v_dual_lshlrev_b32 v3, 25, v1 :: v_dual_lshlrev_b32 v1, 8, v1
	s_delay_alu instid0(VALU_DEP_1) | instskip(NEXT) | instid1(VALU_DEP_2)
	v_cmp_gt_u32_e32 vcc_lo, 0x8000000, v3
	v_and_or_b32 v1, 0x7f00, v1, 0.5
	s_delay_alu instid0(VALU_DEP_1) | instskip(NEXT) | instid1(VALU_DEP_1)
	v_dual_lshrrev_b32 v5, 4, v3 :: v_dual_add_f32 v1, -0.5, v1
	v_or_b32_e32 v5, 0x70000000, v5
	s_delay_alu instid0(VALU_DEP_1) | instskip(NEXT) | instid1(VALU_DEP_1)
	v_mul_f32_e32 v5, 0x7800000, v5
	v_cndmask_b32_e32 v1, v5, v1, vcc_lo
	s_delay_alu instid0(VALU_DEP_1) | instskip(SKIP_1) | instid1(SALU_CYCLE_1)
	v_cmp_neq_f32_e32 vcc_lo, 0, v1
	s_and_b32 s25, vcc_lo, exec_lo
	s_or_b32 s21, s21, s25
.LBB15_2763:
	s_mov_b32 s25, -1
.LBB15_2764:
	s_and_not1_b32 vcc_lo, exec_lo, s26
	s_mov_b32 s26, 0
	s_cbranch_vccnz .LBB15_2773
; %bb.2765:
	s_cmp_gt_i32 s23, 14
	s_cbranch_scc0 .LBB15_2768
; %bb.2766:
	s_cmp_eq_u32 s23, 15
	s_cbranch_scc0 .LBB15_2769
; %bb.2767:
	global_load_u16 v1, v[16:17], off
	s_mov_b32 s0, 0
	s_mov_b32 s25, -1
	s_wait_loadcnt 0x0
	v_and_b32_e32 v1, 0x7fff, v1
	s_delay_alu instid0(VALU_DEP_1)
	v_cmp_ne_u16_e64 s21, 0, v1
	s_branch .LBB15_2771
.LBB15_2768:
	s_mov_b32 s26, -1
	s_branch .LBB15_2770
.LBB15_2769:
	s_mov_b32 s0, -1
.LBB15_2770:
                                        ; implicit-def: $sgpr21
.LBB15_2771:
	s_and_b32 vcc_lo, exec_lo, s26
	s_mov_b32 s26, 0
	s_cbranch_vccz .LBB15_2773
; %bb.2772:
	s_cmp_lg_u32 s23, 11
	s_mov_b32 s26, -1
	s_cselect_b32 s0, -1, 0
.LBB15_2773:
	s_delay_alu instid0(SALU_CYCLE_1)
	s_and_b32 vcc_lo, exec_lo, s0
	s_cbranch_vccnz .LBB15_2838
; %bb.2774:
	s_and_not1_b32 vcc_lo, exec_lo, s26
	s_cbranch_vccnz .LBB15_2776
.LBB15_2775:
	global_load_u8 v1, v[16:17], off
	s_and_not1_b32 s0, s21, exec_lo
	s_mov_b32 s25, -1
	s_wait_loadcnt 0x0
	v_cmp_ne_u16_e32 vcc_lo, 0, v1
	s_and_b32 s21, vcc_lo, exec_lo
	s_delay_alu instid0(SALU_CYCLE_1)
	s_or_b32 s21, s0, s21
.LBB15_2776:
	s_mov_b32 s0, 0
.LBB15_2777:
	s_delay_alu instid0(SALU_CYCLE_1)
	s_and_b32 vcc_lo, exec_lo, s0
	s_cbranch_vccz .LBB15_2826
; %bb.2778:
	s_cmp_lt_i32 s23, 5
	s_cbranch_scc1 .LBB15_2783
; %bb.2779:
	s_cmp_lt_i32 s23, 8
	s_cbranch_scc1 .LBB15_2784
	;; [unrolled: 3-line block ×3, first 2 shown]
; %bb.2781:
	s_cmp_gt_i32 s23, 9
	s_cbranch_scc0 .LBB15_2786
; %bb.2782:
	global_load_b128 v[18:21], v[16:17], off
	s_wait_loadcnt 0x0
	v_cmp_neq_f64_e32 vcc_lo, 0, v[18:19]
	v_cmp_neq_f64_e64 s0, 0, v[20:21]
	s_or_b32 s21, vcc_lo, s0
	s_mov_b32 s0, 0
	s_branch .LBB15_2787
.LBB15_2783:
	s_mov_b32 s0, -1
                                        ; implicit-def: $sgpr21
	s_branch .LBB15_2805
.LBB15_2784:
	s_mov_b32 s0, -1
                                        ; implicit-def: $sgpr21
	s_branch .LBB15_2793
.LBB15_2785:
	s_mov_b32 s0, -1
                                        ; implicit-def: $sgpr21
	s_branch .LBB15_2790
.LBB15_2786:
	s_mov_b32 s0, -1
                                        ; implicit-def: $sgpr21
.LBB15_2787:
	s_delay_alu instid0(SALU_CYCLE_1)
	s_and_not1_b32 vcc_lo, exec_lo, s0
	s_cbranch_vccnz .LBB15_2789
; %bb.2788:
	global_load_b64 v[18:19], v[16:17], off
	s_and_not1_b32 s0, s21, exec_lo
	s_wait_loadcnt 0x0
	v_bitop3_b32 v1, v18, 0x7fffffff, v19 bitop3:0xc8
	s_delay_alu instid0(VALU_DEP_1) | instskip(SKIP_1) | instid1(SALU_CYCLE_1)
	v_cmp_ne_u32_e32 vcc_lo, 0, v1
	s_and_b32 s21, vcc_lo, exec_lo
	s_or_b32 s21, s0, s21
.LBB15_2789:
	s_mov_b32 s0, 0
.LBB15_2790:
	s_delay_alu instid0(SALU_CYCLE_1)
	s_and_not1_b32 vcc_lo, exec_lo, s0
	s_cbranch_vccnz .LBB15_2792
; %bb.2791:
	global_load_b32 v1, v[16:17], off
	s_and_not1_b32 s0, s21, exec_lo
	s_wait_loadcnt 0x0
	v_and_b32_e32 v1, 0x7fff7fff, v1
	s_delay_alu instid0(VALU_DEP_1) | instskip(SKIP_1) | instid1(SALU_CYCLE_1)
	v_cmp_ne_u32_e32 vcc_lo, 0, v1
	s_and_b32 s21, vcc_lo, exec_lo
	s_or_b32 s21, s0, s21
.LBB15_2792:
	s_mov_b32 s0, 0
.LBB15_2793:
	s_delay_alu instid0(SALU_CYCLE_1)
	s_and_not1_b32 vcc_lo, exec_lo, s0
	s_cbranch_vccnz .LBB15_2804
; %bb.2794:
	s_cmp_lt_i32 s23, 6
	s_cbranch_scc1 .LBB15_2797
; %bb.2795:
	s_cmp_gt_i32 s23, 6
	s_cbranch_scc0 .LBB15_2798
; %bb.2796:
	global_load_b64 v[18:19], v[16:17], off
	s_mov_b32 s0, 0
	s_wait_loadcnt 0x0
	v_cmp_neq_f64_e64 s21, 0, v[18:19]
	s_branch .LBB15_2799
.LBB15_2797:
	s_mov_b32 s0, -1
                                        ; implicit-def: $sgpr21
	s_branch .LBB15_2802
.LBB15_2798:
	s_mov_b32 s0, -1
                                        ; implicit-def: $sgpr21
.LBB15_2799:
	s_delay_alu instid0(SALU_CYCLE_1)
	s_and_not1_b32 vcc_lo, exec_lo, s0
	s_cbranch_vccnz .LBB15_2801
; %bb.2800:
	global_load_b32 v1, v[16:17], off
	s_and_not1_b32 s0, s21, exec_lo
	s_wait_loadcnt 0x0
	v_cmp_neq_f32_e32 vcc_lo, 0, v1
	s_and_b32 s21, vcc_lo, exec_lo
	s_delay_alu instid0(SALU_CYCLE_1)
	s_or_b32 s21, s0, s21
.LBB15_2801:
	s_mov_b32 s0, 0
.LBB15_2802:
	s_delay_alu instid0(SALU_CYCLE_1)
	s_and_not1_b32 vcc_lo, exec_lo, s0
	s_cbranch_vccnz .LBB15_2804
; %bb.2803:
	global_load_u16 v1, v[16:17], off
	s_and_not1_b32 s0, s21, exec_lo
	s_wait_loadcnt 0x0
	v_and_b32_e32 v1, 0x7fff, v1
	s_delay_alu instid0(VALU_DEP_1) | instskip(SKIP_1) | instid1(SALU_CYCLE_1)
	v_cmp_ne_u16_e32 vcc_lo, 0, v1
	s_and_b32 s21, vcc_lo, exec_lo
	s_or_b32 s21, s0, s21
.LBB15_2804:
	s_mov_b32 s0, 0
.LBB15_2805:
	s_delay_alu instid0(SALU_CYCLE_1)
	s_and_not1_b32 vcc_lo, exec_lo, s0
	s_cbranch_vccnz .LBB15_2825
; %bb.2806:
	s_cmp_lt_i32 s23, 2
	s_cbranch_scc1 .LBB15_2810
; %bb.2807:
	s_cmp_lt_i32 s23, 3
	s_cbranch_scc1 .LBB15_2811
; %bb.2808:
	s_cmp_gt_i32 s23, 3
	s_cbranch_scc0 .LBB15_2812
; %bb.2809:
	global_load_b64 v[18:19], v[16:17], off
	s_mov_b32 s0, 0
	s_wait_loadcnt 0x0
	v_cmp_ne_u64_e64 s21, 0, v[18:19]
	s_branch .LBB15_2813
.LBB15_2810:
	s_mov_b32 s0, -1
                                        ; implicit-def: $sgpr21
	s_branch .LBB15_2819
.LBB15_2811:
	s_mov_b32 s0, -1
                                        ; implicit-def: $sgpr21
	s_branch .LBB15_2816
.LBB15_2812:
	s_mov_b32 s0, -1
                                        ; implicit-def: $sgpr21
.LBB15_2813:
	s_delay_alu instid0(SALU_CYCLE_1)
	s_and_not1_b32 vcc_lo, exec_lo, s0
	s_cbranch_vccnz .LBB15_2815
; %bb.2814:
	global_load_b32 v1, v[16:17], off
	s_and_not1_b32 s0, s21, exec_lo
	s_wait_loadcnt 0x0
	v_cmp_ne_u32_e32 vcc_lo, 0, v1
	s_and_b32 s21, vcc_lo, exec_lo
	s_delay_alu instid0(SALU_CYCLE_1)
	s_or_b32 s21, s0, s21
.LBB15_2815:
	s_mov_b32 s0, 0
.LBB15_2816:
	s_delay_alu instid0(SALU_CYCLE_1)
	s_and_not1_b32 vcc_lo, exec_lo, s0
	s_cbranch_vccnz .LBB15_2818
; %bb.2817:
	global_load_u16 v1, v[16:17], off
	s_and_not1_b32 s0, s21, exec_lo
	s_wait_loadcnt 0x0
	v_cmp_ne_u16_e32 vcc_lo, 0, v1
	s_and_b32 s21, vcc_lo, exec_lo
	s_delay_alu instid0(SALU_CYCLE_1)
	s_or_b32 s21, s0, s21
.LBB15_2818:
	s_mov_b32 s0, 0
.LBB15_2819:
	s_delay_alu instid0(SALU_CYCLE_1)
	s_and_not1_b32 vcc_lo, exec_lo, s0
	s_cbranch_vccnz .LBB15_2825
; %bb.2820:
	s_cmp_gt_i32 s23, 0
	s_mov_b32 s0, 0
	s_cbranch_scc0 .LBB15_2822
; %bb.2821:
	global_load_u8 v1, v[16:17], off
	s_wait_loadcnt 0x0
	v_cmp_ne_u16_e64 s21, 0, v1
	s_branch .LBB15_2823
.LBB15_2822:
	s_mov_b32 s0, -1
                                        ; implicit-def: $sgpr21
.LBB15_2823:
	s_delay_alu instid0(SALU_CYCLE_1)
	s_and_not1_b32 vcc_lo, exec_lo, s0
	s_cbranch_vccnz .LBB15_2825
; %bb.2824:
	global_load_u8 v1, v[16:17], off
	s_and_not1_b32 s0, s21, exec_lo
	s_wait_loadcnt 0x0
	v_cmp_ne_u16_e32 vcc_lo, 0, v1
	s_and_b32 s21, vcc_lo, exec_lo
	s_delay_alu instid0(SALU_CYCLE_1)
	s_or_b32 s21, s0, s21
.LBB15_2825:
	s_mov_b32 s25, -1
.LBB15_2826:
	s_delay_alu instid0(SALU_CYCLE_1)
	s_and_not1_b32 vcc_lo, exec_lo, s25
	s_cbranch_vccnz .LBB15_3712
; %bb.2827:
	v_mov_b32_e32 v15, 0
	s_cmp_lt_i32 s24, 11
	s_delay_alu instid0(VALU_DEP_1)
	v_add_nc_u64_e32 v[14:15], s[10:11], v[14:15]
	s_cbranch_scc1 .LBB15_2834
; %bb.2828:
	s_cmp_gt_i32 s24, 25
	s_mov_b32 s27, 0
	s_cbranch_scc0 .LBB15_2835
; %bb.2829:
	s_cmp_gt_i32 s24, 28
	s_cbranch_scc0 .LBB15_2836
; %bb.2830:
	s_cmp_gt_i32 s24, 43
	;; [unrolled: 3-line block ×3, first 2 shown]
	s_cbranch_scc0 .LBB15_2839
; %bb.2832:
	s_cmp_eq_u32 s24, 46
	s_mov_b32 s28, 0
	s_cbranch_scc0 .LBB15_2840
; %bb.2833:
	global_load_b32 v1, v[14:15], off
	s_mov_b32 s0, 0
	s_mov_b32 s26, -1
	s_wait_loadcnt 0x0
	v_and_b32_e32 v1, 0x7fff7fff, v1
	s_delay_alu instid0(VALU_DEP_1)
	v_cmp_ne_u32_e64 s25, 0, v1
	s_branch .LBB15_2842
.LBB15_2834:
	s_mov_b32 s0, -1
	s_mov_b32 s26, 0
                                        ; implicit-def: $sgpr25
	s_branch .LBB15_2890
.LBB15_2835:
	s_mov_b32 s28, -1
	s_mov_b32 s26, 0
	s_mov_b32 s0, 0
                                        ; implicit-def: $sgpr25
	s_branch .LBB15_2863
.LBB15_2836:
	s_mov_b32 s28, -1
	s_mov_b32 s26, 0
	s_mov_b32 s0, 0
                                        ; implicit-def: $sgpr25
	s_branch .LBB15_2850
.LBB15_2837:
	s_mov_b32 s28, -1
	s_mov_b32 s26, 0
	s_mov_b32 s0, 0
                                        ; implicit-def: $sgpr25
	s_branch .LBB15_2845
.LBB15_2838:
	s_mov_b32 s25, 0
	s_or_b32 s1, s1, exec_lo
	s_trap 2
	s_cbranch_execz .LBB15_2775
	s_branch .LBB15_2776
.LBB15_2839:
	s_mov_b32 s28, -1
	s_mov_b32 s26, 0
	s_mov_b32 s0, 0
	s_branch .LBB15_2841
.LBB15_2840:
	s_mov_b32 s0, -1
	s_mov_b32 s26, 0
.LBB15_2841:
                                        ; implicit-def: $sgpr25
.LBB15_2842:
	s_and_b32 vcc_lo, exec_lo, s28
	s_cbranch_vccz .LBB15_2844
; %bb.2843:
	s_cmp_lg_u32 s24, 44
	s_mov_b32 s26, -1
	s_cselect_b32 s0, -1, 0
	s_or_b32 s25, s25, exec_lo
.LBB15_2844:
	s_mov_b32 s28, 0
.LBB15_2845:
	s_delay_alu instid0(SALU_CYCLE_1)
	s_and_b32 vcc_lo, exec_lo, s28
	s_cbranch_vccz .LBB15_2849
; %bb.2846:
	s_cmp_eq_u32 s24, 29
	s_cbranch_scc0 .LBB15_2848
; %bb.2847:
	global_load_b64 v[16:17], v[14:15], off
	s_mov_b32 s0, 0
	s_mov_b32 s26, -1
	s_mov_b32 s28, 0
	s_wait_loadcnt 0x0
	v_cmp_ne_u64_e64 s25, 0, v[16:17]
	s_branch .LBB15_2850
.LBB15_2848:
	s_mov_b32 s0, -1
                                        ; implicit-def: $sgpr25
.LBB15_2849:
	s_mov_b32 s28, 0
.LBB15_2850:
	s_delay_alu instid0(SALU_CYCLE_1)
	s_and_b32 vcc_lo, exec_lo, s28
	s_cbranch_vccz .LBB15_2862
; %bb.2851:
	s_cmp_lt_i32 s24, 27
	s_cbranch_scc1 .LBB15_2854
; %bb.2852:
	s_cmp_gt_i32 s24, 27
	s_cbranch_scc0 .LBB15_2855
; %bb.2853:
	global_load_b32 v1, v[14:15], off
	s_mov_b32 s26, 0
	s_wait_loadcnt 0x0
	v_cmp_ne_u32_e64 s25, 0, v1
	s_branch .LBB15_2856
.LBB15_2854:
	s_mov_b32 s26, -1
                                        ; implicit-def: $sgpr25
	s_branch .LBB15_2859
.LBB15_2855:
	s_mov_b32 s26, -1
                                        ; implicit-def: $sgpr25
.LBB15_2856:
	s_delay_alu instid0(SALU_CYCLE_1)
	s_and_not1_b32 vcc_lo, exec_lo, s26
	s_cbranch_vccnz .LBB15_2858
; %bb.2857:
	global_load_u16 v1, v[14:15], off
	s_and_not1_b32 s25, s25, exec_lo
	s_wait_loadcnt 0x0
	v_cmp_ne_u16_e32 vcc_lo, 0, v1
	s_and_b32 s26, vcc_lo, exec_lo
	s_delay_alu instid0(SALU_CYCLE_1)
	s_or_b32 s25, s25, s26
.LBB15_2858:
	s_mov_b32 s26, 0
.LBB15_2859:
	s_delay_alu instid0(SALU_CYCLE_1)
	s_and_not1_b32 vcc_lo, exec_lo, s26
	s_cbranch_vccnz .LBB15_2861
; %bb.2860:
	global_load_u8 v1, v[14:15], off
	s_and_not1_b32 s25, s25, exec_lo
	s_wait_loadcnt 0x0
	v_cmp_ne_u16_e32 vcc_lo, 0, v1
	s_and_b32 s26, vcc_lo, exec_lo
	s_delay_alu instid0(SALU_CYCLE_1)
	s_or_b32 s25, s25, s26
.LBB15_2861:
	s_mov_b32 s26, -1
.LBB15_2862:
	s_mov_b32 s28, 0
.LBB15_2863:
	s_delay_alu instid0(SALU_CYCLE_1)
	s_and_b32 vcc_lo, exec_lo, s28
	s_cbranch_vccz .LBB15_2886
; %bb.2864:
	s_cmp_gt_i32 s24, 22
	s_cbranch_scc0 .LBB15_2868
; %bb.2865:
	s_cmp_lt_i32 s24, 24
	s_cbranch_scc1 .LBB15_2869
; %bb.2866:
	s_cmp_gt_i32 s24, 24
	s_cbranch_scc0 .LBB15_2870
; %bb.2867:
	global_load_u8 v1, v[14:15], off
	s_mov_b32 s26, 0
	s_wait_loadcnt 0x0
	v_cmp_ne_u16_e64 s25, 0, v1
	s_branch .LBB15_2871
.LBB15_2868:
	s_mov_b32 s27, -1
                                        ; implicit-def: $sgpr25
	s_branch .LBB15_2877
.LBB15_2869:
	s_mov_b32 s26, -1
                                        ; implicit-def: $sgpr25
	s_branch .LBB15_2874
.LBB15_2870:
	s_mov_b32 s26, -1
                                        ; implicit-def: $sgpr25
.LBB15_2871:
	s_delay_alu instid0(SALU_CYCLE_1)
	s_and_not1_b32 vcc_lo, exec_lo, s26
	s_cbranch_vccnz .LBB15_2873
; %bb.2872:
	global_load_u8 v1, v[14:15], off
	s_and_not1_b32 s25, s25, exec_lo
	s_wait_loadcnt 0x0
	v_and_b32_e32 v1, 0x7f, v1
	s_delay_alu instid0(VALU_DEP_1) | instskip(SKIP_1) | instid1(SALU_CYCLE_1)
	v_cmp_ne_u16_e32 vcc_lo, 0, v1
	s_and_b32 s26, vcc_lo, exec_lo
	s_or_b32 s25, s25, s26
.LBB15_2873:
	s_mov_b32 s26, 0
.LBB15_2874:
	s_delay_alu instid0(SALU_CYCLE_1)
	s_and_not1_b32 vcc_lo, exec_lo, s26
	s_cbranch_vccnz .LBB15_2876
; %bb.2875:
	global_load_u8 v1, v[14:15], off
	s_and_not1_b32 s25, s25, exec_lo
	s_wait_loadcnt 0x0
	v_dual_lshlrev_b32 v3, 25, v1 :: v_dual_lshlrev_b32 v1, 8, v1
	s_delay_alu instid0(VALU_DEP_1) | instskip(NEXT) | instid1(VALU_DEP_2)
	v_cmp_gt_u32_e32 vcc_lo, 0x8000000, v3
	v_and_or_b32 v1, 0x7f00, v1, 0.5
	s_delay_alu instid0(VALU_DEP_1) | instskip(NEXT) | instid1(VALU_DEP_1)
	v_dual_lshrrev_b32 v5, 4, v3 :: v_dual_add_f32 v1, -0.5, v1
	v_or_b32_e32 v5, 0x70000000, v5
	s_delay_alu instid0(VALU_DEP_1) | instskip(NEXT) | instid1(VALU_DEP_1)
	v_mul_f32_e32 v5, 0x7800000, v5
	v_cndmask_b32_e32 v1, v5, v1, vcc_lo
	s_delay_alu instid0(VALU_DEP_1) | instskip(SKIP_1) | instid1(SALU_CYCLE_1)
	v_cmp_neq_f32_e32 vcc_lo, 0, v1
	s_and_b32 s26, vcc_lo, exec_lo
	s_or_b32 s25, s25, s26
.LBB15_2876:
	s_mov_b32 s26, -1
.LBB15_2877:
	s_and_not1_b32 vcc_lo, exec_lo, s27
	s_mov_b32 s27, 0
	s_cbranch_vccnz .LBB15_2886
; %bb.2878:
	s_cmp_gt_i32 s24, 14
	s_cbranch_scc0 .LBB15_2881
; %bb.2879:
	s_cmp_eq_u32 s24, 15
	s_cbranch_scc0 .LBB15_2882
; %bb.2880:
	global_load_u16 v1, v[14:15], off
	s_mov_b32 s0, 0
	s_mov_b32 s26, -1
	s_wait_loadcnt 0x0
	v_and_b32_e32 v1, 0x7fff, v1
	s_delay_alu instid0(VALU_DEP_1)
	v_cmp_ne_u16_e64 s25, 0, v1
	s_branch .LBB15_2884
.LBB15_2881:
	s_mov_b32 s27, -1
	s_branch .LBB15_2883
.LBB15_2882:
	s_mov_b32 s0, -1
.LBB15_2883:
                                        ; implicit-def: $sgpr25
.LBB15_2884:
	s_and_b32 vcc_lo, exec_lo, s27
	s_mov_b32 s27, 0
	s_cbranch_vccz .LBB15_2886
; %bb.2885:
	s_cmp_lg_u32 s24, 11
	s_mov_b32 s27, -1
	s_cselect_b32 s0, -1, 0
.LBB15_2886:
	s_delay_alu instid0(SALU_CYCLE_1)
	s_and_b32 vcc_lo, exec_lo, s0
	s_cbranch_vccnz .LBB15_2951
; %bb.2887:
	s_and_not1_b32 vcc_lo, exec_lo, s27
	s_cbranch_vccnz .LBB15_2889
.LBB15_2888:
	global_load_u8 v1, v[14:15], off
	s_and_not1_b32 s0, s25, exec_lo
	s_mov_b32 s26, -1
	s_wait_loadcnt 0x0
	v_cmp_ne_u16_e32 vcc_lo, 0, v1
	s_and_b32 s25, vcc_lo, exec_lo
	s_delay_alu instid0(SALU_CYCLE_1)
	s_or_b32 s25, s0, s25
.LBB15_2889:
	s_mov_b32 s0, 0
.LBB15_2890:
	s_delay_alu instid0(SALU_CYCLE_1)
	s_and_b32 vcc_lo, exec_lo, s0
	s_cbranch_vccz .LBB15_2939
; %bb.2891:
	s_cmp_lt_i32 s24, 5
	s_cbranch_scc1 .LBB15_2896
; %bb.2892:
	s_cmp_lt_i32 s24, 8
	s_cbranch_scc1 .LBB15_2897
	;; [unrolled: 3-line block ×3, first 2 shown]
; %bb.2894:
	s_cmp_gt_i32 s24, 9
	s_cbranch_scc0 .LBB15_2899
; %bb.2895:
	global_load_b128 v[16:19], v[14:15], off
	s_wait_loadcnt 0x0
	v_cmp_neq_f64_e32 vcc_lo, 0, v[16:17]
	v_cmp_neq_f64_e64 s0, 0, v[18:19]
	s_or_b32 s25, vcc_lo, s0
	s_mov_b32 s0, 0
	s_branch .LBB15_2900
.LBB15_2896:
	s_mov_b32 s0, -1
                                        ; implicit-def: $sgpr25
	s_branch .LBB15_2918
.LBB15_2897:
	s_mov_b32 s0, -1
                                        ; implicit-def: $sgpr25
	s_branch .LBB15_2906
.LBB15_2898:
	s_mov_b32 s0, -1
                                        ; implicit-def: $sgpr25
	s_branch .LBB15_2903
.LBB15_2899:
	s_mov_b32 s0, -1
                                        ; implicit-def: $sgpr25
.LBB15_2900:
	s_delay_alu instid0(SALU_CYCLE_1)
	s_and_not1_b32 vcc_lo, exec_lo, s0
	s_cbranch_vccnz .LBB15_2902
; %bb.2901:
	global_load_b64 v[16:17], v[14:15], off
	s_and_not1_b32 s0, s25, exec_lo
	s_wait_loadcnt 0x0
	v_bitop3_b32 v1, v16, 0x7fffffff, v17 bitop3:0xc8
	s_delay_alu instid0(VALU_DEP_1) | instskip(SKIP_1) | instid1(SALU_CYCLE_1)
	v_cmp_ne_u32_e32 vcc_lo, 0, v1
	s_and_b32 s25, vcc_lo, exec_lo
	s_or_b32 s25, s0, s25
.LBB15_2902:
	s_mov_b32 s0, 0
.LBB15_2903:
	s_delay_alu instid0(SALU_CYCLE_1)
	s_and_not1_b32 vcc_lo, exec_lo, s0
	s_cbranch_vccnz .LBB15_2905
; %bb.2904:
	global_load_b32 v1, v[14:15], off
	s_and_not1_b32 s0, s25, exec_lo
	s_wait_loadcnt 0x0
	v_and_b32_e32 v1, 0x7fff7fff, v1
	s_delay_alu instid0(VALU_DEP_1) | instskip(SKIP_1) | instid1(SALU_CYCLE_1)
	v_cmp_ne_u32_e32 vcc_lo, 0, v1
	s_and_b32 s25, vcc_lo, exec_lo
	s_or_b32 s25, s0, s25
.LBB15_2905:
	s_mov_b32 s0, 0
.LBB15_2906:
	s_delay_alu instid0(SALU_CYCLE_1)
	s_and_not1_b32 vcc_lo, exec_lo, s0
	s_cbranch_vccnz .LBB15_2917
; %bb.2907:
	s_cmp_lt_i32 s24, 6
	s_cbranch_scc1 .LBB15_2910
; %bb.2908:
	s_cmp_gt_i32 s24, 6
	s_cbranch_scc0 .LBB15_2911
; %bb.2909:
	global_load_b64 v[16:17], v[14:15], off
	s_mov_b32 s0, 0
	s_wait_loadcnt 0x0
	v_cmp_neq_f64_e64 s25, 0, v[16:17]
	s_branch .LBB15_2912
.LBB15_2910:
	s_mov_b32 s0, -1
                                        ; implicit-def: $sgpr25
	s_branch .LBB15_2915
.LBB15_2911:
	s_mov_b32 s0, -1
                                        ; implicit-def: $sgpr25
.LBB15_2912:
	s_delay_alu instid0(SALU_CYCLE_1)
	s_and_not1_b32 vcc_lo, exec_lo, s0
	s_cbranch_vccnz .LBB15_2914
; %bb.2913:
	global_load_b32 v1, v[14:15], off
	s_and_not1_b32 s0, s25, exec_lo
	s_wait_loadcnt 0x0
	v_cmp_neq_f32_e32 vcc_lo, 0, v1
	s_and_b32 s25, vcc_lo, exec_lo
	s_delay_alu instid0(SALU_CYCLE_1)
	s_or_b32 s25, s0, s25
.LBB15_2914:
	s_mov_b32 s0, 0
.LBB15_2915:
	s_delay_alu instid0(SALU_CYCLE_1)
	s_and_not1_b32 vcc_lo, exec_lo, s0
	s_cbranch_vccnz .LBB15_2917
; %bb.2916:
	global_load_u16 v1, v[14:15], off
	s_and_not1_b32 s0, s25, exec_lo
	s_wait_loadcnt 0x0
	v_and_b32_e32 v1, 0x7fff, v1
	s_delay_alu instid0(VALU_DEP_1) | instskip(SKIP_1) | instid1(SALU_CYCLE_1)
	v_cmp_ne_u16_e32 vcc_lo, 0, v1
	s_and_b32 s25, vcc_lo, exec_lo
	s_or_b32 s25, s0, s25
.LBB15_2917:
	s_mov_b32 s0, 0
.LBB15_2918:
	s_delay_alu instid0(SALU_CYCLE_1)
	s_and_not1_b32 vcc_lo, exec_lo, s0
	s_cbranch_vccnz .LBB15_2938
; %bb.2919:
	s_cmp_lt_i32 s24, 2
	s_cbranch_scc1 .LBB15_2923
; %bb.2920:
	s_cmp_lt_i32 s24, 3
	s_cbranch_scc1 .LBB15_2924
; %bb.2921:
	s_cmp_gt_i32 s24, 3
	s_cbranch_scc0 .LBB15_2925
; %bb.2922:
	global_load_b64 v[16:17], v[14:15], off
	s_mov_b32 s0, 0
	s_wait_loadcnt 0x0
	v_cmp_ne_u64_e64 s25, 0, v[16:17]
	s_branch .LBB15_2926
.LBB15_2923:
	s_mov_b32 s0, -1
                                        ; implicit-def: $sgpr25
	s_branch .LBB15_2932
.LBB15_2924:
	s_mov_b32 s0, -1
                                        ; implicit-def: $sgpr25
	s_branch .LBB15_2929
.LBB15_2925:
	s_mov_b32 s0, -1
                                        ; implicit-def: $sgpr25
.LBB15_2926:
	s_delay_alu instid0(SALU_CYCLE_1)
	s_and_not1_b32 vcc_lo, exec_lo, s0
	s_cbranch_vccnz .LBB15_2928
; %bb.2927:
	global_load_b32 v1, v[14:15], off
	s_and_not1_b32 s0, s25, exec_lo
	s_wait_loadcnt 0x0
	v_cmp_ne_u32_e32 vcc_lo, 0, v1
	s_and_b32 s25, vcc_lo, exec_lo
	s_delay_alu instid0(SALU_CYCLE_1)
	s_or_b32 s25, s0, s25
.LBB15_2928:
	s_mov_b32 s0, 0
.LBB15_2929:
	s_delay_alu instid0(SALU_CYCLE_1)
	s_and_not1_b32 vcc_lo, exec_lo, s0
	s_cbranch_vccnz .LBB15_2931
; %bb.2930:
	global_load_u16 v1, v[14:15], off
	s_and_not1_b32 s0, s25, exec_lo
	s_wait_loadcnt 0x0
	v_cmp_ne_u16_e32 vcc_lo, 0, v1
	s_and_b32 s25, vcc_lo, exec_lo
	s_delay_alu instid0(SALU_CYCLE_1)
	s_or_b32 s25, s0, s25
.LBB15_2931:
	s_mov_b32 s0, 0
.LBB15_2932:
	s_delay_alu instid0(SALU_CYCLE_1)
	s_and_not1_b32 vcc_lo, exec_lo, s0
	s_cbranch_vccnz .LBB15_2938
; %bb.2933:
	s_cmp_gt_i32 s24, 0
	s_mov_b32 s0, 0
	s_cbranch_scc0 .LBB15_2935
; %bb.2934:
	global_load_u8 v1, v[14:15], off
	s_wait_loadcnt 0x0
	v_cmp_ne_u16_e64 s25, 0, v1
	s_branch .LBB15_2936
.LBB15_2935:
	s_mov_b32 s0, -1
                                        ; implicit-def: $sgpr25
.LBB15_2936:
	s_delay_alu instid0(SALU_CYCLE_1)
	s_and_not1_b32 vcc_lo, exec_lo, s0
	s_cbranch_vccnz .LBB15_2938
; %bb.2937:
	global_load_u8 v1, v[14:15], off
	s_and_not1_b32 s0, s25, exec_lo
	s_wait_loadcnt 0x0
	v_cmp_ne_u16_e32 vcc_lo, 0, v1
	s_and_b32 s25, vcc_lo, exec_lo
	s_delay_alu instid0(SALU_CYCLE_1)
	s_or_b32 s25, s0, s25
.LBB15_2938:
	s_mov_b32 s26, -1
.LBB15_2939:
	s_delay_alu instid0(SALU_CYCLE_1)
	s_and_not1_b32 vcc_lo, exec_lo, s26
	s_cbranch_vccnz .LBB15_3712
; %bb.2940:
	v_mov_b32_e32 v13, 0
	s_cmp_lt_i32 s22, 11
	s_delay_alu instid0(VALU_DEP_1)
	v_add_nc_u64_e32 v[12:13], s[6:7], v[12:13]
	s_cbranch_scc1 .LBB15_2947
; %bb.2941:
	s_cmp_gt_i32 s22, 25
	s_mov_b32 s26, 0
	s_cbranch_scc0 .LBB15_2948
; %bb.2942:
	s_cmp_gt_i32 s22, 28
	s_cbranch_scc0 .LBB15_2949
; %bb.2943:
	s_cmp_gt_i32 s22, 43
	;; [unrolled: 3-line block ×3, first 2 shown]
	s_cbranch_scc0 .LBB15_2952
; %bb.2945:
	s_cmp_eq_u32 s22, 46
	s_mov_b32 s27, 0
	s_cbranch_scc0 .LBB15_2953
; %bb.2946:
	global_load_b32 v1, v[12:13], off
	s_mov_b32 s0, 0
	s_mov_b32 s7, -1
	s_wait_loadcnt 0x0
	v_and_b32_e32 v1, 0x7fff7fff, v1
	s_delay_alu instid0(VALU_DEP_1)
	v_cmp_ne_u32_e64 s6, 0, v1
	s_branch .LBB15_2955
.LBB15_2947:
	s_mov_b32 s0, -1
	s_mov_b32 s7, 0
                                        ; implicit-def: $sgpr6
	s_branch .LBB15_3003
.LBB15_2948:
	s_mov_b32 s27, -1
	s_mov_b32 s7, 0
	s_mov_b32 s0, 0
                                        ; implicit-def: $sgpr6
	s_branch .LBB15_2976
.LBB15_2949:
	s_mov_b32 s27, -1
	s_mov_b32 s7, 0
	s_mov_b32 s0, 0
                                        ; implicit-def: $sgpr6
	s_branch .LBB15_2963
.LBB15_2950:
	s_mov_b32 s27, -1
	s_mov_b32 s7, 0
	s_mov_b32 s0, 0
                                        ; implicit-def: $sgpr6
	s_branch .LBB15_2958
.LBB15_2951:
	s_mov_b32 s26, 0
	s_or_b32 s1, s1, exec_lo
	s_trap 2
	s_cbranch_execz .LBB15_2888
	s_branch .LBB15_2889
.LBB15_2952:
	s_mov_b32 s27, -1
	s_mov_b32 s7, 0
	s_mov_b32 s0, 0
	s_branch .LBB15_2954
.LBB15_2953:
	s_mov_b32 s0, -1
	s_mov_b32 s7, 0
.LBB15_2954:
                                        ; implicit-def: $sgpr6
.LBB15_2955:
	s_and_b32 vcc_lo, exec_lo, s27
	s_cbranch_vccz .LBB15_2957
; %bb.2956:
	s_cmp_lg_u32 s22, 44
	s_mov_b32 s7, -1
	s_cselect_b32 s0, -1, 0
	s_or_b32 s6, s6, exec_lo
.LBB15_2957:
	s_mov_b32 s27, 0
.LBB15_2958:
	s_delay_alu instid0(SALU_CYCLE_1)
	s_and_b32 vcc_lo, exec_lo, s27
	s_cbranch_vccz .LBB15_2962
; %bb.2959:
	s_cmp_eq_u32 s22, 29
	s_cbranch_scc0 .LBB15_2961
; %bb.2960:
	global_load_b64 v[14:15], v[12:13], off
	s_mov_b32 s0, 0
	s_mov_b32 s7, -1
	s_mov_b32 s27, 0
	s_wait_loadcnt 0x0
	v_cmp_ne_u64_e64 s6, 0, v[14:15]
	s_branch .LBB15_2963
.LBB15_2961:
	s_mov_b32 s0, -1
                                        ; implicit-def: $sgpr6
.LBB15_2962:
	s_mov_b32 s27, 0
.LBB15_2963:
	s_delay_alu instid0(SALU_CYCLE_1)
	s_and_b32 vcc_lo, exec_lo, s27
	s_cbranch_vccz .LBB15_2975
; %bb.2964:
	s_cmp_lt_i32 s22, 27
	s_cbranch_scc1 .LBB15_2967
; %bb.2965:
	s_cmp_gt_i32 s22, 27
	s_cbranch_scc0 .LBB15_2968
; %bb.2966:
	global_load_b32 v1, v[12:13], off
	s_mov_b32 s7, 0
	s_wait_loadcnt 0x0
	v_cmp_ne_u32_e64 s6, 0, v1
	s_branch .LBB15_2969
.LBB15_2967:
	s_mov_b32 s7, -1
                                        ; implicit-def: $sgpr6
	s_branch .LBB15_2972
.LBB15_2968:
	s_mov_b32 s7, -1
                                        ; implicit-def: $sgpr6
.LBB15_2969:
	s_delay_alu instid0(SALU_CYCLE_1)
	s_and_not1_b32 vcc_lo, exec_lo, s7
	s_cbranch_vccnz .LBB15_2971
; %bb.2970:
	global_load_u16 v1, v[12:13], off
	s_and_not1_b32 s6, s6, exec_lo
	s_wait_loadcnt 0x0
	v_cmp_ne_u16_e32 vcc_lo, 0, v1
	s_and_b32 s7, vcc_lo, exec_lo
	s_delay_alu instid0(SALU_CYCLE_1)
	s_or_b32 s6, s6, s7
.LBB15_2971:
	s_mov_b32 s7, 0
.LBB15_2972:
	s_delay_alu instid0(SALU_CYCLE_1)
	s_and_not1_b32 vcc_lo, exec_lo, s7
	s_cbranch_vccnz .LBB15_2974
; %bb.2973:
	global_load_u8 v1, v[12:13], off
	s_and_not1_b32 s6, s6, exec_lo
	s_wait_loadcnt 0x0
	v_cmp_ne_u16_e32 vcc_lo, 0, v1
	s_and_b32 s7, vcc_lo, exec_lo
	s_delay_alu instid0(SALU_CYCLE_1)
	s_or_b32 s6, s6, s7
.LBB15_2974:
	s_mov_b32 s7, -1
.LBB15_2975:
	s_mov_b32 s27, 0
.LBB15_2976:
	s_delay_alu instid0(SALU_CYCLE_1)
	s_and_b32 vcc_lo, exec_lo, s27
	s_cbranch_vccz .LBB15_2999
; %bb.2977:
	s_cmp_gt_i32 s22, 22
	s_cbranch_scc0 .LBB15_2981
; %bb.2978:
	s_cmp_lt_i32 s22, 24
	s_cbranch_scc1 .LBB15_2982
; %bb.2979:
	s_cmp_gt_i32 s22, 24
	s_cbranch_scc0 .LBB15_2983
; %bb.2980:
	global_load_u8 v1, v[12:13], off
	s_mov_b32 s7, 0
	s_wait_loadcnt 0x0
	v_cmp_ne_u16_e64 s6, 0, v1
	s_branch .LBB15_2984
.LBB15_2981:
	s_mov_b32 s26, -1
                                        ; implicit-def: $sgpr6
	s_branch .LBB15_2990
.LBB15_2982:
	s_mov_b32 s7, -1
                                        ; implicit-def: $sgpr6
	s_branch .LBB15_2987
.LBB15_2983:
	s_mov_b32 s7, -1
                                        ; implicit-def: $sgpr6
.LBB15_2984:
	s_delay_alu instid0(SALU_CYCLE_1)
	s_and_not1_b32 vcc_lo, exec_lo, s7
	s_cbranch_vccnz .LBB15_2986
; %bb.2985:
	global_load_u8 v1, v[12:13], off
	s_and_not1_b32 s6, s6, exec_lo
	s_wait_loadcnt 0x0
	v_and_b32_e32 v1, 0x7f, v1
	s_delay_alu instid0(VALU_DEP_1) | instskip(SKIP_1) | instid1(SALU_CYCLE_1)
	v_cmp_ne_u16_e32 vcc_lo, 0, v1
	s_and_b32 s7, vcc_lo, exec_lo
	s_or_b32 s6, s6, s7
.LBB15_2986:
	s_mov_b32 s7, 0
.LBB15_2987:
	s_delay_alu instid0(SALU_CYCLE_1)
	s_and_not1_b32 vcc_lo, exec_lo, s7
	s_cbranch_vccnz .LBB15_2989
; %bb.2988:
	global_load_u8 v1, v[12:13], off
	s_and_not1_b32 s6, s6, exec_lo
	s_wait_loadcnt 0x0
	v_dual_lshlrev_b32 v3, 25, v1 :: v_dual_lshlrev_b32 v1, 8, v1
	s_delay_alu instid0(VALU_DEP_1) | instskip(NEXT) | instid1(VALU_DEP_2)
	v_cmp_gt_u32_e32 vcc_lo, 0x8000000, v3
	v_and_or_b32 v1, 0x7f00, v1, 0.5
	s_delay_alu instid0(VALU_DEP_1) | instskip(NEXT) | instid1(VALU_DEP_1)
	v_dual_lshrrev_b32 v5, 4, v3 :: v_dual_add_f32 v1, -0.5, v1
	v_or_b32_e32 v5, 0x70000000, v5
	s_delay_alu instid0(VALU_DEP_1) | instskip(NEXT) | instid1(VALU_DEP_1)
	v_mul_f32_e32 v5, 0x7800000, v5
	v_cndmask_b32_e32 v1, v5, v1, vcc_lo
	s_delay_alu instid0(VALU_DEP_1) | instskip(SKIP_1) | instid1(SALU_CYCLE_1)
	v_cmp_neq_f32_e32 vcc_lo, 0, v1
	s_and_b32 s7, vcc_lo, exec_lo
	s_or_b32 s6, s6, s7
.LBB15_2989:
	s_mov_b32 s7, -1
.LBB15_2990:
	s_and_not1_b32 vcc_lo, exec_lo, s26
	s_mov_b32 s26, 0
	s_cbranch_vccnz .LBB15_2999
; %bb.2991:
	s_cmp_gt_i32 s22, 14
	s_cbranch_scc0 .LBB15_2994
; %bb.2992:
	s_cmp_eq_u32 s22, 15
	s_cbranch_scc0 .LBB15_2995
; %bb.2993:
	global_load_u16 v1, v[12:13], off
	s_mov_b32 s0, 0
	s_mov_b32 s7, -1
	s_wait_loadcnt 0x0
	v_and_b32_e32 v1, 0x7fff, v1
	s_delay_alu instid0(VALU_DEP_1)
	v_cmp_ne_u16_e64 s6, 0, v1
	s_branch .LBB15_2997
.LBB15_2994:
	s_mov_b32 s26, -1
	s_branch .LBB15_2996
.LBB15_2995:
	s_mov_b32 s0, -1
.LBB15_2996:
                                        ; implicit-def: $sgpr6
.LBB15_2997:
	s_and_b32 vcc_lo, exec_lo, s26
	s_mov_b32 s26, 0
	s_cbranch_vccz .LBB15_2999
; %bb.2998:
	s_cmp_lg_u32 s22, 11
	s_mov_b32 s26, -1
	s_cselect_b32 s0, -1, 0
.LBB15_2999:
	s_delay_alu instid0(SALU_CYCLE_1)
	s_and_b32 vcc_lo, exec_lo, s0
	s_cbranch_vccnz .LBB15_3064
; %bb.3000:
	s_and_not1_b32 vcc_lo, exec_lo, s26
	s_cbranch_vccnz .LBB15_3002
.LBB15_3001:
	global_load_u8 v1, v[12:13], off
	s_and_not1_b32 s0, s6, exec_lo
	s_mov_b32 s7, -1
	s_wait_loadcnt 0x0
	v_cmp_ne_u16_e32 vcc_lo, 0, v1
	s_and_b32 s6, vcc_lo, exec_lo
	s_delay_alu instid0(SALU_CYCLE_1)
	s_or_b32 s6, s0, s6
.LBB15_3002:
	s_mov_b32 s0, 0
.LBB15_3003:
	s_delay_alu instid0(SALU_CYCLE_1)
	s_and_b32 vcc_lo, exec_lo, s0
	s_cbranch_vccz .LBB15_3052
; %bb.3004:
	s_cmp_lt_i32 s22, 5
	s_cbranch_scc1 .LBB15_3009
; %bb.3005:
	s_cmp_lt_i32 s22, 8
	s_cbranch_scc1 .LBB15_3010
; %bb.3006:
	s_cmp_lt_i32 s22, 9
	s_cbranch_scc1 .LBB15_3011
; %bb.3007:
	s_cmp_gt_i32 s22, 9
	s_cbranch_scc0 .LBB15_3012
; %bb.3008:
	global_load_b128 v[14:17], v[12:13], off
	s_wait_loadcnt 0x0
	v_cmp_neq_f64_e32 vcc_lo, 0, v[14:15]
	v_cmp_neq_f64_e64 s0, 0, v[16:17]
	s_or_b32 s6, vcc_lo, s0
	s_mov_b32 s0, 0
	s_branch .LBB15_3013
.LBB15_3009:
	s_mov_b32 s0, -1
                                        ; implicit-def: $sgpr6
	s_branch .LBB15_3031
.LBB15_3010:
	s_mov_b32 s0, -1
                                        ; implicit-def: $sgpr6
	s_branch .LBB15_3019
.LBB15_3011:
	s_mov_b32 s0, -1
                                        ; implicit-def: $sgpr6
	s_branch .LBB15_3016
.LBB15_3012:
	s_mov_b32 s0, -1
                                        ; implicit-def: $sgpr6
.LBB15_3013:
	s_delay_alu instid0(SALU_CYCLE_1)
	s_and_not1_b32 vcc_lo, exec_lo, s0
	s_cbranch_vccnz .LBB15_3015
; %bb.3014:
	global_load_b64 v[14:15], v[12:13], off
	s_and_not1_b32 s0, s6, exec_lo
	s_wait_loadcnt 0x0
	v_bitop3_b32 v1, v14, 0x7fffffff, v15 bitop3:0xc8
	s_delay_alu instid0(VALU_DEP_1) | instskip(SKIP_1) | instid1(SALU_CYCLE_1)
	v_cmp_ne_u32_e32 vcc_lo, 0, v1
	s_and_b32 s6, vcc_lo, exec_lo
	s_or_b32 s6, s0, s6
.LBB15_3015:
	s_mov_b32 s0, 0
.LBB15_3016:
	s_delay_alu instid0(SALU_CYCLE_1)
	s_and_not1_b32 vcc_lo, exec_lo, s0
	s_cbranch_vccnz .LBB15_3018
; %bb.3017:
	global_load_b32 v1, v[12:13], off
	s_and_not1_b32 s0, s6, exec_lo
	s_wait_loadcnt 0x0
	v_and_b32_e32 v1, 0x7fff7fff, v1
	s_delay_alu instid0(VALU_DEP_1) | instskip(SKIP_1) | instid1(SALU_CYCLE_1)
	v_cmp_ne_u32_e32 vcc_lo, 0, v1
	s_and_b32 s6, vcc_lo, exec_lo
	s_or_b32 s6, s0, s6
.LBB15_3018:
	s_mov_b32 s0, 0
.LBB15_3019:
	s_delay_alu instid0(SALU_CYCLE_1)
	s_and_not1_b32 vcc_lo, exec_lo, s0
	s_cbranch_vccnz .LBB15_3030
; %bb.3020:
	s_cmp_lt_i32 s22, 6
	s_cbranch_scc1 .LBB15_3023
; %bb.3021:
	s_cmp_gt_i32 s22, 6
	s_cbranch_scc0 .LBB15_3024
; %bb.3022:
	global_load_b64 v[14:15], v[12:13], off
	s_mov_b32 s0, 0
	s_wait_loadcnt 0x0
	v_cmp_neq_f64_e64 s6, 0, v[14:15]
	s_branch .LBB15_3025
.LBB15_3023:
	s_mov_b32 s0, -1
                                        ; implicit-def: $sgpr6
	s_branch .LBB15_3028
.LBB15_3024:
	s_mov_b32 s0, -1
                                        ; implicit-def: $sgpr6
.LBB15_3025:
	s_delay_alu instid0(SALU_CYCLE_1)
	s_and_not1_b32 vcc_lo, exec_lo, s0
	s_cbranch_vccnz .LBB15_3027
; %bb.3026:
	global_load_b32 v1, v[12:13], off
	s_and_not1_b32 s0, s6, exec_lo
	s_wait_loadcnt 0x0
	v_cmp_neq_f32_e32 vcc_lo, 0, v1
	s_and_b32 s6, vcc_lo, exec_lo
	s_delay_alu instid0(SALU_CYCLE_1)
	s_or_b32 s6, s0, s6
.LBB15_3027:
	s_mov_b32 s0, 0
.LBB15_3028:
	s_delay_alu instid0(SALU_CYCLE_1)
	s_and_not1_b32 vcc_lo, exec_lo, s0
	s_cbranch_vccnz .LBB15_3030
; %bb.3029:
	global_load_u16 v1, v[12:13], off
	s_and_not1_b32 s0, s6, exec_lo
	s_wait_loadcnt 0x0
	v_and_b32_e32 v1, 0x7fff, v1
	s_delay_alu instid0(VALU_DEP_1) | instskip(SKIP_1) | instid1(SALU_CYCLE_1)
	v_cmp_ne_u16_e32 vcc_lo, 0, v1
	s_and_b32 s6, vcc_lo, exec_lo
	s_or_b32 s6, s0, s6
.LBB15_3030:
	s_mov_b32 s0, 0
.LBB15_3031:
	s_delay_alu instid0(SALU_CYCLE_1)
	s_and_not1_b32 vcc_lo, exec_lo, s0
	s_cbranch_vccnz .LBB15_3051
; %bb.3032:
	s_cmp_lt_i32 s22, 2
	s_cbranch_scc1 .LBB15_3036
; %bb.3033:
	s_cmp_lt_i32 s22, 3
	s_cbranch_scc1 .LBB15_3037
; %bb.3034:
	s_cmp_gt_i32 s22, 3
	s_cbranch_scc0 .LBB15_3038
; %bb.3035:
	global_load_b64 v[14:15], v[12:13], off
	s_mov_b32 s0, 0
	s_wait_loadcnt 0x0
	v_cmp_ne_u64_e64 s6, 0, v[14:15]
	s_branch .LBB15_3039
.LBB15_3036:
	s_mov_b32 s0, -1
                                        ; implicit-def: $sgpr6
	s_branch .LBB15_3045
.LBB15_3037:
	s_mov_b32 s0, -1
                                        ; implicit-def: $sgpr6
	s_branch .LBB15_3042
.LBB15_3038:
	s_mov_b32 s0, -1
                                        ; implicit-def: $sgpr6
.LBB15_3039:
	s_delay_alu instid0(SALU_CYCLE_1)
	s_and_not1_b32 vcc_lo, exec_lo, s0
	s_cbranch_vccnz .LBB15_3041
; %bb.3040:
	global_load_b32 v1, v[12:13], off
	s_and_not1_b32 s0, s6, exec_lo
	s_wait_loadcnt 0x0
	v_cmp_ne_u32_e32 vcc_lo, 0, v1
	s_and_b32 s6, vcc_lo, exec_lo
	s_delay_alu instid0(SALU_CYCLE_1)
	s_or_b32 s6, s0, s6
.LBB15_3041:
	s_mov_b32 s0, 0
.LBB15_3042:
	s_delay_alu instid0(SALU_CYCLE_1)
	s_and_not1_b32 vcc_lo, exec_lo, s0
	s_cbranch_vccnz .LBB15_3044
; %bb.3043:
	global_load_u16 v1, v[12:13], off
	s_and_not1_b32 s0, s6, exec_lo
	s_wait_loadcnt 0x0
	v_cmp_ne_u16_e32 vcc_lo, 0, v1
	s_and_b32 s6, vcc_lo, exec_lo
	s_delay_alu instid0(SALU_CYCLE_1)
	s_or_b32 s6, s0, s6
.LBB15_3044:
	s_mov_b32 s0, 0
.LBB15_3045:
	s_delay_alu instid0(SALU_CYCLE_1)
	s_and_not1_b32 vcc_lo, exec_lo, s0
	s_cbranch_vccnz .LBB15_3051
; %bb.3046:
	s_cmp_gt_i32 s22, 0
	s_mov_b32 s0, 0
	s_cbranch_scc0 .LBB15_3048
; %bb.3047:
	global_load_u8 v1, v[12:13], off
	s_wait_loadcnt 0x0
	v_cmp_ne_u16_e64 s6, 0, v1
	s_branch .LBB15_3049
.LBB15_3048:
	s_mov_b32 s0, -1
                                        ; implicit-def: $sgpr6
.LBB15_3049:
	s_delay_alu instid0(SALU_CYCLE_1)
	s_and_not1_b32 vcc_lo, exec_lo, s0
	s_cbranch_vccnz .LBB15_3051
; %bb.3050:
	global_load_u8 v1, v[12:13], off
	s_and_not1_b32 s0, s6, exec_lo
	s_wait_loadcnt 0x0
	v_cmp_ne_u16_e32 vcc_lo, 0, v1
	s_and_b32 s6, vcc_lo, exec_lo
	s_delay_alu instid0(SALU_CYCLE_1)
	s_or_b32 s6, s0, s6
.LBB15_3051:
	s_mov_b32 s7, -1
.LBB15_3052:
	s_delay_alu instid0(SALU_CYCLE_1)
	s_and_not1_b32 vcc_lo, exec_lo, s7
	s_cbranch_vccnz .LBB15_3712
; %bb.3053:
	v_mov_b32_e32 v11, 0
	s_cmp_lt_i32 s23, 11
	s_delay_alu instid0(VALU_DEP_1)
	v_add_nc_u64_e32 v[10:11], s[8:9], v[10:11]
	s_cbranch_scc1 .LBB15_3060
; %bb.3054:
	s_cmp_gt_i32 s23, 25
	s_mov_b32 s9, 0
	s_cbranch_scc0 .LBB15_3061
; %bb.3055:
	s_cmp_gt_i32 s23, 28
	s_cbranch_scc0 .LBB15_3062
; %bb.3056:
	s_cmp_gt_i32 s23, 43
	;; [unrolled: 3-line block ×3, first 2 shown]
	s_cbranch_scc0 .LBB15_3065
; %bb.3058:
	s_cmp_eq_u32 s23, 46
	s_mov_b32 s22, 0
	s_cbranch_scc0 .LBB15_3066
; %bb.3059:
	global_load_b32 v1, v[10:11], off
	s_mov_b32 s0, 0
	s_mov_b32 s8, -1
	s_wait_loadcnt 0x0
	v_and_b32_e32 v1, 0x7fff7fff, v1
	s_delay_alu instid0(VALU_DEP_1)
	v_cmp_ne_u32_e64 s7, 0, v1
	s_branch .LBB15_3068
.LBB15_3060:
	s_mov_b32 s0, -1
	s_mov_b32 s8, 0
                                        ; implicit-def: $sgpr7
	s_branch .LBB15_3116
.LBB15_3061:
	s_mov_b32 s22, -1
	s_mov_b32 s8, 0
	s_mov_b32 s0, 0
                                        ; implicit-def: $sgpr7
	s_branch .LBB15_3089
.LBB15_3062:
	s_mov_b32 s22, -1
	s_mov_b32 s8, 0
	s_mov_b32 s0, 0
                                        ; implicit-def: $sgpr7
	s_branch .LBB15_3076
.LBB15_3063:
	s_mov_b32 s22, -1
	s_mov_b32 s8, 0
	s_mov_b32 s0, 0
                                        ; implicit-def: $sgpr7
	s_branch .LBB15_3071
.LBB15_3064:
	s_mov_b32 s7, 0
	s_or_b32 s1, s1, exec_lo
	s_trap 2
	s_cbranch_execz .LBB15_3001
	s_branch .LBB15_3002
.LBB15_3065:
	s_mov_b32 s22, -1
	s_mov_b32 s8, 0
	s_mov_b32 s0, 0
	s_branch .LBB15_3067
.LBB15_3066:
	s_mov_b32 s0, -1
	s_mov_b32 s8, 0
.LBB15_3067:
                                        ; implicit-def: $sgpr7
.LBB15_3068:
	s_and_b32 vcc_lo, exec_lo, s22
	s_cbranch_vccz .LBB15_3070
; %bb.3069:
	s_cmp_lg_u32 s23, 44
	s_mov_b32 s8, -1
	s_cselect_b32 s0, -1, 0
	s_or_b32 s7, s7, exec_lo
.LBB15_3070:
	s_mov_b32 s22, 0
.LBB15_3071:
	s_delay_alu instid0(SALU_CYCLE_1)
	s_and_b32 vcc_lo, exec_lo, s22
	s_cbranch_vccz .LBB15_3075
; %bb.3072:
	s_cmp_eq_u32 s23, 29
	s_cbranch_scc0 .LBB15_3074
; %bb.3073:
	global_load_b64 v[12:13], v[10:11], off
	s_mov_b32 s0, 0
	s_mov_b32 s8, -1
	s_mov_b32 s22, 0
	s_wait_loadcnt 0x0
	v_cmp_ne_u64_e64 s7, 0, v[12:13]
	s_branch .LBB15_3076
.LBB15_3074:
	s_mov_b32 s0, -1
                                        ; implicit-def: $sgpr7
.LBB15_3075:
	s_mov_b32 s22, 0
.LBB15_3076:
	s_delay_alu instid0(SALU_CYCLE_1)
	s_and_b32 vcc_lo, exec_lo, s22
	s_cbranch_vccz .LBB15_3088
; %bb.3077:
	s_cmp_lt_i32 s23, 27
	s_cbranch_scc1 .LBB15_3080
; %bb.3078:
	s_cmp_gt_i32 s23, 27
	s_cbranch_scc0 .LBB15_3081
; %bb.3079:
	global_load_b32 v1, v[10:11], off
	s_mov_b32 s8, 0
	s_wait_loadcnt 0x0
	v_cmp_ne_u32_e64 s7, 0, v1
	s_branch .LBB15_3082
.LBB15_3080:
	s_mov_b32 s8, -1
                                        ; implicit-def: $sgpr7
	s_branch .LBB15_3085
.LBB15_3081:
	s_mov_b32 s8, -1
                                        ; implicit-def: $sgpr7
.LBB15_3082:
	s_delay_alu instid0(SALU_CYCLE_1)
	s_and_not1_b32 vcc_lo, exec_lo, s8
	s_cbranch_vccnz .LBB15_3084
; %bb.3083:
	global_load_u16 v1, v[10:11], off
	s_and_not1_b32 s7, s7, exec_lo
	s_wait_loadcnt 0x0
	v_cmp_ne_u16_e32 vcc_lo, 0, v1
	s_and_b32 s8, vcc_lo, exec_lo
	s_delay_alu instid0(SALU_CYCLE_1)
	s_or_b32 s7, s7, s8
.LBB15_3084:
	s_mov_b32 s8, 0
.LBB15_3085:
	s_delay_alu instid0(SALU_CYCLE_1)
	s_and_not1_b32 vcc_lo, exec_lo, s8
	s_cbranch_vccnz .LBB15_3087
; %bb.3086:
	global_load_u8 v1, v[10:11], off
	s_and_not1_b32 s7, s7, exec_lo
	s_wait_loadcnt 0x0
	v_cmp_ne_u16_e32 vcc_lo, 0, v1
	s_and_b32 s8, vcc_lo, exec_lo
	s_delay_alu instid0(SALU_CYCLE_1)
	s_or_b32 s7, s7, s8
.LBB15_3087:
	s_mov_b32 s8, -1
.LBB15_3088:
	s_mov_b32 s22, 0
.LBB15_3089:
	s_delay_alu instid0(SALU_CYCLE_1)
	s_and_b32 vcc_lo, exec_lo, s22
	s_cbranch_vccz .LBB15_3112
; %bb.3090:
	s_cmp_gt_i32 s23, 22
	s_cbranch_scc0 .LBB15_3094
; %bb.3091:
	s_cmp_lt_i32 s23, 24
	s_cbranch_scc1 .LBB15_3095
; %bb.3092:
	s_cmp_gt_i32 s23, 24
	s_cbranch_scc0 .LBB15_3096
; %bb.3093:
	global_load_u8 v1, v[10:11], off
	s_mov_b32 s8, 0
	s_wait_loadcnt 0x0
	v_cmp_ne_u16_e64 s7, 0, v1
	s_branch .LBB15_3097
.LBB15_3094:
	s_mov_b32 s9, -1
                                        ; implicit-def: $sgpr7
	s_branch .LBB15_3103
.LBB15_3095:
	s_mov_b32 s8, -1
                                        ; implicit-def: $sgpr7
	s_branch .LBB15_3100
.LBB15_3096:
	s_mov_b32 s8, -1
                                        ; implicit-def: $sgpr7
.LBB15_3097:
	s_delay_alu instid0(SALU_CYCLE_1)
	s_and_not1_b32 vcc_lo, exec_lo, s8
	s_cbranch_vccnz .LBB15_3099
; %bb.3098:
	global_load_u8 v1, v[10:11], off
	s_and_not1_b32 s7, s7, exec_lo
	s_wait_loadcnt 0x0
	v_and_b32_e32 v1, 0x7f, v1
	s_delay_alu instid0(VALU_DEP_1) | instskip(SKIP_1) | instid1(SALU_CYCLE_1)
	v_cmp_ne_u16_e32 vcc_lo, 0, v1
	s_and_b32 s8, vcc_lo, exec_lo
	s_or_b32 s7, s7, s8
.LBB15_3099:
	s_mov_b32 s8, 0
.LBB15_3100:
	s_delay_alu instid0(SALU_CYCLE_1)
	s_and_not1_b32 vcc_lo, exec_lo, s8
	s_cbranch_vccnz .LBB15_3102
; %bb.3101:
	global_load_u8 v1, v[10:11], off
	s_and_not1_b32 s7, s7, exec_lo
	s_wait_loadcnt 0x0
	v_dual_lshlrev_b32 v3, 25, v1 :: v_dual_lshlrev_b32 v1, 8, v1
	s_delay_alu instid0(VALU_DEP_1) | instskip(NEXT) | instid1(VALU_DEP_2)
	v_cmp_gt_u32_e32 vcc_lo, 0x8000000, v3
	v_and_or_b32 v1, 0x7f00, v1, 0.5
	s_delay_alu instid0(VALU_DEP_1) | instskip(NEXT) | instid1(VALU_DEP_1)
	v_dual_lshrrev_b32 v5, 4, v3 :: v_dual_add_f32 v1, -0.5, v1
	v_or_b32_e32 v5, 0x70000000, v5
	s_delay_alu instid0(VALU_DEP_1) | instskip(NEXT) | instid1(VALU_DEP_1)
	v_mul_f32_e32 v5, 0x7800000, v5
	v_cndmask_b32_e32 v1, v5, v1, vcc_lo
	s_delay_alu instid0(VALU_DEP_1) | instskip(SKIP_1) | instid1(SALU_CYCLE_1)
	v_cmp_neq_f32_e32 vcc_lo, 0, v1
	s_and_b32 s8, vcc_lo, exec_lo
	s_or_b32 s7, s7, s8
.LBB15_3102:
	s_mov_b32 s8, -1
.LBB15_3103:
	s_and_not1_b32 vcc_lo, exec_lo, s9
	s_mov_b32 s9, 0
	s_cbranch_vccnz .LBB15_3112
; %bb.3104:
	s_cmp_gt_i32 s23, 14
	s_cbranch_scc0 .LBB15_3107
; %bb.3105:
	s_cmp_eq_u32 s23, 15
	s_cbranch_scc0 .LBB15_3108
; %bb.3106:
	global_load_u16 v1, v[10:11], off
	s_mov_b32 s0, 0
	s_mov_b32 s8, -1
	s_wait_loadcnt 0x0
	v_and_b32_e32 v1, 0x7fff, v1
	s_delay_alu instid0(VALU_DEP_1)
	v_cmp_ne_u16_e64 s7, 0, v1
	s_branch .LBB15_3110
.LBB15_3107:
	s_mov_b32 s9, -1
	s_branch .LBB15_3109
.LBB15_3108:
	s_mov_b32 s0, -1
.LBB15_3109:
                                        ; implicit-def: $sgpr7
.LBB15_3110:
	s_and_b32 vcc_lo, exec_lo, s9
	s_mov_b32 s9, 0
	s_cbranch_vccz .LBB15_3112
; %bb.3111:
	s_cmp_lg_u32 s23, 11
	s_mov_b32 s9, -1
	s_cselect_b32 s0, -1, 0
.LBB15_3112:
	s_delay_alu instid0(SALU_CYCLE_1)
	s_and_b32 vcc_lo, exec_lo, s0
	s_cbranch_vccnz .LBB15_3177
; %bb.3113:
	s_and_not1_b32 vcc_lo, exec_lo, s9
	s_cbranch_vccnz .LBB15_3115
.LBB15_3114:
	global_load_u8 v1, v[10:11], off
	s_and_not1_b32 s0, s7, exec_lo
	s_mov_b32 s8, -1
	s_wait_loadcnt 0x0
	v_cmp_ne_u16_e32 vcc_lo, 0, v1
	s_and_b32 s7, vcc_lo, exec_lo
	s_delay_alu instid0(SALU_CYCLE_1)
	s_or_b32 s7, s0, s7
.LBB15_3115:
	s_mov_b32 s0, 0
.LBB15_3116:
	s_delay_alu instid0(SALU_CYCLE_1)
	s_and_b32 vcc_lo, exec_lo, s0
	s_cbranch_vccz .LBB15_3165
; %bb.3117:
	s_cmp_lt_i32 s23, 5
	s_cbranch_scc1 .LBB15_3122
; %bb.3118:
	s_cmp_lt_i32 s23, 8
	s_cbranch_scc1 .LBB15_3123
	;; [unrolled: 3-line block ×3, first 2 shown]
; %bb.3120:
	s_cmp_gt_i32 s23, 9
	s_cbranch_scc0 .LBB15_3125
; %bb.3121:
	global_load_b128 v[12:15], v[10:11], off
	s_wait_loadcnt 0x0
	v_cmp_neq_f64_e32 vcc_lo, 0, v[12:13]
	v_cmp_neq_f64_e64 s0, 0, v[14:15]
	s_or_b32 s7, vcc_lo, s0
	s_mov_b32 s0, 0
	s_branch .LBB15_3126
.LBB15_3122:
	s_mov_b32 s0, -1
                                        ; implicit-def: $sgpr7
	s_branch .LBB15_3144
.LBB15_3123:
	s_mov_b32 s0, -1
                                        ; implicit-def: $sgpr7
	s_branch .LBB15_3132
.LBB15_3124:
	s_mov_b32 s0, -1
                                        ; implicit-def: $sgpr7
	s_branch .LBB15_3129
.LBB15_3125:
	s_mov_b32 s0, -1
                                        ; implicit-def: $sgpr7
.LBB15_3126:
	s_delay_alu instid0(SALU_CYCLE_1)
	s_and_not1_b32 vcc_lo, exec_lo, s0
	s_cbranch_vccnz .LBB15_3128
; %bb.3127:
	global_load_b64 v[12:13], v[10:11], off
	s_and_not1_b32 s0, s7, exec_lo
	s_wait_loadcnt 0x0
	v_bitop3_b32 v1, v12, 0x7fffffff, v13 bitop3:0xc8
	s_delay_alu instid0(VALU_DEP_1) | instskip(SKIP_1) | instid1(SALU_CYCLE_1)
	v_cmp_ne_u32_e32 vcc_lo, 0, v1
	s_and_b32 s7, vcc_lo, exec_lo
	s_or_b32 s7, s0, s7
.LBB15_3128:
	s_mov_b32 s0, 0
.LBB15_3129:
	s_delay_alu instid0(SALU_CYCLE_1)
	s_and_not1_b32 vcc_lo, exec_lo, s0
	s_cbranch_vccnz .LBB15_3131
; %bb.3130:
	global_load_b32 v1, v[10:11], off
	s_and_not1_b32 s0, s7, exec_lo
	s_wait_loadcnt 0x0
	v_and_b32_e32 v1, 0x7fff7fff, v1
	s_delay_alu instid0(VALU_DEP_1) | instskip(SKIP_1) | instid1(SALU_CYCLE_1)
	v_cmp_ne_u32_e32 vcc_lo, 0, v1
	s_and_b32 s7, vcc_lo, exec_lo
	s_or_b32 s7, s0, s7
.LBB15_3131:
	s_mov_b32 s0, 0
.LBB15_3132:
	s_delay_alu instid0(SALU_CYCLE_1)
	s_and_not1_b32 vcc_lo, exec_lo, s0
	s_cbranch_vccnz .LBB15_3143
; %bb.3133:
	s_cmp_lt_i32 s23, 6
	s_cbranch_scc1 .LBB15_3136
; %bb.3134:
	s_cmp_gt_i32 s23, 6
	s_cbranch_scc0 .LBB15_3137
; %bb.3135:
	global_load_b64 v[12:13], v[10:11], off
	s_mov_b32 s0, 0
	s_wait_loadcnt 0x0
	v_cmp_neq_f64_e64 s7, 0, v[12:13]
	s_branch .LBB15_3138
.LBB15_3136:
	s_mov_b32 s0, -1
                                        ; implicit-def: $sgpr7
	s_branch .LBB15_3141
.LBB15_3137:
	s_mov_b32 s0, -1
                                        ; implicit-def: $sgpr7
.LBB15_3138:
	s_delay_alu instid0(SALU_CYCLE_1)
	s_and_not1_b32 vcc_lo, exec_lo, s0
	s_cbranch_vccnz .LBB15_3140
; %bb.3139:
	global_load_b32 v1, v[10:11], off
	s_and_not1_b32 s0, s7, exec_lo
	s_wait_loadcnt 0x0
	v_cmp_neq_f32_e32 vcc_lo, 0, v1
	s_and_b32 s7, vcc_lo, exec_lo
	s_delay_alu instid0(SALU_CYCLE_1)
	s_or_b32 s7, s0, s7
.LBB15_3140:
	s_mov_b32 s0, 0
.LBB15_3141:
	s_delay_alu instid0(SALU_CYCLE_1)
	s_and_not1_b32 vcc_lo, exec_lo, s0
	s_cbranch_vccnz .LBB15_3143
; %bb.3142:
	global_load_u16 v1, v[10:11], off
	s_and_not1_b32 s0, s7, exec_lo
	s_wait_loadcnt 0x0
	v_and_b32_e32 v1, 0x7fff, v1
	s_delay_alu instid0(VALU_DEP_1) | instskip(SKIP_1) | instid1(SALU_CYCLE_1)
	v_cmp_ne_u16_e32 vcc_lo, 0, v1
	s_and_b32 s7, vcc_lo, exec_lo
	s_or_b32 s7, s0, s7
.LBB15_3143:
	s_mov_b32 s0, 0
.LBB15_3144:
	s_delay_alu instid0(SALU_CYCLE_1)
	s_and_not1_b32 vcc_lo, exec_lo, s0
	s_cbranch_vccnz .LBB15_3164
; %bb.3145:
	s_cmp_lt_i32 s23, 2
	s_cbranch_scc1 .LBB15_3149
; %bb.3146:
	s_cmp_lt_i32 s23, 3
	s_cbranch_scc1 .LBB15_3150
; %bb.3147:
	s_cmp_gt_i32 s23, 3
	s_cbranch_scc0 .LBB15_3151
; %bb.3148:
	global_load_b64 v[12:13], v[10:11], off
	s_mov_b32 s0, 0
	s_wait_loadcnt 0x0
	v_cmp_ne_u64_e64 s7, 0, v[12:13]
	s_branch .LBB15_3152
.LBB15_3149:
	s_mov_b32 s0, -1
                                        ; implicit-def: $sgpr7
	s_branch .LBB15_3158
.LBB15_3150:
	s_mov_b32 s0, -1
                                        ; implicit-def: $sgpr7
	s_branch .LBB15_3155
.LBB15_3151:
	s_mov_b32 s0, -1
                                        ; implicit-def: $sgpr7
.LBB15_3152:
	s_delay_alu instid0(SALU_CYCLE_1)
	s_and_not1_b32 vcc_lo, exec_lo, s0
	s_cbranch_vccnz .LBB15_3154
; %bb.3153:
	global_load_b32 v1, v[10:11], off
	s_and_not1_b32 s0, s7, exec_lo
	s_wait_loadcnt 0x0
	v_cmp_ne_u32_e32 vcc_lo, 0, v1
	s_and_b32 s7, vcc_lo, exec_lo
	s_delay_alu instid0(SALU_CYCLE_1)
	s_or_b32 s7, s0, s7
.LBB15_3154:
	s_mov_b32 s0, 0
.LBB15_3155:
	s_delay_alu instid0(SALU_CYCLE_1)
	s_and_not1_b32 vcc_lo, exec_lo, s0
	s_cbranch_vccnz .LBB15_3157
; %bb.3156:
	global_load_u16 v1, v[10:11], off
	s_and_not1_b32 s0, s7, exec_lo
	s_wait_loadcnt 0x0
	v_cmp_ne_u16_e32 vcc_lo, 0, v1
	s_and_b32 s7, vcc_lo, exec_lo
	s_delay_alu instid0(SALU_CYCLE_1)
	s_or_b32 s7, s0, s7
.LBB15_3157:
	s_mov_b32 s0, 0
.LBB15_3158:
	s_delay_alu instid0(SALU_CYCLE_1)
	s_and_not1_b32 vcc_lo, exec_lo, s0
	s_cbranch_vccnz .LBB15_3164
; %bb.3159:
	s_cmp_gt_i32 s23, 0
	s_mov_b32 s0, 0
	s_cbranch_scc0 .LBB15_3161
; %bb.3160:
	global_load_u8 v1, v[10:11], off
	s_wait_loadcnt 0x0
	v_cmp_ne_u16_e64 s7, 0, v1
	s_branch .LBB15_3162
.LBB15_3161:
	s_mov_b32 s0, -1
                                        ; implicit-def: $sgpr7
.LBB15_3162:
	s_delay_alu instid0(SALU_CYCLE_1)
	s_and_not1_b32 vcc_lo, exec_lo, s0
	s_cbranch_vccnz .LBB15_3164
; %bb.3163:
	global_load_u8 v1, v[10:11], off
	s_and_not1_b32 s0, s7, exec_lo
	s_wait_loadcnt 0x0
	v_cmp_ne_u16_e32 vcc_lo, 0, v1
	s_and_b32 s7, vcc_lo, exec_lo
	s_delay_alu instid0(SALU_CYCLE_1)
	s_or_b32 s7, s0, s7
.LBB15_3164:
	s_mov_b32 s8, -1
.LBB15_3165:
	s_delay_alu instid0(SALU_CYCLE_1)
	s_and_not1_b32 vcc_lo, exec_lo, s8
	s_cbranch_vccnz .LBB15_3712
; %bb.3166:
	v_mov_b32_e32 v9, 0
	s_cmp_lt_i32 s24, 11
	s_delay_alu instid0(VALU_DEP_1)
	v_add_nc_u64_e32 v[8:9], s[10:11], v[8:9]
	s_cbranch_scc1 .LBB15_3173
; %bb.3167:
	s_cmp_gt_i32 s24, 25
	s_mov_b32 s10, 0
	s_cbranch_scc0 .LBB15_3174
; %bb.3168:
	s_cmp_gt_i32 s24, 28
	s_cbranch_scc0 .LBB15_3175
; %bb.3169:
	s_cmp_gt_i32 s24, 43
	;; [unrolled: 3-line block ×3, first 2 shown]
	s_cbranch_scc0 .LBB15_3178
; %bb.3171:
	s_cmp_eq_u32 s24, 46
	s_mov_b32 s11, 0
	s_cbranch_scc0 .LBB15_3179
; %bb.3172:
	global_load_b32 v1, v[8:9], off
	s_mov_b32 s0, 0
	s_mov_b32 s8, -1
	s_wait_loadcnt 0x0
	v_and_b32_e32 v1, 0x7fff7fff, v1
	s_delay_alu instid0(VALU_DEP_1)
	v_cmp_ne_u32_e64 s9, 0, v1
	s_branch .LBB15_3181
.LBB15_3173:
	s_mov_b32 s0, -1
	s_mov_b32 s8, 0
                                        ; implicit-def: $sgpr9
	s_branch .LBB15_3229
.LBB15_3174:
	s_mov_b32 s11, -1
	s_mov_b32 s8, 0
	s_mov_b32 s0, 0
                                        ; implicit-def: $sgpr9
	s_branch .LBB15_3202
.LBB15_3175:
	s_mov_b32 s11, -1
	s_mov_b32 s8, 0
	s_mov_b32 s0, 0
                                        ; implicit-def: $sgpr9
	s_branch .LBB15_3189
.LBB15_3176:
	s_mov_b32 s11, -1
	s_mov_b32 s8, 0
	s_mov_b32 s0, 0
                                        ; implicit-def: $sgpr9
	s_branch .LBB15_3184
.LBB15_3177:
	s_mov_b32 s8, 0
	s_or_b32 s1, s1, exec_lo
	s_trap 2
	s_cbranch_execz .LBB15_3114
	s_branch .LBB15_3115
.LBB15_3178:
	s_mov_b32 s11, -1
	s_mov_b32 s8, 0
	s_mov_b32 s0, 0
	s_branch .LBB15_3180
.LBB15_3179:
	s_mov_b32 s0, -1
	s_mov_b32 s8, 0
.LBB15_3180:
                                        ; implicit-def: $sgpr9
.LBB15_3181:
	s_and_b32 vcc_lo, exec_lo, s11
	s_cbranch_vccz .LBB15_3183
; %bb.3182:
	s_cmp_lg_u32 s24, 44
	s_mov_b32 s8, -1
	s_cselect_b32 s0, -1, 0
	s_or_b32 s9, s9, exec_lo
.LBB15_3183:
	s_mov_b32 s11, 0
.LBB15_3184:
	s_delay_alu instid0(SALU_CYCLE_1)
	s_and_b32 vcc_lo, exec_lo, s11
	s_cbranch_vccz .LBB15_3188
; %bb.3185:
	s_cmp_eq_u32 s24, 29
	s_cbranch_scc0 .LBB15_3187
; %bb.3186:
	global_load_b64 v[10:11], v[8:9], off
	s_mov_b32 s0, 0
	s_mov_b32 s8, -1
	s_mov_b32 s11, 0
	s_wait_loadcnt 0x0
	v_cmp_ne_u64_e64 s9, 0, v[10:11]
	s_branch .LBB15_3189
.LBB15_3187:
	s_mov_b32 s0, -1
                                        ; implicit-def: $sgpr9
.LBB15_3188:
	s_mov_b32 s11, 0
.LBB15_3189:
	s_delay_alu instid0(SALU_CYCLE_1)
	s_and_b32 vcc_lo, exec_lo, s11
	s_cbranch_vccz .LBB15_3201
; %bb.3190:
	s_cmp_lt_i32 s24, 27
	s_cbranch_scc1 .LBB15_3193
; %bb.3191:
	s_cmp_gt_i32 s24, 27
	s_cbranch_scc0 .LBB15_3194
; %bb.3192:
	global_load_b32 v1, v[8:9], off
	s_mov_b32 s8, 0
	s_wait_loadcnt 0x0
	v_cmp_ne_u32_e64 s9, 0, v1
	s_branch .LBB15_3195
.LBB15_3193:
	s_mov_b32 s8, -1
                                        ; implicit-def: $sgpr9
	s_branch .LBB15_3198
.LBB15_3194:
	s_mov_b32 s8, -1
                                        ; implicit-def: $sgpr9
.LBB15_3195:
	s_delay_alu instid0(SALU_CYCLE_1)
	s_and_not1_b32 vcc_lo, exec_lo, s8
	s_cbranch_vccnz .LBB15_3197
; %bb.3196:
	global_load_u16 v1, v[8:9], off
	s_and_not1_b32 s8, s9, exec_lo
	s_wait_loadcnt 0x0
	v_cmp_ne_u16_e32 vcc_lo, 0, v1
	s_and_b32 s9, vcc_lo, exec_lo
	s_delay_alu instid0(SALU_CYCLE_1)
	s_or_b32 s9, s8, s9
.LBB15_3197:
	s_mov_b32 s8, 0
.LBB15_3198:
	s_delay_alu instid0(SALU_CYCLE_1)
	s_and_not1_b32 vcc_lo, exec_lo, s8
	s_cbranch_vccnz .LBB15_3200
; %bb.3199:
	global_load_u8 v1, v[8:9], off
	s_and_not1_b32 s8, s9, exec_lo
	s_wait_loadcnt 0x0
	v_cmp_ne_u16_e32 vcc_lo, 0, v1
	s_and_b32 s9, vcc_lo, exec_lo
	s_delay_alu instid0(SALU_CYCLE_1)
	s_or_b32 s9, s8, s9
.LBB15_3200:
	s_mov_b32 s8, -1
.LBB15_3201:
	s_mov_b32 s11, 0
.LBB15_3202:
	s_delay_alu instid0(SALU_CYCLE_1)
	s_and_b32 vcc_lo, exec_lo, s11
	s_cbranch_vccz .LBB15_3225
; %bb.3203:
	s_cmp_gt_i32 s24, 22
	s_cbranch_scc0 .LBB15_3207
; %bb.3204:
	s_cmp_lt_i32 s24, 24
	s_cbranch_scc1 .LBB15_3208
; %bb.3205:
	s_cmp_gt_i32 s24, 24
	s_cbranch_scc0 .LBB15_3209
; %bb.3206:
	global_load_u8 v1, v[8:9], off
	s_mov_b32 s8, 0
	s_wait_loadcnt 0x0
	v_cmp_ne_u16_e64 s9, 0, v1
	s_branch .LBB15_3210
.LBB15_3207:
	s_mov_b32 s10, -1
                                        ; implicit-def: $sgpr9
	s_branch .LBB15_3216
.LBB15_3208:
	s_mov_b32 s8, -1
                                        ; implicit-def: $sgpr9
	s_branch .LBB15_3213
.LBB15_3209:
	s_mov_b32 s8, -1
                                        ; implicit-def: $sgpr9
.LBB15_3210:
	s_delay_alu instid0(SALU_CYCLE_1)
	s_and_not1_b32 vcc_lo, exec_lo, s8
	s_cbranch_vccnz .LBB15_3212
; %bb.3211:
	global_load_u8 v1, v[8:9], off
	s_and_not1_b32 s8, s9, exec_lo
	s_wait_loadcnt 0x0
	v_and_b32_e32 v1, 0x7f, v1
	s_delay_alu instid0(VALU_DEP_1) | instskip(SKIP_1) | instid1(SALU_CYCLE_1)
	v_cmp_ne_u16_e32 vcc_lo, 0, v1
	s_and_b32 s9, vcc_lo, exec_lo
	s_or_b32 s9, s8, s9
.LBB15_3212:
	s_mov_b32 s8, 0
.LBB15_3213:
	s_delay_alu instid0(SALU_CYCLE_1)
	s_and_not1_b32 vcc_lo, exec_lo, s8
	s_cbranch_vccnz .LBB15_3215
; %bb.3214:
	global_load_u8 v1, v[8:9], off
	s_and_not1_b32 s8, s9, exec_lo
	s_wait_loadcnt 0x0
	v_dual_lshlrev_b32 v3, 25, v1 :: v_dual_lshlrev_b32 v1, 8, v1
	s_delay_alu instid0(VALU_DEP_1) | instskip(NEXT) | instid1(VALU_DEP_2)
	v_cmp_gt_u32_e32 vcc_lo, 0x8000000, v3
	v_and_or_b32 v1, 0x7f00, v1, 0.5
	s_delay_alu instid0(VALU_DEP_1) | instskip(NEXT) | instid1(VALU_DEP_1)
	v_dual_lshrrev_b32 v5, 4, v3 :: v_dual_add_f32 v1, -0.5, v1
	v_or_b32_e32 v5, 0x70000000, v5
	s_delay_alu instid0(VALU_DEP_1) | instskip(NEXT) | instid1(VALU_DEP_1)
	v_mul_f32_e32 v5, 0x7800000, v5
	v_cndmask_b32_e32 v1, v5, v1, vcc_lo
	s_delay_alu instid0(VALU_DEP_1) | instskip(SKIP_1) | instid1(SALU_CYCLE_1)
	v_cmp_neq_f32_e32 vcc_lo, 0, v1
	s_and_b32 s9, vcc_lo, exec_lo
	s_or_b32 s9, s8, s9
.LBB15_3215:
	s_mov_b32 s8, -1
.LBB15_3216:
	s_and_not1_b32 vcc_lo, exec_lo, s10
	s_mov_b32 s10, 0
	s_cbranch_vccnz .LBB15_3225
; %bb.3217:
	s_cmp_gt_i32 s24, 14
	s_cbranch_scc0 .LBB15_3220
; %bb.3218:
	s_cmp_eq_u32 s24, 15
	s_cbranch_scc0 .LBB15_3221
; %bb.3219:
	global_load_u16 v1, v[8:9], off
	s_mov_b32 s0, 0
	s_mov_b32 s8, -1
	s_wait_loadcnt 0x0
	v_and_b32_e32 v1, 0x7fff, v1
	s_delay_alu instid0(VALU_DEP_1)
	v_cmp_ne_u16_e64 s9, 0, v1
	s_branch .LBB15_3223
.LBB15_3220:
	s_mov_b32 s10, -1
	s_branch .LBB15_3222
.LBB15_3221:
	s_mov_b32 s0, -1
.LBB15_3222:
                                        ; implicit-def: $sgpr9
.LBB15_3223:
	s_and_b32 vcc_lo, exec_lo, s10
	s_mov_b32 s10, 0
	s_cbranch_vccz .LBB15_3225
; %bb.3224:
	s_cmp_lg_u32 s24, 11
	s_mov_b32 s10, -1
	s_cselect_b32 s0, -1, 0
.LBB15_3225:
	s_delay_alu instid0(SALU_CYCLE_1)
	s_and_b32 vcc_lo, exec_lo, s0
	s_cbranch_vccnz .LBB15_3758
; %bb.3226:
	s_and_not1_b32 vcc_lo, exec_lo, s10
	s_cbranch_vccnz .LBB15_3228
.LBB15_3227:
	global_load_u8 v1, v[8:9], off
	s_and_not1_b32 s0, s9, exec_lo
	s_mov_b32 s8, -1
	s_wait_loadcnt 0x0
	v_cmp_ne_u16_e32 vcc_lo, 0, v1
	s_and_b32 s9, vcc_lo, exec_lo
	s_delay_alu instid0(SALU_CYCLE_1)
	s_or_b32 s9, s0, s9
.LBB15_3228:
	s_mov_b32 s0, 0
.LBB15_3229:
	s_delay_alu instid0(SALU_CYCLE_1)
	s_and_b32 vcc_lo, exec_lo, s0
	s_cbranch_vccz .LBB15_3278
; %bb.3230:
	s_cmp_lt_i32 s24, 5
	s_cbranch_scc1 .LBB15_3235
; %bb.3231:
	s_cmp_lt_i32 s24, 8
	s_cbranch_scc1 .LBB15_3236
	;; [unrolled: 3-line block ×3, first 2 shown]
; %bb.3233:
	s_cmp_gt_i32 s24, 9
	s_cbranch_scc0 .LBB15_3238
; %bb.3234:
	global_load_b128 v[10:13], v[8:9], off
	s_wait_loadcnt 0x0
	v_cmp_neq_f64_e32 vcc_lo, 0, v[10:11]
	v_cmp_neq_f64_e64 s0, 0, v[12:13]
	s_or_b32 s9, vcc_lo, s0
	s_mov_b32 s0, 0
	s_branch .LBB15_3239
.LBB15_3235:
	s_mov_b32 s0, -1
                                        ; implicit-def: $sgpr9
	s_branch .LBB15_3257
.LBB15_3236:
	s_mov_b32 s0, -1
                                        ; implicit-def: $sgpr9
	s_branch .LBB15_3245
.LBB15_3237:
	s_mov_b32 s0, -1
                                        ; implicit-def: $sgpr9
	s_branch .LBB15_3242
.LBB15_3238:
	s_mov_b32 s0, -1
                                        ; implicit-def: $sgpr9
.LBB15_3239:
	s_delay_alu instid0(SALU_CYCLE_1)
	s_and_not1_b32 vcc_lo, exec_lo, s0
	s_cbranch_vccnz .LBB15_3241
; %bb.3240:
	global_load_b64 v[10:11], v[8:9], off
	s_and_not1_b32 s0, s9, exec_lo
	s_wait_loadcnt 0x0
	v_bitop3_b32 v1, v10, 0x7fffffff, v11 bitop3:0xc8
	s_delay_alu instid0(VALU_DEP_1) | instskip(SKIP_1) | instid1(SALU_CYCLE_1)
	v_cmp_ne_u32_e32 vcc_lo, 0, v1
	s_and_b32 s8, vcc_lo, exec_lo
	s_or_b32 s9, s0, s8
.LBB15_3241:
	s_mov_b32 s0, 0
.LBB15_3242:
	s_delay_alu instid0(SALU_CYCLE_1)
	s_and_not1_b32 vcc_lo, exec_lo, s0
	s_cbranch_vccnz .LBB15_3244
; %bb.3243:
	global_load_b32 v1, v[8:9], off
	s_and_not1_b32 s0, s9, exec_lo
	s_wait_loadcnt 0x0
	v_and_b32_e32 v1, 0x7fff7fff, v1
	s_delay_alu instid0(VALU_DEP_1) | instskip(SKIP_1) | instid1(SALU_CYCLE_1)
	v_cmp_ne_u32_e32 vcc_lo, 0, v1
	s_and_b32 s8, vcc_lo, exec_lo
	s_or_b32 s9, s0, s8
.LBB15_3244:
	s_mov_b32 s0, 0
.LBB15_3245:
	s_delay_alu instid0(SALU_CYCLE_1)
	s_and_not1_b32 vcc_lo, exec_lo, s0
	s_cbranch_vccnz .LBB15_3256
; %bb.3246:
	s_cmp_lt_i32 s24, 6
	s_cbranch_scc1 .LBB15_3249
; %bb.3247:
	s_cmp_gt_i32 s24, 6
	s_cbranch_scc0 .LBB15_3250
; %bb.3248:
	global_load_b64 v[10:11], v[8:9], off
	s_mov_b32 s0, 0
	s_wait_loadcnt 0x0
	v_cmp_neq_f64_e64 s9, 0, v[10:11]
	s_branch .LBB15_3251
.LBB15_3249:
	s_mov_b32 s0, -1
                                        ; implicit-def: $sgpr9
	s_branch .LBB15_3254
.LBB15_3250:
	s_mov_b32 s0, -1
                                        ; implicit-def: $sgpr9
.LBB15_3251:
	s_delay_alu instid0(SALU_CYCLE_1)
	s_and_not1_b32 vcc_lo, exec_lo, s0
	s_cbranch_vccnz .LBB15_3253
; %bb.3252:
	global_load_b32 v1, v[8:9], off
	s_and_not1_b32 s0, s9, exec_lo
	s_wait_loadcnt 0x0
	v_cmp_neq_f32_e32 vcc_lo, 0, v1
	s_and_b32 s8, vcc_lo, exec_lo
	s_delay_alu instid0(SALU_CYCLE_1)
	s_or_b32 s9, s0, s8
.LBB15_3253:
	s_mov_b32 s0, 0
.LBB15_3254:
	s_delay_alu instid0(SALU_CYCLE_1)
	s_and_not1_b32 vcc_lo, exec_lo, s0
	s_cbranch_vccnz .LBB15_3256
; %bb.3255:
	global_load_u16 v1, v[8:9], off
	s_and_not1_b32 s0, s9, exec_lo
	s_wait_loadcnt 0x0
	v_and_b32_e32 v1, 0x7fff, v1
	s_delay_alu instid0(VALU_DEP_1) | instskip(SKIP_1) | instid1(SALU_CYCLE_1)
	v_cmp_ne_u16_e32 vcc_lo, 0, v1
	s_and_b32 s8, vcc_lo, exec_lo
	s_or_b32 s9, s0, s8
.LBB15_3256:
	s_mov_b32 s0, 0
.LBB15_3257:
	s_delay_alu instid0(SALU_CYCLE_1)
	s_and_not1_b32 vcc_lo, exec_lo, s0
	s_cbranch_vccnz .LBB15_3277
; %bb.3258:
	s_cmp_lt_i32 s24, 2
	s_cbranch_scc1 .LBB15_3262
; %bb.3259:
	s_cmp_lt_i32 s24, 3
	s_cbranch_scc1 .LBB15_3263
; %bb.3260:
	s_cmp_gt_i32 s24, 3
	s_cbranch_scc0 .LBB15_3264
; %bb.3261:
	global_load_b64 v[10:11], v[8:9], off
	s_mov_b32 s0, 0
	s_wait_loadcnt 0x0
	v_cmp_ne_u64_e64 s9, 0, v[10:11]
	s_branch .LBB15_3265
.LBB15_3262:
	s_mov_b32 s0, -1
                                        ; implicit-def: $sgpr9
	s_branch .LBB15_3271
.LBB15_3263:
	s_mov_b32 s0, -1
                                        ; implicit-def: $sgpr9
	s_branch .LBB15_3268
.LBB15_3264:
	s_mov_b32 s0, -1
                                        ; implicit-def: $sgpr9
.LBB15_3265:
	s_delay_alu instid0(SALU_CYCLE_1)
	s_and_not1_b32 vcc_lo, exec_lo, s0
	s_cbranch_vccnz .LBB15_3267
; %bb.3266:
	global_load_b32 v1, v[8:9], off
	s_and_not1_b32 s0, s9, exec_lo
	s_wait_loadcnt 0x0
	v_cmp_ne_u32_e32 vcc_lo, 0, v1
	s_and_b32 s8, vcc_lo, exec_lo
	s_delay_alu instid0(SALU_CYCLE_1)
	s_or_b32 s9, s0, s8
.LBB15_3267:
	s_mov_b32 s0, 0
.LBB15_3268:
	s_delay_alu instid0(SALU_CYCLE_1)
	s_and_not1_b32 vcc_lo, exec_lo, s0
	s_cbranch_vccnz .LBB15_3270
; %bb.3269:
	global_load_u16 v1, v[8:9], off
	s_and_not1_b32 s0, s9, exec_lo
	s_wait_loadcnt 0x0
	v_cmp_ne_u16_e32 vcc_lo, 0, v1
	s_and_b32 s8, vcc_lo, exec_lo
	s_delay_alu instid0(SALU_CYCLE_1)
	s_or_b32 s9, s0, s8
.LBB15_3270:
	s_mov_b32 s0, 0
.LBB15_3271:
	s_delay_alu instid0(SALU_CYCLE_1)
	s_and_not1_b32 vcc_lo, exec_lo, s0
	s_cbranch_vccnz .LBB15_3277
; %bb.3272:
	s_cmp_gt_i32 s24, 0
	s_mov_b32 s0, 0
	s_cbranch_scc0 .LBB15_3274
; %bb.3273:
	global_load_u8 v1, v[8:9], off
	s_wait_loadcnt 0x0
	v_cmp_ne_u16_e64 s9, 0, v1
	s_branch .LBB15_3275
.LBB15_3274:
	s_mov_b32 s0, -1
                                        ; implicit-def: $sgpr9
.LBB15_3275:
	s_delay_alu instid0(SALU_CYCLE_1)
	s_and_not1_b32 vcc_lo, exec_lo, s0
	s_cbranch_vccnz .LBB15_3277
; %bb.3276:
	global_load_u8 v1, v[8:9], off
	s_and_not1_b32 s0, s9, exec_lo
	s_wait_loadcnt 0x0
	v_cmp_ne_u16_e32 vcc_lo, 0, v1
	s_and_b32 s8, vcc_lo, exec_lo
	s_delay_alu instid0(SALU_CYCLE_1)
	s_or_b32 s9, s0, s8
.LBB15_3277:
	s_mov_b32 s8, -1
.LBB15_3278:
	s_delay_alu instid0(SALU_CYCLE_1)
	s_and_not1_b32 vcc_lo, exec_lo, s8
	s_cbranch_vccnz .LBB15_3712
; %bb.3279:
	v_mov_b32_e32 v7, 0
	s_load_b32 s0, s[2:3], 0x1e8
	global_load_u8 v1, v7, s[2:3] offset:490
	s_wait_xcnt 0x0
	v_add_nc_u64_e32 v[6:7], s[4:5], v[6:7]
	s_wait_kmcnt 0x0
	s_bfe_u32 s3, s0, 0x80008
	s_bitcmp1_b32 s0, 0
	s_cselect_b32 s2, -1, 0
	s_bitcmp1_b32 s3, 0
	s_cselect_b32 s3, -1, 0
	s_and_b32 s0, s15, s17
	s_and_b32 s10, s14, s2
	;; [unrolled: 1-line block ×3, first 2 shown]
	s_delay_alu instid0(SALU_CYCLE_1) | instskip(SKIP_3) | instid1(VALU_DEP_2)
	s_or_b32 s10, s10, s0
	s_wait_loadcnt 0x0
	v_and_b32_e32 v3, 0xffff, v1
	v_readfirstlane_b32 s8, v1
	v_cmp_gt_i32_e32 vcc_lo, 11, v3
	s_cbranch_vccnz .LBB15_3357
; %bb.3280:
	s_and_b32 s11, 0xffff, s8
	s_mov_b32 s17, -1
	s_mov_b32 s14, 0
	s_cmp_gt_i32 s11, 25
	s_mov_b32 s15, 0
	s_mov_b32 s0, 0
	s_cbranch_scc0 .LBB15_3313
; %bb.3281:
	s_cmp_gt_i32 s11, 28
	s_cbranch_scc0 .LBB15_3296
; %bb.3282:
	s_cmp_gt_i32 s11, 43
	;; [unrolled: 3-line block ×3, first 2 shown]
	s_cbranch_scc0 .LBB15_3286
; %bb.3284:
	s_mov_b32 s0, -1
	s_mov_b32 s17, 0
	s_cmp_eq_u32 s11, 46
	s_cbranch_scc0 .LBB15_3286
; %bb.3285:
	v_cndmask_b32_e64 v1, 0, 1.0, s10
	s_mov_b32 s0, 0
	s_mov_b32 s15, -1
	s_delay_alu instid0(VALU_DEP_1) | instskip(NEXT) | instid1(VALU_DEP_1)
	v_bfe_u32 v3, v1, 16, 1
	v_add3_u32 v1, v1, v3, 0x7fff
	s_delay_alu instid0(VALU_DEP_1)
	v_lshrrev_b32_e32 v1, 16, v1
	global_store_b32 v[6:7], v1, off
.LBB15_3286:
	s_and_b32 vcc_lo, exec_lo, s17
	s_cbranch_vccz .LBB15_3291
; %bb.3287:
	s_cmp_eq_u32 s11, 44
	s_mov_b32 s0, -1
	s_cbranch_scc0 .LBB15_3291
; %bb.3288:
	v_cndmask_b32_e64 v5, 0, 1.0, s10
	v_mov_b32_e32 v3, 0xff
	s_mov_b32 s15, exec_lo
	s_wait_xcnt 0x0
	s_delay_alu instid0(VALU_DEP_2) | instskip(NEXT) | instid1(VALU_DEP_1)
	v_lshrrev_b32_e32 v1, 23, v5
	v_cmpx_ne_u32_e32 0xff, v1
; %bb.3289:
	v_and_b32_e32 v3, 0x400000, v5
	v_and_or_b32 v5, 0x3fffff, v5, v1
	s_delay_alu instid0(VALU_DEP_2) | instskip(NEXT) | instid1(VALU_DEP_2)
	v_cmp_ne_u32_e32 vcc_lo, 0, v3
	v_cmp_ne_u32_e64 s0, 0, v5
	s_and_b32 s0, vcc_lo, s0
	s_delay_alu instid0(SALU_CYCLE_1) | instskip(NEXT) | instid1(VALU_DEP_1)
	v_cndmask_b32_e64 v3, 0, 1, s0
	v_add_nc_u32_e32 v3, v1, v3
; %bb.3290:
	s_or_b32 exec_lo, exec_lo, s15
	s_mov_b32 s0, 0
	s_mov_b32 s15, -1
	global_store_b8 v[6:7], v3, off
.LBB15_3291:
	s_mov_b32 s17, 0
.LBB15_3292:
	s_delay_alu instid0(SALU_CYCLE_1)
	s_and_b32 vcc_lo, exec_lo, s17
	s_cbranch_vccz .LBB15_3295
; %bb.3293:
	s_cmp_eq_u32 s11, 29
	s_mov_b32 s0, -1
	s_cbranch_scc0 .LBB15_3295
; %bb.3294:
	s_mov_b32 s0, 0
	v_cndmask_b32_e64 v8, 0, 1, s10
	v_mov_b32_e32 v9, s0
	s_mov_b32 s15, -1
	global_store_b64 v[6:7], v[8:9], off
.LBB15_3295:
	s_mov_b32 s17, 0
.LBB15_3296:
	s_delay_alu instid0(SALU_CYCLE_1)
	s_and_b32 vcc_lo, exec_lo, s17
	s_cbranch_vccz .LBB15_3312
; %bb.3297:
	s_cmp_lt_i32 s11, 27
	s_mov_b32 s15, -1
	s_cbranch_scc1 .LBB15_3303
; %bb.3298:
	s_cmp_gt_i32 s11, 27
	s_cbranch_scc0 .LBB15_3300
; %bb.3299:
	s_wait_xcnt 0x0
	v_cndmask_b32_e64 v1, 0, 1, s10
	s_mov_b32 s15, 0
	global_store_b32 v[6:7], v1, off
.LBB15_3300:
	s_and_not1_b32 vcc_lo, exec_lo, s15
	s_cbranch_vccnz .LBB15_3302
; %bb.3301:
	s_wait_xcnt 0x0
	v_cndmask_b32_e64 v1, 0, 1, s10
	global_store_b16 v[6:7], v1, off
.LBB15_3302:
	s_mov_b32 s15, 0
.LBB15_3303:
	s_delay_alu instid0(SALU_CYCLE_1)
	s_and_not1_b32 vcc_lo, exec_lo, s15
	s_cbranch_vccnz .LBB15_3311
; %bb.3304:
	s_wait_xcnt 0x0
	v_cndmask_b32_e64 v3, 0, 1.0, s10
	v_mov_b32_e32 v5, 0x80
	s_mov_b32 s15, exec_lo
	s_delay_alu instid0(VALU_DEP_2)
	v_cmpx_gt_u32_e32 0x43800000, v3
	s_cbranch_execz .LBB15_3310
; %bb.3305:
	s_mov_b32 s17, 0
	s_mov_b32 s22, exec_lo
                                        ; implicit-def: $vgpr1
	v_cmpx_lt_u32_e32 0x3bffffff, v3
	s_xor_b32 s22, exec_lo, s22
	s_cbranch_execnz .LBB15_3760
; %bb.3306:
	s_and_not1_saveexec_b32 s22, s22
	s_cbranch_execnz .LBB15_3761
.LBB15_3307:
	s_or_b32 exec_lo, exec_lo, s22
	v_mov_b32_e32 v5, 0
	s_and_saveexec_b32 s22, s17
.LBB15_3308:
	v_mov_b32_e32 v5, v1
.LBB15_3309:
	s_or_b32 exec_lo, exec_lo, s22
.LBB15_3310:
	s_delay_alu instid0(SALU_CYCLE_1)
	s_or_b32 exec_lo, exec_lo, s15
	global_store_b8 v[6:7], v5, off
.LBB15_3311:
	s_mov_b32 s15, -1
.LBB15_3312:
	s_mov_b32 s17, 0
.LBB15_3313:
	s_delay_alu instid0(SALU_CYCLE_1)
	s_and_b32 vcc_lo, exec_lo, s17
	s_cbranch_vccz .LBB15_3353
; %bb.3314:
	s_cmp_gt_i32 s11, 22
	s_mov_b32 s14, -1
	s_cbranch_scc0 .LBB15_3346
; %bb.3315:
	s_cmp_lt_i32 s11, 24
	s_cbranch_scc1 .LBB15_3335
; %bb.3316:
	s_cmp_gt_i32 s11, 24
	s_cbranch_scc0 .LBB15_3324
; %bb.3317:
	s_wait_xcnt 0x0
	v_cndmask_b32_e64 v3, 0, 1.0, s10
	v_mov_b32_e32 v5, 0x80
	s_mov_b32 s14, exec_lo
	s_delay_alu instid0(VALU_DEP_2)
	v_cmpx_gt_u32_e32 0x47800000, v3
	s_cbranch_execz .LBB15_3323
; %bb.3318:
	s_mov_b32 s15, 0
	s_mov_b32 s17, exec_lo
                                        ; implicit-def: $vgpr1
	v_cmpx_lt_u32_e32 0x37ffffff, v3
	s_xor_b32 s17, exec_lo, s17
	s_cbranch_execnz .LBB15_3763
; %bb.3319:
	s_and_not1_saveexec_b32 s17, s17
	s_cbranch_execnz .LBB15_3764
.LBB15_3320:
	s_or_b32 exec_lo, exec_lo, s17
	v_mov_b32_e32 v5, 0
	s_and_saveexec_b32 s17, s15
.LBB15_3321:
	v_mov_b32_e32 v5, v1
.LBB15_3322:
	s_or_b32 exec_lo, exec_lo, s17
.LBB15_3323:
	s_delay_alu instid0(SALU_CYCLE_1)
	s_or_b32 exec_lo, exec_lo, s14
	s_mov_b32 s14, 0
	global_store_b8 v[6:7], v5, off
.LBB15_3324:
	s_and_b32 vcc_lo, exec_lo, s14
	s_cbranch_vccz .LBB15_3334
; %bb.3325:
	s_wait_xcnt 0x0
	v_cndmask_b32_e64 v3, 0, 1.0, s10
	s_mov_b32 s14, exec_lo
                                        ; implicit-def: $vgpr1
	s_delay_alu instid0(VALU_DEP_1)
	v_cmpx_gt_u32_e32 0x43f00000, v3
	s_xor_b32 s14, exec_lo, s14
	s_cbranch_execz .LBB15_3331
; %bb.3326:
	s_mov_b32 s15, exec_lo
                                        ; implicit-def: $vgpr1
	v_cmpx_lt_u32_e32 0x3c7fffff, v3
	s_xor_b32 s15, exec_lo, s15
; %bb.3327:
	v_bfe_u32 v1, v3, 20, 1
	s_delay_alu instid0(VALU_DEP_1) | instskip(NEXT) | instid1(VALU_DEP_1)
	v_add3_u32 v1, v3, v1, 0x407ffff
	v_and_b32_e32 v3, 0xff00000, v1
	v_lshrrev_b32_e32 v1, 20, v1
	s_delay_alu instid0(VALU_DEP_2) | instskip(NEXT) | instid1(VALU_DEP_2)
	v_cmp_ne_u32_e32 vcc_lo, 0x7f00000, v3
                                        ; implicit-def: $vgpr3
	v_cndmask_b32_e32 v1, 0x7e, v1, vcc_lo
; %bb.3328:
	s_and_not1_saveexec_b32 s15, s15
; %bb.3329:
	v_add_f32_e32 v1, 0x46800000, v3
; %bb.3330:
	s_or_b32 exec_lo, exec_lo, s15
                                        ; implicit-def: $vgpr3
.LBB15_3331:
	s_and_not1_saveexec_b32 s14, s14
; %bb.3332:
	v_mov_b32_e32 v1, 0x7f
	v_cmp_lt_u32_e32 vcc_lo, 0x7f800000, v3
	s_delay_alu instid0(VALU_DEP_2)
	v_cndmask_b32_e32 v1, 0x7e, v1, vcc_lo
; %bb.3333:
	s_or_b32 exec_lo, exec_lo, s14
	global_store_b8 v[6:7], v1, off
.LBB15_3334:
	s_mov_b32 s14, 0
.LBB15_3335:
	s_delay_alu instid0(SALU_CYCLE_1)
	s_and_not1_b32 vcc_lo, exec_lo, s14
	s_cbranch_vccnz .LBB15_3345
; %bb.3336:
	s_wait_xcnt 0x0
	v_cndmask_b32_e64 v3, 0, 1.0, s10
	s_mov_b32 s14, exec_lo
                                        ; implicit-def: $vgpr1
	s_delay_alu instid0(VALU_DEP_1)
	v_cmpx_gt_u32_e32 0x47800000, v3
	s_xor_b32 s14, exec_lo, s14
	s_cbranch_execz .LBB15_3342
; %bb.3337:
	s_mov_b32 s15, exec_lo
                                        ; implicit-def: $vgpr1
	v_cmpx_lt_u32_e32 0x387fffff, v3
	s_xor_b32 s15, exec_lo, s15
; %bb.3338:
	v_bfe_u32 v1, v3, 21, 1
	s_delay_alu instid0(VALU_DEP_1) | instskip(NEXT) | instid1(VALU_DEP_1)
	v_add3_u32 v1, v3, v1, 0x80fffff
                                        ; implicit-def: $vgpr3
	v_lshrrev_b32_e32 v1, 21, v1
; %bb.3339:
	s_and_not1_saveexec_b32 s15, s15
; %bb.3340:
	v_add_f32_e32 v1, 0x43000000, v3
; %bb.3341:
	s_or_b32 exec_lo, exec_lo, s15
                                        ; implicit-def: $vgpr3
.LBB15_3342:
	s_and_not1_saveexec_b32 s14, s14
; %bb.3343:
	v_mov_b32_e32 v1, 0x7f
	v_cmp_lt_u32_e32 vcc_lo, 0x7f800000, v3
	s_delay_alu instid0(VALU_DEP_2)
	v_cndmask_b32_e32 v1, 0x7c, v1, vcc_lo
; %bb.3344:
	s_or_b32 exec_lo, exec_lo, s14
	global_store_b8 v[6:7], v1, off
.LBB15_3345:
	s_mov_b32 s14, 0
	s_mov_b32 s15, -1
.LBB15_3346:
	s_and_not1_b32 vcc_lo, exec_lo, s14
	s_mov_b32 s14, 0
	s_cbranch_vccnz .LBB15_3353
; %bb.3347:
	s_cmp_gt_i32 s11, 14
	s_mov_b32 s14, -1
	s_cbranch_scc0 .LBB15_3351
; %bb.3348:
	s_cmp_eq_u32 s11, 15
	s_mov_b32 s0, -1
	s_cbranch_scc0 .LBB15_3350
; %bb.3349:
	s_wait_xcnt 0x0
	v_cndmask_b32_e64 v1, 0, 1.0, s10
	s_mov_b32 s0, 0
	s_mov_b32 s15, -1
	s_delay_alu instid0(VALU_DEP_1) | instskip(NEXT) | instid1(VALU_DEP_1)
	v_bfe_u32 v3, v1, 16, 1
	v_add3_u32 v1, v1, v3, 0x7fff
	global_store_d16_hi_b16 v[6:7], v1, off
.LBB15_3350:
	s_mov_b32 s14, 0
.LBB15_3351:
	s_delay_alu instid0(SALU_CYCLE_1)
	s_and_b32 vcc_lo, exec_lo, s14
	s_mov_b32 s14, 0
	s_cbranch_vccz .LBB15_3353
; %bb.3352:
	s_cmp_lg_u32 s11, 11
	s_mov_b32 s14, -1
	s_cselect_b32 s0, -1, 0
.LBB15_3353:
	s_delay_alu instid0(SALU_CYCLE_1)
	s_and_b32 vcc_lo, exec_lo, s0
	s_cbranch_vccnz .LBB15_3759
; %bb.3354:
	s_and_not1_b32 vcc_lo, exec_lo, s14
	s_cbranch_vccnz .LBB15_3356
.LBB15_3355:
	s_wait_xcnt 0x0
	v_cndmask_b32_e64 v1, 0, 1, s10
	s_mov_b32 s15, -1
	global_store_b8 v[6:7], v1, off
.LBB15_3356:
	s_mov_b32 s0, 0
	s_branch .LBB15_3358
.LBB15_3357:
	s_mov_b32 s0, -1
	s_mov_b32 s15, 0
.LBB15_3358:
	s_and_b32 vcc_lo, exec_lo, s0
	s_cbranch_vccz .LBB15_3397
; %bb.3359:
	s_and_b32 s0, 0xffff, s8
	s_mov_b32 s11, -1
	s_cmp_lt_i32 s0, 5
	s_cbranch_scc1 .LBB15_3380
; %bb.3360:
	s_cmp_lt_i32 s0, 8
	s_cbranch_scc1 .LBB15_3370
; %bb.3361:
	;; [unrolled: 3-line block ×3, first 2 shown]
	s_cmp_gt_i32 s0, 9
	s_cbranch_scc0 .LBB15_3364
; %bb.3363:
	s_wait_xcnt 0x0
	v_cndmask_b32_e64 v1, 0, 1, s10
	v_mov_b32_e32 v10, 0
	s_mov_b32 s11, 0
	s_delay_alu instid0(VALU_DEP_2) | instskip(NEXT) | instid1(VALU_DEP_2)
	v_cvt_f64_u32_e32 v[8:9], v1
	v_mov_b32_e32 v11, v10
	global_store_b128 v[6:7], v[8:11], off
.LBB15_3364:
	s_and_not1_b32 vcc_lo, exec_lo, s11
	s_cbranch_vccnz .LBB15_3366
; %bb.3365:
	s_wait_xcnt 0x0
	v_cndmask_b32_e64 v8, 0, 1.0, s10
	v_mov_b32_e32 v9, 0
	global_store_b64 v[6:7], v[8:9], off
.LBB15_3366:
	s_mov_b32 s11, 0
.LBB15_3367:
	s_delay_alu instid0(SALU_CYCLE_1)
	s_and_not1_b32 vcc_lo, exec_lo, s11
	s_cbranch_vccnz .LBB15_3369
; %bb.3368:
	s_wait_xcnt 0x0
	v_cndmask_b32_e64 v1, 0, 1.0, s10
	s_delay_alu instid0(VALU_DEP_1) | instskip(NEXT) | instid1(VALU_DEP_1)
	v_cvt_f16_f32_e32 v1, v1
	v_and_b32_e32 v1, 0xffff, v1
	global_store_b32 v[6:7], v1, off
.LBB15_3369:
	s_mov_b32 s11, 0
.LBB15_3370:
	s_delay_alu instid0(SALU_CYCLE_1)
	s_and_not1_b32 vcc_lo, exec_lo, s11
	s_cbranch_vccnz .LBB15_3379
; %bb.3371:
	s_cmp_lt_i32 s0, 6
	s_mov_b32 s11, -1
	s_cbranch_scc1 .LBB15_3377
; %bb.3372:
	s_cmp_gt_i32 s0, 6
	s_cbranch_scc0 .LBB15_3374
; %bb.3373:
	s_wait_xcnt 0x0
	v_cndmask_b32_e64 v1, 0, 1, s10
	s_mov_b32 s11, 0
	s_delay_alu instid0(VALU_DEP_1)
	v_cvt_f64_u32_e32 v[8:9], v1
	global_store_b64 v[6:7], v[8:9], off
.LBB15_3374:
	s_and_not1_b32 vcc_lo, exec_lo, s11
	s_cbranch_vccnz .LBB15_3376
; %bb.3375:
	s_wait_xcnt 0x0
	v_cndmask_b32_e64 v1, 0, 1.0, s10
	global_store_b32 v[6:7], v1, off
.LBB15_3376:
	s_mov_b32 s11, 0
.LBB15_3377:
	s_delay_alu instid0(SALU_CYCLE_1)
	s_and_not1_b32 vcc_lo, exec_lo, s11
	s_cbranch_vccnz .LBB15_3379
; %bb.3378:
	s_wait_xcnt 0x0
	v_cndmask_b32_e64 v1, 0, 1.0, s10
	s_delay_alu instid0(VALU_DEP_1)
	v_cvt_f16_f32_e32 v1, v1
	global_store_b16 v[6:7], v1, off
.LBB15_3379:
	s_mov_b32 s11, 0
.LBB15_3380:
	s_delay_alu instid0(SALU_CYCLE_1)
	s_and_not1_b32 vcc_lo, exec_lo, s11
	s_cbranch_vccnz .LBB15_3396
; %bb.3381:
	s_cmp_lt_i32 s0, 2
	s_mov_b32 s11, -1
	s_cbranch_scc1 .LBB15_3391
; %bb.3382:
	s_cmp_lt_i32 s0, 3
	s_cbranch_scc1 .LBB15_3388
; %bb.3383:
	s_cmp_gt_i32 s0, 3
	s_cbranch_scc0 .LBB15_3385
; %bb.3384:
	s_mov_b32 s11, 0
	s_wait_xcnt 0x0
	v_cndmask_b32_e64 v8, 0, 1, s10
	v_mov_b32_e32 v9, s11
	global_store_b64 v[6:7], v[8:9], off
.LBB15_3385:
	s_and_not1_b32 vcc_lo, exec_lo, s11
	s_cbranch_vccnz .LBB15_3387
; %bb.3386:
	s_wait_xcnt 0x0
	v_cndmask_b32_e64 v1, 0, 1, s10
	global_store_b32 v[6:7], v1, off
.LBB15_3387:
	s_mov_b32 s11, 0
.LBB15_3388:
	s_delay_alu instid0(SALU_CYCLE_1)
	s_and_not1_b32 vcc_lo, exec_lo, s11
	s_cbranch_vccnz .LBB15_3390
; %bb.3389:
	s_wait_xcnt 0x0
	v_cndmask_b32_e64 v1, 0, 1, s10
	global_store_b16 v[6:7], v1, off
.LBB15_3390:
	s_mov_b32 s11, 0
.LBB15_3391:
	s_delay_alu instid0(SALU_CYCLE_1)
	s_and_not1_b32 vcc_lo, exec_lo, s11
	s_cbranch_vccnz .LBB15_3396
; %bb.3392:
	s_wait_xcnt 0x0
	v_cndmask_b32_e64 v1, 0, 1, s10
	s_cmp_gt_i32 s0, 0
	s_mov_b32 s0, -1
	s_cbranch_scc0 .LBB15_3394
; %bb.3393:
	s_mov_b32 s0, 0
	global_store_b8 v[6:7], v1, off
.LBB15_3394:
	s_and_not1_b32 vcc_lo, exec_lo, s0
	s_cbranch_vccnz .LBB15_3396
; %bb.3395:
	global_store_b8 v[6:7], v1, off
.LBB15_3396:
	s_mov_b32 s15, -1
.LBB15_3397:
	s_delay_alu instid0(SALU_CYCLE_1)
	s_and_not1_b32 vcc_lo, exec_lo, s15
	s_cbranch_vccnz .LBB15_3712
; %bb.3398:
	s_wait_xcnt 0x0
	v_mov_b32_e32 v5, 0
	s_and_b32 s10, s18, s20
	s_and_b32 s0, s16, s2
	;; [unrolled: 1-line block ×4, first 2 shown]
	v_add_nc_u64_e32 v[4:5], s[4:5], v[4:5]
	s_or_b32 s11, s0, s11
	s_cmp_lt_i32 s10, 11
	s_cbranch_scc1 .LBB15_3476
; %bb.3399:
	s_mov_b32 s16, -1
	s_mov_b32 s14, 0
	s_cmp_gt_i32 s10, 25
	s_mov_b32 s15, 0
	s_mov_b32 s0, 0
	s_cbranch_scc0 .LBB15_3432
; %bb.3400:
	s_cmp_gt_i32 s10, 28
	s_cbranch_scc0 .LBB15_3415
; %bb.3401:
	s_cmp_gt_i32 s10, 43
	;; [unrolled: 3-line block ×3, first 2 shown]
	s_cbranch_scc0 .LBB15_3405
; %bb.3403:
	s_mov_b32 s0, -1
	s_mov_b32 s16, 0
	s_cmp_eq_u32 s10, 46
	s_cbranch_scc0 .LBB15_3405
; %bb.3404:
	v_cndmask_b32_e64 v1, 0, 1.0, s11
	s_mov_b32 s0, 0
	s_mov_b32 s15, -1
	s_delay_alu instid0(VALU_DEP_1) | instskip(NEXT) | instid1(VALU_DEP_1)
	v_bfe_u32 v3, v1, 16, 1
	v_add3_u32 v1, v1, v3, 0x7fff
	s_delay_alu instid0(VALU_DEP_1)
	v_lshrrev_b32_e32 v1, 16, v1
	global_store_b32 v[4:5], v1, off
.LBB15_3405:
	s_and_b32 vcc_lo, exec_lo, s16
	s_cbranch_vccz .LBB15_3410
; %bb.3406:
	s_cmp_eq_u32 s10, 44
	s_mov_b32 s0, -1
	s_cbranch_scc0 .LBB15_3410
; %bb.3407:
	v_cndmask_b32_e64 v6, 0, 1.0, s11
	v_mov_b32_e32 v3, 0xff
	s_mov_b32 s15, exec_lo
	s_wait_xcnt 0x0
	s_delay_alu instid0(VALU_DEP_2) | instskip(NEXT) | instid1(VALU_DEP_1)
	v_lshrrev_b32_e32 v1, 23, v6
	v_cmpx_ne_u32_e32 0xff, v1
; %bb.3408:
	v_and_b32_e32 v3, 0x400000, v6
	v_and_or_b32 v6, 0x3fffff, v6, v1
	s_delay_alu instid0(VALU_DEP_2) | instskip(NEXT) | instid1(VALU_DEP_2)
	v_cmp_ne_u32_e32 vcc_lo, 0, v3
	v_cmp_ne_u32_e64 s0, 0, v6
	s_and_b32 s0, vcc_lo, s0
	s_delay_alu instid0(SALU_CYCLE_1) | instskip(NEXT) | instid1(VALU_DEP_1)
	v_cndmask_b32_e64 v3, 0, 1, s0
	v_add_nc_u32_e32 v3, v1, v3
; %bb.3409:
	s_or_b32 exec_lo, exec_lo, s15
	s_mov_b32 s0, 0
	s_mov_b32 s15, -1
	global_store_b8 v[4:5], v3, off
.LBB15_3410:
	s_mov_b32 s16, 0
.LBB15_3411:
	s_delay_alu instid0(SALU_CYCLE_1)
	s_and_b32 vcc_lo, exec_lo, s16
	s_cbranch_vccz .LBB15_3414
; %bb.3412:
	s_cmp_eq_u32 s10, 29
	s_mov_b32 s0, -1
	s_cbranch_scc0 .LBB15_3414
; %bb.3413:
	s_mov_b32 s0, 0
	v_cndmask_b32_e64 v6, 0, 1, s11
	v_mov_b32_e32 v7, s0
	s_mov_b32 s15, -1
	global_store_b64 v[4:5], v[6:7], off
.LBB15_3414:
	s_mov_b32 s16, 0
.LBB15_3415:
	s_delay_alu instid0(SALU_CYCLE_1)
	s_and_b32 vcc_lo, exec_lo, s16
	s_cbranch_vccz .LBB15_3431
; %bb.3416:
	s_cmp_lt_i32 s10, 27
	s_mov_b32 s15, -1
	s_cbranch_scc1 .LBB15_3422
; %bb.3417:
	s_cmp_gt_i32 s10, 27
	s_cbranch_scc0 .LBB15_3419
; %bb.3418:
	s_wait_xcnt 0x0
	v_cndmask_b32_e64 v1, 0, 1, s11
	s_mov_b32 s15, 0
	global_store_b32 v[4:5], v1, off
.LBB15_3419:
	s_and_not1_b32 vcc_lo, exec_lo, s15
	s_cbranch_vccnz .LBB15_3421
; %bb.3420:
	s_wait_xcnt 0x0
	v_cndmask_b32_e64 v1, 0, 1, s11
	global_store_b16 v[4:5], v1, off
.LBB15_3421:
	s_mov_b32 s15, 0
.LBB15_3422:
	s_delay_alu instid0(SALU_CYCLE_1)
	s_and_not1_b32 vcc_lo, exec_lo, s15
	s_cbranch_vccnz .LBB15_3430
; %bb.3423:
	s_wait_xcnt 0x0
	v_cndmask_b32_e64 v3, 0, 1.0, s11
	v_mov_b32_e32 v6, 0x80
	s_mov_b32 s15, exec_lo
	s_delay_alu instid0(VALU_DEP_2)
	v_cmpx_gt_u32_e32 0x43800000, v3
	s_cbranch_execz .LBB15_3429
; %bb.3424:
	s_mov_b32 s16, 0
	s_mov_b32 s17, exec_lo
                                        ; implicit-def: $vgpr1
	v_cmpx_lt_u32_e32 0x3bffffff, v3
	s_xor_b32 s17, exec_lo, s17
	s_cbranch_execnz .LBB15_3765
; %bb.3425:
	s_and_not1_saveexec_b32 s17, s17
	s_cbranch_execnz .LBB15_3766
.LBB15_3426:
	s_or_b32 exec_lo, exec_lo, s17
	v_mov_b32_e32 v6, 0
	s_and_saveexec_b32 s17, s16
.LBB15_3427:
	v_mov_b32_e32 v6, v1
.LBB15_3428:
	s_or_b32 exec_lo, exec_lo, s17
.LBB15_3429:
	s_delay_alu instid0(SALU_CYCLE_1)
	s_or_b32 exec_lo, exec_lo, s15
	global_store_b8 v[4:5], v6, off
.LBB15_3430:
	s_mov_b32 s15, -1
.LBB15_3431:
	s_mov_b32 s16, 0
.LBB15_3432:
	s_delay_alu instid0(SALU_CYCLE_1)
	s_and_b32 vcc_lo, exec_lo, s16
	s_cbranch_vccz .LBB15_3472
; %bb.3433:
	s_cmp_gt_i32 s10, 22
	s_mov_b32 s14, -1
	s_cbranch_scc0 .LBB15_3465
; %bb.3434:
	s_cmp_lt_i32 s10, 24
	s_cbranch_scc1 .LBB15_3454
; %bb.3435:
	s_cmp_gt_i32 s10, 24
	s_cbranch_scc0 .LBB15_3443
; %bb.3436:
	s_wait_xcnt 0x0
	v_cndmask_b32_e64 v3, 0, 1.0, s11
	v_mov_b32_e32 v6, 0x80
	s_mov_b32 s14, exec_lo
	s_delay_alu instid0(VALU_DEP_2)
	v_cmpx_gt_u32_e32 0x47800000, v3
	s_cbranch_execz .LBB15_3442
; %bb.3437:
	s_mov_b32 s15, 0
	s_mov_b32 s16, exec_lo
                                        ; implicit-def: $vgpr1
	v_cmpx_lt_u32_e32 0x37ffffff, v3
	s_xor_b32 s16, exec_lo, s16
	s_cbranch_execnz .LBB15_3768
; %bb.3438:
	s_and_not1_saveexec_b32 s16, s16
	s_cbranch_execnz .LBB15_3769
.LBB15_3439:
	s_or_b32 exec_lo, exec_lo, s16
	v_mov_b32_e32 v6, 0
	s_and_saveexec_b32 s16, s15
.LBB15_3440:
	v_mov_b32_e32 v6, v1
.LBB15_3441:
	s_or_b32 exec_lo, exec_lo, s16
.LBB15_3442:
	s_delay_alu instid0(SALU_CYCLE_1)
	s_or_b32 exec_lo, exec_lo, s14
	s_mov_b32 s14, 0
	global_store_b8 v[4:5], v6, off
.LBB15_3443:
	s_and_b32 vcc_lo, exec_lo, s14
	s_cbranch_vccz .LBB15_3453
; %bb.3444:
	s_wait_xcnt 0x0
	v_cndmask_b32_e64 v3, 0, 1.0, s11
	s_mov_b32 s14, exec_lo
                                        ; implicit-def: $vgpr1
	s_delay_alu instid0(VALU_DEP_1)
	v_cmpx_gt_u32_e32 0x43f00000, v3
	s_xor_b32 s14, exec_lo, s14
	s_cbranch_execz .LBB15_3450
; %bb.3445:
	s_mov_b32 s15, exec_lo
                                        ; implicit-def: $vgpr1
	v_cmpx_lt_u32_e32 0x3c7fffff, v3
	s_xor_b32 s15, exec_lo, s15
; %bb.3446:
	v_bfe_u32 v1, v3, 20, 1
	s_delay_alu instid0(VALU_DEP_1) | instskip(NEXT) | instid1(VALU_DEP_1)
	v_add3_u32 v1, v3, v1, 0x407ffff
	v_and_b32_e32 v3, 0xff00000, v1
	v_lshrrev_b32_e32 v1, 20, v1
	s_delay_alu instid0(VALU_DEP_2) | instskip(NEXT) | instid1(VALU_DEP_2)
	v_cmp_ne_u32_e32 vcc_lo, 0x7f00000, v3
                                        ; implicit-def: $vgpr3
	v_cndmask_b32_e32 v1, 0x7e, v1, vcc_lo
; %bb.3447:
	s_and_not1_saveexec_b32 s15, s15
; %bb.3448:
	v_add_f32_e32 v1, 0x46800000, v3
; %bb.3449:
	s_or_b32 exec_lo, exec_lo, s15
                                        ; implicit-def: $vgpr3
.LBB15_3450:
	s_and_not1_saveexec_b32 s14, s14
; %bb.3451:
	v_mov_b32_e32 v1, 0x7f
	v_cmp_lt_u32_e32 vcc_lo, 0x7f800000, v3
	s_delay_alu instid0(VALU_DEP_2)
	v_cndmask_b32_e32 v1, 0x7e, v1, vcc_lo
; %bb.3452:
	s_or_b32 exec_lo, exec_lo, s14
	global_store_b8 v[4:5], v1, off
.LBB15_3453:
	s_mov_b32 s14, 0
.LBB15_3454:
	s_delay_alu instid0(SALU_CYCLE_1)
	s_and_not1_b32 vcc_lo, exec_lo, s14
	s_cbranch_vccnz .LBB15_3464
; %bb.3455:
	s_wait_xcnt 0x0
	v_cndmask_b32_e64 v3, 0, 1.0, s11
	s_mov_b32 s14, exec_lo
                                        ; implicit-def: $vgpr1
	s_delay_alu instid0(VALU_DEP_1)
	v_cmpx_gt_u32_e32 0x47800000, v3
	s_xor_b32 s14, exec_lo, s14
	s_cbranch_execz .LBB15_3461
; %bb.3456:
	s_mov_b32 s15, exec_lo
                                        ; implicit-def: $vgpr1
	v_cmpx_lt_u32_e32 0x387fffff, v3
	s_xor_b32 s15, exec_lo, s15
; %bb.3457:
	v_bfe_u32 v1, v3, 21, 1
	s_delay_alu instid0(VALU_DEP_1) | instskip(NEXT) | instid1(VALU_DEP_1)
	v_add3_u32 v1, v3, v1, 0x80fffff
                                        ; implicit-def: $vgpr3
	v_lshrrev_b32_e32 v1, 21, v1
; %bb.3458:
	s_and_not1_saveexec_b32 s15, s15
; %bb.3459:
	v_add_f32_e32 v1, 0x43000000, v3
; %bb.3460:
	s_or_b32 exec_lo, exec_lo, s15
                                        ; implicit-def: $vgpr3
.LBB15_3461:
	s_and_not1_saveexec_b32 s14, s14
; %bb.3462:
	v_mov_b32_e32 v1, 0x7f
	v_cmp_lt_u32_e32 vcc_lo, 0x7f800000, v3
	s_delay_alu instid0(VALU_DEP_2)
	v_cndmask_b32_e32 v1, 0x7c, v1, vcc_lo
; %bb.3463:
	s_or_b32 exec_lo, exec_lo, s14
	global_store_b8 v[4:5], v1, off
.LBB15_3464:
	s_mov_b32 s14, 0
	s_mov_b32 s15, -1
.LBB15_3465:
	s_and_not1_b32 vcc_lo, exec_lo, s14
	s_mov_b32 s14, 0
	s_cbranch_vccnz .LBB15_3472
; %bb.3466:
	s_cmp_gt_i32 s10, 14
	s_mov_b32 s14, -1
	s_cbranch_scc0 .LBB15_3470
; %bb.3467:
	s_cmp_eq_u32 s10, 15
	s_mov_b32 s0, -1
	s_cbranch_scc0 .LBB15_3469
; %bb.3468:
	s_wait_xcnt 0x0
	v_cndmask_b32_e64 v1, 0, 1.0, s11
	s_mov_b32 s0, 0
	s_mov_b32 s15, -1
	s_delay_alu instid0(VALU_DEP_1) | instskip(NEXT) | instid1(VALU_DEP_1)
	v_bfe_u32 v3, v1, 16, 1
	v_add3_u32 v1, v1, v3, 0x7fff
	global_store_d16_hi_b16 v[4:5], v1, off
.LBB15_3469:
	s_mov_b32 s14, 0
.LBB15_3470:
	s_delay_alu instid0(SALU_CYCLE_1)
	s_and_b32 vcc_lo, exec_lo, s14
	s_mov_b32 s14, 0
	s_cbranch_vccz .LBB15_3472
; %bb.3471:
	s_cmp_lg_u32 s10, 11
	s_mov_b32 s14, -1
	s_cselect_b32 s0, -1, 0
.LBB15_3472:
	s_delay_alu instid0(SALU_CYCLE_1)
	s_and_b32 vcc_lo, exec_lo, s0
	s_cbranch_vccnz .LBB15_3762
; %bb.3473:
	s_and_not1_b32 vcc_lo, exec_lo, s14
	s_cbranch_vccnz .LBB15_3475
.LBB15_3474:
	s_wait_xcnt 0x0
	v_cndmask_b32_e64 v1, 0, 1, s11
	s_mov_b32 s15, -1
	global_store_b8 v[4:5], v1, off
.LBB15_3475:
	s_mov_b32 s0, 0
	s_branch .LBB15_3477
.LBB15_3476:
	s_mov_b32 s0, -1
	s_mov_b32 s15, 0
.LBB15_3477:
	s_and_b32 vcc_lo, exec_lo, s0
	s_cbranch_vccz .LBB15_3516
; %bb.3478:
	s_cmp_lt_i32 s10, 5
	s_mov_b32 s0, -1
	s_cbranch_scc1 .LBB15_3499
; %bb.3479:
	s_cmp_lt_i32 s10, 8
	s_cbranch_scc1 .LBB15_3489
; %bb.3480:
	s_cmp_lt_i32 s10, 9
	s_cbranch_scc1 .LBB15_3486
; %bb.3481:
	s_cmp_gt_i32 s10, 9
	s_cbranch_scc0 .LBB15_3483
; %bb.3482:
	s_wait_xcnt 0x0
	v_cndmask_b32_e64 v1, 0, 1, s11
	v_mov_b32_e32 v8, 0
	s_mov_b32 s0, 0
	s_delay_alu instid0(VALU_DEP_2) | instskip(NEXT) | instid1(VALU_DEP_2)
	v_cvt_f64_u32_e32 v[6:7], v1
	v_mov_b32_e32 v9, v8
	global_store_b128 v[4:5], v[6:9], off
.LBB15_3483:
	s_and_not1_b32 vcc_lo, exec_lo, s0
	s_cbranch_vccnz .LBB15_3485
; %bb.3484:
	s_wait_xcnt 0x0
	v_cndmask_b32_e64 v6, 0, 1.0, s11
	v_mov_b32_e32 v7, 0
	global_store_b64 v[4:5], v[6:7], off
.LBB15_3485:
	s_mov_b32 s0, 0
.LBB15_3486:
	s_delay_alu instid0(SALU_CYCLE_1)
	s_and_not1_b32 vcc_lo, exec_lo, s0
	s_cbranch_vccnz .LBB15_3488
; %bb.3487:
	s_wait_xcnt 0x0
	v_cndmask_b32_e64 v1, 0, 1.0, s11
	s_delay_alu instid0(VALU_DEP_1) | instskip(NEXT) | instid1(VALU_DEP_1)
	v_cvt_f16_f32_e32 v1, v1
	v_and_b32_e32 v1, 0xffff, v1
	global_store_b32 v[4:5], v1, off
.LBB15_3488:
	s_mov_b32 s0, 0
.LBB15_3489:
	s_delay_alu instid0(SALU_CYCLE_1)
	s_and_not1_b32 vcc_lo, exec_lo, s0
	s_cbranch_vccnz .LBB15_3498
; %bb.3490:
	s_cmp_lt_i32 s10, 6
	s_mov_b32 s0, -1
	s_cbranch_scc1 .LBB15_3496
; %bb.3491:
	s_cmp_gt_i32 s10, 6
	s_cbranch_scc0 .LBB15_3493
; %bb.3492:
	s_wait_xcnt 0x0
	v_cndmask_b32_e64 v1, 0, 1, s11
	s_mov_b32 s0, 0
	s_delay_alu instid0(VALU_DEP_1)
	v_cvt_f64_u32_e32 v[6:7], v1
	global_store_b64 v[4:5], v[6:7], off
.LBB15_3493:
	s_and_not1_b32 vcc_lo, exec_lo, s0
	s_cbranch_vccnz .LBB15_3495
; %bb.3494:
	s_wait_xcnt 0x0
	v_cndmask_b32_e64 v1, 0, 1.0, s11
	global_store_b32 v[4:5], v1, off
.LBB15_3495:
	s_mov_b32 s0, 0
.LBB15_3496:
	s_delay_alu instid0(SALU_CYCLE_1)
	s_and_not1_b32 vcc_lo, exec_lo, s0
	s_cbranch_vccnz .LBB15_3498
; %bb.3497:
	s_wait_xcnt 0x0
	v_cndmask_b32_e64 v1, 0, 1.0, s11
	s_delay_alu instid0(VALU_DEP_1)
	v_cvt_f16_f32_e32 v1, v1
	global_store_b16 v[4:5], v1, off
.LBB15_3498:
	s_mov_b32 s0, 0
.LBB15_3499:
	s_delay_alu instid0(SALU_CYCLE_1)
	s_and_not1_b32 vcc_lo, exec_lo, s0
	s_cbranch_vccnz .LBB15_3515
; %bb.3500:
	s_cmp_lt_i32 s10, 2
	s_mov_b32 s0, -1
	s_cbranch_scc1 .LBB15_3510
; %bb.3501:
	s_cmp_lt_i32 s10, 3
	s_cbranch_scc1 .LBB15_3507
; %bb.3502:
	s_cmp_gt_i32 s10, 3
	s_cbranch_scc0 .LBB15_3504
; %bb.3503:
	s_mov_b32 s0, 0
	s_wait_xcnt 0x0
	v_cndmask_b32_e64 v6, 0, 1, s11
	v_mov_b32_e32 v7, s0
	global_store_b64 v[4:5], v[6:7], off
.LBB15_3504:
	s_and_not1_b32 vcc_lo, exec_lo, s0
	s_cbranch_vccnz .LBB15_3506
; %bb.3505:
	s_wait_xcnt 0x0
	v_cndmask_b32_e64 v1, 0, 1, s11
	global_store_b32 v[4:5], v1, off
.LBB15_3506:
	s_mov_b32 s0, 0
.LBB15_3507:
	s_delay_alu instid0(SALU_CYCLE_1)
	s_and_not1_b32 vcc_lo, exec_lo, s0
	s_cbranch_vccnz .LBB15_3509
; %bb.3508:
	s_wait_xcnt 0x0
	v_cndmask_b32_e64 v1, 0, 1, s11
	global_store_b16 v[4:5], v1, off
.LBB15_3509:
	s_mov_b32 s0, 0
.LBB15_3510:
	s_delay_alu instid0(SALU_CYCLE_1)
	s_and_not1_b32 vcc_lo, exec_lo, s0
	s_cbranch_vccnz .LBB15_3515
; %bb.3511:
	s_wait_xcnt 0x0
	v_cndmask_b32_e64 v1, 0, 1, s11
	s_cmp_gt_i32 s10, 0
	s_mov_b32 s0, -1
	s_cbranch_scc0 .LBB15_3513
; %bb.3512:
	s_mov_b32 s0, 0
	global_store_b8 v[4:5], v1, off
.LBB15_3513:
	s_and_not1_b32 vcc_lo, exec_lo, s0
	s_cbranch_vccnz .LBB15_3515
; %bb.3514:
	global_store_b8 v[4:5], v1, off
.LBB15_3515:
	s_mov_b32 s15, -1
.LBB15_3516:
	s_delay_alu instid0(SALU_CYCLE_1)
	s_and_not1_b32 vcc_lo, exec_lo, s15
	s_cbranch_vccnz .LBB15_3712
; %bb.3517:
	s_wait_xcnt 0x0
	v_mov_b32_e32 v3, 0
	s_and_b32 s11, s21, s25
	s_and_b32 s0, s19, s2
	;; [unrolled: 1-line block ×3, first 2 shown]
	s_delay_alu instid0(SALU_CYCLE_1)
	s_or_b32 s11, s0, s11
	v_add_nc_u64_e32 v[2:3], s[4:5], v[2:3]
	s_cmp_lt_i32 s10, 11
	s_cbranch_scc1 .LBB15_3595
; %bb.3518:
	s_mov_b32 s16, -1
	s_mov_b32 s14, 0
	s_cmp_gt_i32 s10, 25
	s_mov_b32 s15, 0
	s_mov_b32 s0, 0
	s_cbranch_scc0 .LBB15_3551
; %bb.3519:
	s_cmp_gt_i32 s10, 28
	s_cbranch_scc0 .LBB15_3534
; %bb.3520:
	s_cmp_gt_i32 s10, 43
	;; [unrolled: 3-line block ×3, first 2 shown]
	s_cbranch_scc0 .LBB15_3524
; %bb.3522:
	s_mov_b32 s0, -1
	s_mov_b32 s16, 0
	s_cmp_eq_u32 s10, 46
	s_cbranch_scc0 .LBB15_3524
; %bb.3523:
	v_cndmask_b32_e64 v1, 0, 1.0, s11
	s_mov_b32 s0, 0
	s_mov_b32 s15, -1
	s_delay_alu instid0(VALU_DEP_1) | instskip(NEXT) | instid1(VALU_DEP_1)
	v_bfe_u32 v4, v1, 16, 1
	v_add3_u32 v1, v1, v4, 0x7fff
	s_delay_alu instid0(VALU_DEP_1)
	v_lshrrev_b32_e32 v1, 16, v1
	global_store_b32 v[2:3], v1, off
.LBB15_3524:
	s_and_b32 vcc_lo, exec_lo, s16
	s_cbranch_vccz .LBB15_3529
; %bb.3525:
	s_cmp_eq_u32 s10, 44
	s_mov_b32 s0, -1
	s_cbranch_scc0 .LBB15_3529
; %bb.3526:
	v_cndmask_b32_e64 v5, 0, 1.0, s11
	s_mov_b32 s15, exec_lo
	s_wait_xcnt 0x0
	s_delay_alu instid0(VALU_DEP_1) | instskip(NEXT) | instid1(VALU_DEP_1)
	v_dual_mov_b32 v4, 0xff :: v_dual_lshrrev_b32 v1, 23, v5
	v_cmpx_ne_u32_e32 0xff, v1
; %bb.3527:
	v_and_b32_e32 v4, 0x400000, v5
	v_and_or_b32 v5, 0x3fffff, v5, v1
	s_delay_alu instid0(VALU_DEP_2) | instskip(NEXT) | instid1(VALU_DEP_2)
	v_cmp_ne_u32_e32 vcc_lo, 0, v4
	v_cmp_ne_u32_e64 s0, 0, v5
	s_and_b32 s0, vcc_lo, s0
	s_delay_alu instid0(SALU_CYCLE_1) | instskip(NEXT) | instid1(VALU_DEP_1)
	v_cndmask_b32_e64 v4, 0, 1, s0
	v_add_nc_u32_e32 v4, v1, v4
; %bb.3528:
	s_or_b32 exec_lo, exec_lo, s15
	s_mov_b32 s0, 0
	s_mov_b32 s15, -1
	global_store_b8 v[2:3], v4, off
.LBB15_3529:
	s_mov_b32 s16, 0
.LBB15_3530:
	s_delay_alu instid0(SALU_CYCLE_1)
	s_and_b32 vcc_lo, exec_lo, s16
	s_cbranch_vccz .LBB15_3533
; %bb.3531:
	s_cmp_eq_u32 s10, 29
	s_mov_b32 s0, -1
	s_cbranch_scc0 .LBB15_3533
; %bb.3532:
	s_mov_b32 s0, 0
	s_wait_xcnt 0x0
	v_cndmask_b32_e64 v4, 0, 1, s11
	v_mov_b32_e32 v5, s0
	s_mov_b32 s15, -1
	global_store_b64 v[2:3], v[4:5], off
.LBB15_3533:
	s_mov_b32 s16, 0
.LBB15_3534:
	s_delay_alu instid0(SALU_CYCLE_1)
	s_and_b32 vcc_lo, exec_lo, s16
	s_cbranch_vccz .LBB15_3550
; %bb.3535:
	s_cmp_lt_i32 s10, 27
	s_mov_b32 s15, -1
	s_cbranch_scc1 .LBB15_3541
; %bb.3536:
	s_cmp_gt_i32 s10, 27
	s_cbranch_scc0 .LBB15_3538
; %bb.3537:
	s_wait_xcnt 0x0
	v_cndmask_b32_e64 v1, 0, 1, s11
	s_mov_b32 s15, 0
	global_store_b32 v[2:3], v1, off
.LBB15_3538:
	s_and_not1_b32 vcc_lo, exec_lo, s15
	s_cbranch_vccnz .LBB15_3540
; %bb.3539:
	s_wait_xcnt 0x0
	v_cndmask_b32_e64 v1, 0, 1, s11
	global_store_b16 v[2:3], v1, off
.LBB15_3540:
	s_mov_b32 s15, 0
.LBB15_3541:
	s_delay_alu instid0(SALU_CYCLE_1)
	s_and_not1_b32 vcc_lo, exec_lo, s15
	s_cbranch_vccnz .LBB15_3549
; %bb.3542:
	s_wait_xcnt 0x0
	v_cndmask_b32_e64 v4, 0, 1.0, s11
	v_mov_b32_e32 v5, 0x80
	s_mov_b32 s15, exec_lo
	s_delay_alu instid0(VALU_DEP_2)
	v_cmpx_gt_u32_e32 0x43800000, v4
	s_cbranch_execz .LBB15_3548
; %bb.3543:
	s_mov_b32 s16, 0
	s_mov_b32 s17, exec_lo
                                        ; implicit-def: $vgpr1
	v_cmpx_lt_u32_e32 0x3bffffff, v4
	s_xor_b32 s17, exec_lo, s17
	s_cbranch_execnz .LBB15_3770
; %bb.3544:
	s_and_not1_saveexec_b32 s17, s17
	s_cbranch_execnz .LBB15_3771
.LBB15_3545:
	s_or_b32 exec_lo, exec_lo, s17
	v_mov_b32_e32 v5, 0
	s_and_saveexec_b32 s17, s16
.LBB15_3546:
	v_mov_b32_e32 v5, v1
.LBB15_3547:
	s_or_b32 exec_lo, exec_lo, s17
.LBB15_3548:
	s_delay_alu instid0(SALU_CYCLE_1)
	s_or_b32 exec_lo, exec_lo, s15
	global_store_b8 v[2:3], v5, off
.LBB15_3549:
	s_mov_b32 s15, -1
.LBB15_3550:
	s_mov_b32 s16, 0
.LBB15_3551:
	s_delay_alu instid0(SALU_CYCLE_1)
	s_and_b32 vcc_lo, exec_lo, s16
	s_cbranch_vccz .LBB15_3591
; %bb.3552:
	s_cmp_gt_i32 s10, 22
	s_mov_b32 s14, -1
	s_cbranch_scc0 .LBB15_3584
; %bb.3553:
	s_cmp_lt_i32 s10, 24
	s_cbranch_scc1 .LBB15_3573
; %bb.3554:
	s_cmp_gt_i32 s10, 24
	s_cbranch_scc0 .LBB15_3562
; %bb.3555:
	s_wait_xcnt 0x0
	v_cndmask_b32_e64 v4, 0, 1.0, s11
	v_mov_b32_e32 v5, 0x80
	s_mov_b32 s14, exec_lo
	s_delay_alu instid0(VALU_DEP_2)
	v_cmpx_gt_u32_e32 0x47800000, v4
	s_cbranch_execz .LBB15_3561
; %bb.3556:
	s_mov_b32 s15, 0
	s_mov_b32 s16, exec_lo
                                        ; implicit-def: $vgpr1
	v_cmpx_lt_u32_e32 0x37ffffff, v4
	s_xor_b32 s16, exec_lo, s16
	s_cbranch_execnz .LBB15_3773
; %bb.3557:
	s_and_not1_saveexec_b32 s16, s16
	s_cbranch_execnz .LBB15_3774
.LBB15_3558:
	s_or_b32 exec_lo, exec_lo, s16
	v_mov_b32_e32 v5, 0
	s_and_saveexec_b32 s16, s15
.LBB15_3559:
	v_mov_b32_e32 v5, v1
.LBB15_3560:
	s_or_b32 exec_lo, exec_lo, s16
.LBB15_3561:
	s_delay_alu instid0(SALU_CYCLE_1)
	s_or_b32 exec_lo, exec_lo, s14
	s_mov_b32 s14, 0
	global_store_b8 v[2:3], v5, off
.LBB15_3562:
	s_and_b32 vcc_lo, exec_lo, s14
	s_cbranch_vccz .LBB15_3572
; %bb.3563:
	s_wait_xcnt 0x0
	v_cndmask_b32_e64 v4, 0, 1.0, s11
	s_mov_b32 s14, exec_lo
                                        ; implicit-def: $vgpr1
	s_delay_alu instid0(VALU_DEP_1)
	v_cmpx_gt_u32_e32 0x43f00000, v4
	s_xor_b32 s14, exec_lo, s14
	s_cbranch_execz .LBB15_3569
; %bb.3564:
	s_mov_b32 s15, exec_lo
                                        ; implicit-def: $vgpr1
	v_cmpx_lt_u32_e32 0x3c7fffff, v4
	s_xor_b32 s15, exec_lo, s15
; %bb.3565:
	v_bfe_u32 v1, v4, 20, 1
	s_delay_alu instid0(VALU_DEP_1) | instskip(NEXT) | instid1(VALU_DEP_1)
	v_add3_u32 v1, v4, v1, 0x407ffff
	v_and_b32_e32 v4, 0xff00000, v1
	v_lshrrev_b32_e32 v1, 20, v1
	s_delay_alu instid0(VALU_DEP_2) | instskip(NEXT) | instid1(VALU_DEP_2)
	v_cmp_ne_u32_e32 vcc_lo, 0x7f00000, v4
                                        ; implicit-def: $vgpr4
	v_cndmask_b32_e32 v1, 0x7e, v1, vcc_lo
; %bb.3566:
	s_and_not1_saveexec_b32 s15, s15
; %bb.3567:
	v_add_f32_e32 v1, 0x46800000, v4
; %bb.3568:
	s_or_b32 exec_lo, exec_lo, s15
                                        ; implicit-def: $vgpr4
.LBB15_3569:
	s_and_not1_saveexec_b32 s14, s14
; %bb.3570:
	v_mov_b32_e32 v1, 0x7f
	v_cmp_lt_u32_e32 vcc_lo, 0x7f800000, v4
	s_delay_alu instid0(VALU_DEP_2)
	v_cndmask_b32_e32 v1, 0x7e, v1, vcc_lo
; %bb.3571:
	s_or_b32 exec_lo, exec_lo, s14
	global_store_b8 v[2:3], v1, off
.LBB15_3572:
	s_mov_b32 s14, 0
.LBB15_3573:
	s_delay_alu instid0(SALU_CYCLE_1)
	s_and_not1_b32 vcc_lo, exec_lo, s14
	s_cbranch_vccnz .LBB15_3583
; %bb.3574:
	s_wait_xcnt 0x0
	v_cndmask_b32_e64 v4, 0, 1.0, s11
	s_mov_b32 s14, exec_lo
                                        ; implicit-def: $vgpr1
	s_delay_alu instid0(VALU_DEP_1)
	v_cmpx_gt_u32_e32 0x47800000, v4
	s_xor_b32 s14, exec_lo, s14
	s_cbranch_execz .LBB15_3580
; %bb.3575:
	s_mov_b32 s15, exec_lo
                                        ; implicit-def: $vgpr1
	v_cmpx_lt_u32_e32 0x387fffff, v4
	s_xor_b32 s15, exec_lo, s15
; %bb.3576:
	v_bfe_u32 v1, v4, 21, 1
	s_delay_alu instid0(VALU_DEP_1) | instskip(NEXT) | instid1(VALU_DEP_1)
	v_add3_u32 v1, v4, v1, 0x80fffff
                                        ; implicit-def: $vgpr4
	v_lshrrev_b32_e32 v1, 21, v1
; %bb.3577:
	s_and_not1_saveexec_b32 s15, s15
; %bb.3578:
	v_add_f32_e32 v1, 0x43000000, v4
; %bb.3579:
	s_or_b32 exec_lo, exec_lo, s15
                                        ; implicit-def: $vgpr4
.LBB15_3580:
	s_and_not1_saveexec_b32 s14, s14
; %bb.3581:
	v_mov_b32_e32 v1, 0x7f
	v_cmp_lt_u32_e32 vcc_lo, 0x7f800000, v4
	s_delay_alu instid0(VALU_DEP_2)
	v_cndmask_b32_e32 v1, 0x7c, v1, vcc_lo
; %bb.3582:
	s_or_b32 exec_lo, exec_lo, s14
	global_store_b8 v[2:3], v1, off
.LBB15_3583:
	s_mov_b32 s14, 0
	s_mov_b32 s15, -1
.LBB15_3584:
	s_and_not1_b32 vcc_lo, exec_lo, s14
	s_mov_b32 s14, 0
	s_cbranch_vccnz .LBB15_3591
; %bb.3585:
	s_cmp_gt_i32 s10, 14
	s_mov_b32 s14, -1
	s_cbranch_scc0 .LBB15_3589
; %bb.3586:
	s_cmp_eq_u32 s10, 15
	s_mov_b32 s0, -1
	s_cbranch_scc0 .LBB15_3588
; %bb.3587:
	s_wait_xcnt 0x0
	v_cndmask_b32_e64 v1, 0, 1.0, s11
	s_mov_b32 s0, 0
	s_mov_b32 s15, -1
	s_delay_alu instid0(VALU_DEP_1) | instskip(NEXT) | instid1(VALU_DEP_1)
	v_bfe_u32 v4, v1, 16, 1
	v_add3_u32 v1, v1, v4, 0x7fff
	global_store_d16_hi_b16 v[2:3], v1, off
.LBB15_3588:
	s_mov_b32 s14, 0
.LBB15_3589:
	s_delay_alu instid0(SALU_CYCLE_1)
	s_and_b32 vcc_lo, exec_lo, s14
	s_mov_b32 s14, 0
	s_cbranch_vccz .LBB15_3591
; %bb.3590:
	s_cmp_lg_u32 s10, 11
	s_mov_b32 s14, -1
	s_cselect_b32 s0, -1, 0
.LBB15_3591:
	s_delay_alu instid0(SALU_CYCLE_1)
	s_and_b32 vcc_lo, exec_lo, s0
	s_cbranch_vccnz .LBB15_3767
; %bb.3592:
	s_and_not1_b32 vcc_lo, exec_lo, s14
	s_cbranch_vccnz .LBB15_3594
.LBB15_3593:
	s_wait_xcnt 0x0
	v_cndmask_b32_e64 v1, 0, 1, s11
	s_mov_b32 s15, -1
	global_store_b8 v[2:3], v1, off
.LBB15_3594:
	s_mov_b32 s0, 0
	s_branch .LBB15_3596
.LBB15_3595:
	s_mov_b32 s0, -1
	s_mov_b32 s15, 0
.LBB15_3596:
	s_and_b32 vcc_lo, exec_lo, s0
	s_cbranch_vccz .LBB15_3635
; %bb.3597:
	s_cmp_lt_i32 s10, 5
	s_mov_b32 s0, -1
	s_cbranch_scc1 .LBB15_3618
; %bb.3598:
	s_cmp_lt_i32 s10, 8
	s_cbranch_scc1 .LBB15_3608
; %bb.3599:
	s_cmp_lt_i32 s10, 9
	s_cbranch_scc1 .LBB15_3605
; %bb.3600:
	s_cmp_gt_i32 s10, 9
	s_cbranch_scc0 .LBB15_3602
; %bb.3601:
	s_wait_xcnt 0x0
	v_cndmask_b32_e64 v1, 0, 1, s11
	v_mov_b32_e32 v6, 0
	s_mov_b32 s0, 0
	s_delay_alu instid0(VALU_DEP_2) | instskip(NEXT) | instid1(VALU_DEP_2)
	v_cvt_f64_u32_e32 v[4:5], v1
	v_mov_b32_e32 v7, v6
	global_store_b128 v[2:3], v[4:7], off
.LBB15_3602:
	s_and_not1_b32 vcc_lo, exec_lo, s0
	s_cbranch_vccnz .LBB15_3604
; %bb.3603:
	s_wait_xcnt 0x0
	v_cndmask_b32_e64 v4, 0, 1.0, s11
	v_mov_b32_e32 v5, 0
	global_store_b64 v[2:3], v[4:5], off
.LBB15_3604:
	s_mov_b32 s0, 0
.LBB15_3605:
	s_delay_alu instid0(SALU_CYCLE_1)
	s_and_not1_b32 vcc_lo, exec_lo, s0
	s_cbranch_vccnz .LBB15_3607
; %bb.3606:
	s_wait_xcnt 0x0
	v_cndmask_b32_e64 v1, 0, 1.0, s11
	s_delay_alu instid0(VALU_DEP_1) | instskip(NEXT) | instid1(VALU_DEP_1)
	v_cvt_f16_f32_e32 v1, v1
	v_and_b32_e32 v1, 0xffff, v1
	global_store_b32 v[2:3], v1, off
.LBB15_3607:
	s_mov_b32 s0, 0
.LBB15_3608:
	s_delay_alu instid0(SALU_CYCLE_1)
	s_and_not1_b32 vcc_lo, exec_lo, s0
	s_cbranch_vccnz .LBB15_3617
; %bb.3609:
	s_cmp_lt_i32 s10, 6
	s_mov_b32 s0, -1
	s_cbranch_scc1 .LBB15_3615
; %bb.3610:
	s_cmp_gt_i32 s10, 6
	s_cbranch_scc0 .LBB15_3612
; %bb.3611:
	s_wait_xcnt 0x0
	v_cndmask_b32_e64 v1, 0, 1, s11
	s_mov_b32 s0, 0
	s_delay_alu instid0(VALU_DEP_1)
	v_cvt_f64_u32_e32 v[4:5], v1
	global_store_b64 v[2:3], v[4:5], off
.LBB15_3612:
	s_and_not1_b32 vcc_lo, exec_lo, s0
	s_cbranch_vccnz .LBB15_3614
; %bb.3613:
	s_wait_xcnt 0x0
	v_cndmask_b32_e64 v1, 0, 1.0, s11
	global_store_b32 v[2:3], v1, off
.LBB15_3614:
	s_mov_b32 s0, 0
.LBB15_3615:
	s_delay_alu instid0(SALU_CYCLE_1)
	s_and_not1_b32 vcc_lo, exec_lo, s0
	s_cbranch_vccnz .LBB15_3617
; %bb.3616:
	s_wait_xcnt 0x0
	v_cndmask_b32_e64 v1, 0, 1.0, s11
	s_delay_alu instid0(VALU_DEP_1)
	v_cvt_f16_f32_e32 v1, v1
	global_store_b16 v[2:3], v1, off
.LBB15_3617:
	s_mov_b32 s0, 0
.LBB15_3618:
	s_delay_alu instid0(SALU_CYCLE_1)
	s_and_not1_b32 vcc_lo, exec_lo, s0
	s_cbranch_vccnz .LBB15_3634
; %bb.3619:
	s_cmp_lt_i32 s10, 2
	s_mov_b32 s0, -1
	s_cbranch_scc1 .LBB15_3629
; %bb.3620:
	s_cmp_lt_i32 s10, 3
	s_cbranch_scc1 .LBB15_3626
; %bb.3621:
	s_cmp_gt_i32 s10, 3
	s_cbranch_scc0 .LBB15_3623
; %bb.3622:
	s_mov_b32 s0, 0
	s_wait_xcnt 0x0
	v_cndmask_b32_e64 v4, 0, 1, s11
	v_mov_b32_e32 v5, s0
	global_store_b64 v[2:3], v[4:5], off
.LBB15_3623:
	s_and_not1_b32 vcc_lo, exec_lo, s0
	s_cbranch_vccnz .LBB15_3625
; %bb.3624:
	s_wait_xcnt 0x0
	v_cndmask_b32_e64 v1, 0, 1, s11
	global_store_b32 v[2:3], v1, off
.LBB15_3625:
	s_mov_b32 s0, 0
.LBB15_3626:
	s_delay_alu instid0(SALU_CYCLE_1)
	s_and_not1_b32 vcc_lo, exec_lo, s0
	s_cbranch_vccnz .LBB15_3628
; %bb.3627:
	s_wait_xcnt 0x0
	v_cndmask_b32_e64 v1, 0, 1, s11
	global_store_b16 v[2:3], v1, off
.LBB15_3628:
	s_mov_b32 s0, 0
.LBB15_3629:
	s_delay_alu instid0(SALU_CYCLE_1)
	s_and_not1_b32 vcc_lo, exec_lo, s0
	s_cbranch_vccnz .LBB15_3634
; %bb.3630:
	s_cmp_gt_i32 s10, 0
	s_mov_b32 s0, -1
	s_cbranch_scc0 .LBB15_3632
; %bb.3631:
	s_wait_xcnt 0x0
	v_cndmask_b32_e64 v1, 0, 1, s11
	s_mov_b32 s0, 0
	global_store_b8 v[2:3], v1, off
.LBB15_3632:
	s_and_not1_b32 vcc_lo, exec_lo, s0
	s_cbranch_vccnz .LBB15_3634
; %bb.3633:
	s_wait_xcnt 0x0
	v_cndmask_b32_e64 v1, 0, 1, s11
	global_store_b8 v[2:3], v1, off
.LBB15_3634:
	s_mov_b32 s15, -1
.LBB15_3635:
	s_delay_alu instid0(SALU_CYCLE_1)
	s_and_not1_b32 vcc_lo, exec_lo, s15
	s_cbranch_vccnz .LBB15_3712
; %bb.3636:
	s_wait_xcnt 0x0
	v_mov_b32_e32 v1, 0
	s_and_b32 s0, s6, s2
	s_and_b32 s2, s7, s9
	s_delay_alu instid0(SALU_CYCLE_1) | instskip(NEXT) | instid1(VALU_DEP_1)
	s_and_b32 s2, s2, s3
	v_add_nc_u64_e32 v[2:3], s[4:5], v[0:1]
	s_or_b32 s4, s0, s2
	s_cmp_lt_i32 s10, 11
	s_cbranch_scc1 .LBB15_3757
; %bb.3637:
	s_mov_b32 s3, -1
	s_mov_b32 s2, 0
	s_cmp_gt_i32 s10, 25
	s_mov_b32 s0, 0
	s_cbranch_scc0 .LBB15_3670
; %bb.3638:
	s_cmp_gt_i32 s10, 28
	s_cbranch_scc0 .LBB15_3654
; %bb.3639:
	s_cmp_gt_i32 s10, 43
	;; [unrolled: 3-line block ×3, first 2 shown]
	s_cbranch_scc0 .LBB15_3644
; %bb.3641:
	s_cmp_eq_u32 s10, 46
	s_mov_b32 s0, -1
	s_cbranch_scc0 .LBB15_3643
; %bb.3642:
	v_cndmask_b32_e64 v0, 0, 1.0, s4
	s_mov_b32 s0, 0
	s_delay_alu instid0(VALU_DEP_1) | instskip(NEXT) | instid1(VALU_DEP_1)
	v_bfe_u32 v1, v0, 16, 1
	v_add3_u32 v0, v0, v1, 0x7fff
	s_delay_alu instid0(VALU_DEP_1)
	v_lshrrev_b32_e32 v0, 16, v0
	global_store_b32 v[2:3], v0, off
.LBB15_3643:
	s_mov_b32 s3, 0
.LBB15_3644:
	s_delay_alu instid0(SALU_CYCLE_1)
	s_and_b32 vcc_lo, exec_lo, s3
	s_cbranch_vccz .LBB15_3649
; %bb.3645:
	s_cmp_eq_u32 s10, 44
	s_mov_b32 s0, -1
	s_cbranch_scc0 .LBB15_3649
; %bb.3646:
	v_cndmask_b32_e64 v4, 0, 1.0, s4
	s_mov_b32 s3, exec_lo
	s_wait_xcnt 0x0
	s_delay_alu instid0(VALU_DEP_1) | instskip(NEXT) | instid1(VALU_DEP_1)
	v_dual_mov_b32 v1, 0xff :: v_dual_lshrrev_b32 v0, 23, v4
	v_cmpx_ne_u32_e32 0xff, v0
; %bb.3647:
	v_and_b32_e32 v1, 0x400000, v4
	v_and_or_b32 v4, 0x3fffff, v4, v0
	s_delay_alu instid0(VALU_DEP_2) | instskip(NEXT) | instid1(VALU_DEP_2)
	v_cmp_ne_u32_e32 vcc_lo, 0, v1
	v_cmp_ne_u32_e64 s0, 0, v4
	s_and_b32 s0, vcc_lo, s0
	s_delay_alu instid0(SALU_CYCLE_1) | instskip(NEXT) | instid1(VALU_DEP_1)
	v_cndmask_b32_e64 v1, 0, 1, s0
	v_add_nc_u32_e32 v1, v0, v1
; %bb.3648:
	s_or_b32 exec_lo, exec_lo, s3
	s_mov_b32 s0, 0
	global_store_b8 v[2:3], v1, off
.LBB15_3649:
	s_mov_b32 s3, 0
.LBB15_3650:
	s_delay_alu instid0(SALU_CYCLE_1)
	s_and_b32 vcc_lo, exec_lo, s3
	s_cbranch_vccz .LBB15_3653
; %bb.3651:
	s_cmp_eq_u32 s10, 29
	s_mov_b32 s0, -1
	s_cbranch_scc0 .LBB15_3653
; %bb.3652:
	s_mov_b32 s0, 0
	s_wait_xcnt 0x0
	v_cndmask_b32_e64 v0, 0, 1, s4
	v_mov_b32_e32 v1, s0
	global_store_b64 v[2:3], v[0:1], off
.LBB15_3653:
	s_mov_b32 s3, 0
.LBB15_3654:
	s_delay_alu instid0(SALU_CYCLE_1)
	s_and_b32 vcc_lo, exec_lo, s3
	s_cbranch_vccz .LBB15_3669
; %bb.3655:
	s_cmp_lt_i32 s10, 27
	s_mov_b32 s3, -1
	s_cbranch_scc1 .LBB15_3661
; %bb.3656:
	s_wait_xcnt 0x0
	v_cndmask_b32_e64 v0, 0, 1, s4
	s_cmp_gt_i32 s10, 27
	s_cbranch_scc0 .LBB15_3658
; %bb.3657:
	s_mov_b32 s3, 0
	global_store_b32 v[2:3], v0, off
.LBB15_3658:
	s_and_not1_b32 vcc_lo, exec_lo, s3
	s_cbranch_vccnz .LBB15_3660
; %bb.3659:
	global_store_b16 v[2:3], v0, off
.LBB15_3660:
	s_mov_b32 s3, 0
.LBB15_3661:
	s_delay_alu instid0(SALU_CYCLE_1)
	s_and_not1_b32 vcc_lo, exec_lo, s3
	s_cbranch_vccnz .LBB15_3669
; %bb.3662:
	s_wait_xcnt 0x0
	v_cndmask_b32_e64 v1, 0, 1.0, s4
	v_mov_b32_e32 v4, 0x80
	s_mov_b32 s3, exec_lo
	s_delay_alu instid0(VALU_DEP_2)
	v_cmpx_gt_u32_e32 0x43800000, v1
	s_cbranch_execz .LBB15_3668
; %bb.3663:
	s_mov_b32 s5, 0
	s_mov_b32 s6, exec_lo
                                        ; implicit-def: $vgpr0
	v_cmpx_lt_u32_e32 0x3bffffff, v1
	s_xor_b32 s6, exec_lo, s6
	s_cbranch_execnz .LBB15_3775
; %bb.3664:
	s_and_not1_saveexec_b32 s6, s6
	s_cbranch_execnz .LBB15_3776
.LBB15_3665:
	s_or_b32 exec_lo, exec_lo, s6
	v_mov_b32_e32 v4, 0
	s_and_saveexec_b32 s6, s5
.LBB15_3666:
	v_mov_b32_e32 v4, v0
.LBB15_3667:
	s_or_b32 exec_lo, exec_lo, s6
.LBB15_3668:
	s_delay_alu instid0(SALU_CYCLE_1)
	s_or_b32 exec_lo, exec_lo, s3
	global_store_b8 v[2:3], v4, off
.LBB15_3669:
	s_mov_b32 s3, 0
.LBB15_3670:
	s_delay_alu instid0(SALU_CYCLE_1)
	s_and_b32 vcc_lo, exec_lo, s3
	s_cbranch_vccz .LBB15_3710
; %bb.3671:
	s_cmp_gt_i32 s10, 22
	s_mov_b32 s2, -1
	s_cbranch_scc0 .LBB15_3703
; %bb.3672:
	s_cmp_lt_i32 s10, 24
	s_cbranch_scc1 .LBB15_3692
; %bb.3673:
	s_cmp_gt_i32 s10, 24
	s_cbranch_scc0 .LBB15_3681
; %bb.3674:
	s_wait_xcnt 0x0
	v_cndmask_b32_e64 v1, 0, 1.0, s4
	v_mov_b32_e32 v4, 0x80
	s_mov_b32 s2, exec_lo
	s_delay_alu instid0(VALU_DEP_2)
	v_cmpx_gt_u32_e32 0x47800000, v1
	s_cbranch_execz .LBB15_3680
; %bb.3675:
	s_mov_b32 s3, 0
	s_mov_b32 s5, exec_lo
                                        ; implicit-def: $vgpr0
	v_cmpx_lt_u32_e32 0x37ffffff, v1
	s_xor_b32 s5, exec_lo, s5
	s_cbranch_execnz .LBB15_3777
; %bb.3676:
	s_and_not1_saveexec_b32 s5, s5
	s_cbranch_execnz .LBB15_3778
.LBB15_3677:
	s_or_b32 exec_lo, exec_lo, s5
	v_mov_b32_e32 v4, 0
	s_and_saveexec_b32 s5, s3
.LBB15_3678:
	v_mov_b32_e32 v4, v0
.LBB15_3679:
	s_or_b32 exec_lo, exec_lo, s5
.LBB15_3680:
	s_delay_alu instid0(SALU_CYCLE_1)
	s_or_b32 exec_lo, exec_lo, s2
	s_mov_b32 s2, 0
	global_store_b8 v[2:3], v4, off
.LBB15_3681:
	s_and_b32 vcc_lo, exec_lo, s2
	s_cbranch_vccz .LBB15_3691
; %bb.3682:
	s_wait_xcnt 0x0
	v_cndmask_b32_e64 v1, 0, 1.0, s4
	s_mov_b32 s2, exec_lo
                                        ; implicit-def: $vgpr0
	s_delay_alu instid0(VALU_DEP_1)
	v_cmpx_gt_u32_e32 0x43f00000, v1
	s_xor_b32 s2, exec_lo, s2
	s_cbranch_execz .LBB15_3688
; %bb.3683:
	s_mov_b32 s3, exec_lo
                                        ; implicit-def: $vgpr0
	v_cmpx_lt_u32_e32 0x3c7fffff, v1
	s_xor_b32 s3, exec_lo, s3
; %bb.3684:
	v_bfe_u32 v0, v1, 20, 1
	s_delay_alu instid0(VALU_DEP_1) | instskip(NEXT) | instid1(VALU_DEP_1)
	v_add3_u32 v0, v1, v0, 0x407ffff
	v_and_b32_e32 v1, 0xff00000, v0
	v_lshrrev_b32_e32 v0, 20, v0
	s_delay_alu instid0(VALU_DEP_2) | instskip(NEXT) | instid1(VALU_DEP_2)
	v_cmp_ne_u32_e32 vcc_lo, 0x7f00000, v1
                                        ; implicit-def: $vgpr1
	v_cndmask_b32_e32 v0, 0x7e, v0, vcc_lo
; %bb.3685:
	s_and_not1_saveexec_b32 s3, s3
; %bb.3686:
	v_add_f32_e32 v0, 0x46800000, v1
; %bb.3687:
	s_or_b32 exec_lo, exec_lo, s3
                                        ; implicit-def: $vgpr1
.LBB15_3688:
	s_and_not1_saveexec_b32 s2, s2
; %bb.3689:
	v_mov_b32_e32 v0, 0x7f
	v_cmp_lt_u32_e32 vcc_lo, 0x7f800000, v1
	s_delay_alu instid0(VALU_DEP_2)
	v_cndmask_b32_e32 v0, 0x7e, v0, vcc_lo
; %bb.3690:
	s_or_b32 exec_lo, exec_lo, s2
	global_store_b8 v[2:3], v0, off
.LBB15_3691:
	s_mov_b32 s2, 0
.LBB15_3692:
	s_delay_alu instid0(SALU_CYCLE_1)
	s_and_not1_b32 vcc_lo, exec_lo, s2
	s_cbranch_vccnz .LBB15_3702
; %bb.3693:
	s_wait_xcnt 0x0
	v_cndmask_b32_e64 v1, 0, 1.0, s4
	s_mov_b32 s2, exec_lo
                                        ; implicit-def: $vgpr0
	s_delay_alu instid0(VALU_DEP_1)
	v_cmpx_gt_u32_e32 0x47800000, v1
	s_xor_b32 s2, exec_lo, s2
	s_cbranch_execz .LBB15_3699
; %bb.3694:
	s_mov_b32 s3, exec_lo
                                        ; implicit-def: $vgpr0
	v_cmpx_lt_u32_e32 0x387fffff, v1
	s_xor_b32 s3, exec_lo, s3
; %bb.3695:
	v_bfe_u32 v0, v1, 21, 1
	s_delay_alu instid0(VALU_DEP_1) | instskip(NEXT) | instid1(VALU_DEP_1)
	v_add3_u32 v0, v1, v0, 0x80fffff
                                        ; implicit-def: $vgpr1
	v_lshrrev_b32_e32 v0, 21, v0
; %bb.3696:
	s_and_not1_saveexec_b32 s3, s3
; %bb.3697:
	v_add_f32_e32 v0, 0x43000000, v1
; %bb.3698:
	s_or_b32 exec_lo, exec_lo, s3
                                        ; implicit-def: $vgpr1
.LBB15_3699:
	s_and_not1_saveexec_b32 s2, s2
; %bb.3700:
	v_mov_b32_e32 v0, 0x7f
	v_cmp_lt_u32_e32 vcc_lo, 0x7f800000, v1
	s_delay_alu instid0(VALU_DEP_2)
	v_cndmask_b32_e32 v0, 0x7c, v0, vcc_lo
; %bb.3701:
	s_or_b32 exec_lo, exec_lo, s2
	global_store_b8 v[2:3], v0, off
.LBB15_3702:
	s_mov_b32 s2, 0
.LBB15_3703:
	s_delay_alu instid0(SALU_CYCLE_1)
	s_and_not1_b32 vcc_lo, exec_lo, s2
	s_mov_b32 s2, 0
	s_cbranch_vccnz .LBB15_3710
; %bb.3704:
	s_cmp_gt_i32 s10, 14
	s_mov_b32 s2, -1
	s_cbranch_scc0 .LBB15_3708
; %bb.3705:
	s_cmp_eq_u32 s10, 15
	s_mov_b32 s0, -1
	s_cbranch_scc0 .LBB15_3707
; %bb.3706:
	s_wait_xcnt 0x0
	v_cndmask_b32_e64 v0, 0, 1.0, s4
	s_mov_b32 s0, 0
	s_delay_alu instid0(VALU_DEP_1) | instskip(NEXT) | instid1(VALU_DEP_1)
	v_bfe_u32 v1, v0, 16, 1
	v_add3_u32 v0, v0, v1, 0x7fff
	global_store_d16_hi_b16 v[2:3], v0, off
.LBB15_3707:
	s_mov_b32 s2, 0
.LBB15_3708:
	s_delay_alu instid0(SALU_CYCLE_1)
	s_and_b32 vcc_lo, exec_lo, s2
	s_mov_b32 s2, 0
	s_cbranch_vccz .LBB15_3710
; %bb.3709:
	s_cmp_lg_u32 s10, 11
	s_mov_b32 s2, -1
	s_cselect_b32 s0, -1, 0
.LBB15_3710:
	s_delay_alu instid0(SALU_CYCLE_1)
	s_and_b32 vcc_lo, exec_lo, s0
	s_cbranch_vccnz .LBB15_3772
.LBB15_3711:
	s_mov_b32 s0, 0
	s_branch .LBB15_3713
.LBB15_3712:
	s_mov_b32 s0, 0
	s_mov_b32 s2, 0
                                        ; implicit-def: $sgpr4
                                        ; implicit-def: $vgpr2_vgpr3
                                        ; implicit-def: $sgpr8
.LBB15_3713:
	s_and_not1_b32 s3, s12, exec_lo
	s_and_b32 s1, s1, exec_lo
	s_and_b32 s0, s0, exec_lo
	;; [unrolled: 1-line block ×3, first 2 shown]
	s_or_b32 s12, s3, s1
.LBB15_3714:
	s_wait_xcnt 0x0
	s_or_b32 exec_lo, exec_lo, s13
	s_and_saveexec_b32 s1, s12
	s_cbranch_execnz .LBB15_3718
; %bb.3715:
	s_or_b32 exec_lo, exec_lo, s1
	s_and_saveexec_b32 s1, s39
	s_delay_alu instid0(SALU_CYCLE_1)
	s_xor_b32 s1, exec_lo, s1
	s_cbranch_execnz .LBB15_3719
.LBB15_3716:
	s_or_b32 exec_lo, exec_lo, s1
	s_and_saveexec_b32 s1, s0
	s_cbranch_execnz .LBB15_3720
.LBB15_3717:
	s_endpgm
.LBB15_3718:
	; divergent unreachable
	s_or_b32 exec_lo, exec_lo, s1
	s_and_saveexec_b32 s1, s39
	s_delay_alu instid0(SALU_CYCLE_1)
	s_xor_b32 s1, exec_lo, s1
	s_cbranch_execz .LBB15_3716
.LBB15_3719:
	v_cndmask_b32_e64 v0, 0, 1, s4
	global_store_b8 v[2:3], v0, off
	s_wait_xcnt 0x0
	s_or_b32 exec_lo, exec_lo, s1
	s_and_saveexec_b32 s1, s0
	s_cbranch_execz .LBB15_3717
.LBB15_3720:
	s_sext_i32_i16 s1, s8
	s_mov_b32 s0, -1
	s_cmp_lt_i32 s1, 5
	s_cbranch_scc1 .LBB15_3741
; %bb.3721:
	s_cmp_lt_i32 s1, 8
	s_cbranch_scc1 .LBB15_3731
; %bb.3722:
	;; [unrolled: 3-line block ×3, first 2 shown]
	s_cmp_gt_i32 s1, 9
	s_cbranch_scc0 .LBB15_3725
; %bb.3724:
	v_cndmask_b32_e64 v0, 0, 1, s4
	v_mov_b32_e32 v6, 0
	s_mov_b32 s0, 0
	s_delay_alu instid0(VALU_DEP_2) | instskip(NEXT) | instid1(VALU_DEP_2)
	v_cvt_f64_u32_e32 v[4:5], v0
	v_mov_b32_e32 v7, v6
	global_store_b128 v[2:3], v[4:7], off
.LBB15_3725:
	s_and_not1_b32 vcc_lo, exec_lo, s0
	s_cbranch_vccnz .LBB15_3727
; %bb.3726:
	v_cndmask_b32_e64 v0, 0, 1.0, s4
	v_mov_b32_e32 v1, 0
	global_store_b64 v[2:3], v[0:1], off
.LBB15_3727:
	s_mov_b32 s0, 0
.LBB15_3728:
	s_delay_alu instid0(SALU_CYCLE_1)
	s_and_not1_b32 vcc_lo, exec_lo, s0
	s_cbranch_vccnz .LBB15_3730
; %bb.3729:
	s_wait_xcnt 0x0
	v_cndmask_b32_e64 v0, 0, 1.0, s4
	s_delay_alu instid0(VALU_DEP_1) | instskip(NEXT) | instid1(VALU_DEP_1)
	v_cvt_f16_f32_e32 v0, v0
	v_and_b32_e32 v0, 0xffff, v0
	global_store_b32 v[2:3], v0, off
.LBB15_3730:
	s_mov_b32 s0, 0
.LBB15_3731:
	s_delay_alu instid0(SALU_CYCLE_1)
	s_and_not1_b32 vcc_lo, exec_lo, s0
	s_cbranch_vccnz .LBB15_3740
; %bb.3732:
	s_sext_i32_i16 s1, s8
	s_mov_b32 s0, -1
	s_cmp_lt_i32 s1, 6
	s_cbranch_scc1 .LBB15_3738
; %bb.3733:
	s_cmp_gt_i32 s1, 6
	s_cbranch_scc0 .LBB15_3735
; %bb.3734:
	s_wait_xcnt 0x0
	v_cndmask_b32_e64 v0, 0, 1, s4
	s_mov_b32 s0, 0
	s_delay_alu instid0(VALU_DEP_1)
	v_cvt_f64_u32_e32 v[0:1], v0
	global_store_b64 v[2:3], v[0:1], off
.LBB15_3735:
	s_and_not1_b32 vcc_lo, exec_lo, s0
	s_cbranch_vccnz .LBB15_3737
; %bb.3736:
	s_wait_xcnt 0x0
	v_cndmask_b32_e64 v0, 0, 1.0, s4
	global_store_b32 v[2:3], v0, off
.LBB15_3737:
	s_mov_b32 s0, 0
.LBB15_3738:
	s_delay_alu instid0(SALU_CYCLE_1)
	s_and_not1_b32 vcc_lo, exec_lo, s0
	s_cbranch_vccnz .LBB15_3740
; %bb.3739:
	s_wait_xcnt 0x0
	v_cndmask_b32_e64 v0, 0, 1.0, s4
	s_delay_alu instid0(VALU_DEP_1)
	v_cvt_f16_f32_e32 v0, v0
	global_store_b16 v[2:3], v0, off
.LBB15_3740:
	s_mov_b32 s0, 0
.LBB15_3741:
	s_delay_alu instid0(SALU_CYCLE_1)
	s_and_not1_b32 vcc_lo, exec_lo, s0
	s_cbranch_vccnz .LBB15_3717
; %bb.3742:
	s_sext_i32_i16 s1, s8
	s_mov_b32 s0, -1
	s_cmp_lt_i32 s1, 2
	s_cbranch_scc1 .LBB15_3752
; %bb.3743:
	s_cmp_lt_i32 s1, 3
	s_cbranch_scc1 .LBB15_3749
; %bb.3744:
	s_cmp_gt_i32 s1, 3
	s_cbranch_scc0 .LBB15_3746
; %bb.3745:
	s_mov_b32 s0, 0
	s_wait_xcnt 0x0
	v_cndmask_b32_e64 v0, 0, 1, s4
	v_mov_b32_e32 v1, s0
	global_store_b64 v[2:3], v[0:1], off
.LBB15_3746:
	s_and_not1_b32 vcc_lo, exec_lo, s0
	s_cbranch_vccnz .LBB15_3748
; %bb.3747:
	s_wait_xcnt 0x0
	v_cndmask_b32_e64 v0, 0, 1, s4
	global_store_b32 v[2:3], v0, off
.LBB15_3748:
	s_mov_b32 s0, 0
.LBB15_3749:
	s_delay_alu instid0(SALU_CYCLE_1)
	s_and_not1_b32 vcc_lo, exec_lo, s0
	s_cbranch_vccnz .LBB15_3751
; %bb.3750:
	s_wait_xcnt 0x0
	v_cndmask_b32_e64 v0, 0, 1, s4
	global_store_b16 v[2:3], v0, off
.LBB15_3751:
	s_mov_b32 s0, 0
.LBB15_3752:
	s_delay_alu instid0(SALU_CYCLE_1)
	s_and_not1_b32 vcc_lo, exec_lo, s0
	s_cbranch_vccnz .LBB15_3717
; %bb.3753:
	s_sext_i32_i16 s0, s8
	s_delay_alu instid0(SALU_CYCLE_1)
	s_cmp_gt_i32 s0, 0
	s_mov_b32 s0, -1
	s_cbranch_scc0 .LBB15_3755
; %bb.3754:
	s_wait_xcnt 0x0
	v_cndmask_b32_e64 v0, 0, 1, s4
	s_mov_b32 s0, 0
	global_store_b8 v[2:3], v0, off
.LBB15_3755:
	s_and_not1_b32 vcc_lo, exec_lo, s0
	s_cbranch_vccnz .LBB15_3717
; %bb.3756:
	s_wait_xcnt 0x0
	v_cndmask_b32_e64 v0, 0, 1, s4
	global_store_b8 v[2:3], v0, off
	s_endpgm
.LBB15_3757:
	s_mov_b32 s2, 0
	s_mov_b32 s0, -1
	s_branch .LBB15_3713
.LBB15_3758:
	s_mov_b32 s8, 0
	s_or_b32 s1, s1, exec_lo
	s_trap 2
	s_cbranch_execz .LBB15_3227
	s_branch .LBB15_3228
.LBB15_3759:
	s_or_b32 s1, s1, exec_lo
	s_trap 2
	s_cbranch_execz .LBB15_3355
	s_branch .LBB15_3356
.LBB15_3760:
	v_bfe_u32 v1, v3, 20, 1
	s_mov_b32 s17, exec_lo
	s_delay_alu instid0(VALU_DEP_1) | instskip(NEXT) | instid1(VALU_DEP_1)
	v_add3_u32 v1, v3, v1, 0x487ffff
                                        ; implicit-def: $vgpr3
	v_lshrrev_b32_e32 v1, 20, v1
	s_and_not1_saveexec_b32 s22, s22
	s_cbranch_execz .LBB15_3307
.LBB15_3761:
	v_add_f32_e32 v1, 0x46000000, v3
	s_and_not1_b32 s17, s17, exec_lo
	s_delay_alu instid0(VALU_DEP_1) | instskip(NEXT) | instid1(VALU_DEP_1)
	v_and_b32_e32 v1, 0xff, v1
	v_cmp_ne_u32_e32 vcc_lo, 0, v1
	s_and_b32 s23, vcc_lo, exec_lo
	s_delay_alu instid0(SALU_CYCLE_1)
	s_or_b32 s17, s17, s23
	s_or_b32 exec_lo, exec_lo, s22
	v_mov_b32_e32 v5, 0
	s_and_saveexec_b32 s22, s17
	s_cbranch_execnz .LBB15_3308
	s_branch .LBB15_3309
.LBB15_3762:
	s_or_b32 s1, s1, exec_lo
	s_trap 2
	s_cbranch_execz .LBB15_3474
	s_branch .LBB15_3475
.LBB15_3763:
	v_bfe_u32 v1, v3, 21, 1
	s_mov_b32 s15, exec_lo
	s_delay_alu instid0(VALU_DEP_1) | instskip(NEXT) | instid1(VALU_DEP_1)
	v_add3_u32 v1, v3, v1, 0x88fffff
                                        ; implicit-def: $vgpr3
	v_lshrrev_b32_e32 v1, 21, v1
	s_and_not1_saveexec_b32 s17, s17
	s_cbranch_execz .LBB15_3320
.LBB15_3764:
	v_add_f32_e32 v1, 0x42800000, v3
	s_and_not1_b32 s15, s15, exec_lo
	s_delay_alu instid0(VALU_DEP_1) | instskip(NEXT) | instid1(VALU_DEP_1)
	v_and_b32_e32 v1, 0xff, v1
	v_cmp_ne_u32_e32 vcc_lo, 0, v1
	s_and_b32 s22, vcc_lo, exec_lo
	s_delay_alu instid0(SALU_CYCLE_1)
	s_or_b32 s15, s15, s22
	s_or_b32 exec_lo, exec_lo, s17
	v_mov_b32_e32 v5, 0
	s_and_saveexec_b32 s17, s15
	s_cbranch_execnz .LBB15_3321
	s_branch .LBB15_3322
.LBB15_3765:
	v_bfe_u32 v1, v3, 20, 1
	s_mov_b32 s16, exec_lo
	s_delay_alu instid0(VALU_DEP_1) | instskip(NEXT) | instid1(VALU_DEP_1)
	v_add3_u32 v1, v3, v1, 0x487ffff
                                        ; implicit-def: $vgpr3
	v_lshrrev_b32_e32 v1, 20, v1
	s_and_not1_saveexec_b32 s17, s17
	s_cbranch_execz .LBB15_3426
.LBB15_3766:
	v_add_f32_e32 v1, 0x46000000, v3
	s_and_not1_b32 s16, s16, exec_lo
	s_delay_alu instid0(VALU_DEP_1) | instskip(NEXT) | instid1(VALU_DEP_1)
	v_and_b32_e32 v1, 0xff, v1
	v_cmp_ne_u32_e32 vcc_lo, 0, v1
	s_and_b32 s18, vcc_lo, exec_lo
	s_delay_alu instid0(SALU_CYCLE_1)
	s_or_b32 s16, s16, s18
	s_or_b32 exec_lo, exec_lo, s17
	v_mov_b32_e32 v6, 0
	s_and_saveexec_b32 s17, s16
	s_cbranch_execnz .LBB15_3427
	s_branch .LBB15_3428
.LBB15_3767:
	s_or_b32 s1, s1, exec_lo
	s_trap 2
	s_cbranch_execz .LBB15_3593
	s_branch .LBB15_3594
.LBB15_3768:
	v_bfe_u32 v1, v3, 21, 1
	s_mov_b32 s15, exec_lo
	s_delay_alu instid0(VALU_DEP_1) | instskip(NEXT) | instid1(VALU_DEP_1)
	v_add3_u32 v1, v3, v1, 0x88fffff
                                        ; implicit-def: $vgpr3
	v_lshrrev_b32_e32 v1, 21, v1
	s_and_not1_saveexec_b32 s16, s16
	s_cbranch_execz .LBB15_3439
.LBB15_3769:
	v_add_f32_e32 v1, 0x42800000, v3
	s_and_not1_b32 s15, s15, exec_lo
	s_delay_alu instid0(VALU_DEP_1) | instskip(NEXT) | instid1(VALU_DEP_1)
	v_and_b32_e32 v1, 0xff, v1
	v_cmp_ne_u32_e32 vcc_lo, 0, v1
	s_and_b32 s17, vcc_lo, exec_lo
	s_delay_alu instid0(SALU_CYCLE_1)
	s_or_b32 s15, s15, s17
	s_or_b32 exec_lo, exec_lo, s16
	v_mov_b32_e32 v6, 0
	s_and_saveexec_b32 s16, s15
	s_cbranch_execnz .LBB15_3440
	s_branch .LBB15_3441
.LBB15_3770:
	v_bfe_u32 v1, v4, 20, 1
	s_mov_b32 s16, exec_lo
	s_delay_alu instid0(VALU_DEP_1) | instskip(NEXT) | instid1(VALU_DEP_1)
	v_add3_u32 v1, v4, v1, 0x487ffff
                                        ; implicit-def: $vgpr4
	v_lshrrev_b32_e32 v1, 20, v1
	s_and_not1_saveexec_b32 s17, s17
	s_cbranch_execz .LBB15_3545
.LBB15_3771:
	v_add_f32_e32 v1, 0x46000000, v4
	s_and_not1_b32 s16, s16, exec_lo
	s_delay_alu instid0(VALU_DEP_1) | instskip(NEXT) | instid1(VALU_DEP_1)
	v_and_b32_e32 v1, 0xff, v1
	v_cmp_ne_u32_e32 vcc_lo, 0, v1
	s_and_b32 s18, vcc_lo, exec_lo
	s_delay_alu instid0(SALU_CYCLE_1)
	s_or_b32 s16, s16, s18
	s_or_b32 exec_lo, exec_lo, s17
	v_mov_b32_e32 v5, 0
	s_and_saveexec_b32 s17, s16
	s_cbranch_execnz .LBB15_3546
	s_branch .LBB15_3547
.LBB15_3772:
	s_mov_b32 s2, 0
	s_or_b32 s1, s1, exec_lo
	s_trap 2
	s_branch .LBB15_3711
.LBB15_3773:
	v_bfe_u32 v1, v4, 21, 1
	s_mov_b32 s15, exec_lo
	s_delay_alu instid0(VALU_DEP_1) | instskip(NEXT) | instid1(VALU_DEP_1)
	v_add3_u32 v1, v4, v1, 0x88fffff
                                        ; implicit-def: $vgpr4
	v_lshrrev_b32_e32 v1, 21, v1
	s_and_not1_saveexec_b32 s16, s16
	s_cbranch_execz .LBB15_3558
.LBB15_3774:
	v_add_f32_e32 v1, 0x42800000, v4
	s_and_not1_b32 s15, s15, exec_lo
	s_delay_alu instid0(VALU_DEP_1) | instskip(NEXT) | instid1(VALU_DEP_1)
	v_and_b32_e32 v1, 0xff, v1
	v_cmp_ne_u32_e32 vcc_lo, 0, v1
	s_and_b32 s17, vcc_lo, exec_lo
	s_delay_alu instid0(SALU_CYCLE_1)
	s_or_b32 s15, s15, s17
	s_or_b32 exec_lo, exec_lo, s16
	v_mov_b32_e32 v5, 0
	s_and_saveexec_b32 s16, s15
	s_cbranch_execnz .LBB15_3559
	s_branch .LBB15_3560
.LBB15_3775:
	v_bfe_u32 v0, v1, 20, 1
	s_mov_b32 s5, exec_lo
	s_delay_alu instid0(VALU_DEP_1) | instskip(NEXT) | instid1(VALU_DEP_1)
	v_add3_u32 v0, v1, v0, 0x487ffff
                                        ; implicit-def: $vgpr1
	v_lshrrev_b32_e32 v0, 20, v0
	s_and_not1_saveexec_b32 s6, s6
	s_cbranch_execz .LBB15_3665
.LBB15_3776:
	v_add_f32_e32 v0, 0x46000000, v1
	s_and_not1_b32 s5, s5, exec_lo
	s_delay_alu instid0(VALU_DEP_1) | instskip(NEXT) | instid1(VALU_DEP_1)
	v_and_b32_e32 v0, 0xff, v0
	v_cmp_ne_u32_e32 vcc_lo, 0, v0
	s_and_b32 s7, vcc_lo, exec_lo
	s_delay_alu instid0(SALU_CYCLE_1)
	s_or_b32 s5, s5, s7
	s_or_b32 exec_lo, exec_lo, s6
	v_mov_b32_e32 v4, 0
	s_and_saveexec_b32 s6, s5
	s_cbranch_execnz .LBB15_3666
	s_branch .LBB15_3667
.LBB15_3777:
	v_bfe_u32 v0, v1, 21, 1
	s_mov_b32 s3, exec_lo
	s_delay_alu instid0(VALU_DEP_1) | instskip(NEXT) | instid1(VALU_DEP_1)
	v_add3_u32 v0, v1, v0, 0x88fffff
                                        ; implicit-def: $vgpr1
	v_lshrrev_b32_e32 v0, 21, v0
	s_and_not1_saveexec_b32 s5, s5
	s_cbranch_execz .LBB15_3677
.LBB15_3778:
	v_add_f32_e32 v0, 0x42800000, v1
	s_and_not1_b32 s3, s3, exec_lo
	s_delay_alu instid0(VALU_DEP_1) | instskip(NEXT) | instid1(VALU_DEP_1)
	v_and_b32_e32 v0, 0xff, v0
	v_cmp_ne_u32_e32 vcc_lo, 0, v0
	s_and_b32 s6, vcc_lo, exec_lo
	s_delay_alu instid0(SALU_CYCLE_1)
	s_or_b32 s3, s3, s6
	s_or_b32 exec_lo, exec_lo, s5
	v_mov_b32_e32 v4, 0
	s_and_saveexec_b32 s5, s3
	s_cbranch_execnz .LBB15_3678
	s_branch .LBB15_3679
	.section	.rodata,"a",@progbits
	.p2align	6, 0x0
	.amdhsa_kernel _ZN2at6native32elementwise_kernel_manual_unrollILi128ELi4EZNS0_15gpu_kernel_implIZNS0_12_GLOBAL__N_116addr_kernel_cudaERNS_14TensorIteratorERKN3c106ScalarES9_EUlbbbE0_EEvRNS_18TensorIteratorBaseERKT_EUlibE0_EEviT1_
		.amdhsa_group_segment_fixed_size 0
		.amdhsa_private_segment_fixed_size 0
		.amdhsa_kernarg_size 504
		.amdhsa_user_sgpr_count 2
		.amdhsa_user_sgpr_dispatch_ptr 0
		.amdhsa_user_sgpr_queue_ptr 0
		.amdhsa_user_sgpr_kernarg_segment_ptr 1
		.amdhsa_user_sgpr_dispatch_id 0
		.amdhsa_user_sgpr_kernarg_preload_length 0
		.amdhsa_user_sgpr_kernarg_preload_offset 0
		.amdhsa_user_sgpr_private_segment_size 0
		.amdhsa_wavefront_size32 1
		.amdhsa_uses_dynamic_stack 0
		.amdhsa_enable_private_segment 0
		.amdhsa_system_sgpr_workgroup_id_x 1
		.amdhsa_system_sgpr_workgroup_id_y 0
		.amdhsa_system_sgpr_workgroup_id_z 0
		.amdhsa_system_sgpr_workgroup_info 0
		.amdhsa_system_vgpr_workitem_id 0
		.amdhsa_next_free_vgpr 36
		.amdhsa_next_free_sgpr 76
		.amdhsa_named_barrier_count 0
		.amdhsa_reserve_vcc 1
		.amdhsa_float_round_mode_32 0
		.amdhsa_float_round_mode_16_64 0
		.amdhsa_float_denorm_mode_32 3
		.amdhsa_float_denorm_mode_16_64 3
		.amdhsa_fp16_overflow 0
		.amdhsa_memory_ordered 1
		.amdhsa_forward_progress 1
		.amdhsa_inst_pref_size 255
		.amdhsa_round_robin_scheduling 0
		.amdhsa_exception_fp_ieee_invalid_op 0
		.amdhsa_exception_fp_denorm_src 0
		.amdhsa_exception_fp_ieee_div_zero 0
		.amdhsa_exception_fp_ieee_overflow 0
		.amdhsa_exception_fp_ieee_underflow 0
		.amdhsa_exception_fp_ieee_inexact 0
		.amdhsa_exception_int_div_zero 0
	.end_amdhsa_kernel
	.section	.text._ZN2at6native32elementwise_kernel_manual_unrollILi128ELi4EZNS0_15gpu_kernel_implIZNS0_12_GLOBAL__N_116addr_kernel_cudaERNS_14TensorIteratorERKN3c106ScalarES9_EUlbbbE0_EEvRNS_18TensorIteratorBaseERKT_EUlibE0_EEviT1_,"axG",@progbits,_ZN2at6native32elementwise_kernel_manual_unrollILi128ELi4EZNS0_15gpu_kernel_implIZNS0_12_GLOBAL__N_116addr_kernel_cudaERNS_14TensorIteratorERKN3c106ScalarES9_EUlbbbE0_EEvRNS_18TensorIteratorBaseERKT_EUlibE0_EEviT1_,comdat
.Lfunc_end15:
	.size	_ZN2at6native32elementwise_kernel_manual_unrollILi128ELi4EZNS0_15gpu_kernel_implIZNS0_12_GLOBAL__N_116addr_kernel_cudaERNS_14TensorIteratorERKN3c106ScalarES9_EUlbbbE0_EEvRNS_18TensorIteratorBaseERKT_EUlibE0_EEviT1_, .Lfunc_end15-_ZN2at6native32elementwise_kernel_manual_unrollILi128ELi4EZNS0_15gpu_kernel_implIZNS0_12_GLOBAL__N_116addr_kernel_cudaERNS_14TensorIteratorERKN3c106ScalarES9_EUlbbbE0_EEvRNS_18TensorIteratorBaseERKT_EUlibE0_EEviT1_
                                        ; -- End function
	.set _ZN2at6native32elementwise_kernel_manual_unrollILi128ELi4EZNS0_15gpu_kernel_implIZNS0_12_GLOBAL__N_116addr_kernel_cudaERNS_14TensorIteratorERKN3c106ScalarES9_EUlbbbE0_EEvRNS_18TensorIteratorBaseERKT_EUlibE0_EEviT1_.num_vgpr, 36
	.set _ZN2at6native32elementwise_kernel_manual_unrollILi128ELi4EZNS0_15gpu_kernel_implIZNS0_12_GLOBAL__N_116addr_kernel_cudaERNS_14TensorIteratorERKN3c106ScalarES9_EUlbbbE0_EEvRNS_18TensorIteratorBaseERKT_EUlibE0_EEviT1_.num_agpr, 0
	.set _ZN2at6native32elementwise_kernel_manual_unrollILi128ELi4EZNS0_15gpu_kernel_implIZNS0_12_GLOBAL__N_116addr_kernel_cudaERNS_14TensorIteratorERKN3c106ScalarES9_EUlbbbE0_EEvRNS_18TensorIteratorBaseERKT_EUlibE0_EEviT1_.numbered_sgpr, 76
	.set _ZN2at6native32elementwise_kernel_manual_unrollILi128ELi4EZNS0_15gpu_kernel_implIZNS0_12_GLOBAL__N_116addr_kernel_cudaERNS_14TensorIteratorERKN3c106ScalarES9_EUlbbbE0_EEvRNS_18TensorIteratorBaseERKT_EUlibE0_EEviT1_.num_named_barrier, 0
	.set _ZN2at6native32elementwise_kernel_manual_unrollILi128ELi4EZNS0_15gpu_kernel_implIZNS0_12_GLOBAL__N_116addr_kernel_cudaERNS_14TensorIteratorERKN3c106ScalarES9_EUlbbbE0_EEvRNS_18TensorIteratorBaseERKT_EUlibE0_EEviT1_.private_seg_size, 0
	.set _ZN2at6native32elementwise_kernel_manual_unrollILi128ELi4EZNS0_15gpu_kernel_implIZNS0_12_GLOBAL__N_116addr_kernel_cudaERNS_14TensorIteratorERKN3c106ScalarES9_EUlbbbE0_EEvRNS_18TensorIteratorBaseERKT_EUlibE0_EEviT1_.uses_vcc, 1
	.set _ZN2at6native32elementwise_kernel_manual_unrollILi128ELi4EZNS0_15gpu_kernel_implIZNS0_12_GLOBAL__N_116addr_kernel_cudaERNS_14TensorIteratorERKN3c106ScalarES9_EUlbbbE0_EEvRNS_18TensorIteratorBaseERKT_EUlibE0_EEviT1_.uses_flat_scratch, 0
	.set _ZN2at6native32elementwise_kernel_manual_unrollILi128ELi4EZNS0_15gpu_kernel_implIZNS0_12_GLOBAL__N_116addr_kernel_cudaERNS_14TensorIteratorERKN3c106ScalarES9_EUlbbbE0_EEvRNS_18TensorIteratorBaseERKT_EUlibE0_EEviT1_.has_dyn_sized_stack, 0
	.set _ZN2at6native32elementwise_kernel_manual_unrollILi128ELi4EZNS0_15gpu_kernel_implIZNS0_12_GLOBAL__N_116addr_kernel_cudaERNS_14TensorIteratorERKN3c106ScalarES9_EUlbbbE0_EEvRNS_18TensorIteratorBaseERKT_EUlibE0_EEviT1_.has_recursion, 0
	.set _ZN2at6native32elementwise_kernel_manual_unrollILi128ELi4EZNS0_15gpu_kernel_implIZNS0_12_GLOBAL__N_116addr_kernel_cudaERNS_14TensorIteratorERKN3c106ScalarES9_EUlbbbE0_EEvRNS_18TensorIteratorBaseERKT_EUlibE0_EEviT1_.has_indirect_call, 0
	.section	.AMDGPU.csdata,"",@progbits
; Kernel info:
; codeLenInByte = 63488
; TotalNumSgprs: 78
; NumVgprs: 36
; ScratchSize: 0
; MemoryBound: 1
; FloatMode: 240
; IeeeMode: 1
; LDSByteSize: 0 bytes/workgroup (compile time only)
; SGPRBlocks: 0
; VGPRBlocks: 2
; NumSGPRsForWavesPerEU: 78
; NumVGPRsForWavesPerEU: 36
; NamedBarCnt: 0
; Occupancy: 16
; WaveLimiterHint : 1
; COMPUTE_PGM_RSRC2:SCRATCH_EN: 0
; COMPUTE_PGM_RSRC2:USER_SGPR: 2
; COMPUTE_PGM_RSRC2:TRAP_HANDLER: 0
; COMPUTE_PGM_RSRC2:TGID_X_EN: 1
; COMPUTE_PGM_RSRC2:TGID_Y_EN: 0
; COMPUTE_PGM_RSRC2:TGID_Z_EN: 0
; COMPUTE_PGM_RSRC2:TIDIG_COMP_CNT: 0
	.section	.text._ZN2at6native29vectorized_elementwise_kernelILi16EZZZNS0_12_GLOBAL__N_116addr_kernel_cudaERNS_14TensorIteratorERKN3c106ScalarES8_ENKUlvE_clEvENKUlvE_clEvEUlhhhE_St5arrayIPcLm4EEEEviT0_T1_,"axG",@progbits,_ZN2at6native29vectorized_elementwise_kernelILi16EZZZNS0_12_GLOBAL__N_116addr_kernel_cudaERNS_14TensorIteratorERKN3c106ScalarES8_ENKUlvE_clEvENKUlvE_clEvEUlhhhE_St5arrayIPcLm4EEEEviT0_T1_,comdat
	.globl	_ZN2at6native29vectorized_elementwise_kernelILi16EZZZNS0_12_GLOBAL__N_116addr_kernel_cudaERNS_14TensorIteratorERKN3c106ScalarES8_ENKUlvE_clEvENKUlvE_clEvEUlhhhE_St5arrayIPcLm4EEEEviT0_T1_ ; -- Begin function _ZN2at6native29vectorized_elementwise_kernelILi16EZZZNS0_12_GLOBAL__N_116addr_kernel_cudaERNS_14TensorIteratorERKN3c106ScalarES8_ENKUlvE_clEvENKUlvE_clEvEUlhhhE_St5arrayIPcLm4EEEEviT0_T1_
	.p2align	8
	.type	_ZN2at6native29vectorized_elementwise_kernelILi16EZZZNS0_12_GLOBAL__N_116addr_kernel_cudaERNS_14TensorIteratorERKN3c106ScalarES8_ENKUlvE_clEvENKUlvE_clEvEUlhhhE_St5arrayIPcLm4EEEEviT0_T1_,@function
_ZN2at6native29vectorized_elementwise_kernelILi16EZZZNS0_12_GLOBAL__N_116addr_kernel_cudaERNS_14TensorIteratorERKN3c106ScalarES8_ENKUlvE_clEvENKUlvE_clEvEUlhhhE_St5arrayIPcLm4EEEEviT0_T1_: ; @_ZN2at6native29vectorized_elementwise_kernelILi16EZZZNS0_12_GLOBAL__N_116addr_kernel_cudaERNS_14TensorIteratorERKN3c106ScalarES8_ENKUlvE_clEvENKUlvE_clEvEUlhhhE_St5arrayIPcLm4EEEEviT0_T1_
; %bb.0:
	s_clause 0x1
	s_load_b128 s[4:7], s[0:1], 0x0
	s_load_b128 s[8:11], s[0:1], 0x18
	s_wait_xcnt 0x0
	s_bfe_u32 s0, ttmp6, 0x4000c
	s_and_b32 s1, ttmp6, 15
	s_add_co_i32 s0, s0, 1
	s_getreg_b32 s2, hwreg(HW_REG_IB_STS2, 6, 4)
	s_mul_i32 s0, ttmp9, s0
	s_delay_alu instid0(SALU_CYCLE_1) | instskip(SKIP_2) | instid1(SALU_CYCLE_1)
	s_add_co_i32 s1, s1, s0
	s_cmp_eq_u32 s2, 0
	s_cselect_b32 s0, ttmp9, s1
	s_lshl_b32 s2, s0, 12
	s_mov_b32 s0, -1
	s_wait_kmcnt 0x0
	s_sub_co_i32 s1, s4, s2
	s_delay_alu instid0(SALU_CYCLE_1)
	s_cmp_gt_i32 s1, 0xfff
	s_cbranch_scc0 .LBB16_2
; %bb.1:
	s_ashr_i32 s3, s2, 31
	s_mov_b32 s0, 0
	s_add_nc_u64 s[12:13], s[8:9], s[2:3]
	global_load_b128 v[2:5], v0, s[12:13] scale_offset
	s_wait_xcnt 0x0
	s_add_nc_u64 s[12:13], s[10:11], s[2:3]
	global_load_b128 v[6:9], v0, s[12:13] scale_offset
	s_wait_xcnt 0x0
	s_add_nc_u64 s[12:13], s[6:7], s[2:3]
	s_wait_loadcnt 0x1
	v_lshrrev_b16 v1, 8, v3
	v_dual_lshrrev_b32 v10, 16, v3 :: v_dual_lshrrev_b32 v11, 24, v3
	v_lshrrev_b16 v12, 8, v2
	v_dual_lshrrev_b32 v13, 16, v2 :: v_dual_lshrrev_b32 v14, 24, v2
	;; [unrolled: 2-line block ×4, first 2 shown]
	v_mul_lo_u16 v2, v2, s5
	s_wait_loadcnt 0x0
	v_dual_lshrrev_b32 v21, 24, v6 :: v_dual_lshrrev_b32 v22, 16, v6
	v_lshrrev_b16 v23, 8, v6
	v_dual_lshrrev_b32 v24, 24, v7 :: v_dual_lshrrev_b32 v25, 16, v7
	v_lshrrev_b16 v26, 8, v7
	;; [unrolled: 2-line block ×4, first 2 shown]
	v_mul_lo_u16 v3, v3, s5
	v_mul_lo_u16 v4, v4, s5
	;; [unrolled: 1-line block ×31, first 2 shown]
	v_lshlrev_b16 v1, 8, v1
	v_lshlrev_b16 v9, 8, v9
	;; [unrolled: 1-line block ×8, first 2 shown]
	v_bitop3_b16 v1, v3, v1, 0xff bitop3:0xec
	v_bitop3_b16 v3, v8, v9, 0xff bitop3:0xec
	;; [unrolled: 1-line block ×8, first 2 shown]
	v_and_b32_e32 v1, 0xffff, v1
	v_dual_lshlrev_b32 v3, 16, v3 :: v_dual_lshlrev_b32 v7, 16, v8
	v_and_b32_e32 v2, 0xffff, v2
	v_and_b32_e32 v5, 0xffff, v5
	v_dual_lshlrev_b32 v8, 16, v9 :: v_dual_lshlrev_b32 v6, 16, v6
	v_and_b32_e32 v4, 0xffff, v4
	v_or_b32_e32 v3, v1, v3
	v_or_b32_e32 v2, v2, v7
	s_delay_alu instid0(VALU_DEP_4) | instskip(NEXT) | instid1(VALU_DEP_4)
	v_or_b32_e32 v5, v5, v8
	v_or_b32_e32 v4, v4, v6
	global_store_b128 v0, v[2:5], s[12:13] scale_offset
.LBB16_2:
	s_and_not1_b32 vcc_lo, exec_lo, s0
	s_cbranch_vccnz .LBB16_83
; %bb.3:
	v_cmp_gt_i32_e32 vcc_lo, s1, v0
	v_dual_mov_b32 v38, 0 :: v_dual_bitop2_b32 v1, s2, v0 bitop3:0x54
	v_or_b32_e32 v8, 0x100, v0
	v_dual_mov_b32 v37, 0 :: v_dual_mov_b32 v36, 0
	v_dual_mov_b32 v35, 0 :: v_dual_mov_b32 v34, 0
	v_dual_mov_b32 v33, 0 :: v_dual_mov_b32 v32, 0
	v_dual_mov_b32 v31, 0 :: v_dual_mov_b32 v30, 0
	v_dual_mov_b32 v26, 0 :: v_dual_mov_b32 v27, 0
	v_dual_mov_b32 v21, 0 :: v_dual_mov_b32 v22, 0
	v_dual_mov_b32 v18, 0 :: v_dual_mov_b32 v20, 0
	v_dual_mov_b32 v13, 0 :: v_dual_mov_b32 v17, 0
	v_dual_mov_b32 v11, 0 :: v_dual_mov_b32 v15, 0
	v_dual_mov_b32 v9, 0 :: v_dual_mov_b32 v14, 0
	v_dual_mov_b32 v10, 0 :: v_dual_mov_b32 v16, 0
	v_dual_mov_b32 v12, 0 :: v_dual_mov_b32 v19, 0
	s_wait_xcnt 0x0
	v_dual_mov_b32 v4, 0 :: v_dual_mov_b32 v23, 0
	v_dual_mov_b32 v3, 0 :: v_dual_mov_b32 v25, 0
	;; [unrolled: 1-line block ×3, first 2 shown]
	v_mov_b32_e32 v29, 0
	s_and_saveexec_b32 s3, vcc_lo
	s_cbranch_execz .LBB16_35
; %bb.4:
	s_clause 0x1
	global_load_u8 v28, v1, s[8:9]
	global_load_u8 v29, v1, s[10:11]
	v_or_b32_e32 v2, 0x100, v0
	v_dual_mov_b32 v24, 0 :: v_dual_mov_b32 v25, 0
	v_dual_mov_b32 v3, 0 :: v_dual_mov_b32 v23, 0
	s_delay_alu instid0(VALU_DEP_3)
	v_cmp_gt_u32_e64 s0, s1, v2
	v_dual_mov_b32 v4, 0 :: v_dual_mov_b32 v19, 0
	v_dual_mov_b32 v12, 0 :: v_dual_mov_b32 v16, 0
	;; [unrolled: 1-line block ×13, first 2 shown]
	s_wait_xcnt 0x0
	s_and_saveexec_b32 s4, s0
	s_cbranch_execz .LBB16_34
; %bb.5:
	v_dual_mov_b32 v3, 0 :: v_dual_add_nc_u32 v2, s2, v0
	v_or_b32_e32 v4, 0x200, v0
	v_dual_mov_b32 v23, 0 :: v_dual_mov_b32 v19, 0
	v_mov_b32_e32 v12, 0
	s_clause 0x1
	global_load_u8 v25, v2, s[8:9] offset:256
	global_load_u8 v24, v2, s[10:11] offset:256
	v_cmp_gt_u32_e64 s0, s1, v4
	v_dual_mov_b32 v4, 0 :: v_dual_mov_b32 v16, 0
	v_dual_mov_b32 v10, 0 :: v_dual_mov_b32 v14, 0
	;; [unrolled: 1-line block ×12, first 2 shown]
	s_wait_xcnt 0x0
	s_and_saveexec_b32 s12, s0
	s_cbranch_execz .LBB16_33
; %bb.6:
	v_add_nc_u64_e32 v[4:5], s[8:9], v[2:3]
	v_add_nc_u64_e32 v[6:7], s[10:11], v[2:3]
	v_or_b32_e32 v9, 0x300, v0
	v_dual_mov_b32 v19, 0 :: v_dual_mov_b32 v12, 0
	v_dual_mov_b32 v16, 0 :: v_dual_mov_b32 v10, 0
	global_load_u8 v23, v[4:5], off offset:512
	global_load_u8 v2, v[6:7], off offset:512
	v_cmp_gt_u32_e64 s0, s1, v9
	v_dual_mov_b32 v14, 0 :: v_dual_mov_b32 v9, 0
	v_dual_mov_b32 v15, 0 :: v_dual_mov_b32 v11, 0
	;; [unrolled: 1-line block ×10, first 2 shown]
	v_mov_b32_e32 v38, 0
	s_wait_xcnt 0x0
	s_and_saveexec_b32 s8, s0
	s_cbranch_execz .LBB16_32
; %bb.7:
	global_load_u8 v19, v[4:5], off offset:768
	global_load_u8 v3, v[6:7], off offset:768
	v_or_b32_e32 v9, 0x400, v0
	v_dual_mov_b32 v12, 0 :: v_dual_mov_b32 v16, 0
	v_dual_mov_b32 v10, 0 :: v_dual_mov_b32 v14, 0
	s_delay_alu instid0(VALU_DEP_3)
	v_cmp_gt_u32_e64 s0, s1, v9
	v_dual_mov_b32 v9, 0 :: v_dual_mov_b32 v15, 0
	v_dual_mov_b32 v11, 0 :: v_dual_mov_b32 v17, 0
	;; [unrolled: 1-line block ×10, first 2 shown]
	s_wait_xcnt 0x0
	s_and_saveexec_b32 s9, s0
	s_cbranch_execz .LBB16_31
; %bb.8:
	global_load_u8 v16, v[4:5], off offset:1024
	global_load_u8 v12, v[6:7], off offset:1024
	v_or_b32_e32 v9, 0x500, v0
	v_dual_mov_b32 v10, 0 :: v_dual_mov_b32 v14, 0
	v_dual_mov_b32 v11, 0 :: v_dual_mov_b32 v17, 0
	s_delay_alu instid0(VALU_DEP_3)
	v_cmp_gt_u32_e64 s0, s1, v9
	v_dual_mov_b32 v9, 0 :: v_dual_mov_b32 v15, 0
	v_dual_mov_b32 v13, 0 :: v_dual_mov_b32 v20, 0
	;; [unrolled: 1-line block ×9, first 2 shown]
	s_wait_xcnt 0x0
	s_and_saveexec_b32 s10, s0
	s_cbranch_execz .LBB16_30
; %bb.9:
	global_load_u8 v14, v[4:5], off offset:1280
	global_load_u8 v10, v[6:7], off offset:1280
	v_or_b32_e32 v9, 0x600, v0
	v_dual_mov_b32 v11, 0 :: v_dual_mov_b32 v17, 0
	v_dual_mov_b32 v13, 0 :: v_dual_mov_b32 v20, 0
	s_delay_alu instid0(VALU_DEP_3)
	v_cmp_gt_u32_e64 s0, s1, v9
	v_dual_mov_b32 v9, 0 :: v_dual_mov_b32 v15, 0
	v_dual_mov_b32 v18, 0 :: v_dual_mov_b32 v22, 0
	;; [unrolled: 1-line block ×8, first 2 shown]
	s_wait_xcnt 0x0
	s_and_saveexec_b32 s11, s0
	s_cbranch_execz .LBB16_29
; %bb.10:
	global_load_u8 v15, v[4:5], off offset:1536
	global_load_u8 v9, v[6:7], off offset:1536
	v_or_b32_e32 v11, 0x700, v0
	v_dual_mov_b32 v13, 0 :: v_dual_mov_b32 v20, 0
	v_dual_mov_b32 v18, 0 :: v_dual_mov_b32 v22, 0
	s_delay_alu instid0(VALU_DEP_3)
	v_cmp_gt_u32_e64 s0, s1, v11
	v_dual_mov_b32 v11, 0 :: v_dual_mov_b32 v17, 0
	v_dual_mov_b32 v21, 0 :: v_dual_mov_b32 v27, 0
	;; [unrolled: 1-line block ×7, first 2 shown]
	s_wait_xcnt 0x0
	s_and_saveexec_b32 s13, s0
	s_cbranch_execz .LBB16_28
; %bb.11:
	global_load_u8 v17, v[4:5], off offset:1792
	global_load_u8 v11, v[6:7], off offset:1792
	v_or_b32_e32 v13, 0x800, v0
	v_dual_mov_b32 v18, 0 :: v_dual_mov_b32 v22, 0
	v_dual_mov_b32 v21, 0 :: v_dual_mov_b32 v27, 0
	s_delay_alu instid0(VALU_DEP_3)
	v_cmp_gt_u32_e64 s0, s1, v13
	v_dual_mov_b32 v13, 0 :: v_dual_mov_b32 v20, 0
	v_dual_mov_b32 v26, 0 :: v_dual_mov_b32 v30, 0
	;; [unrolled: 1-line block ×6, first 2 shown]
	s_wait_xcnt 0x0
	s_and_saveexec_b32 s14, s0
	s_cbranch_execz .LBB16_27
; %bb.12:
	global_load_u8 v20, v[4:5], off offset:2048
	global_load_u8 v13, v[6:7], off offset:2048
	v_or_b32_e32 v18, 0x900, v0
	v_dual_mov_b32 v21, 0 :: v_dual_mov_b32 v27, 0
	v_dual_mov_b32 v26, 0 :: v_dual_mov_b32 v30, 0
	s_delay_alu instid0(VALU_DEP_3)
	v_cmp_gt_u32_e64 s0, s1, v18
	v_dual_mov_b32 v18, 0 :: v_dual_mov_b32 v22, 0
	v_dual_mov_b32 v31, 0 :: v_dual_mov_b32 v32, 0
	;; [unrolled: 1-line block ×5, first 2 shown]
	s_wait_xcnt 0x0
	s_and_saveexec_b32 s15, s0
	s_cbranch_execz .LBB16_26
; %bb.13:
	global_load_u8 v22, v[4:5], off offset:2304
	global_load_u8 v18, v[6:7], off offset:2304
	v_or_b32_e32 v21, 0xa00, v0
	v_dual_mov_b32 v26, 0 :: v_dual_mov_b32 v30, 0
	v_dual_mov_b32 v31, 0 :: v_dual_mov_b32 v32, 0
	s_delay_alu instid0(VALU_DEP_3)
	v_cmp_gt_u32_e64 s0, s1, v21
	v_dual_mov_b32 v21, 0 :: v_dual_mov_b32 v27, 0
	v_dual_mov_b32 v33, 0 :: v_dual_mov_b32 v34, 0
	v_dual_mov_b32 v35, 0 :: v_dual_mov_b32 v36, 0
	v_dual_mov_b32 v37, 0 :: v_dual_mov_b32 v38, 0
	s_wait_xcnt 0x0
	s_and_saveexec_b32 s16, s0
	s_cbranch_execz .LBB16_25
; %bb.14:
	global_load_u8 v27, v[4:5], off offset:2560
	global_load_u8 v21, v[6:7], off offset:2560
	v_or_b32_e32 v26, 0xb00, v0
	v_dual_mov_b32 v31, 0 :: v_dual_mov_b32 v32, 0
	v_dual_mov_b32 v33, 0 :: v_dual_mov_b32 v34, 0
	s_delay_alu instid0(VALU_DEP_3)
	v_cmp_gt_u32_e64 s0, s1, v26
	v_dual_mov_b32 v26, 0 :: v_dual_mov_b32 v30, 0
	v_dual_mov_b32 v35, 0 :: v_dual_mov_b32 v36, 0
	;; [unrolled: 1-line block ×3, first 2 shown]
	s_wait_xcnt 0x0
	s_and_saveexec_b32 s17, s0
	s_cbranch_execz .LBB16_24
; %bb.15:
	global_load_u8 v30, v[4:5], off offset:2816
	global_load_u8 v26, v[6:7], off offset:2816
	v_or_b32_e32 v31, 0xc00, v0
	v_dual_mov_b32 v33, 0 :: v_dual_mov_b32 v34, 0
	v_dual_mov_b32 v35, 0 :: v_dual_mov_b32 v36, 0
	s_delay_alu instid0(VALU_DEP_3)
	v_cmp_gt_u32_e64 s0, s1, v31
	v_dual_mov_b32 v31, 0 :: v_dual_mov_b32 v32, 0
	v_dual_mov_b32 v37, 0 :: v_dual_mov_b32 v38, 0
	s_wait_xcnt 0x0
	s_and_saveexec_b32 s18, s0
	s_cbranch_execz .LBB16_23
; %bb.16:
	global_load_u8 v32, v[4:5], off offset:3072
	global_load_u8 v31, v[6:7], off offset:3072
	v_or_b32_e32 v33, 0xd00, v0
	v_dual_mov_b32 v35, 0 :: v_dual_mov_b32 v36, 0
	v_dual_mov_b32 v37, 0 :: v_dual_mov_b32 v38, 0
	s_delay_alu instid0(VALU_DEP_3)
	v_cmp_gt_u32_e64 s0, s1, v33
	v_dual_mov_b32 v33, 0 :: v_dual_mov_b32 v34, 0
	s_wait_xcnt 0x0
	s_and_saveexec_b32 s19, s0
	s_cbranch_execz .LBB16_22
; %bb.17:
	global_load_u8 v34, v[4:5], off offset:3328
	global_load_u8 v33, v[6:7], off offset:3328
	v_or_b32_e32 v35, 0xe00, v0
	v_dual_mov_b32 v37, 0 :: v_dual_mov_b32 v38, 0
	v_mov_b32_e32 v36, 0
	s_delay_alu instid0(VALU_DEP_3)
	v_cmp_gt_u32_e64 s0, s1, v35
	v_mov_b32_e32 v35, 0
	s_wait_xcnt 0x0
	s_and_saveexec_b32 s20, s0
	s_cbranch_execz .LBB16_21
; %bb.18:
	global_load_u8 v36, v[4:5], off offset:3584
	global_load_u8 v35, v[6:7], off offset:3584
	v_or_b32_e32 v37, 0xf00, v0
	v_mov_b32_e32 v38, 0
	s_delay_alu instid0(VALU_DEP_2)
	v_cmp_gt_u32_e64 s0, s1, v37
	v_mov_b32_e32 v37, 0
	s_wait_xcnt 0x0
	s_and_saveexec_b32 s21, s0
	s_cbranch_execz .LBB16_20
; %bb.19:
	global_load_u8 v38, v[4:5], off offset:3840
	global_load_u8 v37, v[6:7], off offset:3840
.LBB16_20:
	s_wait_xcnt 0x0
	s_or_b32 exec_lo, exec_lo, s21
.LBB16_21:
	s_delay_alu instid0(SALU_CYCLE_1)
	s_or_b32 exec_lo, exec_lo, s20
.LBB16_22:
	s_delay_alu instid0(SALU_CYCLE_1)
	s_or_b32 exec_lo, exec_lo, s19
.LBB16_23:
	s_delay_alu instid0(SALU_CYCLE_1)
	s_or_b32 exec_lo, exec_lo, s18
.LBB16_24:
	s_delay_alu instid0(SALU_CYCLE_1)
	s_or_b32 exec_lo, exec_lo, s17
.LBB16_25:
	s_delay_alu instid0(SALU_CYCLE_1)
	s_or_b32 exec_lo, exec_lo, s16
.LBB16_26:
	s_delay_alu instid0(SALU_CYCLE_1)
	s_or_b32 exec_lo, exec_lo, s15
.LBB16_27:
	s_delay_alu instid0(SALU_CYCLE_1)
	s_or_b32 exec_lo, exec_lo, s14
.LBB16_28:
	s_delay_alu instid0(SALU_CYCLE_1)
	s_or_b32 exec_lo, exec_lo, s13
.LBB16_29:
	s_delay_alu instid0(SALU_CYCLE_1)
	s_or_b32 exec_lo, exec_lo, s11
.LBB16_30:
	s_delay_alu instid0(SALU_CYCLE_1)
	s_or_b32 exec_lo, exec_lo, s10
.LBB16_31:
	s_delay_alu instid0(SALU_CYCLE_1)
	s_or_b32 exec_lo, exec_lo, s9
.LBB16_32:
	s_delay_alu instid0(SALU_CYCLE_1)
	s_or_b32 exec_lo, exec_lo, s8
	s_wait_loadcnt 0x0
	v_dual_mov_b32 v4, v3 :: v_dual_mov_b32 v3, v2
.LBB16_33:
	s_or_b32 exec_lo, exec_lo, s12
.LBB16_34:
	s_delay_alu instid0(SALU_CYCLE_1) | instskip(NEXT) | instid1(SALU_CYCLE_1)
	s_or_b32 exec_lo, exec_lo, s4
	s_or_b32 exec_lo, exec_lo, s3
                                        ; implicit-def: $vgpr2
	s_and_saveexec_b32 s0, vcc_lo
	s_cbranch_execz .LBB16_37
	s_branch .LBB16_36
.LBB16_35:
	s_or_b32 exec_lo, exec_lo, s3
                                        ; implicit-def: $vgpr2
	s_and_saveexec_b32 s0, vcc_lo
	s_cbranch_execz .LBB16_37
.LBB16_36:
	s_wait_loadcnt 0x1
	v_mul_lo_u16 v2, v28, s5
	s_wait_loadcnt 0x0
	s_delay_alu instid0(VALU_DEP_1)
	v_mul_lo_u16 v2, v2, v29
.LBB16_37:
	s_or_b32 exec_lo, exec_lo, s0
	s_delay_alu instid0(SALU_CYCLE_1)
	s_mov_b32 s3, exec_lo
                                        ; implicit-def: $vgpr5
	v_cmpx_gt_i32_e64 s1, v8
	s_cbranch_execz .LBB16_39
; %bb.38:
	s_wait_loadcnt 0x1
	v_mul_lo_u16 v5, v25, s5
	s_wait_loadcnt 0x0
	s_delay_alu instid0(VALU_DEP_1)
	v_mul_lo_u16 v5, v5, v24
.LBB16_39:
	s_or_b32 exec_lo, exec_lo, s3
	v_or_b32_e32 v6, 0x200, v0
	s_delay_alu instid0(VALU_DEP_1)
	v_cmp_gt_i32_e64 s0, s1, v6
                                        ; implicit-def: $vgpr6
	s_and_saveexec_b32 s3, s0
; %bb.40:
	v_mul_lo_u16 v6, v23, s5
	s_delay_alu instid0(VALU_DEP_1)
	v_mul_lo_u16 v6, v6, v3
; %bb.41:
	s_or_b32 exec_lo, exec_lo, s3
	v_or_b32_e32 v3, 0x300, v0
	s_delay_alu instid0(VALU_DEP_1)
	v_cmp_gt_i32_e64 s0, s1, v3
                                        ; implicit-def: $vgpr3
	s_and_saveexec_b32 s3, s0
; %bb.42:
	v_mul_lo_u16 v3, v19, s5
	s_delay_alu instid0(VALU_DEP_1)
	v_mul_lo_u16 v3, v3, v4
; %bb.43:
	s_or_b32 exec_lo, exec_lo, s3
	v_or_b32_e32 v4, 0x400, v0
	s_delay_alu instid0(VALU_DEP_1)
	v_cmp_gt_i32_e64 s0, s1, v4
                                        ; implicit-def: $vgpr4
	s_and_saveexec_b32 s3, s0
; %bb.44:
	v_mul_lo_u16 v4, v16, s5
	s_delay_alu instid0(VALU_DEP_1)
	v_mul_lo_u16 v4, v4, v12
; %bb.45:
	s_or_b32 exec_lo, exec_lo, s3
	v_or_b32_e32 v7, 0x500, v0
	s_delay_alu instid0(VALU_DEP_1)
	v_cmp_gt_i32_e64 s0, s1, v7
                                        ; implicit-def: $vgpr7
	s_and_saveexec_b32 s3, s0
; %bb.46:
	v_mul_lo_u16 v7, v14, s5
	s_delay_alu instid0(VALU_DEP_1)
	v_mul_lo_u16 v7, v7, v10
; %bb.47:
	s_or_b32 exec_lo, exec_lo, s3
	v_or_b32_e32 v10, 0x600, v0
	s_delay_alu instid0(VALU_DEP_1)
	v_cmp_gt_i32_e64 s0, s1, v10
                                        ; implicit-def: $vgpr10
	s_and_saveexec_b32 s3, s0
; %bb.48:
	v_mul_lo_u16 v10, v15, s5
	s_delay_alu instid0(VALU_DEP_1)
	v_mul_lo_u16 v10, v10, v9
; %bb.49:
	s_or_b32 exec_lo, exec_lo, s3
	v_or_b32_e32 v9, 0x700, v0
	s_delay_alu instid0(VALU_DEP_1)
	v_cmp_gt_i32_e64 s0, s1, v9
                                        ; implicit-def: $vgpr9
	s_and_saveexec_b32 s3, s0
; %bb.50:
	v_mul_lo_u16 v9, v17, s5
	s_delay_alu instid0(VALU_DEP_1)
	v_mul_lo_u16 v9, v9, v11
; %bb.51:
	s_or_b32 exec_lo, exec_lo, s3
	v_or_b32_e32 v11, 0x800, v0
	s_delay_alu instid0(VALU_DEP_1)
	v_cmp_gt_i32_e64 s0, s1, v11
                                        ; implicit-def: $vgpr11
	s_and_saveexec_b32 s3, s0
; %bb.52:
	v_mul_lo_u16 v11, v20, s5
	s_delay_alu instid0(VALU_DEP_1)
	v_mul_lo_u16 v11, v11, v13
; %bb.53:
	s_or_b32 exec_lo, exec_lo, s3
	v_or_b32_e32 v12, 0x900, v0
	s_delay_alu instid0(VALU_DEP_1)
	v_cmp_gt_i32_e64 s0, s1, v12
                                        ; implicit-def: $vgpr12
	s_and_saveexec_b32 s3, s0
; %bb.54:
	v_mul_lo_u16 v12, v22, s5
	s_delay_alu instid0(VALU_DEP_1)
	v_mul_lo_u16 v12, v12, v18
; %bb.55:
	s_or_b32 exec_lo, exec_lo, s3
	v_or_b32_e32 v13, 0xa00, v0
	s_delay_alu instid0(VALU_DEP_1)
	v_cmp_gt_i32_e64 s0, s1, v13
                                        ; implicit-def: $vgpr13
	s_and_saveexec_b32 s3, s0
; %bb.56:
	v_mul_lo_u16 v13, v27, s5
	s_delay_alu instid0(VALU_DEP_1)
	v_mul_lo_u16 v13, v13, v21
; %bb.57:
	s_or_b32 exec_lo, exec_lo, s3
	v_or_b32_e32 v14, 0xb00, v0
	s_delay_alu instid0(VALU_DEP_1)
	v_cmp_gt_i32_e64 s0, s1, v14
                                        ; implicit-def: $vgpr14
	s_and_saveexec_b32 s3, s0
; %bb.58:
	v_mul_lo_u16 v14, v30, s5
	s_delay_alu instid0(VALU_DEP_1)
	v_mul_lo_u16 v14, v14, v26
; %bb.59:
	s_or_b32 exec_lo, exec_lo, s3
	v_or_b32_e32 v15, 0xc00, v0
	s_delay_alu instid0(VALU_DEP_1)
	v_cmp_gt_i32_e64 s0, s1, v15
                                        ; implicit-def: $vgpr15
	s_and_saveexec_b32 s3, s0
; %bb.60:
	v_mul_lo_u16 v15, v32, s5
	s_delay_alu instid0(VALU_DEP_1)
	v_mul_lo_u16 v15, v15, v31
; %bb.61:
	s_or_b32 exec_lo, exec_lo, s3
	v_or_b32_e32 v16, 0xd00, v0
	s_delay_alu instid0(VALU_DEP_1)
	v_cmp_gt_i32_e64 s0, s1, v16
                                        ; implicit-def: $vgpr16
	s_and_saveexec_b32 s3, s0
; %bb.62:
	v_mul_lo_u16 v16, v34, s5
	s_delay_alu instid0(VALU_DEP_1)
	v_mul_lo_u16 v16, v16, v33
; %bb.63:
	s_or_b32 exec_lo, exec_lo, s3
	v_or_b32_e32 v17, 0xe00, v0
	s_delay_alu instid0(VALU_DEP_1)
	v_cmp_gt_i32_e64 s0, s1, v17
                                        ; implicit-def: $vgpr17
	s_and_saveexec_b32 s3, s0
; %bb.64:
	v_mul_lo_u16 v17, v36, s5
	s_delay_alu instid0(VALU_DEP_1)
	v_mul_lo_u16 v17, v17, v35
; %bb.65:
	s_or_b32 exec_lo, exec_lo, s3
	v_or_b32_e32 v18, 0xf00, v0
	s_delay_alu instid0(VALU_DEP_1)
	v_cmp_gt_i32_e64 s0, s1, v18
                                        ; implicit-def: $vgpr18
	s_and_saveexec_b32 s3, s0
	s_cbranch_execz .LBB16_84
; %bb.66:
	v_mul_lo_u16 v18, v38, s5
	s_delay_alu instid0(VALU_DEP_1) | instskip(SKIP_2) | instid1(SALU_CYCLE_1)
	v_mul_lo_u16 v18, v18, v37
	s_or_b32 exec_lo, exec_lo, s3
	s_and_saveexec_b32 s0, vcc_lo
	s_xor_b32 s0, exec_lo, s0
	s_cbranch_execnz .LBB16_85
.LBB16_67:
	s_or_b32 exec_lo, exec_lo, s0
	s_delay_alu instid0(SALU_CYCLE_1)
	s_mov_b32 s0, exec_lo
	v_cmpx_gt_i32_e64 s1, v0
	s_cbranch_execz .LBB16_86
.LBB16_68:
	v_add_nc_u32_e32 v1, s2, v0
	v_add_nc_u32_e32 v0, 0x100, v0
	global_store_b8 v1, v5, s[6:7]
	s_wait_xcnt 0x0
	s_or_b32 exec_lo, exec_lo, s0
	s_delay_alu instid0(SALU_CYCLE_1)
	s_mov_b32 s0, exec_lo
	v_cmpx_gt_i32_e64 s1, v0
	s_cbranch_execnz .LBB16_87
.LBB16_69:
	s_or_b32 exec_lo, exec_lo, s0
	s_delay_alu instid0(SALU_CYCLE_1)
	s_mov_b32 s0, exec_lo
	v_cmpx_gt_i32_e64 s1, v0
	s_cbranch_execz .LBB16_88
.LBB16_70:
	v_add_nc_u32_e32 v1, s2, v0
	v_add_nc_u32_e32 v0, 0x100, v0
	global_store_b8 v1, v3, s[6:7]
	s_wait_xcnt 0x0
	s_or_b32 exec_lo, exec_lo, s0
	s_delay_alu instid0(SALU_CYCLE_1)
	s_mov_b32 s0, exec_lo
	v_cmpx_gt_i32_e64 s1, v0
	s_cbranch_execnz .LBB16_89
.LBB16_71:
	s_or_b32 exec_lo, exec_lo, s0
	s_delay_alu instid0(SALU_CYCLE_1)
	s_mov_b32 s0, exec_lo
	v_cmpx_gt_i32_e64 s1, v0
	s_cbranch_execz .LBB16_90
.LBB16_72:
	v_add_nc_u32_e32 v1, s2, v0
	v_add_nc_u32_e32 v0, 0x100, v0
	global_store_b8 v1, v7, s[6:7]
	s_wait_xcnt 0x0
	s_or_b32 exec_lo, exec_lo, s0
	s_delay_alu instid0(SALU_CYCLE_1)
	s_mov_b32 s0, exec_lo
	v_cmpx_gt_i32_e64 s1, v0
	s_cbranch_execnz .LBB16_91
.LBB16_73:
	s_or_b32 exec_lo, exec_lo, s0
	s_delay_alu instid0(SALU_CYCLE_1)
	s_mov_b32 s0, exec_lo
	v_cmpx_gt_i32_e64 s1, v0
	s_cbranch_execz .LBB16_92
.LBB16_74:
	v_add_nc_u32_e32 v1, s2, v0
	v_add_nc_u32_e32 v0, 0x100, v0
	global_store_b8 v1, v9, s[6:7]
	s_wait_xcnt 0x0
	s_or_b32 exec_lo, exec_lo, s0
	s_delay_alu instid0(SALU_CYCLE_1)
	s_mov_b32 s0, exec_lo
	v_cmpx_gt_i32_e64 s1, v0
	s_cbranch_execnz .LBB16_93
.LBB16_75:
	s_or_b32 exec_lo, exec_lo, s0
	s_delay_alu instid0(SALU_CYCLE_1)
	s_mov_b32 s0, exec_lo
	v_cmpx_gt_i32_e64 s1, v0
	s_cbranch_execz .LBB16_94
.LBB16_76:
	v_add_nc_u32_e32 v1, s2, v0
	v_add_nc_u32_e32 v0, 0x100, v0
	global_store_b8 v1, v12, s[6:7]
	s_wait_xcnt 0x0
	s_or_b32 exec_lo, exec_lo, s0
	s_delay_alu instid0(SALU_CYCLE_1)
	s_mov_b32 s0, exec_lo
	v_cmpx_gt_i32_e64 s1, v0
	s_cbranch_execnz .LBB16_95
.LBB16_77:
	s_or_b32 exec_lo, exec_lo, s0
	s_delay_alu instid0(SALU_CYCLE_1)
	s_mov_b32 s0, exec_lo
	v_cmpx_gt_i32_e64 s1, v0
	s_cbranch_execz .LBB16_96
.LBB16_78:
	v_add_nc_u32_e32 v1, s2, v0
	v_add_nc_u32_e32 v0, 0x100, v0
	global_store_b8 v1, v14, s[6:7]
	s_wait_xcnt 0x0
	s_or_b32 exec_lo, exec_lo, s0
	s_delay_alu instid0(SALU_CYCLE_1)
	s_mov_b32 s0, exec_lo
	v_cmpx_gt_i32_e64 s1, v0
	s_cbranch_execnz .LBB16_97
.LBB16_79:
	s_or_b32 exec_lo, exec_lo, s0
	s_delay_alu instid0(SALU_CYCLE_1)
	s_mov_b32 s0, exec_lo
	v_cmpx_gt_i32_e64 s1, v0
	s_cbranch_execz .LBB16_98
.LBB16_80:
	v_add_nc_u32_e32 v1, s2, v0
	v_add_nc_u32_e32 v0, 0x100, v0
	global_store_b8 v1, v16, s[6:7]
	s_wait_xcnt 0x0
	s_or_b32 exec_lo, exec_lo, s0
	s_delay_alu instid0(SALU_CYCLE_1)
	s_mov_b32 s0, exec_lo
	v_cmpx_gt_i32_e64 s1, v0
	s_cbranch_execnz .LBB16_99
.LBB16_81:
	s_or_b32 exec_lo, exec_lo, s0
	s_delay_alu instid0(SALU_CYCLE_1)
	s_mov_b32 s0, exec_lo
	v_cmpx_gt_i32_e64 s1, v0
	s_cbranch_execz .LBB16_83
.LBB16_82:
	v_add_nc_u32_e32 v0, s2, v0
	global_store_b8 v0, v18, s[6:7]
.LBB16_83:
	s_endpgm
.LBB16_84:
	s_or_b32 exec_lo, exec_lo, s3
	s_and_saveexec_b32 s0, vcc_lo
	s_delay_alu instid0(SALU_CYCLE_1)
	s_xor_b32 s0, exec_lo, s0
	s_cbranch_execz .LBB16_67
.LBB16_85:
	v_mov_b32_e32 v0, v8
	global_store_b8 v1, v2, s[6:7]
	s_wait_xcnt 0x0
	s_or_b32 exec_lo, exec_lo, s0
	s_delay_alu instid0(SALU_CYCLE_1)
	s_mov_b32 s0, exec_lo
	v_cmpx_gt_i32_e64 s1, v0
	s_cbranch_execnz .LBB16_68
.LBB16_86:
	s_or_b32 exec_lo, exec_lo, s0
	s_delay_alu instid0(SALU_CYCLE_1)
	s_mov_b32 s0, exec_lo
	v_cmpx_gt_i32_e64 s1, v0
	s_cbranch_execz .LBB16_69
.LBB16_87:
	v_add_nc_u32_e32 v1, s2, v0
	v_add_nc_u32_e32 v0, 0x100, v0
	global_store_b8 v1, v6, s[6:7]
	s_wait_xcnt 0x0
	s_or_b32 exec_lo, exec_lo, s0
	s_delay_alu instid0(SALU_CYCLE_1)
	s_mov_b32 s0, exec_lo
	v_cmpx_gt_i32_e64 s1, v0
	s_cbranch_execnz .LBB16_70
.LBB16_88:
	s_or_b32 exec_lo, exec_lo, s0
	s_delay_alu instid0(SALU_CYCLE_1)
	s_mov_b32 s0, exec_lo
	v_cmpx_gt_i32_e64 s1, v0
	s_cbranch_execz .LBB16_71
.LBB16_89:
	v_add_nc_u32_e32 v1, s2, v0
	v_add_nc_u32_e32 v0, 0x100, v0
	global_store_b8 v1, v4, s[6:7]
	s_wait_xcnt 0x0
	s_or_b32 exec_lo, exec_lo, s0
	s_delay_alu instid0(SALU_CYCLE_1)
	s_mov_b32 s0, exec_lo
	v_cmpx_gt_i32_e64 s1, v0
	s_cbranch_execnz .LBB16_72
.LBB16_90:
	s_or_b32 exec_lo, exec_lo, s0
	s_delay_alu instid0(SALU_CYCLE_1)
	s_mov_b32 s0, exec_lo
	v_cmpx_gt_i32_e64 s1, v0
	s_cbranch_execz .LBB16_73
.LBB16_91:
	v_add_nc_u32_e32 v1, s2, v0
	v_add_nc_u32_e32 v0, 0x100, v0
	global_store_b8 v1, v10, s[6:7]
	s_wait_xcnt 0x0
	s_or_b32 exec_lo, exec_lo, s0
	s_delay_alu instid0(SALU_CYCLE_1)
	s_mov_b32 s0, exec_lo
	v_cmpx_gt_i32_e64 s1, v0
	s_cbranch_execnz .LBB16_74
.LBB16_92:
	s_or_b32 exec_lo, exec_lo, s0
	s_delay_alu instid0(SALU_CYCLE_1)
	s_mov_b32 s0, exec_lo
	v_cmpx_gt_i32_e64 s1, v0
	s_cbranch_execz .LBB16_75
.LBB16_93:
	v_add_nc_u32_e32 v1, s2, v0
	v_add_nc_u32_e32 v0, 0x100, v0
	global_store_b8 v1, v11, s[6:7]
	s_wait_xcnt 0x0
	s_or_b32 exec_lo, exec_lo, s0
	s_delay_alu instid0(SALU_CYCLE_1)
	s_mov_b32 s0, exec_lo
	v_cmpx_gt_i32_e64 s1, v0
	s_cbranch_execnz .LBB16_76
.LBB16_94:
	s_or_b32 exec_lo, exec_lo, s0
	s_delay_alu instid0(SALU_CYCLE_1)
	s_mov_b32 s0, exec_lo
	v_cmpx_gt_i32_e64 s1, v0
	s_cbranch_execz .LBB16_77
.LBB16_95:
	v_add_nc_u32_e32 v1, s2, v0
	v_add_nc_u32_e32 v0, 0x100, v0
	global_store_b8 v1, v13, s[6:7]
	s_wait_xcnt 0x0
	s_or_b32 exec_lo, exec_lo, s0
	s_delay_alu instid0(SALU_CYCLE_1)
	s_mov_b32 s0, exec_lo
	v_cmpx_gt_i32_e64 s1, v0
	s_cbranch_execnz .LBB16_78
.LBB16_96:
	s_or_b32 exec_lo, exec_lo, s0
	s_delay_alu instid0(SALU_CYCLE_1)
	s_mov_b32 s0, exec_lo
	v_cmpx_gt_i32_e64 s1, v0
	s_cbranch_execz .LBB16_79
.LBB16_97:
	v_add_nc_u32_e32 v1, s2, v0
	v_add_nc_u32_e32 v0, 0x100, v0
	global_store_b8 v1, v15, s[6:7]
	s_wait_xcnt 0x0
	s_or_b32 exec_lo, exec_lo, s0
	s_delay_alu instid0(SALU_CYCLE_1)
	s_mov_b32 s0, exec_lo
	v_cmpx_gt_i32_e64 s1, v0
	s_cbranch_execnz .LBB16_80
.LBB16_98:
	s_or_b32 exec_lo, exec_lo, s0
	s_delay_alu instid0(SALU_CYCLE_1)
	s_mov_b32 s0, exec_lo
	v_cmpx_gt_i32_e64 s1, v0
	s_cbranch_execz .LBB16_81
.LBB16_99:
	v_add_nc_u32_e32 v1, s2, v0
	v_add_nc_u32_e32 v0, 0x100, v0
	global_store_b8 v1, v17, s[6:7]
	s_wait_xcnt 0x0
	s_or_b32 exec_lo, exec_lo, s0
	s_delay_alu instid0(SALU_CYCLE_1)
	s_mov_b32 s0, exec_lo
	v_cmpx_gt_i32_e64 s1, v0
	s_cbranch_execnz .LBB16_82
	s_branch .LBB16_83
	.section	.rodata,"a",@progbits
	.p2align	6, 0x0
	.amdhsa_kernel _ZN2at6native29vectorized_elementwise_kernelILi16EZZZNS0_12_GLOBAL__N_116addr_kernel_cudaERNS_14TensorIteratorERKN3c106ScalarES8_ENKUlvE_clEvENKUlvE_clEvEUlhhhE_St5arrayIPcLm4EEEEviT0_T1_
		.amdhsa_group_segment_fixed_size 0
		.amdhsa_private_segment_fixed_size 0
		.amdhsa_kernarg_size 40
		.amdhsa_user_sgpr_count 2
		.amdhsa_user_sgpr_dispatch_ptr 0
		.amdhsa_user_sgpr_queue_ptr 0
		.amdhsa_user_sgpr_kernarg_segment_ptr 1
		.amdhsa_user_sgpr_dispatch_id 0
		.amdhsa_user_sgpr_kernarg_preload_length 0
		.amdhsa_user_sgpr_kernarg_preload_offset 0
		.amdhsa_user_sgpr_private_segment_size 0
		.amdhsa_wavefront_size32 1
		.amdhsa_uses_dynamic_stack 0
		.amdhsa_enable_private_segment 0
		.amdhsa_system_sgpr_workgroup_id_x 1
		.amdhsa_system_sgpr_workgroup_id_y 0
		.amdhsa_system_sgpr_workgroup_id_z 0
		.amdhsa_system_sgpr_workgroup_info 0
		.amdhsa_system_vgpr_workitem_id 0
		.amdhsa_next_free_vgpr 39
		.amdhsa_next_free_sgpr 22
		.amdhsa_named_barrier_count 0
		.amdhsa_reserve_vcc 1
		.amdhsa_float_round_mode_32 0
		.amdhsa_float_round_mode_16_64 0
		.amdhsa_float_denorm_mode_32 3
		.amdhsa_float_denorm_mode_16_64 3
		.amdhsa_fp16_overflow 0
		.amdhsa_memory_ordered 1
		.amdhsa_forward_progress 1
		.amdhsa_inst_pref_size 41
		.amdhsa_round_robin_scheduling 0
		.amdhsa_exception_fp_ieee_invalid_op 0
		.amdhsa_exception_fp_denorm_src 0
		.amdhsa_exception_fp_ieee_div_zero 0
		.amdhsa_exception_fp_ieee_overflow 0
		.amdhsa_exception_fp_ieee_underflow 0
		.amdhsa_exception_fp_ieee_inexact 0
		.amdhsa_exception_int_div_zero 0
	.end_amdhsa_kernel
	.section	.text._ZN2at6native29vectorized_elementwise_kernelILi16EZZZNS0_12_GLOBAL__N_116addr_kernel_cudaERNS_14TensorIteratorERKN3c106ScalarES8_ENKUlvE_clEvENKUlvE_clEvEUlhhhE_St5arrayIPcLm4EEEEviT0_T1_,"axG",@progbits,_ZN2at6native29vectorized_elementwise_kernelILi16EZZZNS0_12_GLOBAL__N_116addr_kernel_cudaERNS_14TensorIteratorERKN3c106ScalarES8_ENKUlvE_clEvENKUlvE_clEvEUlhhhE_St5arrayIPcLm4EEEEviT0_T1_,comdat
.Lfunc_end16:
	.size	_ZN2at6native29vectorized_elementwise_kernelILi16EZZZNS0_12_GLOBAL__N_116addr_kernel_cudaERNS_14TensorIteratorERKN3c106ScalarES8_ENKUlvE_clEvENKUlvE_clEvEUlhhhE_St5arrayIPcLm4EEEEviT0_T1_, .Lfunc_end16-_ZN2at6native29vectorized_elementwise_kernelILi16EZZZNS0_12_GLOBAL__N_116addr_kernel_cudaERNS_14TensorIteratorERKN3c106ScalarES8_ENKUlvE_clEvENKUlvE_clEvEUlhhhE_St5arrayIPcLm4EEEEviT0_T1_
                                        ; -- End function
	.set _ZN2at6native29vectorized_elementwise_kernelILi16EZZZNS0_12_GLOBAL__N_116addr_kernel_cudaERNS_14TensorIteratorERKN3c106ScalarES8_ENKUlvE_clEvENKUlvE_clEvEUlhhhE_St5arrayIPcLm4EEEEviT0_T1_.num_vgpr, 39
	.set _ZN2at6native29vectorized_elementwise_kernelILi16EZZZNS0_12_GLOBAL__N_116addr_kernel_cudaERNS_14TensorIteratorERKN3c106ScalarES8_ENKUlvE_clEvENKUlvE_clEvEUlhhhE_St5arrayIPcLm4EEEEviT0_T1_.num_agpr, 0
	.set _ZN2at6native29vectorized_elementwise_kernelILi16EZZZNS0_12_GLOBAL__N_116addr_kernel_cudaERNS_14TensorIteratorERKN3c106ScalarES8_ENKUlvE_clEvENKUlvE_clEvEUlhhhE_St5arrayIPcLm4EEEEviT0_T1_.numbered_sgpr, 22
	.set _ZN2at6native29vectorized_elementwise_kernelILi16EZZZNS0_12_GLOBAL__N_116addr_kernel_cudaERNS_14TensorIteratorERKN3c106ScalarES8_ENKUlvE_clEvENKUlvE_clEvEUlhhhE_St5arrayIPcLm4EEEEviT0_T1_.num_named_barrier, 0
	.set _ZN2at6native29vectorized_elementwise_kernelILi16EZZZNS0_12_GLOBAL__N_116addr_kernel_cudaERNS_14TensorIteratorERKN3c106ScalarES8_ENKUlvE_clEvENKUlvE_clEvEUlhhhE_St5arrayIPcLm4EEEEviT0_T1_.private_seg_size, 0
	.set _ZN2at6native29vectorized_elementwise_kernelILi16EZZZNS0_12_GLOBAL__N_116addr_kernel_cudaERNS_14TensorIteratorERKN3c106ScalarES8_ENKUlvE_clEvENKUlvE_clEvEUlhhhE_St5arrayIPcLm4EEEEviT0_T1_.uses_vcc, 1
	.set _ZN2at6native29vectorized_elementwise_kernelILi16EZZZNS0_12_GLOBAL__N_116addr_kernel_cudaERNS_14TensorIteratorERKN3c106ScalarES8_ENKUlvE_clEvENKUlvE_clEvEUlhhhE_St5arrayIPcLm4EEEEviT0_T1_.uses_flat_scratch, 0
	.set _ZN2at6native29vectorized_elementwise_kernelILi16EZZZNS0_12_GLOBAL__N_116addr_kernel_cudaERNS_14TensorIteratorERKN3c106ScalarES8_ENKUlvE_clEvENKUlvE_clEvEUlhhhE_St5arrayIPcLm4EEEEviT0_T1_.has_dyn_sized_stack, 0
	.set _ZN2at6native29vectorized_elementwise_kernelILi16EZZZNS0_12_GLOBAL__N_116addr_kernel_cudaERNS_14TensorIteratorERKN3c106ScalarES8_ENKUlvE_clEvENKUlvE_clEvEUlhhhE_St5arrayIPcLm4EEEEviT0_T1_.has_recursion, 0
	.set _ZN2at6native29vectorized_elementwise_kernelILi16EZZZNS0_12_GLOBAL__N_116addr_kernel_cudaERNS_14TensorIteratorERKN3c106ScalarES8_ENKUlvE_clEvENKUlvE_clEvEUlhhhE_St5arrayIPcLm4EEEEviT0_T1_.has_indirect_call, 0
	.section	.AMDGPU.csdata,"",@progbits
; Kernel info:
; codeLenInByte = 5152
; TotalNumSgprs: 24
; NumVgprs: 39
; ScratchSize: 0
; MemoryBound: 0
; FloatMode: 240
; IeeeMode: 1
; LDSByteSize: 0 bytes/workgroup (compile time only)
; SGPRBlocks: 0
; VGPRBlocks: 2
; NumSGPRsForWavesPerEU: 24
; NumVGPRsForWavesPerEU: 39
; NamedBarCnt: 0
; Occupancy: 16
; WaveLimiterHint : 0
; COMPUTE_PGM_RSRC2:SCRATCH_EN: 0
; COMPUTE_PGM_RSRC2:USER_SGPR: 2
; COMPUTE_PGM_RSRC2:TRAP_HANDLER: 0
; COMPUTE_PGM_RSRC2:TGID_X_EN: 1
; COMPUTE_PGM_RSRC2:TGID_Y_EN: 0
; COMPUTE_PGM_RSRC2:TGID_Z_EN: 0
; COMPUTE_PGM_RSRC2:TIDIG_COMP_CNT: 0
	.section	.text._ZN2at6native29vectorized_elementwise_kernelILi8EZZZNS0_12_GLOBAL__N_116addr_kernel_cudaERNS_14TensorIteratorERKN3c106ScalarES8_ENKUlvE_clEvENKUlvE_clEvEUlhhhE_St5arrayIPcLm4EEEEviT0_T1_,"axG",@progbits,_ZN2at6native29vectorized_elementwise_kernelILi8EZZZNS0_12_GLOBAL__N_116addr_kernel_cudaERNS_14TensorIteratorERKN3c106ScalarES8_ENKUlvE_clEvENKUlvE_clEvEUlhhhE_St5arrayIPcLm4EEEEviT0_T1_,comdat
	.globl	_ZN2at6native29vectorized_elementwise_kernelILi8EZZZNS0_12_GLOBAL__N_116addr_kernel_cudaERNS_14TensorIteratorERKN3c106ScalarES8_ENKUlvE_clEvENKUlvE_clEvEUlhhhE_St5arrayIPcLm4EEEEviT0_T1_ ; -- Begin function _ZN2at6native29vectorized_elementwise_kernelILi8EZZZNS0_12_GLOBAL__N_116addr_kernel_cudaERNS_14TensorIteratorERKN3c106ScalarES8_ENKUlvE_clEvENKUlvE_clEvEUlhhhE_St5arrayIPcLm4EEEEviT0_T1_
	.p2align	8
	.type	_ZN2at6native29vectorized_elementwise_kernelILi8EZZZNS0_12_GLOBAL__N_116addr_kernel_cudaERNS_14TensorIteratorERKN3c106ScalarES8_ENKUlvE_clEvENKUlvE_clEvEUlhhhE_St5arrayIPcLm4EEEEviT0_T1_,@function
_ZN2at6native29vectorized_elementwise_kernelILi8EZZZNS0_12_GLOBAL__N_116addr_kernel_cudaERNS_14TensorIteratorERKN3c106ScalarES8_ENKUlvE_clEvENKUlvE_clEvEUlhhhE_St5arrayIPcLm4EEEEviT0_T1_: ; @_ZN2at6native29vectorized_elementwise_kernelILi8EZZZNS0_12_GLOBAL__N_116addr_kernel_cudaERNS_14TensorIteratorERKN3c106ScalarES8_ENKUlvE_clEvENKUlvE_clEvEUlhhhE_St5arrayIPcLm4EEEEviT0_T1_
; %bb.0:
	s_clause 0x1
	s_load_b128 s[4:7], s[0:1], 0x0
	s_load_b128 s[8:11], s[0:1], 0x18
	s_wait_xcnt 0x0
	s_bfe_u32 s0, ttmp6, 0x4000c
	s_and_b32 s1, ttmp6, 15
	s_add_co_i32 s0, s0, 1
	s_getreg_b32 s2, hwreg(HW_REG_IB_STS2, 6, 4)
	s_mul_i32 s0, ttmp9, s0
	s_delay_alu instid0(SALU_CYCLE_1) | instskip(SKIP_2) | instid1(SALU_CYCLE_1)
	s_add_co_i32 s1, s1, s0
	s_cmp_eq_u32 s2, 0
	s_cselect_b32 s0, ttmp9, s1
	s_lshl_b32 s2, s0, 12
	s_mov_b32 s0, -1
	s_wait_kmcnt 0x0
	s_sub_co_i32 s1, s4, s2
	s_delay_alu instid0(SALU_CYCLE_1)
	s_cmp_gt_i32 s1, 0xfff
	s_cbranch_scc0 .LBB17_2
; %bb.1:
	s_ashr_i32 s3, s2, 31
	s_mov_b32 s0, 0
	s_add_nc_u64 s[12:13], s[8:9], s[2:3]
	s_clause 0x1
	global_load_b64 v[2:3], v0, s[12:13] scale_offset
	global_load_b64 v[4:5], v0, s[12:13] offset:2048 scale_offset
	s_wait_xcnt 0x0
	s_add_nc_u64 s[12:13], s[10:11], s[2:3]
	s_clause 0x1
	global_load_b64 v[6:7], v0, s[12:13] scale_offset
	global_load_b64 v[8:9], v0, s[12:13] offset:2048 scale_offset
	s_wait_xcnt 0x0
	s_add_nc_u64 s[12:13], s[6:7], s[2:3]
	s_wait_loadcnt 0x3
	v_dual_lshrrev_b32 v1, 8, v2 :: v_dual_lshrrev_b32 v10, 16, v2
	v_dual_lshrrev_b32 v11, 24, v2 :: v_dual_lshrrev_b32 v12, 8, v3
	v_dual_lshrrev_b32 v13, 16, v3 :: v_dual_lshrrev_b32 v14, 24, v3
	v_mul_lo_u16 v2, s5, v2
	v_mul_lo_u16 v3, s5, v3
	s_wait_loadcnt 0x2
	v_dual_lshrrev_b32 v15, 8, v4 :: v_dual_lshrrev_b32 v16, 16, v4
	v_dual_lshrrev_b32 v17, 24, v4 :: v_dual_lshrrev_b32 v18, 8, v5
	;; [unrolled: 1-line block ×3, first 2 shown]
	v_mul_lo_u16 v4, s5, v4
	s_wait_loadcnt 0x1
	v_dual_lshrrev_b32 v21, 8, v6 :: v_dual_lshrrev_b32 v22, 16, v6
	v_dual_lshrrev_b32 v23, 24, v6 :: v_dual_lshrrev_b32 v24, 8, v7
	;; [unrolled: 1-line block ×3, first 2 shown]
	v_mul_lo_u16 v2, v2, v6
	v_mul_lo_u16 v1, s5, v1
	;; [unrolled: 1-line block ×7, first 2 shown]
	s_wait_loadcnt 0x0
	v_dual_lshrrev_b32 v27, 8, v8 :: v_dual_lshrrev_b32 v28, 16, v8
	v_dual_lshrrev_b32 v29, 24, v8 :: v_dual_lshrrev_b32 v30, 8, v9
	;; [unrolled: 1-line block ×3, first 2 shown]
	v_mul_lo_u16 v5, s5, v5
	v_mul_lo_u16 v4, v4, v8
	;; [unrolled: 1-line block ×19, first 2 shown]
	v_and_b32_e32 v1, 0xff, v1
	v_and_b32_e32 v6, 0xff, v6
	;; [unrolled: 1-line block ×4, first 2 shown]
	v_mul_lo_u16 v14, v14, v29
	v_mul_lo_u16 v9, v9, v30
	;; [unrolled: 1-line block ×3, first 2 shown]
	v_and_b32_e32 v8, 0xff, v8
	v_and_b32_e32 v13, 0xff, v13
	v_and_b32_e32 v15, 0xff, v15
	v_dual_lshlrev_b32 v10, 24, v10 :: v_dual_lshlrev_b32 v12, 24, v12
	v_perm_b32 v1, v1, v2, 0x6050400
	v_dual_lshlrev_b32 v2, 16, v6 :: v_dual_lshlrev_b32 v6, 8, v7
	v_dual_lshlrev_b32 v7, 16, v11 :: v_dual_lshlrev_b32 v11, 16, v13
	v_dual_lshlrev_b32 v14, 24, v14 :: v_dual_lshlrev_b32 v16, 24, v16
	v_and_b32_e32 v9, 0xff, v9
	v_perm_b32 v4, v8, v4, 0x6050400
	v_lshlrev_b32_e32 v8, 16, v15
	v_and_b32_e32 v3, 0xff, v3
	v_or_b32_e32 v7, v12, v7
	v_or3_b32 v1, v1, v2, v10
	v_and_b32_e32 v5, 0xff, v5
	v_dual_lshlrev_b32 v9, 8, v9 :: v_dual_bitop2_b32 v8, v16, v8 bitop3:0x54
	v_or3_b32 v4, v4, v11, v14
	v_or3_b32 v3, v3, v6, v7
	;; [unrolled: 1-line block ×3, first 2 shown]
	s_delay_alu instid0(VALU_DEP_4) | instskip(NEXT) | instid1(VALU_DEP_4)
	v_or3_b32 v5, v5, v9, v8
	v_or3_b32 v4, v4, 0, 0
	s_clause 0x1
	global_store_b64 v0, v[2:3], s[12:13] scale_offset
	global_store_b64 v0, v[4:5], s[12:13] offset:2048 scale_offset
.LBB17_2:
	s_and_not1_b32 vcc_lo, exec_lo, s0
	s_cbranch_vccnz .LBB17_83
; %bb.3:
	v_cmp_gt_i32_e32 vcc_lo, s1, v0
	v_dual_mov_b32 v38, 0 :: v_dual_bitop2_b32 v1, s2, v0 bitop3:0x54
	v_or_b32_e32 v8, 0x100, v0
	v_dual_mov_b32 v37, 0 :: v_dual_mov_b32 v36, 0
	v_dual_mov_b32 v35, 0 :: v_dual_mov_b32 v34, 0
	;; [unrolled: 1-line block ×12, first 2 shown]
	s_wait_xcnt 0x0
	v_dual_mov_b32 v4, 0 :: v_dual_mov_b32 v23, 0
	v_dual_mov_b32 v3, 0 :: v_dual_mov_b32 v25, 0
	;; [unrolled: 1-line block ×3, first 2 shown]
	v_mov_b32_e32 v29, 0
	s_and_saveexec_b32 s3, vcc_lo
	s_cbranch_execz .LBB17_35
; %bb.4:
	s_clause 0x1
	global_load_u8 v28, v1, s[8:9]
	global_load_u8 v29, v1, s[10:11]
	v_or_b32_e32 v2, 0x100, v0
	v_dual_mov_b32 v24, 0 :: v_dual_mov_b32 v25, 0
	v_dual_mov_b32 v3, 0 :: v_dual_mov_b32 v23, 0
	s_delay_alu instid0(VALU_DEP_3)
	v_cmp_gt_u32_e64 s0, s1, v2
	v_dual_mov_b32 v4, 0 :: v_dual_mov_b32 v19, 0
	v_dual_mov_b32 v12, 0 :: v_dual_mov_b32 v16, 0
	;; [unrolled: 1-line block ×13, first 2 shown]
	s_wait_xcnt 0x0
	s_and_saveexec_b32 s4, s0
	s_cbranch_execz .LBB17_34
; %bb.5:
	v_dual_mov_b32 v3, 0 :: v_dual_add_nc_u32 v2, s2, v0
	v_or_b32_e32 v4, 0x200, v0
	v_dual_mov_b32 v23, 0 :: v_dual_mov_b32 v19, 0
	v_mov_b32_e32 v12, 0
	s_clause 0x1
	global_load_u8 v25, v2, s[8:9] offset:256
	global_load_u8 v24, v2, s[10:11] offset:256
	v_cmp_gt_u32_e64 s0, s1, v4
	v_dual_mov_b32 v4, 0 :: v_dual_mov_b32 v16, 0
	v_dual_mov_b32 v10, 0 :: v_dual_mov_b32 v14, 0
	;; [unrolled: 1-line block ×12, first 2 shown]
	s_wait_xcnt 0x0
	s_and_saveexec_b32 s12, s0
	s_cbranch_execz .LBB17_33
; %bb.6:
	v_add_nc_u64_e32 v[4:5], s[8:9], v[2:3]
	v_add_nc_u64_e32 v[6:7], s[10:11], v[2:3]
	v_or_b32_e32 v9, 0x300, v0
	v_dual_mov_b32 v19, 0 :: v_dual_mov_b32 v12, 0
	v_dual_mov_b32 v16, 0 :: v_dual_mov_b32 v10, 0
	global_load_u8 v23, v[4:5], off offset:512
	global_load_u8 v2, v[6:7], off offset:512
	v_cmp_gt_u32_e64 s0, s1, v9
	v_dual_mov_b32 v14, 0 :: v_dual_mov_b32 v9, 0
	v_dual_mov_b32 v15, 0 :: v_dual_mov_b32 v11, 0
	;; [unrolled: 1-line block ×10, first 2 shown]
	v_mov_b32_e32 v38, 0
	s_wait_xcnt 0x0
	s_and_saveexec_b32 s8, s0
	s_cbranch_execz .LBB17_32
; %bb.7:
	global_load_u8 v19, v[4:5], off offset:768
	global_load_u8 v3, v[6:7], off offset:768
	v_or_b32_e32 v9, 0x400, v0
	v_dual_mov_b32 v12, 0 :: v_dual_mov_b32 v16, 0
	v_dual_mov_b32 v10, 0 :: v_dual_mov_b32 v14, 0
	s_delay_alu instid0(VALU_DEP_3)
	v_cmp_gt_u32_e64 s0, s1, v9
	v_dual_mov_b32 v9, 0 :: v_dual_mov_b32 v15, 0
	v_dual_mov_b32 v11, 0 :: v_dual_mov_b32 v17, 0
	;; [unrolled: 1-line block ×10, first 2 shown]
	s_wait_xcnt 0x0
	s_and_saveexec_b32 s9, s0
	s_cbranch_execz .LBB17_31
; %bb.8:
	global_load_u8 v16, v[4:5], off offset:1024
	global_load_u8 v12, v[6:7], off offset:1024
	v_or_b32_e32 v9, 0x500, v0
	v_dual_mov_b32 v10, 0 :: v_dual_mov_b32 v14, 0
	v_dual_mov_b32 v11, 0 :: v_dual_mov_b32 v17, 0
	s_delay_alu instid0(VALU_DEP_3)
	v_cmp_gt_u32_e64 s0, s1, v9
	v_dual_mov_b32 v9, 0 :: v_dual_mov_b32 v15, 0
	v_dual_mov_b32 v13, 0 :: v_dual_mov_b32 v20, 0
	;; [unrolled: 1-line block ×9, first 2 shown]
	s_wait_xcnt 0x0
	s_and_saveexec_b32 s10, s0
	s_cbranch_execz .LBB17_30
; %bb.9:
	global_load_u8 v14, v[4:5], off offset:1280
	global_load_u8 v10, v[6:7], off offset:1280
	v_or_b32_e32 v9, 0x600, v0
	v_dual_mov_b32 v11, 0 :: v_dual_mov_b32 v17, 0
	v_dual_mov_b32 v13, 0 :: v_dual_mov_b32 v20, 0
	s_delay_alu instid0(VALU_DEP_3)
	v_cmp_gt_u32_e64 s0, s1, v9
	v_dual_mov_b32 v9, 0 :: v_dual_mov_b32 v15, 0
	v_dual_mov_b32 v18, 0 :: v_dual_mov_b32 v22, 0
	;; [unrolled: 1-line block ×8, first 2 shown]
	s_wait_xcnt 0x0
	s_and_saveexec_b32 s11, s0
	s_cbranch_execz .LBB17_29
; %bb.10:
	global_load_u8 v15, v[4:5], off offset:1536
	global_load_u8 v9, v[6:7], off offset:1536
	v_or_b32_e32 v11, 0x700, v0
	v_dual_mov_b32 v13, 0 :: v_dual_mov_b32 v20, 0
	v_dual_mov_b32 v18, 0 :: v_dual_mov_b32 v22, 0
	s_delay_alu instid0(VALU_DEP_3)
	v_cmp_gt_u32_e64 s0, s1, v11
	v_dual_mov_b32 v11, 0 :: v_dual_mov_b32 v17, 0
	v_dual_mov_b32 v21, 0 :: v_dual_mov_b32 v27, 0
	;; [unrolled: 1-line block ×7, first 2 shown]
	s_wait_xcnt 0x0
	s_and_saveexec_b32 s13, s0
	s_cbranch_execz .LBB17_28
; %bb.11:
	global_load_u8 v17, v[4:5], off offset:1792
	global_load_u8 v11, v[6:7], off offset:1792
	v_or_b32_e32 v13, 0x800, v0
	v_dual_mov_b32 v18, 0 :: v_dual_mov_b32 v22, 0
	v_dual_mov_b32 v21, 0 :: v_dual_mov_b32 v27, 0
	s_delay_alu instid0(VALU_DEP_3)
	v_cmp_gt_u32_e64 s0, s1, v13
	v_dual_mov_b32 v13, 0 :: v_dual_mov_b32 v20, 0
	v_dual_mov_b32 v26, 0 :: v_dual_mov_b32 v30, 0
	;; [unrolled: 1-line block ×6, first 2 shown]
	s_wait_xcnt 0x0
	s_and_saveexec_b32 s14, s0
	s_cbranch_execz .LBB17_27
; %bb.12:
	global_load_u8 v20, v[4:5], off offset:2048
	global_load_u8 v13, v[6:7], off offset:2048
	v_or_b32_e32 v18, 0x900, v0
	v_dual_mov_b32 v21, 0 :: v_dual_mov_b32 v27, 0
	v_dual_mov_b32 v26, 0 :: v_dual_mov_b32 v30, 0
	s_delay_alu instid0(VALU_DEP_3)
	v_cmp_gt_u32_e64 s0, s1, v18
	v_dual_mov_b32 v18, 0 :: v_dual_mov_b32 v22, 0
	v_dual_mov_b32 v31, 0 :: v_dual_mov_b32 v32, 0
	;; [unrolled: 1-line block ×5, first 2 shown]
	s_wait_xcnt 0x0
	s_and_saveexec_b32 s15, s0
	s_cbranch_execz .LBB17_26
; %bb.13:
	global_load_u8 v22, v[4:5], off offset:2304
	global_load_u8 v18, v[6:7], off offset:2304
	v_or_b32_e32 v21, 0xa00, v0
	v_dual_mov_b32 v26, 0 :: v_dual_mov_b32 v30, 0
	v_dual_mov_b32 v31, 0 :: v_dual_mov_b32 v32, 0
	s_delay_alu instid0(VALU_DEP_3)
	v_cmp_gt_u32_e64 s0, s1, v21
	v_dual_mov_b32 v21, 0 :: v_dual_mov_b32 v27, 0
	v_dual_mov_b32 v33, 0 :: v_dual_mov_b32 v34, 0
	;; [unrolled: 1-line block ×4, first 2 shown]
	s_wait_xcnt 0x0
	s_and_saveexec_b32 s16, s0
	s_cbranch_execz .LBB17_25
; %bb.14:
	global_load_u8 v27, v[4:5], off offset:2560
	global_load_u8 v21, v[6:7], off offset:2560
	v_or_b32_e32 v26, 0xb00, v0
	v_dual_mov_b32 v31, 0 :: v_dual_mov_b32 v32, 0
	v_dual_mov_b32 v33, 0 :: v_dual_mov_b32 v34, 0
	s_delay_alu instid0(VALU_DEP_3)
	v_cmp_gt_u32_e64 s0, s1, v26
	v_dual_mov_b32 v26, 0 :: v_dual_mov_b32 v30, 0
	v_dual_mov_b32 v35, 0 :: v_dual_mov_b32 v36, 0
	;; [unrolled: 1-line block ×3, first 2 shown]
	s_wait_xcnt 0x0
	s_and_saveexec_b32 s17, s0
	s_cbranch_execz .LBB17_24
; %bb.15:
	global_load_u8 v30, v[4:5], off offset:2816
	global_load_u8 v26, v[6:7], off offset:2816
	v_or_b32_e32 v31, 0xc00, v0
	v_dual_mov_b32 v33, 0 :: v_dual_mov_b32 v34, 0
	v_dual_mov_b32 v35, 0 :: v_dual_mov_b32 v36, 0
	s_delay_alu instid0(VALU_DEP_3)
	v_cmp_gt_u32_e64 s0, s1, v31
	v_dual_mov_b32 v31, 0 :: v_dual_mov_b32 v32, 0
	v_dual_mov_b32 v37, 0 :: v_dual_mov_b32 v38, 0
	s_wait_xcnt 0x0
	s_and_saveexec_b32 s18, s0
	s_cbranch_execz .LBB17_23
; %bb.16:
	global_load_u8 v32, v[4:5], off offset:3072
	global_load_u8 v31, v[6:7], off offset:3072
	v_or_b32_e32 v33, 0xd00, v0
	v_dual_mov_b32 v35, 0 :: v_dual_mov_b32 v36, 0
	v_dual_mov_b32 v37, 0 :: v_dual_mov_b32 v38, 0
	s_delay_alu instid0(VALU_DEP_3)
	v_cmp_gt_u32_e64 s0, s1, v33
	v_dual_mov_b32 v33, 0 :: v_dual_mov_b32 v34, 0
	s_wait_xcnt 0x0
	s_and_saveexec_b32 s19, s0
	s_cbranch_execz .LBB17_22
; %bb.17:
	global_load_u8 v34, v[4:5], off offset:3328
	global_load_u8 v33, v[6:7], off offset:3328
	v_or_b32_e32 v35, 0xe00, v0
	v_dual_mov_b32 v37, 0 :: v_dual_mov_b32 v38, 0
	v_mov_b32_e32 v36, 0
	s_delay_alu instid0(VALU_DEP_3)
	v_cmp_gt_u32_e64 s0, s1, v35
	v_mov_b32_e32 v35, 0
	s_wait_xcnt 0x0
	s_and_saveexec_b32 s20, s0
	s_cbranch_execz .LBB17_21
; %bb.18:
	global_load_u8 v36, v[4:5], off offset:3584
	global_load_u8 v35, v[6:7], off offset:3584
	v_or_b32_e32 v37, 0xf00, v0
	v_mov_b32_e32 v38, 0
	s_delay_alu instid0(VALU_DEP_2)
	v_cmp_gt_u32_e64 s0, s1, v37
	v_mov_b32_e32 v37, 0
	s_wait_xcnt 0x0
	s_and_saveexec_b32 s21, s0
	s_cbranch_execz .LBB17_20
; %bb.19:
	global_load_u8 v38, v[4:5], off offset:3840
	global_load_u8 v37, v[6:7], off offset:3840
.LBB17_20:
	s_wait_xcnt 0x0
	s_or_b32 exec_lo, exec_lo, s21
.LBB17_21:
	s_delay_alu instid0(SALU_CYCLE_1)
	s_or_b32 exec_lo, exec_lo, s20
.LBB17_22:
	s_delay_alu instid0(SALU_CYCLE_1)
	s_or_b32 exec_lo, exec_lo, s19
.LBB17_23:
	s_delay_alu instid0(SALU_CYCLE_1)
	s_or_b32 exec_lo, exec_lo, s18
.LBB17_24:
	s_delay_alu instid0(SALU_CYCLE_1)
	s_or_b32 exec_lo, exec_lo, s17
.LBB17_25:
	s_delay_alu instid0(SALU_CYCLE_1)
	s_or_b32 exec_lo, exec_lo, s16
.LBB17_26:
	s_delay_alu instid0(SALU_CYCLE_1)
	s_or_b32 exec_lo, exec_lo, s15
.LBB17_27:
	s_delay_alu instid0(SALU_CYCLE_1)
	s_or_b32 exec_lo, exec_lo, s14
.LBB17_28:
	s_delay_alu instid0(SALU_CYCLE_1)
	s_or_b32 exec_lo, exec_lo, s13
.LBB17_29:
	s_delay_alu instid0(SALU_CYCLE_1)
	s_or_b32 exec_lo, exec_lo, s11
.LBB17_30:
	s_delay_alu instid0(SALU_CYCLE_1)
	s_or_b32 exec_lo, exec_lo, s10
.LBB17_31:
	s_delay_alu instid0(SALU_CYCLE_1)
	s_or_b32 exec_lo, exec_lo, s9
.LBB17_32:
	s_delay_alu instid0(SALU_CYCLE_1)
	s_or_b32 exec_lo, exec_lo, s8
	s_wait_loadcnt 0x0
	v_dual_mov_b32 v4, v3 :: v_dual_mov_b32 v3, v2
.LBB17_33:
	s_or_b32 exec_lo, exec_lo, s12
.LBB17_34:
	s_delay_alu instid0(SALU_CYCLE_1) | instskip(NEXT) | instid1(SALU_CYCLE_1)
	s_or_b32 exec_lo, exec_lo, s4
	s_or_b32 exec_lo, exec_lo, s3
                                        ; implicit-def: $vgpr2
	s_and_saveexec_b32 s0, vcc_lo
	s_cbranch_execz .LBB17_37
	s_branch .LBB17_36
.LBB17_35:
	s_or_b32 exec_lo, exec_lo, s3
                                        ; implicit-def: $vgpr2
	s_and_saveexec_b32 s0, vcc_lo
	s_cbranch_execz .LBB17_37
.LBB17_36:
	s_wait_loadcnt 0x1
	v_mul_lo_u16 v2, v28, s5
	s_wait_loadcnt 0x0
	s_delay_alu instid0(VALU_DEP_1)
	v_mul_lo_u16 v2, v2, v29
.LBB17_37:
	s_or_b32 exec_lo, exec_lo, s0
	s_delay_alu instid0(SALU_CYCLE_1)
	s_mov_b32 s3, exec_lo
                                        ; implicit-def: $vgpr5
	v_cmpx_gt_i32_e64 s1, v8
	s_cbranch_execz .LBB17_39
; %bb.38:
	s_wait_loadcnt 0x1
	v_mul_lo_u16 v5, v25, s5
	s_wait_loadcnt 0x0
	s_delay_alu instid0(VALU_DEP_1)
	v_mul_lo_u16 v5, v5, v24
.LBB17_39:
	s_or_b32 exec_lo, exec_lo, s3
	v_or_b32_e32 v6, 0x200, v0
	s_delay_alu instid0(VALU_DEP_1)
	v_cmp_gt_i32_e64 s0, s1, v6
                                        ; implicit-def: $vgpr6
	s_and_saveexec_b32 s3, s0
; %bb.40:
	v_mul_lo_u16 v6, v23, s5
	s_delay_alu instid0(VALU_DEP_1)
	v_mul_lo_u16 v6, v6, v3
; %bb.41:
	s_or_b32 exec_lo, exec_lo, s3
	v_or_b32_e32 v3, 0x300, v0
	s_delay_alu instid0(VALU_DEP_1)
	v_cmp_gt_i32_e64 s0, s1, v3
                                        ; implicit-def: $vgpr3
	s_and_saveexec_b32 s3, s0
; %bb.42:
	v_mul_lo_u16 v3, v19, s5
	s_delay_alu instid0(VALU_DEP_1)
	v_mul_lo_u16 v3, v3, v4
; %bb.43:
	s_or_b32 exec_lo, exec_lo, s3
	v_or_b32_e32 v4, 0x400, v0
	s_delay_alu instid0(VALU_DEP_1)
	v_cmp_gt_i32_e64 s0, s1, v4
                                        ; implicit-def: $vgpr4
	s_and_saveexec_b32 s3, s0
; %bb.44:
	v_mul_lo_u16 v4, v16, s5
	s_delay_alu instid0(VALU_DEP_1)
	v_mul_lo_u16 v4, v4, v12
; %bb.45:
	s_or_b32 exec_lo, exec_lo, s3
	v_or_b32_e32 v7, 0x500, v0
	s_delay_alu instid0(VALU_DEP_1)
	v_cmp_gt_i32_e64 s0, s1, v7
                                        ; implicit-def: $vgpr7
	s_and_saveexec_b32 s3, s0
; %bb.46:
	v_mul_lo_u16 v7, v14, s5
	s_delay_alu instid0(VALU_DEP_1)
	v_mul_lo_u16 v7, v7, v10
; %bb.47:
	s_or_b32 exec_lo, exec_lo, s3
	v_or_b32_e32 v10, 0x600, v0
	s_delay_alu instid0(VALU_DEP_1)
	v_cmp_gt_i32_e64 s0, s1, v10
                                        ; implicit-def: $vgpr10
	s_and_saveexec_b32 s3, s0
; %bb.48:
	v_mul_lo_u16 v10, v15, s5
	s_delay_alu instid0(VALU_DEP_1)
	v_mul_lo_u16 v10, v10, v9
; %bb.49:
	s_or_b32 exec_lo, exec_lo, s3
	v_or_b32_e32 v9, 0x700, v0
	s_delay_alu instid0(VALU_DEP_1)
	v_cmp_gt_i32_e64 s0, s1, v9
                                        ; implicit-def: $vgpr9
	s_and_saveexec_b32 s3, s0
; %bb.50:
	v_mul_lo_u16 v9, v17, s5
	s_delay_alu instid0(VALU_DEP_1)
	v_mul_lo_u16 v9, v9, v11
; %bb.51:
	s_or_b32 exec_lo, exec_lo, s3
	v_or_b32_e32 v11, 0x800, v0
	s_delay_alu instid0(VALU_DEP_1)
	v_cmp_gt_i32_e64 s0, s1, v11
                                        ; implicit-def: $vgpr11
	s_and_saveexec_b32 s3, s0
; %bb.52:
	v_mul_lo_u16 v11, v20, s5
	s_delay_alu instid0(VALU_DEP_1)
	v_mul_lo_u16 v11, v11, v13
; %bb.53:
	s_or_b32 exec_lo, exec_lo, s3
	v_or_b32_e32 v12, 0x900, v0
	s_delay_alu instid0(VALU_DEP_1)
	v_cmp_gt_i32_e64 s0, s1, v12
                                        ; implicit-def: $vgpr12
	s_and_saveexec_b32 s3, s0
; %bb.54:
	v_mul_lo_u16 v12, v22, s5
	s_delay_alu instid0(VALU_DEP_1)
	v_mul_lo_u16 v12, v12, v18
; %bb.55:
	s_or_b32 exec_lo, exec_lo, s3
	v_or_b32_e32 v13, 0xa00, v0
	s_delay_alu instid0(VALU_DEP_1)
	v_cmp_gt_i32_e64 s0, s1, v13
                                        ; implicit-def: $vgpr13
	s_and_saveexec_b32 s3, s0
; %bb.56:
	v_mul_lo_u16 v13, v27, s5
	s_delay_alu instid0(VALU_DEP_1)
	v_mul_lo_u16 v13, v13, v21
; %bb.57:
	s_or_b32 exec_lo, exec_lo, s3
	v_or_b32_e32 v14, 0xb00, v0
	s_delay_alu instid0(VALU_DEP_1)
	v_cmp_gt_i32_e64 s0, s1, v14
                                        ; implicit-def: $vgpr14
	s_and_saveexec_b32 s3, s0
; %bb.58:
	v_mul_lo_u16 v14, v30, s5
	s_delay_alu instid0(VALU_DEP_1)
	v_mul_lo_u16 v14, v14, v26
; %bb.59:
	s_or_b32 exec_lo, exec_lo, s3
	v_or_b32_e32 v15, 0xc00, v0
	s_delay_alu instid0(VALU_DEP_1)
	v_cmp_gt_i32_e64 s0, s1, v15
                                        ; implicit-def: $vgpr15
	s_and_saveexec_b32 s3, s0
; %bb.60:
	v_mul_lo_u16 v15, v32, s5
	s_delay_alu instid0(VALU_DEP_1)
	v_mul_lo_u16 v15, v15, v31
; %bb.61:
	s_or_b32 exec_lo, exec_lo, s3
	v_or_b32_e32 v16, 0xd00, v0
	s_delay_alu instid0(VALU_DEP_1)
	v_cmp_gt_i32_e64 s0, s1, v16
                                        ; implicit-def: $vgpr16
	s_and_saveexec_b32 s3, s0
; %bb.62:
	v_mul_lo_u16 v16, v34, s5
	s_delay_alu instid0(VALU_DEP_1)
	v_mul_lo_u16 v16, v16, v33
; %bb.63:
	s_or_b32 exec_lo, exec_lo, s3
	v_or_b32_e32 v17, 0xe00, v0
	s_delay_alu instid0(VALU_DEP_1)
	v_cmp_gt_i32_e64 s0, s1, v17
                                        ; implicit-def: $vgpr17
	s_and_saveexec_b32 s3, s0
; %bb.64:
	v_mul_lo_u16 v17, v36, s5
	s_delay_alu instid0(VALU_DEP_1)
	v_mul_lo_u16 v17, v17, v35
; %bb.65:
	s_or_b32 exec_lo, exec_lo, s3
	v_or_b32_e32 v18, 0xf00, v0
	s_delay_alu instid0(VALU_DEP_1)
	v_cmp_gt_i32_e64 s0, s1, v18
                                        ; implicit-def: $vgpr18
	s_and_saveexec_b32 s3, s0
	s_cbranch_execz .LBB17_84
; %bb.66:
	v_mul_lo_u16 v18, v38, s5
	s_delay_alu instid0(VALU_DEP_1) | instskip(SKIP_2) | instid1(SALU_CYCLE_1)
	v_mul_lo_u16 v18, v18, v37
	s_or_b32 exec_lo, exec_lo, s3
	s_and_saveexec_b32 s0, vcc_lo
	s_xor_b32 s0, exec_lo, s0
	s_cbranch_execnz .LBB17_85
.LBB17_67:
	s_or_b32 exec_lo, exec_lo, s0
	s_delay_alu instid0(SALU_CYCLE_1)
	s_mov_b32 s0, exec_lo
	v_cmpx_gt_i32_e64 s1, v0
	s_cbranch_execz .LBB17_86
.LBB17_68:
	v_add_nc_u32_e32 v1, s2, v0
	v_add_nc_u32_e32 v0, 0x100, v0
	global_store_b8 v1, v5, s[6:7]
	s_wait_xcnt 0x0
	s_or_b32 exec_lo, exec_lo, s0
	s_delay_alu instid0(SALU_CYCLE_1)
	s_mov_b32 s0, exec_lo
	v_cmpx_gt_i32_e64 s1, v0
	s_cbranch_execnz .LBB17_87
.LBB17_69:
	s_or_b32 exec_lo, exec_lo, s0
	s_delay_alu instid0(SALU_CYCLE_1)
	s_mov_b32 s0, exec_lo
	v_cmpx_gt_i32_e64 s1, v0
	s_cbranch_execz .LBB17_88
.LBB17_70:
	v_add_nc_u32_e32 v1, s2, v0
	v_add_nc_u32_e32 v0, 0x100, v0
	global_store_b8 v1, v3, s[6:7]
	s_wait_xcnt 0x0
	s_or_b32 exec_lo, exec_lo, s0
	s_delay_alu instid0(SALU_CYCLE_1)
	s_mov_b32 s0, exec_lo
	v_cmpx_gt_i32_e64 s1, v0
	s_cbranch_execnz .LBB17_89
.LBB17_71:
	s_or_b32 exec_lo, exec_lo, s0
	s_delay_alu instid0(SALU_CYCLE_1)
	s_mov_b32 s0, exec_lo
	v_cmpx_gt_i32_e64 s1, v0
	s_cbranch_execz .LBB17_90
.LBB17_72:
	v_add_nc_u32_e32 v1, s2, v0
	v_add_nc_u32_e32 v0, 0x100, v0
	global_store_b8 v1, v7, s[6:7]
	s_wait_xcnt 0x0
	s_or_b32 exec_lo, exec_lo, s0
	s_delay_alu instid0(SALU_CYCLE_1)
	s_mov_b32 s0, exec_lo
	v_cmpx_gt_i32_e64 s1, v0
	s_cbranch_execnz .LBB17_91
.LBB17_73:
	s_or_b32 exec_lo, exec_lo, s0
	s_delay_alu instid0(SALU_CYCLE_1)
	s_mov_b32 s0, exec_lo
	v_cmpx_gt_i32_e64 s1, v0
	s_cbranch_execz .LBB17_92
.LBB17_74:
	v_add_nc_u32_e32 v1, s2, v0
	v_add_nc_u32_e32 v0, 0x100, v0
	global_store_b8 v1, v9, s[6:7]
	s_wait_xcnt 0x0
	s_or_b32 exec_lo, exec_lo, s0
	s_delay_alu instid0(SALU_CYCLE_1)
	s_mov_b32 s0, exec_lo
	v_cmpx_gt_i32_e64 s1, v0
	s_cbranch_execnz .LBB17_93
.LBB17_75:
	s_or_b32 exec_lo, exec_lo, s0
	s_delay_alu instid0(SALU_CYCLE_1)
	s_mov_b32 s0, exec_lo
	v_cmpx_gt_i32_e64 s1, v0
	s_cbranch_execz .LBB17_94
.LBB17_76:
	v_add_nc_u32_e32 v1, s2, v0
	v_add_nc_u32_e32 v0, 0x100, v0
	global_store_b8 v1, v12, s[6:7]
	s_wait_xcnt 0x0
	s_or_b32 exec_lo, exec_lo, s0
	s_delay_alu instid0(SALU_CYCLE_1)
	s_mov_b32 s0, exec_lo
	v_cmpx_gt_i32_e64 s1, v0
	s_cbranch_execnz .LBB17_95
.LBB17_77:
	s_or_b32 exec_lo, exec_lo, s0
	s_delay_alu instid0(SALU_CYCLE_1)
	s_mov_b32 s0, exec_lo
	v_cmpx_gt_i32_e64 s1, v0
	s_cbranch_execz .LBB17_96
.LBB17_78:
	v_add_nc_u32_e32 v1, s2, v0
	v_add_nc_u32_e32 v0, 0x100, v0
	global_store_b8 v1, v14, s[6:7]
	s_wait_xcnt 0x0
	s_or_b32 exec_lo, exec_lo, s0
	s_delay_alu instid0(SALU_CYCLE_1)
	s_mov_b32 s0, exec_lo
	v_cmpx_gt_i32_e64 s1, v0
	s_cbranch_execnz .LBB17_97
.LBB17_79:
	s_or_b32 exec_lo, exec_lo, s0
	s_delay_alu instid0(SALU_CYCLE_1)
	s_mov_b32 s0, exec_lo
	v_cmpx_gt_i32_e64 s1, v0
	s_cbranch_execz .LBB17_98
.LBB17_80:
	v_add_nc_u32_e32 v1, s2, v0
	v_add_nc_u32_e32 v0, 0x100, v0
	global_store_b8 v1, v16, s[6:7]
	s_wait_xcnt 0x0
	s_or_b32 exec_lo, exec_lo, s0
	s_delay_alu instid0(SALU_CYCLE_1)
	s_mov_b32 s0, exec_lo
	v_cmpx_gt_i32_e64 s1, v0
	s_cbranch_execnz .LBB17_99
.LBB17_81:
	s_or_b32 exec_lo, exec_lo, s0
	s_delay_alu instid0(SALU_CYCLE_1)
	s_mov_b32 s0, exec_lo
	v_cmpx_gt_i32_e64 s1, v0
	s_cbranch_execz .LBB17_83
.LBB17_82:
	v_add_nc_u32_e32 v0, s2, v0
	global_store_b8 v0, v18, s[6:7]
.LBB17_83:
	s_endpgm
.LBB17_84:
	s_or_b32 exec_lo, exec_lo, s3
	s_and_saveexec_b32 s0, vcc_lo
	s_delay_alu instid0(SALU_CYCLE_1)
	s_xor_b32 s0, exec_lo, s0
	s_cbranch_execz .LBB17_67
.LBB17_85:
	v_mov_b32_e32 v0, v8
	global_store_b8 v1, v2, s[6:7]
	s_wait_xcnt 0x0
	s_or_b32 exec_lo, exec_lo, s0
	s_delay_alu instid0(SALU_CYCLE_1)
	s_mov_b32 s0, exec_lo
	v_cmpx_gt_i32_e64 s1, v0
	s_cbranch_execnz .LBB17_68
.LBB17_86:
	s_or_b32 exec_lo, exec_lo, s0
	s_delay_alu instid0(SALU_CYCLE_1)
	s_mov_b32 s0, exec_lo
	v_cmpx_gt_i32_e64 s1, v0
	s_cbranch_execz .LBB17_69
.LBB17_87:
	v_add_nc_u32_e32 v1, s2, v0
	v_add_nc_u32_e32 v0, 0x100, v0
	global_store_b8 v1, v6, s[6:7]
	s_wait_xcnt 0x0
	s_or_b32 exec_lo, exec_lo, s0
	s_delay_alu instid0(SALU_CYCLE_1)
	s_mov_b32 s0, exec_lo
	v_cmpx_gt_i32_e64 s1, v0
	s_cbranch_execnz .LBB17_70
.LBB17_88:
	s_or_b32 exec_lo, exec_lo, s0
	s_delay_alu instid0(SALU_CYCLE_1)
	s_mov_b32 s0, exec_lo
	v_cmpx_gt_i32_e64 s1, v0
	s_cbranch_execz .LBB17_71
.LBB17_89:
	v_add_nc_u32_e32 v1, s2, v0
	v_add_nc_u32_e32 v0, 0x100, v0
	global_store_b8 v1, v4, s[6:7]
	s_wait_xcnt 0x0
	s_or_b32 exec_lo, exec_lo, s0
	s_delay_alu instid0(SALU_CYCLE_1)
	s_mov_b32 s0, exec_lo
	v_cmpx_gt_i32_e64 s1, v0
	s_cbranch_execnz .LBB17_72
.LBB17_90:
	s_or_b32 exec_lo, exec_lo, s0
	s_delay_alu instid0(SALU_CYCLE_1)
	s_mov_b32 s0, exec_lo
	v_cmpx_gt_i32_e64 s1, v0
	s_cbranch_execz .LBB17_73
.LBB17_91:
	v_add_nc_u32_e32 v1, s2, v0
	v_add_nc_u32_e32 v0, 0x100, v0
	global_store_b8 v1, v10, s[6:7]
	s_wait_xcnt 0x0
	s_or_b32 exec_lo, exec_lo, s0
	s_delay_alu instid0(SALU_CYCLE_1)
	s_mov_b32 s0, exec_lo
	v_cmpx_gt_i32_e64 s1, v0
	s_cbranch_execnz .LBB17_74
.LBB17_92:
	s_or_b32 exec_lo, exec_lo, s0
	s_delay_alu instid0(SALU_CYCLE_1)
	s_mov_b32 s0, exec_lo
	v_cmpx_gt_i32_e64 s1, v0
	s_cbranch_execz .LBB17_75
.LBB17_93:
	v_add_nc_u32_e32 v1, s2, v0
	v_add_nc_u32_e32 v0, 0x100, v0
	global_store_b8 v1, v11, s[6:7]
	s_wait_xcnt 0x0
	s_or_b32 exec_lo, exec_lo, s0
	s_delay_alu instid0(SALU_CYCLE_1)
	s_mov_b32 s0, exec_lo
	v_cmpx_gt_i32_e64 s1, v0
	s_cbranch_execnz .LBB17_76
.LBB17_94:
	s_or_b32 exec_lo, exec_lo, s0
	s_delay_alu instid0(SALU_CYCLE_1)
	s_mov_b32 s0, exec_lo
	v_cmpx_gt_i32_e64 s1, v0
	s_cbranch_execz .LBB17_77
.LBB17_95:
	v_add_nc_u32_e32 v1, s2, v0
	v_add_nc_u32_e32 v0, 0x100, v0
	global_store_b8 v1, v13, s[6:7]
	s_wait_xcnt 0x0
	s_or_b32 exec_lo, exec_lo, s0
	s_delay_alu instid0(SALU_CYCLE_1)
	s_mov_b32 s0, exec_lo
	v_cmpx_gt_i32_e64 s1, v0
	s_cbranch_execnz .LBB17_78
.LBB17_96:
	s_or_b32 exec_lo, exec_lo, s0
	s_delay_alu instid0(SALU_CYCLE_1)
	s_mov_b32 s0, exec_lo
	v_cmpx_gt_i32_e64 s1, v0
	s_cbranch_execz .LBB17_79
.LBB17_97:
	v_add_nc_u32_e32 v1, s2, v0
	v_add_nc_u32_e32 v0, 0x100, v0
	global_store_b8 v1, v15, s[6:7]
	s_wait_xcnt 0x0
	s_or_b32 exec_lo, exec_lo, s0
	s_delay_alu instid0(SALU_CYCLE_1)
	s_mov_b32 s0, exec_lo
	v_cmpx_gt_i32_e64 s1, v0
	s_cbranch_execnz .LBB17_80
.LBB17_98:
	s_or_b32 exec_lo, exec_lo, s0
	s_delay_alu instid0(SALU_CYCLE_1)
	s_mov_b32 s0, exec_lo
	v_cmpx_gt_i32_e64 s1, v0
	s_cbranch_execz .LBB17_81
.LBB17_99:
	v_add_nc_u32_e32 v1, s2, v0
	v_add_nc_u32_e32 v0, 0x100, v0
	global_store_b8 v1, v17, s[6:7]
	s_wait_xcnt 0x0
	s_or_b32 exec_lo, exec_lo, s0
	s_delay_alu instid0(SALU_CYCLE_1)
	s_mov_b32 s0, exec_lo
	v_cmpx_gt_i32_e64 s1, v0
	s_cbranch_execnz .LBB17_82
	s_branch .LBB17_83
	.section	.rodata,"a",@progbits
	.p2align	6, 0x0
	.amdhsa_kernel _ZN2at6native29vectorized_elementwise_kernelILi8EZZZNS0_12_GLOBAL__N_116addr_kernel_cudaERNS_14TensorIteratorERKN3c106ScalarES8_ENKUlvE_clEvENKUlvE_clEvEUlhhhE_St5arrayIPcLm4EEEEviT0_T1_
		.amdhsa_group_segment_fixed_size 0
		.amdhsa_private_segment_fixed_size 0
		.amdhsa_kernarg_size 40
		.amdhsa_user_sgpr_count 2
		.amdhsa_user_sgpr_dispatch_ptr 0
		.amdhsa_user_sgpr_queue_ptr 0
		.amdhsa_user_sgpr_kernarg_segment_ptr 1
		.amdhsa_user_sgpr_dispatch_id 0
		.amdhsa_user_sgpr_kernarg_preload_length 0
		.amdhsa_user_sgpr_kernarg_preload_offset 0
		.amdhsa_user_sgpr_private_segment_size 0
		.amdhsa_wavefront_size32 1
		.amdhsa_uses_dynamic_stack 0
		.amdhsa_enable_private_segment 0
		.amdhsa_system_sgpr_workgroup_id_x 1
		.amdhsa_system_sgpr_workgroup_id_y 0
		.amdhsa_system_sgpr_workgroup_id_z 0
		.amdhsa_system_sgpr_workgroup_info 0
		.amdhsa_system_vgpr_workitem_id 0
		.amdhsa_next_free_vgpr 39
		.amdhsa_next_free_sgpr 22
		.amdhsa_named_barrier_count 0
		.amdhsa_reserve_vcc 1
		.amdhsa_float_round_mode_32 0
		.amdhsa_float_round_mode_16_64 0
		.amdhsa_float_denorm_mode_32 3
		.amdhsa_float_denorm_mode_16_64 3
		.amdhsa_fp16_overflow 0
		.amdhsa_memory_ordered 1
		.amdhsa_forward_progress 1
		.amdhsa_inst_pref_size 41
		.amdhsa_round_robin_scheduling 0
		.amdhsa_exception_fp_ieee_invalid_op 0
		.amdhsa_exception_fp_denorm_src 0
		.amdhsa_exception_fp_ieee_div_zero 0
		.amdhsa_exception_fp_ieee_overflow 0
		.amdhsa_exception_fp_ieee_underflow 0
		.amdhsa_exception_fp_ieee_inexact 0
		.amdhsa_exception_int_div_zero 0
	.end_amdhsa_kernel
	.section	.text._ZN2at6native29vectorized_elementwise_kernelILi8EZZZNS0_12_GLOBAL__N_116addr_kernel_cudaERNS_14TensorIteratorERKN3c106ScalarES8_ENKUlvE_clEvENKUlvE_clEvEUlhhhE_St5arrayIPcLm4EEEEviT0_T1_,"axG",@progbits,_ZN2at6native29vectorized_elementwise_kernelILi8EZZZNS0_12_GLOBAL__N_116addr_kernel_cudaERNS_14TensorIteratorERKN3c106ScalarES8_ENKUlvE_clEvENKUlvE_clEvEUlhhhE_St5arrayIPcLm4EEEEviT0_T1_,comdat
.Lfunc_end17:
	.size	_ZN2at6native29vectorized_elementwise_kernelILi8EZZZNS0_12_GLOBAL__N_116addr_kernel_cudaERNS_14TensorIteratorERKN3c106ScalarES8_ENKUlvE_clEvENKUlvE_clEvEUlhhhE_St5arrayIPcLm4EEEEviT0_T1_, .Lfunc_end17-_ZN2at6native29vectorized_elementwise_kernelILi8EZZZNS0_12_GLOBAL__N_116addr_kernel_cudaERNS_14TensorIteratorERKN3c106ScalarES8_ENKUlvE_clEvENKUlvE_clEvEUlhhhE_St5arrayIPcLm4EEEEviT0_T1_
                                        ; -- End function
	.set _ZN2at6native29vectorized_elementwise_kernelILi8EZZZNS0_12_GLOBAL__N_116addr_kernel_cudaERNS_14TensorIteratorERKN3c106ScalarES8_ENKUlvE_clEvENKUlvE_clEvEUlhhhE_St5arrayIPcLm4EEEEviT0_T1_.num_vgpr, 39
	.set _ZN2at6native29vectorized_elementwise_kernelILi8EZZZNS0_12_GLOBAL__N_116addr_kernel_cudaERNS_14TensorIteratorERKN3c106ScalarES8_ENKUlvE_clEvENKUlvE_clEvEUlhhhE_St5arrayIPcLm4EEEEviT0_T1_.num_agpr, 0
	.set _ZN2at6native29vectorized_elementwise_kernelILi8EZZZNS0_12_GLOBAL__N_116addr_kernel_cudaERNS_14TensorIteratorERKN3c106ScalarES8_ENKUlvE_clEvENKUlvE_clEvEUlhhhE_St5arrayIPcLm4EEEEviT0_T1_.numbered_sgpr, 22
	.set _ZN2at6native29vectorized_elementwise_kernelILi8EZZZNS0_12_GLOBAL__N_116addr_kernel_cudaERNS_14TensorIteratorERKN3c106ScalarES8_ENKUlvE_clEvENKUlvE_clEvEUlhhhE_St5arrayIPcLm4EEEEviT0_T1_.num_named_barrier, 0
	.set _ZN2at6native29vectorized_elementwise_kernelILi8EZZZNS0_12_GLOBAL__N_116addr_kernel_cudaERNS_14TensorIteratorERKN3c106ScalarES8_ENKUlvE_clEvENKUlvE_clEvEUlhhhE_St5arrayIPcLm4EEEEviT0_T1_.private_seg_size, 0
	.set _ZN2at6native29vectorized_elementwise_kernelILi8EZZZNS0_12_GLOBAL__N_116addr_kernel_cudaERNS_14TensorIteratorERKN3c106ScalarES8_ENKUlvE_clEvENKUlvE_clEvEUlhhhE_St5arrayIPcLm4EEEEviT0_T1_.uses_vcc, 1
	.set _ZN2at6native29vectorized_elementwise_kernelILi8EZZZNS0_12_GLOBAL__N_116addr_kernel_cudaERNS_14TensorIteratorERKN3c106ScalarES8_ENKUlvE_clEvENKUlvE_clEvEUlhhhE_St5arrayIPcLm4EEEEviT0_T1_.uses_flat_scratch, 0
	.set _ZN2at6native29vectorized_elementwise_kernelILi8EZZZNS0_12_GLOBAL__N_116addr_kernel_cudaERNS_14TensorIteratorERKN3c106ScalarES8_ENKUlvE_clEvENKUlvE_clEvEUlhhhE_St5arrayIPcLm4EEEEviT0_T1_.has_dyn_sized_stack, 0
	.set _ZN2at6native29vectorized_elementwise_kernelILi8EZZZNS0_12_GLOBAL__N_116addr_kernel_cudaERNS_14TensorIteratorERKN3c106ScalarES8_ENKUlvE_clEvENKUlvE_clEvEUlhhhE_St5arrayIPcLm4EEEEviT0_T1_.has_recursion, 0
	.set _ZN2at6native29vectorized_elementwise_kernelILi8EZZZNS0_12_GLOBAL__N_116addr_kernel_cudaERNS_14TensorIteratorERKN3c106ScalarES8_ENKUlvE_clEvENKUlvE_clEvEUlhhhE_St5arrayIPcLm4EEEEviT0_T1_.has_indirect_call, 0
	.section	.AMDGPU.csdata,"",@progbits
; Kernel info:
; codeLenInByte = 5180
; TotalNumSgprs: 24
; NumVgprs: 39
; ScratchSize: 0
; MemoryBound: 0
; FloatMode: 240
; IeeeMode: 1
; LDSByteSize: 0 bytes/workgroup (compile time only)
; SGPRBlocks: 0
; VGPRBlocks: 2
; NumSGPRsForWavesPerEU: 24
; NumVGPRsForWavesPerEU: 39
; NamedBarCnt: 0
; Occupancy: 16
; WaveLimiterHint : 1
; COMPUTE_PGM_RSRC2:SCRATCH_EN: 0
; COMPUTE_PGM_RSRC2:USER_SGPR: 2
; COMPUTE_PGM_RSRC2:TRAP_HANDLER: 0
; COMPUTE_PGM_RSRC2:TGID_X_EN: 1
; COMPUTE_PGM_RSRC2:TGID_Y_EN: 0
; COMPUTE_PGM_RSRC2:TGID_Z_EN: 0
; COMPUTE_PGM_RSRC2:TIDIG_COMP_CNT: 0
	.section	.text._ZN2at6native29vectorized_elementwise_kernelILi4EZZZNS0_12_GLOBAL__N_116addr_kernel_cudaERNS_14TensorIteratorERKN3c106ScalarES8_ENKUlvE_clEvENKUlvE_clEvEUlhhhE_St5arrayIPcLm4EEEEviT0_T1_,"axG",@progbits,_ZN2at6native29vectorized_elementwise_kernelILi4EZZZNS0_12_GLOBAL__N_116addr_kernel_cudaERNS_14TensorIteratorERKN3c106ScalarES8_ENKUlvE_clEvENKUlvE_clEvEUlhhhE_St5arrayIPcLm4EEEEviT0_T1_,comdat
	.globl	_ZN2at6native29vectorized_elementwise_kernelILi4EZZZNS0_12_GLOBAL__N_116addr_kernel_cudaERNS_14TensorIteratorERKN3c106ScalarES8_ENKUlvE_clEvENKUlvE_clEvEUlhhhE_St5arrayIPcLm4EEEEviT0_T1_ ; -- Begin function _ZN2at6native29vectorized_elementwise_kernelILi4EZZZNS0_12_GLOBAL__N_116addr_kernel_cudaERNS_14TensorIteratorERKN3c106ScalarES8_ENKUlvE_clEvENKUlvE_clEvEUlhhhE_St5arrayIPcLm4EEEEviT0_T1_
	.p2align	8
	.type	_ZN2at6native29vectorized_elementwise_kernelILi4EZZZNS0_12_GLOBAL__N_116addr_kernel_cudaERNS_14TensorIteratorERKN3c106ScalarES8_ENKUlvE_clEvENKUlvE_clEvEUlhhhE_St5arrayIPcLm4EEEEviT0_T1_,@function
_ZN2at6native29vectorized_elementwise_kernelILi4EZZZNS0_12_GLOBAL__N_116addr_kernel_cudaERNS_14TensorIteratorERKN3c106ScalarES8_ENKUlvE_clEvENKUlvE_clEvEUlhhhE_St5arrayIPcLm4EEEEviT0_T1_: ; @_ZN2at6native29vectorized_elementwise_kernelILi4EZZZNS0_12_GLOBAL__N_116addr_kernel_cudaERNS_14TensorIteratorERKN3c106ScalarES8_ENKUlvE_clEvENKUlvE_clEvEUlhhhE_St5arrayIPcLm4EEEEviT0_T1_
; %bb.0:
	s_clause 0x1
	s_load_b128 s[4:7], s[0:1], 0x0
	s_load_b128 s[8:11], s[0:1], 0x18
	s_wait_xcnt 0x0
	s_bfe_u32 s0, ttmp6, 0x4000c
	s_and_b32 s1, ttmp6, 15
	s_add_co_i32 s0, s0, 1
	s_getreg_b32 s2, hwreg(HW_REG_IB_STS2, 6, 4)
	s_mul_i32 s0, ttmp9, s0
	s_delay_alu instid0(SALU_CYCLE_1) | instskip(SKIP_2) | instid1(SALU_CYCLE_1)
	s_add_co_i32 s1, s1, s0
	s_cmp_eq_u32 s2, 0
	s_cselect_b32 s0, ttmp9, s1
	s_lshl_b32 s2, s0, 12
	s_mov_b32 s0, -1
	s_wait_kmcnt 0x0
	s_sub_co_i32 s1, s4, s2
	s_delay_alu instid0(SALU_CYCLE_1)
	s_cmp_gt_i32 s1, 0xfff
	s_cbranch_scc0 .LBB18_2
; %bb.1:
	s_ashr_i32 s3, s2, 31
	s_mov_b32 s0, 0
	s_add_nc_u64 s[12:13], s[8:9], s[2:3]
	s_clause 0x3
	global_load_b32 v1, v0, s[12:13] scale_offset
	global_load_b32 v2, v0, s[12:13] offset:1024 scale_offset
	global_load_b32 v3, v0, s[12:13] offset:2048 scale_offset
	;; [unrolled: 1-line block ×3, first 2 shown]
	s_wait_xcnt 0x0
	s_add_nc_u64 s[12:13], s[10:11], s[2:3]
	s_clause 0x3
	global_load_b32 v5, v0, s[12:13] scale_offset
	global_load_b32 v6, v0, s[12:13] offset:1024 scale_offset
	global_load_b32 v7, v0, s[12:13] offset:2048 scale_offset
	;; [unrolled: 1-line block ×3, first 2 shown]
	s_wait_xcnt 0x0
	s_add_nc_u64 s[12:13], s[6:7], s[2:3]
	s_wait_loadcnt 0x7
	v_dual_lshrrev_b32 v9, 8, v1 :: v_dual_lshrrev_b32 v10, 16, v1
	s_wait_loadcnt 0x6
	v_dual_lshrrev_b32 v11, 24, v1 :: v_dual_lshrrev_b32 v12, 8, v2
	v_mul_lo_u16 v1, s5, v1
	v_dual_lshrrev_b32 v13, 16, v2 :: v_dual_lshrrev_b32 v14, 24, v2
	v_mul_lo_u16 v2, s5, v2
	s_wait_loadcnt 0x5
	v_dual_lshrrev_b32 v15, 8, v3 :: v_dual_lshrrev_b32 v16, 16, v3
	s_wait_loadcnt 0x4
	v_dual_lshrrev_b32 v17, 24, v3 :: v_dual_lshrrev_b32 v18, 8, v4
	v_mul_lo_u16 v3, s5, v3
	v_dual_lshrrev_b32 v19, 16, v4 :: v_dual_lshrrev_b32 v20, 24, v4
	v_mul_lo_u16 v4, s5, v4
	s_wait_loadcnt 0x3
	v_dual_lshrrev_b32 v21, 8, v5 :: v_dual_lshrrev_b32 v22, 16, v5
	s_wait_loadcnt 0x2
	v_dual_lshrrev_b32 v23, 24, v5 :: v_dual_lshrrev_b32 v24, 8, v6
	v_mul_lo_u16 v1, v1, v5
	v_mul_lo_u16 v5, s5, v9
	;; [unrolled: 1-line block ×3, first 2 shown]
	v_dual_lshrrev_b32 v25, 16, v6 :: v_dual_lshrrev_b32 v26, 24, v6
	v_mul_lo_u16 v10, s5, v11
	v_mul_lo_u16 v2, v2, v6
	;; [unrolled: 1-line block ×4, first 2 shown]
	s_wait_loadcnt 0x1
	v_dual_lshrrev_b32 v27, 8, v7 :: v_dual_lshrrev_b32 v28, 16, v7
	s_wait_loadcnt 0x0
	v_dual_lshrrev_b32 v29, 24, v7 :: v_dual_lshrrev_b32 v30, 8, v8
	v_mul_lo_u16 v3, v3, v7
	v_mul_lo_u16 v7, s5, v15
	v_mul_lo_u16 v13, s5, v16
	v_dual_lshrrev_b32 v31, 16, v8 :: v_dual_lshrrev_b32 v32, 24, v8
	v_mul_lo_u16 v4, v4, v8
	v_mul_lo_u16 v8, s5, v18
	;; [unrolled: 1-line block ×15, first 2 shown]
	v_and_b32_e32 v5, 0xff, v5
	v_and_b32_e32 v9, 0xff, v9
	v_mul_lo_u16 v12, v12, v26
	v_and_b32_e32 v6, 0xff, v6
	v_and_b32_e32 v11, 0xff, v11
	v_mul_lo_u16 v14, v14, v29
	;; [unrolled: 3-line block ×3, first 2 shown]
	v_and_b32_e32 v8, 0xff, v8
	v_and_b32_e32 v15, 0xff, v15
	v_dual_lshlrev_b32 v10, 24, v10 :: v_dual_lshlrev_b32 v12, 24, v12
	v_perm_b32 v1, v5, v1, 0x6050400
	v_lshlrev_b32_e32 v5, 16, v9
	v_perm_b32 v2, v6, v2, 0x6050400
	v_dual_lshlrev_b32 v6, 16, v11 :: v_dual_lshlrev_b32 v14, 24, v14
	v_lshlrev_b32_e32 v16, 24, v16
	v_perm_b32 v3, v7, v3, 0x6050400
	v_lshlrev_b32_e32 v7, 16, v13
	v_perm_b32 v4, v8, v4, 0x6050400
	v_lshlrev_b32_e32 v8, 16, v15
	v_or3_b32 v1, v1, v5, v10
	v_or3_b32 v2, v2, v6, v12
	;; [unrolled: 1-line block ×3, first 2 shown]
	s_delay_alu instid0(VALU_DEP_4)
	v_or3_b32 v4, v4, v8, v16
	s_clause 0x3
	global_store_b32 v0, v1, s[12:13] scale_offset
	global_store_b32 v0, v2, s[12:13] offset:1024 scale_offset
	global_store_b32 v0, v3, s[12:13] offset:2048 scale_offset
	;; [unrolled: 1-line block ×3, first 2 shown]
.LBB18_2:
	s_and_not1_b32 vcc_lo, exec_lo, s0
	s_cbranch_vccnz .LBB18_83
; %bb.3:
	v_cmp_gt_i32_e32 vcc_lo, s1, v0
	s_wait_xcnt 0x3
	v_dual_mov_b32 v38, 0 :: v_dual_bitop2_b32 v1, s2, v0 bitop3:0x54
	v_or_b32_e32 v8, 0x100, v0
	v_dual_mov_b32 v37, 0 :: v_dual_mov_b32 v36, 0
	v_dual_mov_b32 v35, 0 :: v_dual_mov_b32 v34, 0
	;; [unrolled: 1-line block ×12, first 2 shown]
	s_wait_xcnt 0x0
	v_dual_mov_b32 v4, 0 :: v_dual_mov_b32 v23, 0
	v_dual_mov_b32 v3, 0 :: v_dual_mov_b32 v25, 0
	;; [unrolled: 1-line block ×3, first 2 shown]
	v_mov_b32_e32 v29, 0
	s_and_saveexec_b32 s3, vcc_lo
	s_cbranch_execz .LBB18_35
; %bb.4:
	s_clause 0x1
	global_load_u8 v28, v1, s[8:9]
	global_load_u8 v29, v1, s[10:11]
	v_or_b32_e32 v2, 0x100, v0
	v_dual_mov_b32 v24, 0 :: v_dual_mov_b32 v25, 0
	v_dual_mov_b32 v3, 0 :: v_dual_mov_b32 v23, 0
	s_delay_alu instid0(VALU_DEP_3)
	v_cmp_gt_u32_e64 s0, s1, v2
	v_dual_mov_b32 v4, 0 :: v_dual_mov_b32 v19, 0
	v_dual_mov_b32 v12, 0 :: v_dual_mov_b32 v16, 0
	;; [unrolled: 1-line block ×13, first 2 shown]
	s_wait_xcnt 0x0
	s_and_saveexec_b32 s4, s0
	s_cbranch_execz .LBB18_34
; %bb.5:
	v_dual_mov_b32 v3, 0 :: v_dual_add_nc_u32 v2, s2, v0
	v_or_b32_e32 v4, 0x200, v0
	v_dual_mov_b32 v23, 0 :: v_dual_mov_b32 v19, 0
	v_mov_b32_e32 v12, 0
	s_clause 0x1
	global_load_u8 v25, v2, s[8:9] offset:256
	global_load_u8 v24, v2, s[10:11] offset:256
	v_cmp_gt_u32_e64 s0, s1, v4
	v_dual_mov_b32 v4, 0 :: v_dual_mov_b32 v16, 0
	v_dual_mov_b32 v10, 0 :: v_dual_mov_b32 v14, 0
	v_dual_mov_b32 v9, 0 :: v_dual_mov_b32 v15, 0
	v_dual_mov_b32 v11, 0 :: v_dual_mov_b32 v17, 0
	v_dual_mov_b32 v13, 0 :: v_dual_mov_b32 v20, 0
	v_dual_mov_b32 v18, 0 :: v_dual_mov_b32 v22, 0
	v_dual_mov_b32 v21, 0 :: v_dual_mov_b32 v27, 0
	v_dual_mov_b32 v26, 0 :: v_dual_mov_b32 v30, 0
	v_dual_mov_b32 v31, 0 :: v_dual_mov_b32 v32, 0
	v_dual_mov_b32 v33, 0 :: v_dual_mov_b32 v34, 0
	v_dual_mov_b32 v35, 0 :: v_dual_mov_b32 v36, 0
	v_dual_mov_b32 v37, 0 :: v_dual_mov_b32 v38, 0
	s_wait_xcnt 0x0
	s_and_saveexec_b32 s12, s0
	s_cbranch_execz .LBB18_33
; %bb.6:
	v_add_nc_u64_e32 v[4:5], s[8:9], v[2:3]
	v_add_nc_u64_e32 v[6:7], s[10:11], v[2:3]
	v_or_b32_e32 v9, 0x300, v0
	v_dual_mov_b32 v19, 0 :: v_dual_mov_b32 v12, 0
	v_dual_mov_b32 v16, 0 :: v_dual_mov_b32 v10, 0
	global_load_u8 v23, v[4:5], off offset:512
	global_load_u8 v2, v[6:7], off offset:512
	v_cmp_gt_u32_e64 s0, s1, v9
	v_dual_mov_b32 v14, 0 :: v_dual_mov_b32 v9, 0
	v_dual_mov_b32 v15, 0 :: v_dual_mov_b32 v11, 0
	;; [unrolled: 1-line block ×10, first 2 shown]
	v_mov_b32_e32 v38, 0
	s_wait_xcnt 0x0
	s_and_saveexec_b32 s8, s0
	s_cbranch_execz .LBB18_32
; %bb.7:
	global_load_u8 v19, v[4:5], off offset:768
	global_load_u8 v3, v[6:7], off offset:768
	v_or_b32_e32 v9, 0x400, v0
	v_dual_mov_b32 v12, 0 :: v_dual_mov_b32 v16, 0
	v_dual_mov_b32 v10, 0 :: v_dual_mov_b32 v14, 0
	s_delay_alu instid0(VALU_DEP_3)
	v_cmp_gt_u32_e64 s0, s1, v9
	v_dual_mov_b32 v9, 0 :: v_dual_mov_b32 v15, 0
	v_dual_mov_b32 v11, 0 :: v_dual_mov_b32 v17, 0
	;; [unrolled: 1-line block ×10, first 2 shown]
	s_wait_xcnt 0x0
	s_and_saveexec_b32 s9, s0
	s_cbranch_execz .LBB18_31
; %bb.8:
	global_load_u8 v16, v[4:5], off offset:1024
	global_load_u8 v12, v[6:7], off offset:1024
	v_or_b32_e32 v9, 0x500, v0
	v_dual_mov_b32 v10, 0 :: v_dual_mov_b32 v14, 0
	v_dual_mov_b32 v11, 0 :: v_dual_mov_b32 v17, 0
	s_delay_alu instid0(VALU_DEP_3)
	v_cmp_gt_u32_e64 s0, s1, v9
	v_dual_mov_b32 v9, 0 :: v_dual_mov_b32 v15, 0
	v_dual_mov_b32 v13, 0 :: v_dual_mov_b32 v20, 0
	;; [unrolled: 1-line block ×9, first 2 shown]
	s_wait_xcnt 0x0
	s_and_saveexec_b32 s10, s0
	s_cbranch_execz .LBB18_30
; %bb.9:
	global_load_u8 v14, v[4:5], off offset:1280
	global_load_u8 v10, v[6:7], off offset:1280
	v_or_b32_e32 v9, 0x600, v0
	v_dual_mov_b32 v11, 0 :: v_dual_mov_b32 v17, 0
	v_dual_mov_b32 v13, 0 :: v_dual_mov_b32 v20, 0
	s_delay_alu instid0(VALU_DEP_3)
	v_cmp_gt_u32_e64 s0, s1, v9
	v_dual_mov_b32 v9, 0 :: v_dual_mov_b32 v15, 0
	v_dual_mov_b32 v18, 0 :: v_dual_mov_b32 v22, 0
	v_dual_mov_b32 v21, 0 :: v_dual_mov_b32 v27, 0
	v_dual_mov_b32 v26, 0 :: v_dual_mov_b32 v30, 0
	v_dual_mov_b32 v31, 0 :: v_dual_mov_b32 v32, 0
	v_dual_mov_b32 v33, 0 :: v_dual_mov_b32 v34, 0
	v_dual_mov_b32 v35, 0 :: v_dual_mov_b32 v36, 0
	v_dual_mov_b32 v37, 0 :: v_dual_mov_b32 v38, 0
	s_wait_xcnt 0x0
	s_and_saveexec_b32 s11, s0
	s_cbranch_execz .LBB18_29
; %bb.10:
	global_load_u8 v15, v[4:5], off offset:1536
	global_load_u8 v9, v[6:7], off offset:1536
	v_or_b32_e32 v11, 0x700, v0
	v_dual_mov_b32 v13, 0 :: v_dual_mov_b32 v20, 0
	v_dual_mov_b32 v18, 0 :: v_dual_mov_b32 v22, 0
	s_delay_alu instid0(VALU_DEP_3)
	v_cmp_gt_u32_e64 s0, s1, v11
	v_dual_mov_b32 v11, 0 :: v_dual_mov_b32 v17, 0
	v_dual_mov_b32 v21, 0 :: v_dual_mov_b32 v27, 0
	v_dual_mov_b32 v26, 0 :: v_dual_mov_b32 v30, 0
	v_dual_mov_b32 v31, 0 :: v_dual_mov_b32 v32, 0
	v_dual_mov_b32 v33, 0 :: v_dual_mov_b32 v34, 0
	v_dual_mov_b32 v35, 0 :: v_dual_mov_b32 v36, 0
	v_dual_mov_b32 v37, 0 :: v_dual_mov_b32 v38, 0
	s_wait_xcnt 0x0
	s_and_saveexec_b32 s13, s0
	s_cbranch_execz .LBB18_28
; %bb.11:
	global_load_u8 v17, v[4:5], off offset:1792
	global_load_u8 v11, v[6:7], off offset:1792
	v_or_b32_e32 v13, 0x800, v0
	v_dual_mov_b32 v18, 0 :: v_dual_mov_b32 v22, 0
	v_dual_mov_b32 v21, 0 :: v_dual_mov_b32 v27, 0
	s_delay_alu instid0(VALU_DEP_3)
	v_cmp_gt_u32_e64 s0, s1, v13
	v_dual_mov_b32 v13, 0 :: v_dual_mov_b32 v20, 0
	v_dual_mov_b32 v26, 0 :: v_dual_mov_b32 v30, 0
	;; [unrolled: 1-line block ×6, first 2 shown]
	s_wait_xcnt 0x0
	s_and_saveexec_b32 s14, s0
	s_cbranch_execz .LBB18_27
; %bb.12:
	global_load_u8 v20, v[4:5], off offset:2048
	global_load_u8 v13, v[6:7], off offset:2048
	v_or_b32_e32 v18, 0x900, v0
	v_dual_mov_b32 v21, 0 :: v_dual_mov_b32 v27, 0
	v_dual_mov_b32 v26, 0 :: v_dual_mov_b32 v30, 0
	s_delay_alu instid0(VALU_DEP_3)
	v_cmp_gt_u32_e64 s0, s1, v18
	v_dual_mov_b32 v18, 0 :: v_dual_mov_b32 v22, 0
	v_dual_mov_b32 v31, 0 :: v_dual_mov_b32 v32, 0
	;; [unrolled: 1-line block ×5, first 2 shown]
	s_wait_xcnt 0x0
	s_and_saveexec_b32 s15, s0
	s_cbranch_execz .LBB18_26
; %bb.13:
	global_load_u8 v22, v[4:5], off offset:2304
	global_load_u8 v18, v[6:7], off offset:2304
	v_or_b32_e32 v21, 0xa00, v0
	v_dual_mov_b32 v26, 0 :: v_dual_mov_b32 v30, 0
	v_dual_mov_b32 v31, 0 :: v_dual_mov_b32 v32, 0
	s_delay_alu instid0(VALU_DEP_3)
	v_cmp_gt_u32_e64 s0, s1, v21
	v_dual_mov_b32 v21, 0 :: v_dual_mov_b32 v27, 0
	v_dual_mov_b32 v33, 0 :: v_dual_mov_b32 v34, 0
	;; [unrolled: 1-line block ×4, first 2 shown]
	s_wait_xcnt 0x0
	s_and_saveexec_b32 s16, s0
	s_cbranch_execz .LBB18_25
; %bb.14:
	global_load_u8 v27, v[4:5], off offset:2560
	global_load_u8 v21, v[6:7], off offset:2560
	v_or_b32_e32 v26, 0xb00, v0
	v_dual_mov_b32 v31, 0 :: v_dual_mov_b32 v32, 0
	v_dual_mov_b32 v33, 0 :: v_dual_mov_b32 v34, 0
	s_delay_alu instid0(VALU_DEP_3)
	v_cmp_gt_u32_e64 s0, s1, v26
	v_dual_mov_b32 v26, 0 :: v_dual_mov_b32 v30, 0
	v_dual_mov_b32 v35, 0 :: v_dual_mov_b32 v36, 0
	;; [unrolled: 1-line block ×3, first 2 shown]
	s_wait_xcnt 0x0
	s_and_saveexec_b32 s17, s0
	s_cbranch_execz .LBB18_24
; %bb.15:
	global_load_u8 v30, v[4:5], off offset:2816
	global_load_u8 v26, v[6:7], off offset:2816
	v_or_b32_e32 v31, 0xc00, v0
	v_dual_mov_b32 v33, 0 :: v_dual_mov_b32 v34, 0
	v_dual_mov_b32 v35, 0 :: v_dual_mov_b32 v36, 0
	s_delay_alu instid0(VALU_DEP_3)
	v_cmp_gt_u32_e64 s0, s1, v31
	v_dual_mov_b32 v31, 0 :: v_dual_mov_b32 v32, 0
	v_dual_mov_b32 v37, 0 :: v_dual_mov_b32 v38, 0
	s_wait_xcnt 0x0
	s_and_saveexec_b32 s18, s0
	s_cbranch_execz .LBB18_23
; %bb.16:
	global_load_u8 v32, v[4:5], off offset:3072
	global_load_u8 v31, v[6:7], off offset:3072
	v_or_b32_e32 v33, 0xd00, v0
	v_dual_mov_b32 v35, 0 :: v_dual_mov_b32 v36, 0
	v_dual_mov_b32 v37, 0 :: v_dual_mov_b32 v38, 0
	s_delay_alu instid0(VALU_DEP_3)
	v_cmp_gt_u32_e64 s0, s1, v33
	v_dual_mov_b32 v33, 0 :: v_dual_mov_b32 v34, 0
	s_wait_xcnt 0x0
	s_and_saveexec_b32 s19, s0
	s_cbranch_execz .LBB18_22
; %bb.17:
	global_load_u8 v34, v[4:5], off offset:3328
	global_load_u8 v33, v[6:7], off offset:3328
	v_or_b32_e32 v35, 0xe00, v0
	v_dual_mov_b32 v37, 0 :: v_dual_mov_b32 v38, 0
	v_mov_b32_e32 v36, 0
	s_delay_alu instid0(VALU_DEP_3)
	v_cmp_gt_u32_e64 s0, s1, v35
	v_mov_b32_e32 v35, 0
	s_wait_xcnt 0x0
	s_and_saveexec_b32 s20, s0
	s_cbranch_execz .LBB18_21
; %bb.18:
	global_load_u8 v36, v[4:5], off offset:3584
	global_load_u8 v35, v[6:7], off offset:3584
	v_or_b32_e32 v37, 0xf00, v0
	v_mov_b32_e32 v38, 0
	s_delay_alu instid0(VALU_DEP_2)
	v_cmp_gt_u32_e64 s0, s1, v37
	v_mov_b32_e32 v37, 0
	s_wait_xcnt 0x0
	s_and_saveexec_b32 s21, s0
	s_cbranch_execz .LBB18_20
; %bb.19:
	global_load_u8 v38, v[4:5], off offset:3840
	global_load_u8 v37, v[6:7], off offset:3840
.LBB18_20:
	s_wait_xcnt 0x0
	s_or_b32 exec_lo, exec_lo, s21
.LBB18_21:
	s_delay_alu instid0(SALU_CYCLE_1)
	s_or_b32 exec_lo, exec_lo, s20
.LBB18_22:
	s_delay_alu instid0(SALU_CYCLE_1)
	s_or_b32 exec_lo, exec_lo, s19
.LBB18_23:
	s_delay_alu instid0(SALU_CYCLE_1)
	s_or_b32 exec_lo, exec_lo, s18
.LBB18_24:
	s_delay_alu instid0(SALU_CYCLE_1)
	s_or_b32 exec_lo, exec_lo, s17
.LBB18_25:
	s_delay_alu instid0(SALU_CYCLE_1)
	s_or_b32 exec_lo, exec_lo, s16
.LBB18_26:
	s_delay_alu instid0(SALU_CYCLE_1)
	s_or_b32 exec_lo, exec_lo, s15
.LBB18_27:
	s_delay_alu instid0(SALU_CYCLE_1)
	s_or_b32 exec_lo, exec_lo, s14
.LBB18_28:
	s_delay_alu instid0(SALU_CYCLE_1)
	s_or_b32 exec_lo, exec_lo, s13
.LBB18_29:
	s_delay_alu instid0(SALU_CYCLE_1)
	s_or_b32 exec_lo, exec_lo, s11
.LBB18_30:
	s_delay_alu instid0(SALU_CYCLE_1)
	s_or_b32 exec_lo, exec_lo, s10
.LBB18_31:
	s_delay_alu instid0(SALU_CYCLE_1)
	s_or_b32 exec_lo, exec_lo, s9
.LBB18_32:
	s_delay_alu instid0(SALU_CYCLE_1)
	s_or_b32 exec_lo, exec_lo, s8
	s_wait_loadcnt 0x0
	v_dual_mov_b32 v4, v3 :: v_dual_mov_b32 v3, v2
.LBB18_33:
	s_or_b32 exec_lo, exec_lo, s12
.LBB18_34:
	s_delay_alu instid0(SALU_CYCLE_1) | instskip(NEXT) | instid1(SALU_CYCLE_1)
	s_or_b32 exec_lo, exec_lo, s4
	s_or_b32 exec_lo, exec_lo, s3
                                        ; implicit-def: $vgpr2
	s_and_saveexec_b32 s0, vcc_lo
	s_cbranch_execz .LBB18_37
	s_branch .LBB18_36
.LBB18_35:
	s_or_b32 exec_lo, exec_lo, s3
                                        ; implicit-def: $vgpr2
	s_and_saveexec_b32 s0, vcc_lo
	s_cbranch_execz .LBB18_37
.LBB18_36:
	s_wait_loadcnt 0x1
	v_mul_lo_u16 v2, v28, s5
	s_wait_loadcnt 0x0
	s_delay_alu instid0(VALU_DEP_1)
	v_mul_lo_u16 v2, v2, v29
.LBB18_37:
	s_or_b32 exec_lo, exec_lo, s0
	s_delay_alu instid0(SALU_CYCLE_1)
	s_mov_b32 s3, exec_lo
                                        ; implicit-def: $vgpr5
	v_cmpx_gt_i32_e64 s1, v8
	s_cbranch_execz .LBB18_39
; %bb.38:
	s_wait_loadcnt 0x1
	v_mul_lo_u16 v5, v25, s5
	s_wait_loadcnt 0x0
	s_delay_alu instid0(VALU_DEP_1)
	v_mul_lo_u16 v5, v5, v24
.LBB18_39:
	s_or_b32 exec_lo, exec_lo, s3
	v_or_b32_e32 v6, 0x200, v0
	s_delay_alu instid0(VALU_DEP_1)
	v_cmp_gt_i32_e64 s0, s1, v6
                                        ; implicit-def: $vgpr6
	s_and_saveexec_b32 s3, s0
; %bb.40:
	v_mul_lo_u16 v6, v23, s5
	s_delay_alu instid0(VALU_DEP_1)
	v_mul_lo_u16 v6, v6, v3
; %bb.41:
	s_or_b32 exec_lo, exec_lo, s3
	v_or_b32_e32 v3, 0x300, v0
	s_delay_alu instid0(VALU_DEP_1)
	v_cmp_gt_i32_e64 s0, s1, v3
                                        ; implicit-def: $vgpr3
	s_and_saveexec_b32 s3, s0
; %bb.42:
	v_mul_lo_u16 v3, v19, s5
	s_delay_alu instid0(VALU_DEP_1)
	v_mul_lo_u16 v3, v3, v4
; %bb.43:
	s_or_b32 exec_lo, exec_lo, s3
	v_or_b32_e32 v4, 0x400, v0
	s_delay_alu instid0(VALU_DEP_1)
	v_cmp_gt_i32_e64 s0, s1, v4
                                        ; implicit-def: $vgpr4
	s_and_saveexec_b32 s3, s0
; %bb.44:
	v_mul_lo_u16 v4, v16, s5
	s_delay_alu instid0(VALU_DEP_1)
	v_mul_lo_u16 v4, v4, v12
; %bb.45:
	s_or_b32 exec_lo, exec_lo, s3
	v_or_b32_e32 v7, 0x500, v0
	s_delay_alu instid0(VALU_DEP_1)
	v_cmp_gt_i32_e64 s0, s1, v7
                                        ; implicit-def: $vgpr7
	s_and_saveexec_b32 s3, s0
; %bb.46:
	v_mul_lo_u16 v7, v14, s5
	s_delay_alu instid0(VALU_DEP_1)
	v_mul_lo_u16 v7, v7, v10
; %bb.47:
	s_or_b32 exec_lo, exec_lo, s3
	v_or_b32_e32 v10, 0x600, v0
	s_delay_alu instid0(VALU_DEP_1)
	v_cmp_gt_i32_e64 s0, s1, v10
                                        ; implicit-def: $vgpr10
	s_and_saveexec_b32 s3, s0
; %bb.48:
	v_mul_lo_u16 v10, v15, s5
	s_delay_alu instid0(VALU_DEP_1)
	v_mul_lo_u16 v10, v10, v9
; %bb.49:
	s_or_b32 exec_lo, exec_lo, s3
	v_or_b32_e32 v9, 0x700, v0
	s_delay_alu instid0(VALU_DEP_1)
	v_cmp_gt_i32_e64 s0, s1, v9
                                        ; implicit-def: $vgpr9
	s_and_saveexec_b32 s3, s0
; %bb.50:
	v_mul_lo_u16 v9, v17, s5
	s_delay_alu instid0(VALU_DEP_1)
	v_mul_lo_u16 v9, v9, v11
; %bb.51:
	s_or_b32 exec_lo, exec_lo, s3
	v_or_b32_e32 v11, 0x800, v0
	s_delay_alu instid0(VALU_DEP_1)
	v_cmp_gt_i32_e64 s0, s1, v11
                                        ; implicit-def: $vgpr11
	s_and_saveexec_b32 s3, s0
; %bb.52:
	v_mul_lo_u16 v11, v20, s5
	s_delay_alu instid0(VALU_DEP_1)
	v_mul_lo_u16 v11, v11, v13
; %bb.53:
	s_or_b32 exec_lo, exec_lo, s3
	v_or_b32_e32 v12, 0x900, v0
	s_delay_alu instid0(VALU_DEP_1)
	v_cmp_gt_i32_e64 s0, s1, v12
                                        ; implicit-def: $vgpr12
	s_and_saveexec_b32 s3, s0
; %bb.54:
	v_mul_lo_u16 v12, v22, s5
	s_delay_alu instid0(VALU_DEP_1)
	v_mul_lo_u16 v12, v12, v18
; %bb.55:
	s_or_b32 exec_lo, exec_lo, s3
	v_or_b32_e32 v13, 0xa00, v0
	s_delay_alu instid0(VALU_DEP_1)
	v_cmp_gt_i32_e64 s0, s1, v13
                                        ; implicit-def: $vgpr13
	s_and_saveexec_b32 s3, s0
; %bb.56:
	v_mul_lo_u16 v13, v27, s5
	s_delay_alu instid0(VALU_DEP_1)
	v_mul_lo_u16 v13, v13, v21
; %bb.57:
	s_or_b32 exec_lo, exec_lo, s3
	v_or_b32_e32 v14, 0xb00, v0
	s_delay_alu instid0(VALU_DEP_1)
	v_cmp_gt_i32_e64 s0, s1, v14
                                        ; implicit-def: $vgpr14
	s_and_saveexec_b32 s3, s0
; %bb.58:
	v_mul_lo_u16 v14, v30, s5
	s_delay_alu instid0(VALU_DEP_1)
	v_mul_lo_u16 v14, v14, v26
; %bb.59:
	s_or_b32 exec_lo, exec_lo, s3
	v_or_b32_e32 v15, 0xc00, v0
	s_delay_alu instid0(VALU_DEP_1)
	v_cmp_gt_i32_e64 s0, s1, v15
                                        ; implicit-def: $vgpr15
	s_and_saveexec_b32 s3, s0
; %bb.60:
	v_mul_lo_u16 v15, v32, s5
	s_delay_alu instid0(VALU_DEP_1)
	v_mul_lo_u16 v15, v15, v31
; %bb.61:
	s_or_b32 exec_lo, exec_lo, s3
	v_or_b32_e32 v16, 0xd00, v0
	s_delay_alu instid0(VALU_DEP_1)
	v_cmp_gt_i32_e64 s0, s1, v16
                                        ; implicit-def: $vgpr16
	s_and_saveexec_b32 s3, s0
; %bb.62:
	v_mul_lo_u16 v16, v34, s5
	s_delay_alu instid0(VALU_DEP_1)
	v_mul_lo_u16 v16, v16, v33
; %bb.63:
	s_or_b32 exec_lo, exec_lo, s3
	v_or_b32_e32 v17, 0xe00, v0
	s_delay_alu instid0(VALU_DEP_1)
	v_cmp_gt_i32_e64 s0, s1, v17
                                        ; implicit-def: $vgpr17
	s_and_saveexec_b32 s3, s0
; %bb.64:
	v_mul_lo_u16 v17, v36, s5
	s_delay_alu instid0(VALU_DEP_1)
	v_mul_lo_u16 v17, v17, v35
; %bb.65:
	s_or_b32 exec_lo, exec_lo, s3
	v_or_b32_e32 v18, 0xf00, v0
	s_delay_alu instid0(VALU_DEP_1)
	v_cmp_gt_i32_e64 s0, s1, v18
                                        ; implicit-def: $vgpr18
	s_and_saveexec_b32 s3, s0
	s_cbranch_execz .LBB18_84
; %bb.66:
	v_mul_lo_u16 v18, v38, s5
	s_delay_alu instid0(VALU_DEP_1) | instskip(SKIP_2) | instid1(SALU_CYCLE_1)
	v_mul_lo_u16 v18, v18, v37
	s_or_b32 exec_lo, exec_lo, s3
	s_and_saveexec_b32 s0, vcc_lo
	s_xor_b32 s0, exec_lo, s0
	s_cbranch_execnz .LBB18_85
.LBB18_67:
	s_or_b32 exec_lo, exec_lo, s0
	s_delay_alu instid0(SALU_CYCLE_1)
	s_mov_b32 s0, exec_lo
	v_cmpx_gt_i32_e64 s1, v0
	s_cbranch_execz .LBB18_86
.LBB18_68:
	v_add_nc_u32_e32 v1, s2, v0
	v_add_nc_u32_e32 v0, 0x100, v0
	global_store_b8 v1, v5, s[6:7]
	s_wait_xcnt 0x0
	s_or_b32 exec_lo, exec_lo, s0
	s_delay_alu instid0(SALU_CYCLE_1)
	s_mov_b32 s0, exec_lo
	v_cmpx_gt_i32_e64 s1, v0
	s_cbranch_execnz .LBB18_87
.LBB18_69:
	s_or_b32 exec_lo, exec_lo, s0
	s_delay_alu instid0(SALU_CYCLE_1)
	s_mov_b32 s0, exec_lo
	v_cmpx_gt_i32_e64 s1, v0
	s_cbranch_execz .LBB18_88
.LBB18_70:
	v_add_nc_u32_e32 v1, s2, v0
	v_add_nc_u32_e32 v0, 0x100, v0
	global_store_b8 v1, v3, s[6:7]
	s_wait_xcnt 0x0
	s_or_b32 exec_lo, exec_lo, s0
	s_delay_alu instid0(SALU_CYCLE_1)
	s_mov_b32 s0, exec_lo
	v_cmpx_gt_i32_e64 s1, v0
	s_cbranch_execnz .LBB18_89
.LBB18_71:
	s_or_b32 exec_lo, exec_lo, s0
	s_delay_alu instid0(SALU_CYCLE_1)
	s_mov_b32 s0, exec_lo
	v_cmpx_gt_i32_e64 s1, v0
	s_cbranch_execz .LBB18_90
.LBB18_72:
	v_add_nc_u32_e32 v1, s2, v0
	v_add_nc_u32_e32 v0, 0x100, v0
	global_store_b8 v1, v7, s[6:7]
	s_wait_xcnt 0x0
	s_or_b32 exec_lo, exec_lo, s0
	s_delay_alu instid0(SALU_CYCLE_1)
	s_mov_b32 s0, exec_lo
	v_cmpx_gt_i32_e64 s1, v0
	s_cbranch_execnz .LBB18_91
.LBB18_73:
	s_or_b32 exec_lo, exec_lo, s0
	s_delay_alu instid0(SALU_CYCLE_1)
	s_mov_b32 s0, exec_lo
	v_cmpx_gt_i32_e64 s1, v0
	s_cbranch_execz .LBB18_92
.LBB18_74:
	v_add_nc_u32_e32 v1, s2, v0
	v_add_nc_u32_e32 v0, 0x100, v0
	global_store_b8 v1, v9, s[6:7]
	s_wait_xcnt 0x0
	s_or_b32 exec_lo, exec_lo, s0
	s_delay_alu instid0(SALU_CYCLE_1)
	s_mov_b32 s0, exec_lo
	v_cmpx_gt_i32_e64 s1, v0
	s_cbranch_execnz .LBB18_93
.LBB18_75:
	s_or_b32 exec_lo, exec_lo, s0
	s_delay_alu instid0(SALU_CYCLE_1)
	s_mov_b32 s0, exec_lo
	v_cmpx_gt_i32_e64 s1, v0
	s_cbranch_execz .LBB18_94
.LBB18_76:
	v_add_nc_u32_e32 v1, s2, v0
	v_add_nc_u32_e32 v0, 0x100, v0
	global_store_b8 v1, v12, s[6:7]
	s_wait_xcnt 0x0
	s_or_b32 exec_lo, exec_lo, s0
	s_delay_alu instid0(SALU_CYCLE_1)
	s_mov_b32 s0, exec_lo
	v_cmpx_gt_i32_e64 s1, v0
	s_cbranch_execnz .LBB18_95
.LBB18_77:
	s_or_b32 exec_lo, exec_lo, s0
	s_delay_alu instid0(SALU_CYCLE_1)
	s_mov_b32 s0, exec_lo
	v_cmpx_gt_i32_e64 s1, v0
	s_cbranch_execz .LBB18_96
.LBB18_78:
	v_add_nc_u32_e32 v1, s2, v0
	v_add_nc_u32_e32 v0, 0x100, v0
	global_store_b8 v1, v14, s[6:7]
	s_wait_xcnt 0x0
	s_or_b32 exec_lo, exec_lo, s0
	s_delay_alu instid0(SALU_CYCLE_1)
	s_mov_b32 s0, exec_lo
	v_cmpx_gt_i32_e64 s1, v0
	s_cbranch_execnz .LBB18_97
.LBB18_79:
	s_or_b32 exec_lo, exec_lo, s0
	s_delay_alu instid0(SALU_CYCLE_1)
	s_mov_b32 s0, exec_lo
	v_cmpx_gt_i32_e64 s1, v0
	s_cbranch_execz .LBB18_98
.LBB18_80:
	v_add_nc_u32_e32 v1, s2, v0
	v_add_nc_u32_e32 v0, 0x100, v0
	global_store_b8 v1, v16, s[6:7]
	s_wait_xcnt 0x0
	s_or_b32 exec_lo, exec_lo, s0
	s_delay_alu instid0(SALU_CYCLE_1)
	s_mov_b32 s0, exec_lo
	v_cmpx_gt_i32_e64 s1, v0
	s_cbranch_execnz .LBB18_99
.LBB18_81:
	s_or_b32 exec_lo, exec_lo, s0
	s_delay_alu instid0(SALU_CYCLE_1)
	s_mov_b32 s0, exec_lo
	v_cmpx_gt_i32_e64 s1, v0
	s_cbranch_execz .LBB18_83
.LBB18_82:
	v_add_nc_u32_e32 v0, s2, v0
	global_store_b8 v0, v18, s[6:7]
.LBB18_83:
	s_endpgm
.LBB18_84:
	s_or_b32 exec_lo, exec_lo, s3
	s_and_saveexec_b32 s0, vcc_lo
	s_delay_alu instid0(SALU_CYCLE_1)
	s_xor_b32 s0, exec_lo, s0
	s_cbranch_execz .LBB18_67
.LBB18_85:
	v_mov_b32_e32 v0, v8
	global_store_b8 v1, v2, s[6:7]
	s_wait_xcnt 0x0
	s_or_b32 exec_lo, exec_lo, s0
	s_delay_alu instid0(SALU_CYCLE_1)
	s_mov_b32 s0, exec_lo
	v_cmpx_gt_i32_e64 s1, v0
	s_cbranch_execnz .LBB18_68
.LBB18_86:
	s_or_b32 exec_lo, exec_lo, s0
	s_delay_alu instid0(SALU_CYCLE_1)
	s_mov_b32 s0, exec_lo
	v_cmpx_gt_i32_e64 s1, v0
	s_cbranch_execz .LBB18_69
.LBB18_87:
	v_add_nc_u32_e32 v1, s2, v0
	v_add_nc_u32_e32 v0, 0x100, v0
	global_store_b8 v1, v6, s[6:7]
	s_wait_xcnt 0x0
	s_or_b32 exec_lo, exec_lo, s0
	s_delay_alu instid0(SALU_CYCLE_1)
	s_mov_b32 s0, exec_lo
	v_cmpx_gt_i32_e64 s1, v0
	s_cbranch_execnz .LBB18_70
.LBB18_88:
	s_or_b32 exec_lo, exec_lo, s0
	s_delay_alu instid0(SALU_CYCLE_1)
	s_mov_b32 s0, exec_lo
	v_cmpx_gt_i32_e64 s1, v0
	s_cbranch_execz .LBB18_71
.LBB18_89:
	v_add_nc_u32_e32 v1, s2, v0
	v_add_nc_u32_e32 v0, 0x100, v0
	global_store_b8 v1, v4, s[6:7]
	s_wait_xcnt 0x0
	s_or_b32 exec_lo, exec_lo, s0
	s_delay_alu instid0(SALU_CYCLE_1)
	s_mov_b32 s0, exec_lo
	v_cmpx_gt_i32_e64 s1, v0
	s_cbranch_execnz .LBB18_72
.LBB18_90:
	s_or_b32 exec_lo, exec_lo, s0
	s_delay_alu instid0(SALU_CYCLE_1)
	s_mov_b32 s0, exec_lo
	v_cmpx_gt_i32_e64 s1, v0
	s_cbranch_execz .LBB18_73
.LBB18_91:
	v_add_nc_u32_e32 v1, s2, v0
	v_add_nc_u32_e32 v0, 0x100, v0
	global_store_b8 v1, v10, s[6:7]
	s_wait_xcnt 0x0
	s_or_b32 exec_lo, exec_lo, s0
	s_delay_alu instid0(SALU_CYCLE_1)
	s_mov_b32 s0, exec_lo
	v_cmpx_gt_i32_e64 s1, v0
	s_cbranch_execnz .LBB18_74
.LBB18_92:
	s_or_b32 exec_lo, exec_lo, s0
	s_delay_alu instid0(SALU_CYCLE_1)
	s_mov_b32 s0, exec_lo
	v_cmpx_gt_i32_e64 s1, v0
	s_cbranch_execz .LBB18_75
.LBB18_93:
	v_add_nc_u32_e32 v1, s2, v0
	v_add_nc_u32_e32 v0, 0x100, v0
	global_store_b8 v1, v11, s[6:7]
	s_wait_xcnt 0x0
	s_or_b32 exec_lo, exec_lo, s0
	s_delay_alu instid0(SALU_CYCLE_1)
	s_mov_b32 s0, exec_lo
	v_cmpx_gt_i32_e64 s1, v0
	s_cbranch_execnz .LBB18_76
.LBB18_94:
	s_or_b32 exec_lo, exec_lo, s0
	s_delay_alu instid0(SALU_CYCLE_1)
	s_mov_b32 s0, exec_lo
	v_cmpx_gt_i32_e64 s1, v0
	s_cbranch_execz .LBB18_77
.LBB18_95:
	v_add_nc_u32_e32 v1, s2, v0
	v_add_nc_u32_e32 v0, 0x100, v0
	global_store_b8 v1, v13, s[6:7]
	s_wait_xcnt 0x0
	s_or_b32 exec_lo, exec_lo, s0
	s_delay_alu instid0(SALU_CYCLE_1)
	s_mov_b32 s0, exec_lo
	v_cmpx_gt_i32_e64 s1, v0
	s_cbranch_execnz .LBB18_78
.LBB18_96:
	s_or_b32 exec_lo, exec_lo, s0
	s_delay_alu instid0(SALU_CYCLE_1)
	s_mov_b32 s0, exec_lo
	v_cmpx_gt_i32_e64 s1, v0
	s_cbranch_execz .LBB18_79
.LBB18_97:
	v_add_nc_u32_e32 v1, s2, v0
	v_add_nc_u32_e32 v0, 0x100, v0
	global_store_b8 v1, v15, s[6:7]
	s_wait_xcnt 0x0
	s_or_b32 exec_lo, exec_lo, s0
	s_delay_alu instid0(SALU_CYCLE_1)
	s_mov_b32 s0, exec_lo
	v_cmpx_gt_i32_e64 s1, v0
	s_cbranch_execnz .LBB18_80
.LBB18_98:
	s_or_b32 exec_lo, exec_lo, s0
	s_delay_alu instid0(SALU_CYCLE_1)
	s_mov_b32 s0, exec_lo
	v_cmpx_gt_i32_e64 s1, v0
	s_cbranch_execz .LBB18_81
.LBB18_99:
	v_add_nc_u32_e32 v1, s2, v0
	v_add_nc_u32_e32 v0, 0x100, v0
	global_store_b8 v1, v17, s[6:7]
	s_wait_xcnt 0x0
	s_or_b32 exec_lo, exec_lo, s0
	s_delay_alu instid0(SALU_CYCLE_1)
	s_mov_b32 s0, exec_lo
	v_cmpx_gt_i32_e64 s1, v0
	s_cbranch_execnz .LBB18_82
	s_branch .LBB18_83
	.section	.rodata,"a",@progbits
	.p2align	6, 0x0
	.amdhsa_kernel _ZN2at6native29vectorized_elementwise_kernelILi4EZZZNS0_12_GLOBAL__N_116addr_kernel_cudaERNS_14TensorIteratorERKN3c106ScalarES8_ENKUlvE_clEvENKUlvE_clEvEUlhhhE_St5arrayIPcLm4EEEEviT0_T1_
		.amdhsa_group_segment_fixed_size 0
		.amdhsa_private_segment_fixed_size 0
		.amdhsa_kernarg_size 40
		.amdhsa_user_sgpr_count 2
		.amdhsa_user_sgpr_dispatch_ptr 0
		.amdhsa_user_sgpr_queue_ptr 0
		.amdhsa_user_sgpr_kernarg_segment_ptr 1
		.amdhsa_user_sgpr_dispatch_id 0
		.amdhsa_user_sgpr_kernarg_preload_length 0
		.amdhsa_user_sgpr_kernarg_preload_offset 0
		.amdhsa_user_sgpr_private_segment_size 0
		.amdhsa_wavefront_size32 1
		.amdhsa_uses_dynamic_stack 0
		.amdhsa_enable_private_segment 0
		.amdhsa_system_sgpr_workgroup_id_x 1
		.amdhsa_system_sgpr_workgroup_id_y 0
		.amdhsa_system_sgpr_workgroup_id_z 0
		.amdhsa_system_sgpr_workgroup_info 0
		.amdhsa_system_vgpr_workitem_id 0
		.amdhsa_next_free_vgpr 39
		.amdhsa_next_free_sgpr 22
		.amdhsa_named_barrier_count 0
		.amdhsa_reserve_vcc 1
		.amdhsa_float_round_mode_32 0
		.amdhsa_float_round_mode_16_64 0
		.amdhsa_float_denorm_mode_32 3
		.amdhsa_float_denorm_mode_16_64 3
		.amdhsa_fp16_overflow 0
		.amdhsa_memory_ordered 1
		.amdhsa_forward_progress 1
		.amdhsa_inst_pref_size 41
		.amdhsa_round_robin_scheduling 0
		.amdhsa_exception_fp_ieee_invalid_op 0
		.amdhsa_exception_fp_denorm_src 0
		.amdhsa_exception_fp_ieee_div_zero 0
		.amdhsa_exception_fp_ieee_overflow 0
		.amdhsa_exception_fp_ieee_underflow 0
		.amdhsa_exception_fp_ieee_inexact 0
		.amdhsa_exception_int_div_zero 0
	.end_amdhsa_kernel
	.section	.text._ZN2at6native29vectorized_elementwise_kernelILi4EZZZNS0_12_GLOBAL__N_116addr_kernel_cudaERNS_14TensorIteratorERKN3c106ScalarES8_ENKUlvE_clEvENKUlvE_clEvEUlhhhE_St5arrayIPcLm4EEEEviT0_T1_,"axG",@progbits,_ZN2at6native29vectorized_elementwise_kernelILi4EZZZNS0_12_GLOBAL__N_116addr_kernel_cudaERNS_14TensorIteratorERKN3c106ScalarES8_ENKUlvE_clEvENKUlvE_clEvEUlhhhE_St5arrayIPcLm4EEEEviT0_T1_,comdat
.Lfunc_end18:
	.size	_ZN2at6native29vectorized_elementwise_kernelILi4EZZZNS0_12_GLOBAL__N_116addr_kernel_cudaERNS_14TensorIteratorERKN3c106ScalarES8_ENKUlvE_clEvENKUlvE_clEvEUlhhhE_St5arrayIPcLm4EEEEviT0_T1_, .Lfunc_end18-_ZN2at6native29vectorized_elementwise_kernelILi4EZZZNS0_12_GLOBAL__N_116addr_kernel_cudaERNS_14TensorIteratorERKN3c106ScalarES8_ENKUlvE_clEvENKUlvE_clEvEUlhhhE_St5arrayIPcLm4EEEEviT0_T1_
                                        ; -- End function
	.set _ZN2at6native29vectorized_elementwise_kernelILi4EZZZNS0_12_GLOBAL__N_116addr_kernel_cudaERNS_14TensorIteratorERKN3c106ScalarES8_ENKUlvE_clEvENKUlvE_clEvEUlhhhE_St5arrayIPcLm4EEEEviT0_T1_.num_vgpr, 39
	.set _ZN2at6native29vectorized_elementwise_kernelILi4EZZZNS0_12_GLOBAL__N_116addr_kernel_cudaERNS_14TensorIteratorERKN3c106ScalarES8_ENKUlvE_clEvENKUlvE_clEvEUlhhhE_St5arrayIPcLm4EEEEviT0_T1_.num_agpr, 0
	.set _ZN2at6native29vectorized_elementwise_kernelILi4EZZZNS0_12_GLOBAL__N_116addr_kernel_cudaERNS_14TensorIteratorERKN3c106ScalarES8_ENKUlvE_clEvENKUlvE_clEvEUlhhhE_St5arrayIPcLm4EEEEviT0_T1_.numbered_sgpr, 22
	.set _ZN2at6native29vectorized_elementwise_kernelILi4EZZZNS0_12_GLOBAL__N_116addr_kernel_cudaERNS_14TensorIteratorERKN3c106ScalarES8_ENKUlvE_clEvENKUlvE_clEvEUlhhhE_St5arrayIPcLm4EEEEviT0_T1_.num_named_barrier, 0
	.set _ZN2at6native29vectorized_elementwise_kernelILi4EZZZNS0_12_GLOBAL__N_116addr_kernel_cudaERNS_14TensorIteratorERKN3c106ScalarES8_ENKUlvE_clEvENKUlvE_clEvEUlhhhE_St5arrayIPcLm4EEEEviT0_T1_.private_seg_size, 0
	.set _ZN2at6native29vectorized_elementwise_kernelILi4EZZZNS0_12_GLOBAL__N_116addr_kernel_cudaERNS_14TensorIteratorERKN3c106ScalarES8_ENKUlvE_clEvENKUlvE_clEvEUlhhhE_St5arrayIPcLm4EEEEviT0_T1_.uses_vcc, 1
	.set _ZN2at6native29vectorized_elementwise_kernelILi4EZZZNS0_12_GLOBAL__N_116addr_kernel_cudaERNS_14TensorIteratorERKN3c106ScalarES8_ENKUlvE_clEvENKUlvE_clEvEUlhhhE_St5arrayIPcLm4EEEEviT0_T1_.uses_flat_scratch, 0
	.set _ZN2at6native29vectorized_elementwise_kernelILi4EZZZNS0_12_GLOBAL__N_116addr_kernel_cudaERNS_14TensorIteratorERKN3c106ScalarES8_ENKUlvE_clEvENKUlvE_clEvEUlhhhE_St5arrayIPcLm4EEEEviT0_T1_.has_dyn_sized_stack, 0
	.set _ZN2at6native29vectorized_elementwise_kernelILi4EZZZNS0_12_GLOBAL__N_116addr_kernel_cudaERNS_14TensorIteratorERKN3c106ScalarES8_ENKUlvE_clEvENKUlvE_clEvEUlhhhE_St5arrayIPcLm4EEEEviT0_T1_.has_recursion, 0
	.set _ZN2at6native29vectorized_elementwise_kernelILi4EZZZNS0_12_GLOBAL__N_116addr_kernel_cudaERNS_14TensorIteratorERKN3c106ScalarES8_ENKUlvE_clEvENKUlvE_clEvEUlhhhE_St5arrayIPcLm4EEEEviT0_T1_.has_indirect_call, 0
	.section	.AMDGPU.csdata,"",@progbits
; Kernel info:
; codeLenInByte = 5236
; TotalNumSgprs: 24
; NumVgprs: 39
; ScratchSize: 0
; MemoryBound: 0
; FloatMode: 240
; IeeeMode: 1
; LDSByteSize: 0 bytes/workgroup (compile time only)
; SGPRBlocks: 0
; VGPRBlocks: 2
; NumSGPRsForWavesPerEU: 24
; NumVGPRsForWavesPerEU: 39
; NamedBarCnt: 0
; Occupancy: 16
; WaveLimiterHint : 1
; COMPUTE_PGM_RSRC2:SCRATCH_EN: 0
; COMPUTE_PGM_RSRC2:USER_SGPR: 2
; COMPUTE_PGM_RSRC2:TRAP_HANDLER: 0
; COMPUTE_PGM_RSRC2:TGID_X_EN: 1
; COMPUTE_PGM_RSRC2:TGID_Y_EN: 0
; COMPUTE_PGM_RSRC2:TGID_Z_EN: 0
; COMPUTE_PGM_RSRC2:TIDIG_COMP_CNT: 0
	.section	.text._ZN2at6native29vectorized_elementwise_kernelILi2EZZZNS0_12_GLOBAL__N_116addr_kernel_cudaERNS_14TensorIteratorERKN3c106ScalarES8_ENKUlvE_clEvENKUlvE_clEvEUlhhhE_St5arrayIPcLm4EEEEviT0_T1_,"axG",@progbits,_ZN2at6native29vectorized_elementwise_kernelILi2EZZZNS0_12_GLOBAL__N_116addr_kernel_cudaERNS_14TensorIteratorERKN3c106ScalarES8_ENKUlvE_clEvENKUlvE_clEvEUlhhhE_St5arrayIPcLm4EEEEviT0_T1_,comdat
	.globl	_ZN2at6native29vectorized_elementwise_kernelILi2EZZZNS0_12_GLOBAL__N_116addr_kernel_cudaERNS_14TensorIteratorERKN3c106ScalarES8_ENKUlvE_clEvENKUlvE_clEvEUlhhhE_St5arrayIPcLm4EEEEviT0_T1_ ; -- Begin function _ZN2at6native29vectorized_elementwise_kernelILi2EZZZNS0_12_GLOBAL__N_116addr_kernel_cudaERNS_14TensorIteratorERKN3c106ScalarES8_ENKUlvE_clEvENKUlvE_clEvEUlhhhE_St5arrayIPcLm4EEEEviT0_T1_
	.p2align	8
	.type	_ZN2at6native29vectorized_elementwise_kernelILi2EZZZNS0_12_GLOBAL__N_116addr_kernel_cudaERNS_14TensorIteratorERKN3c106ScalarES8_ENKUlvE_clEvENKUlvE_clEvEUlhhhE_St5arrayIPcLm4EEEEviT0_T1_,@function
_ZN2at6native29vectorized_elementwise_kernelILi2EZZZNS0_12_GLOBAL__N_116addr_kernel_cudaERNS_14TensorIteratorERKN3c106ScalarES8_ENKUlvE_clEvENKUlvE_clEvEUlhhhE_St5arrayIPcLm4EEEEviT0_T1_: ; @_ZN2at6native29vectorized_elementwise_kernelILi2EZZZNS0_12_GLOBAL__N_116addr_kernel_cudaERNS_14TensorIteratorERKN3c106ScalarES8_ENKUlvE_clEvENKUlvE_clEvEUlhhhE_St5arrayIPcLm4EEEEviT0_T1_
; %bb.0:
	s_clause 0x1
	s_load_b128 s[4:7], s[0:1], 0x0
	s_load_b128 s[8:11], s[0:1], 0x18
	s_wait_xcnt 0x0
	s_bfe_u32 s0, ttmp6, 0x4000c
	s_and_b32 s1, ttmp6, 15
	s_add_co_i32 s0, s0, 1
	s_getreg_b32 s2, hwreg(HW_REG_IB_STS2, 6, 4)
	s_mul_i32 s0, ttmp9, s0
	s_delay_alu instid0(SALU_CYCLE_1) | instskip(SKIP_2) | instid1(SALU_CYCLE_1)
	s_add_co_i32 s1, s1, s0
	s_cmp_eq_u32 s2, 0
	s_cselect_b32 s0, ttmp9, s1
	s_lshl_b32 s2, s0, 12
	s_mov_b32 s0, -1
	s_wait_kmcnt 0x0
	s_sub_co_i32 s1, s4, s2
	s_delay_alu instid0(SALU_CYCLE_1)
	s_cmp_gt_i32 s1, 0xfff
	s_cbranch_scc0 .LBB19_2
; %bb.1:
	s_ashr_i32 s3, s2, 31
	s_mov_b32 s0, 0
	s_add_nc_u64 s[12:13], s[8:9], s[2:3]
	s_add_nc_u64 s[14:15], s[10:11], s[2:3]
	s_clause 0xf
	global_load_u16 v1, v0, s[12:13] scale_offset
	global_load_u16 v2, v0, s[12:13] offset:512 scale_offset
	global_load_u16 v3, v0, s[12:13] offset:1024 scale_offset
	;; [unrolled: 1-line block ×7, first 2 shown]
	global_load_u16 v9, v0, s[14:15] scale_offset
	global_load_u16 v10, v0, s[14:15] offset:512 scale_offset
	global_load_u16 v11, v0, s[14:15] offset:1024 scale_offset
	;; [unrolled: 1-line block ×6, first 2 shown]
	; meta instruction
	global_load_u16 v16, v0, s[14:15] offset:3584 scale_offset
	s_wait_xcnt 0x8
	s_add_nc_u64 s[12:13], s[6:7], s[2:3]
	s_wait_loadcnt 0xf
	v_lshrrev_b16 v17, 8, v1
	v_mul_lo_u16 v1, s5, v1
	s_wait_loadcnt 0xe
	v_lshrrev_b16 v18, 8, v2
	v_mul_lo_u16 v2, s5, v2
	;; [unrolled: 3-line block ×5, first 2 shown]
	s_wait_loadcnt 0xa
	v_lshrrev_b16 v22, 8, v6
	s_wait_loadcnt 0x9
	v_lshrrev_b16 v23, 8, v7
	;; [unrolled: 2-line block ×4, first 2 shown]
	v_mul_lo_u16 v6, s5, v6
	v_mul_lo_u16 v7, s5, v7
	;; [unrolled: 1-line block ×5, first 2 shown]
	s_wait_loadcnt 0x6
	v_lshrrev_b16 v26, 8, v10
	v_mul_lo_u16 v2, v2, v10
	v_mul_lo_u16 v10, s5, v18
	s_wait_loadcnt 0x5
	v_lshrrev_b16 v27, 8, v11
	v_mul_lo_u16 v3, v3, v11
	v_mul_lo_u16 v11, s5, v19
	;; [unrolled: 4-line block ×4, first 2 shown]
	s_wait_loadcnt 0x2
	v_lshrrev_b16 v30, 8, v14
	s_wait_loadcnt 0x1
	v_lshrrev_b16 v31, 8, v15
	;; [unrolled: 2-line block ×3, first 2 shown]
	v_mul_lo_u16 v6, v6, v14
	v_mul_lo_u16 v14, s5, v22
	;; [unrolled: 1-line block ×14, first 2 shown]
	v_lshlrev_b16 v9, 8, v9
	v_lshlrev_b16 v10, 8, v10
	;; [unrolled: 1-line block ×8, first 2 shown]
	v_bitop3_b16 v1, v9, v1, 0xff bitop3:0xf8
	v_bitop3_b16 v2, v10, v2, 0xff bitop3:0xf8
	v_bitop3_b16 v3, v11, v3, 0xff bitop3:0xf8
	v_bitop3_b16 v4, v12, v4, 0xff bitop3:0xf8
	v_bitop3_b16 v5, v13, v5, 0xff bitop3:0xf8
	v_bitop3_b16 v6, v14, v6, 0xff bitop3:0xf8
	v_bitop3_b16 v7, v15, v7, 0xff bitop3:0xf8
	v_bitop3_b16 v8, v16, v8, 0xff bitop3:0xf8
	s_clause 0x7
	global_store_b16 v0, v1, s[12:13] scale_offset
	global_store_b16 v0, v2, s[12:13] offset:512 scale_offset
	global_store_b16 v0, v3, s[12:13] offset:1024 scale_offset
	;; [unrolled: 1-line block ×7, first 2 shown]
.LBB19_2:
	s_and_not1_b32 vcc_lo, exec_lo, s0
	s_cbranch_vccnz .LBB19_83
; %bb.3:
	v_cmp_gt_i32_e32 vcc_lo, s1, v0
	s_wait_xcnt 0x7
	v_dual_mov_b32 v38, 0 :: v_dual_bitop2_b32 v1, s2, v0 bitop3:0x54
	s_wait_xcnt 0x0
	v_or_b32_e32 v8, 0x100, v0
	v_dual_mov_b32 v37, 0 :: v_dual_mov_b32 v36, 0
	v_dual_mov_b32 v35, 0 :: v_dual_mov_b32 v34, 0
	;; [unrolled: 1-line block ×15, first 2 shown]
	v_mov_b32_e32 v29, 0
	s_and_saveexec_b32 s3, vcc_lo
	s_cbranch_execz .LBB19_35
; %bb.4:
	s_clause 0x1
	global_load_u8 v28, v1, s[8:9]
	global_load_u8 v29, v1, s[10:11]
	v_or_b32_e32 v2, 0x100, v0
	v_dual_mov_b32 v24, 0 :: v_dual_mov_b32 v25, 0
	v_dual_mov_b32 v3, 0 :: v_dual_mov_b32 v23, 0
	s_delay_alu instid0(VALU_DEP_3)
	v_cmp_gt_u32_e64 s0, s1, v2
	v_dual_mov_b32 v4, 0 :: v_dual_mov_b32 v19, 0
	v_dual_mov_b32 v12, 0 :: v_dual_mov_b32 v16, 0
	;; [unrolled: 1-line block ×13, first 2 shown]
	s_wait_xcnt 0x0
	s_and_saveexec_b32 s4, s0
	s_cbranch_execz .LBB19_34
; %bb.5:
	v_dual_mov_b32 v3, 0 :: v_dual_add_nc_u32 v2, s2, v0
	v_or_b32_e32 v4, 0x200, v0
	v_dual_mov_b32 v23, 0 :: v_dual_mov_b32 v19, 0
	v_mov_b32_e32 v12, 0
	s_clause 0x1
	global_load_u8 v25, v2, s[8:9] offset:256
	global_load_u8 v24, v2, s[10:11] offset:256
	v_cmp_gt_u32_e64 s0, s1, v4
	v_dual_mov_b32 v4, 0 :: v_dual_mov_b32 v16, 0
	v_dual_mov_b32 v10, 0 :: v_dual_mov_b32 v14, 0
	;; [unrolled: 1-line block ×12, first 2 shown]
	s_wait_xcnt 0x0
	s_and_saveexec_b32 s12, s0
	s_cbranch_execz .LBB19_33
; %bb.6:
	v_add_nc_u64_e32 v[4:5], s[8:9], v[2:3]
	v_add_nc_u64_e32 v[6:7], s[10:11], v[2:3]
	v_or_b32_e32 v9, 0x300, v0
	v_dual_mov_b32 v19, 0 :: v_dual_mov_b32 v12, 0
	v_dual_mov_b32 v16, 0 :: v_dual_mov_b32 v10, 0
	global_load_u8 v23, v[4:5], off offset:512
	global_load_u8 v2, v[6:7], off offset:512
	v_cmp_gt_u32_e64 s0, s1, v9
	v_dual_mov_b32 v14, 0 :: v_dual_mov_b32 v9, 0
	v_dual_mov_b32 v15, 0 :: v_dual_mov_b32 v11, 0
	;; [unrolled: 1-line block ×10, first 2 shown]
	v_mov_b32_e32 v38, 0
	s_wait_xcnt 0x0
	s_and_saveexec_b32 s8, s0
	s_cbranch_execz .LBB19_32
; %bb.7:
	global_load_u8 v19, v[4:5], off offset:768
	global_load_u8 v3, v[6:7], off offset:768
	v_or_b32_e32 v9, 0x400, v0
	v_dual_mov_b32 v12, 0 :: v_dual_mov_b32 v16, 0
	v_dual_mov_b32 v10, 0 :: v_dual_mov_b32 v14, 0
	s_delay_alu instid0(VALU_DEP_3)
	v_cmp_gt_u32_e64 s0, s1, v9
	v_dual_mov_b32 v9, 0 :: v_dual_mov_b32 v15, 0
	v_dual_mov_b32 v11, 0 :: v_dual_mov_b32 v17, 0
	;; [unrolled: 1-line block ×10, first 2 shown]
	s_wait_xcnt 0x0
	s_and_saveexec_b32 s9, s0
	s_cbranch_execz .LBB19_31
; %bb.8:
	global_load_u8 v16, v[4:5], off offset:1024
	global_load_u8 v12, v[6:7], off offset:1024
	v_or_b32_e32 v9, 0x500, v0
	v_dual_mov_b32 v10, 0 :: v_dual_mov_b32 v14, 0
	v_dual_mov_b32 v11, 0 :: v_dual_mov_b32 v17, 0
	s_delay_alu instid0(VALU_DEP_3)
	v_cmp_gt_u32_e64 s0, s1, v9
	v_dual_mov_b32 v9, 0 :: v_dual_mov_b32 v15, 0
	v_dual_mov_b32 v13, 0 :: v_dual_mov_b32 v20, 0
	;; [unrolled: 1-line block ×9, first 2 shown]
	s_wait_xcnt 0x0
	s_and_saveexec_b32 s10, s0
	s_cbranch_execz .LBB19_30
; %bb.9:
	global_load_u8 v14, v[4:5], off offset:1280
	global_load_u8 v10, v[6:7], off offset:1280
	v_or_b32_e32 v9, 0x600, v0
	v_dual_mov_b32 v11, 0 :: v_dual_mov_b32 v17, 0
	v_dual_mov_b32 v13, 0 :: v_dual_mov_b32 v20, 0
	s_delay_alu instid0(VALU_DEP_3)
	v_cmp_gt_u32_e64 s0, s1, v9
	v_dual_mov_b32 v9, 0 :: v_dual_mov_b32 v15, 0
	v_dual_mov_b32 v18, 0 :: v_dual_mov_b32 v22, 0
	;; [unrolled: 1-line block ×8, first 2 shown]
	s_wait_xcnt 0x0
	s_and_saveexec_b32 s11, s0
	s_cbranch_execz .LBB19_29
; %bb.10:
	global_load_u8 v15, v[4:5], off offset:1536
	global_load_u8 v9, v[6:7], off offset:1536
	v_or_b32_e32 v11, 0x700, v0
	v_dual_mov_b32 v13, 0 :: v_dual_mov_b32 v20, 0
	v_dual_mov_b32 v18, 0 :: v_dual_mov_b32 v22, 0
	s_delay_alu instid0(VALU_DEP_3)
	v_cmp_gt_u32_e64 s0, s1, v11
	v_dual_mov_b32 v11, 0 :: v_dual_mov_b32 v17, 0
	v_dual_mov_b32 v21, 0 :: v_dual_mov_b32 v27, 0
	;; [unrolled: 1-line block ×7, first 2 shown]
	s_wait_xcnt 0x0
	s_and_saveexec_b32 s13, s0
	s_cbranch_execz .LBB19_28
; %bb.11:
	global_load_u8 v17, v[4:5], off offset:1792
	global_load_u8 v11, v[6:7], off offset:1792
	v_or_b32_e32 v13, 0x800, v0
	v_dual_mov_b32 v18, 0 :: v_dual_mov_b32 v22, 0
	v_dual_mov_b32 v21, 0 :: v_dual_mov_b32 v27, 0
	s_delay_alu instid0(VALU_DEP_3)
	v_cmp_gt_u32_e64 s0, s1, v13
	v_dual_mov_b32 v13, 0 :: v_dual_mov_b32 v20, 0
	v_dual_mov_b32 v26, 0 :: v_dual_mov_b32 v30, 0
	;; [unrolled: 1-line block ×6, first 2 shown]
	s_wait_xcnt 0x0
	s_and_saveexec_b32 s14, s0
	s_cbranch_execz .LBB19_27
; %bb.12:
	global_load_u8 v20, v[4:5], off offset:2048
	global_load_u8 v13, v[6:7], off offset:2048
	v_or_b32_e32 v18, 0x900, v0
	v_dual_mov_b32 v21, 0 :: v_dual_mov_b32 v27, 0
	v_dual_mov_b32 v26, 0 :: v_dual_mov_b32 v30, 0
	s_delay_alu instid0(VALU_DEP_3)
	v_cmp_gt_u32_e64 s0, s1, v18
	v_dual_mov_b32 v18, 0 :: v_dual_mov_b32 v22, 0
	v_dual_mov_b32 v31, 0 :: v_dual_mov_b32 v32, 0
	;; [unrolled: 1-line block ×5, first 2 shown]
	s_wait_xcnt 0x0
	s_and_saveexec_b32 s15, s0
	s_cbranch_execz .LBB19_26
; %bb.13:
	global_load_u8 v22, v[4:5], off offset:2304
	global_load_u8 v18, v[6:7], off offset:2304
	v_or_b32_e32 v21, 0xa00, v0
	v_dual_mov_b32 v26, 0 :: v_dual_mov_b32 v30, 0
	v_dual_mov_b32 v31, 0 :: v_dual_mov_b32 v32, 0
	s_delay_alu instid0(VALU_DEP_3)
	v_cmp_gt_u32_e64 s0, s1, v21
	v_dual_mov_b32 v21, 0 :: v_dual_mov_b32 v27, 0
	v_dual_mov_b32 v33, 0 :: v_dual_mov_b32 v34, 0
	;; [unrolled: 1-line block ×4, first 2 shown]
	s_wait_xcnt 0x0
	s_and_saveexec_b32 s16, s0
	s_cbranch_execz .LBB19_25
; %bb.14:
	global_load_u8 v27, v[4:5], off offset:2560
	global_load_u8 v21, v[6:7], off offset:2560
	v_or_b32_e32 v26, 0xb00, v0
	v_dual_mov_b32 v31, 0 :: v_dual_mov_b32 v32, 0
	v_dual_mov_b32 v33, 0 :: v_dual_mov_b32 v34, 0
	s_delay_alu instid0(VALU_DEP_3)
	v_cmp_gt_u32_e64 s0, s1, v26
	v_dual_mov_b32 v26, 0 :: v_dual_mov_b32 v30, 0
	v_dual_mov_b32 v35, 0 :: v_dual_mov_b32 v36, 0
	;; [unrolled: 1-line block ×3, first 2 shown]
	s_wait_xcnt 0x0
	s_and_saveexec_b32 s17, s0
	s_cbranch_execz .LBB19_24
; %bb.15:
	global_load_u8 v30, v[4:5], off offset:2816
	global_load_u8 v26, v[6:7], off offset:2816
	v_or_b32_e32 v31, 0xc00, v0
	v_dual_mov_b32 v33, 0 :: v_dual_mov_b32 v34, 0
	v_dual_mov_b32 v35, 0 :: v_dual_mov_b32 v36, 0
	s_delay_alu instid0(VALU_DEP_3)
	v_cmp_gt_u32_e64 s0, s1, v31
	v_dual_mov_b32 v31, 0 :: v_dual_mov_b32 v32, 0
	v_dual_mov_b32 v37, 0 :: v_dual_mov_b32 v38, 0
	s_wait_xcnt 0x0
	s_and_saveexec_b32 s18, s0
	s_cbranch_execz .LBB19_23
; %bb.16:
	global_load_u8 v32, v[4:5], off offset:3072
	global_load_u8 v31, v[6:7], off offset:3072
	v_or_b32_e32 v33, 0xd00, v0
	v_dual_mov_b32 v35, 0 :: v_dual_mov_b32 v36, 0
	v_dual_mov_b32 v37, 0 :: v_dual_mov_b32 v38, 0
	s_delay_alu instid0(VALU_DEP_3)
	v_cmp_gt_u32_e64 s0, s1, v33
	v_dual_mov_b32 v33, 0 :: v_dual_mov_b32 v34, 0
	s_wait_xcnt 0x0
	s_and_saveexec_b32 s19, s0
	s_cbranch_execz .LBB19_22
; %bb.17:
	global_load_u8 v34, v[4:5], off offset:3328
	global_load_u8 v33, v[6:7], off offset:3328
	v_or_b32_e32 v35, 0xe00, v0
	v_dual_mov_b32 v37, 0 :: v_dual_mov_b32 v38, 0
	v_mov_b32_e32 v36, 0
	s_delay_alu instid0(VALU_DEP_3)
	v_cmp_gt_u32_e64 s0, s1, v35
	v_mov_b32_e32 v35, 0
	s_wait_xcnt 0x0
	s_and_saveexec_b32 s20, s0
	s_cbranch_execz .LBB19_21
; %bb.18:
	global_load_u8 v36, v[4:5], off offset:3584
	global_load_u8 v35, v[6:7], off offset:3584
	v_or_b32_e32 v37, 0xf00, v0
	v_mov_b32_e32 v38, 0
	s_delay_alu instid0(VALU_DEP_2)
	v_cmp_gt_u32_e64 s0, s1, v37
	v_mov_b32_e32 v37, 0
	s_wait_xcnt 0x0
	s_and_saveexec_b32 s21, s0
	s_cbranch_execz .LBB19_20
; %bb.19:
	global_load_u8 v38, v[4:5], off offset:3840
	global_load_u8 v37, v[6:7], off offset:3840
.LBB19_20:
	s_wait_xcnt 0x0
	s_or_b32 exec_lo, exec_lo, s21
.LBB19_21:
	s_delay_alu instid0(SALU_CYCLE_1)
	s_or_b32 exec_lo, exec_lo, s20
.LBB19_22:
	s_delay_alu instid0(SALU_CYCLE_1)
	s_or_b32 exec_lo, exec_lo, s19
.LBB19_23:
	s_delay_alu instid0(SALU_CYCLE_1)
	s_or_b32 exec_lo, exec_lo, s18
.LBB19_24:
	s_delay_alu instid0(SALU_CYCLE_1)
	s_or_b32 exec_lo, exec_lo, s17
.LBB19_25:
	s_delay_alu instid0(SALU_CYCLE_1)
	s_or_b32 exec_lo, exec_lo, s16
.LBB19_26:
	s_delay_alu instid0(SALU_CYCLE_1)
	s_or_b32 exec_lo, exec_lo, s15
.LBB19_27:
	s_delay_alu instid0(SALU_CYCLE_1)
	s_or_b32 exec_lo, exec_lo, s14
.LBB19_28:
	s_delay_alu instid0(SALU_CYCLE_1)
	s_or_b32 exec_lo, exec_lo, s13
.LBB19_29:
	s_delay_alu instid0(SALU_CYCLE_1)
	s_or_b32 exec_lo, exec_lo, s11
.LBB19_30:
	s_delay_alu instid0(SALU_CYCLE_1)
	s_or_b32 exec_lo, exec_lo, s10
.LBB19_31:
	s_delay_alu instid0(SALU_CYCLE_1)
	s_or_b32 exec_lo, exec_lo, s9
.LBB19_32:
	s_delay_alu instid0(SALU_CYCLE_1)
	s_or_b32 exec_lo, exec_lo, s8
	s_wait_loadcnt 0x0
	v_dual_mov_b32 v4, v3 :: v_dual_mov_b32 v3, v2
.LBB19_33:
	s_or_b32 exec_lo, exec_lo, s12
.LBB19_34:
	s_delay_alu instid0(SALU_CYCLE_1) | instskip(NEXT) | instid1(SALU_CYCLE_1)
	s_or_b32 exec_lo, exec_lo, s4
	s_or_b32 exec_lo, exec_lo, s3
                                        ; implicit-def: $vgpr2
	s_and_saveexec_b32 s0, vcc_lo
	s_cbranch_execz .LBB19_37
	s_branch .LBB19_36
.LBB19_35:
	s_or_b32 exec_lo, exec_lo, s3
                                        ; implicit-def: $vgpr2
	s_and_saveexec_b32 s0, vcc_lo
	s_cbranch_execz .LBB19_37
.LBB19_36:
	s_wait_loadcnt 0x1
	v_mul_lo_u16 v2, v28, s5
	s_wait_loadcnt 0x0
	s_delay_alu instid0(VALU_DEP_1)
	v_mul_lo_u16 v2, v2, v29
.LBB19_37:
	s_or_b32 exec_lo, exec_lo, s0
	s_delay_alu instid0(SALU_CYCLE_1)
	s_mov_b32 s3, exec_lo
                                        ; implicit-def: $vgpr5
	v_cmpx_gt_i32_e64 s1, v8
	s_cbranch_execz .LBB19_39
; %bb.38:
	s_wait_loadcnt 0x1
	v_mul_lo_u16 v5, v25, s5
	s_wait_loadcnt 0x0
	s_delay_alu instid0(VALU_DEP_1)
	v_mul_lo_u16 v5, v5, v24
.LBB19_39:
	s_or_b32 exec_lo, exec_lo, s3
	v_or_b32_e32 v6, 0x200, v0
	s_delay_alu instid0(VALU_DEP_1)
	v_cmp_gt_i32_e64 s0, s1, v6
                                        ; implicit-def: $vgpr6
	s_and_saveexec_b32 s3, s0
; %bb.40:
	v_mul_lo_u16 v6, v23, s5
	s_delay_alu instid0(VALU_DEP_1)
	v_mul_lo_u16 v6, v6, v3
; %bb.41:
	s_or_b32 exec_lo, exec_lo, s3
	v_or_b32_e32 v3, 0x300, v0
	s_delay_alu instid0(VALU_DEP_1)
	v_cmp_gt_i32_e64 s0, s1, v3
                                        ; implicit-def: $vgpr3
	s_and_saveexec_b32 s3, s0
; %bb.42:
	v_mul_lo_u16 v3, v19, s5
	s_delay_alu instid0(VALU_DEP_1)
	v_mul_lo_u16 v3, v3, v4
; %bb.43:
	s_or_b32 exec_lo, exec_lo, s3
	v_or_b32_e32 v4, 0x400, v0
	s_delay_alu instid0(VALU_DEP_1)
	v_cmp_gt_i32_e64 s0, s1, v4
                                        ; implicit-def: $vgpr4
	s_and_saveexec_b32 s3, s0
; %bb.44:
	v_mul_lo_u16 v4, v16, s5
	s_delay_alu instid0(VALU_DEP_1)
	v_mul_lo_u16 v4, v4, v12
; %bb.45:
	s_or_b32 exec_lo, exec_lo, s3
	v_or_b32_e32 v7, 0x500, v0
	s_delay_alu instid0(VALU_DEP_1)
	v_cmp_gt_i32_e64 s0, s1, v7
                                        ; implicit-def: $vgpr7
	s_and_saveexec_b32 s3, s0
; %bb.46:
	v_mul_lo_u16 v7, v14, s5
	s_delay_alu instid0(VALU_DEP_1)
	v_mul_lo_u16 v7, v7, v10
; %bb.47:
	s_or_b32 exec_lo, exec_lo, s3
	v_or_b32_e32 v10, 0x600, v0
	s_delay_alu instid0(VALU_DEP_1)
	v_cmp_gt_i32_e64 s0, s1, v10
                                        ; implicit-def: $vgpr10
	s_and_saveexec_b32 s3, s0
; %bb.48:
	v_mul_lo_u16 v10, v15, s5
	s_delay_alu instid0(VALU_DEP_1)
	v_mul_lo_u16 v10, v10, v9
; %bb.49:
	s_or_b32 exec_lo, exec_lo, s3
	v_or_b32_e32 v9, 0x700, v0
	s_delay_alu instid0(VALU_DEP_1)
	v_cmp_gt_i32_e64 s0, s1, v9
                                        ; implicit-def: $vgpr9
	s_and_saveexec_b32 s3, s0
; %bb.50:
	v_mul_lo_u16 v9, v17, s5
	s_delay_alu instid0(VALU_DEP_1)
	v_mul_lo_u16 v9, v9, v11
; %bb.51:
	s_or_b32 exec_lo, exec_lo, s3
	v_or_b32_e32 v11, 0x800, v0
	s_delay_alu instid0(VALU_DEP_1)
	v_cmp_gt_i32_e64 s0, s1, v11
                                        ; implicit-def: $vgpr11
	s_and_saveexec_b32 s3, s0
; %bb.52:
	v_mul_lo_u16 v11, v20, s5
	s_delay_alu instid0(VALU_DEP_1)
	v_mul_lo_u16 v11, v11, v13
; %bb.53:
	s_or_b32 exec_lo, exec_lo, s3
	v_or_b32_e32 v12, 0x900, v0
	s_delay_alu instid0(VALU_DEP_1)
	v_cmp_gt_i32_e64 s0, s1, v12
                                        ; implicit-def: $vgpr12
	s_and_saveexec_b32 s3, s0
; %bb.54:
	v_mul_lo_u16 v12, v22, s5
	s_delay_alu instid0(VALU_DEP_1)
	v_mul_lo_u16 v12, v12, v18
; %bb.55:
	s_or_b32 exec_lo, exec_lo, s3
	v_or_b32_e32 v13, 0xa00, v0
	s_delay_alu instid0(VALU_DEP_1)
	v_cmp_gt_i32_e64 s0, s1, v13
                                        ; implicit-def: $vgpr13
	s_and_saveexec_b32 s3, s0
; %bb.56:
	v_mul_lo_u16 v13, v27, s5
	s_delay_alu instid0(VALU_DEP_1)
	v_mul_lo_u16 v13, v13, v21
; %bb.57:
	s_or_b32 exec_lo, exec_lo, s3
	v_or_b32_e32 v14, 0xb00, v0
	s_delay_alu instid0(VALU_DEP_1)
	v_cmp_gt_i32_e64 s0, s1, v14
                                        ; implicit-def: $vgpr14
	s_and_saveexec_b32 s3, s0
; %bb.58:
	v_mul_lo_u16 v14, v30, s5
	s_delay_alu instid0(VALU_DEP_1)
	v_mul_lo_u16 v14, v14, v26
; %bb.59:
	s_or_b32 exec_lo, exec_lo, s3
	v_or_b32_e32 v15, 0xc00, v0
	s_delay_alu instid0(VALU_DEP_1)
	v_cmp_gt_i32_e64 s0, s1, v15
                                        ; implicit-def: $vgpr15
	s_and_saveexec_b32 s3, s0
; %bb.60:
	v_mul_lo_u16 v15, v32, s5
	s_delay_alu instid0(VALU_DEP_1)
	v_mul_lo_u16 v15, v15, v31
; %bb.61:
	s_or_b32 exec_lo, exec_lo, s3
	v_or_b32_e32 v16, 0xd00, v0
	s_delay_alu instid0(VALU_DEP_1)
	v_cmp_gt_i32_e64 s0, s1, v16
                                        ; implicit-def: $vgpr16
	s_and_saveexec_b32 s3, s0
; %bb.62:
	v_mul_lo_u16 v16, v34, s5
	s_delay_alu instid0(VALU_DEP_1)
	v_mul_lo_u16 v16, v16, v33
; %bb.63:
	s_or_b32 exec_lo, exec_lo, s3
	v_or_b32_e32 v17, 0xe00, v0
	s_delay_alu instid0(VALU_DEP_1)
	v_cmp_gt_i32_e64 s0, s1, v17
                                        ; implicit-def: $vgpr17
	s_and_saveexec_b32 s3, s0
; %bb.64:
	v_mul_lo_u16 v17, v36, s5
	s_delay_alu instid0(VALU_DEP_1)
	v_mul_lo_u16 v17, v17, v35
; %bb.65:
	s_or_b32 exec_lo, exec_lo, s3
	v_or_b32_e32 v18, 0xf00, v0
	s_delay_alu instid0(VALU_DEP_1)
	v_cmp_gt_i32_e64 s0, s1, v18
                                        ; implicit-def: $vgpr18
	s_and_saveexec_b32 s3, s0
	s_cbranch_execz .LBB19_84
; %bb.66:
	v_mul_lo_u16 v18, v38, s5
	s_delay_alu instid0(VALU_DEP_1) | instskip(SKIP_2) | instid1(SALU_CYCLE_1)
	v_mul_lo_u16 v18, v18, v37
	s_or_b32 exec_lo, exec_lo, s3
	s_and_saveexec_b32 s0, vcc_lo
	s_xor_b32 s0, exec_lo, s0
	s_cbranch_execnz .LBB19_85
.LBB19_67:
	s_or_b32 exec_lo, exec_lo, s0
	s_delay_alu instid0(SALU_CYCLE_1)
	s_mov_b32 s0, exec_lo
	v_cmpx_gt_i32_e64 s1, v0
	s_cbranch_execz .LBB19_86
.LBB19_68:
	v_add_nc_u32_e32 v1, s2, v0
	v_add_nc_u32_e32 v0, 0x100, v0
	global_store_b8 v1, v5, s[6:7]
	s_wait_xcnt 0x0
	s_or_b32 exec_lo, exec_lo, s0
	s_delay_alu instid0(SALU_CYCLE_1)
	s_mov_b32 s0, exec_lo
	v_cmpx_gt_i32_e64 s1, v0
	s_cbranch_execnz .LBB19_87
.LBB19_69:
	s_or_b32 exec_lo, exec_lo, s0
	s_delay_alu instid0(SALU_CYCLE_1)
	s_mov_b32 s0, exec_lo
	v_cmpx_gt_i32_e64 s1, v0
	s_cbranch_execz .LBB19_88
.LBB19_70:
	v_add_nc_u32_e32 v1, s2, v0
	v_add_nc_u32_e32 v0, 0x100, v0
	global_store_b8 v1, v3, s[6:7]
	s_wait_xcnt 0x0
	s_or_b32 exec_lo, exec_lo, s0
	s_delay_alu instid0(SALU_CYCLE_1)
	s_mov_b32 s0, exec_lo
	v_cmpx_gt_i32_e64 s1, v0
	s_cbranch_execnz .LBB19_89
.LBB19_71:
	s_or_b32 exec_lo, exec_lo, s0
	s_delay_alu instid0(SALU_CYCLE_1)
	s_mov_b32 s0, exec_lo
	v_cmpx_gt_i32_e64 s1, v0
	s_cbranch_execz .LBB19_90
.LBB19_72:
	v_add_nc_u32_e32 v1, s2, v0
	v_add_nc_u32_e32 v0, 0x100, v0
	global_store_b8 v1, v7, s[6:7]
	s_wait_xcnt 0x0
	s_or_b32 exec_lo, exec_lo, s0
	s_delay_alu instid0(SALU_CYCLE_1)
	s_mov_b32 s0, exec_lo
	v_cmpx_gt_i32_e64 s1, v0
	s_cbranch_execnz .LBB19_91
.LBB19_73:
	s_or_b32 exec_lo, exec_lo, s0
	s_delay_alu instid0(SALU_CYCLE_1)
	s_mov_b32 s0, exec_lo
	v_cmpx_gt_i32_e64 s1, v0
	s_cbranch_execz .LBB19_92
.LBB19_74:
	v_add_nc_u32_e32 v1, s2, v0
	v_add_nc_u32_e32 v0, 0x100, v0
	global_store_b8 v1, v9, s[6:7]
	s_wait_xcnt 0x0
	s_or_b32 exec_lo, exec_lo, s0
	s_delay_alu instid0(SALU_CYCLE_1)
	s_mov_b32 s0, exec_lo
	v_cmpx_gt_i32_e64 s1, v0
	s_cbranch_execnz .LBB19_93
.LBB19_75:
	s_or_b32 exec_lo, exec_lo, s0
	s_delay_alu instid0(SALU_CYCLE_1)
	s_mov_b32 s0, exec_lo
	v_cmpx_gt_i32_e64 s1, v0
	s_cbranch_execz .LBB19_94
.LBB19_76:
	v_add_nc_u32_e32 v1, s2, v0
	v_add_nc_u32_e32 v0, 0x100, v0
	global_store_b8 v1, v12, s[6:7]
	s_wait_xcnt 0x0
	s_or_b32 exec_lo, exec_lo, s0
	s_delay_alu instid0(SALU_CYCLE_1)
	s_mov_b32 s0, exec_lo
	v_cmpx_gt_i32_e64 s1, v0
	s_cbranch_execnz .LBB19_95
.LBB19_77:
	s_or_b32 exec_lo, exec_lo, s0
	s_delay_alu instid0(SALU_CYCLE_1)
	s_mov_b32 s0, exec_lo
	v_cmpx_gt_i32_e64 s1, v0
	s_cbranch_execz .LBB19_96
.LBB19_78:
	v_add_nc_u32_e32 v1, s2, v0
	v_add_nc_u32_e32 v0, 0x100, v0
	global_store_b8 v1, v14, s[6:7]
	s_wait_xcnt 0x0
	s_or_b32 exec_lo, exec_lo, s0
	s_delay_alu instid0(SALU_CYCLE_1)
	s_mov_b32 s0, exec_lo
	v_cmpx_gt_i32_e64 s1, v0
	s_cbranch_execnz .LBB19_97
.LBB19_79:
	s_or_b32 exec_lo, exec_lo, s0
	s_delay_alu instid0(SALU_CYCLE_1)
	s_mov_b32 s0, exec_lo
	v_cmpx_gt_i32_e64 s1, v0
	s_cbranch_execz .LBB19_98
.LBB19_80:
	v_add_nc_u32_e32 v1, s2, v0
	v_add_nc_u32_e32 v0, 0x100, v0
	global_store_b8 v1, v16, s[6:7]
	s_wait_xcnt 0x0
	s_or_b32 exec_lo, exec_lo, s0
	s_delay_alu instid0(SALU_CYCLE_1)
	s_mov_b32 s0, exec_lo
	v_cmpx_gt_i32_e64 s1, v0
	s_cbranch_execnz .LBB19_99
.LBB19_81:
	s_or_b32 exec_lo, exec_lo, s0
	s_delay_alu instid0(SALU_CYCLE_1)
	s_mov_b32 s0, exec_lo
	v_cmpx_gt_i32_e64 s1, v0
	s_cbranch_execz .LBB19_83
.LBB19_82:
	v_add_nc_u32_e32 v0, s2, v0
	global_store_b8 v0, v18, s[6:7]
.LBB19_83:
	s_endpgm
.LBB19_84:
	s_or_b32 exec_lo, exec_lo, s3
	s_and_saveexec_b32 s0, vcc_lo
	s_delay_alu instid0(SALU_CYCLE_1)
	s_xor_b32 s0, exec_lo, s0
	s_cbranch_execz .LBB19_67
.LBB19_85:
	v_mov_b32_e32 v0, v8
	global_store_b8 v1, v2, s[6:7]
	s_wait_xcnt 0x0
	s_or_b32 exec_lo, exec_lo, s0
	s_delay_alu instid0(SALU_CYCLE_1)
	s_mov_b32 s0, exec_lo
	v_cmpx_gt_i32_e64 s1, v0
	s_cbranch_execnz .LBB19_68
.LBB19_86:
	s_or_b32 exec_lo, exec_lo, s0
	s_delay_alu instid0(SALU_CYCLE_1)
	s_mov_b32 s0, exec_lo
	v_cmpx_gt_i32_e64 s1, v0
	s_cbranch_execz .LBB19_69
.LBB19_87:
	v_add_nc_u32_e32 v1, s2, v0
	v_add_nc_u32_e32 v0, 0x100, v0
	global_store_b8 v1, v6, s[6:7]
	s_wait_xcnt 0x0
	s_or_b32 exec_lo, exec_lo, s0
	s_delay_alu instid0(SALU_CYCLE_1)
	s_mov_b32 s0, exec_lo
	v_cmpx_gt_i32_e64 s1, v0
	s_cbranch_execnz .LBB19_70
.LBB19_88:
	s_or_b32 exec_lo, exec_lo, s0
	s_delay_alu instid0(SALU_CYCLE_1)
	s_mov_b32 s0, exec_lo
	v_cmpx_gt_i32_e64 s1, v0
	s_cbranch_execz .LBB19_71
.LBB19_89:
	v_add_nc_u32_e32 v1, s2, v0
	v_add_nc_u32_e32 v0, 0x100, v0
	global_store_b8 v1, v4, s[6:7]
	s_wait_xcnt 0x0
	s_or_b32 exec_lo, exec_lo, s0
	s_delay_alu instid0(SALU_CYCLE_1)
	s_mov_b32 s0, exec_lo
	v_cmpx_gt_i32_e64 s1, v0
	s_cbranch_execnz .LBB19_72
.LBB19_90:
	s_or_b32 exec_lo, exec_lo, s0
	s_delay_alu instid0(SALU_CYCLE_1)
	s_mov_b32 s0, exec_lo
	v_cmpx_gt_i32_e64 s1, v0
	s_cbranch_execz .LBB19_73
.LBB19_91:
	v_add_nc_u32_e32 v1, s2, v0
	v_add_nc_u32_e32 v0, 0x100, v0
	global_store_b8 v1, v10, s[6:7]
	s_wait_xcnt 0x0
	s_or_b32 exec_lo, exec_lo, s0
	s_delay_alu instid0(SALU_CYCLE_1)
	s_mov_b32 s0, exec_lo
	v_cmpx_gt_i32_e64 s1, v0
	s_cbranch_execnz .LBB19_74
.LBB19_92:
	s_or_b32 exec_lo, exec_lo, s0
	s_delay_alu instid0(SALU_CYCLE_1)
	s_mov_b32 s0, exec_lo
	v_cmpx_gt_i32_e64 s1, v0
	s_cbranch_execz .LBB19_75
.LBB19_93:
	v_add_nc_u32_e32 v1, s2, v0
	v_add_nc_u32_e32 v0, 0x100, v0
	global_store_b8 v1, v11, s[6:7]
	s_wait_xcnt 0x0
	s_or_b32 exec_lo, exec_lo, s0
	s_delay_alu instid0(SALU_CYCLE_1)
	s_mov_b32 s0, exec_lo
	v_cmpx_gt_i32_e64 s1, v0
	s_cbranch_execnz .LBB19_76
.LBB19_94:
	s_or_b32 exec_lo, exec_lo, s0
	s_delay_alu instid0(SALU_CYCLE_1)
	s_mov_b32 s0, exec_lo
	v_cmpx_gt_i32_e64 s1, v0
	s_cbranch_execz .LBB19_77
.LBB19_95:
	v_add_nc_u32_e32 v1, s2, v0
	v_add_nc_u32_e32 v0, 0x100, v0
	global_store_b8 v1, v13, s[6:7]
	s_wait_xcnt 0x0
	s_or_b32 exec_lo, exec_lo, s0
	s_delay_alu instid0(SALU_CYCLE_1)
	s_mov_b32 s0, exec_lo
	v_cmpx_gt_i32_e64 s1, v0
	s_cbranch_execnz .LBB19_78
.LBB19_96:
	s_or_b32 exec_lo, exec_lo, s0
	s_delay_alu instid0(SALU_CYCLE_1)
	s_mov_b32 s0, exec_lo
	v_cmpx_gt_i32_e64 s1, v0
	s_cbranch_execz .LBB19_79
.LBB19_97:
	v_add_nc_u32_e32 v1, s2, v0
	v_add_nc_u32_e32 v0, 0x100, v0
	global_store_b8 v1, v15, s[6:7]
	s_wait_xcnt 0x0
	s_or_b32 exec_lo, exec_lo, s0
	s_delay_alu instid0(SALU_CYCLE_1)
	s_mov_b32 s0, exec_lo
	v_cmpx_gt_i32_e64 s1, v0
	s_cbranch_execnz .LBB19_80
.LBB19_98:
	s_or_b32 exec_lo, exec_lo, s0
	s_delay_alu instid0(SALU_CYCLE_1)
	s_mov_b32 s0, exec_lo
	v_cmpx_gt_i32_e64 s1, v0
	s_cbranch_execz .LBB19_81
.LBB19_99:
	v_add_nc_u32_e32 v1, s2, v0
	v_add_nc_u32_e32 v0, 0x100, v0
	global_store_b8 v1, v17, s[6:7]
	s_wait_xcnt 0x0
	s_or_b32 exec_lo, exec_lo, s0
	s_delay_alu instid0(SALU_CYCLE_1)
	s_mov_b32 s0, exec_lo
	v_cmpx_gt_i32_e64 s1, v0
	s_cbranch_execnz .LBB19_82
	s_branch .LBB19_83
	.section	.rodata,"a",@progbits
	.p2align	6, 0x0
	.amdhsa_kernel _ZN2at6native29vectorized_elementwise_kernelILi2EZZZNS0_12_GLOBAL__N_116addr_kernel_cudaERNS_14TensorIteratorERKN3c106ScalarES8_ENKUlvE_clEvENKUlvE_clEvEUlhhhE_St5arrayIPcLm4EEEEviT0_T1_
		.amdhsa_group_segment_fixed_size 0
		.amdhsa_private_segment_fixed_size 0
		.amdhsa_kernarg_size 40
		.amdhsa_user_sgpr_count 2
		.amdhsa_user_sgpr_dispatch_ptr 0
		.amdhsa_user_sgpr_queue_ptr 0
		.amdhsa_user_sgpr_kernarg_segment_ptr 1
		.amdhsa_user_sgpr_dispatch_id 0
		.amdhsa_user_sgpr_kernarg_preload_length 0
		.amdhsa_user_sgpr_kernarg_preload_offset 0
		.amdhsa_user_sgpr_private_segment_size 0
		.amdhsa_wavefront_size32 1
		.amdhsa_uses_dynamic_stack 0
		.amdhsa_enable_private_segment 0
		.amdhsa_system_sgpr_workgroup_id_x 1
		.amdhsa_system_sgpr_workgroup_id_y 0
		.amdhsa_system_sgpr_workgroup_id_z 0
		.amdhsa_system_sgpr_workgroup_info 0
		.amdhsa_system_vgpr_workitem_id 0
		.amdhsa_next_free_vgpr 39
		.amdhsa_next_free_sgpr 22
		.amdhsa_named_barrier_count 0
		.amdhsa_reserve_vcc 1
		.amdhsa_float_round_mode_32 0
		.amdhsa_float_round_mode_16_64 0
		.amdhsa_float_denorm_mode_32 3
		.amdhsa_float_denorm_mode_16_64 3
		.amdhsa_fp16_overflow 0
		.amdhsa_memory_ordered 1
		.amdhsa_forward_progress 1
		.amdhsa_inst_pref_size 42
		.amdhsa_round_robin_scheduling 0
		.amdhsa_exception_fp_ieee_invalid_op 0
		.amdhsa_exception_fp_denorm_src 0
		.amdhsa_exception_fp_ieee_div_zero 0
		.amdhsa_exception_fp_ieee_overflow 0
		.amdhsa_exception_fp_ieee_underflow 0
		.amdhsa_exception_fp_ieee_inexact 0
		.amdhsa_exception_int_div_zero 0
	.end_amdhsa_kernel
	.section	.text._ZN2at6native29vectorized_elementwise_kernelILi2EZZZNS0_12_GLOBAL__N_116addr_kernel_cudaERNS_14TensorIteratorERKN3c106ScalarES8_ENKUlvE_clEvENKUlvE_clEvEUlhhhE_St5arrayIPcLm4EEEEviT0_T1_,"axG",@progbits,_ZN2at6native29vectorized_elementwise_kernelILi2EZZZNS0_12_GLOBAL__N_116addr_kernel_cudaERNS_14TensorIteratorERKN3c106ScalarES8_ENKUlvE_clEvENKUlvE_clEvEUlhhhE_St5arrayIPcLm4EEEEviT0_T1_,comdat
.Lfunc_end19:
	.size	_ZN2at6native29vectorized_elementwise_kernelILi2EZZZNS0_12_GLOBAL__N_116addr_kernel_cudaERNS_14TensorIteratorERKN3c106ScalarES8_ENKUlvE_clEvENKUlvE_clEvEUlhhhE_St5arrayIPcLm4EEEEviT0_T1_, .Lfunc_end19-_ZN2at6native29vectorized_elementwise_kernelILi2EZZZNS0_12_GLOBAL__N_116addr_kernel_cudaERNS_14TensorIteratorERKN3c106ScalarES8_ENKUlvE_clEvENKUlvE_clEvEUlhhhE_St5arrayIPcLm4EEEEviT0_T1_
                                        ; -- End function
	.set _ZN2at6native29vectorized_elementwise_kernelILi2EZZZNS0_12_GLOBAL__N_116addr_kernel_cudaERNS_14TensorIteratorERKN3c106ScalarES8_ENKUlvE_clEvENKUlvE_clEvEUlhhhE_St5arrayIPcLm4EEEEviT0_T1_.num_vgpr, 39
	.set _ZN2at6native29vectorized_elementwise_kernelILi2EZZZNS0_12_GLOBAL__N_116addr_kernel_cudaERNS_14TensorIteratorERKN3c106ScalarES8_ENKUlvE_clEvENKUlvE_clEvEUlhhhE_St5arrayIPcLm4EEEEviT0_T1_.num_agpr, 0
	.set _ZN2at6native29vectorized_elementwise_kernelILi2EZZZNS0_12_GLOBAL__N_116addr_kernel_cudaERNS_14TensorIteratorERKN3c106ScalarES8_ENKUlvE_clEvENKUlvE_clEvEUlhhhE_St5arrayIPcLm4EEEEviT0_T1_.numbered_sgpr, 22
	.set _ZN2at6native29vectorized_elementwise_kernelILi2EZZZNS0_12_GLOBAL__N_116addr_kernel_cudaERNS_14TensorIteratorERKN3c106ScalarES8_ENKUlvE_clEvENKUlvE_clEvEUlhhhE_St5arrayIPcLm4EEEEviT0_T1_.num_named_barrier, 0
	.set _ZN2at6native29vectorized_elementwise_kernelILi2EZZZNS0_12_GLOBAL__N_116addr_kernel_cudaERNS_14TensorIteratorERKN3c106ScalarES8_ENKUlvE_clEvENKUlvE_clEvEUlhhhE_St5arrayIPcLm4EEEEviT0_T1_.private_seg_size, 0
	.set _ZN2at6native29vectorized_elementwise_kernelILi2EZZZNS0_12_GLOBAL__N_116addr_kernel_cudaERNS_14TensorIteratorERKN3c106ScalarES8_ENKUlvE_clEvENKUlvE_clEvEUlhhhE_St5arrayIPcLm4EEEEviT0_T1_.uses_vcc, 1
	.set _ZN2at6native29vectorized_elementwise_kernelILi2EZZZNS0_12_GLOBAL__N_116addr_kernel_cudaERNS_14TensorIteratorERKN3c106ScalarES8_ENKUlvE_clEvENKUlvE_clEvEUlhhhE_St5arrayIPcLm4EEEEviT0_T1_.uses_flat_scratch, 0
	.set _ZN2at6native29vectorized_elementwise_kernelILi2EZZZNS0_12_GLOBAL__N_116addr_kernel_cudaERNS_14TensorIteratorERKN3c106ScalarES8_ENKUlvE_clEvENKUlvE_clEvEUlhhhE_St5arrayIPcLm4EEEEviT0_T1_.has_dyn_sized_stack, 0
	.set _ZN2at6native29vectorized_elementwise_kernelILi2EZZZNS0_12_GLOBAL__N_116addr_kernel_cudaERNS_14TensorIteratorERKN3c106ScalarES8_ENKUlvE_clEvENKUlvE_clEvEUlhhhE_St5arrayIPcLm4EEEEviT0_T1_.has_recursion, 0
	.set _ZN2at6native29vectorized_elementwise_kernelILi2EZZZNS0_12_GLOBAL__N_116addr_kernel_cudaERNS_14TensorIteratorERKN3c106ScalarES8_ENKUlvE_clEvENKUlvE_clEvEUlhhhE_St5arrayIPcLm4EEEEviT0_T1_.has_indirect_call, 0
	.section	.AMDGPU.csdata,"",@progbits
; Kernel info:
; codeLenInByte = 5360
; TotalNumSgprs: 24
; NumVgprs: 39
; ScratchSize: 0
; MemoryBound: 0
; FloatMode: 240
; IeeeMode: 1
; LDSByteSize: 0 bytes/workgroup (compile time only)
; SGPRBlocks: 0
; VGPRBlocks: 2
; NumSGPRsForWavesPerEU: 24
; NumVGPRsForWavesPerEU: 39
; NamedBarCnt: 0
; Occupancy: 16
; WaveLimiterHint : 1
; COMPUTE_PGM_RSRC2:SCRATCH_EN: 0
; COMPUTE_PGM_RSRC2:USER_SGPR: 2
; COMPUTE_PGM_RSRC2:TRAP_HANDLER: 0
; COMPUTE_PGM_RSRC2:TGID_X_EN: 1
; COMPUTE_PGM_RSRC2:TGID_Y_EN: 0
; COMPUTE_PGM_RSRC2:TGID_Z_EN: 0
; COMPUTE_PGM_RSRC2:TIDIG_COMP_CNT: 0
	.section	.text._ZN2at6native27unrolled_elementwise_kernelIZZZNS0_12_GLOBAL__N_116addr_kernel_cudaERNS_14TensorIteratorERKN3c106ScalarES8_ENKUlvE_clEvENKUlvE_clEvEUlhhhE_St5arrayIPcLm4EELi4E23TrivialOffsetCalculatorILi3EjESF_ILi1EjENS0_6memory15LoadWithoutCastENSI_16StoreWithoutCastEEEviT_T0_T2_T3_T4_T5_,"axG",@progbits,_ZN2at6native27unrolled_elementwise_kernelIZZZNS0_12_GLOBAL__N_116addr_kernel_cudaERNS_14TensorIteratorERKN3c106ScalarES8_ENKUlvE_clEvENKUlvE_clEvEUlhhhE_St5arrayIPcLm4EELi4E23TrivialOffsetCalculatorILi3EjESF_ILi1EjENS0_6memory15LoadWithoutCastENSI_16StoreWithoutCastEEEviT_T0_T2_T3_T4_T5_,comdat
	.globl	_ZN2at6native27unrolled_elementwise_kernelIZZZNS0_12_GLOBAL__N_116addr_kernel_cudaERNS_14TensorIteratorERKN3c106ScalarES8_ENKUlvE_clEvENKUlvE_clEvEUlhhhE_St5arrayIPcLm4EELi4E23TrivialOffsetCalculatorILi3EjESF_ILi1EjENS0_6memory15LoadWithoutCastENSI_16StoreWithoutCastEEEviT_T0_T2_T3_T4_T5_ ; -- Begin function _ZN2at6native27unrolled_elementwise_kernelIZZZNS0_12_GLOBAL__N_116addr_kernel_cudaERNS_14TensorIteratorERKN3c106ScalarES8_ENKUlvE_clEvENKUlvE_clEvEUlhhhE_St5arrayIPcLm4EELi4E23TrivialOffsetCalculatorILi3EjESF_ILi1EjENS0_6memory15LoadWithoutCastENSI_16StoreWithoutCastEEEviT_T0_T2_T3_T4_T5_
	.p2align	8
	.type	_ZN2at6native27unrolled_elementwise_kernelIZZZNS0_12_GLOBAL__N_116addr_kernel_cudaERNS_14TensorIteratorERKN3c106ScalarES8_ENKUlvE_clEvENKUlvE_clEvEUlhhhE_St5arrayIPcLm4EELi4E23TrivialOffsetCalculatorILi3EjESF_ILi1EjENS0_6memory15LoadWithoutCastENSI_16StoreWithoutCastEEEviT_T0_T2_T3_T4_T5_,@function
_ZN2at6native27unrolled_elementwise_kernelIZZZNS0_12_GLOBAL__N_116addr_kernel_cudaERNS_14TensorIteratorERKN3c106ScalarES8_ENKUlvE_clEvENKUlvE_clEvEUlhhhE_St5arrayIPcLm4EELi4E23TrivialOffsetCalculatorILi3EjESF_ILi1EjENS0_6memory15LoadWithoutCastENSI_16StoreWithoutCastEEEviT_T0_T2_T3_T4_T5_: ; @_ZN2at6native27unrolled_elementwise_kernelIZZZNS0_12_GLOBAL__N_116addr_kernel_cudaERNS_14TensorIteratorERKN3c106ScalarES8_ENKUlvE_clEvENKUlvE_clEvEUlhhhE_St5arrayIPcLm4EELi4E23TrivialOffsetCalculatorILi3EjESF_ILi1EjENS0_6memory15LoadWithoutCastENSI_16StoreWithoutCastEEEviT_T0_T2_T3_T4_T5_
; %bb.0:
	s_load_b64 s[2:3], s[0:1], 0x0
	s_bfe_u32 s5, ttmp6, 0x4000c
	s_and_b32 s4, ttmp6, 15
	s_add_co_i32 s5, s5, 1
	s_getreg_b32 s6, hwreg(HW_REG_IB_STS2, 6, 4)
	s_mul_i32 s5, ttmp9, s5
	v_dual_mov_b32 v4, 0 :: v_dual_mov_b32 v3, 0
	s_add_co_i32 s4, s4, s5
	s_cmp_eq_u32 s6, 0
	v_dual_mov_b32 v6, 0 :: v_dual_mov_b32 v5, 0
	s_cselect_b32 s4, ttmp9, s4
	v_dual_mov_b32 v7, 0 :: v_dual_mov_b32 v8, 0
	s_lshl_b32 s8, s4, 10
	s_delay_alu instid0(SALU_CYCLE_1) | instskip(SKIP_4) | instid1(SALU_CYCLE_1)
	v_dual_mov_b32 v9, 0 :: v_dual_bitop2_b32 v2, s8, v0 bitop3:0x54
	v_or_b32_e32 v1, 0x100, v0
	v_mov_b32_e32 v10, 0
	s_wait_kmcnt 0x0
	s_sub_co_i32 s9, s2, s8
	v_cmp_gt_i32_e32 vcc_lo, s9, v0
	s_and_saveexec_b32 s10, vcc_lo
	s_cbranch_execz .LBB20_8
; %bb.1:
	s_add_nc_u64 s[12:13], s[0:1], 8
	v_or_b32_e32 v11, 0x100, v0
	s_load_b128 s[4:7], s[12:13], 0x10
	v_dual_mov_b32 v8, 0 :: v_dual_mov_b32 v7, 0
	v_dual_mov_b32 v5, 0 :: v_dual_mov_b32 v6, 0
	v_dual_mov_b32 v3, 0 :: v_dual_mov_b32 v4, 0
	s_mov_b32 s11, exec_lo
	s_wait_kmcnt 0x0
	s_clause 0x1
	global_load_u8 v9, v2, s[4:5]
	global_load_u8 v10, v2, s[6:7]
	s_wait_xcnt 0x0
	v_cmpx_gt_u32_e64 s9, v11
	s_cbranch_execz .LBB20_7
; %bb.2:
	v_dual_add_nc_u32 v3, s8, v11 :: v_dual_mov_b32 v5, 0
	v_or_b32_e32 v11, 0x200, v0
	v_dual_mov_b32 v6, 0 :: v_dual_mov_b32 v4, 0
	s_clause 0x1
	global_load_u8 v7, v3, s[4:5]
	global_load_u8 v8, v3, s[6:7]
	s_wait_xcnt 0x0
	v_mov_b32_e32 v3, 0
	s_mov_b32 s12, exec_lo
	v_cmpx_gt_u32_e64 s9, v11
	s_cbranch_execz .LBB20_6
; %bb.3:
	v_dual_mov_b32 v4, 0 :: v_dual_add_nc_u32 v3, s8, v11
	v_or_b32_e32 v11, 0x300, v0
	s_mov_b32 s13, exec_lo
	s_clause 0x1
	global_load_u8 v6, v3, s[4:5]
	global_load_u8 v5, v3, s[6:7]
	s_wait_xcnt 0x0
	v_mov_b32_e32 v3, 0
	v_cmpx_gt_u32_e64 s9, v11
	s_cbranch_execz .LBB20_5
; %bb.4:
	v_add_nc_u32_e32 v11, s8, v11
	s_clause 0x1
	global_load_u8 v4, v11, s[4:5]
	global_load_u8 v3, v11, s[6:7]
.LBB20_5:
	s_wait_xcnt 0x0
	s_or_b32 exec_lo, exec_lo, s13
.LBB20_6:
	s_delay_alu instid0(SALU_CYCLE_1)
	s_or_b32 exec_lo, exec_lo, s12
.LBB20_7:
	s_delay_alu instid0(SALU_CYCLE_1) | instskip(NEXT) | instid1(SALU_CYCLE_1)
	s_or_b32 exec_lo, exec_lo, s11
	s_or_b32 exec_lo, exec_lo, s10
                                        ; implicit-def: $vgpr11
	s_and_saveexec_b32 s2, vcc_lo
	s_cbranch_execz .LBB20_10
	s_branch .LBB20_9
.LBB20_8:
	s_or_b32 exec_lo, exec_lo, s10
                                        ; implicit-def: $vgpr11
	s_and_saveexec_b32 s2, vcc_lo
	s_cbranch_execz .LBB20_10
.LBB20_9:
	s_wait_loadcnt 0x1
	v_mul_lo_u16 v9, v9, s3
	s_wait_loadcnt 0x0
	s_delay_alu instid0(VALU_DEP_1)
	v_mul_lo_u16 v11, v9, v10
.LBB20_10:
	s_or_b32 exec_lo, exec_lo, s2
	s_delay_alu instid0(SALU_CYCLE_1)
	s_mov_b32 s4, exec_lo
                                        ; implicit-def: $vgpr9
	v_cmpx_gt_i32_e64 s9, v1
	s_cbranch_execz .LBB20_12
; %bb.11:
	s_wait_loadcnt 0x1
	v_mul_lo_u16 v7, v7, s3
	s_wait_loadcnt 0x0
	s_delay_alu instid0(VALU_DEP_1)
	v_mul_lo_u16 v9, v7, v8
.LBB20_12:
	s_or_b32 exec_lo, exec_lo, s4
	s_wait_loadcnt 0x1
	v_or_b32_e32 v7, 0x200, v0
	s_delay_alu instid0(VALU_DEP_1)
	v_cmp_gt_i32_e64 s2, s9, v7
                                        ; implicit-def: $vgpr7
	s_and_saveexec_b32 s4, s2
	s_cbranch_execz .LBB20_14
; %bb.13:
	v_mul_lo_u16 v6, v6, s3
	s_wait_loadcnt 0x0
	s_delay_alu instid0(VALU_DEP_1)
	v_mul_lo_u16 v7, v6, v5
.LBB20_14:
	s_or_b32 exec_lo, exec_lo, s4
	s_load_b64 s[4:5], s[0:1], 0x8
	s_wait_loadcnt 0x0
	v_or_b32_e32 v5, 0x300, v0
	s_wait_xcnt 0x0
	s_delay_alu instid0(VALU_DEP_1)
	v_cmp_gt_i32_e64 s0, s9, v5
                                        ; implicit-def: $vgpr5
	s_and_saveexec_b32 s1, s0
	s_cbranch_execz .LBB20_20
; %bb.15:
	v_mul_lo_u16 v4, v4, s3
	s_delay_alu instid0(VALU_DEP_1) | instskip(SKIP_2) | instid1(SALU_CYCLE_1)
	v_mul_lo_u16 v5, v4, v3
	s_or_b32 exec_lo, exec_lo, s1
	s_and_saveexec_b32 s0, vcc_lo
	s_xor_b32 s0, exec_lo, s0
	s_cbranch_execnz .LBB20_21
.LBB20_16:
	s_or_b32 exec_lo, exec_lo, s0
	s_delay_alu instid0(SALU_CYCLE_1)
	s_mov_b32 s0, exec_lo
	v_cmpx_gt_i32_e64 s9, v0
	s_cbranch_execz .LBB20_22
.LBB20_17:
	v_add_nc_u32_e32 v1, 0x100, v0
	s_delay_alu instid0(VALU_DEP_1) | instskip(SKIP_4) | instid1(SALU_CYCLE_1)
	v_dual_add_nc_u32 v2, s8, v0 :: v_dual_mov_b32 v0, v1
	s_wait_kmcnt 0x0
	global_store_b8 v2, v9, s[4:5]
	s_wait_xcnt 0x0
	s_or_b32 exec_lo, exec_lo, s0
	s_mov_b32 s0, exec_lo
	v_cmpx_gt_i32_e64 s9, v0
	s_cbranch_execnz .LBB20_23
.LBB20_18:
	s_or_b32 exec_lo, exec_lo, s0
	s_delay_alu instid0(SALU_CYCLE_1)
	s_mov_b32 s0, exec_lo
	v_cmpx_gt_i32_e64 s9, v0
	s_cbranch_execz .LBB20_24
.LBB20_19:
	v_add_nc_u32_e32 v0, s8, v0
	s_wait_kmcnt 0x0
	global_store_b8 v0, v5, s[4:5]
	s_endpgm
.LBB20_20:
	s_or_b32 exec_lo, exec_lo, s1
	s_and_saveexec_b32 s0, vcc_lo
	s_delay_alu instid0(SALU_CYCLE_1)
	s_xor_b32 s0, exec_lo, s0
	s_cbranch_execz .LBB20_16
.LBB20_21:
	v_mov_b32_e32 v0, v1
	s_wait_kmcnt 0x0
	global_store_b8 v2, v11, s[4:5]
	s_wait_xcnt 0x0
	s_or_b32 exec_lo, exec_lo, s0
	s_delay_alu instid0(SALU_CYCLE_1)
	s_mov_b32 s0, exec_lo
	v_cmpx_gt_i32_e64 s9, v0
	s_cbranch_execnz .LBB20_17
.LBB20_22:
	s_or_b32 exec_lo, exec_lo, s0
	s_delay_alu instid0(SALU_CYCLE_1)
	s_mov_b32 s0, exec_lo
	v_cmpx_gt_i32_e64 s9, v0
	s_cbranch_execz .LBB20_18
.LBB20_23:
	v_add_nc_u32_e32 v1, 0x100, v0
	s_delay_alu instid0(VALU_DEP_1) | instskip(SKIP_4) | instid1(SALU_CYCLE_1)
	v_dual_add_nc_u32 v2, s8, v0 :: v_dual_mov_b32 v0, v1
	s_wait_kmcnt 0x0
	global_store_b8 v2, v7, s[4:5]
	s_wait_xcnt 0x0
	s_or_b32 exec_lo, exec_lo, s0
	s_mov_b32 s0, exec_lo
	v_cmpx_gt_i32_e64 s9, v0
	s_cbranch_execnz .LBB20_19
.LBB20_24:
	s_endpgm
	.section	.rodata,"a",@progbits
	.p2align	6, 0x0
	.amdhsa_kernel _ZN2at6native27unrolled_elementwise_kernelIZZZNS0_12_GLOBAL__N_116addr_kernel_cudaERNS_14TensorIteratorERKN3c106ScalarES8_ENKUlvE_clEvENKUlvE_clEvEUlhhhE_St5arrayIPcLm4EELi4E23TrivialOffsetCalculatorILi3EjESF_ILi1EjENS0_6memory15LoadWithoutCastENSI_16StoreWithoutCastEEEviT_T0_T2_T3_T4_T5_
		.amdhsa_group_segment_fixed_size 0
		.amdhsa_private_segment_fixed_size 0
		.amdhsa_kernarg_size 44
		.amdhsa_user_sgpr_count 2
		.amdhsa_user_sgpr_dispatch_ptr 0
		.amdhsa_user_sgpr_queue_ptr 0
		.amdhsa_user_sgpr_kernarg_segment_ptr 1
		.amdhsa_user_sgpr_dispatch_id 0
		.amdhsa_user_sgpr_kernarg_preload_length 0
		.amdhsa_user_sgpr_kernarg_preload_offset 0
		.amdhsa_user_sgpr_private_segment_size 0
		.amdhsa_wavefront_size32 1
		.amdhsa_uses_dynamic_stack 0
		.amdhsa_enable_private_segment 0
		.amdhsa_system_sgpr_workgroup_id_x 1
		.amdhsa_system_sgpr_workgroup_id_y 0
		.amdhsa_system_sgpr_workgroup_id_z 0
		.amdhsa_system_sgpr_workgroup_info 0
		.amdhsa_system_vgpr_workitem_id 0
		.amdhsa_next_free_vgpr 12
		.amdhsa_next_free_sgpr 14
		.amdhsa_named_barrier_count 0
		.amdhsa_reserve_vcc 1
		.amdhsa_float_round_mode_32 0
		.amdhsa_float_round_mode_16_64 0
		.amdhsa_float_denorm_mode_32 3
		.amdhsa_float_denorm_mode_16_64 3
		.amdhsa_fp16_overflow 0
		.amdhsa_memory_ordered 1
		.amdhsa_forward_progress 1
		.amdhsa_inst_pref_size 8
		.amdhsa_round_robin_scheduling 0
		.amdhsa_exception_fp_ieee_invalid_op 0
		.amdhsa_exception_fp_denorm_src 0
		.amdhsa_exception_fp_ieee_div_zero 0
		.amdhsa_exception_fp_ieee_overflow 0
		.amdhsa_exception_fp_ieee_underflow 0
		.amdhsa_exception_fp_ieee_inexact 0
		.amdhsa_exception_int_div_zero 0
	.end_amdhsa_kernel
	.section	.text._ZN2at6native27unrolled_elementwise_kernelIZZZNS0_12_GLOBAL__N_116addr_kernel_cudaERNS_14TensorIteratorERKN3c106ScalarES8_ENKUlvE_clEvENKUlvE_clEvEUlhhhE_St5arrayIPcLm4EELi4E23TrivialOffsetCalculatorILi3EjESF_ILi1EjENS0_6memory15LoadWithoutCastENSI_16StoreWithoutCastEEEviT_T0_T2_T3_T4_T5_,"axG",@progbits,_ZN2at6native27unrolled_elementwise_kernelIZZZNS0_12_GLOBAL__N_116addr_kernel_cudaERNS_14TensorIteratorERKN3c106ScalarES8_ENKUlvE_clEvENKUlvE_clEvEUlhhhE_St5arrayIPcLm4EELi4E23TrivialOffsetCalculatorILi3EjESF_ILi1EjENS0_6memory15LoadWithoutCastENSI_16StoreWithoutCastEEEviT_T0_T2_T3_T4_T5_,comdat
.Lfunc_end20:
	.size	_ZN2at6native27unrolled_elementwise_kernelIZZZNS0_12_GLOBAL__N_116addr_kernel_cudaERNS_14TensorIteratorERKN3c106ScalarES8_ENKUlvE_clEvENKUlvE_clEvEUlhhhE_St5arrayIPcLm4EELi4E23TrivialOffsetCalculatorILi3EjESF_ILi1EjENS0_6memory15LoadWithoutCastENSI_16StoreWithoutCastEEEviT_T0_T2_T3_T4_T5_, .Lfunc_end20-_ZN2at6native27unrolled_elementwise_kernelIZZZNS0_12_GLOBAL__N_116addr_kernel_cudaERNS_14TensorIteratorERKN3c106ScalarES8_ENKUlvE_clEvENKUlvE_clEvEUlhhhE_St5arrayIPcLm4EELi4E23TrivialOffsetCalculatorILi3EjESF_ILi1EjENS0_6memory15LoadWithoutCastENSI_16StoreWithoutCastEEEviT_T0_T2_T3_T4_T5_
                                        ; -- End function
	.set _ZN2at6native27unrolled_elementwise_kernelIZZZNS0_12_GLOBAL__N_116addr_kernel_cudaERNS_14TensorIteratorERKN3c106ScalarES8_ENKUlvE_clEvENKUlvE_clEvEUlhhhE_St5arrayIPcLm4EELi4E23TrivialOffsetCalculatorILi3EjESF_ILi1EjENS0_6memory15LoadWithoutCastENSI_16StoreWithoutCastEEEviT_T0_T2_T3_T4_T5_.num_vgpr, 12
	.set _ZN2at6native27unrolled_elementwise_kernelIZZZNS0_12_GLOBAL__N_116addr_kernel_cudaERNS_14TensorIteratorERKN3c106ScalarES8_ENKUlvE_clEvENKUlvE_clEvEUlhhhE_St5arrayIPcLm4EELi4E23TrivialOffsetCalculatorILi3EjESF_ILi1EjENS0_6memory15LoadWithoutCastENSI_16StoreWithoutCastEEEviT_T0_T2_T3_T4_T5_.num_agpr, 0
	.set _ZN2at6native27unrolled_elementwise_kernelIZZZNS0_12_GLOBAL__N_116addr_kernel_cudaERNS_14TensorIteratorERKN3c106ScalarES8_ENKUlvE_clEvENKUlvE_clEvEUlhhhE_St5arrayIPcLm4EELi4E23TrivialOffsetCalculatorILi3EjESF_ILi1EjENS0_6memory15LoadWithoutCastENSI_16StoreWithoutCastEEEviT_T0_T2_T3_T4_T5_.numbered_sgpr, 14
	.set _ZN2at6native27unrolled_elementwise_kernelIZZZNS0_12_GLOBAL__N_116addr_kernel_cudaERNS_14TensorIteratorERKN3c106ScalarES8_ENKUlvE_clEvENKUlvE_clEvEUlhhhE_St5arrayIPcLm4EELi4E23TrivialOffsetCalculatorILi3EjESF_ILi1EjENS0_6memory15LoadWithoutCastENSI_16StoreWithoutCastEEEviT_T0_T2_T3_T4_T5_.num_named_barrier, 0
	.set _ZN2at6native27unrolled_elementwise_kernelIZZZNS0_12_GLOBAL__N_116addr_kernel_cudaERNS_14TensorIteratorERKN3c106ScalarES8_ENKUlvE_clEvENKUlvE_clEvEUlhhhE_St5arrayIPcLm4EELi4E23TrivialOffsetCalculatorILi3EjESF_ILi1EjENS0_6memory15LoadWithoutCastENSI_16StoreWithoutCastEEEviT_T0_T2_T3_T4_T5_.private_seg_size, 0
	.set _ZN2at6native27unrolled_elementwise_kernelIZZZNS0_12_GLOBAL__N_116addr_kernel_cudaERNS_14TensorIteratorERKN3c106ScalarES8_ENKUlvE_clEvENKUlvE_clEvEUlhhhE_St5arrayIPcLm4EELi4E23TrivialOffsetCalculatorILi3EjESF_ILi1EjENS0_6memory15LoadWithoutCastENSI_16StoreWithoutCastEEEviT_T0_T2_T3_T4_T5_.uses_vcc, 1
	.set _ZN2at6native27unrolled_elementwise_kernelIZZZNS0_12_GLOBAL__N_116addr_kernel_cudaERNS_14TensorIteratorERKN3c106ScalarES8_ENKUlvE_clEvENKUlvE_clEvEUlhhhE_St5arrayIPcLm4EELi4E23TrivialOffsetCalculatorILi3EjESF_ILi1EjENS0_6memory15LoadWithoutCastENSI_16StoreWithoutCastEEEviT_T0_T2_T3_T4_T5_.uses_flat_scratch, 0
	.set _ZN2at6native27unrolled_elementwise_kernelIZZZNS0_12_GLOBAL__N_116addr_kernel_cudaERNS_14TensorIteratorERKN3c106ScalarES8_ENKUlvE_clEvENKUlvE_clEvEUlhhhE_St5arrayIPcLm4EELi4E23TrivialOffsetCalculatorILi3EjESF_ILi1EjENS0_6memory15LoadWithoutCastENSI_16StoreWithoutCastEEEviT_T0_T2_T3_T4_T5_.has_dyn_sized_stack, 0
	.set _ZN2at6native27unrolled_elementwise_kernelIZZZNS0_12_GLOBAL__N_116addr_kernel_cudaERNS_14TensorIteratorERKN3c106ScalarES8_ENKUlvE_clEvENKUlvE_clEvEUlhhhE_St5arrayIPcLm4EELi4E23TrivialOffsetCalculatorILi3EjESF_ILi1EjENS0_6memory15LoadWithoutCastENSI_16StoreWithoutCastEEEviT_T0_T2_T3_T4_T5_.has_recursion, 0
	.set _ZN2at6native27unrolled_elementwise_kernelIZZZNS0_12_GLOBAL__N_116addr_kernel_cudaERNS_14TensorIteratorERKN3c106ScalarES8_ENKUlvE_clEvENKUlvE_clEvEUlhhhE_St5arrayIPcLm4EELi4E23TrivialOffsetCalculatorILi3EjESF_ILi1EjENS0_6memory15LoadWithoutCastENSI_16StoreWithoutCastEEEviT_T0_T2_T3_T4_T5_.has_indirect_call, 0
	.section	.AMDGPU.csdata,"",@progbits
; Kernel info:
; codeLenInByte = 972
; TotalNumSgprs: 16
; NumVgprs: 12
; ScratchSize: 0
; MemoryBound: 0
; FloatMode: 240
; IeeeMode: 1
; LDSByteSize: 0 bytes/workgroup (compile time only)
; SGPRBlocks: 0
; VGPRBlocks: 0
; NumSGPRsForWavesPerEU: 16
; NumVGPRsForWavesPerEU: 12
; NamedBarCnt: 0
; Occupancy: 16
; WaveLimiterHint : 0
; COMPUTE_PGM_RSRC2:SCRATCH_EN: 0
; COMPUTE_PGM_RSRC2:USER_SGPR: 2
; COMPUTE_PGM_RSRC2:TRAP_HANDLER: 0
; COMPUTE_PGM_RSRC2:TGID_X_EN: 1
; COMPUTE_PGM_RSRC2:TGID_Y_EN: 0
; COMPUTE_PGM_RSRC2:TGID_Z_EN: 0
; COMPUTE_PGM_RSRC2:TIDIG_COMP_CNT: 0
	.section	.text._ZN2at6native32elementwise_kernel_manual_unrollILi128ELi8EZNS0_22gpu_kernel_impl_nocastIZZZNS0_12_GLOBAL__N_116addr_kernel_cudaERNS_14TensorIteratorERKN3c106ScalarES9_ENKUlvE_clEvENKUlvE_clEvEUlhhhE_EEvRNS_18TensorIteratorBaseERKT_EUlibE_EEviT1_,"axG",@progbits,_ZN2at6native32elementwise_kernel_manual_unrollILi128ELi8EZNS0_22gpu_kernel_impl_nocastIZZZNS0_12_GLOBAL__N_116addr_kernel_cudaERNS_14TensorIteratorERKN3c106ScalarES9_ENKUlvE_clEvENKUlvE_clEvEUlhhhE_EEvRNS_18TensorIteratorBaseERKT_EUlibE_EEviT1_,comdat
	.globl	_ZN2at6native32elementwise_kernel_manual_unrollILi128ELi8EZNS0_22gpu_kernel_impl_nocastIZZZNS0_12_GLOBAL__N_116addr_kernel_cudaERNS_14TensorIteratorERKN3c106ScalarES9_ENKUlvE_clEvENKUlvE_clEvEUlhhhE_EEvRNS_18TensorIteratorBaseERKT_EUlibE_EEviT1_ ; -- Begin function _ZN2at6native32elementwise_kernel_manual_unrollILi128ELi8EZNS0_22gpu_kernel_impl_nocastIZZZNS0_12_GLOBAL__N_116addr_kernel_cudaERNS_14TensorIteratorERKN3c106ScalarES9_ENKUlvE_clEvENKUlvE_clEvEUlhhhE_EEvRNS_18TensorIteratorBaseERKT_EUlibE_EEviT1_
	.p2align	8
	.type	_ZN2at6native32elementwise_kernel_manual_unrollILi128ELi8EZNS0_22gpu_kernel_impl_nocastIZZZNS0_12_GLOBAL__N_116addr_kernel_cudaERNS_14TensorIteratorERKN3c106ScalarES9_ENKUlvE_clEvENKUlvE_clEvEUlhhhE_EEvRNS_18TensorIteratorBaseERKT_EUlibE_EEviT1_,@function
_ZN2at6native32elementwise_kernel_manual_unrollILi128ELi8EZNS0_22gpu_kernel_impl_nocastIZZZNS0_12_GLOBAL__N_116addr_kernel_cudaERNS_14TensorIteratorERKN3c106ScalarES9_ENKUlvE_clEvENKUlvE_clEvEUlhhhE_EEvRNS_18TensorIteratorBaseERKT_EUlibE_EEviT1_: ; @_ZN2at6native32elementwise_kernel_manual_unrollILi128ELi8EZNS0_22gpu_kernel_impl_nocastIZZZNS0_12_GLOBAL__N_116addr_kernel_cudaERNS_14TensorIteratorERKN3c106ScalarES9_ENKUlvE_clEvENKUlvE_clEvEUlhhhE_EEvRNS_18TensorIteratorBaseERKT_EUlibE_EEviT1_
; %bb.0:
	s_clause 0x1
	s_load_b32 s11, s[0:1], 0x8
	s_load_b32 s36, s[0:1], 0x0
	s_bfe_u32 s2, ttmp6, 0x4000c
	s_and_b32 s3, ttmp6, 15
	s_add_co_i32 s2, s2, 1
	s_getreg_b32 s4, hwreg(HW_REG_IB_STS2, 6, 4)
	s_mul_i32 s2, ttmp9, s2
	s_add_nc_u64 s[12:13], s[0:1], 8
	s_add_co_i32 s3, s3, s2
	s_cmp_eq_u32 s4, 0
	s_mov_b32 s21, 0
	s_cselect_b32 s2, ttmp9, s3
	s_wait_xcnt 0x0
	s_mov_b32 s0, exec_lo
	v_lshl_or_b32 v0, s2, 10, v0
	s_delay_alu instid0(VALU_DEP_1) | instskip(SKIP_2) | instid1(SALU_CYCLE_1)
	v_or_b32_e32 v4, 0x380, v0
	s_wait_kmcnt 0x0
	s_add_co_i32 s28, s11, -1
	s_cmp_gt_u32 s28, 1
	s_cselect_b32 s29, -1, 0
	v_cmpx_le_i32_e64 s36, v4
	s_xor_b32 s30, exec_lo, s0
	s_cbranch_execz .LBB21_106
; %bb.1:
	s_clause 0x7
	s_load_b128 s[4:7], s[12:13], 0x4
	s_load_b64 s[16:17], s[12:13], 0x14
	s_load_b32 s33, s[12:13], 0xc4
	s_load_b96 s[8:10], s[12:13], 0xcc
	s_load_b64 s[18:19], s[12:13], 0xdc
	s_load_b64 s[14:15], s[12:13], 0x1c8
	s_load_b32 s31, s[12:13], 0x1e8
	s_load_b128 s[0:3], s[12:13], 0x1d8
	s_cmp_lg_u32 s11, 0
	s_mov_b32 s23, s21
	s_cselect_b32 s37, -1, 0
	s_min_u32 s35, s28, 15
	s_cmp_gt_u32 s11, 1
	s_cselect_b32 s34, -1, 0
	s_wait_kmcnt 0x0
	s_mov_b32 s20, s5
	s_mov_b32 s22, s16
	s_mov_b32 s5, exec_lo
	v_cmpx_gt_i32_e64 s36, v0
	s_cbranch_execnz .LBB21_9
; %bb.2:
	s_or_b32 exec_lo, exec_lo, s5
	s_delay_alu instid0(SALU_CYCLE_1)
	s_mov_b32 s5, exec_lo
	v_cmpx_gt_i32_e64 s36, v0
	s_cbranch_execnz .LBB21_21
.LBB21_3:
	s_or_b32 exec_lo, exec_lo, s5
	s_delay_alu instid0(SALU_CYCLE_1)
	s_mov_b32 s5, exec_lo
	v_cmpx_gt_i32_e64 s36, v0
	s_cbranch_execnz .LBB21_33
.LBB21_4:
	s_or_b32 exec_lo, exec_lo, s5
	s_delay_alu instid0(SALU_CYCLE_1)
	s_mov_b32 s5, exec_lo
	v_cmpx_gt_i32_e64 s36, v0
	s_cbranch_execnz .LBB21_45
.LBB21_5:
	s_or_b32 exec_lo, exec_lo, s5
	s_delay_alu instid0(SALU_CYCLE_1)
	s_mov_b32 s5, exec_lo
	v_cmpx_gt_i32_e64 s36, v0
	s_cbranch_execnz .LBB21_57
.LBB21_6:
	s_or_b32 exec_lo, exec_lo, s5
	s_delay_alu instid0(SALU_CYCLE_1)
	s_mov_b32 s5, exec_lo
	v_cmpx_gt_i32_e64 s36, v0
	s_cbranch_execnz .LBB21_69
.LBB21_7:
	s_or_b32 exec_lo, exec_lo, s5
	s_delay_alu instid0(SALU_CYCLE_1)
	s_mov_b32 s5, exec_lo
	v_cmpx_gt_i32_e64 s36, v0
	s_cbranch_execnz .LBB21_81
.LBB21_8:
	s_or_b32 exec_lo, exec_lo, s5
	s_delay_alu instid0(SALU_CYCLE_1)
	s_mov_b32 s5, exec_lo
	v_cmpx_gt_i32_e64 s36, v0
	s_cbranch_execnz .LBB21_93
	s_branch .LBB21_105
.LBB21_9:
	s_and_not1_b32 vcc_lo, exec_lo, s29
	s_cbranch_vccnz .LBB21_15
; %bb.10:
	s_and_not1_b32 vcc_lo, exec_lo, s37
	s_cbranch_vccnz .LBB21_16
; %bb.11:
	v_dual_mov_b32 v4, 0 :: v_dual_mov_b32 v1, v0
	v_dual_mov_b32 v6, 0 :: v_dual_mov_b32 v5, 0
	s_add_co_i32 s16, s35, 1
	s_mov_b64 s[24:25], 0xffffffffffffffe0
	s_and_b32 s16, s16, 30
	s_add_nc_u64 s[24:25], s[12:13], s[24:25]
	s_mov_b64 s[26:27], s[12:13]
.LBB21_12:                              ; =>This Inner Loop Header: Depth=1
	s_clause 0x1
	s_load_b128 s[40:43], s[26:27], 0x4
	s_load_b64 s[38:39], s[26:27], 0x14
	s_load_b32 s44, s[24:25], 0xe4
	s_add_co_i32 s16, s16, -2
	s_wait_xcnt 0x0
	s_add_nc_u64 s[26:27], s[26:27], 24
	s_cmp_lg_u32 s16, 0
	s_wait_kmcnt 0x0
	v_mul_hi_u32 v2, s41, v1
	s_delay_alu instid0(VALU_DEP_1) | instskip(NEXT) | instid1(VALU_DEP_1)
	v_add_nc_u32_e32 v2, v1, v2
	v_lshrrev_b32_e32 v2, s42, v2
	s_delay_alu instid0(VALU_DEP_1) | instskip(SKIP_2) | instid1(VALU_DEP_2)
	v_mul_hi_u32 v3, s38, v2
	v_mul_lo_u32 v7, v2, s40
	s_load_b96 s[40:42], s[24:25], 0xec
	v_add_nc_u32_e32 v3, v2, v3
	s_delay_alu instid0(VALU_DEP_2) | instskip(NEXT) | instid1(VALU_DEP_2)
	v_sub_nc_u32_e32 v7, v1, v7
	v_lshrrev_b32_e32 v1, s39, v3
	s_load_b64 s[38:39], s[24:25], 0xfc
	s_delay_alu instid0(VALU_DEP_2)
	v_mad_u32 v4, v7, s44, v4
	s_wait_xcnt 0x0
	s_add_nc_u64 s[24:25], s[24:25], 32
	v_mul_lo_u32 v3, v1, s43
	s_wait_kmcnt 0x0
	v_mad_u32 v5, v7, s41, v5
	v_mad_u32 v6, v7, s40, v6
	s_delay_alu instid0(VALU_DEP_3) | instskip(NEXT) | instid1(VALU_DEP_1)
	v_sub_nc_u32_e32 v2, v2, v3
	v_mad_u32 v4, v2, s42, v4
	s_delay_alu instid0(VALU_DEP_4) | instskip(NEXT) | instid1(VALU_DEP_4)
	v_mad_u32 v5, v2, s39, v5
	v_mad_u32 v6, v2, s38, v6
	s_cbranch_scc1 .LBB21_12
; %bb.13:
	s_bitcmp1_b32 s35, 0
	s_cselect_b32 s16, -1, 0
	s_delay_alu instid0(SALU_CYCLE_1)
	s_and_b32 vcc_lo, exec_lo, s16
	s_cbranch_vccnz .LBB21_17
; %bb.14:
	s_load_b96 s[40:42], s[26:27], 0x4
	s_load_b32 s16, s[24:25], 0xe4
	s_wait_xcnt 0x0
	s_load_b64 s[26:27], s[24:25], 0xec
	s_wait_kmcnt 0x0
	v_mul_hi_u32 v2, s41, v1
	s_delay_alu instid0(VALU_DEP_1) | instskip(NEXT) | instid1(VALU_DEP_1)
	v_add_nc_u32_e32 v2, v1, v2
	v_lshrrev_b32_e32 v2, s42, v2
	s_delay_alu instid0(VALU_DEP_1) | instskip(NEXT) | instid1(VALU_DEP_1)
	v_mul_lo_u32 v2, v2, s40
	v_sub_nc_u32_e32 v1, v1, v2
	s_delay_alu instid0(VALU_DEP_1)
	v_mad_u32 v4, v1, s16, v4
	v_mad_u32 v6, v1, s26, v6
	;; [unrolled: 1-line block ×3, first 2 shown]
	s_cbranch_execz .LBB21_18
	s_branch .LBB21_20
.LBB21_15:
                                        ; implicit-def: $vgpr5
                                        ; implicit-def: $vgpr6
                                        ; implicit-def: $vgpr4
	s_branch .LBB21_18
.LBB21_16:
	v_dual_mov_b32 v5, 0 :: v_dual_mov_b32 v6, 0
	v_mov_b32_e32 v4, 0
.LBB21_17:
	s_cbranch_execnz .LBB21_20
.LBB21_18:
	v_mov_b32_e32 v1, 0
	s_and_not1_b32 vcc_lo, exec_lo, s34
	s_delay_alu instid0(VALU_DEP_1) | instskip(NEXT) | instid1(VALU_DEP_1)
	v_mul_u64_e32 v[2:3], s[20:21], v[0:1]
	v_add_nc_u32_e32 v2, v0, v3
	s_delay_alu instid0(VALU_DEP_1) | instskip(NEXT) | instid1(VALU_DEP_1)
	v_lshrrev_b32_e32 v2, s6, v2
	v_mul_lo_u32 v3, v2, s4
	s_delay_alu instid0(VALU_DEP_1) | instskip(NEXT) | instid1(VALU_DEP_1)
	v_sub_nc_u32_e32 v3, v0, v3
	v_mul_lo_u32 v4, v3, s33
	v_mul_lo_u32 v5, v3, s9
	;; [unrolled: 1-line block ×3, first 2 shown]
	s_cbranch_vccnz .LBB21_20
; %bb.19:
	v_mov_b32_e32 v3, v1
	s_delay_alu instid0(VALU_DEP_1) | instskip(NEXT) | instid1(VALU_DEP_1)
	v_mul_u64_e32 v[8:9], s[22:23], v[2:3]
	v_add_nc_u32_e32 v1, v2, v9
	s_delay_alu instid0(VALU_DEP_1) | instskip(NEXT) | instid1(VALU_DEP_1)
	v_lshrrev_b32_e32 v1, s17, v1
	v_mul_lo_u32 v1, v1, s7
	s_delay_alu instid0(VALU_DEP_1) | instskip(NEXT) | instid1(VALU_DEP_1)
	v_sub_nc_u32_e32 v1, v2, v1
	v_mad_u32 v4, v1, s10, v4
	v_mad_u32 v6, v1, s18, v6
	;; [unrolled: 1-line block ×3, first 2 shown]
.LBB21_20:
	global_load_u8 v1, v6, s[0:1]
	global_load_u8 v2, v5, s[2:3]
	v_add_nc_u32_e32 v0, 0x80, v0
	s_wait_loadcnt 0x1
	v_mul_lo_u16 v1, v1, s31
	s_wait_loadcnt 0x0
	s_delay_alu instid0(VALU_DEP_1) | instskip(SKIP_3) | instid1(SALU_CYCLE_1)
	v_mul_lo_u16 v1, v1, v2
	global_store_b8 v4, v1, s[14:15]
	s_wait_xcnt 0x0
	s_or_b32 exec_lo, exec_lo, s5
	s_mov_b32 s5, exec_lo
	v_cmpx_gt_i32_e64 s36, v0
	s_cbranch_execz .LBB21_3
.LBB21_21:
	s_and_not1_b32 vcc_lo, exec_lo, s29
	s_cbranch_vccnz .LBB21_27
; %bb.22:
	s_and_not1_b32 vcc_lo, exec_lo, s37
	s_cbranch_vccnz .LBB21_28
; %bb.23:
	v_dual_mov_b32 v4, 0 :: v_dual_mov_b32 v1, v0
	v_dual_mov_b32 v6, 0 :: v_dual_mov_b32 v5, 0
	s_add_co_i32 s16, s35, 1
	s_mov_b64 s[24:25], 0xffffffffffffffe0
	s_and_b32 s16, s16, 30
	s_add_nc_u64 s[24:25], s[12:13], s[24:25]
	s_mov_b64 s[26:27], s[12:13]
.LBB21_24:                              ; =>This Inner Loop Header: Depth=1
	s_clause 0x1
	s_load_b128 s[40:43], s[26:27], 0x4
	s_load_b64 s[38:39], s[26:27], 0x14
	s_load_b32 s44, s[24:25], 0xe4
	s_add_co_i32 s16, s16, -2
	s_wait_xcnt 0x0
	s_add_nc_u64 s[26:27], s[26:27], 24
	s_cmp_eq_u32 s16, 0
	s_wait_kmcnt 0x0
	v_mul_hi_u32 v2, s41, v1
	s_delay_alu instid0(VALU_DEP_1) | instskip(NEXT) | instid1(VALU_DEP_1)
	v_add_nc_u32_e32 v2, v1, v2
	v_lshrrev_b32_e32 v2, s42, v2
	s_delay_alu instid0(VALU_DEP_1) | instskip(SKIP_2) | instid1(VALU_DEP_2)
	v_mul_hi_u32 v3, s38, v2
	v_mul_lo_u32 v7, v2, s40
	s_load_b96 s[40:42], s[24:25], 0xec
	v_add_nc_u32_e32 v3, v2, v3
	s_delay_alu instid0(VALU_DEP_2) | instskip(NEXT) | instid1(VALU_DEP_2)
	v_sub_nc_u32_e32 v7, v1, v7
	v_lshrrev_b32_e32 v1, s39, v3
	s_load_b64 s[38:39], s[24:25], 0xfc
	s_delay_alu instid0(VALU_DEP_2)
	v_mad_u32 v4, v7, s44, v4
	s_wait_xcnt 0x0
	s_add_nc_u64 s[24:25], s[24:25], 32
	v_mul_lo_u32 v3, v1, s43
	s_wait_kmcnt 0x0
	v_mad_u32 v5, v7, s41, v5
	v_mad_u32 v6, v7, s40, v6
	s_delay_alu instid0(VALU_DEP_3) | instskip(NEXT) | instid1(VALU_DEP_1)
	v_sub_nc_u32_e32 v2, v2, v3
	v_mad_u32 v4, v2, s42, v4
	s_delay_alu instid0(VALU_DEP_4) | instskip(NEXT) | instid1(VALU_DEP_4)
	v_mad_u32 v5, v2, s39, v5
	v_mad_u32 v6, v2, s38, v6
	s_cbranch_scc0 .LBB21_24
; %bb.25:
	s_bitcmp1_b32 s35, 0
	s_cselect_b32 s16, -1, 0
	s_delay_alu instid0(SALU_CYCLE_1)
	s_and_b32 vcc_lo, exec_lo, s16
	s_cbranch_vccnz .LBB21_29
; %bb.26:
	s_load_b96 s[40:42], s[26:27], 0x4
	s_load_b32 s16, s[24:25], 0xe4
	s_wait_xcnt 0x0
	s_load_b64 s[26:27], s[24:25], 0xec
	s_wait_kmcnt 0x0
	v_mul_hi_u32 v2, s41, v1
	s_delay_alu instid0(VALU_DEP_1) | instskip(NEXT) | instid1(VALU_DEP_1)
	v_add_nc_u32_e32 v2, v1, v2
	v_lshrrev_b32_e32 v2, s42, v2
	s_delay_alu instid0(VALU_DEP_1) | instskip(NEXT) | instid1(VALU_DEP_1)
	v_mul_lo_u32 v2, v2, s40
	v_sub_nc_u32_e32 v1, v1, v2
	s_delay_alu instid0(VALU_DEP_1)
	v_mad_u32 v4, v1, s16, v4
	v_mad_u32 v6, v1, s26, v6
	;; [unrolled: 1-line block ×3, first 2 shown]
	s_branch .LBB21_29
.LBB21_27:
                                        ; implicit-def: $vgpr5
                                        ; implicit-def: $vgpr6
                                        ; implicit-def: $vgpr4
	s_branch .LBB21_30
.LBB21_28:
	v_dual_mov_b32 v5, 0 :: v_dual_mov_b32 v6, 0
	v_mov_b32_e32 v4, 0
.LBB21_29:
	s_cbranch_execnz .LBB21_32
.LBB21_30:
	v_mov_b32_e32 v1, 0
	s_and_not1_b32 vcc_lo, exec_lo, s34
	s_delay_alu instid0(VALU_DEP_1) | instskip(NEXT) | instid1(VALU_DEP_1)
	v_mul_u64_e32 v[2:3], s[20:21], v[0:1]
	v_add_nc_u32_e32 v2, v0, v3
	s_delay_alu instid0(VALU_DEP_1) | instskip(NEXT) | instid1(VALU_DEP_1)
	v_lshrrev_b32_e32 v2, s6, v2
	v_mul_lo_u32 v3, v2, s4
	s_delay_alu instid0(VALU_DEP_1) | instskip(NEXT) | instid1(VALU_DEP_1)
	v_sub_nc_u32_e32 v3, v0, v3
	v_mul_lo_u32 v4, v3, s33
	v_mul_lo_u32 v5, v3, s9
	;; [unrolled: 1-line block ×3, first 2 shown]
	s_cbranch_vccnz .LBB21_32
; %bb.31:
	v_mov_b32_e32 v3, v1
	s_delay_alu instid0(VALU_DEP_1) | instskip(NEXT) | instid1(VALU_DEP_1)
	v_mul_u64_e32 v[8:9], s[22:23], v[2:3]
	v_add_nc_u32_e32 v1, v2, v9
	s_delay_alu instid0(VALU_DEP_1) | instskip(NEXT) | instid1(VALU_DEP_1)
	v_lshrrev_b32_e32 v1, s17, v1
	v_mul_lo_u32 v1, v1, s7
	s_delay_alu instid0(VALU_DEP_1) | instskip(NEXT) | instid1(VALU_DEP_1)
	v_sub_nc_u32_e32 v1, v2, v1
	v_mad_u32 v4, v1, s10, v4
	v_mad_u32 v6, v1, s18, v6
	;; [unrolled: 1-line block ×3, first 2 shown]
.LBB21_32:
	global_load_u8 v1, v6, s[0:1]
	global_load_u8 v2, v5, s[2:3]
	v_add_nc_u32_e32 v0, 0x80, v0
	s_wait_loadcnt 0x1
	v_mul_lo_u16 v1, v1, s31
	s_wait_loadcnt 0x0
	s_delay_alu instid0(VALU_DEP_1) | instskip(SKIP_3) | instid1(SALU_CYCLE_1)
	v_mul_lo_u16 v1, v1, v2
	global_store_b8 v4, v1, s[14:15]
	s_wait_xcnt 0x0
	s_or_b32 exec_lo, exec_lo, s5
	s_mov_b32 s5, exec_lo
	v_cmpx_gt_i32_e64 s36, v0
	s_cbranch_execz .LBB21_4
.LBB21_33:
	s_and_not1_b32 vcc_lo, exec_lo, s29
	s_cbranch_vccnz .LBB21_39
; %bb.34:
	s_and_not1_b32 vcc_lo, exec_lo, s37
	s_cbranch_vccnz .LBB21_40
; %bb.35:
	v_dual_mov_b32 v4, 0 :: v_dual_mov_b32 v1, v0
	v_dual_mov_b32 v6, 0 :: v_dual_mov_b32 v5, 0
	s_add_co_i32 s16, s35, 1
	s_mov_b64 s[24:25], 0xffffffffffffffe0
	s_and_b32 s16, s16, 30
	s_add_nc_u64 s[24:25], s[12:13], s[24:25]
	s_mov_b64 s[26:27], s[12:13]
.LBB21_36:                              ; =>This Inner Loop Header: Depth=1
	s_clause 0x1
	s_load_b128 s[40:43], s[26:27], 0x4
	s_load_b64 s[38:39], s[26:27], 0x14
	s_load_b32 s44, s[24:25], 0xe4
	s_add_co_i32 s16, s16, -2
	s_wait_xcnt 0x0
	s_add_nc_u64 s[26:27], s[26:27], 24
	s_cmp_eq_u32 s16, 0
	s_wait_kmcnt 0x0
	v_mul_hi_u32 v2, s41, v1
	s_delay_alu instid0(VALU_DEP_1) | instskip(NEXT) | instid1(VALU_DEP_1)
	v_add_nc_u32_e32 v2, v1, v2
	v_lshrrev_b32_e32 v2, s42, v2
	s_delay_alu instid0(VALU_DEP_1) | instskip(SKIP_2) | instid1(VALU_DEP_2)
	v_mul_hi_u32 v3, s38, v2
	v_mul_lo_u32 v7, v2, s40
	s_load_b96 s[40:42], s[24:25], 0xec
	v_add_nc_u32_e32 v3, v2, v3
	s_delay_alu instid0(VALU_DEP_2) | instskip(NEXT) | instid1(VALU_DEP_2)
	v_sub_nc_u32_e32 v7, v1, v7
	v_lshrrev_b32_e32 v1, s39, v3
	s_load_b64 s[38:39], s[24:25], 0xfc
	s_delay_alu instid0(VALU_DEP_2)
	v_mad_u32 v4, v7, s44, v4
	s_wait_xcnt 0x0
	s_add_nc_u64 s[24:25], s[24:25], 32
	v_mul_lo_u32 v3, v1, s43
	s_wait_kmcnt 0x0
	v_mad_u32 v5, v7, s41, v5
	v_mad_u32 v6, v7, s40, v6
	s_delay_alu instid0(VALU_DEP_3) | instskip(NEXT) | instid1(VALU_DEP_1)
	v_sub_nc_u32_e32 v2, v2, v3
	v_mad_u32 v4, v2, s42, v4
	s_delay_alu instid0(VALU_DEP_4) | instskip(NEXT) | instid1(VALU_DEP_4)
	v_mad_u32 v5, v2, s39, v5
	v_mad_u32 v6, v2, s38, v6
	s_cbranch_scc0 .LBB21_36
; %bb.37:
	s_bitcmp1_b32 s35, 0
	s_cselect_b32 s16, -1, 0
	s_delay_alu instid0(SALU_CYCLE_1)
	s_and_b32 vcc_lo, exec_lo, s16
	s_cbranch_vccnz .LBB21_41
; %bb.38:
	s_load_b96 s[40:42], s[26:27], 0x4
	s_load_b32 s16, s[24:25], 0xe4
	s_wait_xcnt 0x0
	s_load_b64 s[26:27], s[24:25], 0xec
	s_wait_kmcnt 0x0
	v_mul_hi_u32 v2, s41, v1
	s_delay_alu instid0(VALU_DEP_1) | instskip(NEXT) | instid1(VALU_DEP_1)
	v_add_nc_u32_e32 v2, v1, v2
	v_lshrrev_b32_e32 v2, s42, v2
	s_delay_alu instid0(VALU_DEP_1) | instskip(NEXT) | instid1(VALU_DEP_1)
	v_mul_lo_u32 v2, v2, s40
	v_sub_nc_u32_e32 v1, v1, v2
	s_delay_alu instid0(VALU_DEP_1)
	v_mad_u32 v4, v1, s16, v4
	v_mad_u32 v6, v1, s26, v6
	;; [unrolled: 1-line block ×3, first 2 shown]
	s_branch .LBB21_41
.LBB21_39:
                                        ; implicit-def: $vgpr5
                                        ; implicit-def: $vgpr6
                                        ; implicit-def: $vgpr4
	s_branch .LBB21_42
.LBB21_40:
	v_dual_mov_b32 v5, 0 :: v_dual_mov_b32 v6, 0
	v_mov_b32_e32 v4, 0
.LBB21_41:
	s_cbranch_execnz .LBB21_44
.LBB21_42:
	v_mov_b32_e32 v1, 0
	s_and_not1_b32 vcc_lo, exec_lo, s34
	s_delay_alu instid0(VALU_DEP_1) | instskip(NEXT) | instid1(VALU_DEP_1)
	v_mul_u64_e32 v[2:3], s[20:21], v[0:1]
	v_add_nc_u32_e32 v2, v0, v3
	s_delay_alu instid0(VALU_DEP_1) | instskip(NEXT) | instid1(VALU_DEP_1)
	v_lshrrev_b32_e32 v2, s6, v2
	v_mul_lo_u32 v3, v2, s4
	s_delay_alu instid0(VALU_DEP_1) | instskip(NEXT) | instid1(VALU_DEP_1)
	v_sub_nc_u32_e32 v3, v0, v3
	v_mul_lo_u32 v4, v3, s33
	v_mul_lo_u32 v5, v3, s9
	;; [unrolled: 1-line block ×3, first 2 shown]
	s_cbranch_vccnz .LBB21_44
; %bb.43:
	v_mov_b32_e32 v3, v1
	s_delay_alu instid0(VALU_DEP_1) | instskip(NEXT) | instid1(VALU_DEP_1)
	v_mul_u64_e32 v[8:9], s[22:23], v[2:3]
	v_add_nc_u32_e32 v1, v2, v9
	s_delay_alu instid0(VALU_DEP_1) | instskip(NEXT) | instid1(VALU_DEP_1)
	v_lshrrev_b32_e32 v1, s17, v1
	v_mul_lo_u32 v1, v1, s7
	s_delay_alu instid0(VALU_DEP_1) | instskip(NEXT) | instid1(VALU_DEP_1)
	v_sub_nc_u32_e32 v1, v2, v1
	v_mad_u32 v4, v1, s10, v4
	v_mad_u32 v6, v1, s18, v6
	;; [unrolled: 1-line block ×3, first 2 shown]
.LBB21_44:
	global_load_u8 v1, v6, s[0:1]
	global_load_u8 v2, v5, s[2:3]
	v_add_nc_u32_e32 v0, 0x80, v0
	s_wait_loadcnt 0x1
	v_mul_lo_u16 v1, v1, s31
	s_wait_loadcnt 0x0
	s_delay_alu instid0(VALU_DEP_1) | instskip(SKIP_3) | instid1(SALU_CYCLE_1)
	v_mul_lo_u16 v1, v1, v2
	global_store_b8 v4, v1, s[14:15]
	s_wait_xcnt 0x0
	s_or_b32 exec_lo, exec_lo, s5
	s_mov_b32 s5, exec_lo
	v_cmpx_gt_i32_e64 s36, v0
	s_cbranch_execz .LBB21_5
.LBB21_45:
	s_and_not1_b32 vcc_lo, exec_lo, s29
	s_cbranch_vccnz .LBB21_51
; %bb.46:
	s_and_not1_b32 vcc_lo, exec_lo, s37
	s_cbranch_vccnz .LBB21_52
; %bb.47:
	v_dual_mov_b32 v4, 0 :: v_dual_mov_b32 v1, v0
	v_dual_mov_b32 v6, 0 :: v_dual_mov_b32 v5, 0
	s_add_co_i32 s16, s35, 1
	s_mov_b64 s[24:25], 0xffffffffffffffe0
	s_and_b32 s16, s16, 30
	s_add_nc_u64 s[24:25], s[12:13], s[24:25]
	s_mov_b64 s[26:27], s[12:13]
.LBB21_48:                              ; =>This Inner Loop Header: Depth=1
	s_clause 0x1
	s_load_b128 s[40:43], s[26:27], 0x4
	s_load_b64 s[38:39], s[26:27], 0x14
	s_load_b32 s44, s[24:25], 0xe4
	s_add_co_i32 s16, s16, -2
	s_wait_xcnt 0x0
	s_add_nc_u64 s[26:27], s[26:27], 24
	s_cmp_eq_u32 s16, 0
	s_wait_kmcnt 0x0
	v_mul_hi_u32 v2, s41, v1
	s_delay_alu instid0(VALU_DEP_1) | instskip(NEXT) | instid1(VALU_DEP_1)
	v_add_nc_u32_e32 v2, v1, v2
	v_lshrrev_b32_e32 v2, s42, v2
	s_delay_alu instid0(VALU_DEP_1) | instskip(SKIP_2) | instid1(VALU_DEP_2)
	v_mul_hi_u32 v3, s38, v2
	v_mul_lo_u32 v7, v2, s40
	s_load_b96 s[40:42], s[24:25], 0xec
	v_add_nc_u32_e32 v3, v2, v3
	s_delay_alu instid0(VALU_DEP_2) | instskip(NEXT) | instid1(VALU_DEP_2)
	v_sub_nc_u32_e32 v7, v1, v7
	v_lshrrev_b32_e32 v1, s39, v3
	s_load_b64 s[38:39], s[24:25], 0xfc
	s_delay_alu instid0(VALU_DEP_2)
	v_mad_u32 v4, v7, s44, v4
	s_wait_xcnt 0x0
	s_add_nc_u64 s[24:25], s[24:25], 32
	v_mul_lo_u32 v3, v1, s43
	s_wait_kmcnt 0x0
	v_mad_u32 v5, v7, s41, v5
	v_mad_u32 v6, v7, s40, v6
	s_delay_alu instid0(VALU_DEP_3) | instskip(NEXT) | instid1(VALU_DEP_1)
	v_sub_nc_u32_e32 v2, v2, v3
	v_mad_u32 v4, v2, s42, v4
	s_delay_alu instid0(VALU_DEP_4) | instskip(NEXT) | instid1(VALU_DEP_4)
	v_mad_u32 v5, v2, s39, v5
	v_mad_u32 v6, v2, s38, v6
	s_cbranch_scc0 .LBB21_48
; %bb.49:
	s_bitcmp1_b32 s35, 0
	s_cselect_b32 s16, -1, 0
	s_delay_alu instid0(SALU_CYCLE_1)
	s_and_b32 vcc_lo, exec_lo, s16
	s_cbranch_vccnz .LBB21_53
; %bb.50:
	s_load_b96 s[40:42], s[26:27], 0x4
	s_load_b32 s16, s[24:25], 0xe4
	s_wait_xcnt 0x0
	s_load_b64 s[26:27], s[24:25], 0xec
	s_wait_kmcnt 0x0
	v_mul_hi_u32 v2, s41, v1
	s_delay_alu instid0(VALU_DEP_1) | instskip(NEXT) | instid1(VALU_DEP_1)
	v_add_nc_u32_e32 v2, v1, v2
	v_lshrrev_b32_e32 v2, s42, v2
	s_delay_alu instid0(VALU_DEP_1) | instskip(NEXT) | instid1(VALU_DEP_1)
	v_mul_lo_u32 v2, v2, s40
	v_sub_nc_u32_e32 v1, v1, v2
	s_delay_alu instid0(VALU_DEP_1)
	v_mad_u32 v4, v1, s16, v4
	v_mad_u32 v6, v1, s26, v6
	;; [unrolled: 1-line block ×3, first 2 shown]
	s_branch .LBB21_53
.LBB21_51:
                                        ; implicit-def: $vgpr5
                                        ; implicit-def: $vgpr6
                                        ; implicit-def: $vgpr4
	s_branch .LBB21_54
.LBB21_52:
	v_dual_mov_b32 v5, 0 :: v_dual_mov_b32 v6, 0
	v_mov_b32_e32 v4, 0
.LBB21_53:
	s_cbranch_execnz .LBB21_56
.LBB21_54:
	v_mov_b32_e32 v1, 0
	s_and_not1_b32 vcc_lo, exec_lo, s34
	s_delay_alu instid0(VALU_DEP_1) | instskip(NEXT) | instid1(VALU_DEP_1)
	v_mul_u64_e32 v[2:3], s[20:21], v[0:1]
	v_add_nc_u32_e32 v2, v0, v3
	s_delay_alu instid0(VALU_DEP_1) | instskip(NEXT) | instid1(VALU_DEP_1)
	v_lshrrev_b32_e32 v2, s6, v2
	v_mul_lo_u32 v3, v2, s4
	s_delay_alu instid0(VALU_DEP_1) | instskip(NEXT) | instid1(VALU_DEP_1)
	v_sub_nc_u32_e32 v3, v0, v3
	v_mul_lo_u32 v4, v3, s33
	v_mul_lo_u32 v5, v3, s9
	;; [unrolled: 1-line block ×3, first 2 shown]
	s_cbranch_vccnz .LBB21_56
; %bb.55:
	v_mov_b32_e32 v3, v1
	s_delay_alu instid0(VALU_DEP_1) | instskip(NEXT) | instid1(VALU_DEP_1)
	v_mul_u64_e32 v[8:9], s[22:23], v[2:3]
	v_add_nc_u32_e32 v1, v2, v9
	s_delay_alu instid0(VALU_DEP_1) | instskip(NEXT) | instid1(VALU_DEP_1)
	v_lshrrev_b32_e32 v1, s17, v1
	v_mul_lo_u32 v1, v1, s7
	s_delay_alu instid0(VALU_DEP_1) | instskip(NEXT) | instid1(VALU_DEP_1)
	v_sub_nc_u32_e32 v1, v2, v1
	v_mad_u32 v4, v1, s10, v4
	v_mad_u32 v6, v1, s18, v6
	;; [unrolled: 1-line block ×3, first 2 shown]
.LBB21_56:
	global_load_u8 v1, v6, s[0:1]
	global_load_u8 v2, v5, s[2:3]
	v_add_nc_u32_e32 v0, 0x80, v0
	s_wait_loadcnt 0x1
	v_mul_lo_u16 v1, v1, s31
	s_wait_loadcnt 0x0
	s_delay_alu instid0(VALU_DEP_1) | instskip(SKIP_3) | instid1(SALU_CYCLE_1)
	v_mul_lo_u16 v1, v1, v2
	global_store_b8 v4, v1, s[14:15]
	s_wait_xcnt 0x0
	s_or_b32 exec_lo, exec_lo, s5
	s_mov_b32 s5, exec_lo
	v_cmpx_gt_i32_e64 s36, v0
	s_cbranch_execz .LBB21_6
.LBB21_57:
	s_and_not1_b32 vcc_lo, exec_lo, s29
	s_cbranch_vccnz .LBB21_63
; %bb.58:
	s_and_not1_b32 vcc_lo, exec_lo, s37
	s_cbranch_vccnz .LBB21_64
; %bb.59:
	v_dual_mov_b32 v4, 0 :: v_dual_mov_b32 v1, v0
	v_dual_mov_b32 v6, 0 :: v_dual_mov_b32 v5, 0
	s_add_co_i32 s16, s35, 1
	s_mov_b64 s[24:25], 0xffffffffffffffe0
	s_and_b32 s16, s16, 30
	s_add_nc_u64 s[24:25], s[12:13], s[24:25]
	s_mov_b64 s[26:27], s[12:13]
.LBB21_60:                              ; =>This Inner Loop Header: Depth=1
	s_clause 0x1
	s_load_b128 s[40:43], s[26:27], 0x4
	s_load_b64 s[38:39], s[26:27], 0x14
	s_load_b32 s44, s[24:25], 0xe4
	s_add_co_i32 s16, s16, -2
	s_wait_xcnt 0x0
	s_add_nc_u64 s[26:27], s[26:27], 24
	s_cmp_eq_u32 s16, 0
	s_wait_kmcnt 0x0
	v_mul_hi_u32 v2, s41, v1
	s_delay_alu instid0(VALU_DEP_1) | instskip(NEXT) | instid1(VALU_DEP_1)
	v_add_nc_u32_e32 v2, v1, v2
	v_lshrrev_b32_e32 v2, s42, v2
	s_delay_alu instid0(VALU_DEP_1) | instskip(SKIP_2) | instid1(VALU_DEP_2)
	v_mul_hi_u32 v3, s38, v2
	v_mul_lo_u32 v7, v2, s40
	s_load_b96 s[40:42], s[24:25], 0xec
	v_add_nc_u32_e32 v3, v2, v3
	s_delay_alu instid0(VALU_DEP_2) | instskip(NEXT) | instid1(VALU_DEP_2)
	v_sub_nc_u32_e32 v7, v1, v7
	v_lshrrev_b32_e32 v1, s39, v3
	s_load_b64 s[38:39], s[24:25], 0xfc
	s_delay_alu instid0(VALU_DEP_2)
	v_mad_u32 v4, v7, s44, v4
	s_wait_xcnt 0x0
	s_add_nc_u64 s[24:25], s[24:25], 32
	v_mul_lo_u32 v3, v1, s43
	s_wait_kmcnt 0x0
	v_mad_u32 v5, v7, s41, v5
	v_mad_u32 v6, v7, s40, v6
	s_delay_alu instid0(VALU_DEP_3) | instskip(NEXT) | instid1(VALU_DEP_1)
	v_sub_nc_u32_e32 v2, v2, v3
	v_mad_u32 v4, v2, s42, v4
	s_delay_alu instid0(VALU_DEP_4) | instskip(NEXT) | instid1(VALU_DEP_4)
	v_mad_u32 v5, v2, s39, v5
	v_mad_u32 v6, v2, s38, v6
	s_cbranch_scc0 .LBB21_60
; %bb.61:
	s_bitcmp1_b32 s35, 0
	s_cselect_b32 s16, -1, 0
	s_delay_alu instid0(SALU_CYCLE_1)
	s_and_b32 vcc_lo, exec_lo, s16
	s_cbranch_vccnz .LBB21_65
; %bb.62:
	s_load_b96 s[40:42], s[26:27], 0x4
	s_load_b32 s16, s[24:25], 0xe4
	s_wait_xcnt 0x0
	s_load_b64 s[26:27], s[24:25], 0xec
	s_wait_kmcnt 0x0
	v_mul_hi_u32 v2, s41, v1
	s_delay_alu instid0(VALU_DEP_1) | instskip(NEXT) | instid1(VALU_DEP_1)
	v_add_nc_u32_e32 v2, v1, v2
	v_lshrrev_b32_e32 v2, s42, v2
	s_delay_alu instid0(VALU_DEP_1) | instskip(NEXT) | instid1(VALU_DEP_1)
	v_mul_lo_u32 v2, v2, s40
	v_sub_nc_u32_e32 v1, v1, v2
	s_delay_alu instid0(VALU_DEP_1)
	v_mad_u32 v4, v1, s16, v4
	v_mad_u32 v6, v1, s26, v6
	;; [unrolled: 1-line block ×3, first 2 shown]
	s_branch .LBB21_65
.LBB21_63:
                                        ; implicit-def: $vgpr5
                                        ; implicit-def: $vgpr6
                                        ; implicit-def: $vgpr4
	s_branch .LBB21_66
.LBB21_64:
	v_dual_mov_b32 v5, 0 :: v_dual_mov_b32 v6, 0
	v_mov_b32_e32 v4, 0
.LBB21_65:
	s_cbranch_execnz .LBB21_68
.LBB21_66:
	v_mov_b32_e32 v1, 0
	s_and_not1_b32 vcc_lo, exec_lo, s34
	s_delay_alu instid0(VALU_DEP_1) | instskip(NEXT) | instid1(VALU_DEP_1)
	v_mul_u64_e32 v[2:3], s[20:21], v[0:1]
	v_add_nc_u32_e32 v2, v0, v3
	s_delay_alu instid0(VALU_DEP_1) | instskip(NEXT) | instid1(VALU_DEP_1)
	v_lshrrev_b32_e32 v2, s6, v2
	v_mul_lo_u32 v3, v2, s4
	s_delay_alu instid0(VALU_DEP_1) | instskip(NEXT) | instid1(VALU_DEP_1)
	v_sub_nc_u32_e32 v3, v0, v3
	v_mul_lo_u32 v4, v3, s33
	v_mul_lo_u32 v5, v3, s9
	v_mul_lo_u32 v6, v3, s8
	s_cbranch_vccnz .LBB21_68
; %bb.67:
	v_mov_b32_e32 v3, v1
	s_delay_alu instid0(VALU_DEP_1) | instskip(NEXT) | instid1(VALU_DEP_1)
	v_mul_u64_e32 v[8:9], s[22:23], v[2:3]
	v_add_nc_u32_e32 v1, v2, v9
	s_delay_alu instid0(VALU_DEP_1) | instskip(NEXT) | instid1(VALU_DEP_1)
	v_lshrrev_b32_e32 v1, s17, v1
	v_mul_lo_u32 v1, v1, s7
	s_delay_alu instid0(VALU_DEP_1) | instskip(NEXT) | instid1(VALU_DEP_1)
	v_sub_nc_u32_e32 v1, v2, v1
	v_mad_u32 v4, v1, s10, v4
	v_mad_u32 v6, v1, s18, v6
	;; [unrolled: 1-line block ×3, first 2 shown]
.LBB21_68:
	global_load_u8 v1, v6, s[0:1]
	global_load_u8 v2, v5, s[2:3]
	v_add_nc_u32_e32 v0, 0x80, v0
	s_wait_loadcnt 0x1
	v_mul_lo_u16 v1, v1, s31
	s_wait_loadcnt 0x0
	s_delay_alu instid0(VALU_DEP_1) | instskip(SKIP_3) | instid1(SALU_CYCLE_1)
	v_mul_lo_u16 v1, v1, v2
	global_store_b8 v4, v1, s[14:15]
	s_wait_xcnt 0x0
	s_or_b32 exec_lo, exec_lo, s5
	s_mov_b32 s5, exec_lo
	v_cmpx_gt_i32_e64 s36, v0
	s_cbranch_execz .LBB21_7
.LBB21_69:
	s_and_not1_b32 vcc_lo, exec_lo, s29
	s_cbranch_vccnz .LBB21_75
; %bb.70:
	s_and_not1_b32 vcc_lo, exec_lo, s37
	s_cbranch_vccnz .LBB21_76
; %bb.71:
	v_dual_mov_b32 v4, 0 :: v_dual_mov_b32 v1, v0
	v_dual_mov_b32 v6, 0 :: v_dual_mov_b32 v5, 0
	s_add_co_i32 s16, s35, 1
	s_mov_b64 s[24:25], 0xffffffffffffffe0
	s_and_b32 s16, s16, 30
	s_add_nc_u64 s[24:25], s[12:13], s[24:25]
	s_mov_b64 s[26:27], s[12:13]
.LBB21_72:                              ; =>This Inner Loop Header: Depth=1
	s_clause 0x1
	s_load_b128 s[40:43], s[26:27], 0x4
	s_load_b64 s[38:39], s[26:27], 0x14
	s_load_b32 s44, s[24:25], 0xe4
	s_add_co_i32 s16, s16, -2
	s_wait_xcnt 0x0
	s_add_nc_u64 s[26:27], s[26:27], 24
	s_cmp_eq_u32 s16, 0
	s_wait_kmcnt 0x0
	v_mul_hi_u32 v2, s41, v1
	s_delay_alu instid0(VALU_DEP_1) | instskip(NEXT) | instid1(VALU_DEP_1)
	v_add_nc_u32_e32 v2, v1, v2
	v_lshrrev_b32_e32 v2, s42, v2
	s_delay_alu instid0(VALU_DEP_1) | instskip(SKIP_2) | instid1(VALU_DEP_2)
	v_mul_hi_u32 v3, s38, v2
	v_mul_lo_u32 v7, v2, s40
	s_load_b96 s[40:42], s[24:25], 0xec
	v_add_nc_u32_e32 v3, v2, v3
	s_delay_alu instid0(VALU_DEP_2) | instskip(NEXT) | instid1(VALU_DEP_2)
	v_sub_nc_u32_e32 v7, v1, v7
	v_lshrrev_b32_e32 v1, s39, v3
	s_load_b64 s[38:39], s[24:25], 0xfc
	s_delay_alu instid0(VALU_DEP_2)
	v_mad_u32 v4, v7, s44, v4
	s_wait_xcnt 0x0
	s_add_nc_u64 s[24:25], s[24:25], 32
	v_mul_lo_u32 v3, v1, s43
	s_wait_kmcnt 0x0
	v_mad_u32 v5, v7, s41, v5
	v_mad_u32 v6, v7, s40, v6
	s_delay_alu instid0(VALU_DEP_3) | instskip(NEXT) | instid1(VALU_DEP_1)
	v_sub_nc_u32_e32 v2, v2, v3
	v_mad_u32 v4, v2, s42, v4
	s_delay_alu instid0(VALU_DEP_4) | instskip(NEXT) | instid1(VALU_DEP_4)
	v_mad_u32 v5, v2, s39, v5
	v_mad_u32 v6, v2, s38, v6
	s_cbranch_scc0 .LBB21_72
; %bb.73:
	s_bitcmp1_b32 s35, 0
	s_cselect_b32 s16, -1, 0
	s_delay_alu instid0(SALU_CYCLE_1)
	s_and_b32 vcc_lo, exec_lo, s16
	s_cbranch_vccnz .LBB21_77
; %bb.74:
	s_load_b96 s[40:42], s[26:27], 0x4
	s_load_b32 s16, s[24:25], 0xe4
	s_wait_xcnt 0x0
	s_load_b64 s[26:27], s[24:25], 0xec
	s_wait_kmcnt 0x0
	v_mul_hi_u32 v2, s41, v1
	s_delay_alu instid0(VALU_DEP_1) | instskip(NEXT) | instid1(VALU_DEP_1)
	v_add_nc_u32_e32 v2, v1, v2
	v_lshrrev_b32_e32 v2, s42, v2
	s_delay_alu instid0(VALU_DEP_1) | instskip(NEXT) | instid1(VALU_DEP_1)
	v_mul_lo_u32 v2, v2, s40
	v_sub_nc_u32_e32 v1, v1, v2
	s_delay_alu instid0(VALU_DEP_1)
	v_mad_u32 v4, v1, s16, v4
	v_mad_u32 v6, v1, s26, v6
	;; [unrolled: 1-line block ×3, first 2 shown]
	s_branch .LBB21_77
.LBB21_75:
                                        ; implicit-def: $vgpr5
                                        ; implicit-def: $vgpr6
                                        ; implicit-def: $vgpr4
	s_branch .LBB21_78
.LBB21_76:
	v_dual_mov_b32 v5, 0 :: v_dual_mov_b32 v6, 0
	v_mov_b32_e32 v4, 0
.LBB21_77:
	s_cbranch_execnz .LBB21_80
.LBB21_78:
	v_mov_b32_e32 v1, 0
	s_and_not1_b32 vcc_lo, exec_lo, s34
	s_delay_alu instid0(VALU_DEP_1) | instskip(NEXT) | instid1(VALU_DEP_1)
	v_mul_u64_e32 v[2:3], s[20:21], v[0:1]
	v_add_nc_u32_e32 v2, v0, v3
	s_delay_alu instid0(VALU_DEP_1) | instskip(NEXT) | instid1(VALU_DEP_1)
	v_lshrrev_b32_e32 v2, s6, v2
	v_mul_lo_u32 v3, v2, s4
	s_delay_alu instid0(VALU_DEP_1) | instskip(NEXT) | instid1(VALU_DEP_1)
	v_sub_nc_u32_e32 v3, v0, v3
	v_mul_lo_u32 v4, v3, s33
	v_mul_lo_u32 v5, v3, s9
	;; [unrolled: 1-line block ×3, first 2 shown]
	s_cbranch_vccnz .LBB21_80
; %bb.79:
	v_mov_b32_e32 v3, v1
	s_delay_alu instid0(VALU_DEP_1) | instskip(NEXT) | instid1(VALU_DEP_1)
	v_mul_u64_e32 v[8:9], s[22:23], v[2:3]
	v_add_nc_u32_e32 v1, v2, v9
	s_delay_alu instid0(VALU_DEP_1) | instskip(NEXT) | instid1(VALU_DEP_1)
	v_lshrrev_b32_e32 v1, s17, v1
	v_mul_lo_u32 v1, v1, s7
	s_delay_alu instid0(VALU_DEP_1) | instskip(NEXT) | instid1(VALU_DEP_1)
	v_sub_nc_u32_e32 v1, v2, v1
	v_mad_u32 v4, v1, s10, v4
	v_mad_u32 v6, v1, s18, v6
	v_mad_u32 v5, v1, s19, v5
.LBB21_80:
	global_load_u8 v1, v6, s[0:1]
	global_load_u8 v2, v5, s[2:3]
	v_add_nc_u32_e32 v0, 0x80, v0
	s_wait_loadcnt 0x1
	v_mul_lo_u16 v1, v1, s31
	s_wait_loadcnt 0x0
	s_delay_alu instid0(VALU_DEP_1) | instskip(SKIP_3) | instid1(SALU_CYCLE_1)
	v_mul_lo_u16 v1, v1, v2
	global_store_b8 v4, v1, s[14:15]
	s_wait_xcnt 0x0
	s_or_b32 exec_lo, exec_lo, s5
	s_mov_b32 s5, exec_lo
	v_cmpx_gt_i32_e64 s36, v0
	s_cbranch_execz .LBB21_8
.LBB21_81:
	s_and_not1_b32 vcc_lo, exec_lo, s29
	s_cbranch_vccnz .LBB21_87
; %bb.82:
	s_and_not1_b32 vcc_lo, exec_lo, s37
	s_cbranch_vccnz .LBB21_88
; %bb.83:
	v_dual_mov_b32 v4, 0 :: v_dual_mov_b32 v1, v0
	v_dual_mov_b32 v6, 0 :: v_dual_mov_b32 v5, 0
	s_add_co_i32 s16, s35, 1
	s_mov_b64 s[24:25], 0xffffffffffffffe0
	s_and_b32 s16, s16, 30
	s_add_nc_u64 s[24:25], s[12:13], s[24:25]
	s_mov_b64 s[26:27], s[12:13]
.LBB21_84:                              ; =>This Inner Loop Header: Depth=1
	s_clause 0x1
	s_load_b128 s[40:43], s[26:27], 0x4
	s_load_b64 s[38:39], s[26:27], 0x14
	s_load_b32 s44, s[24:25], 0xe4
	s_add_co_i32 s16, s16, -2
	s_wait_xcnt 0x0
	s_add_nc_u64 s[26:27], s[26:27], 24
	s_cmp_eq_u32 s16, 0
	s_wait_kmcnt 0x0
	v_mul_hi_u32 v2, s41, v1
	s_delay_alu instid0(VALU_DEP_1) | instskip(NEXT) | instid1(VALU_DEP_1)
	v_add_nc_u32_e32 v2, v1, v2
	v_lshrrev_b32_e32 v2, s42, v2
	s_delay_alu instid0(VALU_DEP_1) | instskip(SKIP_2) | instid1(VALU_DEP_2)
	v_mul_hi_u32 v3, s38, v2
	v_mul_lo_u32 v7, v2, s40
	s_load_b96 s[40:42], s[24:25], 0xec
	v_add_nc_u32_e32 v3, v2, v3
	s_delay_alu instid0(VALU_DEP_2) | instskip(NEXT) | instid1(VALU_DEP_2)
	v_sub_nc_u32_e32 v7, v1, v7
	v_lshrrev_b32_e32 v1, s39, v3
	s_load_b64 s[38:39], s[24:25], 0xfc
	s_delay_alu instid0(VALU_DEP_2)
	v_mad_u32 v4, v7, s44, v4
	s_wait_xcnt 0x0
	s_add_nc_u64 s[24:25], s[24:25], 32
	v_mul_lo_u32 v3, v1, s43
	s_wait_kmcnt 0x0
	v_mad_u32 v5, v7, s41, v5
	v_mad_u32 v6, v7, s40, v6
	s_delay_alu instid0(VALU_DEP_3) | instskip(NEXT) | instid1(VALU_DEP_1)
	v_sub_nc_u32_e32 v2, v2, v3
	v_mad_u32 v4, v2, s42, v4
	s_delay_alu instid0(VALU_DEP_4) | instskip(NEXT) | instid1(VALU_DEP_4)
	v_mad_u32 v5, v2, s39, v5
	v_mad_u32 v6, v2, s38, v6
	s_cbranch_scc0 .LBB21_84
; %bb.85:
	s_bitcmp1_b32 s35, 0
	s_cselect_b32 s16, -1, 0
	s_delay_alu instid0(SALU_CYCLE_1)
	s_and_b32 vcc_lo, exec_lo, s16
	s_cbranch_vccnz .LBB21_89
; %bb.86:
	s_load_b96 s[40:42], s[26:27], 0x4
	s_load_b32 s16, s[24:25], 0xe4
	s_wait_xcnt 0x0
	s_load_b64 s[26:27], s[24:25], 0xec
	s_wait_kmcnt 0x0
	v_mul_hi_u32 v2, s41, v1
	s_delay_alu instid0(VALU_DEP_1) | instskip(NEXT) | instid1(VALU_DEP_1)
	v_add_nc_u32_e32 v2, v1, v2
	v_lshrrev_b32_e32 v2, s42, v2
	s_delay_alu instid0(VALU_DEP_1) | instskip(NEXT) | instid1(VALU_DEP_1)
	v_mul_lo_u32 v2, v2, s40
	v_sub_nc_u32_e32 v1, v1, v2
	s_delay_alu instid0(VALU_DEP_1)
	v_mad_u32 v4, v1, s16, v4
	v_mad_u32 v6, v1, s26, v6
	;; [unrolled: 1-line block ×3, first 2 shown]
	s_branch .LBB21_89
.LBB21_87:
                                        ; implicit-def: $vgpr5
                                        ; implicit-def: $vgpr6
                                        ; implicit-def: $vgpr4
	s_branch .LBB21_90
.LBB21_88:
	v_dual_mov_b32 v5, 0 :: v_dual_mov_b32 v6, 0
	v_mov_b32_e32 v4, 0
.LBB21_89:
	s_cbranch_execnz .LBB21_92
.LBB21_90:
	v_mov_b32_e32 v1, 0
	s_and_not1_b32 vcc_lo, exec_lo, s34
	s_delay_alu instid0(VALU_DEP_1) | instskip(NEXT) | instid1(VALU_DEP_1)
	v_mul_u64_e32 v[2:3], s[20:21], v[0:1]
	v_add_nc_u32_e32 v2, v0, v3
	s_delay_alu instid0(VALU_DEP_1) | instskip(NEXT) | instid1(VALU_DEP_1)
	v_lshrrev_b32_e32 v2, s6, v2
	v_mul_lo_u32 v3, v2, s4
	s_delay_alu instid0(VALU_DEP_1) | instskip(NEXT) | instid1(VALU_DEP_1)
	v_sub_nc_u32_e32 v3, v0, v3
	v_mul_lo_u32 v4, v3, s33
	v_mul_lo_u32 v5, v3, s9
	;; [unrolled: 1-line block ×3, first 2 shown]
	s_cbranch_vccnz .LBB21_92
; %bb.91:
	v_mov_b32_e32 v3, v1
	s_delay_alu instid0(VALU_DEP_1) | instskip(NEXT) | instid1(VALU_DEP_1)
	v_mul_u64_e32 v[8:9], s[22:23], v[2:3]
	v_add_nc_u32_e32 v1, v2, v9
	s_delay_alu instid0(VALU_DEP_1) | instskip(NEXT) | instid1(VALU_DEP_1)
	v_lshrrev_b32_e32 v1, s17, v1
	v_mul_lo_u32 v1, v1, s7
	s_delay_alu instid0(VALU_DEP_1) | instskip(NEXT) | instid1(VALU_DEP_1)
	v_sub_nc_u32_e32 v1, v2, v1
	v_mad_u32 v4, v1, s10, v4
	v_mad_u32 v6, v1, s18, v6
	;; [unrolled: 1-line block ×3, first 2 shown]
.LBB21_92:
	global_load_u8 v1, v6, s[0:1]
	global_load_u8 v2, v5, s[2:3]
	v_add_nc_u32_e32 v0, 0x80, v0
	s_wait_loadcnt 0x1
	v_mul_lo_u16 v1, v1, s31
	s_wait_loadcnt 0x0
	s_delay_alu instid0(VALU_DEP_1) | instskip(SKIP_3) | instid1(SALU_CYCLE_1)
	v_mul_lo_u16 v1, v1, v2
	global_store_b8 v4, v1, s[14:15]
	s_wait_xcnt 0x0
	s_or_b32 exec_lo, exec_lo, s5
	s_mov_b32 s5, exec_lo
	v_cmpx_gt_i32_e64 s36, v0
	s_cbranch_execz .LBB21_105
.LBB21_93:
	s_and_not1_b32 vcc_lo, exec_lo, s29
	s_cbranch_vccnz .LBB21_99
; %bb.94:
	s_and_not1_b32 vcc_lo, exec_lo, s37
	s_cbranch_vccnz .LBB21_100
; %bb.95:
	v_dual_mov_b32 v4, 0 :: v_dual_mov_b32 v1, v0
	v_dual_mov_b32 v6, 0 :: v_dual_mov_b32 v5, 0
	s_add_co_i32 s16, s35, 1
	s_mov_b64 s[24:25], 0xffffffffffffffe0
	s_and_b32 s16, s16, 30
	s_add_nc_u64 s[24:25], s[12:13], s[24:25]
	s_mov_b64 s[26:27], s[12:13]
.LBB21_96:                              ; =>This Inner Loop Header: Depth=1
	s_clause 0x1
	s_load_b128 s[36:39], s[26:27], 0x4
	s_load_b64 s[40:41], s[26:27], 0x14
	s_load_b32 s42, s[24:25], 0xe4
	s_add_co_i32 s16, s16, -2
	s_wait_xcnt 0x0
	s_add_nc_u64 s[26:27], s[26:27], 24
	s_cmp_eq_u32 s16, 0
	s_wait_kmcnt 0x0
	v_mul_hi_u32 v2, s37, v1
	s_delay_alu instid0(VALU_DEP_1) | instskip(NEXT) | instid1(VALU_DEP_1)
	v_add_nc_u32_e32 v2, v1, v2
	v_lshrrev_b32_e32 v2, s38, v2
	s_delay_alu instid0(VALU_DEP_1) | instskip(SKIP_2) | instid1(VALU_DEP_2)
	v_mul_hi_u32 v3, s40, v2
	v_mul_lo_u32 v7, v2, s36
	s_load_b96 s[36:38], s[24:25], 0xec
	v_add_nc_u32_e32 v3, v2, v3
	s_delay_alu instid0(VALU_DEP_2) | instskip(NEXT) | instid1(VALU_DEP_2)
	v_sub_nc_u32_e32 v7, v1, v7
	v_lshrrev_b32_e32 v1, s41, v3
	s_load_b64 s[40:41], s[24:25], 0xfc
	s_delay_alu instid0(VALU_DEP_2)
	v_mad_u32 v4, v7, s42, v4
	s_wait_xcnt 0x0
	s_add_nc_u64 s[24:25], s[24:25], 32
	v_mul_lo_u32 v3, v1, s39
	s_wait_kmcnt 0x0
	v_mad_u32 v5, v7, s37, v5
	v_mad_u32 v6, v7, s36, v6
	s_delay_alu instid0(VALU_DEP_3) | instskip(NEXT) | instid1(VALU_DEP_1)
	v_sub_nc_u32_e32 v2, v2, v3
	v_mad_u32 v4, v2, s38, v4
	s_delay_alu instid0(VALU_DEP_4) | instskip(NEXT) | instid1(VALU_DEP_4)
	v_mad_u32 v5, v2, s41, v5
	v_mad_u32 v6, v2, s40, v6
	s_cbranch_scc0 .LBB21_96
; %bb.97:
	s_bitcmp1_b32 s35, 0
	s_cselect_b32 s16, -1, 0
	s_delay_alu instid0(SALU_CYCLE_1)
	s_and_b32 vcc_lo, exec_lo, s16
	s_cbranch_vccnz .LBB21_101
; %bb.98:
	s_load_b96 s[36:38], s[26:27], 0x4
	s_load_b32 s16, s[24:25], 0xe4
	s_wait_xcnt 0x0
	s_load_b64 s[26:27], s[24:25], 0xec
	s_wait_kmcnt 0x0
	v_mul_hi_u32 v2, s37, v1
	s_delay_alu instid0(VALU_DEP_1) | instskip(NEXT) | instid1(VALU_DEP_1)
	v_add_nc_u32_e32 v2, v1, v2
	v_lshrrev_b32_e32 v2, s38, v2
	s_delay_alu instid0(VALU_DEP_1) | instskip(NEXT) | instid1(VALU_DEP_1)
	v_mul_lo_u32 v2, v2, s36
	v_sub_nc_u32_e32 v1, v1, v2
	s_delay_alu instid0(VALU_DEP_1)
	v_mad_u32 v4, v1, s16, v4
	v_mad_u32 v6, v1, s26, v6
	;; [unrolled: 1-line block ×3, first 2 shown]
	s_branch .LBB21_101
.LBB21_99:
                                        ; implicit-def: $vgpr5
                                        ; implicit-def: $vgpr6
                                        ; implicit-def: $vgpr4
	s_branch .LBB21_102
.LBB21_100:
	v_dual_mov_b32 v5, 0 :: v_dual_mov_b32 v6, 0
	v_mov_b32_e32 v4, 0
.LBB21_101:
	s_cbranch_execnz .LBB21_104
.LBB21_102:
	v_mov_b32_e32 v1, 0
	s_and_not1_b32 vcc_lo, exec_lo, s34
	s_delay_alu instid0(VALU_DEP_1) | instskip(NEXT) | instid1(VALU_DEP_1)
	v_mul_u64_e32 v[2:3], s[20:21], v[0:1]
	v_add_nc_u32_e32 v2, v0, v3
	s_delay_alu instid0(VALU_DEP_1) | instskip(NEXT) | instid1(VALU_DEP_1)
	v_lshrrev_b32_e32 v2, s6, v2
	v_mul_lo_u32 v3, v2, s4
	s_delay_alu instid0(VALU_DEP_1) | instskip(NEXT) | instid1(VALU_DEP_1)
	v_sub_nc_u32_e32 v0, v0, v3
	v_mul_lo_u32 v4, v0, s33
	v_mul_lo_u32 v5, v0, s9
	;; [unrolled: 1-line block ×3, first 2 shown]
	s_cbranch_vccnz .LBB21_104
; %bb.103:
	v_mov_b32_e32 v3, v1
	s_delay_alu instid0(VALU_DEP_1) | instskip(NEXT) | instid1(VALU_DEP_1)
	v_mul_u64_e32 v[0:1], s[22:23], v[2:3]
	v_add_nc_u32_e32 v0, v2, v1
	s_delay_alu instid0(VALU_DEP_1) | instskip(NEXT) | instid1(VALU_DEP_1)
	v_lshrrev_b32_e32 v0, s17, v0
	v_mul_lo_u32 v0, v0, s7
	s_delay_alu instid0(VALU_DEP_1) | instskip(NEXT) | instid1(VALU_DEP_1)
	v_sub_nc_u32_e32 v0, v2, v0
	v_mad_u32 v4, v0, s10, v4
	v_mad_u32 v6, v0, s18, v6
	;; [unrolled: 1-line block ×3, first 2 shown]
.LBB21_104:
	global_load_u8 v0, v6, s[0:1]
	global_load_u8 v1, v5, s[2:3]
	s_wait_loadcnt 0x1
	v_mul_lo_u16 v0, v0, s31
	s_wait_loadcnt 0x0
	s_delay_alu instid0(VALU_DEP_1)
	v_mul_lo_u16 v0, v0, v1
	global_store_b8 v4, v0, s[14:15]
.LBB21_105:
	s_wait_xcnt 0x0
	s_or_b32 exec_lo, exec_lo, s5
                                        ; implicit-def: $vgpr4
                                        ; implicit-def: $vgpr0
.LBB21_106:
	s_and_not1_saveexec_b32 s0, s30
	s_cbranch_execz .LBB21_113
; %bb.107:
	v_cndmask_b32_e64 v7, 0, 1, s29
	s_and_not1_b32 vcc_lo, exec_lo, s29
	s_cbranch_vccnz .LBB21_114
; %bb.108:
	s_cmp_lg_u32 s11, 0
	s_mov_b32 s4, 0
	s_cbranch_scc0 .LBB21_118
; %bb.109:
	s_min_u32 s5, s28, 15
	v_dual_mov_b32 v1, 0 :: v_dual_mov_b32 v5, v0
	v_dual_mov_b32 v3, 0 :: v_dual_mov_b32 v2, 0
	s_add_co_i32 s2, s5, 1
	s_mov_b64 s[0:1], 0xffffffffffffffe0
	s_and_b32 s6, s2, 30
	s_add_nc_u64 s[0:1], s[12:13], s[0:1]
	s_mov_b64 s[2:3], s[12:13]
.LBB21_110:                             ; =>This Inner Loop Header: Depth=1
	s_clause 0x1
	s_load_b128 s[16:19], s[2:3], 0x4
	s_load_b64 s[14:15], s[2:3], 0x14
	s_clause 0x1
	s_load_b32 s7, s[0:1], 0xe4
	s_load_b96 s[8:10], s[0:1], 0xec
	s_add_co_i32 s6, s6, -2
	s_wait_xcnt 0x0
	s_add_nc_u64 s[2:3], s[2:3], 24
	s_cmp_lg_u32 s6, 0
	s_wait_kmcnt 0x0
	v_mul_hi_u32 v6, s17, v5
	s_delay_alu instid0(VALU_DEP_1) | instskip(NEXT) | instid1(VALU_DEP_1)
	v_add_nc_u32_e32 v6, v5, v6
	v_lshrrev_b32_e32 v6, s18, v6
	s_delay_alu instid0(VALU_DEP_1) | instskip(SKIP_1) | instid1(VALU_DEP_1)
	v_mul_hi_u32 v8, s14, v6
	v_mul_lo_u32 v9, v6, s16
	v_dual_add_nc_u32 v8, v6, v8 :: v_dual_sub_nc_u32 v9, v5, v9
	s_delay_alu instid0(VALU_DEP_1) | instskip(SKIP_1) | instid1(VALU_DEP_2)
	v_lshrrev_b32_e32 v5, s15, v8
	s_load_b64 s[14:15], s[0:1], 0xfc
	v_mad_u32 v1, v9, s7, v1
	v_mad_u32 v2, v9, s9, v2
	;; [unrolled: 1-line block ×3, first 2 shown]
	v_mul_lo_u32 v8, v5, s19
	s_wait_xcnt 0x0
	s_add_nc_u64 s[0:1], s[0:1], 32
	s_delay_alu instid0(VALU_DEP_1) | instskip(NEXT) | instid1(VALU_DEP_1)
	v_sub_nc_u32_e32 v6, v6, v8
	v_mad_u32 v1, v6, s10, v1
	s_wait_kmcnt 0x0
	v_mad_u32 v2, v6, s15, v2
	v_mad_u32 v3, v6, s14, v3
	s_cbranch_scc1 .LBB21_110
; %bb.111:
	s_bitcmp1_b32 s5, 0
	s_cselect_b32 s5, -1, 0
	s_delay_alu instid0(SALU_CYCLE_1)
	s_and_b32 vcc_lo, exec_lo, s5
	s_cbranch_vccnz .LBB21_115
; %bb.112:
	s_load_b96 s[8:10], s[2:3], 0x4
	s_load_b32 s5, s[0:1], 0xe4
	s_wait_xcnt 0x0
	s_load_b64 s[2:3], s[0:1], 0xec
	s_wait_kmcnt 0x0
	v_mul_hi_u32 v6, s9, v5
	s_delay_alu instid0(VALU_DEP_1) | instskip(NEXT) | instid1(VALU_DEP_1)
	v_add_nc_u32_e32 v6, v5, v6
	v_lshrrev_b32_e32 v6, s10, v6
	s_delay_alu instid0(VALU_DEP_1) | instskip(NEXT) | instid1(VALU_DEP_1)
	v_mul_lo_u32 v6, v6, s8
	v_sub_nc_u32_e32 v5, v5, v6
	s_delay_alu instid0(VALU_DEP_1)
	v_mad_u32 v1, v5, s5, v1
	v_mad_u32 v3, v5, s2, v3
	;; [unrolled: 1-line block ×3, first 2 shown]
	s_and_not1_b32 vcc_lo, exec_lo, s4
	s_cbranch_vccz .LBB21_116
	s_branch .LBB21_119
.LBB21_113:
	s_endpgm
.LBB21_114:
	s_mov_b32 s4, -1
                                        ; implicit-def: $vgpr2
                                        ; implicit-def: $vgpr3
                                        ; implicit-def: $vgpr1
.LBB21_115:
	s_delay_alu instid0(SALU_CYCLE_1)
	s_and_not1_b32 vcc_lo, exec_lo, s4
	s_cbranch_vccnz .LBB21_119
.LBB21_116:
	s_clause 0x2
	s_load_b96 s[0:2], s[12:13], 0x4
	s_load_b32 s3, s[12:13], 0xc4
	s_load_b64 s[4:5], s[12:13], 0xcc
	s_cmp_lt_u32 s11, 2
	s_wait_kmcnt 0x0
	v_mul_hi_u32 v1, s1, v0
	s_delay_alu instid0(VALU_DEP_1) | instskip(NEXT) | instid1(VALU_DEP_1)
	v_add_nc_u32_e32 v1, v0, v1
	v_lshrrev_b32_e32 v5, s2, v1
	s_delay_alu instid0(VALU_DEP_1) | instskip(NEXT) | instid1(VALU_DEP_1)
	v_mul_lo_u32 v1, v5, s0
	v_sub_nc_u32_e32 v3, v0, v1
	s_delay_alu instid0(VALU_DEP_1)
	v_mul_lo_u32 v1, v3, s3
	v_mul_lo_u32 v2, v3, s5
	;; [unrolled: 1-line block ×3, first 2 shown]
	s_cbranch_scc1 .LBB21_119
; %bb.117:
	s_clause 0x2
	s_load_b96 s[0:2], s[12:13], 0x10
	s_load_b32 s3, s[12:13], 0xd4
	s_load_b64 s[4:5], s[12:13], 0xdc
	s_wait_kmcnt 0x0
	v_mul_hi_u32 v6, s1, v5
	s_delay_alu instid0(VALU_DEP_1) | instskip(NEXT) | instid1(VALU_DEP_1)
	v_add_nc_u32_e32 v6, v5, v6
	v_lshrrev_b32_e32 v6, s2, v6
	s_delay_alu instid0(VALU_DEP_1) | instskip(NEXT) | instid1(VALU_DEP_1)
	v_mul_lo_u32 v6, v6, s0
	v_sub_nc_u32_e32 v5, v5, v6
	s_delay_alu instid0(VALU_DEP_1)
	v_mad_u32 v1, v5, s3, v1
	v_mad_u32 v3, v5, s4, v3
	;; [unrolled: 1-line block ×3, first 2 shown]
	s_branch .LBB21_119
.LBB21_118:
	v_dual_mov_b32 v2, 0 :: v_dual_mov_b32 v3, 0
	v_mov_b32_e32 v1, 0
	s_and_not1_b32 vcc_lo, exec_lo, s4
	s_cbranch_vccz .LBB21_116
.LBB21_119:
	v_cmp_ne_u32_e32 vcc_lo, 1, v7
	v_add_nc_u32_e32 v9, 0x80, v0
	s_cbranch_vccnz .LBB21_125
; %bb.120:
	s_cmp_lg_u32 s11, 0
	s_mov_b32 s4, 0
	s_cbranch_scc0 .LBB21_129
; %bb.121:
	s_min_u32 s5, s28, 15
	v_dual_mov_b32 v5, 0 :: v_dual_mov_b32 v10, v9
	v_dual_mov_b32 v8, 0 :: v_dual_mov_b32 v6, 0
	s_add_co_i32 s2, s5, 1
	s_mov_b64 s[0:1], 0xffffffffffffffe0
	s_and_b32 s6, s2, 30
	s_add_nc_u64 s[0:1], s[12:13], s[0:1]
	s_mov_b64 s[2:3], s[12:13]
.LBB21_122:                             ; =>This Inner Loop Header: Depth=1
	s_clause 0x1
	s_load_b128 s[16:19], s[2:3], 0x4
	s_load_b64 s[14:15], s[2:3], 0x14
	s_clause 0x1
	s_load_b32 s7, s[0:1], 0xe4
	s_load_b96 s[8:10], s[0:1], 0xec
	s_add_co_i32 s6, s6, -2
	s_wait_xcnt 0x0
	s_add_nc_u64 s[2:3], s[2:3], 24
	s_cmp_lg_u32 s6, 0
	s_wait_kmcnt 0x0
	v_mul_hi_u32 v11, s17, v10
	s_delay_alu instid0(VALU_DEP_1) | instskip(NEXT) | instid1(VALU_DEP_1)
	v_add_nc_u32_e32 v11, v10, v11
	v_lshrrev_b32_e32 v11, s18, v11
	s_delay_alu instid0(VALU_DEP_1) | instskip(SKIP_1) | instid1(VALU_DEP_1)
	v_mul_hi_u32 v12, s14, v11
	v_mul_lo_u32 v13, v11, s16
	v_dual_add_nc_u32 v12, v11, v12 :: v_dual_sub_nc_u32 v13, v10, v13
	s_delay_alu instid0(VALU_DEP_1) | instskip(SKIP_1) | instid1(VALU_DEP_2)
	v_lshrrev_b32_e32 v10, s15, v12
	s_load_b64 s[14:15], s[0:1], 0xfc
	v_mad_u32 v5, v13, s7, v5
	v_mad_u32 v6, v13, s9, v6
	;; [unrolled: 1-line block ×3, first 2 shown]
	v_mul_lo_u32 v12, v10, s19
	s_wait_xcnt 0x0
	s_add_nc_u64 s[0:1], s[0:1], 32
	s_delay_alu instid0(VALU_DEP_1) | instskip(NEXT) | instid1(VALU_DEP_1)
	v_sub_nc_u32_e32 v11, v11, v12
	v_mad_u32 v5, v11, s10, v5
	s_wait_kmcnt 0x0
	v_mad_u32 v6, v11, s15, v6
	v_mad_u32 v8, v11, s14, v8
	s_cbranch_scc1 .LBB21_122
; %bb.123:
	s_bitcmp1_b32 s5, 0
	s_cselect_b32 s5, -1, 0
	s_delay_alu instid0(SALU_CYCLE_1)
	s_and_b32 vcc_lo, exec_lo, s5
	s_cbranch_vccnz .LBB21_126
; %bb.124:
	s_load_b96 s[8:10], s[2:3], 0x4
	s_load_b32 s5, s[0:1], 0xe4
	s_wait_xcnt 0x0
	s_load_b64 s[2:3], s[0:1], 0xec
	s_wait_kmcnt 0x0
	v_mul_hi_u32 v11, s9, v10
	s_delay_alu instid0(VALU_DEP_1) | instskip(NEXT) | instid1(VALU_DEP_1)
	v_add_nc_u32_e32 v11, v10, v11
	v_lshrrev_b32_e32 v11, s10, v11
	s_delay_alu instid0(VALU_DEP_1) | instskip(NEXT) | instid1(VALU_DEP_1)
	v_mul_lo_u32 v11, v11, s8
	v_sub_nc_u32_e32 v10, v10, v11
	s_delay_alu instid0(VALU_DEP_1)
	v_mad_u32 v5, v10, s5, v5
	v_mad_u32 v8, v10, s2, v8
	;; [unrolled: 1-line block ×3, first 2 shown]
	s_and_not1_b32 vcc_lo, exec_lo, s4
	s_cbranch_vccz .LBB21_127
	s_branch .LBB21_130
.LBB21_125:
	s_mov_b32 s4, -1
                                        ; implicit-def: $vgpr6
                                        ; implicit-def: $vgpr8
                                        ; implicit-def: $vgpr5
.LBB21_126:
	s_delay_alu instid0(SALU_CYCLE_1)
	s_and_not1_b32 vcc_lo, exec_lo, s4
	s_cbranch_vccnz .LBB21_130
.LBB21_127:
	s_clause 0x2
	s_load_b96 s[0:2], s[12:13], 0x4
	s_load_b32 s3, s[12:13], 0xc4
	s_load_b64 s[4:5], s[12:13], 0xcc
	s_cmp_lt_u32 s11, 2
	s_wait_kmcnt 0x0
	v_mul_hi_u32 v5, s1, v9
	s_delay_alu instid0(VALU_DEP_1) | instskip(NEXT) | instid1(VALU_DEP_1)
	v_add_nc_u32_e32 v5, v9, v5
	v_lshrrev_b32_e32 v10, s2, v5
	s_delay_alu instid0(VALU_DEP_1) | instskip(NEXT) | instid1(VALU_DEP_1)
	v_mul_lo_u32 v5, v10, s0
	v_sub_nc_u32_e32 v8, v9, v5
	s_delay_alu instid0(VALU_DEP_1)
	v_mul_lo_u32 v5, v8, s3
	v_mul_lo_u32 v6, v8, s5
	;; [unrolled: 1-line block ×3, first 2 shown]
	s_cbranch_scc1 .LBB21_130
; %bb.128:
	s_clause 0x2
	s_load_b96 s[0:2], s[12:13], 0x10
	s_load_b32 s3, s[12:13], 0xd4
	s_load_b64 s[4:5], s[12:13], 0xdc
	s_wait_kmcnt 0x0
	v_mul_hi_u32 v9, s1, v10
	s_delay_alu instid0(VALU_DEP_1) | instskip(NEXT) | instid1(VALU_DEP_1)
	v_add_nc_u32_e32 v9, v10, v9
	v_lshrrev_b32_e32 v9, s2, v9
	s_delay_alu instid0(VALU_DEP_1) | instskip(NEXT) | instid1(VALU_DEP_1)
	v_mul_lo_u32 v9, v9, s0
	v_sub_nc_u32_e32 v9, v10, v9
	s_delay_alu instid0(VALU_DEP_1)
	v_mad_u32 v5, v9, s3, v5
	v_mad_u32 v8, v9, s4, v8
	;; [unrolled: 1-line block ×3, first 2 shown]
	s_branch .LBB21_130
.LBB21_129:
	v_dual_mov_b32 v6, 0 :: v_dual_mov_b32 v8, 0
	v_mov_b32_e32 v5, 0
	s_and_not1_b32 vcc_lo, exec_lo, s4
	s_cbranch_vccz .LBB21_127
.LBB21_130:
	v_cmp_ne_u32_e32 vcc_lo, 1, v7
	v_add_nc_u32_e32 v12, 0x100, v0
	s_cbranch_vccnz .LBB21_136
; %bb.131:
	s_cmp_lg_u32 s11, 0
	s_mov_b32 s4, 0
	s_cbranch_scc0 .LBB21_140
; %bb.132:
	s_min_u32 s5, s28, 15
	v_dual_mov_b32 v9, 0 :: v_dual_mov_b32 v13, v12
	v_dual_mov_b32 v10, 0 :: v_dual_mov_b32 v11, 0
	s_add_co_i32 s2, s5, 1
	s_mov_b64 s[0:1], 0xffffffffffffffe0
	s_and_b32 s6, s2, 30
	s_add_nc_u64 s[0:1], s[12:13], s[0:1]
	s_mov_b64 s[2:3], s[12:13]
.LBB21_133:                             ; =>This Inner Loop Header: Depth=1
	s_clause 0x1
	s_load_b128 s[16:19], s[2:3], 0x4
	s_load_b64 s[14:15], s[2:3], 0x14
	s_clause 0x1
	s_load_b32 s7, s[0:1], 0xe4
	s_load_b96 s[8:10], s[0:1], 0xec
	s_add_co_i32 s6, s6, -2
	s_wait_xcnt 0x0
	s_add_nc_u64 s[2:3], s[2:3], 24
	s_cmp_lg_u32 s6, 0
	s_wait_kmcnt 0x0
	v_mul_hi_u32 v14, s17, v13
	s_delay_alu instid0(VALU_DEP_1) | instskip(NEXT) | instid1(VALU_DEP_1)
	v_add_nc_u32_e32 v14, v13, v14
	v_lshrrev_b32_e32 v14, s18, v14
	s_delay_alu instid0(VALU_DEP_1) | instskip(SKIP_1) | instid1(VALU_DEP_1)
	v_mul_hi_u32 v15, s14, v14
	v_mul_lo_u32 v16, v14, s16
	v_dual_add_nc_u32 v15, v14, v15 :: v_dual_sub_nc_u32 v16, v13, v16
	s_delay_alu instid0(VALU_DEP_1) | instskip(SKIP_1) | instid1(VALU_DEP_2)
	v_lshrrev_b32_e32 v13, s15, v15
	s_load_b64 s[14:15], s[0:1], 0xfc
	v_mad_u32 v9, v16, s7, v9
	v_mad_u32 v11, v16, s9, v11
	;; [unrolled: 1-line block ×3, first 2 shown]
	v_mul_lo_u32 v15, v13, s19
	s_wait_xcnt 0x0
	s_add_nc_u64 s[0:1], s[0:1], 32
	s_delay_alu instid0(VALU_DEP_1) | instskip(NEXT) | instid1(VALU_DEP_1)
	v_sub_nc_u32_e32 v14, v14, v15
	v_mad_u32 v9, v14, s10, v9
	s_wait_kmcnt 0x0
	v_mad_u32 v11, v14, s15, v11
	v_mad_u32 v10, v14, s14, v10
	s_cbranch_scc1 .LBB21_133
; %bb.134:
	s_bitcmp1_b32 s5, 0
	s_cselect_b32 s5, -1, 0
	s_delay_alu instid0(SALU_CYCLE_1)
	s_and_b32 vcc_lo, exec_lo, s5
	s_cbranch_vccnz .LBB21_137
; %bb.135:
	s_load_b96 s[8:10], s[2:3], 0x4
	s_load_b32 s5, s[0:1], 0xe4
	s_wait_xcnt 0x0
	s_load_b64 s[2:3], s[0:1], 0xec
	s_wait_kmcnt 0x0
	v_mul_hi_u32 v14, s9, v13
	s_delay_alu instid0(VALU_DEP_1) | instskip(NEXT) | instid1(VALU_DEP_1)
	v_add_nc_u32_e32 v14, v13, v14
	v_lshrrev_b32_e32 v14, s10, v14
	s_delay_alu instid0(VALU_DEP_1) | instskip(NEXT) | instid1(VALU_DEP_1)
	v_mul_lo_u32 v14, v14, s8
	v_sub_nc_u32_e32 v13, v13, v14
	s_delay_alu instid0(VALU_DEP_1)
	v_mad_u32 v9, v13, s5, v9
	v_mad_u32 v10, v13, s2, v10
	;; [unrolled: 1-line block ×3, first 2 shown]
	s_and_not1_b32 vcc_lo, exec_lo, s4
	s_cbranch_vccz .LBB21_138
	s_branch .LBB21_141
.LBB21_136:
	s_mov_b32 s4, -1
                                        ; implicit-def: $vgpr11
                                        ; implicit-def: $vgpr10
                                        ; implicit-def: $vgpr9
.LBB21_137:
	s_delay_alu instid0(SALU_CYCLE_1)
	s_and_not1_b32 vcc_lo, exec_lo, s4
	s_cbranch_vccnz .LBB21_141
.LBB21_138:
	s_clause 0x2
	s_load_b96 s[0:2], s[12:13], 0x4
	s_load_b32 s3, s[12:13], 0xc4
	s_load_b64 s[4:5], s[12:13], 0xcc
	s_cmp_lt_u32 s11, 2
	s_wait_kmcnt 0x0
	v_mul_hi_u32 v9, s1, v12
	s_delay_alu instid0(VALU_DEP_1) | instskip(NEXT) | instid1(VALU_DEP_1)
	v_add_nc_u32_e32 v9, v12, v9
	v_lshrrev_b32_e32 v13, s2, v9
	s_delay_alu instid0(VALU_DEP_1) | instskip(NEXT) | instid1(VALU_DEP_1)
	v_mul_lo_u32 v9, v13, s0
	v_sub_nc_u32_e32 v10, v12, v9
	s_delay_alu instid0(VALU_DEP_1)
	v_mul_lo_u32 v9, v10, s3
	v_mul_lo_u32 v11, v10, s5
	;; [unrolled: 1-line block ×3, first 2 shown]
	s_cbranch_scc1 .LBB21_141
; %bb.139:
	s_clause 0x2
	s_load_b96 s[0:2], s[12:13], 0x10
	s_load_b32 s3, s[12:13], 0xd4
	s_load_b64 s[4:5], s[12:13], 0xdc
	s_wait_kmcnt 0x0
	v_mul_hi_u32 v12, s1, v13
	s_delay_alu instid0(VALU_DEP_1) | instskip(NEXT) | instid1(VALU_DEP_1)
	v_add_nc_u32_e32 v12, v13, v12
	v_lshrrev_b32_e32 v12, s2, v12
	s_delay_alu instid0(VALU_DEP_1) | instskip(NEXT) | instid1(VALU_DEP_1)
	v_mul_lo_u32 v12, v12, s0
	v_sub_nc_u32_e32 v12, v13, v12
	s_delay_alu instid0(VALU_DEP_1)
	v_mad_u32 v9, v12, s3, v9
	v_mad_u32 v10, v12, s4, v10
	v_mad_u32 v11, v12, s5, v11
	s_branch .LBB21_141
.LBB21_140:
	v_dual_mov_b32 v11, 0 :: v_dual_mov_b32 v10, 0
	v_mov_b32_e32 v9, 0
	s_and_not1_b32 vcc_lo, exec_lo, s4
	s_cbranch_vccz .LBB21_138
.LBB21_141:
	v_cmp_ne_u32_e32 vcc_lo, 1, v7
	v_add_nc_u32_e32 v15, 0x180, v0
	s_cbranch_vccnz .LBB21_147
; %bb.142:
	s_cmp_lg_u32 s11, 0
	s_mov_b32 s4, 0
	s_cbranch_scc0 .LBB21_151
; %bb.143:
	s_min_u32 s5, s28, 15
	v_dual_mov_b32 v12, 0 :: v_dual_mov_b32 v16, v15
	v_dual_mov_b32 v14, 0 :: v_dual_mov_b32 v13, 0
	s_add_co_i32 s2, s5, 1
	s_mov_b64 s[0:1], 0xffffffffffffffe0
	s_and_b32 s6, s2, 30
	s_add_nc_u64 s[0:1], s[12:13], s[0:1]
	s_mov_b64 s[2:3], s[12:13]
.LBB21_144:                             ; =>This Inner Loop Header: Depth=1
	s_clause 0x1
	s_load_b128 s[16:19], s[2:3], 0x4
	s_load_b64 s[14:15], s[2:3], 0x14
	s_clause 0x1
	s_load_b32 s7, s[0:1], 0xe4
	s_load_b96 s[8:10], s[0:1], 0xec
	s_add_co_i32 s6, s6, -2
	s_wait_xcnt 0x0
	s_add_nc_u64 s[2:3], s[2:3], 24
	s_cmp_lg_u32 s6, 0
	s_wait_kmcnt 0x0
	v_mul_hi_u32 v17, s17, v16
	s_delay_alu instid0(VALU_DEP_1) | instskip(NEXT) | instid1(VALU_DEP_1)
	v_add_nc_u32_e32 v17, v16, v17
	v_lshrrev_b32_e32 v17, s18, v17
	s_delay_alu instid0(VALU_DEP_1) | instskip(SKIP_1) | instid1(VALU_DEP_1)
	v_mul_hi_u32 v18, s14, v17
	v_mul_lo_u32 v19, v17, s16
	v_dual_add_nc_u32 v18, v17, v18 :: v_dual_sub_nc_u32 v19, v16, v19
	s_delay_alu instid0(VALU_DEP_1) | instskip(SKIP_1) | instid1(VALU_DEP_2)
	v_lshrrev_b32_e32 v16, s15, v18
	s_load_b64 s[14:15], s[0:1], 0xfc
	v_mad_u32 v12, v19, s7, v12
	v_mad_u32 v13, v19, s9, v13
	;; [unrolled: 1-line block ×3, first 2 shown]
	v_mul_lo_u32 v18, v16, s19
	s_wait_xcnt 0x0
	s_add_nc_u64 s[0:1], s[0:1], 32
	s_delay_alu instid0(VALU_DEP_1) | instskip(NEXT) | instid1(VALU_DEP_1)
	v_sub_nc_u32_e32 v17, v17, v18
	v_mad_u32 v12, v17, s10, v12
	s_wait_kmcnt 0x0
	v_mad_u32 v13, v17, s15, v13
	v_mad_u32 v14, v17, s14, v14
	s_cbranch_scc1 .LBB21_144
; %bb.145:
	s_bitcmp1_b32 s5, 0
	s_cselect_b32 s5, -1, 0
	s_delay_alu instid0(SALU_CYCLE_1)
	s_and_b32 vcc_lo, exec_lo, s5
	s_cbranch_vccnz .LBB21_148
; %bb.146:
	s_load_b96 s[8:10], s[2:3], 0x4
	s_load_b32 s5, s[0:1], 0xe4
	s_wait_xcnt 0x0
	s_load_b64 s[2:3], s[0:1], 0xec
	s_wait_kmcnt 0x0
	v_mul_hi_u32 v17, s9, v16
	s_delay_alu instid0(VALU_DEP_1) | instskip(NEXT) | instid1(VALU_DEP_1)
	v_add_nc_u32_e32 v17, v16, v17
	v_lshrrev_b32_e32 v17, s10, v17
	s_delay_alu instid0(VALU_DEP_1) | instskip(NEXT) | instid1(VALU_DEP_1)
	v_mul_lo_u32 v17, v17, s8
	v_sub_nc_u32_e32 v16, v16, v17
	s_delay_alu instid0(VALU_DEP_1)
	v_mad_u32 v12, v16, s5, v12
	v_mad_u32 v14, v16, s2, v14
	;; [unrolled: 1-line block ×3, first 2 shown]
	s_and_not1_b32 vcc_lo, exec_lo, s4
	s_cbranch_vccz .LBB21_149
	s_branch .LBB21_152
.LBB21_147:
	s_mov_b32 s4, -1
                                        ; implicit-def: $vgpr13
                                        ; implicit-def: $vgpr14
                                        ; implicit-def: $vgpr12
.LBB21_148:
	s_delay_alu instid0(SALU_CYCLE_1)
	s_and_not1_b32 vcc_lo, exec_lo, s4
	s_cbranch_vccnz .LBB21_152
.LBB21_149:
	s_clause 0x2
	s_load_b96 s[0:2], s[12:13], 0x4
	s_load_b32 s3, s[12:13], 0xc4
	s_load_b64 s[4:5], s[12:13], 0xcc
	s_cmp_lt_u32 s11, 2
	s_wait_kmcnt 0x0
	v_mul_hi_u32 v12, s1, v15
	s_delay_alu instid0(VALU_DEP_1) | instskip(NEXT) | instid1(VALU_DEP_1)
	v_add_nc_u32_e32 v12, v15, v12
	v_lshrrev_b32_e32 v16, s2, v12
	s_delay_alu instid0(VALU_DEP_1) | instskip(NEXT) | instid1(VALU_DEP_1)
	v_mul_lo_u32 v12, v16, s0
	v_sub_nc_u32_e32 v14, v15, v12
	s_delay_alu instid0(VALU_DEP_1)
	v_mul_lo_u32 v12, v14, s3
	v_mul_lo_u32 v13, v14, s5
	;; [unrolled: 1-line block ×3, first 2 shown]
	s_cbranch_scc1 .LBB21_152
; %bb.150:
	s_clause 0x2
	s_load_b96 s[0:2], s[12:13], 0x10
	s_load_b32 s3, s[12:13], 0xd4
	s_load_b64 s[4:5], s[12:13], 0xdc
	s_wait_kmcnt 0x0
	v_mul_hi_u32 v15, s1, v16
	s_delay_alu instid0(VALU_DEP_1) | instskip(NEXT) | instid1(VALU_DEP_1)
	v_add_nc_u32_e32 v15, v16, v15
	v_lshrrev_b32_e32 v15, s2, v15
	s_delay_alu instid0(VALU_DEP_1) | instskip(NEXT) | instid1(VALU_DEP_1)
	v_mul_lo_u32 v15, v15, s0
	v_sub_nc_u32_e32 v15, v16, v15
	s_delay_alu instid0(VALU_DEP_1)
	v_mad_u32 v12, v15, s3, v12
	v_mad_u32 v14, v15, s4, v14
	;; [unrolled: 1-line block ×3, first 2 shown]
	s_branch .LBB21_152
.LBB21_151:
	v_dual_mov_b32 v13, 0 :: v_dual_mov_b32 v14, 0
	v_mov_b32_e32 v12, 0
	s_and_not1_b32 vcc_lo, exec_lo, s4
	s_cbranch_vccz .LBB21_149
.LBB21_152:
	v_cmp_ne_u32_e32 vcc_lo, 1, v7
	v_add_nc_u32_e32 v18, 0x200, v0
	s_cbranch_vccnz .LBB21_158
; %bb.153:
	s_cmp_lg_u32 s11, 0
	s_mov_b32 s4, 0
	s_cbranch_scc0 .LBB21_162
; %bb.154:
	s_min_u32 s5, s28, 15
	v_dual_mov_b32 v15, 0 :: v_dual_mov_b32 v19, v18
	v_dual_mov_b32 v17, 0 :: v_dual_mov_b32 v16, 0
	s_add_co_i32 s2, s5, 1
	s_mov_b64 s[0:1], 0xffffffffffffffe0
	s_and_b32 s6, s2, 30
	s_add_nc_u64 s[0:1], s[12:13], s[0:1]
	s_mov_b64 s[2:3], s[12:13]
.LBB21_155:                             ; =>This Inner Loop Header: Depth=1
	s_clause 0x1
	s_load_b128 s[16:19], s[2:3], 0x4
	s_load_b64 s[14:15], s[2:3], 0x14
	s_clause 0x1
	s_load_b32 s7, s[0:1], 0xe4
	s_load_b96 s[8:10], s[0:1], 0xec
	s_add_co_i32 s6, s6, -2
	s_wait_xcnt 0x0
	s_add_nc_u64 s[2:3], s[2:3], 24
	s_cmp_lg_u32 s6, 0
	s_wait_kmcnt 0x0
	v_mul_hi_u32 v20, s17, v19
	s_delay_alu instid0(VALU_DEP_1) | instskip(NEXT) | instid1(VALU_DEP_1)
	v_add_nc_u32_e32 v20, v19, v20
	v_lshrrev_b32_e32 v20, s18, v20
	s_delay_alu instid0(VALU_DEP_1) | instskip(SKIP_1) | instid1(VALU_DEP_1)
	v_mul_hi_u32 v21, s14, v20
	v_mul_lo_u32 v22, v20, s16
	v_dual_add_nc_u32 v21, v20, v21 :: v_dual_sub_nc_u32 v22, v19, v22
	s_delay_alu instid0(VALU_DEP_1) | instskip(SKIP_1) | instid1(VALU_DEP_2)
	v_lshrrev_b32_e32 v19, s15, v21
	s_load_b64 s[14:15], s[0:1], 0xfc
	v_mad_u32 v15, v22, s7, v15
	v_mad_u32 v16, v22, s9, v16
	;; [unrolled: 1-line block ×3, first 2 shown]
	v_mul_lo_u32 v21, v19, s19
	s_wait_xcnt 0x0
	s_add_nc_u64 s[0:1], s[0:1], 32
	s_delay_alu instid0(VALU_DEP_1) | instskip(NEXT) | instid1(VALU_DEP_1)
	v_sub_nc_u32_e32 v20, v20, v21
	v_mad_u32 v15, v20, s10, v15
	s_wait_kmcnt 0x0
	v_mad_u32 v16, v20, s15, v16
	v_mad_u32 v17, v20, s14, v17
	s_cbranch_scc1 .LBB21_155
; %bb.156:
	s_bitcmp1_b32 s5, 0
	s_cselect_b32 s5, -1, 0
	s_delay_alu instid0(SALU_CYCLE_1)
	s_and_b32 vcc_lo, exec_lo, s5
	s_cbranch_vccnz .LBB21_159
; %bb.157:
	s_load_b96 s[8:10], s[2:3], 0x4
	s_load_b32 s5, s[0:1], 0xe4
	s_wait_xcnt 0x0
	s_load_b64 s[2:3], s[0:1], 0xec
	s_wait_kmcnt 0x0
	v_mul_hi_u32 v20, s9, v19
	s_delay_alu instid0(VALU_DEP_1) | instskip(NEXT) | instid1(VALU_DEP_1)
	v_add_nc_u32_e32 v20, v19, v20
	v_lshrrev_b32_e32 v20, s10, v20
	s_delay_alu instid0(VALU_DEP_1) | instskip(NEXT) | instid1(VALU_DEP_1)
	v_mul_lo_u32 v20, v20, s8
	v_sub_nc_u32_e32 v19, v19, v20
	s_delay_alu instid0(VALU_DEP_1)
	v_mad_u32 v15, v19, s5, v15
	v_mad_u32 v17, v19, s2, v17
	;; [unrolled: 1-line block ×3, first 2 shown]
	s_and_not1_b32 vcc_lo, exec_lo, s4
	s_cbranch_vccz .LBB21_160
	s_branch .LBB21_163
.LBB21_158:
	s_mov_b32 s4, -1
                                        ; implicit-def: $vgpr16
                                        ; implicit-def: $vgpr17
                                        ; implicit-def: $vgpr15
.LBB21_159:
	s_delay_alu instid0(SALU_CYCLE_1)
	s_and_not1_b32 vcc_lo, exec_lo, s4
	s_cbranch_vccnz .LBB21_163
.LBB21_160:
	s_clause 0x2
	s_load_b96 s[0:2], s[12:13], 0x4
	s_load_b32 s3, s[12:13], 0xc4
	s_load_b64 s[4:5], s[12:13], 0xcc
	s_cmp_lt_u32 s11, 2
	s_wait_kmcnt 0x0
	v_mul_hi_u32 v15, s1, v18
	s_delay_alu instid0(VALU_DEP_1) | instskip(NEXT) | instid1(VALU_DEP_1)
	v_add_nc_u32_e32 v15, v18, v15
	v_lshrrev_b32_e32 v19, s2, v15
	s_delay_alu instid0(VALU_DEP_1) | instskip(NEXT) | instid1(VALU_DEP_1)
	v_mul_lo_u32 v15, v19, s0
	v_sub_nc_u32_e32 v17, v18, v15
	s_delay_alu instid0(VALU_DEP_1)
	v_mul_lo_u32 v15, v17, s3
	v_mul_lo_u32 v16, v17, s5
	;; [unrolled: 1-line block ×3, first 2 shown]
	s_cbranch_scc1 .LBB21_163
; %bb.161:
	s_clause 0x2
	s_load_b96 s[0:2], s[12:13], 0x10
	s_load_b32 s3, s[12:13], 0xd4
	s_load_b64 s[4:5], s[12:13], 0xdc
	s_wait_kmcnt 0x0
	v_mul_hi_u32 v18, s1, v19
	s_delay_alu instid0(VALU_DEP_1) | instskip(NEXT) | instid1(VALU_DEP_1)
	v_add_nc_u32_e32 v18, v19, v18
	v_lshrrev_b32_e32 v18, s2, v18
	s_delay_alu instid0(VALU_DEP_1) | instskip(NEXT) | instid1(VALU_DEP_1)
	v_mul_lo_u32 v18, v18, s0
	v_sub_nc_u32_e32 v18, v19, v18
	s_delay_alu instid0(VALU_DEP_1)
	v_mad_u32 v15, v18, s3, v15
	v_mad_u32 v17, v18, s4, v17
	;; [unrolled: 1-line block ×3, first 2 shown]
	s_branch .LBB21_163
.LBB21_162:
	v_dual_mov_b32 v16, 0 :: v_dual_mov_b32 v17, 0
	v_mov_b32_e32 v15, 0
	s_and_not1_b32 vcc_lo, exec_lo, s4
	s_cbranch_vccz .LBB21_160
.LBB21_163:
	v_cmp_ne_u32_e32 vcc_lo, 1, v7
	v_add_nc_u32_e32 v21, 0x280, v0
	s_cbranch_vccnz .LBB21_169
; %bb.164:
	s_cmp_lg_u32 s11, 0
	s_mov_b32 s4, 0
	s_cbranch_scc0 .LBB21_173
; %bb.165:
	s_min_u32 s5, s28, 15
	v_dual_mov_b32 v18, 0 :: v_dual_mov_b32 v22, v21
	v_dual_mov_b32 v19, 0 :: v_dual_mov_b32 v20, 0
	s_add_co_i32 s2, s5, 1
	s_mov_b64 s[0:1], 0xffffffffffffffe0
	s_and_b32 s6, s2, 30
	s_add_nc_u64 s[0:1], s[12:13], s[0:1]
	s_mov_b64 s[2:3], s[12:13]
.LBB21_166:                             ; =>This Inner Loop Header: Depth=1
	s_clause 0x1
	s_load_b128 s[16:19], s[2:3], 0x4
	s_load_b64 s[14:15], s[2:3], 0x14
	s_clause 0x1
	s_load_b32 s7, s[0:1], 0xe4
	s_load_b96 s[8:10], s[0:1], 0xec
	s_add_co_i32 s6, s6, -2
	s_wait_xcnt 0x0
	s_add_nc_u64 s[2:3], s[2:3], 24
	s_cmp_lg_u32 s6, 0
	s_wait_kmcnt 0x0
	v_mul_hi_u32 v23, s17, v22
	s_delay_alu instid0(VALU_DEP_1) | instskip(NEXT) | instid1(VALU_DEP_1)
	v_add_nc_u32_e32 v23, v22, v23
	v_lshrrev_b32_e32 v23, s18, v23
	s_delay_alu instid0(VALU_DEP_1) | instskip(SKIP_1) | instid1(VALU_DEP_1)
	v_mul_hi_u32 v24, s14, v23
	v_mul_lo_u32 v25, v23, s16
	v_dual_add_nc_u32 v24, v23, v24 :: v_dual_sub_nc_u32 v25, v22, v25
	s_delay_alu instid0(VALU_DEP_1) | instskip(SKIP_1) | instid1(VALU_DEP_2)
	v_lshrrev_b32_e32 v22, s15, v24
	s_load_b64 s[14:15], s[0:1], 0xfc
	v_mad_u32 v18, v25, s7, v18
	v_mad_u32 v20, v25, s9, v20
	;; [unrolled: 1-line block ×3, first 2 shown]
	v_mul_lo_u32 v24, v22, s19
	s_wait_xcnt 0x0
	s_add_nc_u64 s[0:1], s[0:1], 32
	s_delay_alu instid0(VALU_DEP_1) | instskip(NEXT) | instid1(VALU_DEP_1)
	v_sub_nc_u32_e32 v23, v23, v24
	v_mad_u32 v18, v23, s10, v18
	s_wait_kmcnt 0x0
	v_mad_u32 v20, v23, s15, v20
	v_mad_u32 v19, v23, s14, v19
	s_cbranch_scc1 .LBB21_166
; %bb.167:
	s_bitcmp1_b32 s5, 0
	s_cselect_b32 s5, -1, 0
	s_delay_alu instid0(SALU_CYCLE_1)
	s_and_b32 vcc_lo, exec_lo, s5
	s_cbranch_vccnz .LBB21_170
; %bb.168:
	s_load_b96 s[8:10], s[2:3], 0x4
	s_load_b32 s5, s[0:1], 0xe4
	s_wait_xcnt 0x0
	s_load_b64 s[2:3], s[0:1], 0xec
	s_wait_kmcnt 0x0
	v_mul_hi_u32 v23, s9, v22
	s_delay_alu instid0(VALU_DEP_1) | instskip(NEXT) | instid1(VALU_DEP_1)
	v_add_nc_u32_e32 v23, v22, v23
	v_lshrrev_b32_e32 v23, s10, v23
	s_delay_alu instid0(VALU_DEP_1) | instskip(NEXT) | instid1(VALU_DEP_1)
	v_mul_lo_u32 v23, v23, s8
	v_sub_nc_u32_e32 v22, v22, v23
	s_delay_alu instid0(VALU_DEP_1)
	v_mad_u32 v18, v22, s5, v18
	v_mad_u32 v19, v22, s2, v19
	;; [unrolled: 1-line block ×3, first 2 shown]
	s_and_not1_b32 vcc_lo, exec_lo, s4
	s_cbranch_vccz .LBB21_171
	s_branch .LBB21_174
.LBB21_169:
	s_mov_b32 s4, -1
                                        ; implicit-def: $vgpr20
                                        ; implicit-def: $vgpr19
                                        ; implicit-def: $vgpr18
.LBB21_170:
	s_delay_alu instid0(SALU_CYCLE_1)
	s_and_not1_b32 vcc_lo, exec_lo, s4
	s_cbranch_vccnz .LBB21_174
.LBB21_171:
	s_clause 0x2
	s_load_b96 s[0:2], s[12:13], 0x4
	s_load_b32 s3, s[12:13], 0xc4
	s_load_b64 s[4:5], s[12:13], 0xcc
	s_cmp_lt_u32 s11, 2
	s_wait_kmcnt 0x0
	v_mul_hi_u32 v18, s1, v21
	s_delay_alu instid0(VALU_DEP_1) | instskip(NEXT) | instid1(VALU_DEP_1)
	v_add_nc_u32_e32 v18, v21, v18
	v_lshrrev_b32_e32 v22, s2, v18
	s_delay_alu instid0(VALU_DEP_1) | instskip(NEXT) | instid1(VALU_DEP_1)
	v_mul_lo_u32 v18, v22, s0
	v_sub_nc_u32_e32 v19, v21, v18
	s_delay_alu instid0(VALU_DEP_1)
	v_mul_lo_u32 v18, v19, s3
	v_mul_lo_u32 v20, v19, s5
	;; [unrolled: 1-line block ×3, first 2 shown]
	s_cbranch_scc1 .LBB21_174
; %bb.172:
	s_clause 0x2
	s_load_b96 s[0:2], s[12:13], 0x10
	s_load_b32 s3, s[12:13], 0xd4
	s_load_b64 s[4:5], s[12:13], 0xdc
	s_wait_kmcnt 0x0
	v_mul_hi_u32 v21, s1, v22
	s_delay_alu instid0(VALU_DEP_1) | instskip(NEXT) | instid1(VALU_DEP_1)
	v_add_nc_u32_e32 v21, v22, v21
	v_lshrrev_b32_e32 v21, s2, v21
	s_delay_alu instid0(VALU_DEP_1) | instskip(NEXT) | instid1(VALU_DEP_1)
	v_mul_lo_u32 v21, v21, s0
	v_sub_nc_u32_e32 v21, v22, v21
	s_delay_alu instid0(VALU_DEP_1)
	v_mad_u32 v18, v21, s3, v18
	v_mad_u32 v19, v21, s4, v19
	;; [unrolled: 1-line block ×3, first 2 shown]
	s_branch .LBB21_174
.LBB21_173:
	v_dual_mov_b32 v20, 0 :: v_dual_mov_b32 v19, 0
	v_mov_b32_e32 v18, 0
	s_and_not1_b32 vcc_lo, exec_lo, s4
	s_cbranch_vccz .LBB21_171
.LBB21_174:
	v_cmp_ne_u32_e32 vcc_lo, 1, v7
	v_add_nc_u32_e32 v23, 0x300, v0
	s_cbranch_vccnz .LBB21_180
; %bb.175:
	s_cmp_lg_u32 s11, 0
	s_mov_b32 s4, 0
	s_cbranch_scc0 .LBB21_184
; %bb.176:
	s_min_u32 s5, s28, 15
	v_dual_mov_b32 v0, 0 :: v_dual_mov_b32 v24, v23
	v_dual_mov_b32 v22, 0 :: v_dual_mov_b32 v21, 0
	s_add_co_i32 s2, s5, 1
	s_mov_b64 s[0:1], 0xffffffffffffffe0
	s_and_b32 s6, s2, 30
	s_add_nc_u64 s[0:1], s[12:13], s[0:1]
	s_mov_b64 s[2:3], s[12:13]
.LBB21_177:                             ; =>This Inner Loop Header: Depth=1
	s_clause 0x1
	s_load_b128 s[16:19], s[2:3], 0x4
	s_load_b64 s[14:15], s[2:3], 0x14
	s_clause 0x1
	s_load_b32 s7, s[0:1], 0xe4
	s_load_b96 s[8:10], s[0:1], 0xec
	s_add_co_i32 s6, s6, -2
	s_wait_xcnt 0x0
	s_add_nc_u64 s[2:3], s[2:3], 24
	s_cmp_lg_u32 s6, 0
	s_wait_kmcnt 0x0
	v_mul_hi_u32 v25, s17, v24
	s_delay_alu instid0(VALU_DEP_1) | instskip(NEXT) | instid1(VALU_DEP_1)
	v_add_nc_u32_e32 v25, v24, v25
	v_lshrrev_b32_e32 v25, s18, v25
	s_delay_alu instid0(VALU_DEP_1) | instskip(SKIP_1) | instid1(VALU_DEP_1)
	v_mul_hi_u32 v26, s14, v25
	v_mul_lo_u32 v27, v25, s16
	v_dual_add_nc_u32 v26, v25, v26 :: v_dual_sub_nc_u32 v27, v24, v27
	s_delay_alu instid0(VALU_DEP_1) | instskip(SKIP_1) | instid1(VALU_DEP_2)
	v_lshrrev_b32_e32 v24, s15, v26
	s_load_b64 s[14:15], s[0:1], 0xfc
	v_mad_u32 v0, v27, s7, v0
	v_mad_u32 v21, v27, s9, v21
	;; [unrolled: 1-line block ×3, first 2 shown]
	v_mul_lo_u32 v26, v24, s19
	s_wait_xcnt 0x0
	s_add_nc_u64 s[0:1], s[0:1], 32
	s_delay_alu instid0(VALU_DEP_1) | instskip(NEXT) | instid1(VALU_DEP_1)
	v_sub_nc_u32_e32 v25, v25, v26
	v_mad_u32 v0, v25, s10, v0
	s_wait_kmcnt 0x0
	v_mad_u32 v21, v25, s15, v21
	v_mad_u32 v22, v25, s14, v22
	s_cbranch_scc1 .LBB21_177
; %bb.178:
	s_bitcmp1_b32 s5, 0
	s_cselect_b32 s5, -1, 0
	s_delay_alu instid0(SALU_CYCLE_1)
	s_and_b32 vcc_lo, exec_lo, s5
	s_cbranch_vccnz .LBB21_181
; %bb.179:
	s_load_b96 s[8:10], s[2:3], 0x4
	s_load_b32 s5, s[0:1], 0xe4
	s_wait_xcnt 0x0
	s_load_b64 s[2:3], s[0:1], 0xec
	s_wait_kmcnt 0x0
	v_mul_hi_u32 v25, s9, v24
	s_delay_alu instid0(VALU_DEP_1) | instskip(NEXT) | instid1(VALU_DEP_1)
	v_add_nc_u32_e32 v25, v24, v25
	v_lshrrev_b32_e32 v25, s10, v25
	s_delay_alu instid0(VALU_DEP_1) | instskip(NEXT) | instid1(VALU_DEP_1)
	v_mul_lo_u32 v25, v25, s8
	v_sub_nc_u32_e32 v24, v24, v25
	s_delay_alu instid0(VALU_DEP_1)
	v_mad_u32 v0, v24, s5, v0
	v_mad_u32 v22, v24, s2, v22
	;; [unrolled: 1-line block ×3, first 2 shown]
	s_and_not1_b32 vcc_lo, exec_lo, s4
	s_cbranch_vccz .LBB21_182
	s_branch .LBB21_185
.LBB21_180:
	s_mov_b32 s4, -1
                                        ; implicit-def: $vgpr21
                                        ; implicit-def: $vgpr22
                                        ; implicit-def: $vgpr0
.LBB21_181:
	s_delay_alu instid0(SALU_CYCLE_1)
	s_and_not1_b32 vcc_lo, exec_lo, s4
	s_cbranch_vccnz .LBB21_185
.LBB21_182:
	s_clause 0x2
	s_load_b96 s[0:2], s[12:13], 0x4
	s_load_b32 s3, s[12:13], 0xc4
	s_load_b64 s[4:5], s[12:13], 0xcc
	s_cmp_lt_u32 s11, 2
	s_wait_kmcnt 0x0
	v_mul_hi_u32 v0, s1, v23
	s_delay_alu instid0(VALU_DEP_1) | instskip(NEXT) | instid1(VALU_DEP_1)
	v_add_nc_u32_e32 v0, v23, v0
	v_lshrrev_b32_e32 v24, s2, v0
	s_delay_alu instid0(VALU_DEP_1) | instskip(NEXT) | instid1(VALU_DEP_1)
	v_mul_lo_u32 v0, v24, s0
	v_sub_nc_u32_e32 v22, v23, v0
	s_delay_alu instid0(VALU_DEP_1)
	v_mul_lo_u32 v0, v22, s3
	v_mul_lo_u32 v21, v22, s5
	;; [unrolled: 1-line block ×3, first 2 shown]
	s_cbranch_scc1 .LBB21_185
; %bb.183:
	s_clause 0x2
	s_load_b96 s[0:2], s[12:13], 0x10
	s_load_b32 s3, s[12:13], 0xd4
	s_load_b64 s[4:5], s[12:13], 0xdc
	s_wait_kmcnt 0x0
	v_mul_hi_u32 v23, s1, v24
	s_delay_alu instid0(VALU_DEP_1) | instskip(NEXT) | instid1(VALU_DEP_1)
	v_add_nc_u32_e32 v23, v24, v23
	v_lshrrev_b32_e32 v23, s2, v23
	s_delay_alu instid0(VALU_DEP_1) | instskip(NEXT) | instid1(VALU_DEP_1)
	v_mul_lo_u32 v23, v23, s0
	v_sub_nc_u32_e32 v23, v24, v23
	s_delay_alu instid0(VALU_DEP_1)
	v_mad_u32 v0, v23, s3, v0
	v_mad_u32 v22, v23, s4, v22
	;; [unrolled: 1-line block ×3, first 2 shown]
	s_branch .LBB21_185
.LBB21_184:
	v_dual_mov_b32 v21, 0 :: v_dual_mov_b32 v22, 0
	v_mov_b32_e32 v0, 0
	s_and_not1_b32 vcc_lo, exec_lo, s4
	s_cbranch_vccz .LBB21_182
.LBB21_185:
	v_cmp_ne_u32_e32 vcc_lo, 1, v7
	s_cbranch_vccnz .LBB21_191
; %bb.186:
	s_cmp_lg_u32 s11, 0
	s_mov_b32 s4, 0
	s_cbranch_scc0 .LBB21_195
; %bb.187:
	s_min_u32 s5, s28, 15
	v_dual_mov_b32 v7, 0 :: v_dual_mov_b32 v25, v4
	v_dual_mov_b32 v24, 0 :: v_dual_mov_b32 v23, 0
	s_add_co_i32 s2, s5, 1
	s_mov_b64 s[0:1], 0xffffffffffffffe0
	s_and_b32 s6, s2, 30
	s_add_nc_u64 s[0:1], s[12:13], s[0:1]
	s_mov_b64 s[2:3], s[12:13]
.LBB21_188:                             ; =>This Inner Loop Header: Depth=1
	s_clause 0x1
	s_load_b128 s[16:19], s[2:3], 0x4
	s_load_b64 s[14:15], s[2:3], 0x14
	s_clause 0x1
	s_load_b32 s7, s[0:1], 0xe4
	s_load_b96 s[8:10], s[0:1], 0xec
	s_add_co_i32 s6, s6, -2
	s_wait_xcnt 0x0
	s_add_nc_u64 s[2:3], s[2:3], 24
	s_cmp_lg_u32 s6, 0
	s_wait_kmcnt 0x0
	v_mul_hi_u32 v26, s17, v25
	s_delay_alu instid0(VALU_DEP_1) | instskip(NEXT) | instid1(VALU_DEP_1)
	v_add_nc_u32_e32 v26, v25, v26
	v_lshrrev_b32_e32 v26, s18, v26
	s_delay_alu instid0(VALU_DEP_1) | instskip(SKIP_1) | instid1(VALU_DEP_1)
	v_mul_hi_u32 v27, s14, v26
	v_mul_lo_u32 v28, v26, s16
	v_dual_add_nc_u32 v27, v26, v27 :: v_dual_sub_nc_u32 v28, v25, v28
	s_delay_alu instid0(VALU_DEP_1) | instskip(SKIP_1) | instid1(VALU_DEP_2)
	v_lshrrev_b32_e32 v25, s15, v27
	s_load_b64 s[14:15], s[0:1], 0xfc
	v_mad_u32 v7, v28, s7, v7
	v_mad_u32 v23, v28, s9, v23
	;; [unrolled: 1-line block ×3, first 2 shown]
	v_mul_lo_u32 v27, v25, s19
	s_wait_xcnt 0x0
	s_add_nc_u64 s[0:1], s[0:1], 32
	s_delay_alu instid0(VALU_DEP_1) | instskip(NEXT) | instid1(VALU_DEP_1)
	v_sub_nc_u32_e32 v26, v26, v27
	v_mad_u32 v7, v26, s10, v7
	s_wait_kmcnt 0x0
	v_mad_u32 v23, v26, s15, v23
	v_mad_u32 v24, v26, s14, v24
	s_cbranch_scc1 .LBB21_188
; %bb.189:
	s_bitcmp1_b32 s5, 0
	s_cselect_b32 s5, -1, 0
	s_delay_alu instid0(SALU_CYCLE_1)
	s_and_b32 vcc_lo, exec_lo, s5
	s_cbranch_vccnz .LBB21_192
; %bb.190:
	s_load_b96 s[8:10], s[2:3], 0x4
	s_load_b32 s5, s[0:1], 0xe4
	s_wait_xcnt 0x0
	s_load_b64 s[2:3], s[0:1], 0xec
	s_wait_kmcnt 0x0
	v_mul_hi_u32 v26, s9, v25
	s_delay_alu instid0(VALU_DEP_1) | instskip(NEXT) | instid1(VALU_DEP_1)
	v_add_nc_u32_e32 v26, v25, v26
	v_lshrrev_b32_e32 v26, s10, v26
	s_delay_alu instid0(VALU_DEP_1) | instskip(NEXT) | instid1(VALU_DEP_1)
	v_mul_lo_u32 v26, v26, s8
	v_sub_nc_u32_e32 v25, v25, v26
	s_delay_alu instid0(VALU_DEP_1)
	v_mad_u32 v7, v25, s5, v7
	v_mad_u32 v24, v25, s2, v24
	;; [unrolled: 1-line block ×3, first 2 shown]
	s_and_not1_b32 vcc_lo, exec_lo, s4
	s_cbranch_vccz .LBB21_193
	s_branch .LBB21_196
.LBB21_191:
	s_mov_b32 s4, -1
                                        ; implicit-def: $vgpr23
                                        ; implicit-def: $vgpr24
                                        ; implicit-def: $vgpr7
.LBB21_192:
	s_delay_alu instid0(SALU_CYCLE_1)
	s_and_not1_b32 vcc_lo, exec_lo, s4
	s_cbranch_vccnz .LBB21_196
.LBB21_193:
	s_clause 0x2
	s_load_b96 s[0:2], s[12:13], 0x4
	s_load_b32 s3, s[12:13], 0xc4
	s_load_b64 s[4:5], s[12:13], 0xcc
	s_cmp_lt_u32 s11, 2
	s_wait_kmcnt 0x0
	v_mul_hi_u32 v7, s1, v4
	s_delay_alu instid0(VALU_DEP_1) | instskip(NEXT) | instid1(VALU_DEP_1)
	v_add_nc_u32_e32 v7, v4, v7
	v_lshrrev_b32_e32 v25, s2, v7
	s_delay_alu instid0(VALU_DEP_1) | instskip(NEXT) | instid1(VALU_DEP_1)
	v_mul_lo_u32 v7, v25, s0
	v_sub_nc_u32_e32 v4, v4, v7
	s_delay_alu instid0(VALU_DEP_1)
	v_mul_lo_u32 v7, v4, s3
	v_mul_lo_u32 v23, v4, s5
	;; [unrolled: 1-line block ×3, first 2 shown]
	s_cbranch_scc1 .LBB21_196
; %bb.194:
	s_clause 0x2
	s_load_b96 s[0:2], s[12:13], 0x10
	s_load_b32 s3, s[12:13], 0xd4
	s_load_b64 s[4:5], s[12:13], 0xdc
	s_wait_kmcnt 0x0
	v_mul_hi_u32 v4, s1, v25
	s_delay_alu instid0(VALU_DEP_1) | instskip(NEXT) | instid1(VALU_DEP_1)
	v_add_nc_u32_e32 v4, v25, v4
	v_lshrrev_b32_e32 v4, s2, v4
	s_delay_alu instid0(VALU_DEP_1) | instskip(NEXT) | instid1(VALU_DEP_1)
	v_mul_lo_u32 v4, v4, s0
	v_sub_nc_u32_e32 v4, v25, v4
	s_delay_alu instid0(VALU_DEP_1)
	v_mad_u32 v7, v4, s3, v7
	v_mad_u32 v24, v4, s4, v24
	;; [unrolled: 1-line block ×3, first 2 shown]
	s_branch .LBB21_196
.LBB21_195:
	v_dual_mov_b32 v23, 0 :: v_dual_mov_b32 v24, 0
	v_mov_b32_e32 v7, 0
	s_and_not1_b32 vcc_lo, exec_lo, s4
	s_cbranch_vccz .LBB21_193
.LBB21_196:
	s_load_b128 s[0:3], s[12:13], 0x1d8
	s_wait_kmcnt 0x0
	s_clause 0x7
	global_load_u8 v4, v3, s[0:1]
	global_load_u8 v25, v8, s[0:1]
	;; [unrolled: 1-line block ×8, first 2 shown]
	s_clause 0x7
	global_load_u8 v32, v2, s[2:3]
	global_load_u8 v33, v6, s[2:3]
	;; [unrolled: 1-line block ×7, first 2 shown]
	; meta instruction
	; meta instruction
	;; [unrolled: 1-line block ×16, first 2 shown]
	global_load_u8 v2, v23, s[2:3]
	s_wait_xcnt 0x0
	s_clause 0x1
	s_load_b32 s2, s[12:13], 0x1e8
	s_load_b64 s[0:1], s[12:13], 0x1c8
	s_wait_loadcnt 0xf
	s_wait_kmcnt 0x0
	v_mul_lo_u16 v3, v4, s2
	s_wait_loadcnt 0xe
	v_mul_lo_u16 v4, v25, s2
	s_wait_loadcnt 0xd
	;; [unrolled: 2-line block ×15, first 2 shown]
	v_mul_lo_u16 v2, v14, v2
	s_clause 0x7
	global_store_b8 v1, v3, s[0:1]
	global_store_b8 v5, v4, s[0:1]
	;; [unrolled: 1-line block ×8, first 2 shown]
	s_endpgm
	.section	.rodata,"a",@progbits
	.p2align	6, 0x0
	.amdhsa_kernel _ZN2at6native32elementwise_kernel_manual_unrollILi128ELi8EZNS0_22gpu_kernel_impl_nocastIZZZNS0_12_GLOBAL__N_116addr_kernel_cudaERNS_14TensorIteratorERKN3c106ScalarES9_ENKUlvE_clEvENKUlvE_clEvEUlhhhE_EEvRNS_18TensorIteratorBaseERKT_EUlibE_EEviT1_
		.amdhsa_group_segment_fixed_size 0
		.amdhsa_private_segment_fixed_size 0
		.amdhsa_kernarg_size 504
		.amdhsa_user_sgpr_count 2
		.amdhsa_user_sgpr_dispatch_ptr 0
		.amdhsa_user_sgpr_queue_ptr 0
		.amdhsa_user_sgpr_kernarg_segment_ptr 1
		.amdhsa_user_sgpr_dispatch_id 0
		.amdhsa_user_sgpr_kernarg_preload_length 0
		.amdhsa_user_sgpr_kernarg_preload_offset 0
		.amdhsa_user_sgpr_private_segment_size 0
		.amdhsa_wavefront_size32 1
		.amdhsa_uses_dynamic_stack 0
		.amdhsa_enable_private_segment 0
		.amdhsa_system_sgpr_workgroup_id_x 1
		.amdhsa_system_sgpr_workgroup_id_y 0
		.amdhsa_system_sgpr_workgroup_id_z 0
		.amdhsa_system_sgpr_workgroup_info 0
		.amdhsa_system_vgpr_workitem_id 0
		.amdhsa_next_free_vgpr 39
		.amdhsa_next_free_sgpr 45
		.amdhsa_named_barrier_count 0
		.amdhsa_reserve_vcc 1
		.amdhsa_float_round_mode_32 0
		.amdhsa_float_round_mode_16_64 0
		.amdhsa_float_denorm_mode_32 3
		.amdhsa_float_denorm_mode_16_64 3
		.amdhsa_fp16_overflow 0
		.amdhsa_memory_ordered 1
		.amdhsa_forward_progress 1
		.amdhsa_inst_pref_size 88
		.amdhsa_round_robin_scheduling 0
		.amdhsa_exception_fp_ieee_invalid_op 0
		.amdhsa_exception_fp_denorm_src 0
		.amdhsa_exception_fp_ieee_div_zero 0
		.amdhsa_exception_fp_ieee_overflow 0
		.amdhsa_exception_fp_ieee_underflow 0
		.amdhsa_exception_fp_ieee_inexact 0
		.amdhsa_exception_int_div_zero 0
	.end_amdhsa_kernel
	.section	.text._ZN2at6native32elementwise_kernel_manual_unrollILi128ELi8EZNS0_22gpu_kernel_impl_nocastIZZZNS0_12_GLOBAL__N_116addr_kernel_cudaERNS_14TensorIteratorERKN3c106ScalarES9_ENKUlvE_clEvENKUlvE_clEvEUlhhhE_EEvRNS_18TensorIteratorBaseERKT_EUlibE_EEviT1_,"axG",@progbits,_ZN2at6native32elementwise_kernel_manual_unrollILi128ELi8EZNS0_22gpu_kernel_impl_nocastIZZZNS0_12_GLOBAL__N_116addr_kernel_cudaERNS_14TensorIteratorERKN3c106ScalarES9_ENKUlvE_clEvENKUlvE_clEvEUlhhhE_EEvRNS_18TensorIteratorBaseERKT_EUlibE_EEviT1_,comdat
.Lfunc_end21:
	.size	_ZN2at6native32elementwise_kernel_manual_unrollILi128ELi8EZNS0_22gpu_kernel_impl_nocastIZZZNS0_12_GLOBAL__N_116addr_kernel_cudaERNS_14TensorIteratorERKN3c106ScalarES9_ENKUlvE_clEvENKUlvE_clEvEUlhhhE_EEvRNS_18TensorIteratorBaseERKT_EUlibE_EEviT1_, .Lfunc_end21-_ZN2at6native32elementwise_kernel_manual_unrollILi128ELi8EZNS0_22gpu_kernel_impl_nocastIZZZNS0_12_GLOBAL__N_116addr_kernel_cudaERNS_14TensorIteratorERKN3c106ScalarES9_ENKUlvE_clEvENKUlvE_clEvEUlhhhE_EEvRNS_18TensorIteratorBaseERKT_EUlibE_EEviT1_
                                        ; -- End function
	.set _ZN2at6native32elementwise_kernel_manual_unrollILi128ELi8EZNS0_22gpu_kernel_impl_nocastIZZZNS0_12_GLOBAL__N_116addr_kernel_cudaERNS_14TensorIteratorERKN3c106ScalarES9_ENKUlvE_clEvENKUlvE_clEvEUlhhhE_EEvRNS_18TensorIteratorBaseERKT_EUlibE_EEviT1_.num_vgpr, 39
	.set _ZN2at6native32elementwise_kernel_manual_unrollILi128ELi8EZNS0_22gpu_kernel_impl_nocastIZZZNS0_12_GLOBAL__N_116addr_kernel_cudaERNS_14TensorIteratorERKN3c106ScalarES9_ENKUlvE_clEvENKUlvE_clEvEUlhhhE_EEvRNS_18TensorIteratorBaseERKT_EUlibE_EEviT1_.num_agpr, 0
	.set _ZN2at6native32elementwise_kernel_manual_unrollILi128ELi8EZNS0_22gpu_kernel_impl_nocastIZZZNS0_12_GLOBAL__N_116addr_kernel_cudaERNS_14TensorIteratorERKN3c106ScalarES9_ENKUlvE_clEvENKUlvE_clEvEUlhhhE_EEvRNS_18TensorIteratorBaseERKT_EUlibE_EEviT1_.numbered_sgpr, 45
	.set _ZN2at6native32elementwise_kernel_manual_unrollILi128ELi8EZNS0_22gpu_kernel_impl_nocastIZZZNS0_12_GLOBAL__N_116addr_kernel_cudaERNS_14TensorIteratorERKN3c106ScalarES9_ENKUlvE_clEvENKUlvE_clEvEUlhhhE_EEvRNS_18TensorIteratorBaseERKT_EUlibE_EEviT1_.num_named_barrier, 0
	.set _ZN2at6native32elementwise_kernel_manual_unrollILi128ELi8EZNS0_22gpu_kernel_impl_nocastIZZZNS0_12_GLOBAL__N_116addr_kernel_cudaERNS_14TensorIteratorERKN3c106ScalarES9_ENKUlvE_clEvENKUlvE_clEvEUlhhhE_EEvRNS_18TensorIteratorBaseERKT_EUlibE_EEviT1_.private_seg_size, 0
	.set _ZN2at6native32elementwise_kernel_manual_unrollILi128ELi8EZNS0_22gpu_kernel_impl_nocastIZZZNS0_12_GLOBAL__N_116addr_kernel_cudaERNS_14TensorIteratorERKN3c106ScalarES9_ENKUlvE_clEvENKUlvE_clEvEUlhhhE_EEvRNS_18TensorIteratorBaseERKT_EUlibE_EEviT1_.uses_vcc, 1
	.set _ZN2at6native32elementwise_kernel_manual_unrollILi128ELi8EZNS0_22gpu_kernel_impl_nocastIZZZNS0_12_GLOBAL__N_116addr_kernel_cudaERNS_14TensorIteratorERKN3c106ScalarES9_ENKUlvE_clEvENKUlvE_clEvEUlhhhE_EEvRNS_18TensorIteratorBaseERKT_EUlibE_EEviT1_.uses_flat_scratch, 0
	.set _ZN2at6native32elementwise_kernel_manual_unrollILi128ELi8EZNS0_22gpu_kernel_impl_nocastIZZZNS0_12_GLOBAL__N_116addr_kernel_cudaERNS_14TensorIteratorERKN3c106ScalarES9_ENKUlvE_clEvENKUlvE_clEvEUlhhhE_EEvRNS_18TensorIteratorBaseERKT_EUlibE_EEviT1_.has_dyn_sized_stack, 0
	.set _ZN2at6native32elementwise_kernel_manual_unrollILi128ELi8EZNS0_22gpu_kernel_impl_nocastIZZZNS0_12_GLOBAL__N_116addr_kernel_cudaERNS_14TensorIteratorERKN3c106ScalarES9_ENKUlvE_clEvENKUlvE_clEvEUlhhhE_EEvRNS_18TensorIteratorBaseERKT_EUlibE_EEviT1_.has_recursion, 0
	.set _ZN2at6native32elementwise_kernel_manual_unrollILi128ELi8EZNS0_22gpu_kernel_impl_nocastIZZZNS0_12_GLOBAL__N_116addr_kernel_cudaERNS_14TensorIteratorERKN3c106ScalarES9_ENKUlvE_clEvENKUlvE_clEvEUlhhhE_EEvRNS_18TensorIteratorBaseERKT_EUlibE_EEviT1_.has_indirect_call, 0
	.section	.AMDGPU.csdata,"",@progbits
; Kernel info:
; codeLenInByte = 11244
; TotalNumSgprs: 47
; NumVgprs: 39
; ScratchSize: 0
; MemoryBound: 0
; FloatMode: 240
; IeeeMode: 1
; LDSByteSize: 0 bytes/workgroup (compile time only)
; SGPRBlocks: 0
; VGPRBlocks: 2
; NumSGPRsForWavesPerEU: 47
; NumVGPRsForWavesPerEU: 39
; NamedBarCnt: 0
; Occupancy: 16
; WaveLimiterHint : 1
; COMPUTE_PGM_RSRC2:SCRATCH_EN: 0
; COMPUTE_PGM_RSRC2:USER_SGPR: 2
; COMPUTE_PGM_RSRC2:TRAP_HANDLER: 0
; COMPUTE_PGM_RSRC2:TGID_X_EN: 1
; COMPUTE_PGM_RSRC2:TGID_Y_EN: 0
; COMPUTE_PGM_RSRC2:TGID_Z_EN: 0
; COMPUTE_PGM_RSRC2:TIDIG_COMP_CNT: 0
	.section	.text._ZN2at6native32elementwise_kernel_manual_unrollILi128ELi4EZNS0_15gpu_kernel_implIZZZNS0_12_GLOBAL__N_116addr_kernel_cudaERNS_14TensorIteratorERKN3c106ScalarES9_ENKUlvE_clEvENKUlvE_clEvEUlhhhE_EEvRNS_18TensorIteratorBaseERKT_EUlibE_EEviT1_,"axG",@progbits,_ZN2at6native32elementwise_kernel_manual_unrollILi128ELi4EZNS0_15gpu_kernel_implIZZZNS0_12_GLOBAL__N_116addr_kernel_cudaERNS_14TensorIteratorERKN3c106ScalarES9_ENKUlvE_clEvENKUlvE_clEvEUlhhhE_EEvRNS_18TensorIteratorBaseERKT_EUlibE_EEviT1_,comdat
	.globl	_ZN2at6native32elementwise_kernel_manual_unrollILi128ELi4EZNS0_15gpu_kernel_implIZZZNS0_12_GLOBAL__N_116addr_kernel_cudaERNS_14TensorIteratorERKN3c106ScalarES9_ENKUlvE_clEvENKUlvE_clEvEUlhhhE_EEvRNS_18TensorIteratorBaseERKT_EUlibE_EEviT1_ ; -- Begin function _ZN2at6native32elementwise_kernel_manual_unrollILi128ELi4EZNS0_15gpu_kernel_implIZZZNS0_12_GLOBAL__N_116addr_kernel_cudaERNS_14TensorIteratorERKN3c106ScalarES9_ENKUlvE_clEvENKUlvE_clEvEUlhhhE_EEvRNS_18TensorIteratorBaseERKT_EUlibE_EEviT1_
	.p2align	8
	.type	_ZN2at6native32elementwise_kernel_manual_unrollILi128ELi4EZNS0_15gpu_kernel_implIZZZNS0_12_GLOBAL__N_116addr_kernel_cudaERNS_14TensorIteratorERKN3c106ScalarES9_ENKUlvE_clEvENKUlvE_clEvEUlhhhE_EEvRNS_18TensorIteratorBaseERKT_EUlibE_EEviT1_,@function
_ZN2at6native32elementwise_kernel_manual_unrollILi128ELi4EZNS0_15gpu_kernel_implIZZZNS0_12_GLOBAL__N_116addr_kernel_cudaERNS_14TensorIteratorERKN3c106ScalarES9_ENKUlvE_clEvENKUlvE_clEvEUlhhhE_EEvRNS_18TensorIteratorBaseERKT_EUlibE_EEviT1_: ; @_ZN2at6native32elementwise_kernel_manual_unrollILi128ELi4EZNS0_15gpu_kernel_implIZZZNS0_12_GLOBAL__N_116addr_kernel_cudaERNS_14TensorIteratorERKN3c106ScalarES9_ENKUlvE_clEvENKUlvE_clEvEUlhhhE_EEvRNS_18TensorIteratorBaseERKT_EUlibE_EEviT1_
; %bb.0:
	s_load_b128 s[4:7], s[0:1], 0x30
	s_bfe_u32 s8, ttmp6, 0x4000c
	s_clause 0x1
	s_load_b32 s18, s[0:1], 0x0
	s_load_b64 s[2:3], s[0:1], 0x8
	s_add_co_i32 s12, s8, 1
	s_clause 0x1
	s_load_b128 s[8:11], s[0:1], 0x18
	s_load_b32 s14, s[0:1], 0x28
	s_and_b32 s16, ttmp6, 15
	s_wait_xcnt 0x0
	s_mul_i32 s0, ttmp9, s12
	s_getreg_b32 s17, hwreg(HW_REG_IB_STS2, 6, 4)
	s_add_co_i32 s16, s16, s0
	s_wait_kmcnt 0x0
	s_lshr_b32 s1, s6, 8
	s_lshr_b32 s15, s6, 16
	s_lshr_b64 s[12:13], s[6:7], 24
	s_cmp_eq_u32 s17, 0
	s_mov_b32 s13, 0
	s_cselect_b32 s0, ttmp9, s16
	s_mov_b32 s17, 0
	v_lshl_or_b32 v18, s0, 9, v0
	s_mov_b32 s0, exec_lo
	s_delay_alu instid0(VALU_DEP_1) | instskip(NEXT) | instid1(VALU_DEP_1)
	v_or_b32_e32 v0, 0x180, v18
	v_cmpx_le_i32_e64 s18, v0
	s_xor_b32 s16, exec_lo, s0
	s_cbranch_execz .LBB22_1592
; %bb.1:
	s_mov_b32 s0, -1
	s_mov_b32 s23, 0
	s_mov_b32 s21, 0
	;; [unrolled: 1-line block ×4, first 2 shown]
	s_mov_b32 s22, exec_lo
	v_cmpx_gt_i32_e64 s18, v18
	s_cbranch_execz .LBB22_394
; %bb.2:
	s_and_b32 s17, s15, 0xff
	s_delay_alu instid0(SALU_CYCLE_1)
	s_cmp_lt_i32 s17, 23
	s_cbranch_scc1 .LBB22_6
; %bb.3:
	s_and_b32 s19, 0xffff, s17
	s_delay_alu instid0(SALU_CYCLE_1)
	s_cmp_gt_i32 s19, 43
	s_cbranch_scc0 .LBB22_7
; %bb.4:
	s_cmp_gt_i32 s19, 45
	s_cbranch_scc0 .LBB22_8
; %bb.5:
	s_cmp_eq_u32 s19, 46
	s_mov_b32 s21, -1
	s_cselect_b32 s0, -1, 0
	s_branch .LBB22_9
.LBB22_6:
	s_mov_b32 s0, 0
	s_cbranch_execnz .LBB22_14
	s_branch .LBB22_18
.LBB22_7:
	s_mov_b32 s0, 0
	s_cbranch_execnz .LBB22_12
	s_branch .LBB22_13
.LBB22_8:
	s_mov_b32 s20, -1
	s_mov_b32 s0, 0
.LBB22_9:
	s_and_not1_b32 vcc_lo, exec_lo, s20
	s_cbranch_vccnz .LBB22_11
; %bb.10:
	s_cmp_eq_u32 s19, 44
	s_cselect_b32 s0, -1, 0
	s_cmp_lg_u32 s19, 44
	s_cselect_b32 s21, -1, 0
.LBB22_11:
	s_branch .LBB22_13
.LBB22_12:
	s_cmp_lt_i32 s19, 30
	s_cselect_b32 s0, -1, 0
	s_cmp_gt_i32 s19, 29
	s_cselect_b32 s21, -1, 0
.LBB22_13:
	s_branch .LBB22_18
.LBB22_14:
	s_and_b32 s17, 0xffff, s17
	s_mov_b32 s19, -1
	s_cmp_gt_i32 s17, 14
	s_cbranch_scc0 .LBB22_16
; %bb.15:
	s_cmp_eq_u32 s17, 15
	s_mov_b32 s19, 0
	s_cselect_b32 s0, -1, 0
	s_cmp_lg_u32 s17, 15
	s_cselect_b32 s21, -1, 0
.LBB22_16:
	s_and_not1_b32 vcc_lo, exec_lo, s19
	s_cbranch_vccnz .LBB22_18
; %bb.17:
	s_cmp_lt_i32 s17, 12
	s_cselect_b32 s0, -1, 0
	s_cmp_gt_i32 s17, 11
	s_cselect_b32 s21, -1, 0
.LBB22_18:
	s_and_b32 vcc_lo, exec_lo, s0
	s_cbranch_vccz .LBB22_26
; %bb.19:
	v_mul_lo_u32 v0, v18, s4
	s_and_b32 s0, s12, 0xff
	s_delay_alu instid0(SALU_CYCLE_1) | instskip(NEXT) | instid1(VALU_DEP_1)
	s_cmp_lt_i32 s0, 11
	v_ashrrev_i32_e32 v1, 31, v0
	s_delay_alu instid0(VALU_DEP_1)
	v_add_nc_u64_e32 v[2:3], s[8:9], v[0:1]
	s_cbranch_scc1 .LBB22_28
; %bb.20:
	s_and_b32 s17, 0xffff, s0
	s_delay_alu instid0(SALU_CYCLE_1)
	s_cmp_gt_i32 s17, 25
	s_cbranch_scc0 .LBB22_29
; %bb.21:
	s_cmp_gt_i32 s17, 28
	s_cbranch_scc0 .LBB22_30
; %bb.22:
	s_cmp_gt_i32 s17, 43
	s_cbranch_scc0 .LBB22_31
; %bb.23:
	s_cmp_gt_i32 s17, 45
	s_cbranch_scc0 .LBB22_32
; %bb.24:
	s_cmp_eq_u32 s17, 46
	s_mov_b32 s21, 0
	s_cbranch_scc0 .LBB22_33
; %bb.25:
	global_load_b32 v0, v[2:3], off
	s_mov_b32 s19, -1
	s_mov_b32 s20, 0
	s_wait_loadcnt 0x0
	v_lshlrev_b32_e32 v0, 16, v0
	s_delay_alu instid0(VALU_DEP_1) | instskip(NEXT) | instid1(VALU_DEP_1)
	v_trunc_f32_e32 v0, v0
	v_mul_f32_e64 v1, 0x2f800000, |v0|
	s_delay_alu instid0(VALU_DEP_1) | instskip(NEXT) | instid1(VALU_DEP_1)
	v_floor_f32_e32 v1, v1
	v_fma_f32 v1, 0xcf800000, v1, |v0|
	v_ashrrev_i32_e32 v0, 31, v0
	s_delay_alu instid0(VALU_DEP_2) | instskip(NEXT) | instid1(VALU_DEP_1)
	v_cvt_u32_f32_e32 v1, v1
	v_xor_b32_e32 v1, v1, v0
	s_delay_alu instid0(VALU_DEP_1)
	v_sub_nc_u32_e32 v0, v1, v0
	s_branch .LBB22_35
.LBB22_26:
	s_mov_b32 s0, 0
	s_mov_b32 s19, 0
	s_mov_b32 s20, 0
.LBB22_27:
	s_mov_b32 s24, 0
                                        ; implicit-def: $vgpr18
	s_branch .LBB22_393
.LBB22_28:
	s_mov_b32 s20, 0
	s_mov_b32 s19, 0
                                        ; implicit-def: $vgpr0
	s_cbranch_execnz .LBB22_96
	s_branch .LBB22_144
.LBB22_29:
	s_mov_b32 s21, -1
	s_mov_b32 s20, 0
	s_mov_b32 s19, 0
                                        ; implicit-def: $vgpr0
	s_branch .LBB22_62
.LBB22_30:
	s_mov_b32 s21, -1
	s_mov_b32 s20, 0
	s_mov_b32 s19, 0
                                        ; implicit-def: $vgpr0
	s_branch .LBB22_45
.LBB22_31:
	s_mov_b32 s21, -1
	s_mov_b32 s20, 0
	s_mov_b32 s19, 0
                                        ; implicit-def: $vgpr0
	s_branch .LBB22_40
.LBB22_32:
	s_mov_b32 s21, -1
	s_mov_b32 s20, 0
	s_branch .LBB22_34
.LBB22_33:
	s_mov_b32 s20, -1
.LBB22_34:
	s_mov_b32 s19, 0
                                        ; implicit-def: $vgpr0
.LBB22_35:
	s_and_b32 vcc_lo, exec_lo, s21
	s_cbranch_vccz .LBB22_39
; %bb.36:
	s_cmp_eq_u32 s17, 44
	s_cbranch_scc0 .LBB22_38
; %bb.37:
	global_load_u8 v0, v[2:3], off
	s_mov_b32 s20, 0
	s_mov_b32 s19, -1
	s_wait_loadcnt 0x0
	v_lshlrev_b32_e32 v1, 23, v0
	v_cmp_ne_u32_e32 vcc_lo, 0, v0
	s_delay_alu instid0(VALU_DEP_2) | instskip(NEXT) | instid1(VALU_DEP_1)
	v_trunc_f32_e32 v1, v1
	v_mul_f32_e64 v4, 0x2f800000, |v1|
	s_delay_alu instid0(VALU_DEP_1) | instskip(NEXT) | instid1(VALU_DEP_1)
	v_floor_f32_e32 v4, v4
	v_fma_f32 v4, 0xcf800000, v4, |v1|
	v_ashrrev_i32_e32 v1, 31, v1
	s_delay_alu instid0(VALU_DEP_2) | instskip(NEXT) | instid1(VALU_DEP_1)
	v_cvt_u32_f32_e32 v4, v4
	v_xor_b32_e32 v4, v4, v1
	s_delay_alu instid0(VALU_DEP_1) | instskip(NEXT) | instid1(VALU_DEP_1)
	v_sub_nc_u32_e32 v1, v4, v1
	v_cndmask_b32_e32 v0, 0, v1, vcc_lo
	s_branch .LBB22_39
.LBB22_38:
	s_mov_b32 s20, -1
                                        ; implicit-def: $vgpr0
.LBB22_39:
	s_mov_b32 s21, 0
.LBB22_40:
	s_delay_alu instid0(SALU_CYCLE_1)
	s_and_b32 vcc_lo, exec_lo, s21
	s_cbranch_vccz .LBB22_44
; %bb.41:
	s_cmp_eq_u32 s17, 29
	s_cbranch_scc0 .LBB22_43
; %bb.42:
	global_load_b64 v[0:1], v[2:3], off
	s_mov_b32 s19, -1
	s_mov_b32 s20, 0
	s_branch .LBB22_44
.LBB22_43:
	s_mov_b32 s20, -1
                                        ; implicit-def: $vgpr0
.LBB22_44:
	s_mov_b32 s21, 0
.LBB22_45:
	s_delay_alu instid0(SALU_CYCLE_1)
	s_and_b32 vcc_lo, exec_lo, s21
	s_cbranch_vccz .LBB22_61
; %bb.46:
	s_cmp_lt_i32 s17, 27
	s_cbranch_scc1 .LBB22_49
; %bb.47:
	s_cmp_gt_i32 s17, 27
	s_cbranch_scc0 .LBB22_50
; %bb.48:
	s_wait_loadcnt 0x0
	global_load_b32 v0, v[2:3], off
	s_mov_b32 s19, 0
	s_branch .LBB22_51
.LBB22_49:
	s_mov_b32 s19, -1
                                        ; implicit-def: $vgpr0
	s_branch .LBB22_54
.LBB22_50:
	s_mov_b32 s19, -1
                                        ; implicit-def: $vgpr0
.LBB22_51:
	s_delay_alu instid0(SALU_CYCLE_1)
	s_and_not1_b32 vcc_lo, exec_lo, s19
	s_cbranch_vccnz .LBB22_53
; %bb.52:
	s_wait_loadcnt 0x0
	global_load_u16 v0, v[2:3], off
.LBB22_53:
	s_mov_b32 s19, 0
.LBB22_54:
	s_delay_alu instid0(SALU_CYCLE_1)
	s_and_not1_b32 vcc_lo, exec_lo, s19
	s_cbranch_vccnz .LBB22_60
; %bb.55:
	s_wait_loadcnt 0x0
	global_load_u8 v1, v[2:3], off
	s_mov_b32 s21, 0
	s_mov_b32 s19, exec_lo
	s_wait_loadcnt 0x0
	v_cmpx_lt_i16_e32 0x7f, v1
	s_xor_b32 s19, exec_lo, s19
	s_cbranch_execz .LBB22_72
; %bb.56:
	v_cmp_ne_u16_e32 vcc_lo, 0x80, v1
	s_and_b32 s21, vcc_lo, exec_lo
	s_and_not1_saveexec_b32 s19, s19
	s_cbranch_execnz .LBB22_73
.LBB22_57:
	s_or_b32 exec_lo, exec_lo, s19
	v_mov_b32_e32 v0, 0
	s_and_saveexec_b32 s19, s21
	s_cbranch_execz .LBB22_59
.LBB22_58:
	v_and_b32_e32 v0, 0xffff, v1
	s_delay_alu instid0(VALU_DEP_1) | instskip(SKIP_1) | instid1(VALU_DEP_2)
	v_and_b32_e32 v4, 7, v0
	v_bfe_u32 v7, v0, 3, 4
	v_clz_i32_u32_e32 v5, v4
	s_delay_alu instid0(VALU_DEP_2) | instskip(NEXT) | instid1(VALU_DEP_2)
	v_cmp_eq_u32_e32 vcc_lo, 0, v7
	v_min_u32_e32 v5, 32, v5
	s_delay_alu instid0(VALU_DEP_1) | instskip(NEXT) | instid1(VALU_DEP_1)
	v_subrev_nc_u32_e32 v6, 28, v5
	v_dual_lshlrev_b32 v0, v6, v0 :: v_dual_sub_nc_u32 v5, 29, v5
	s_delay_alu instid0(VALU_DEP_1) | instskip(NEXT) | instid1(VALU_DEP_1)
	v_dual_lshlrev_b32 v1, 24, v1 :: v_dual_bitop2_b32 v0, 7, v0 bitop3:0x40
	v_dual_cndmask_b32 v0, v4, v0 :: v_dual_cndmask_b32 v5, v7, v5
	s_delay_alu instid0(VALU_DEP_2) | instskip(NEXT) | instid1(VALU_DEP_2)
	v_and_b32_e32 v1, 0x80000000, v1
	v_lshlrev_b32_e32 v0, 20, v0
	s_delay_alu instid0(VALU_DEP_3) | instskip(NEXT) | instid1(VALU_DEP_1)
	v_lshl_add_u32 v4, v5, 23, 0x3b800000
	v_or3_b32 v0, v1, v4, v0
	s_delay_alu instid0(VALU_DEP_1) | instskip(NEXT) | instid1(VALU_DEP_1)
	v_trunc_f32_e32 v0, v0
	v_mul_f32_e64 v1, 0x2f800000, |v0|
	s_delay_alu instid0(VALU_DEP_1) | instskip(NEXT) | instid1(VALU_DEP_1)
	v_floor_f32_e32 v1, v1
	v_fma_f32 v1, 0xcf800000, v1, |v0|
	v_ashrrev_i32_e32 v0, 31, v0
	s_delay_alu instid0(VALU_DEP_2) | instskip(NEXT) | instid1(VALU_DEP_1)
	v_cvt_u32_f32_e32 v1, v1
	v_xor_b32_e32 v1, v1, v0
	s_delay_alu instid0(VALU_DEP_1)
	v_sub_nc_u32_e32 v0, v1, v0
.LBB22_59:
	s_or_b32 exec_lo, exec_lo, s19
.LBB22_60:
	s_mov_b32 s19, -1
.LBB22_61:
	s_mov_b32 s21, 0
.LBB22_62:
	s_delay_alu instid0(SALU_CYCLE_1)
	s_and_b32 vcc_lo, exec_lo, s21
	s_cbranch_vccz .LBB22_95
; %bb.63:
	s_cmp_gt_i32 s17, 22
	s_cbranch_scc0 .LBB22_71
; %bb.64:
	s_cmp_lt_i32 s17, 24
	s_cbranch_scc1 .LBB22_74
; %bb.65:
	s_cmp_gt_i32 s17, 24
	s_cbranch_scc0 .LBB22_75
; %bb.66:
	s_wait_loadcnt 0x0
	global_load_u8 v1, v[2:3], off
	s_mov_b32 s21, 0
	s_mov_b32 s19, exec_lo
	s_wait_loadcnt 0x0
	v_cmpx_lt_i16_e32 0x7f, v1
	s_xor_b32 s19, exec_lo, s19
	s_cbranch_execz .LBB22_87
; %bb.67:
	v_cmp_ne_u16_e32 vcc_lo, 0x80, v1
	s_and_b32 s21, vcc_lo, exec_lo
	s_and_not1_saveexec_b32 s19, s19
	s_cbranch_execnz .LBB22_88
.LBB22_68:
	s_or_b32 exec_lo, exec_lo, s19
	v_mov_b32_e32 v0, 0
	s_and_saveexec_b32 s19, s21
	s_cbranch_execz .LBB22_70
.LBB22_69:
	v_and_b32_e32 v0, 0xffff, v1
	s_delay_alu instid0(VALU_DEP_1) | instskip(SKIP_1) | instid1(VALU_DEP_2)
	v_and_b32_e32 v4, 3, v0
	v_bfe_u32 v7, v0, 2, 5
	v_clz_i32_u32_e32 v5, v4
	s_delay_alu instid0(VALU_DEP_2) | instskip(NEXT) | instid1(VALU_DEP_2)
	v_cmp_eq_u32_e32 vcc_lo, 0, v7
	v_min_u32_e32 v5, 32, v5
	s_delay_alu instid0(VALU_DEP_1) | instskip(NEXT) | instid1(VALU_DEP_1)
	v_subrev_nc_u32_e32 v6, 29, v5
	v_dual_lshlrev_b32 v0, v6, v0 :: v_dual_sub_nc_u32 v5, 30, v5
	s_delay_alu instid0(VALU_DEP_1) | instskip(NEXT) | instid1(VALU_DEP_1)
	v_dual_lshlrev_b32 v1, 24, v1 :: v_dual_bitop2_b32 v0, 3, v0 bitop3:0x40
	v_dual_cndmask_b32 v0, v4, v0 :: v_dual_cndmask_b32 v5, v7, v5
	s_delay_alu instid0(VALU_DEP_2) | instskip(NEXT) | instid1(VALU_DEP_2)
	v_and_b32_e32 v1, 0x80000000, v1
	v_lshlrev_b32_e32 v0, 21, v0
	s_delay_alu instid0(VALU_DEP_3) | instskip(NEXT) | instid1(VALU_DEP_1)
	v_lshl_add_u32 v4, v5, 23, 0x37800000
	v_or3_b32 v0, v1, v4, v0
	s_delay_alu instid0(VALU_DEP_1) | instskip(NEXT) | instid1(VALU_DEP_1)
	v_trunc_f32_e32 v0, v0
	v_mul_f32_e64 v1, 0x2f800000, |v0|
	s_delay_alu instid0(VALU_DEP_1) | instskip(NEXT) | instid1(VALU_DEP_1)
	v_floor_f32_e32 v1, v1
	v_fma_f32 v1, 0xcf800000, v1, |v0|
	v_ashrrev_i32_e32 v0, 31, v0
	s_delay_alu instid0(VALU_DEP_2) | instskip(NEXT) | instid1(VALU_DEP_1)
	v_cvt_u32_f32_e32 v1, v1
	v_xor_b32_e32 v1, v1, v0
	s_delay_alu instid0(VALU_DEP_1)
	v_sub_nc_u32_e32 v0, v1, v0
.LBB22_70:
	s_or_b32 exec_lo, exec_lo, s19
	s_mov_b32 s19, 0
	s_branch .LBB22_76
.LBB22_71:
	s_mov_b32 s21, -1
                                        ; implicit-def: $vgpr0
	s_branch .LBB22_82
.LBB22_72:
	s_and_not1_saveexec_b32 s19, s19
	s_cbranch_execz .LBB22_57
.LBB22_73:
	v_cmp_ne_u16_e32 vcc_lo, 0, v1
	s_and_not1_b32 s21, s21, exec_lo
	s_and_b32 s24, vcc_lo, exec_lo
	s_delay_alu instid0(SALU_CYCLE_1)
	s_or_b32 s21, s21, s24
	s_or_b32 exec_lo, exec_lo, s19
	v_mov_b32_e32 v0, 0
	s_and_saveexec_b32 s19, s21
	s_cbranch_execnz .LBB22_58
	s_branch .LBB22_59
.LBB22_74:
	s_mov_b32 s19, -1
                                        ; implicit-def: $vgpr0
	s_branch .LBB22_79
.LBB22_75:
	s_mov_b32 s19, -1
                                        ; implicit-def: $vgpr0
.LBB22_76:
	s_delay_alu instid0(SALU_CYCLE_1)
	s_and_b32 vcc_lo, exec_lo, s19
	s_cbranch_vccz .LBB22_78
; %bb.77:
	s_wait_loadcnt 0x0
	global_load_u8 v0, v[2:3], off
	s_wait_loadcnt 0x0
	v_lshlrev_b32_e32 v0, 24, v0
	s_delay_alu instid0(VALU_DEP_1) | instskip(NEXT) | instid1(VALU_DEP_1)
	v_and_b32_e32 v1, 0x7f000000, v0
	v_clz_i32_u32_e32 v4, v1
	v_cmp_ne_u32_e32 vcc_lo, 0, v1
	v_add_nc_u32_e32 v6, 0x1000000, v1
	s_delay_alu instid0(VALU_DEP_3) | instskip(NEXT) | instid1(VALU_DEP_1)
	v_min_u32_e32 v4, 32, v4
	v_sub_nc_u32_e64 v4, v4, 4 clamp
	s_delay_alu instid0(VALU_DEP_1) | instskip(NEXT) | instid1(VALU_DEP_1)
	v_dual_lshlrev_b32 v5, v4, v1 :: v_dual_lshlrev_b32 v4, 23, v4
	v_lshrrev_b32_e32 v5, 4, v5
	s_delay_alu instid0(VALU_DEP_1) | instskip(NEXT) | instid1(VALU_DEP_1)
	v_dual_sub_nc_u32 v4, v5, v4 :: v_dual_ashrrev_i32 v5, 8, v6
	v_add_nc_u32_e32 v4, 0x3c000000, v4
	s_delay_alu instid0(VALU_DEP_1) | instskip(NEXT) | instid1(VALU_DEP_1)
	v_and_or_b32 v4, 0x7f800000, v5, v4
	v_cndmask_b32_e32 v1, 0, v4, vcc_lo
	s_delay_alu instid0(VALU_DEP_1) | instskip(NEXT) | instid1(VALU_DEP_1)
	v_and_or_b32 v0, 0x80000000, v0, v1
	v_trunc_f32_e32 v0, v0
	s_delay_alu instid0(VALU_DEP_1) | instskip(NEXT) | instid1(VALU_DEP_1)
	v_mul_f32_e64 v1, 0x2f800000, |v0|
	v_floor_f32_e32 v1, v1
	s_delay_alu instid0(VALU_DEP_1) | instskip(SKIP_1) | instid1(VALU_DEP_2)
	v_fma_f32 v1, 0xcf800000, v1, |v0|
	v_ashrrev_i32_e32 v0, 31, v0
	v_cvt_u32_f32_e32 v1, v1
	s_delay_alu instid0(VALU_DEP_1) | instskip(NEXT) | instid1(VALU_DEP_1)
	v_xor_b32_e32 v1, v1, v0
	v_sub_nc_u32_e32 v0, v1, v0
.LBB22_78:
	s_mov_b32 s19, 0
.LBB22_79:
	s_delay_alu instid0(SALU_CYCLE_1)
	s_and_not1_b32 vcc_lo, exec_lo, s19
	s_cbranch_vccnz .LBB22_81
; %bb.80:
	s_wait_loadcnt 0x0
	global_load_u8 v0, v[2:3], off
	s_wait_loadcnt 0x0
	v_lshlrev_b32_e32 v1, 25, v0
	v_lshlrev_b16 v0, 8, v0
	s_delay_alu instid0(VALU_DEP_1) | instskip(SKIP_1) | instid1(VALU_DEP_2)
	v_and_or_b32 v5, 0x7f00, v0, 0.5
	v_bfe_i32 v0, v0, 0, 16
	v_add_f32_e32 v5, -0.5, v5
	v_lshrrev_b32_e32 v4, 4, v1
	v_cmp_gt_u32_e32 vcc_lo, 0x8000000, v1
	s_delay_alu instid0(VALU_DEP_2) | instskip(NEXT) | instid1(VALU_DEP_1)
	v_or_b32_e32 v4, 0x70000000, v4
	v_mul_f32_e32 v4, 0x7800000, v4
	s_delay_alu instid0(VALU_DEP_1) | instskip(NEXT) | instid1(VALU_DEP_1)
	v_cndmask_b32_e32 v1, v4, v5, vcc_lo
	v_and_or_b32 v0, 0x80000000, v0, v1
	s_delay_alu instid0(VALU_DEP_1) | instskip(NEXT) | instid1(VALU_DEP_1)
	v_trunc_f32_e32 v0, v0
	v_mul_f32_e64 v1, 0x2f800000, |v0|
	s_delay_alu instid0(VALU_DEP_1) | instskip(NEXT) | instid1(VALU_DEP_1)
	v_floor_f32_e32 v1, v1
	v_fma_f32 v1, 0xcf800000, v1, |v0|
	v_ashrrev_i32_e32 v0, 31, v0
	s_delay_alu instid0(VALU_DEP_2) | instskip(NEXT) | instid1(VALU_DEP_1)
	v_cvt_u32_f32_e32 v1, v1
	v_xor_b32_e32 v1, v1, v0
	s_delay_alu instid0(VALU_DEP_1)
	v_sub_nc_u32_e32 v0, v1, v0
.LBB22_81:
	s_mov_b32 s21, 0
	s_mov_b32 s19, -1
.LBB22_82:
	s_and_not1_b32 vcc_lo, exec_lo, s21
	s_cbranch_vccnz .LBB22_95
; %bb.83:
	s_cmp_gt_i32 s17, 14
	s_cbranch_scc0 .LBB22_86
; %bb.84:
	s_cmp_eq_u32 s17, 15
	s_cbranch_scc0 .LBB22_89
; %bb.85:
	s_wait_loadcnt 0x0
	global_load_u16 v0, v[2:3], off
	s_mov_b32 s19, -1
	s_mov_b32 s20, 0
	s_wait_loadcnt 0x0
	v_lshlrev_b32_e32 v0, 16, v0
	s_delay_alu instid0(VALU_DEP_1) | instskip(NEXT) | instid1(VALU_DEP_1)
	v_trunc_f32_e32 v0, v0
	v_mul_f32_e64 v1, 0x2f800000, |v0|
	s_delay_alu instid0(VALU_DEP_1) | instskip(NEXT) | instid1(VALU_DEP_1)
	v_floor_f32_e32 v1, v1
	v_fma_f32 v1, 0xcf800000, v1, |v0|
	v_ashrrev_i32_e32 v0, 31, v0
	s_delay_alu instid0(VALU_DEP_2) | instskip(NEXT) | instid1(VALU_DEP_1)
	v_cvt_u32_f32_e32 v1, v1
	v_xor_b32_e32 v1, v1, v0
	s_delay_alu instid0(VALU_DEP_1)
	v_sub_nc_u32_e32 v0, v1, v0
	s_branch .LBB22_90
.LBB22_86:
	s_mov_b32 s21, -1
                                        ; implicit-def: $vgpr0
	s_branch .LBB22_91
.LBB22_87:
	s_and_not1_saveexec_b32 s19, s19
	s_cbranch_execz .LBB22_68
.LBB22_88:
	v_cmp_ne_u16_e32 vcc_lo, 0, v1
	s_and_not1_b32 s21, s21, exec_lo
	s_and_b32 s24, vcc_lo, exec_lo
	s_delay_alu instid0(SALU_CYCLE_1)
	s_or_b32 s21, s21, s24
	s_or_b32 exec_lo, exec_lo, s19
	v_mov_b32_e32 v0, 0
	s_and_saveexec_b32 s19, s21
	s_cbranch_execnz .LBB22_69
	s_branch .LBB22_70
.LBB22_89:
	s_mov_b32 s20, -1
                                        ; implicit-def: $vgpr0
.LBB22_90:
	s_mov_b32 s21, 0
.LBB22_91:
	s_delay_alu instid0(SALU_CYCLE_1)
	s_and_b32 vcc_lo, exec_lo, s21
	s_cbranch_vccz .LBB22_95
; %bb.92:
	s_cmp_eq_u32 s17, 11
	s_cbranch_scc0 .LBB22_94
; %bb.93:
	s_wait_loadcnt 0x0
	global_load_u8 v0, v[2:3], off
	s_mov_b32 s20, 0
	s_mov_b32 s19, -1
	s_wait_loadcnt 0x0
	v_cmp_ne_u16_e32 vcc_lo, 0, v0
	v_cndmask_b32_e64 v0, 0, 1, vcc_lo
	s_branch .LBB22_95
.LBB22_94:
	s_mov_b32 s20, -1
                                        ; implicit-def: $vgpr0
.LBB22_95:
	s_branch .LBB22_144
.LBB22_96:
	s_and_b32 s0, 0xffff, s0
	s_delay_alu instid0(SALU_CYCLE_1)
	s_cmp_lt_i32 s0, 5
	s_cbranch_scc1 .LBB22_101
; %bb.97:
	s_cmp_lt_i32 s0, 8
	s_cbranch_scc1 .LBB22_102
; %bb.98:
	;; [unrolled: 3-line block ×3, first 2 shown]
	s_cmp_gt_i32 s0, 9
	s_cbranch_scc0 .LBB22_104
; %bb.100:
	s_wait_loadcnt 0x0
	global_load_b64 v[0:1], v[2:3], off
	s_mov_b32 s17, 0
	s_wait_loadcnt 0x0
	v_trunc_f64_e32 v[0:1], v[0:1]
	s_delay_alu instid0(VALU_DEP_1) | instskip(NEXT) | instid1(VALU_DEP_1)
	v_ldexp_f64 v[4:5], v[0:1], 0xffffffe0
	v_floor_f64_e32 v[4:5], v[4:5]
	s_delay_alu instid0(VALU_DEP_1) | instskip(NEXT) | instid1(VALU_DEP_1)
	v_fmamk_f64 v[0:1], v[4:5], 0xc1f00000, v[0:1]
	v_cvt_u32_f64_e32 v0, v[0:1]
	s_branch .LBB22_105
.LBB22_101:
	s_mov_b32 s17, -1
                                        ; implicit-def: $vgpr0
	s_branch .LBB22_123
.LBB22_102:
	s_mov_b32 s17, -1
                                        ; implicit-def: $vgpr0
	s_branch .LBB22_111
.LBB22_103:
	s_mov_b32 s17, -1
                                        ; implicit-def: $vgpr0
	s_branch .LBB22_108
.LBB22_104:
	s_mov_b32 s17, -1
                                        ; implicit-def: $vgpr0
.LBB22_105:
	s_delay_alu instid0(SALU_CYCLE_1)
	s_and_not1_b32 vcc_lo, exec_lo, s17
	s_cbranch_vccnz .LBB22_107
; %bb.106:
	s_wait_loadcnt 0x0
	global_load_b32 v0, v[2:3], off
	s_wait_loadcnt 0x0
	v_trunc_f32_e32 v0, v0
	s_delay_alu instid0(VALU_DEP_1) | instskip(NEXT) | instid1(VALU_DEP_1)
	v_mul_f32_e64 v1, 0x2f800000, |v0|
	v_floor_f32_e32 v1, v1
	s_delay_alu instid0(VALU_DEP_1) | instskip(SKIP_1) | instid1(VALU_DEP_2)
	v_fma_f32 v1, 0xcf800000, v1, |v0|
	v_ashrrev_i32_e32 v0, 31, v0
	v_cvt_u32_f32_e32 v1, v1
	s_delay_alu instid0(VALU_DEP_1) | instskip(NEXT) | instid1(VALU_DEP_1)
	v_xor_b32_e32 v1, v1, v0
	v_sub_nc_u32_e32 v0, v1, v0
.LBB22_107:
	s_mov_b32 s17, 0
.LBB22_108:
	s_delay_alu instid0(SALU_CYCLE_1)
	s_and_not1_b32 vcc_lo, exec_lo, s17
	s_cbranch_vccnz .LBB22_110
; %bb.109:
	s_wait_loadcnt 0x0
	global_load_b32 v0, v[2:3], off
	s_wait_loadcnt 0x0
	v_cvt_f32_f16_e32 v0, v0
	s_delay_alu instid0(VALU_DEP_1)
	v_cvt_i32_f32_e32 v0, v0
.LBB22_110:
	s_mov_b32 s17, 0
.LBB22_111:
	s_delay_alu instid0(SALU_CYCLE_1)
	s_and_not1_b32 vcc_lo, exec_lo, s17
	s_cbranch_vccnz .LBB22_122
; %bb.112:
	s_cmp_lt_i32 s0, 6
	s_cbranch_scc1 .LBB22_115
; %bb.113:
	s_cmp_gt_i32 s0, 6
	s_cbranch_scc0 .LBB22_116
; %bb.114:
	s_wait_loadcnt 0x0
	global_load_b64 v[0:1], v[2:3], off
	s_mov_b32 s17, 0
	s_wait_loadcnt 0x0
	v_trunc_f64_e32 v[0:1], v[0:1]
	s_delay_alu instid0(VALU_DEP_1) | instskip(NEXT) | instid1(VALU_DEP_1)
	v_ldexp_f64 v[4:5], v[0:1], 0xffffffe0
	v_floor_f64_e32 v[4:5], v[4:5]
	s_delay_alu instid0(VALU_DEP_1) | instskip(NEXT) | instid1(VALU_DEP_1)
	v_fmamk_f64 v[0:1], v[4:5], 0xc1f00000, v[0:1]
	v_cvt_u32_f64_e32 v0, v[0:1]
	s_branch .LBB22_117
.LBB22_115:
	s_mov_b32 s17, -1
                                        ; implicit-def: $vgpr0
	s_branch .LBB22_120
.LBB22_116:
	s_mov_b32 s17, -1
                                        ; implicit-def: $vgpr0
.LBB22_117:
	s_delay_alu instid0(SALU_CYCLE_1)
	s_and_not1_b32 vcc_lo, exec_lo, s17
	s_cbranch_vccnz .LBB22_119
; %bb.118:
	s_wait_loadcnt 0x0
	global_load_b32 v0, v[2:3], off
	s_wait_loadcnt 0x0
	v_trunc_f32_e32 v0, v0
	s_delay_alu instid0(VALU_DEP_1) | instskip(NEXT) | instid1(VALU_DEP_1)
	v_mul_f32_e64 v1, 0x2f800000, |v0|
	v_floor_f32_e32 v1, v1
	s_delay_alu instid0(VALU_DEP_1) | instskip(SKIP_1) | instid1(VALU_DEP_2)
	v_fma_f32 v1, 0xcf800000, v1, |v0|
	v_ashrrev_i32_e32 v0, 31, v0
	v_cvt_u32_f32_e32 v1, v1
	s_delay_alu instid0(VALU_DEP_1) | instskip(NEXT) | instid1(VALU_DEP_1)
	v_xor_b32_e32 v1, v1, v0
	v_sub_nc_u32_e32 v0, v1, v0
.LBB22_119:
	s_mov_b32 s17, 0
.LBB22_120:
	s_delay_alu instid0(SALU_CYCLE_1)
	s_and_not1_b32 vcc_lo, exec_lo, s17
	s_cbranch_vccnz .LBB22_122
; %bb.121:
	s_wait_loadcnt 0x0
	global_load_u16 v0, v[2:3], off
	s_wait_loadcnt 0x0
	v_cvt_f32_f16_e32 v0, v0
	s_delay_alu instid0(VALU_DEP_1)
	v_cvt_i32_f32_e32 v0, v0
.LBB22_122:
	s_mov_b32 s17, 0
.LBB22_123:
	s_delay_alu instid0(SALU_CYCLE_1)
	s_and_not1_b32 vcc_lo, exec_lo, s17
	s_cbranch_vccnz .LBB22_143
; %bb.124:
	s_cmp_lt_i32 s0, 2
	s_cbranch_scc1 .LBB22_128
; %bb.125:
	s_cmp_lt_i32 s0, 3
	s_cbranch_scc1 .LBB22_129
; %bb.126:
	s_cmp_gt_i32 s0, 3
	s_cbranch_scc0 .LBB22_130
; %bb.127:
	s_wait_loadcnt 0x0
	global_load_b64 v[0:1], v[2:3], off
	s_mov_b32 s17, 0
	s_branch .LBB22_131
.LBB22_128:
	s_mov_b32 s17, -1
                                        ; implicit-def: $vgpr0
	s_branch .LBB22_137
.LBB22_129:
	s_mov_b32 s17, -1
                                        ; implicit-def: $vgpr0
	s_branch .LBB22_134
.LBB22_130:
	s_mov_b32 s17, -1
                                        ; implicit-def: $vgpr0
.LBB22_131:
	s_delay_alu instid0(SALU_CYCLE_1)
	s_and_not1_b32 vcc_lo, exec_lo, s17
	s_cbranch_vccnz .LBB22_133
; %bb.132:
	s_wait_loadcnt 0x0
	global_load_b32 v0, v[2:3], off
.LBB22_133:
	s_mov_b32 s17, 0
.LBB22_134:
	s_delay_alu instid0(SALU_CYCLE_1)
	s_and_not1_b32 vcc_lo, exec_lo, s17
	s_cbranch_vccnz .LBB22_136
; %bb.135:
	s_wait_loadcnt 0x0
	global_load_u16 v0, v[2:3], off
.LBB22_136:
	s_mov_b32 s17, 0
.LBB22_137:
	s_delay_alu instid0(SALU_CYCLE_1)
	s_and_not1_b32 vcc_lo, exec_lo, s17
	s_cbranch_vccnz .LBB22_143
; %bb.138:
	s_cmp_gt_i32 s0, 0
	s_mov_b32 s0, 0
	s_cbranch_scc0 .LBB22_140
; %bb.139:
	s_wait_loadcnt 0x0
	global_load_u8 v0, v[2:3], off
	s_branch .LBB22_141
.LBB22_140:
	s_mov_b32 s0, -1
                                        ; implicit-def: $vgpr0
.LBB22_141:
	s_delay_alu instid0(SALU_CYCLE_1)
	s_and_not1_b32 vcc_lo, exec_lo, s0
	s_cbranch_vccnz .LBB22_143
; %bb.142:
	s_wait_loadcnt 0x0
	global_load_u8 v0, v[2:3], off
.LBB22_143:
	s_mov_b32 s19, -1
.LBB22_144:
	s_mov_b32 s21, 0
	s_mov_b32 s0, 0
	s_and_not1_b32 vcc_lo, exec_lo, s19
	s_mov_b32 s19, 0
	s_mov_b32 s24, 0
	s_cbranch_vccnz .LBB22_393
; %bb.145:
	s_wait_xcnt 0x0
	v_mul_lo_u32 v2, v18, s5
	s_and_b32 s0, s7, 0xff
	s_delay_alu instid0(SALU_CYCLE_1) | instskip(NEXT) | instid1(VALU_DEP_1)
	s_cmp_lt_i32 s0, 11
	v_ashrrev_i32_e32 v3, 31, v2
	s_delay_alu instid0(VALU_DEP_1)
	v_add_nc_u64_e32 v[2:3], s[10:11], v[2:3]
	s_cbranch_scc1 .LBB22_152
; %bb.146:
	s_and_b32 s17, 0xffff, s0
	s_delay_alu instid0(SALU_CYCLE_1)
	s_cmp_gt_i32 s17, 25
	s_cbranch_scc0 .LBB22_153
; %bb.147:
	s_cmp_gt_i32 s17, 28
	s_cbranch_scc0 .LBB22_154
; %bb.148:
	;; [unrolled: 3-line block ×4, first 2 shown]
	s_cmp_eq_u32 s17, 46
	s_mov_b32 s25, 0
	s_cbranch_scc0 .LBB22_157
; %bb.151:
	s_wait_loadcnt 0x0
	global_load_b32 v1, v[2:3], off
	s_mov_b32 s24, -1
	s_wait_loadcnt 0x0
	v_lshlrev_b32_e32 v1, 16, v1
	s_delay_alu instid0(VALU_DEP_1) | instskip(NEXT) | instid1(VALU_DEP_1)
	v_trunc_f32_e32 v1, v1
	v_mul_f32_e64 v4, 0x2f800000, |v1|
	s_delay_alu instid0(VALU_DEP_1) | instskip(NEXT) | instid1(VALU_DEP_1)
	v_floor_f32_e32 v4, v4
	v_fma_f32 v4, 0xcf800000, v4, |v1|
	v_ashrrev_i32_e32 v1, 31, v1
	s_delay_alu instid0(VALU_DEP_2) | instskip(NEXT) | instid1(VALU_DEP_1)
	v_cvt_u32_f32_e32 v4, v4
	v_xor_b32_e32 v4, v4, v1
	s_delay_alu instid0(VALU_DEP_1)
	v_sub_nc_u32_e32 v4, v4, v1
	s_branch .LBB22_159
.LBB22_152:
	s_mov_b32 s17, -1
                                        ; implicit-def: $vgpr4
	s_branch .LBB22_220
.LBB22_153:
	s_mov_b32 s25, -1
                                        ; implicit-def: $vgpr4
	s_branch .LBB22_186
.LBB22_154:
	s_mov_b32 s25, -1
                                        ; implicit-def: $vgpr4
	s_branch .LBB22_169
.LBB22_155:
	s_mov_b32 s25, -1
                                        ; implicit-def: $vgpr4
	s_branch .LBB22_164
.LBB22_156:
	s_mov_b32 s25, -1
	s_branch .LBB22_158
.LBB22_157:
	s_mov_b32 s19, -1
.LBB22_158:
                                        ; implicit-def: $vgpr4
.LBB22_159:
	s_and_b32 vcc_lo, exec_lo, s25
	s_cbranch_vccz .LBB22_163
; %bb.160:
	s_cmp_eq_u32 s17, 44
	s_cbranch_scc0 .LBB22_162
; %bb.161:
	s_wait_loadcnt 0x0
	global_load_u8 v1, v[2:3], off
	s_mov_b32 s19, 0
	s_mov_b32 s24, -1
	s_wait_loadcnt 0x0
	v_lshlrev_b32_e32 v4, 23, v1
	v_cmp_ne_u32_e32 vcc_lo, 0, v1
	s_delay_alu instid0(VALU_DEP_2) | instskip(NEXT) | instid1(VALU_DEP_1)
	v_trunc_f32_e32 v4, v4
	v_mul_f32_e64 v5, 0x2f800000, |v4|
	s_delay_alu instid0(VALU_DEP_1) | instskip(NEXT) | instid1(VALU_DEP_1)
	v_floor_f32_e32 v5, v5
	v_fma_f32 v5, 0xcf800000, v5, |v4|
	v_ashrrev_i32_e32 v4, 31, v4
	s_delay_alu instid0(VALU_DEP_2) | instskip(NEXT) | instid1(VALU_DEP_1)
	v_cvt_u32_f32_e32 v5, v5
	v_xor_b32_e32 v5, v5, v4
	s_delay_alu instid0(VALU_DEP_1) | instskip(NEXT) | instid1(VALU_DEP_1)
	v_sub_nc_u32_e32 v4, v5, v4
	v_cndmask_b32_e32 v4, 0, v4, vcc_lo
	s_branch .LBB22_163
.LBB22_162:
	s_mov_b32 s19, -1
                                        ; implicit-def: $vgpr4
.LBB22_163:
	s_mov_b32 s25, 0
.LBB22_164:
	s_delay_alu instid0(SALU_CYCLE_1)
	s_and_b32 vcc_lo, exec_lo, s25
	s_cbranch_vccz .LBB22_168
; %bb.165:
	s_cmp_eq_u32 s17, 29
	s_cbranch_scc0 .LBB22_167
; %bb.166:
	global_load_b64 v[4:5], v[2:3], off
	s_mov_b32 s24, -1
	s_mov_b32 s19, 0
	s_branch .LBB22_168
.LBB22_167:
	s_mov_b32 s19, -1
                                        ; implicit-def: $vgpr4
.LBB22_168:
	s_mov_b32 s25, 0
.LBB22_169:
	s_delay_alu instid0(SALU_CYCLE_1)
	s_and_b32 vcc_lo, exec_lo, s25
	s_cbranch_vccz .LBB22_185
; %bb.170:
	s_cmp_lt_i32 s17, 27
	s_cbranch_scc1 .LBB22_173
; %bb.171:
	s_cmp_gt_i32 s17, 27
	s_cbranch_scc0 .LBB22_174
; %bb.172:
	s_wait_loadcnt 0x0
	global_load_b32 v4, v[2:3], off
	s_mov_b32 s24, 0
	s_branch .LBB22_175
.LBB22_173:
	s_mov_b32 s24, -1
                                        ; implicit-def: $vgpr4
	s_branch .LBB22_178
.LBB22_174:
	s_mov_b32 s24, -1
                                        ; implicit-def: $vgpr4
.LBB22_175:
	s_delay_alu instid0(SALU_CYCLE_1)
	s_and_not1_b32 vcc_lo, exec_lo, s24
	s_cbranch_vccnz .LBB22_177
; %bb.176:
	s_wait_loadcnt 0x0
	global_load_u16 v4, v[2:3], off
.LBB22_177:
	s_mov_b32 s24, 0
.LBB22_178:
	s_delay_alu instid0(SALU_CYCLE_1)
	s_and_not1_b32 vcc_lo, exec_lo, s24
	s_cbranch_vccnz .LBB22_184
; %bb.179:
	s_wait_loadcnt 0x0
	global_load_u8 v1, v[2:3], off
	s_mov_b32 s25, 0
	s_mov_b32 s24, exec_lo
	s_wait_loadcnt 0x0
	v_cmpx_lt_i16_e32 0x7f, v1
	s_xor_b32 s24, exec_lo, s24
	s_cbranch_execz .LBB22_196
; %bb.180:
	v_cmp_ne_u16_e32 vcc_lo, 0x80, v1
	s_and_b32 s25, vcc_lo, exec_lo
	s_and_not1_saveexec_b32 s24, s24
	s_cbranch_execnz .LBB22_197
.LBB22_181:
	s_or_b32 exec_lo, exec_lo, s24
	v_mov_b32_e32 v4, 0
	s_and_saveexec_b32 s24, s25
	s_cbranch_execz .LBB22_183
.LBB22_182:
	v_and_b32_e32 v4, 0xffff, v1
	s_delay_alu instid0(VALU_DEP_1) | instskip(SKIP_1) | instid1(VALU_DEP_2)
	v_and_b32_e32 v5, 7, v4
	v_bfe_u32 v8, v4, 3, 4
	v_clz_i32_u32_e32 v6, v5
	s_delay_alu instid0(VALU_DEP_2) | instskip(NEXT) | instid1(VALU_DEP_2)
	v_cmp_eq_u32_e32 vcc_lo, 0, v8
	v_min_u32_e32 v6, 32, v6
	s_delay_alu instid0(VALU_DEP_1) | instskip(NEXT) | instid1(VALU_DEP_1)
	v_subrev_nc_u32_e32 v7, 28, v6
	v_dual_lshlrev_b32 v4, v7, v4 :: v_dual_sub_nc_u32 v6, 29, v6
	s_delay_alu instid0(VALU_DEP_1) | instskip(NEXT) | instid1(VALU_DEP_1)
	v_dual_lshlrev_b32 v1, 24, v1 :: v_dual_bitop2_b32 v4, 7, v4 bitop3:0x40
	v_dual_cndmask_b32 v6, v8, v6, vcc_lo :: v_dual_cndmask_b32 v4, v5, v4, vcc_lo
	s_delay_alu instid0(VALU_DEP_2) | instskip(NEXT) | instid1(VALU_DEP_2)
	v_and_b32_e32 v1, 0x80000000, v1
	v_lshl_add_u32 v5, v6, 23, 0x3b800000
	s_delay_alu instid0(VALU_DEP_3) | instskip(NEXT) | instid1(VALU_DEP_1)
	v_lshlrev_b32_e32 v4, 20, v4
	v_or3_b32 v1, v1, v5, v4
	s_delay_alu instid0(VALU_DEP_1) | instskip(NEXT) | instid1(VALU_DEP_1)
	v_trunc_f32_e32 v1, v1
	v_mul_f32_e64 v4, 0x2f800000, |v1|
	s_delay_alu instid0(VALU_DEP_1) | instskip(NEXT) | instid1(VALU_DEP_1)
	v_floor_f32_e32 v4, v4
	v_fma_f32 v4, 0xcf800000, v4, |v1|
	v_ashrrev_i32_e32 v1, 31, v1
	s_delay_alu instid0(VALU_DEP_2) | instskip(NEXT) | instid1(VALU_DEP_1)
	v_cvt_u32_f32_e32 v4, v4
	v_xor_b32_e32 v4, v4, v1
	s_delay_alu instid0(VALU_DEP_1)
	v_sub_nc_u32_e32 v4, v4, v1
.LBB22_183:
	s_or_b32 exec_lo, exec_lo, s24
.LBB22_184:
	s_mov_b32 s24, -1
.LBB22_185:
	s_mov_b32 s25, 0
.LBB22_186:
	s_delay_alu instid0(SALU_CYCLE_1)
	s_and_b32 vcc_lo, exec_lo, s25
	s_cbranch_vccz .LBB22_219
; %bb.187:
	s_cmp_gt_i32 s17, 22
	s_cbranch_scc0 .LBB22_195
; %bb.188:
	s_cmp_lt_i32 s17, 24
	s_cbranch_scc1 .LBB22_198
; %bb.189:
	s_cmp_gt_i32 s17, 24
	s_cbranch_scc0 .LBB22_199
; %bb.190:
	s_wait_loadcnt 0x0
	global_load_u8 v1, v[2:3], off
	s_mov_b32 s25, 0
	s_mov_b32 s24, exec_lo
	s_wait_loadcnt 0x0
	v_cmpx_lt_i16_e32 0x7f, v1
	s_xor_b32 s24, exec_lo, s24
	s_cbranch_execz .LBB22_211
; %bb.191:
	v_cmp_ne_u16_e32 vcc_lo, 0x80, v1
	s_and_b32 s25, vcc_lo, exec_lo
	s_and_not1_saveexec_b32 s24, s24
	s_cbranch_execnz .LBB22_212
.LBB22_192:
	s_or_b32 exec_lo, exec_lo, s24
	v_mov_b32_e32 v4, 0
	s_and_saveexec_b32 s24, s25
	s_cbranch_execz .LBB22_194
.LBB22_193:
	v_and_b32_e32 v4, 0xffff, v1
	s_delay_alu instid0(VALU_DEP_1) | instskip(SKIP_1) | instid1(VALU_DEP_2)
	v_and_b32_e32 v5, 3, v4
	v_bfe_u32 v8, v4, 2, 5
	v_clz_i32_u32_e32 v6, v5
	s_delay_alu instid0(VALU_DEP_2) | instskip(NEXT) | instid1(VALU_DEP_2)
	v_cmp_eq_u32_e32 vcc_lo, 0, v8
	v_min_u32_e32 v6, 32, v6
	s_delay_alu instid0(VALU_DEP_1) | instskip(NEXT) | instid1(VALU_DEP_1)
	v_subrev_nc_u32_e32 v7, 29, v6
	v_dual_lshlrev_b32 v4, v7, v4 :: v_dual_sub_nc_u32 v6, 30, v6
	s_delay_alu instid0(VALU_DEP_1) | instskip(NEXT) | instid1(VALU_DEP_1)
	v_dual_lshlrev_b32 v1, 24, v1 :: v_dual_bitop2_b32 v4, 3, v4 bitop3:0x40
	v_dual_cndmask_b32 v6, v8, v6, vcc_lo :: v_dual_cndmask_b32 v4, v5, v4, vcc_lo
	s_delay_alu instid0(VALU_DEP_2) | instskip(NEXT) | instid1(VALU_DEP_2)
	v_and_b32_e32 v1, 0x80000000, v1
	v_lshl_add_u32 v5, v6, 23, 0x37800000
	s_delay_alu instid0(VALU_DEP_3) | instskip(NEXT) | instid1(VALU_DEP_1)
	v_lshlrev_b32_e32 v4, 21, v4
	v_or3_b32 v1, v1, v5, v4
	s_delay_alu instid0(VALU_DEP_1) | instskip(NEXT) | instid1(VALU_DEP_1)
	v_trunc_f32_e32 v1, v1
	v_mul_f32_e64 v4, 0x2f800000, |v1|
	s_delay_alu instid0(VALU_DEP_1) | instskip(NEXT) | instid1(VALU_DEP_1)
	v_floor_f32_e32 v4, v4
	v_fma_f32 v4, 0xcf800000, v4, |v1|
	v_ashrrev_i32_e32 v1, 31, v1
	s_delay_alu instid0(VALU_DEP_2) | instskip(NEXT) | instid1(VALU_DEP_1)
	v_cvt_u32_f32_e32 v4, v4
	v_xor_b32_e32 v4, v4, v1
	s_delay_alu instid0(VALU_DEP_1)
	v_sub_nc_u32_e32 v4, v4, v1
.LBB22_194:
	s_or_b32 exec_lo, exec_lo, s24
	s_mov_b32 s24, 0
	s_branch .LBB22_200
.LBB22_195:
	s_mov_b32 s25, -1
                                        ; implicit-def: $vgpr4
	s_branch .LBB22_206
.LBB22_196:
	s_and_not1_saveexec_b32 s24, s24
	s_cbranch_execz .LBB22_181
.LBB22_197:
	v_cmp_ne_u16_e32 vcc_lo, 0, v1
	s_and_not1_b32 s25, s25, exec_lo
	s_and_b32 s26, vcc_lo, exec_lo
	s_delay_alu instid0(SALU_CYCLE_1)
	s_or_b32 s25, s25, s26
	s_or_b32 exec_lo, exec_lo, s24
	v_mov_b32_e32 v4, 0
	s_and_saveexec_b32 s24, s25
	s_cbranch_execnz .LBB22_182
	s_branch .LBB22_183
.LBB22_198:
	s_mov_b32 s24, -1
                                        ; implicit-def: $vgpr4
	s_branch .LBB22_203
.LBB22_199:
	s_mov_b32 s24, -1
                                        ; implicit-def: $vgpr4
.LBB22_200:
	s_delay_alu instid0(SALU_CYCLE_1)
	s_and_b32 vcc_lo, exec_lo, s24
	s_cbranch_vccz .LBB22_202
; %bb.201:
	s_wait_loadcnt 0x0
	global_load_u8 v1, v[2:3], off
	s_wait_loadcnt 0x0
	v_lshlrev_b32_e32 v1, 24, v1
	s_delay_alu instid0(VALU_DEP_1) | instskip(NEXT) | instid1(VALU_DEP_1)
	v_and_b32_e32 v4, 0x7f000000, v1
	v_clz_i32_u32_e32 v5, v4
	v_cmp_ne_u32_e32 vcc_lo, 0, v4
	v_add_nc_u32_e32 v7, 0x1000000, v4
	s_delay_alu instid0(VALU_DEP_3) | instskip(NEXT) | instid1(VALU_DEP_1)
	v_min_u32_e32 v5, 32, v5
	v_sub_nc_u32_e64 v5, v5, 4 clamp
	s_delay_alu instid0(VALU_DEP_1) | instskip(NEXT) | instid1(VALU_DEP_1)
	v_dual_lshlrev_b32 v6, v5, v4 :: v_dual_lshlrev_b32 v5, 23, v5
	v_lshrrev_b32_e32 v6, 4, v6
	s_delay_alu instid0(VALU_DEP_1) | instskip(NEXT) | instid1(VALU_DEP_1)
	v_dual_sub_nc_u32 v5, v6, v5 :: v_dual_ashrrev_i32 v6, 8, v7
	v_add_nc_u32_e32 v5, 0x3c000000, v5
	s_delay_alu instid0(VALU_DEP_1) | instskip(NEXT) | instid1(VALU_DEP_1)
	v_and_or_b32 v5, 0x7f800000, v6, v5
	v_cndmask_b32_e32 v4, 0, v5, vcc_lo
	s_delay_alu instid0(VALU_DEP_1) | instskip(NEXT) | instid1(VALU_DEP_1)
	v_and_or_b32 v1, 0x80000000, v1, v4
	v_trunc_f32_e32 v1, v1
	s_delay_alu instid0(VALU_DEP_1) | instskip(NEXT) | instid1(VALU_DEP_1)
	v_mul_f32_e64 v4, 0x2f800000, |v1|
	v_floor_f32_e32 v4, v4
	s_delay_alu instid0(VALU_DEP_1) | instskip(SKIP_1) | instid1(VALU_DEP_2)
	v_fma_f32 v4, 0xcf800000, v4, |v1|
	v_ashrrev_i32_e32 v1, 31, v1
	v_cvt_u32_f32_e32 v4, v4
	s_delay_alu instid0(VALU_DEP_1) | instskip(NEXT) | instid1(VALU_DEP_1)
	v_xor_b32_e32 v4, v4, v1
	v_sub_nc_u32_e32 v4, v4, v1
.LBB22_202:
	s_mov_b32 s24, 0
.LBB22_203:
	s_delay_alu instid0(SALU_CYCLE_1)
	s_and_not1_b32 vcc_lo, exec_lo, s24
	s_cbranch_vccnz .LBB22_205
; %bb.204:
	s_wait_loadcnt 0x0
	global_load_u8 v1, v[2:3], off
	s_wait_loadcnt 0x0
	v_lshlrev_b32_e32 v4, 25, v1
	v_lshlrev_b16 v1, 8, v1
	s_delay_alu instid0(VALU_DEP_1) | instskip(SKIP_1) | instid1(VALU_DEP_2)
	v_and_or_b32 v6, 0x7f00, v1, 0.5
	v_bfe_i32 v1, v1, 0, 16
	v_dual_add_f32 v6, -0.5, v6 :: v_dual_lshrrev_b32 v5, 4, v4
	v_cmp_gt_u32_e32 vcc_lo, 0x8000000, v4
	s_delay_alu instid0(VALU_DEP_2) | instskip(NEXT) | instid1(VALU_DEP_1)
	v_or_b32_e32 v5, 0x70000000, v5
	v_mul_f32_e32 v5, 0x7800000, v5
	s_delay_alu instid0(VALU_DEP_1) | instskip(NEXT) | instid1(VALU_DEP_1)
	v_cndmask_b32_e32 v4, v5, v6, vcc_lo
	v_and_or_b32 v1, 0x80000000, v1, v4
	s_delay_alu instid0(VALU_DEP_1) | instskip(NEXT) | instid1(VALU_DEP_1)
	v_trunc_f32_e32 v1, v1
	v_mul_f32_e64 v4, 0x2f800000, |v1|
	s_delay_alu instid0(VALU_DEP_1) | instskip(NEXT) | instid1(VALU_DEP_1)
	v_floor_f32_e32 v4, v4
	v_fma_f32 v4, 0xcf800000, v4, |v1|
	v_ashrrev_i32_e32 v1, 31, v1
	s_delay_alu instid0(VALU_DEP_2) | instskip(NEXT) | instid1(VALU_DEP_1)
	v_cvt_u32_f32_e32 v4, v4
	v_xor_b32_e32 v4, v4, v1
	s_delay_alu instid0(VALU_DEP_1)
	v_sub_nc_u32_e32 v4, v4, v1
.LBB22_205:
	s_mov_b32 s25, 0
	s_mov_b32 s24, -1
.LBB22_206:
	s_and_not1_b32 vcc_lo, exec_lo, s25
	s_cbranch_vccnz .LBB22_219
; %bb.207:
	s_cmp_gt_i32 s17, 14
	s_cbranch_scc0 .LBB22_210
; %bb.208:
	s_cmp_eq_u32 s17, 15
	s_cbranch_scc0 .LBB22_213
; %bb.209:
	s_wait_loadcnt 0x0
	global_load_u16 v1, v[2:3], off
	s_mov_b32 s24, -1
	s_mov_b32 s19, 0
	s_wait_loadcnt 0x0
	v_lshlrev_b32_e32 v1, 16, v1
	s_delay_alu instid0(VALU_DEP_1) | instskip(NEXT) | instid1(VALU_DEP_1)
	v_trunc_f32_e32 v1, v1
	v_mul_f32_e64 v4, 0x2f800000, |v1|
	s_delay_alu instid0(VALU_DEP_1) | instskip(NEXT) | instid1(VALU_DEP_1)
	v_floor_f32_e32 v4, v4
	v_fma_f32 v4, 0xcf800000, v4, |v1|
	v_ashrrev_i32_e32 v1, 31, v1
	s_delay_alu instid0(VALU_DEP_2) | instskip(NEXT) | instid1(VALU_DEP_1)
	v_cvt_u32_f32_e32 v4, v4
	v_xor_b32_e32 v4, v4, v1
	s_delay_alu instid0(VALU_DEP_1)
	v_sub_nc_u32_e32 v4, v4, v1
	s_branch .LBB22_214
.LBB22_210:
	s_mov_b32 s25, -1
                                        ; implicit-def: $vgpr4
	s_branch .LBB22_215
.LBB22_211:
	s_and_not1_saveexec_b32 s24, s24
	s_cbranch_execz .LBB22_192
.LBB22_212:
	v_cmp_ne_u16_e32 vcc_lo, 0, v1
	s_and_not1_b32 s25, s25, exec_lo
	s_and_b32 s26, vcc_lo, exec_lo
	s_delay_alu instid0(SALU_CYCLE_1)
	s_or_b32 s25, s25, s26
	s_or_b32 exec_lo, exec_lo, s24
	v_mov_b32_e32 v4, 0
	s_and_saveexec_b32 s24, s25
	s_cbranch_execnz .LBB22_193
	s_branch .LBB22_194
.LBB22_213:
	s_mov_b32 s19, -1
                                        ; implicit-def: $vgpr4
.LBB22_214:
	s_mov_b32 s25, 0
.LBB22_215:
	s_delay_alu instid0(SALU_CYCLE_1)
	s_and_b32 vcc_lo, exec_lo, s25
	s_cbranch_vccz .LBB22_219
; %bb.216:
	s_cmp_eq_u32 s17, 11
	s_cbranch_scc0 .LBB22_218
; %bb.217:
	s_wait_loadcnt 0x0
	global_load_u8 v1, v[2:3], off
	s_mov_b32 s19, 0
	s_mov_b32 s24, -1
	s_wait_loadcnt 0x0
	v_cmp_ne_u16_e32 vcc_lo, 0, v1
	v_cndmask_b32_e64 v4, 0, 1, vcc_lo
	s_branch .LBB22_219
.LBB22_218:
	s_mov_b32 s19, -1
                                        ; implicit-def: $vgpr4
.LBB22_219:
	s_mov_b32 s17, 0
.LBB22_220:
	s_delay_alu instid0(SALU_CYCLE_1)
	s_and_b32 vcc_lo, exec_lo, s17
	s_cbranch_vccz .LBB22_269
; %bb.221:
	s_and_b32 s0, 0xffff, s0
	s_delay_alu instid0(SALU_CYCLE_1)
	s_cmp_lt_i32 s0, 5
	s_cbranch_scc1 .LBB22_226
; %bb.222:
	s_cmp_lt_i32 s0, 8
	s_cbranch_scc1 .LBB22_227
; %bb.223:
	s_cmp_lt_i32 s0, 9
	s_cbranch_scc1 .LBB22_228
; %bb.224:
	s_cmp_gt_i32 s0, 9
	s_cbranch_scc0 .LBB22_229
; %bb.225:
	s_wait_loadcnt 0x0
	global_load_b64 v[4:5], v[2:3], off
	s_mov_b32 s17, 0
	s_wait_loadcnt 0x0
	v_trunc_f64_e32 v[4:5], v[4:5]
	s_delay_alu instid0(VALU_DEP_1) | instskip(NEXT) | instid1(VALU_DEP_1)
	v_ldexp_f64 v[6:7], v[4:5], 0xffffffe0
	v_floor_f64_e32 v[6:7], v[6:7]
	s_delay_alu instid0(VALU_DEP_1) | instskip(NEXT) | instid1(VALU_DEP_1)
	v_fmamk_f64 v[4:5], v[6:7], 0xc1f00000, v[4:5]
	v_cvt_u32_f64_e32 v4, v[4:5]
	s_branch .LBB22_230
.LBB22_226:
	s_mov_b32 s17, -1
                                        ; implicit-def: $vgpr4
	s_branch .LBB22_248
.LBB22_227:
	s_mov_b32 s17, -1
                                        ; implicit-def: $vgpr4
	s_branch .LBB22_236
.LBB22_228:
	s_mov_b32 s17, -1
                                        ; implicit-def: $vgpr4
	s_branch .LBB22_233
.LBB22_229:
	s_mov_b32 s17, -1
                                        ; implicit-def: $vgpr4
.LBB22_230:
	s_delay_alu instid0(SALU_CYCLE_1)
	s_and_not1_b32 vcc_lo, exec_lo, s17
	s_cbranch_vccnz .LBB22_232
; %bb.231:
	s_wait_loadcnt 0x0
	global_load_b32 v1, v[2:3], off
	s_wait_loadcnt 0x0
	v_trunc_f32_e32 v1, v1
	s_delay_alu instid0(VALU_DEP_1) | instskip(NEXT) | instid1(VALU_DEP_1)
	v_mul_f32_e64 v4, 0x2f800000, |v1|
	v_floor_f32_e32 v4, v4
	s_delay_alu instid0(VALU_DEP_1) | instskip(SKIP_1) | instid1(VALU_DEP_2)
	v_fma_f32 v4, 0xcf800000, v4, |v1|
	v_ashrrev_i32_e32 v1, 31, v1
	v_cvt_u32_f32_e32 v4, v4
	s_delay_alu instid0(VALU_DEP_1) | instskip(NEXT) | instid1(VALU_DEP_1)
	v_xor_b32_e32 v4, v4, v1
	v_sub_nc_u32_e32 v4, v4, v1
.LBB22_232:
	s_mov_b32 s17, 0
.LBB22_233:
	s_delay_alu instid0(SALU_CYCLE_1)
	s_and_not1_b32 vcc_lo, exec_lo, s17
	s_cbranch_vccnz .LBB22_235
; %bb.234:
	s_wait_loadcnt 0x0
	global_load_b32 v1, v[2:3], off
	s_wait_loadcnt 0x0
	v_cvt_f32_f16_e32 v1, v1
	s_delay_alu instid0(VALU_DEP_1)
	v_cvt_i32_f32_e32 v4, v1
.LBB22_235:
	s_mov_b32 s17, 0
.LBB22_236:
	s_delay_alu instid0(SALU_CYCLE_1)
	s_and_not1_b32 vcc_lo, exec_lo, s17
	s_cbranch_vccnz .LBB22_247
; %bb.237:
	s_cmp_lt_i32 s0, 6
	s_cbranch_scc1 .LBB22_240
; %bb.238:
	s_cmp_gt_i32 s0, 6
	s_cbranch_scc0 .LBB22_241
; %bb.239:
	s_wait_loadcnt 0x0
	global_load_b64 v[4:5], v[2:3], off
	s_mov_b32 s17, 0
	s_wait_loadcnt 0x0
	v_trunc_f64_e32 v[4:5], v[4:5]
	s_delay_alu instid0(VALU_DEP_1) | instskip(NEXT) | instid1(VALU_DEP_1)
	v_ldexp_f64 v[6:7], v[4:5], 0xffffffe0
	v_floor_f64_e32 v[6:7], v[6:7]
	s_delay_alu instid0(VALU_DEP_1) | instskip(NEXT) | instid1(VALU_DEP_1)
	v_fmamk_f64 v[4:5], v[6:7], 0xc1f00000, v[4:5]
	v_cvt_u32_f64_e32 v4, v[4:5]
	s_branch .LBB22_242
.LBB22_240:
	s_mov_b32 s17, -1
                                        ; implicit-def: $vgpr4
	s_branch .LBB22_245
.LBB22_241:
	s_mov_b32 s17, -1
                                        ; implicit-def: $vgpr4
.LBB22_242:
	s_delay_alu instid0(SALU_CYCLE_1)
	s_and_not1_b32 vcc_lo, exec_lo, s17
	s_cbranch_vccnz .LBB22_244
; %bb.243:
	s_wait_loadcnt 0x0
	global_load_b32 v1, v[2:3], off
	s_wait_loadcnt 0x0
	v_trunc_f32_e32 v1, v1
	s_delay_alu instid0(VALU_DEP_1) | instskip(NEXT) | instid1(VALU_DEP_1)
	v_mul_f32_e64 v4, 0x2f800000, |v1|
	v_floor_f32_e32 v4, v4
	s_delay_alu instid0(VALU_DEP_1) | instskip(SKIP_1) | instid1(VALU_DEP_2)
	v_fma_f32 v4, 0xcf800000, v4, |v1|
	v_ashrrev_i32_e32 v1, 31, v1
	v_cvt_u32_f32_e32 v4, v4
	s_delay_alu instid0(VALU_DEP_1) | instskip(NEXT) | instid1(VALU_DEP_1)
	v_xor_b32_e32 v4, v4, v1
	v_sub_nc_u32_e32 v4, v4, v1
.LBB22_244:
	s_mov_b32 s17, 0
.LBB22_245:
	s_delay_alu instid0(SALU_CYCLE_1)
	s_and_not1_b32 vcc_lo, exec_lo, s17
	s_cbranch_vccnz .LBB22_247
; %bb.246:
	s_wait_loadcnt 0x0
	global_load_u16 v1, v[2:3], off
	s_wait_loadcnt 0x0
	v_cvt_f32_f16_e32 v1, v1
	s_delay_alu instid0(VALU_DEP_1)
	v_cvt_i32_f32_e32 v4, v1
.LBB22_247:
	s_mov_b32 s17, 0
.LBB22_248:
	s_delay_alu instid0(SALU_CYCLE_1)
	s_and_not1_b32 vcc_lo, exec_lo, s17
	s_cbranch_vccnz .LBB22_268
; %bb.249:
	s_cmp_lt_i32 s0, 2
	s_cbranch_scc1 .LBB22_253
; %bb.250:
	s_cmp_lt_i32 s0, 3
	s_cbranch_scc1 .LBB22_254
; %bb.251:
	s_cmp_gt_i32 s0, 3
	s_cbranch_scc0 .LBB22_255
; %bb.252:
	s_wait_loadcnt 0x0
	global_load_b64 v[4:5], v[2:3], off
	s_mov_b32 s17, 0
	s_branch .LBB22_256
.LBB22_253:
	s_mov_b32 s17, -1
                                        ; implicit-def: $vgpr4
	s_branch .LBB22_262
.LBB22_254:
	s_mov_b32 s17, -1
                                        ; implicit-def: $vgpr4
	s_branch .LBB22_259
.LBB22_255:
	s_mov_b32 s17, -1
                                        ; implicit-def: $vgpr4
.LBB22_256:
	s_delay_alu instid0(SALU_CYCLE_1)
	s_and_not1_b32 vcc_lo, exec_lo, s17
	s_cbranch_vccnz .LBB22_258
; %bb.257:
	s_wait_loadcnt 0x0
	global_load_b32 v4, v[2:3], off
.LBB22_258:
	s_mov_b32 s17, 0
.LBB22_259:
	s_delay_alu instid0(SALU_CYCLE_1)
	s_and_not1_b32 vcc_lo, exec_lo, s17
	s_cbranch_vccnz .LBB22_261
; %bb.260:
	s_wait_loadcnt 0x0
	global_load_u16 v4, v[2:3], off
.LBB22_261:
	s_mov_b32 s17, 0
.LBB22_262:
	s_delay_alu instid0(SALU_CYCLE_1)
	s_and_not1_b32 vcc_lo, exec_lo, s17
	s_cbranch_vccnz .LBB22_268
; %bb.263:
	s_cmp_gt_i32 s0, 0
	s_mov_b32 s0, 0
	s_cbranch_scc0 .LBB22_265
; %bb.264:
	s_wait_loadcnt 0x0
	global_load_u8 v4, v[2:3], off
	s_branch .LBB22_266
.LBB22_265:
	s_mov_b32 s0, -1
                                        ; implicit-def: $vgpr4
.LBB22_266:
	s_delay_alu instid0(SALU_CYCLE_1)
	s_and_not1_b32 vcc_lo, exec_lo, s0
	s_cbranch_vccnz .LBB22_268
; %bb.267:
	s_wait_loadcnt 0x0
	global_load_u8 v4, v[2:3], off
.LBB22_268:
	s_mov_b32 s24, -1
.LBB22_269:
	s_delay_alu instid0(SALU_CYCLE_1)
	s_and_not1_b32 vcc_lo, exec_lo, s24
	s_cbranch_vccnz .LBB22_277
; %bb.270:
	s_wait_xcnt 0x0
	v_mul_lo_u32 v2, v18, s14
	s_wait_loadcnt 0x0
	v_mul_lo_u16 v5, v0, s6
	s_and_b32 s17, s1, 0xff
	s_delay_alu instid0(SALU_CYCLE_1) | instskip(NEXT) | instid1(VALU_DEP_2)
	s_cmp_lt_i32 s17, 11
	v_ashrrev_i32_e32 v3, 31, v2
	s_delay_alu instid0(VALU_DEP_1)
	v_add_nc_u64_e32 v[0:1], s[2:3], v[2:3]
	v_mul_lo_u16 v2, v5, v4
	s_cbranch_scc1 .LBB22_278
; %bb.271:
	s_and_b32 s24, 0xffff, s17
	s_delay_alu instid0(SALU_CYCLE_1)
	s_cmp_gt_i32 s24, 25
	s_cbranch_scc0 .LBB22_279
; %bb.272:
	s_cmp_gt_i32 s24, 28
	s_cbranch_scc0 .LBB22_280
; %bb.273:
	;; [unrolled: 3-line block ×4, first 2 shown]
	s_mov_b32 s26, 0
	s_mov_b32 s0, -1
	s_cmp_eq_u32 s24, 46
	s_mov_b32 s25, 0
	s_cbranch_scc0 .LBB22_283
; %bb.276:
	v_cvt_f32_ubyte0_e32 v3, v2
	s_mov_b32 s25, -1
	s_mov_b32 s0, 0
	s_delay_alu instid0(VALU_DEP_1) | instskip(NEXT) | instid1(VALU_DEP_1)
	v_bfe_u32 v4, v3, 16, 1
	v_add3_u32 v3, v3, v4, 0x7fff
	s_delay_alu instid0(VALU_DEP_1)
	v_lshrrev_b32_e32 v3, 16, v3
	global_store_b32 v[0:1], v3, off
	s_branch .LBB22_283
.LBB22_277:
	s_mov_b32 s0, 0
	s_mov_b32 s24, 0
                                        ; implicit-def: $vgpr18
	s_branch .LBB22_393
.LBB22_278:
	s_mov_b32 s24, -1
	s_mov_b32 s0, 0
	s_mov_b32 s25, 0
	s_branch .LBB22_352
.LBB22_279:
	s_mov_b32 s26, -1
	s_mov_b32 s0, 0
	s_mov_b32 s25, 0
	s_branch .LBB22_310
.LBB22_280:
	s_mov_b32 s26, -1
	s_mov_b32 s0, 0
	s_mov_b32 s25, 0
	s_branch .LBB22_293
.LBB22_281:
	s_mov_b32 s26, -1
	s_mov_b32 s0, 0
	s_mov_b32 s25, 0
	s_branch .LBB22_289
.LBB22_282:
	s_mov_b32 s26, -1
	s_mov_b32 s0, 0
	s_mov_b32 s25, 0
.LBB22_283:
	s_and_b32 vcc_lo, exec_lo, s26
	s_cbranch_vccz .LBB22_288
; %bb.284:
	s_cmp_eq_u32 s24, 44
	s_mov_b32 s0, -1
	s_cbranch_scc0 .LBB22_288
; %bb.285:
	v_cvt_f32_ubyte0_e32 v5, v2
	s_mov_b32 s25, exec_lo
	s_wait_xcnt 0x0
	s_delay_alu instid0(VALU_DEP_1) | instskip(NEXT) | instid1(VALU_DEP_1)
	v_dual_mov_b32 v4, 0xff :: v_dual_lshrrev_b32 v3, 23, v5
	v_cmpx_ne_u32_e32 0xff, v3
; %bb.286:
	v_and_b32_e32 v4, 0x400000, v5
	v_and_or_b32 v5, 0x3fffff, v5, v3
	s_delay_alu instid0(VALU_DEP_2) | instskip(NEXT) | instid1(VALU_DEP_2)
	v_cmp_ne_u32_e32 vcc_lo, 0, v4
	v_cmp_ne_u32_e64 s0, 0, v5
	s_and_b32 s0, vcc_lo, s0
	s_delay_alu instid0(SALU_CYCLE_1) | instskip(NEXT) | instid1(VALU_DEP_1)
	v_cndmask_b32_e64 v4, 0, 1, s0
	v_add_nc_u32_e32 v4, v3, v4
; %bb.287:
	s_or_b32 exec_lo, exec_lo, s25
	s_mov_b32 s25, -1
	s_mov_b32 s0, 0
	global_store_b8 v[0:1], v4, off
.LBB22_288:
	s_mov_b32 s26, 0
.LBB22_289:
	s_delay_alu instid0(SALU_CYCLE_1)
	s_and_b32 vcc_lo, exec_lo, s26
	s_cbranch_vccz .LBB22_292
; %bb.290:
	s_cmp_eq_u32 s24, 29
	s_mov_b32 s0, -1
	s_cbranch_scc0 .LBB22_292
; %bb.291:
	s_wait_xcnt 0x0
	v_and_b32_e32 v4, 0xff, v2
	v_mov_b32_e32 v5, 0
	s_mov_b32 s25, -1
	s_mov_b32 s0, 0
	s_mov_b32 s26, 0
	global_store_b64 v[0:1], v[4:5], off
	s_branch .LBB22_293
.LBB22_292:
	s_mov_b32 s26, 0
.LBB22_293:
	s_delay_alu instid0(SALU_CYCLE_1)
	s_and_b32 vcc_lo, exec_lo, s26
	s_cbranch_vccz .LBB22_309
; %bb.294:
	s_cmp_lt_i32 s24, 27
	s_mov_b32 s25, -1
	s_cbranch_scc1 .LBB22_300
; %bb.295:
	s_cmp_gt_i32 s24, 27
	s_cbranch_scc0 .LBB22_297
; %bb.296:
	s_wait_xcnt 0x0
	v_and_b32_e32 v3, 0xff, v2
	s_mov_b32 s25, 0
	global_store_b32 v[0:1], v3, off
.LBB22_297:
	s_and_not1_b32 vcc_lo, exec_lo, s25
	s_cbranch_vccnz .LBB22_299
; %bb.298:
	s_wait_xcnt 0x0
	v_and_b32_e32 v3, 0xff, v2
	global_store_b16 v[0:1], v3, off
.LBB22_299:
	s_mov_b32 s25, 0
.LBB22_300:
	s_delay_alu instid0(SALU_CYCLE_1)
	s_and_not1_b32 vcc_lo, exec_lo, s25
	s_cbranch_vccnz .LBB22_308
; %bb.301:
	s_wait_xcnt 0x0
	v_cvt_f32_ubyte0_e32 v4, v2
	v_mov_b32_e32 v5, 0x80
	s_mov_b32 s25, exec_lo
	s_delay_alu instid0(VALU_DEP_2)
	v_cmpx_gt_u32_e32 0x43800000, v4
	s_cbranch_execz .LBB22_307
; %bb.302:
	s_mov_b32 s26, 0
	s_mov_b32 s27, exec_lo
                                        ; implicit-def: $vgpr3
	v_cmpx_lt_u32_e32 0x3bffffff, v4
	s_xor_b32 s27, exec_lo, s27
	s_cbranch_execz .LBB22_428
; %bb.303:
	v_bfe_u32 v3, v4, 20, 1
	s_mov_b32 s26, exec_lo
	s_delay_alu instid0(VALU_DEP_1) | instskip(NEXT) | instid1(VALU_DEP_1)
	v_add3_u32 v3, v4, v3, 0x487ffff
                                        ; implicit-def: $vgpr4
	v_lshrrev_b32_e32 v3, 20, v3
	s_and_not1_saveexec_b32 s27, s27
	s_cbranch_execnz .LBB22_429
.LBB22_304:
	s_or_b32 exec_lo, exec_lo, s27
	v_mov_b32_e32 v5, 0
	s_and_saveexec_b32 s27, s26
.LBB22_305:
	v_mov_b32_e32 v5, v3
.LBB22_306:
	s_or_b32 exec_lo, exec_lo, s27
.LBB22_307:
	s_delay_alu instid0(SALU_CYCLE_1)
	s_or_b32 exec_lo, exec_lo, s25
	global_store_b8 v[0:1], v5, off
.LBB22_308:
	s_mov_b32 s25, -1
.LBB22_309:
	s_mov_b32 s26, 0
.LBB22_310:
	s_delay_alu instid0(SALU_CYCLE_1)
	s_and_b32 vcc_lo, exec_lo, s26
	s_cbranch_vccz .LBB22_351
; %bb.311:
	s_cmp_gt_i32 s24, 22
	s_mov_b32 s26, -1
	s_cbranch_scc0 .LBB22_343
; %bb.312:
	s_cmp_lt_i32 s24, 24
	s_mov_b32 s25, -1
	s_cbranch_scc1 .LBB22_332
; %bb.313:
	s_cmp_gt_i32 s24, 24
	s_cbranch_scc0 .LBB22_321
; %bb.314:
	s_wait_xcnt 0x0
	v_cvt_f32_ubyte0_e32 v4, v2
	v_mov_b32_e32 v5, 0x80
	s_mov_b32 s25, exec_lo
	s_delay_alu instid0(VALU_DEP_2)
	v_cmpx_gt_u32_e32 0x47800000, v4
	s_cbranch_execz .LBB22_320
; %bb.315:
	s_mov_b32 s26, 0
	s_mov_b32 s27, exec_lo
                                        ; implicit-def: $vgpr3
	v_cmpx_lt_u32_e32 0x37ffffff, v4
	s_xor_b32 s27, exec_lo, s27
	s_cbranch_execz .LBB22_555
; %bb.316:
	v_bfe_u32 v3, v4, 21, 1
	s_mov_b32 s26, exec_lo
	s_delay_alu instid0(VALU_DEP_1) | instskip(NEXT) | instid1(VALU_DEP_1)
	v_add3_u32 v3, v4, v3, 0x88fffff
                                        ; implicit-def: $vgpr4
	v_lshrrev_b32_e32 v3, 21, v3
	s_and_not1_saveexec_b32 s27, s27
	s_cbranch_execnz .LBB22_556
.LBB22_317:
	s_or_b32 exec_lo, exec_lo, s27
	v_mov_b32_e32 v5, 0
	s_and_saveexec_b32 s27, s26
.LBB22_318:
	v_mov_b32_e32 v5, v3
.LBB22_319:
	s_or_b32 exec_lo, exec_lo, s27
.LBB22_320:
	s_delay_alu instid0(SALU_CYCLE_1)
	s_or_b32 exec_lo, exec_lo, s25
	s_mov_b32 s25, 0
	global_store_b8 v[0:1], v5, off
.LBB22_321:
	s_and_b32 vcc_lo, exec_lo, s25
	s_cbranch_vccz .LBB22_331
; %bb.322:
	s_wait_xcnt 0x0
	v_cvt_f32_ubyte0_e32 v4, v2
	s_mov_b32 s25, exec_lo
                                        ; implicit-def: $vgpr3
	s_delay_alu instid0(VALU_DEP_1)
	v_cmpx_gt_u32_e32 0x43f00000, v4
	s_xor_b32 s25, exec_lo, s25
	s_cbranch_execz .LBB22_328
; %bb.323:
	s_mov_b32 s26, exec_lo
                                        ; implicit-def: $vgpr3
	v_cmpx_lt_u32_e32 0x3c7fffff, v4
	s_xor_b32 s26, exec_lo, s26
; %bb.324:
	v_bfe_u32 v3, v4, 20, 1
	s_delay_alu instid0(VALU_DEP_1) | instskip(NEXT) | instid1(VALU_DEP_1)
	v_add3_u32 v3, v4, v3, 0x407ffff
	v_and_b32_e32 v4, 0xff00000, v3
	v_lshrrev_b32_e32 v3, 20, v3
	s_delay_alu instid0(VALU_DEP_2) | instskip(NEXT) | instid1(VALU_DEP_2)
	v_cmp_ne_u32_e32 vcc_lo, 0x7f00000, v4
                                        ; implicit-def: $vgpr4
	v_cndmask_b32_e32 v3, 0x7e, v3, vcc_lo
; %bb.325:
	s_and_not1_saveexec_b32 s26, s26
; %bb.326:
	v_add_f32_e32 v3, 0x46800000, v4
; %bb.327:
	s_or_b32 exec_lo, exec_lo, s26
                                        ; implicit-def: $vgpr4
.LBB22_328:
	s_and_not1_saveexec_b32 s25, s25
; %bb.329:
	v_mov_b32_e32 v3, 0x7f
	v_cmp_lt_u32_e32 vcc_lo, 0x7f800000, v4
	s_delay_alu instid0(VALU_DEP_2)
	v_cndmask_b32_e32 v3, 0x7e, v3, vcc_lo
; %bb.330:
	s_or_b32 exec_lo, exec_lo, s25
	global_store_b8 v[0:1], v3, off
.LBB22_331:
	s_mov_b32 s25, 0
.LBB22_332:
	s_delay_alu instid0(SALU_CYCLE_1)
	s_and_not1_b32 vcc_lo, exec_lo, s25
	s_cbranch_vccnz .LBB22_342
; %bb.333:
	s_wait_xcnt 0x0
	v_cvt_f32_ubyte0_e32 v4, v2
	s_mov_b32 s25, exec_lo
                                        ; implicit-def: $vgpr3
	s_delay_alu instid0(VALU_DEP_1)
	v_cmpx_gt_u32_e32 0x47800000, v4
	s_xor_b32 s25, exec_lo, s25
	s_cbranch_execz .LBB22_339
; %bb.334:
	s_mov_b32 s26, exec_lo
                                        ; implicit-def: $vgpr3
	v_cmpx_lt_u32_e32 0x387fffff, v4
	s_xor_b32 s26, exec_lo, s26
; %bb.335:
	v_bfe_u32 v3, v4, 21, 1
	s_delay_alu instid0(VALU_DEP_1) | instskip(NEXT) | instid1(VALU_DEP_1)
	v_add3_u32 v3, v4, v3, 0x80fffff
                                        ; implicit-def: $vgpr4
	v_lshrrev_b32_e32 v3, 21, v3
; %bb.336:
	s_and_not1_saveexec_b32 s26, s26
; %bb.337:
	v_add_f32_e32 v3, 0x43000000, v4
; %bb.338:
	s_or_b32 exec_lo, exec_lo, s26
                                        ; implicit-def: $vgpr4
.LBB22_339:
	s_and_not1_saveexec_b32 s25, s25
; %bb.340:
	v_mov_b32_e32 v3, 0x7f
	v_cmp_lt_u32_e32 vcc_lo, 0x7f800000, v4
	s_delay_alu instid0(VALU_DEP_2)
	v_cndmask_b32_e32 v3, 0x7c, v3, vcc_lo
; %bb.341:
	s_or_b32 exec_lo, exec_lo, s25
	global_store_b8 v[0:1], v3, off
.LBB22_342:
	s_mov_b32 s26, 0
	s_mov_b32 s25, -1
.LBB22_343:
	s_and_not1_b32 vcc_lo, exec_lo, s26
	s_cbranch_vccnz .LBB22_351
; %bb.344:
	s_cmp_gt_i32 s24, 14
	s_mov_b32 s26, -1
	s_cbranch_scc0 .LBB22_348
; %bb.345:
	s_cmp_eq_u32 s24, 15
	s_mov_b32 s0, -1
	s_cbranch_scc0 .LBB22_347
; %bb.346:
	s_wait_xcnt 0x0
	v_cvt_f32_ubyte0_e32 v3, v2
	s_mov_b32 s25, -1
	s_mov_b32 s0, 0
	s_delay_alu instid0(VALU_DEP_1) | instskip(NEXT) | instid1(VALU_DEP_1)
	v_bfe_u32 v4, v3, 16, 1
	v_add3_u32 v3, v3, v4, 0x7fff
	global_store_d16_hi_b16 v[0:1], v3, off
.LBB22_347:
	s_mov_b32 s26, 0
.LBB22_348:
	s_delay_alu instid0(SALU_CYCLE_1)
	s_and_b32 vcc_lo, exec_lo, s26
	s_cbranch_vccz .LBB22_351
; %bb.349:
	s_cmp_eq_u32 s24, 11
	s_mov_b32 s0, -1
	s_cbranch_scc0 .LBB22_351
; %bb.350:
	s_wait_xcnt 0x0
	v_and_b32_e32 v3, 0xff, v2
	s_mov_b32 s0, 0
	s_mov_b32 s25, -1
	s_delay_alu instid0(VALU_DEP_1)
	v_cmp_ne_u16_e32 vcc_lo, 0, v3
	v_cndmask_b32_e64 v3, 0, 1, vcc_lo
	global_store_b8 v[0:1], v3, off
.LBB22_351:
	s_mov_b32 s24, 0
.LBB22_352:
	s_delay_alu instid0(SALU_CYCLE_1)
	s_and_b32 vcc_lo, exec_lo, s24
	s_cbranch_vccz .LBB22_391
; %bb.353:
	s_and_b32 s17, 0xffff, s17
	s_mov_b32 s24, -1
	s_cmp_lt_i32 s17, 5
	s_cbranch_scc1 .LBB22_374
; %bb.354:
	s_cmp_lt_i32 s17, 8
	s_cbranch_scc1 .LBB22_364
; %bb.355:
	;; [unrolled: 3-line block ×3, first 2 shown]
	s_cmp_gt_i32 s17, 9
	s_cbranch_scc0 .LBB22_358
; %bb.357:
	s_wait_xcnt 0x0
	v_and_b32_e32 v3, 0xff, v2
	v_mov_b32_e32 v6, 0
	s_mov_b32 s24, 0
	s_delay_alu instid0(VALU_DEP_2) | instskip(NEXT) | instid1(VALU_DEP_2)
	v_and_b32_e32 v3, 0xffff, v3
	v_mov_b32_e32 v7, v6
	s_delay_alu instid0(VALU_DEP_2)
	v_cvt_f64_u32_e32 v[4:5], v3
	global_store_b128 v[0:1], v[4:7], off
.LBB22_358:
	s_and_not1_b32 vcc_lo, exec_lo, s24
	s_cbranch_vccnz .LBB22_360
; %bb.359:
	s_wait_xcnt 0x0
	v_cvt_f32_ubyte0_e32 v4, v2
	v_mov_b32_e32 v5, 0
	global_store_b64 v[0:1], v[4:5], off
.LBB22_360:
	s_mov_b32 s24, 0
.LBB22_361:
	s_delay_alu instid0(SALU_CYCLE_1)
	s_and_not1_b32 vcc_lo, exec_lo, s24
	s_cbranch_vccnz .LBB22_363
; %bb.362:
	s_wait_xcnt 0x0
	v_and_b32_e32 v3, 0xff, v2
	s_delay_alu instid0(VALU_DEP_1) | instskip(NEXT) | instid1(VALU_DEP_1)
	v_cvt_f16_u16_e32 v3, v3
	v_and_b32_e32 v3, 0xffff, v3
	global_store_b32 v[0:1], v3, off
.LBB22_363:
	s_mov_b32 s24, 0
.LBB22_364:
	s_delay_alu instid0(SALU_CYCLE_1)
	s_and_not1_b32 vcc_lo, exec_lo, s24
	s_cbranch_vccnz .LBB22_373
; %bb.365:
	s_cmp_lt_i32 s17, 6
	s_mov_b32 s24, -1
	s_cbranch_scc1 .LBB22_371
; %bb.366:
	s_cmp_gt_i32 s17, 6
	s_cbranch_scc0 .LBB22_368
; %bb.367:
	s_wait_xcnt 0x0
	v_and_b32_e32 v3, 0xff, v2
	s_mov_b32 s24, 0
	s_delay_alu instid0(VALU_DEP_1) | instskip(NEXT) | instid1(VALU_DEP_1)
	v_and_b32_e32 v3, 0xffff, v3
	v_cvt_f64_u32_e32 v[4:5], v3
	global_store_b64 v[0:1], v[4:5], off
.LBB22_368:
	s_and_not1_b32 vcc_lo, exec_lo, s24
	s_cbranch_vccnz .LBB22_370
; %bb.369:
	s_wait_xcnt 0x0
	v_cvt_f32_ubyte0_e32 v3, v2
	global_store_b32 v[0:1], v3, off
.LBB22_370:
	s_mov_b32 s24, 0
.LBB22_371:
	s_delay_alu instid0(SALU_CYCLE_1)
	s_and_not1_b32 vcc_lo, exec_lo, s24
	s_cbranch_vccnz .LBB22_373
; %bb.372:
	s_wait_xcnt 0x0
	v_and_b32_e32 v3, 0xff, v2
	s_delay_alu instid0(VALU_DEP_1)
	v_cvt_f16_u16_e32 v3, v3
	global_store_b16 v[0:1], v3, off
.LBB22_373:
	s_mov_b32 s24, 0
.LBB22_374:
	s_delay_alu instid0(SALU_CYCLE_1)
	s_and_not1_b32 vcc_lo, exec_lo, s24
	s_cbranch_vccnz .LBB22_390
; %bb.375:
	s_cmp_lt_i32 s17, 2
	s_mov_b32 s24, -1
	s_cbranch_scc1 .LBB22_385
; %bb.376:
	s_cmp_lt_i32 s17, 3
	s_cbranch_scc1 .LBB22_382
; %bb.377:
	s_cmp_gt_i32 s17, 3
	s_cbranch_scc0 .LBB22_379
; %bb.378:
	s_wait_xcnt 0x0
	v_and_b32_e32 v4, 0xff, v2
	v_mov_b32_e32 v5, 0
	s_mov_b32 s24, 0
	global_store_b64 v[0:1], v[4:5], off
.LBB22_379:
	s_and_not1_b32 vcc_lo, exec_lo, s24
	s_cbranch_vccnz .LBB22_381
; %bb.380:
	s_wait_xcnt 0x0
	v_and_b32_e32 v3, 0xff, v2
	global_store_b32 v[0:1], v3, off
.LBB22_381:
	s_mov_b32 s24, 0
.LBB22_382:
	s_delay_alu instid0(SALU_CYCLE_1)
	s_and_not1_b32 vcc_lo, exec_lo, s24
	s_cbranch_vccnz .LBB22_384
; %bb.383:
	s_wait_xcnt 0x0
	v_and_b32_e32 v3, 0xff, v2
	global_store_b16 v[0:1], v3, off
.LBB22_384:
	s_mov_b32 s24, 0
.LBB22_385:
	s_delay_alu instid0(SALU_CYCLE_1)
	s_and_not1_b32 vcc_lo, exec_lo, s24
	s_cbranch_vccnz .LBB22_390
; %bb.386:
	s_cmp_gt_i32 s17, 0
	s_mov_b32 s17, -1
	s_cbranch_scc0 .LBB22_388
; %bb.387:
	s_mov_b32 s17, 0
	global_store_b8 v[0:1], v2, off
.LBB22_388:
	s_and_not1_b32 vcc_lo, exec_lo, s17
	s_cbranch_vccnz .LBB22_390
; %bb.389:
	global_store_b8 v[0:1], v2, off
.LBB22_390:
	s_mov_b32 s25, -1
.LBB22_391:
	s_delay_alu instid0(SALU_CYCLE_1)
	s_and_not1_b32 vcc_lo, exec_lo, s25
	s_cbranch_vccnz .LBB22_27
; %bb.392:
	v_add_nc_u32_e32 v18, 0x80, v18
	s_mov_b32 s24, -1
.LBB22_393:
	s_and_b32 s17, s0, exec_lo
	s_and_b32 s19, s19, exec_lo
	;; [unrolled: 1-line block ×4, first 2 shown]
	s_or_not1_b32 s0, s24, exec_lo
.LBB22_394:
	s_wait_xcnt 0x0
	s_or_b32 exec_lo, exec_lo, s22
	s_and_saveexec_b32 s22, s0
	s_cbranch_execz .LBB22_1221
; %bb.395:
	s_mov_b32 s28, -1
	s_mov_b32 s23, s21
	s_mov_b32 s26, s20
	;; [unrolled: 1-line block ×4, first 2 shown]
	s_mov_b32 s27, exec_lo
	v_cmpx_gt_i32_e64 s18, v18
	s_cbranch_execz .LBB22_794
; %bb.396:
	s_and_b32 s23, s15, 0xff
	s_delay_alu instid0(SALU_CYCLE_1)
	s_cmp_lt_i32 s23, 23
	s_cbranch_scc1 .LBB22_400
; %bb.397:
	s_and_b32 s24, 0xffff, s23
	s_delay_alu instid0(SALU_CYCLE_1)
	s_cmp_gt_i32 s24, 43
	s_cbranch_scc0 .LBB22_401
; %bb.398:
	s_cmp_gt_i32 s24, 45
	s_cbranch_scc0 .LBB22_402
; %bb.399:
	s_cmp_eq_u32 s24, 46
	s_mov_b32 s25, 0
	s_cselect_b32 s0, -1, 0
	s_or_b32 s26, s21, exec_lo
	s_branch .LBB22_403
.LBB22_400:
	s_mov_b32 s0, 0
	s_mov_b32 s26, s21
	s_cbranch_execnz .LBB22_409
	s_branch .LBB22_413
.LBB22_401:
	s_mov_b32 s25, -1
	s_mov_b32 s0, 0
	s_mov_b32 s26, s21
	s_branch .LBB22_406
.LBB22_402:
	s_mov_b32 s25, -1
	s_mov_b32 s0, 0
	s_mov_b32 s26, s21
.LBB22_403:
	s_and_not1_b32 vcc_lo, exec_lo, s25
	s_cbranch_vccnz .LBB22_405
; %bb.404:
	s_cmp_eq_u32 s24, 44
	s_cselect_b32 s0, -1, 0
	s_cmp_lg_u32 s24, 44
	s_cselect_b32 s25, -1, 0
	s_and_not1_b32 s26, s26, exec_lo
	s_and_b32 s25, s25, exec_lo
	s_delay_alu instid0(SALU_CYCLE_1)
	s_or_b32 s26, s26, s25
.LBB22_405:
	s_mov_b32 s25, 0
.LBB22_406:
	s_delay_alu instid0(SALU_CYCLE_1)
	s_and_b32 vcc_lo, exec_lo, s25
	s_cbranch_vccz .LBB22_408
; %bb.407:
	s_cmp_lt_i32 s24, 30
	s_cselect_b32 s0, -1, 0
	s_cmp_gt_i32 s24, 29
	s_cselect_b32 s24, -1, 0
	s_and_not1_b32 s25, s26, exec_lo
	s_and_b32 s24, s24, exec_lo
	s_delay_alu instid0(SALU_CYCLE_1)
	s_or_b32 s26, s25, s24
.LBB22_408:
	s_branch .LBB22_413
.LBB22_409:
	s_and_b32 s23, 0xffff, s23
	s_mov_b32 s24, -1
	s_cmp_gt_i32 s23, 14
	s_cbranch_scc0 .LBB22_411
; %bb.410:
	s_cmp_eq_u32 s23, 15
	s_cselect_b32 s0, -1, 0
	s_cmp_lg_u32 s23, 15
	s_cselect_b32 s24, -1, 0
	s_and_not1_b32 s25, s26, exec_lo
	s_and_b32 s26, s24, exec_lo
	s_mov_b32 s24, 0
	s_or_b32 s26, s25, s26
.LBB22_411:
	s_and_not1_b32 vcc_lo, exec_lo, s24
	s_cbranch_vccnz .LBB22_413
; %bb.412:
	s_cmp_lt_i32 s23, 12
	s_cselect_b32 s0, -1, 0
	s_cmp_gt_i32 s23, 11
	s_cselect_b32 s23, -1, 0
	s_and_not1_b32 s24, s26, exec_lo
	s_and_b32 s23, s23, exec_lo
	s_delay_alu instid0(SALU_CYCLE_1)
	s_or_b32 s26, s24, s23
.LBB22_413:
	s_and_b32 vcc_lo, exec_lo, s0
	s_cbranch_vccz .LBB22_421
; %bb.414:
	s_wait_loadcnt 0x0
	v_mul_lo_u32 v0, v18, s4
	s_and_b32 s0, s12, 0xff
	s_delay_alu instid0(SALU_CYCLE_1) | instskip(NEXT) | instid1(VALU_DEP_1)
	s_cmp_lt_i32 s0, 11
	v_ashrrev_i32_e32 v1, 31, v0
	s_delay_alu instid0(VALU_DEP_1)
	v_add_nc_u64_e32 v[2:3], s[8:9], v[0:1]
	s_cbranch_scc1 .LBB22_423
; %bb.415:
	s_and_b32 s24, 0xffff, s0
	s_delay_alu instid0(SALU_CYCLE_1)
	s_cmp_gt_i32 s24, 25
	s_cbranch_scc0 .LBB22_424
; %bb.416:
	s_cmp_gt_i32 s24, 28
	s_cbranch_scc0 .LBB22_425
; %bb.417:
	s_cmp_gt_i32 s24, 43
	s_cbranch_scc0 .LBB22_426
; %bb.418:
	s_cmp_gt_i32 s24, 45
	s_cbranch_scc0 .LBB22_427
; %bb.419:
	s_cmp_eq_u32 s24, 46
	s_mov_b32 s26, 0
	s_cbranch_scc0 .LBB22_430
; %bb.420:
	global_load_b32 v0, v[2:3], off
	s_mov_b32 s25, -1
	s_mov_b32 s23, 0
	s_wait_loadcnt 0x0
	v_lshlrev_b32_e32 v0, 16, v0
	s_delay_alu instid0(VALU_DEP_1) | instskip(NEXT) | instid1(VALU_DEP_1)
	v_trunc_f32_e32 v0, v0
	v_mul_f32_e64 v1, 0x2f800000, |v0|
	s_delay_alu instid0(VALU_DEP_1) | instskip(NEXT) | instid1(VALU_DEP_1)
	v_floor_f32_e32 v1, v1
	v_fma_f32 v1, 0xcf800000, v1, |v0|
	v_ashrrev_i32_e32 v0, 31, v0
	s_delay_alu instid0(VALU_DEP_2) | instskip(NEXT) | instid1(VALU_DEP_1)
	v_cvt_u32_f32_e32 v1, v1
	v_xor_b32_e32 v1, v1, v0
	s_delay_alu instid0(VALU_DEP_1)
	v_sub_nc_u32_e32 v0, v1, v0
	s_branch .LBB22_432
.LBB22_421:
	s_mov_b32 s28, 0
	s_mov_b32 s0, s17
	;; [unrolled: 1-line block ×4, first 2 shown]
.LBB22_422:
                                        ; implicit-def: $vgpr18
	s_branch .LBB22_793
.LBB22_423:
	s_mov_b32 s24, -1
	s_mov_b32 s25, 0
	s_mov_b32 s23, s20
                                        ; implicit-def: $vgpr0
	s_branch .LBB22_493
.LBB22_424:
	s_mov_b32 s26, -1
	s_mov_b32 s25, 0
	s_mov_b32 s23, s20
                                        ; implicit-def: $vgpr0
	s_branch .LBB22_459
.LBB22_425:
	s_mov_b32 s26, -1
	s_mov_b32 s25, 0
	s_mov_b32 s23, s20
                                        ; implicit-def: $vgpr0
	s_branch .LBB22_442
.LBB22_426:
	s_mov_b32 s26, -1
	s_mov_b32 s25, 0
	s_mov_b32 s23, s20
                                        ; implicit-def: $vgpr0
	s_branch .LBB22_437
.LBB22_427:
	s_mov_b32 s26, -1
	s_mov_b32 s25, 0
	s_mov_b32 s23, s20
	s_branch .LBB22_431
.LBB22_428:
	s_and_not1_saveexec_b32 s27, s27
	s_cbranch_execz .LBB22_304
.LBB22_429:
	v_add_f32_e32 v3, 0x46000000, v4
	s_and_not1_b32 s26, s26, exec_lo
	s_delay_alu instid0(VALU_DEP_1) | instskip(NEXT) | instid1(VALU_DEP_1)
	v_and_b32_e32 v3, 0xff, v3
	v_cmp_ne_u32_e32 vcc_lo, 0, v3
	s_and_b32 s28, vcc_lo, exec_lo
	s_delay_alu instid0(SALU_CYCLE_1)
	s_or_b32 s26, s26, s28
	s_or_b32 exec_lo, exec_lo, s27
	v_mov_b32_e32 v5, 0
	s_and_saveexec_b32 s27, s26
	s_cbranch_execnz .LBB22_305
	s_branch .LBB22_306
.LBB22_430:
	s_mov_b32 s23, -1
	s_mov_b32 s25, 0
.LBB22_431:
                                        ; implicit-def: $vgpr0
.LBB22_432:
	s_and_b32 vcc_lo, exec_lo, s26
	s_cbranch_vccz .LBB22_436
; %bb.433:
	s_cmp_eq_u32 s24, 44
	s_cbranch_scc0 .LBB22_435
; %bb.434:
	global_load_u8 v0, v[2:3], off
	s_mov_b32 s23, 0
	s_mov_b32 s25, -1
	s_wait_loadcnt 0x0
	v_lshlrev_b32_e32 v1, 23, v0
	v_cmp_ne_u32_e32 vcc_lo, 0, v0
	s_delay_alu instid0(VALU_DEP_2) | instskip(NEXT) | instid1(VALU_DEP_1)
	v_trunc_f32_e32 v1, v1
	v_mul_f32_e64 v4, 0x2f800000, |v1|
	s_delay_alu instid0(VALU_DEP_1) | instskip(NEXT) | instid1(VALU_DEP_1)
	v_floor_f32_e32 v4, v4
	v_fma_f32 v4, 0xcf800000, v4, |v1|
	v_ashrrev_i32_e32 v1, 31, v1
	s_delay_alu instid0(VALU_DEP_2) | instskip(NEXT) | instid1(VALU_DEP_1)
	v_cvt_u32_f32_e32 v4, v4
	v_xor_b32_e32 v4, v4, v1
	s_delay_alu instid0(VALU_DEP_1) | instskip(NEXT) | instid1(VALU_DEP_1)
	v_sub_nc_u32_e32 v1, v4, v1
	v_cndmask_b32_e32 v0, 0, v1, vcc_lo
	s_branch .LBB22_436
.LBB22_435:
	s_mov_b32 s23, -1
                                        ; implicit-def: $vgpr0
.LBB22_436:
	s_mov_b32 s26, 0
.LBB22_437:
	s_delay_alu instid0(SALU_CYCLE_1)
	s_and_b32 vcc_lo, exec_lo, s26
	s_cbranch_vccz .LBB22_441
; %bb.438:
	s_cmp_eq_u32 s24, 29
	s_cbranch_scc0 .LBB22_440
; %bb.439:
	global_load_b64 v[0:1], v[2:3], off
	s_mov_b32 s25, -1
	s_mov_b32 s23, 0
	s_branch .LBB22_441
.LBB22_440:
	s_mov_b32 s23, -1
                                        ; implicit-def: $vgpr0
.LBB22_441:
	s_mov_b32 s26, 0
.LBB22_442:
	s_delay_alu instid0(SALU_CYCLE_1)
	s_and_b32 vcc_lo, exec_lo, s26
	s_cbranch_vccz .LBB22_458
; %bb.443:
	s_cmp_lt_i32 s24, 27
	s_cbranch_scc1 .LBB22_446
; %bb.444:
	s_cmp_gt_i32 s24, 27
	s_cbranch_scc0 .LBB22_447
; %bb.445:
	s_wait_loadcnt 0x0
	global_load_b32 v0, v[2:3], off
	s_mov_b32 s25, 0
	s_branch .LBB22_448
.LBB22_446:
	s_mov_b32 s25, -1
                                        ; implicit-def: $vgpr0
	s_branch .LBB22_451
.LBB22_447:
	s_mov_b32 s25, -1
                                        ; implicit-def: $vgpr0
.LBB22_448:
	s_delay_alu instid0(SALU_CYCLE_1)
	s_and_not1_b32 vcc_lo, exec_lo, s25
	s_cbranch_vccnz .LBB22_450
; %bb.449:
	s_wait_loadcnt 0x0
	global_load_u16 v0, v[2:3], off
.LBB22_450:
	s_mov_b32 s25, 0
.LBB22_451:
	s_delay_alu instid0(SALU_CYCLE_1)
	s_and_not1_b32 vcc_lo, exec_lo, s25
	s_cbranch_vccnz .LBB22_457
; %bb.452:
	s_wait_loadcnt 0x0
	global_load_u8 v1, v[2:3], off
	s_mov_b32 s26, 0
	s_mov_b32 s25, exec_lo
	s_wait_loadcnt 0x0
	v_cmpx_lt_i16_e32 0x7f, v1
	s_xor_b32 s25, exec_lo, s25
	s_cbranch_execz .LBB22_469
; %bb.453:
	v_cmp_ne_u16_e32 vcc_lo, 0x80, v1
	s_and_b32 s26, vcc_lo, exec_lo
	s_and_not1_saveexec_b32 s25, s25
	s_cbranch_execnz .LBB22_470
.LBB22_454:
	s_or_b32 exec_lo, exec_lo, s25
	v_mov_b32_e32 v0, 0
	s_and_saveexec_b32 s25, s26
	s_cbranch_execz .LBB22_456
.LBB22_455:
	v_and_b32_e32 v0, 0xffff, v1
	s_delay_alu instid0(VALU_DEP_1) | instskip(SKIP_1) | instid1(VALU_DEP_2)
	v_and_b32_e32 v4, 7, v0
	v_bfe_u32 v7, v0, 3, 4
	v_clz_i32_u32_e32 v5, v4
	s_delay_alu instid0(VALU_DEP_2) | instskip(NEXT) | instid1(VALU_DEP_2)
	v_cmp_eq_u32_e32 vcc_lo, 0, v7
	v_min_u32_e32 v5, 32, v5
	s_delay_alu instid0(VALU_DEP_1) | instskip(NEXT) | instid1(VALU_DEP_1)
	v_subrev_nc_u32_e32 v6, 28, v5
	v_dual_lshlrev_b32 v0, v6, v0 :: v_dual_sub_nc_u32 v5, 29, v5
	s_delay_alu instid0(VALU_DEP_1) | instskip(NEXT) | instid1(VALU_DEP_1)
	v_dual_lshlrev_b32 v1, 24, v1 :: v_dual_bitop2_b32 v0, 7, v0 bitop3:0x40
	v_dual_cndmask_b32 v0, v4, v0 :: v_dual_cndmask_b32 v5, v7, v5
	s_delay_alu instid0(VALU_DEP_2) | instskip(NEXT) | instid1(VALU_DEP_2)
	v_and_b32_e32 v1, 0x80000000, v1
	v_lshlrev_b32_e32 v0, 20, v0
	s_delay_alu instid0(VALU_DEP_3) | instskip(NEXT) | instid1(VALU_DEP_1)
	v_lshl_add_u32 v4, v5, 23, 0x3b800000
	v_or3_b32 v0, v1, v4, v0
	s_delay_alu instid0(VALU_DEP_1) | instskip(NEXT) | instid1(VALU_DEP_1)
	v_trunc_f32_e32 v0, v0
	v_mul_f32_e64 v1, 0x2f800000, |v0|
	s_delay_alu instid0(VALU_DEP_1) | instskip(NEXT) | instid1(VALU_DEP_1)
	v_floor_f32_e32 v1, v1
	v_fma_f32 v1, 0xcf800000, v1, |v0|
	v_ashrrev_i32_e32 v0, 31, v0
	s_delay_alu instid0(VALU_DEP_2) | instskip(NEXT) | instid1(VALU_DEP_1)
	v_cvt_u32_f32_e32 v1, v1
	v_xor_b32_e32 v1, v1, v0
	s_delay_alu instid0(VALU_DEP_1)
	v_sub_nc_u32_e32 v0, v1, v0
.LBB22_456:
	s_or_b32 exec_lo, exec_lo, s25
.LBB22_457:
	s_mov_b32 s25, -1
.LBB22_458:
	s_mov_b32 s26, 0
.LBB22_459:
	s_delay_alu instid0(SALU_CYCLE_1)
	s_and_b32 vcc_lo, exec_lo, s26
	s_cbranch_vccz .LBB22_492
; %bb.460:
	s_cmp_gt_i32 s24, 22
	s_cbranch_scc0 .LBB22_468
; %bb.461:
	s_cmp_lt_i32 s24, 24
	s_cbranch_scc1 .LBB22_471
; %bb.462:
	s_cmp_gt_i32 s24, 24
	s_cbranch_scc0 .LBB22_472
; %bb.463:
	s_wait_loadcnt 0x0
	global_load_u8 v1, v[2:3], off
	s_mov_b32 s26, 0
	s_mov_b32 s25, exec_lo
	s_wait_loadcnt 0x0
	v_cmpx_lt_i16_e32 0x7f, v1
	s_xor_b32 s25, exec_lo, s25
	s_cbranch_execz .LBB22_484
; %bb.464:
	v_cmp_ne_u16_e32 vcc_lo, 0x80, v1
	s_and_b32 s26, vcc_lo, exec_lo
	s_and_not1_saveexec_b32 s25, s25
	s_cbranch_execnz .LBB22_485
.LBB22_465:
	s_or_b32 exec_lo, exec_lo, s25
	v_mov_b32_e32 v0, 0
	s_and_saveexec_b32 s25, s26
	s_cbranch_execz .LBB22_467
.LBB22_466:
	v_and_b32_e32 v0, 0xffff, v1
	s_delay_alu instid0(VALU_DEP_1) | instskip(SKIP_1) | instid1(VALU_DEP_2)
	v_and_b32_e32 v4, 3, v0
	v_bfe_u32 v7, v0, 2, 5
	v_clz_i32_u32_e32 v5, v4
	s_delay_alu instid0(VALU_DEP_2) | instskip(NEXT) | instid1(VALU_DEP_2)
	v_cmp_eq_u32_e32 vcc_lo, 0, v7
	v_min_u32_e32 v5, 32, v5
	s_delay_alu instid0(VALU_DEP_1) | instskip(NEXT) | instid1(VALU_DEP_1)
	v_subrev_nc_u32_e32 v6, 29, v5
	v_dual_lshlrev_b32 v0, v6, v0 :: v_dual_sub_nc_u32 v5, 30, v5
	s_delay_alu instid0(VALU_DEP_1) | instskip(NEXT) | instid1(VALU_DEP_1)
	v_dual_lshlrev_b32 v1, 24, v1 :: v_dual_bitop2_b32 v0, 3, v0 bitop3:0x40
	v_dual_cndmask_b32 v0, v4, v0 :: v_dual_cndmask_b32 v5, v7, v5
	s_delay_alu instid0(VALU_DEP_2) | instskip(NEXT) | instid1(VALU_DEP_2)
	v_and_b32_e32 v1, 0x80000000, v1
	v_lshlrev_b32_e32 v0, 21, v0
	s_delay_alu instid0(VALU_DEP_3) | instskip(NEXT) | instid1(VALU_DEP_1)
	v_lshl_add_u32 v4, v5, 23, 0x37800000
	v_or3_b32 v0, v1, v4, v0
	s_delay_alu instid0(VALU_DEP_1) | instskip(NEXT) | instid1(VALU_DEP_1)
	v_trunc_f32_e32 v0, v0
	v_mul_f32_e64 v1, 0x2f800000, |v0|
	s_delay_alu instid0(VALU_DEP_1) | instskip(NEXT) | instid1(VALU_DEP_1)
	v_floor_f32_e32 v1, v1
	v_fma_f32 v1, 0xcf800000, v1, |v0|
	v_ashrrev_i32_e32 v0, 31, v0
	s_delay_alu instid0(VALU_DEP_2) | instskip(NEXT) | instid1(VALU_DEP_1)
	v_cvt_u32_f32_e32 v1, v1
	v_xor_b32_e32 v1, v1, v0
	s_delay_alu instid0(VALU_DEP_1)
	v_sub_nc_u32_e32 v0, v1, v0
.LBB22_467:
	s_or_b32 exec_lo, exec_lo, s25
	s_mov_b32 s25, 0
	s_branch .LBB22_473
.LBB22_468:
	s_mov_b32 s26, -1
                                        ; implicit-def: $vgpr0
	s_branch .LBB22_479
.LBB22_469:
	s_and_not1_saveexec_b32 s25, s25
	s_cbranch_execz .LBB22_454
.LBB22_470:
	v_cmp_ne_u16_e32 vcc_lo, 0, v1
	s_and_not1_b32 s26, s26, exec_lo
	s_and_b32 s28, vcc_lo, exec_lo
	s_delay_alu instid0(SALU_CYCLE_1)
	s_or_b32 s26, s26, s28
	s_or_b32 exec_lo, exec_lo, s25
	v_mov_b32_e32 v0, 0
	s_and_saveexec_b32 s25, s26
	s_cbranch_execnz .LBB22_455
	s_branch .LBB22_456
.LBB22_471:
	s_mov_b32 s25, -1
                                        ; implicit-def: $vgpr0
	s_branch .LBB22_476
.LBB22_472:
	s_mov_b32 s25, -1
                                        ; implicit-def: $vgpr0
.LBB22_473:
	s_delay_alu instid0(SALU_CYCLE_1)
	s_and_b32 vcc_lo, exec_lo, s25
	s_cbranch_vccz .LBB22_475
; %bb.474:
	s_wait_loadcnt 0x0
	global_load_u8 v0, v[2:3], off
	s_wait_loadcnt 0x0
	v_lshlrev_b32_e32 v0, 24, v0
	s_delay_alu instid0(VALU_DEP_1) | instskip(NEXT) | instid1(VALU_DEP_1)
	v_and_b32_e32 v1, 0x7f000000, v0
	v_clz_i32_u32_e32 v4, v1
	v_cmp_ne_u32_e32 vcc_lo, 0, v1
	v_add_nc_u32_e32 v6, 0x1000000, v1
	s_delay_alu instid0(VALU_DEP_3) | instskip(NEXT) | instid1(VALU_DEP_1)
	v_min_u32_e32 v4, 32, v4
	v_sub_nc_u32_e64 v4, v4, 4 clamp
	s_delay_alu instid0(VALU_DEP_1) | instskip(NEXT) | instid1(VALU_DEP_1)
	v_dual_lshlrev_b32 v5, v4, v1 :: v_dual_lshlrev_b32 v4, 23, v4
	v_lshrrev_b32_e32 v5, 4, v5
	s_delay_alu instid0(VALU_DEP_1) | instskip(NEXT) | instid1(VALU_DEP_1)
	v_dual_sub_nc_u32 v4, v5, v4 :: v_dual_ashrrev_i32 v5, 8, v6
	v_add_nc_u32_e32 v4, 0x3c000000, v4
	s_delay_alu instid0(VALU_DEP_1) | instskip(NEXT) | instid1(VALU_DEP_1)
	v_and_or_b32 v4, 0x7f800000, v5, v4
	v_cndmask_b32_e32 v1, 0, v4, vcc_lo
	s_delay_alu instid0(VALU_DEP_1) | instskip(NEXT) | instid1(VALU_DEP_1)
	v_and_or_b32 v0, 0x80000000, v0, v1
	v_trunc_f32_e32 v0, v0
	s_delay_alu instid0(VALU_DEP_1) | instskip(NEXT) | instid1(VALU_DEP_1)
	v_mul_f32_e64 v1, 0x2f800000, |v0|
	v_floor_f32_e32 v1, v1
	s_delay_alu instid0(VALU_DEP_1) | instskip(SKIP_1) | instid1(VALU_DEP_2)
	v_fma_f32 v1, 0xcf800000, v1, |v0|
	v_ashrrev_i32_e32 v0, 31, v0
	v_cvt_u32_f32_e32 v1, v1
	s_delay_alu instid0(VALU_DEP_1) | instskip(NEXT) | instid1(VALU_DEP_1)
	v_xor_b32_e32 v1, v1, v0
	v_sub_nc_u32_e32 v0, v1, v0
.LBB22_475:
	s_mov_b32 s25, 0
.LBB22_476:
	s_delay_alu instid0(SALU_CYCLE_1)
	s_and_not1_b32 vcc_lo, exec_lo, s25
	s_cbranch_vccnz .LBB22_478
; %bb.477:
	s_wait_loadcnt 0x0
	global_load_u8 v0, v[2:3], off
	s_wait_loadcnt 0x0
	v_lshlrev_b32_e32 v1, 25, v0
	v_lshlrev_b16 v0, 8, v0
	s_delay_alu instid0(VALU_DEP_1) | instskip(SKIP_1) | instid1(VALU_DEP_2)
	v_and_or_b32 v5, 0x7f00, v0, 0.5
	v_bfe_i32 v0, v0, 0, 16
	v_add_f32_e32 v5, -0.5, v5
	v_lshrrev_b32_e32 v4, 4, v1
	v_cmp_gt_u32_e32 vcc_lo, 0x8000000, v1
	s_delay_alu instid0(VALU_DEP_2) | instskip(NEXT) | instid1(VALU_DEP_1)
	v_or_b32_e32 v4, 0x70000000, v4
	v_mul_f32_e32 v4, 0x7800000, v4
	s_delay_alu instid0(VALU_DEP_1) | instskip(NEXT) | instid1(VALU_DEP_1)
	v_cndmask_b32_e32 v1, v4, v5, vcc_lo
	v_and_or_b32 v0, 0x80000000, v0, v1
	s_delay_alu instid0(VALU_DEP_1) | instskip(NEXT) | instid1(VALU_DEP_1)
	v_trunc_f32_e32 v0, v0
	v_mul_f32_e64 v1, 0x2f800000, |v0|
	s_delay_alu instid0(VALU_DEP_1) | instskip(NEXT) | instid1(VALU_DEP_1)
	v_floor_f32_e32 v1, v1
	v_fma_f32 v1, 0xcf800000, v1, |v0|
	v_ashrrev_i32_e32 v0, 31, v0
	s_delay_alu instid0(VALU_DEP_2) | instskip(NEXT) | instid1(VALU_DEP_1)
	v_cvt_u32_f32_e32 v1, v1
	v_xor_b32_e32 v1, v1, v0
	s_delay_alu instid0(VALU_DEP_1)
	v_sub_nc_u32_e32 v0, v1, v0
.LBB22_478:
	s_mov_b32 s26, 0
	s_mov_b32 s25, -1
.LBB22_479:
	s_and_not1_b32 vcc_lo, exec_lo, s26
	s_cbranch_vccnz .LBB22_492
; %bb.480:
	s_cmp_gt_i32 s24, 14
	s_cbranch_scc0 .LBB22_483
; %bb.481:
	s_cmp_eq_u32 s24, 15
	s_cbranch_scc0 .LBB22_486
; %bb.482:
	s_wait_loadcnt 0x0
	global_load_u16 v0, v[2:3], off
	s_mov_b32 s25, -1
	s_mov_b32 s23, 0
	s_wait_loadcnt 0x0
	v_lshlrev_b32_e32 v0, 16, v0
	s_delay_alu instid0(VALU_DEP_1) | instskip(NEXT) | instid1(VALU_DEP_1)
	v_trunc_f32_e32 v0, v0
	v_mul_f32_e64 v1, 0x2f800000, |v0|
	s_delay_alu instid0(VALU_DEP_1) | instskip(NEXT) | instid1(VALU_DEP_1)
	v_floor_f32_e32 v1, v1
	v_fma_f32 v1, 0xcf800000, v1, |v0|
	v_ashrrev_i32_e32 v0, 31, v0
	s_delay_alu instid0(VALU_DEP_2) | instskip(NEXT) | instid1(VALU_DEP_1)
	v_cvt_u32_f32_e32 v1, v1
	v_xor_b32_e32 v1, v1, v0
	s_delay_alu instid0(VALU_DEP_1)
	v_sub_nc_u32_e32 v0, v1, v0
	s_branch .LBB22_487
.LBB22_483:
	s_mov_b32 s26, -1
                                        ; implicit-def: $vgpr0
	s_branch .LBB22_488
.LBB22_484:
	s_and_not1_saveexec_b32 s25, s25
	s_cbranch_execz .LBB22_465
.LBB22_485:
	v_cmp_ne_u16_e32 vcc_lo, 0, v1
	s_and_not1_b32 s26, s26, exec_lo
	s_and_b32 s28, vcc_lo, exec_lo
	s_delay_alu instid0(SALU_CYCLE_1)
	s_or_b32 s26, s26, s28
	s_or_b32 exec_lo, exec_lo, s25
	v_mov_b32_e32 v0, 0
	s_and_saveexec_b32 s25, s26
	s_cbranch_execnz .LBB22_466
	s_branch .LBB22_467
.LBB22_486:
	s_mov_b32 s23, -1
                                        ; implicit-def: $vgpr0
.LBB22_487:
	s_mov_b32 s26, 0
.LBB22_488:
	s_delay_alu instid0(SALU_CYCLE_1)
	s_and_b32 vcc_lo, exec_lo, s26
	s_cbranch_vccz .LBB22_492
; %bb.489:
	s_cmp_eq_u32 s24, 11
	s_cbranch_scc0 .LBB22_491
; %bb.490:
	s_wait_loadcnt 0x0
	global_load_u8 v0, v[2:3], off
	s_mov_b32 s23, 0
	s_mov_b32 s25, -1
	s_wait_loadcnt 0x0
	v_cmp_ne_u16_e32 vcc_lo, 0, v0
	v_cndmask_b32_e64 v0, 0, 1, vcc_lo
	s_branch .LBB22_492
.LBB22_491:
	s_mov_b32 s23, -1
                                        ; implicit-def: $vgpr0
.LBB22_492:
	s_mov_b32 s24, 0
.LBB22_493:
	s_delay_alu instid0(SALU_CYCLE_1)
	s_and_b32 vcc_lo, exec_lo, s24
	s_cbranch_vccz .LBB22_542
; %bb.494:
	s_and_b32 s0, 0xffff, s0
	s_delay_alu instid0(SALU_CYCLE_1)
	s_cmp_lt_i32 s0, 5
	s_cbranch_scc1 .LBB22_499
; %bb.495:
	s_cmp_lt_i32 s0, 8
	s_cbranch_scc1 .LBB22_500
; %bb.496:
	;; [unrolled: 3-line block ×3, first 2 shown]
	s_cmp_gt_i32 s0, 9
	s_cbranch_scc0 .LBB22_502
; %bb.498:
	s_wait_loadcnt 0x0
	global_load_b64 v[0:1], v[2:3], off
	s_mov_b32 s24, 0
	s_wait_loadcnt 0x0
	v_trunc_f64_e32 v[0:1], v[0:1]
	s_delay_alu instid0(VALU_DEP_1) | instskip(NEXT) | instid1(VALU_DEP_1)
	v_ldexp_f64 v[4:5], v[0:1], 0xffffffe0
	v_floor_f64_e32 v[4:5], v[4:5]
	s_delay_alu instid0(VALU_DEP_1) | instskip(NEXT) | instid1(VALU_DEP_1)
	v_fmamk_f64 v[0:1], v[4:5], 0xc1f00000, v[0:1]
	v_cvt_u32_f64_e32 v0, v[0:1]
	s_branch .LBB22_503
.LBB22_499:
	s_mov_b32 s24, -1
                                        ; implicit-def: $vgpr0
	s_branch .LBB22_521
.LBB22_500:
	s_mov_b32 s24, -1
                                        ; implicit-def: $vgpr0
	s_branch .LBB22_509
.LBB22_501:
	s_mov_b32 s24, -1
                                        ; implicit-def: $vgpr0
	s_branch .LBB22_506
.LBB22_502:
	s_mov_b32 s24, -1
                                        ; implicit-def: $vgpr0
.LBB22_503:
	s_delay_alu instid0(SALU_CYCLE_1)
	s_and_not1_b32 vcc_lo, exec_lo, s24
	s_cbranch_vccnz .LBB22_505
; %bb.504:
	s_wait_loadcnt 0x0
	global_load_b32 v0, v[2:3], off
	s_wait_loadcnt 0x0
	v_trunc_f32_e32 v0, v0
	s_delay_alu instid0(VALU_DEP_1) | instskip(NEXT) | instid1(VALU_DEP_1)
	v_mul_f32_e64 v1, 0x2f800000, |v0|
	v_floor_f32_e32 v1, v1
	s_delay_alu instid0(VALU_DEP_1) | instskip(SKIP_1) | instid1(VALU_DEP_2)
	v_fma_f32 v1, 0xcf800000, v1, |v0|
	v_ashrrev_i32_e32 v0, 31, v0
	v_cvt_u32_f32_e32 v1, v1
	s_delay_alu instid0(VALU_DEP_1) | instskip(NEXT) | instid1(VALU_DEP_1)
	v_xor_b32_e32 v1, v1, v0
	v_sub_nc_u32_e32 v0, v1, v0
.LBB22_505:
	s_mov_b32 s24, 0
.LBB22_506:
	s_delay_alu instid0(SALU_CYCLE_1)
	s_and_not1_b32 vcc_lo, exec_lo, s24
	s_cbranch_vccnz .LBB22_508
; %bb.507:
	s_wait_loadcnt 0x0
	global_load_b32 v0, v[2:3], off
	s_wait_loadcnt 0x0
	v_cvt_f32_f16_e32 v0, v0
	s_delay_alu instid0(VALU_DEP_1)
	v_cvt_i32_f32_e32 v0, v0
.LBB22_508:
	s_mov_b32 s24, 0
.LBB22_509:
	s_delay_alu instid0(SALU_CYCLE_1)
	s_and_not1_b32 vcc_lo, exec_lo, s24
	s_cbranch_vccnz .LBB22_520
; %bb.510:
	s_cmp_lt_i32 s0, 6
	s_cbranch_scc1 .LBB22_513
; %bb.511:
	s_cmp_gt_i32 s0, 6
	s_cbranch_scc0 .LBB22_514
; %bb.512:
	s_wait_loadcnt 0x0
	global_load_b64 v[0:1], v[2:3], off
	s_mov_b32 s24, 0
	s_wait_loadcnt 0x0
	v_trunc_f64_e32 v[0:1], v[0:1]
	s_delay_alu instid0(VALU_DEP_1) | instskip(NEXT) | instid1(VALU_DEP_1)
	v_ldexp_f64 v[4:5], v[0:1], 0xffffffe0
	v_floor_f64_e32 v[4:5], v[4:5]
	s_delay_alu instid0(VALU_DEP_1) | instskip(NEXT) | instid1(VALU_DEP_1)
	v_fmamk_f64 v[0:1], v[4:5], 0xc1f00000, v[0:1]
	v_cvt_u32_f64_e32 v0, v[0:1]
	s_branch .LBB22_515
.LBB22_513:
	s_mov_b32 s24, -1
                                        ; implicit-def: $vgpr0
	s_branch .LBB22_518
.LBB22_514:
	s_mov_b32 s24, -1
                                        ; implicit-def: $vgpr0
.LBB22_515:
	s_delay_alu instid0(SALU_CYCLE_1)
	s_and_not1_b32 vcc_lo, exec_lo, s24
	s_cbranch_vccnz .LBB22_517
; %bb.516:
	s_wait_loadcnt 0x0
	global_load_b32 v0, v[2:3], off
	s_wait_loadcnt 0x0
	v_trunc_f32_e32 v0, v0
	s_delay_alu instid0(VALU_DEP_1) | instskip(NEXT) | instid1(VALU_DEP_1)
	v_mul_f32_e64 v1, 0x2f800000, |v0|
	v_floor_f32_e32 v1, v1
	s_delay_alu instid0(VALU_DEP_1) | instskip(SKIP_1) | instid1(VALU_DEP_2)
	v_fma_f32 v1, 0xcf800000, v1, |v0|
	v_ashrrev_i32_e32 v0, 31, v0
	v_cvt_u32_f32_e32 v1, v1
	s_delay_alu instid0(VALU_DEP_1) | instskip(NEXT) | instid1(VALU_DEP_1)
	v_xor_b32_e32 v1, v1, v0
	v_sub_nc_u32_e32 v0, v1, v0
.LBB22_517:
	s_mov_b32 s24, 0
.LBB22_518:
	s_delay_alu instid0(SALU_CYCLE_1)
	s_and_not1_b32 vcc_lo, exec_lo, s24
	s_cbranch_vccnz .LBB22_520
; %bb.519:
	s_wait_loadcnt 0x0
	global_load_u16 v0, v[2:3], off
	s_wait_loadcnt 0x0
	v_cvt_f32_f16_e32 v0, v0
	s_delay_alu instid0(VALU_DEP_1)
	v_cvt_i32_f32_e32 v0, v0
.LBB22_520:
	s_mov_b32 s24, 0
.LBB22_521:
	s_delay_alu instid0(SALU_CYCLE_1)
	s_and_not1_b32 vcc_lo, exec_lo, s24
	s_cbranch_vccnz .LBB22_541
; %bb.522:
	s_cmp_lt_i32 s0, 2
	s_cbranch_scc1 .LBB22_526
; %bb.523:
	s_cmp_lt_i32 s0, 3
	s_cbranch_scc1 .LBB22_527
; %bb.524:
	s_cmp_gt_i32 s0, 3
	s_cbranch_scc0 .LBB22_528
; %bb.525:
	s_wait_loadcnt 0x0
	global_load_b64 v[0:1], v[2:3], off
	s_mov_b32 s24, 0
	s_branch .LBB22_529
.LBB22_526:
	s_mov_b32 s24, -1
                                        ; implicit-def: $vgpr0
	s_branch .LBB22_535
.LBB22_527:
	s_mov_b32 s24, -1
                                        ; implicit-def: $vgpr0
	s_branch .LBB22_532
.LBB22_528:
	s_mov_b32 s24, -1
                                        ; implicit-def: $vgpr0
.LBB22_529:
	s_delay_alu instid0(SALU_CYCLE_1)
	s_and_not1_b32 vcc_lo, exec_lo, s24
	s_cbranch_vccnz .LBB22_531
; %bb.530:
	s_wait_loadcnt 0x0
	global_load_b32 v0, v[2:3], off
.LBB22_531:
	s_mov_b32 s24, 0
.LBB22_532:
	s_delay_alu instid0(SALU_CYCLE_1)
	s_and_not1_b32 vcc_lo, exec_lo, s24
	s_cbranch_vccnz .LBB22_534
; %bb.533:
	s_wait_loadcnt 0x0
	global_load_u16 v0, v[2:3], off
.LBB22_534:
	s_mov_b32 s24, 0
.LBB22_535:
	s_delay_alu instid0(SALU_CYCLE_1)
	s_and_not1_b32 vcc_lo, exec_lo, s24
	s_cbranch_vccnz .LBB22_541
; %bb.536:
	s_cmp_gt_i32 s0, 0
	s_mov_b32 s0, 0
	s_cbranch_scc0 .LBB22_538
; %bb.537:
	s_wait_loadcnt 0x0
	global_load_u8 v0, v[2:3], off
	s_branch .LBB22_539
.LBB22_538:
	s_mov_b32 s0, -1
                                        ; implicit-def: $vgpr0
.LBB22_539:
	s_delay_alu instid0(SALU_CYCLE_1)
	s_and_not1_b32 vcc_lo, exec_lo, s0
	s_cbranch_vccnz .LBB22_541
; %bb.540:
	s_wait_loadcnt 0x0
	global_load_u8 v0, v[2:3], off
.LBB22_541:
	s_mov_b32 s25, -1
.LBB22_542:
	s_mov_b32 s26, 0
	s_mov_b32 s0, s17
	s_and_not1_b32 vcc_lo, exec_lo, s25
	s_mov_b32 s24, s19
	s_mov_b32 s28, 0
	s_cbranch_vccnz .LBB22_793
; %bb.543:
	s_wait_xcnt 0x0
	v_mul_lo_u32 v2, v18, s5
	s_and_b32 s0, s7, 0xff
	s_delay_alu instid0(SALU_CYCLE_1) | instskip(NEXT) | instid1(VALU_DEP_1)
	s_cmp_lt_i32 s0, 11
	v_ashrrev_i32_e32 v3, 31, v2
	s_delay_alu instid0(VALU_DEP_1)
	v_add_nc_u64_e32 v[2:3], s[10:11], v[2:3]
	s_cbranch_scc1 .LBB22_550
; %bb.544:
	s_and_b32 s25, 0xffff, s0
	s_delay_alu instid0(SALU_CYCLE_1)
	s_cmp_gt_i32 s25, 25
	s_cbranch_scc0 .LBB22_551
; %bb.545:
	s_cmp_gt_i32 s25, 28
	s_cbranch_scc0 .LBB22_552
; %bb.546:
	;; [unrolled: 3-line block ×4, first 2 shown]
	s_cmp_eq_u32 s25, 46
	s_mov_b32 s29, 0
	s_cbranch_scc0 .LBB22_557
; %bb.549:
	s_wait_loadcnt 0x0
	global_load_b32 v1, v[2:3], off
	s_mov_b32 s28, -1
	s_mov_b32 s24, 0
	s_wait_loadcnt 0x0
	v_lshlrev_b32_e32 v1, 16, v1
	s_delay_alu instid0(VALU_DEP_1) | instskip(NEXT) | instid1(VALU_DEP_1)
	v_trunc_f32_e32 v1, v1
	v_mul_f32_e64 v4, 0x2f800000, |v1|
	s_delay_alu instid0(VALU_DEP_1) | instskip(NEXT) | instid1(VALU_DEP_1)
	v_floor_f32_e32 v4, v4
	v_fma_f32 v4, 0xcf800000, v4, |v1|
	v_ashrrev_i32_e32 v1, 31, v1
	s_delay_alu instid0(VALU_DEP_2) | instskip(NEXT) | instid1(VALU_DEP_1)
	v_cvt_u32_f32_e32 v4, v4
	v_xor_b32_e32 v4, v4, v1
	s_delay_alu instid0(VALU_DEP_1)
	v_sub_nc_u32_e32 v4, v4, v1
	s_branch .LBB22_559
.LBB22_550:
	s_mov_b32 s25, -1
	s_mov_b32 s24, s19
                                        ; implicit-def: $vgpr4
	s_branch .LBB22_620
.LBB22_551:
	s_mov_b32 s29, -1
	s_mov_b32 s24, s19
                                        ; implicit-def: $vgpr4
	s_branch .LBB22_586
.LBB22_552:
	s_mov_b32 s29, -1
	s_mov_b32 s24, s19
                                        ; implicit-def: $vgpr4
	s_branch .LBB22_569
.LBB22_553:
	s_mov_b32 s29, -1
	s_mov_b32 s24, s19
                                        ; implicit-def: $vgpr4
	s_branch .LBB22_564
.LBB22_554:
	s_mov_b32 s29, -1
	s_mov_b32 s24, s19
	s_branch .LBB22_558
.LBB22_555:
	s_and_not1_saveexec_b32 s27, s27
	s_cbranch_execz .LBB22_317
.LBB22_556:
	v_add_f32_e32 v3, 0x42800000, v4
	s_and_not1_b32 s26, s26, exec_lo
	s_delay_alu instid0(VALU_DEP_1) | instskip(NEXT) | instid1(VALU_DEP_1)
	v_and_b32_e32 v3, 0xff, v3
	v_cmp_ne_u32_e32 vcc_lo, 0, v3
	s_and_b32 s28, vcc_lo, exec_lo
	s_delay_alu instid0(SALU_CYCLE_1)
	s_or_b32 s26, s26, s28
	s_or_b32 exec_lo, exec_lo, s27
	v_mov_b32_e32 v5, 0
	s_and_saveexec_b32 s27, s26
	s_cbranch_execnz .LBB22_318
	s_branch .LBB22_319
.LBB22_557:
	s_mov_b32 s24, -1
.LBB22_558:
                                        ; implicit-def: $vgpr4
.LBB22_559:
	s_and_b32 vcc_lo, exec_lo, s29
	s_cbranch_vccz .LBB22_563
; %bb.560:
	s_cmp_eq_u32 s25, 44
	s_cbranch_scc0 .LBB22_562
; %bb.561:
	s_wait_loadcnt 0x0
	global_load_u8 v1, v[2:3], off
	s_mov_b32 s24, 0
	s_mov_b32 s28, -1
	s_wait_loadcnt 0x0
	v_lshlrev_b32_e32 v4, 23, v1
	v_cmp_ne_u32_e32 vcc_lo, 0, v1
	s_delay_alu instid0(VALU_DEP_2) | instskip(NEXT) | instid1(VALU_DEP_1)
	v_trunc_f32_e32 v4, v4
	v_mul_f32_e64 v5, 0x2f800000, |v4|
	s_delay_alu instid0(VALU_DEP_1) | instskip(NEXT) | instid1(VALU_DEP_1)
	v_floor_f32_e32 v5, v5
	v_fma_f32 v5, 0xcf800000, v5, |v4|
	v_ashrrev_i32_e32 v4, 31, v4
	s_delay_alu instid0(VALU_DEP_2) | instskip(NEXT) | instid1(VALU_DEP_1)
	v_cvt_u32_f32_e32 v5, v5
	v_xor_b32_e32 v5, v5, v4
	s_delay_alu instid0(VALU_DEP_1) | instskip(NEXT) | instid1(VALU_DEP_1)
	v_sub_nc_u32_e32 v4, v5, v4
	v_cndmask_b32_e32 v4, 0, v4, vcc_lo
	s_branch .LBB22_563
.LBB22_562:
	s_mov_b32 s24, -1
                                        ; implicit-def: $vgpr4
.LBB22_563:
	s_mov_b32 s29, 0
.LBB22_564:
	s_delay_alu instid0(SALU_CYCLE_1)
	s_and_b32 vcc_lo, exec_lo, s29
	s_cbranch_vccz .LBB22_568
; %bb.565:
	s_cmp_eq_u32 s25, 29
	s_cbranch_scc0 .LBB22_567
; %bb.566:
	global_load_b64 v[4:5], v[2:3], off
	s_mov_b32 s28, -1
	s_mov_b32 s24, 0
	s_branch .LBB22_568
.LBB22_567:
	s_mov_b32 s24, -1
                                        ; implicit-def: $vgpr4
.LBB22_568:
	s_mov_b32 s29, 0
.LBB22_569:
	s_delay_alu instid0(SALU_CYCLE_1)
	s_and_b32 vcc_lo, exec_lo, s29
	s_cbranch_vccz .LBB22_585
; %bb.570:
	s_cmp_lt_i32 s25, 27
	s_cbranch_scc1 .LBB22_573
; %bb.571:
	s_cmp_gt_i32 s25, 27
	s_cbranch_scc0 .LBB22_574
; %bb.572:
	s_wait_loadcnt 0x0
	global_load_b32 v4, v[2:3], off
	s_mov_b32 s28, 0
	s_branch .LBB22_575
.LBB22_573:
	s_mov_b32 s28, -1
                                        ; implicit-def: $vgpr4
	s_branch .LBB22_578
.LBB22_574:
	s_mov_b32 s28, -1
                                        ; implicit-def: $vgpr4
.LBB22_575:
	s_delay_alu instid0(SALU_CYCLE_1)
	s_and_not1_b32 vcc_lo, exec_lo, s28
	s_cbranch_vccnz .LBB22_577
; %bb.576:
	s_wait_loadcnt 0x0
	global_load_u16 v4, v[2:3], off
.LBB22_577:
	s_mov_b32 s28, 0
.LBB22_578:
	s_delay_alu instid0(SALU_CYCLE_1)
	s_and_not1_b32 vcc_lo, exec_lo, s28
	s_cbranch_vccnz .LBB22_584
; %bb.579:
	s_wait_loadcnt 0x0
	global_load_u8 v1, v[2:3], off
	s_mov_b32 s29, 0
	s_mov_b32 s28, exec_lo
	s_wait_loadcnt 0x0
	v_cmpx_lt_i16_e32 0x7f, v1
	s_xor_b32 s28, exec_lo, s28
	s_cbranch_execz .LBB22_596
; %bb.580:
	v_cmp_ne_u16_e32 vcc_lo, 0x80, v1
	s_and_b32 s29, vcc_lo, exec_lo
	s_and_not1_saveexec_b32 s28, s28
	s_cbranch_execnz .LBB22_597
.LBB22_581:
	s_or_b32 exec_lo, exec_lo, s28
	v_mov_b32_e32 v4, 0
	s_and_saveexec_b32 s28, s29
	s_cbranch_execz .LBB22_583
.LBB22_582:
	v_and_b32_e32 v4, 0xffff, v1
	s_delay_alu instid0(VALU_DEP_1) | instskip(SKIP_1) | instid1(VALU_DEP_2)
	v_and_b32_e32 v5, 7, v4
	v_bfe_u32 v8, v4, 3, 4
	v_clz_i32_u32_e32 v6, v5
	s_delay_alu instid0(VALU_DEP_2) | instskip(NEXT) | instid1(VALU_DEP_2)
	v_cmp_eq_u32_e32 vcc_lo, 0, v8
	v_min_u32_e32 v6, 32, v6
	s_delay_alu instid0(VALU_DEP_1) | instskip(NEXT) | instid1(VALU_DEP_1)
	v_subrev_nc_u32_e32 v7, 28, v6
	v_dual_lshlrev_b32 v4, v7, v4 :: v_dual_sub_nc_u32 v6, 29, v6
	s_delay_alu instid0(VALU_DEP_1) | instskip(NEXT) | instid1(VALU_DEP_1)
	v_dual_lshlrev_b32 v1, 24, v1 :: v_dual_bitop2_b32 v4, 7, v4 bitop3:0x40
	v_dual_cndmask_b32 v6, v8, v6, vcc_lo :: v_dual_cndmask_b32 v4, v5, v4, vcc_lo
	s_delay_alu instid0(VALU_DEP_2) | instskip(NEXT) | instid1(VALU_DEP_2)
	v_and_b32_e32 v1, 0x80000000, v1
	v_lshl_add_u32 v5, v6, 23, 0x3b800000
	s_delay_alu instid0(VALU_DEP_3) | instskip(NEXT) | instid1(VALU_DEP_1)
	v_lshlrev_b32_e32 v4, 20, v4
	v_or3_b32 v1, v1, v5, v4
	s_delay_alu instid0(VALU_DEP_1) | instskip(NEXT) | instid1(VALU_DEP_1)
	v_trunc_f32_e32 v1, v1
	v_mul_f32_e64 v4, 0x2f800000, |v1|
	s_delay_alu instid0(VALU_DEP_1) | instskip(NEXT) | instid1(VALU_DEP_1)
	v_floor_f32_e32 v4, v4
	v_fma_f32 v4, 0xcf800000, v4, |v1|
	v_ashrrev_i32_e32 v1, 31, v1
	s_delay_alu instid0(VALU_DEP_2) | instskip(NEXT) | instid1(VALU_DEP_1)
	v_cvt_u32_f32_e32 v4, v4
	v_xor_b32_e32 v4, v4, v1
	s_delay_alu instid0(VALU_DEP_1)
	v_sub_nc_u32_e32 v4, v4, v1
.LBB22_583:
	s_or_b32 exec_lo, exec_lo, s28
.LBB22_584:
	s_mov_b32 s28, -1
.LBB22_585:
	s_mov_b32 s29, 0
.LBB22_586:
	s_delay_alu instid0(SALU_CYCLE_1)
	s_and_b32 vcc_lo, exec_lo, s29
	s_cbranch_vccz .LBB22_619
; %bb.587:
	s_cmp_gt_i32 s25, 22
	s_cbranch_scc0 .LBB22_595
; %bb.588:
	s_cmp_lt_i32 s25, 24
	s_cbranch_scc1 .LBB22_598
; %bb.589:
	s_cmp_gt_i32 s25, 24
	s_cbranch_scc0 .LBB22_599
; %bb.590:
	s_wait_loadcnt 0x0
	global_load_u8 v1, v[2:3], off
	s_mov_b32 s29, 0
	s_mov_b32 s28, exec_lo
	s_wait_loadcnt 0x0
	v_cmpx_lt_i16_e32 0x7f, v1
	s_xor_b32 s28, exec_lo, s28
	s_cbranch_execz .LBB22_611
; %bb.591:
	v_cmp_ne_u16_e32 vcc_lo, 0x80, v1
	s_and_b32 s29, vcc_lo, exec_lo
	s_and_not1_saveexec_b32 s28, s28
	s_cbranch_execnz .LBB22_612
.LBB22_592:
	s_or_b32 exec_lo, exec_lo, s28
	v_mov_b32_e32 v4, 0
	s_and_saveexec_b32 s28, s29
	s_cbranch_execz .LBB22_594
.LBB22_593:
	v_and_b32_e32 v4, 0xffff, v1
	s_delay_alu instid0(VALU_DEP_1) | instskip(SKIP_1) | instid1(VALU_DEP_2)
	v_and_b32_e32 v5, 3, v4
	v_bfe_u32 v8, v4, 2, 5
	v_clz_i32_u32_e32 v6, v5
	s_delay_alu instid0(VALU_DEP_2) | instskip(NEXT) | instid1(VALU_DEP_2)
	v_cmp_eq_u32_e32 vcc_lo, 0, v8
	v_min_u32_e32 v6, 32, v6
	s_delay_alu instid0(VALU_DEP_1) | instskip(NEXT) | instid1(VALU_DEP_1)
	v_subrev_nc_u32_e32 v7, 29, v6
	v_dual_lshlrev_b32 v4, v7, v4 :: v_dual_sub_nc_u32 v6, 30, v6
	s_delay_alu instid0(VALU_DEP_1) | instskip(NEXT) | instid1(VALU_DEP_1)
	v_dual_lshlrev_b32 v1, 24, v1 :: v_dual_bitop2_b32 v4, 3, v4 bitop3:0x40
	v_dual_cndmask_b32 v6, v8, v6, vcc_lo :: v_dual_cndmask_b32 v4, v5, v4, vcc_lo
	s_delay_alu instid0(VALU_DEP_2) | instskip(NEXT) | instid1(VALU_DEP_2)
	v_and_b32_e32 v1, 0x80000000, v1
	v_lshl_add_u32 v5, v6, 23, 0x37800000
	s_delay_alu instid0(VALU_DEP_3) | instskip(NEXT) | instid1(VALU_DEP_1)
	v_lshlrev_b32_e32 v4, 21, v4
	v_or3_b32 v1, v1, v5, v4
	s_delay_alu instid0(VALU_DEP_1) | instskip(NEXT) | instid1(VALU_DEP_1)
	v_trunc_f32_e32 v1, v1
	v_mul_f32_e64 v4, 0x2f800000, |v1|
	s_delay_alu instid0(VALU_DEP_1) | instskip(NEXT) | instid1(VALU_DEP_1)
	v_floor_f32_e32 v4, v4
	v_fma_f32 v4, 0xcf800000, v4, |v1|
	v_ashrrev_i32_e32 v1, 31, v1
	s_delay_alu instid0(VALU_DEP_2) | instskip(NEXT) | instid1(VALU_DEP_1)
	v_cvt_u32_f32_e32 v4, v4
	v_xor_b32_e32 v4, v4, v1
	s_delay_alu instid0(VALU_DEP_1)
	v_sub_nc_u32_e32 v4, v4, v1
.LBB22_594:
	s_or_b32 exec_lo, exec_lo, s28
	s_mov_b32 s28, 0
	s_branch .LBB22_600
.LBB22_595:
	s_mov_b32 s29, -1
                                        ; implicit-def: $vgpr4
	s_branch .LBB22_606
.LBB22_596:
	s_and_not1_saveexec_b32 s28, s28
	s_cbranch_execz .LBB22_581
.LBB22_597:
	v_cmp_ne_u16_e32 vcc_lo, 0, v1
	s_and_not1_b32 s29, s29, exec_lo
	s_and_b32 s30, vcc_lo, exec_lo
	s_delay_alu instid0(SALU_CYCLE_1)
	s_or_b32 s29, s29, s30
	s_or_b32 exec_lo, exec_lo, s28
	v_mov_b32_e32 v4, 0
	s_and_saveexec_b32 s28, s29
	s_cbranch_execnz .LBB22_582
	s_branch .LBB22_583
.LBB22_598:
	s_mov_b32 s28, -1
                                        ; implicit-def: $vgpr4
	s_branch .LBB22_603
.LBB22_599:
	s_mov_b32 s28, -1
                                        ; implicit-def: $vgpr4
.LBB22_600:
	s_delay_alu instid0(SALU_CYCLE_1)
	s_and_b32 vcc_lo, exec_lo, s28
	s_cbranch_vccz .LBB22_602
; %bb.601:
	s_wait_loadcnt 0x0
	global_load_u8 v1, v[2:3], off
	s_wait_loadcnt 0x0
	v_lshlrev_b32_e32 v1, 24, v1
	s_delay_alu instid0(VALU_DEP_1) | instskip(NEXT) | instid1(VALU_DEP_1)
	v_and_b32_e32 v4, 0x7f000000, v1
	v_clz_i32_u32_e32 v5, v4
	v_cmp_ne_u32_e32 vcc_lo, 0, v4
	v_add_nc_u32_e32 v7, 0x1000000, v4
	s_delay_alu instid0(VALU_DEP_3) | instskip(NEXT) | instid1(VALU_DEP_1)
	v_min_u32_e32 v5, 32, v5
	v_sub_nc_u32_e64 v5, v5, 4 clamp
	s_delay_alu instid0(VALU_DEP_1) | instskip(NEXT) | instid1(VALU_DEP_1)
	v_dual_lshlrev_b32 v6, v5, v4 :: v_dual_lshlrev_b32 v5, 23, v5
	v_lshrrev_b32_e32 v6, 4, v6
	s_delay_alu instid0(VALU_DEP_1) | instskip(NEXT) | instid1(VALU_DEP_1)
	v_dual_sub_nc_u32 v5, v6, v5 :: v_dual_ashrrev_i32 v6, 8, v7
	v_add_nc_u32_e32 v5, 0x3c000000, v5
	s_delay_alu instid0(VALU_DEP_1) | instskip(NEXT) | instid1(VALU_DEP_1)
	v_and_or_b32 v5, 0x7f800000, v6, v5
	v_cndmask_b32_e32 v4, 0, v5, vcc_lo
	s_delay_alu instid0(VALU_DEP_1) | instskip(NEXT) | instid1(VALU_DEP_1)
	v_and_or_b32 v1, 0x80000000, v1, v4
	v_trunc_f32_e32 v1, v1
	s_delay_alu instid0(VALU_DEP_1) | instskip(NEXT) | instid1(VALU_DEP_1)
	v_mul_f32_e64 v4, 0x2f800000, |v1|
	v_floor_f32_e32 v4, v4
	s_delay_alu instid0(VALU_DEP_1) | instskip(SKIP_1) | instid1(VALU_DEP_2)
	v_fma_f32 v4, 0xcf800000, v4, |v1|
	v_ashrrev_i32_e32 v1, 31, v1
	v_cvt_u32_f32_e32 v4, v4
	s_delay_alu instid0(VALU_DEP_1) | instskip(NEXT) | instid1(VALU_DEP_1)
	v_xor_b32_e32 v4, v4, v1
	v_sub_nc_u32_e32 v4, v4, v1
.LBB22_602:
	s_mov_b32 s28, 0
.LBB22_603:
	s_delay_alu instid0(SALU_CYCLE_1)
	s_and_not1_b32 vcc_lo, exec_lo, s28
	s_cbranch_vccnz .LBB22_605
; %bb.604:
	s_wait_loadcnt 0x0
	global_load_u8 v1, v[2:3], off
	s_wait_loadcnt 0x0
	v_lshlrev_b32_e32 v4, 25, v1
	v_lshlrev_b16 v1, 8, v1
	s_delay_alu instid0(VALU_DEP_1) | instskip(SKIP_1) | instid1(VALU_DEP_2)
	v_and_or_b32 v6, 0x7f00, v1, 0.5
	v_bfe_i32 v1, v1, 0, 16
	v_dual_add_f32 v6, -0.5, v6 :: v_dual_lshrrev_b32 v5, 4, v4
	v_cmp_gt_u32_e32 vcc_lo, 0x8000000, v4
	s_delay_alu instid0(VALU_DEP_2) | instskip(NEXT) | instid1(VALU_DEP_1)
	v_or_b32_e32 v5, 0x70000000, v5
	v_mul_f32_e32 v5, 0x7800000, v5
	s_delay_alu instid0(VALU_DEP_1) | instskip(NEXT) | instid1(VALU_DEP_1)
	v_cndmask_b32_e32 v4, v5, v6, vcc_lo
	v_and_or_b32 v1, 0x80000000, v1, v4
	s_delay_alu instid0(VALU_DEP_1) | instskip(NEXT) | instid1(VALU_DEP_1)
	v_trunc_f32_e32 v1, v1
	v_mul_f32_e64 v4, 0x2f800000, |v1|
	s_delay_alu instid0(VALU_DEP_1) | instskip(NEXT) | instid1(VALU_DEP_1)
	v_floor_f32_e32 v4, v4
	v_fma_f32 v4, 0xcf800000, v4, |v1|
	v_ashrrev_i32_e32 v1, 31, v1
	s_delay_alu instid0(VALU_DEP_2) | instskip(NEXT) | instid1(VALU_DEP_1)
	v_cvt_u32_f32_e32 v4, v4
	v_xor_b32_e32 v4, v4, v1
	s_delay_alu instid0(VALU_DEP_1)
	v_sub_nc_u32_e32 v4, v4, v1
.LBB22_605:
	s_mov_b32 s29, 0
	s_mov_b32 s28, -1
.LBB22_606:
	s_and_not1_b32 vcc_lo, exec_lo, s29
	s_cbranch_vccnz .LBB22_619
; %bb.607:
	s_cmp_gt_i32 s25, 14
	s_cbranch_scc0 .LBB22_610
; %bb.608:
	s_cmp_eq_u32 s25, 15
	s_cbranch_scc0 .LBB22_613
; %bb.609:
	s_wait_loadcnt 0x0
	global_load_u16 v1, v[2:3], off
	s_mov_b32 s28, -1
	s_mov_b32 s24, 0
	s_wait_loadcnt 0x0
	v_lshlrev_b32_e32 v1, 16, v1
	s_delay_alu instid0(VALU_DEP_1) | instskip(NEXT) | instid1(VALU_DEP_1)
	v_trunc_f32_e32 v1, v1
	v_mul_f32_e64 v4, 0x2f800000, |v1|
	s_delay_alu instid0(VALU_DEP_1) | instskip(NEXT) | instid1(VALU_DEP_1)
	v_floor_f32_e32 v4, v4
	v_fma_f32 v4, 0xcf800000, v4, |v1|
	v_ashrrev_i32_e32 v1, 31, v1
	s_delay_alu instid0(VALU_DEP_2) | instskip(NEXT) | instid1(VALU_DEP_1)
	v_cvt_u32_f32_e32 v4, v4
	v_xor_b32_e32 v4, v4, v1
	s_delay_alu instid0(VALU_DEP_1)
	v_sub_nc_u32_e32 v4, v4, v1
	s_branch .LBB22_614
.LBB22_610:
	s_mov_b32 s29, -1
                                        ; implicit-def: $vgpr4
	s_branch .LBB22_615
.LBB22_611:
	s_and_not1_saveexec_b32 s28, s28
	s_cbranch_execz .LBB22_592
.LBB22_612:
	v_cmp_ne_u16_e32 vcc_lo, 0, v1
	s_and_not1_b32 s29, s29, exec_lo
	s_and_b32 s30, vcc_lo, exec_lo
	s_delay_alu instid0(SALU_CYCLE_1)
	s_or_b32 s29, s29, s30
	s_or_b32 exec_lo, exec_lo, s28
	v_mov_b32_e32 v4, 0
	s_and_saveexec_b32 s28, s29
	s_cbranch_execnz .LBB22_593
	s_branch .LBB22_594
.LBB22_613:
	s_mov_b32 s24, -1
                                        ; implicit-def: $vgpr4
.LBB22_614:
	s_mov_b32 s29, 0
.LBB22_615:
	s_delay_alu instid0(SALU_CYCLE_1)
	s_and_b32 vcc_lo, exec_lo, s29
	s_cbranch_vccz .LBB22_619
; %bb.616:
	s_cmp_eq_u32 s25, 11
	s_cbranch_scc0 .LBB22_618
; %bb.617:
	s_wait_loadcnt 0x0
	global_load_u8 v1, v[2:3], off
	s_mov_b32 s24, 0
	s_mov_b32 s28, -1
	s_wait_loadcnt 0x0
	v_cmp_ne_u16_e32 vcc_lo, 0, v1
	v_cndmask_b32_e64 v4, 0, 1, vcc_lo
	s_branch .LBB22_619
.LBB22_618:
	s_mov_b32 s24, -1
                                        ; implicit-def: $vgpr4
.LBB22_619:
	s_mov_b32 s25, 0
.LBB22_620:
	s_delay_alu instid0(SALU_CYCLE_1)
	s_and_b32 vcc_lo, exec_lo, s25
	s_cbranch_vccz .LBB22_669
; %bb.621:
	s_and_b32 s0, 0xffff, s0
	s_delay_alu instid0(SALU_CYCLE_1)
	s_cmp_lt_i32 s0, 5
	s_cbranch_scc1 .LBB22_626
; %bb.622:
	s_cmp_lt_i32 s0, 8
	s_cbranch_scc1 .LBB22_627
; %bb.623:
	;; [unrolled: 3-line block ×3, first 2 shown]
	s_cmp_gt_i32 s0, 9
	s_cbranch_scc0 .LBB22_629
; %bb.625:
	s_wait_loadcnt 0x0
	global_load_b64 v[4:5], v[2:3], off
	s_mov_b32 s25, 0
	s_wait_loadcnt 0x0
	v_trunc_f64_e32 v[4:5], v[4:5]
	s_delay_alu instid0(VALU_DEP_1) | instskip(NEXT) | instid1(VALU_DEP_1)
	v_ldexp_f64 v[6:7], v[4:5], 0xffffffe0
	v_floor_f64_e32 v[6:7], v[6:7]
	s_delay_alu instid0(VALU_DEP_1) | instskip(NEXT) | instid1(VALU_DEP_1)
	v_fmamk_f64 v[4:5], v[6:7], 0xc1f00000, v[4:5]
	v_cvt_u32_f64_e32 v4, v[4:5]
	s_branch .LBB22_630
.LBB22_626:
	s_mov_b32 s25, -1
                                        ; implicit-def: $vgpr4
	s_branch .LBB22_648
.LBB22_627:
	s_mov_b32 s25, -1
                                        ; implicit-def: $vgpr4
	s_branch .LBB22_636
.LBB22_628:
	s_mov_b32 s25, -1
                                        ; implicit-def: $vgpr4
	s_branch .LBB22_633
.LBB22_629:
	s_mov_b32 s25, -1
                                        ; implicit-def: $vgpr4
.LBB22_630:
	s_delay_alu instid0(SALU_CYCLE_1)
	s_and_not1_b32 vcc_lo, exec_lo, s25
	s_cbranch_vccnz .LBB22_632
; %bb.631:
	s_wait_loadcnt 0x0
	global_load_b32 v1, v[2:3], off
	s_wait_loadcnt 0x0
	v_trunc_f32_e32 v1, v1
	s_delay_alu instid0(VALU_DEP_1) | instskip(NEXT) | instid1(VALU_DEP_1)
	v_mul_f32_e64 v4, 0x2f800000, |v1|
	v_floor_f32_e32 v4, v4
	s_delay_alu instid0(VALU_DEP_1) | instskip(SKIP_1) | instid1(VALU_DEP_2)
	v_fma_f32 v4, 0xcf800000, v4, |v1|
	v_ashrrev_i32_e32 v1, 31, v1
	v_cvt_u32_f32_e32 v4, v4
	s_delay_alu instid0(VALU_DEP_1) | instskip(NEXT) | instid1(VALU_DEP_1)
	v_xor_b32_e32 v4, v4, v1
	v_sub_nc_u32_e32 v4, v4, v1
.LBB22_632:
	s_mov_b32 s25, 0
.LBB22_633:
	s_delay_alu instid0(SALU_CYCLE_1)
	s_and_not1_b32 vcc_lo, exec_lo, s25
	s_cbranch_vccnz .LBB22_635
; %bb.634:
	s_wait_loadcnt 0x0
	global_load_b32 v1, v[2:3], off
	s_wait_loadcnt 0x0
	v_cvt_f32_f16_e32 v1, v1
	s_delay_alu instid0(VALU_DEP_1)
	v_cvt_i32_f32_e32 v4, v1
.LBB22_635:
	s_mov_b32 s25, 0
.LBB22_636:
	s_delay_alu instid0(SALU_CYCLE_1)
	s_and_not1_b32 vcc_lo, exec_lo, s25
	s_cbranch_vccnz .LBB22_647
; %bb.637:
	s_cmp_lt_i32 s0, 6
	s_cbranch_scc1 .LBB22_640
; %bb.638:
	s_cmp_gt_i32 s0, 6
	s_cbranch_scc0 .LBB22_641
; %bb.639:
	s_wait_loadcnt 0x0
	global_load_b64 v[4:5], v[2:3], off
	s_mov_b32 s25, 0
	s_wait_loadcnt 0x0
	v_trunc_f64_e32 v[4:5], v[4:5]
	s_delay_alu instid0(VALU_DEP_1) | instskip(NEXT) | instid1(VALU_DEP_1)
	v_ldexp_f64 v[6:7], v[4:5], 0xffffffe0
	v_floor_f64_e32 v[6:7], v[6:7]
	s_delay_alu instid0(VALU_DEP_1) | instskip(NEXT) | instid1(VALU_DEP_1)
	v_fmamk_f64 v[4:5], v[6:7], 0xc1f00000, v[4:5]
	v_cvt_u32_f64_e32 v4, v[4:5]
	s_branch .LBB22_642
.LBB22_640:
	s_mov_b32 s25, -1
                                        ; implicit-def: $vgpr4
	s_branch .LBB22_645
.LBB22_641:
	s_mov_b32 s25, -1
                                        ; implicit-def: $vgpr4
.LBB22_642:
	s_delay_alu instid0(SALU_CYCLE_1)
	s_and_not1_b32 vcc_lo, exec_lo, s25
	s_cbranch_vccnz .LBB22_644
; %bb.643:
	s_wait_loadcnt 0x0
	global_load_b32 v1, v[2:3], off
	s_wait_loadcnt 0x0
	v_trunc_f32_e32 v1, v1
	s_delay_alu instid0(VALU_DEP_1) | instskip(NEXT) | instid1(VALU_DEP_1)
	v_mul_f32_e64 v4, 0x2f800000, |v1|
	v_floor_f32_e32 v4, v4
	s_delay_alu instid0(VALU_DEP_1) | instskip(SKIP_1) | instid1(VALU_DEP_2)
	v_fma_f32 v4, 0xcf800000, v4, |v1|
	v_ashrrev_i32_e32 v1, 31, v1
	v_cvt_u32_f32_e32 v4, v4
	s_delay_alu instid0(VALU_DEP_1) | instskip(NEXT) | instid1(VALU_DEP_1)
	v_xor_b32_e32 v4, v4, v1
	v_sub_nc_u32_e32 v4, v4, v1
.LBB22_644:
	s_mov_b32 s25, 0
.LBB22_645:
	s_delay_alu instid0(SALU_CYCLE_1)
	s_and_not1_b32 vcc_lo, exec_lo, s25
	s_cbranch_vccnz .LBB22_647
; %bb.646:
	s_wait_loadcnt 0x0
	global_load_u16 v1, v[2:3], off
	s_wait_loadcnt 0x0
	v_cvt_f32_f16_e32 v1, v1
	s_delay_alu instid0(VALU_DEP_1)
	v_cvt_i32_f32_e32 v4, v1
.LBB22_647:
	s_mov_b32 s25, 0
.LBB22_648:
	s_delay_alu instid0(SALU_CYCLE_1)
	s_and_not1_b32 vcc_lo, exec_lo, s25
	s_cbranch_vccnz .LBB22_668
; %bb.649:
	s_cmp_lt_i32 s0, 2
	s_cbranch_scc1 .LBB22_653
; %bb.650:
	s_cmp_lt_i32 s0, 3
	s_cbranch_scc1 .LBB22_654
; %bb.651:
	s_cmp_gt_i32 s0, 3
	s_cbranch_scc0 .LBB22_655
; %bb.652:
	s_wait_loadcnt 0x0
	global_load_b64 v[4:5], v[2:3], off
	s_mov_b32 s25, 0
	s_branch .LBB22_656
.LBB22_653:
	s_mov_b32 s25, -1
                                        ; implicit-def: $vgpr4
	s_branch .LBB22_662
.LBB22_654:
	s_mov_b32 s25, -1
                                        ; implicit-def: $vgpr4
	s_branch .LBB22_659
.LBB22_655:
	s_mov_b32 s25, -1
                                        ; implicit-def: $vgpr4
.LBB22_656:
	s_delay_alu instid0(SALU_CYCLE_1)
	s_and_not1_b32 vcc_lo, exec_lo, s25
	s_cbranch_vccnz .LBB22_658
; %bb.657:
	s_wait_loadcnt 0x0
	global_load_b32 v4, v[2:3], off
.LBB22_658:
	s_mov_b32 s25, 0
.LBB22_659:
	s_delay_alu instid0(SALU_CYCLE_1)
	s_and_not1_b32 vcc_lo, exec_lo, s25
	s_cbranch_vccnz .LBB22_661
; %bb.660:
	s_wait_loadcnt 0x0
	global_load_u16 v4, v[2:3], off
.LBB22_661:
	s_mov_b32 s25, 0
.LBB22_662:
	s_delay_alu instid0(SALU_CYCLE_1)
	s_and_not1_b32 vcc_lo, exec_lo, s25
	s_cbranch_vccnz .LBB22_668
; %bb.663:
	s_cmp_gt_i32 s0, 0
	s_mov_b32 s0, 0
	s_cbranch_scc0 .LBB22_665
; %bb.664:
	s_wait_loadcnt 0x0
	global_load_u8 v4, v[2:3], off
	s_branch .LBB22_666
.LBB22_665:
	s_mov_b32 s0, -1
                                        ; implicit-def: $vgpr4
.LBB22_666:
	s_delay_alu instid0(SALU_CYCLE_1)
	s_and_not1_b32 vcc_lo, exec_lo, s0
	s_cbranch_vccnz .LBB22_668
; %bb.667:
	s_wait_loadcnt 0x0
	global_load_u8 v4, v[2:3], off
.LBB22_668:
	s_mov_b32 s28, -1
.LBB22_669:
	s_delay_alu instid0(SALU_CYCLE_1)
	s_and_not1_b32 vcc_lo, exec_lo, s28
	s_cbranch_vccnz .LBB22_677
; %bb.670:
	s_wait_xcnt 0x0
	v_mul_lo_u32 v2, v18, s14
	s_wait_loadcnt 0x0
	v_mul_lo_u16 v5, v0, s6
	s_and_b32 s25, s1, 0xff
	s_delay_alu instid0(SALU_CYCLE_1) | instskip(NEXT) | instid1(VALU_DEP_2)
	s_cmp_lt_i32 s25, 11
	v_ashrrev_i32_e32 v3, 31, v2
	s_delay_alu instid0(VALU_DEP_1)
	v_add_nc_u64_e32 v[0:1], s[2:3], v[2:3]
	v_mul_lo_u16 v2, v5, v4
	s_cbranch_scc1 .LBB22_678
; %bb.671:
	s_and_b32 s28, 0xffff, s25
	s_delay_alu instid0(SALU_CYCLE_1)
	s_cmp_gt_i32 s28, 25
	s_cbranch_scc0 .LBB22_679
; %bb.672:
	s_cmp_gt_i32 s28, 28
	s_cbranch_scc0 .LBB22_680
; %bb.673:
	;; [unrolled: 3-line block ×4, first 2 shown]
	s_mov_b32 s30, 0
	s_mov_b32 s0, -1
	s_cmp_eq_u32 s28, 46
	s_mov_b32 s29, 0
	s_cbranch_scc0 .LBB22_683
; %bb.676:
	v_cvt_f32_ubyte0_e32 v3, v2
	s_mov_b32 s29, -1
	s_mov_b32 s0, 0
	s_delay_alu instid0(VALU_DEP_1) | instskip(NEXT) | instid1(VALU_DEP_1)
	v_bfe_u32 v4, v3, 16, 1
	v_add3_u32 v3, v3, v4, 0x7fff
	s_delay_alu instid0(VALU_DEP_1)
	v_lshrrev_b32_e32 v3, 16, v3
	global_store_b32 v[0:1], v3, off
	s_branch .LBB22_683
.LBB22_677:
	s_mov_b32 s28, 0
	s_mov_b32 s0, s17
	s_branch .LBB22_422
.LBB22_678:
	s_mov_b32 s28, -1
	s_mov_b32 s29, 0
	s_mov_b32 s0, s17
	s_branch .LBB22_752
.LBB22_679:
	s_mov_b32 s30, -1
	s_mov_b32 s29, 0
	s_mov_b32 s0, s17
	s_branch .LBB22_710
.LBB22_680:
	s_mov_b32 s30, -1
	s_mov_b32 s29, 0
	s_mov_b32 s0, s17
	s_branch .LBB22_693
.LBB22_681:
	s_mov_b32 s30, -1
	s_mov_b32 s29, 0
	s_mov_b32 s0, s17
	s_branch .LBB22_689
.LBB22_682:
	s_mov_b32 s30, -1
	s_mov_b32 s29, 0
	s_mov_b32 s0, s17
.LBB22_683:
	s_and_b32 vcc_lo, exec_lo, s30
	s_cbranch_vccz .LBB22_688
; %bb.684:
	s_cmp_eq_u32 s28, 44
	s_mov_b32 s0, -1
	s_cbranch_scc0 .LBB22_688
; %bb.685:
	v_cvt_f32_ubyte0_e32 v5, v2
	s_mov_b32 s29, exec_lo
	s_wait_xcnt 0x0
	s_delay_alu instid0(VALU_DEP_1) | instskip(NEXT) | instid1(VALU_DEP_1)
	v_dual_mov_b32 v4, 0xff :: v_dual_lshrrev_b32 v3, 23, v5
	v_cmpx_ne_u32_e32 0xff, v3
; %bb.686:
	v_and_b32_e32 v4, 0x400000, v5
	v_and_or_b32 v5, 0x3fffff, v5, v3
	s_delay_alu instid0(VALU_DEP_2) | instskip(NEXT) | instid1(VALU_DEP_2)
	v_cmp_ne_u32_e32 vcc_lo, 0, v4
	v_cmp_ne_u32_e64 s0, 0, v5
	s_and_b32 s0, vcc_lo, s0
	s_delay_alu instid0(SALU_CYCLE_1) | instskip(NEXT) | instid1(VALU_DEP_1)
	v_cndmask_b32_e64 v4, 0, 1, s0
	v_add_nc_u32_e32 v4, v3, v4
; %bb.687:
	s_or_b32 exec_lo, exec_lo, s29
	s_mov_b32 s29, -1
	s_mov_b32 s0, 0
	global_store_b8 v[0:1], v4, off
.LBB22_688:
	s_mov_b32 s30, 0
.LBB22_689:
	s_delay_alu instid0(SALU_CYCLE_1)
	s_and_b32 vcc_lo, exec_lo, s30
	s_cbranch_vccz .LBB22_692
; %bb.690:
	s_cmp_eq_u32 s28, 29
	s_mov_b32 s0, -1
	s_cbranch_scc0 .LBB22_692
; %bb.691:
	s_wait_xcnt 0x0
	v_and_b32_e32 v4, 0xff, v2
	v_mov_b32_e32 v5, 0
	s_mov_b32 s29, -1
	s_mov_b32 s0, 0
	s_mov_b32 s30, 0
	global_store_b64 v[0:1], v[4:5], off
	s_branch .LBB22_693
.LBB22_692:
	s_mov_b32 s30, 0
.LBB22_693:
	s_delay_alu instid0(SALU_CYCLE_1)
	s_and_b32 vcc_lo, exec_lo, s30
	s_cbranch_vccz .LBB22_709
; %bb.694:
	s_cmp_lt_i32 s28, 27
	s_mov_b32 s29, -1
	s_cbranch_scc1 .LBB22_700
; %bb.695:
	s_cmp_gt_i32 s28, 27
	s_cbranch_scc0 .LBB22_697
; %bb.696:
	s_wait_xcnt 0x0
	v_and_b32_e32 v3, 0xff, v2
	s_mov_b32 s29, 0
	global_store_b32 v[0:1], v3, off
.LBB22_697:
	s_and_not1_b32 vcc_lo, exec_lo, s29
	s_cbranch_vccnz .LBB22_699
; %bb.698:
	s_wait_xcnt 0x0
	v_and_b32_e32 v3, 0xff, v2
	global_store_b16 v[0:1], v3, off
.LBB22_699:
	s_mov_b32 s29, 0
.LBB22_700:
	s_delay_alu instid0(SALU_CYCLE_1)
	s_and_not1_b32 vcc_lo, exec_lo, s29
	s_cbranch_vccnz .LBB22_708
; %bb.701:
	s_wait_xcnt 0x0
	v_cvt_f32_ubyte0_e32 v4, v2
	v_mov_b32_e32 v5, 0x80
	s_mov_b32 s29, exec_lo
	s_delay_alu instid0(VALU_DEP_2)
	v_cmpx_gt_u32_e32 0x43800000, v4
	s_cbranch_execz .LBB22_707
; %bb.702:
	s_mov_b32 s30, 0
	s_mov_b32 s31, exec_lo
                                        ; implicit-def: $vgpr3
	v_cmpx_lt_u32_e32 0x3bffffff, v4
	s_xor_b32 s31, exec_lo, s31
	s_cbranch_execz .LBB22_830
; %bb.703:
	v_bfe_u32 v3, v4, 20, 1
	s_mov_b32 s30, exec_lo
	s_delay_alu instid0(VALU_DEP_1) | instskip(NEXT) | instid1(VALU_DEP_1)
	v_add3_u32 v3, v4, v3, 0x487ffff
                                        ; implicit-def: $vgpr4
	v_lshrrev_b32_e32 v3, 20, v3
	s_and_not1_saveexec_b32 s31, s31
	s_cbranch_execnz .LBB22_831
.LBB22_704:
	s_or_b32 exec_lo, exec_lo, s31
	v_mov_b32_e32 v5, 0
	s_and_saveexec_b32 s31, s30
.LBB22_705:
	v_mov_b32_e32 v5, v3
.LBB22_706:
	s_or_b32 exec_lo, exec_lo, s31
.LBB22_707:
	s_delay_alu instid0(SALU_CYCLE_1)
	s_or_b32 exec_lo, exec_lo, s29
	global_store_b8 v[0:1], v5, off
.LBB22_708:
	s_mov_b32 s29, -1
.LBB22_709:
	s_mov_b32 s30, 0
.LBB22_710:
	s_delay_alu instid0(SALU_CYCLE_1)
	s_and_b32 vcc_lo, exec_lo, s30
	s_cbranch_vccz .LBB22_751
; %bb.711:
	s_cmp_gt_i32 s28, 22
	s_mov_b32 s30, -1
	s_cbranch_scc0 .LBB22_743
; %bb.712:
	s_cmp_lt_i32 s28, 24
	s_mov_b32 s29, -1
	s_cbranch_scc1 .LBB22_732
; %bb.713:
	s_cmp_gt_i32 s28, 24
	s_cbranch_scc0 .LBB22_721
; %bb.714:
	s_wait_xcnt 0x0
	v_cvt_f32_ubyte0_e32 v4, v2
	v_mov_b32_e32 v5, 0x80
	s_mov_b32 s29, exec_lo
	s_delay_alu instid0(VALU_DEP_2)
	v_cmpx_gt_u32_e32 0x47800000, v4
	s_cbranch_execz .LBB22_720
; %bb.715:
	s_mov_b32 s30, 0
	s_mov_b32 s31, exec_lo
                                        ; implicit-def: $vgpr3
	v_cmpx_lt_u32_e32 0x37ffffff, v4
	s_xor_b32 s31, exec_lo, s31
	s_cbranch_execz .LBB22_957
; %bb.716:
	v_bfe_u32 v3, v4, 21, 1
	s_mov_b32 s30, exec_lo
	s_delay_alu instid0(VALU_DEP_1) | instskip(NEXT) | instid1(VALU_DEP_1)
	v_add3_u32 v3, v4, v3, 0x88fffff
                                        ; implicit-def: $vgpr4
	v_lshrrev_b32_e32 v3, 21, v3
	s_and_not1_saveexec_b32 s31, s31
	s_cbranch_execnz .LBB22_958
.LBB22_717:
	s_or_b32 exec_lo, exec_lo, s31
	v_mov_b32_e32 v5, 0
	s_and_saveexec_b32 s31, s30
.LBB22_718:
	v_mov_b32_e32 v5, v3
.LBB22_719:
	s_or_b32 exec_lo, exec_lo, s31
.LBB22_720:
	s_delay_alu instid0(SALU_CYCLE_1)
	s_or_b32 exec_lo, exec_lo, s29
	s_mov_b32 s29, 0
	global_store_b8 v[0:1], v5, off
.LBB22_721:
	s_and_b32 vcc_lo, exec_lo, s29
	s_cbranch_vccz .LBB22_731
; %bb.722:
	s_wait_xcnt 0x0
	v_cvt_f32_ubyte0_e32 v4, v2
	s_mov_b32 s29, exec_lo
                                        ; implicit-def: $vgpr3
	s_delay_alu instid0(VALU_DEP_1)
	v_cmpx_gt_u32_e32 0x43f00000, v4
	s_xor_b32 s29, exec_lo, s29
	s_cbranch_execz .LBB22_728
; %bb.723:
	s_mov_b32 s30, exec_lo
                                        ; implicit-def: $vgpr3
	v_cmpx_lt_u32_e32 0x3c7fffff, v4
	s_xor_b32 s30, exec_lo, s30
; %bb.724:
	v_bfe_u32 v3, v4, 20, 1
	s_delay_alu instid0(VALU_DEP_1) | instskip(NEXT) | instid1(VALU_DEP_1)
	v_add3_u32 v3, v4, v3, 0x407ffff
	v_and_b32_e32 v4, 0xff00000, v3
	v_lshrrev_b32_e32 v3, 20, v3
	s_delay_alu instid0(VALU_DEP_2) | instskip(NEXT) | instid1(VALU_DEP_2)
	v_cmp_ne_u32_e32 vcc_lo, 0x7f00000, v4
                                        ; implicit-def: $vgpr4
	v_cndmask_b32_e32 v3, 0x7e, v3, vcc_lo
; %bb.725:
	s_and_not1_saveexec_b32 s30, s30
; %bb.726:
	v_add_f32_e32 v3, 0x46800000, v4
; %bb.727:
	s_or_b32 exec_lo, exec_lo, s30
                                        ; implicit-def: $vgpr4
.LBB22_728:
	s_and_not1_saveexec_b32 s29, s29
; %bb.729:
	v_mov_b32_e32 v3, 0x7f
	v_cmp_lt_u32_e32 vcc_lo, 0x7f800000, v4
	s_delay_alu instid0(VALU_DEP_2)
	v_cndmask_b32_e32 v3, 0x7e, v3, vcc_lo
; %bb.730:
	s_or_b32 exec_lo, exec_lo, s29
	global_store_b8 v[0:1], v3, off
.LBB22_731:
	s_mov_b32 s29, 0
.LBB22_732:
	s_delay_alu instid0(SALU_CYCLE_1)
	s_and_not1_b32 vcc_lo, exec_lo, s29
	s_cbranch_vccnz .LBB22_742
; %bb.733:
	s_wait_xcnt 0x0
	v_cvt_f32_ubyte0_e32 v4, v2
	s_mov_b32 s29, exec_lo
                                        ; implicit-def: $vgpr3
	s_delay_alu instid0(VALU_DEP_1)
	v_cmpx_gt_u32_e32 0x47800000, v4
	s_xor_b32 s29, exec_lo, s29
	s_cbranch_execz .LBB22_739
; %bb.734:
	s_mov_b32 s30, exec_lo
                                        ; implicit-def: $vgpr3
	v_cmpx_lt_u32_e32 0x387fffff, v4
	s_xor_b32 s30, exec_lo, s30
; %bb.735:
	v_bfe_u32 v3, v4, 21, 1
	s_delay_alu instid0(VALU_DEP_1) | instskip(NEXT) | instid1(VALU_DEP_1)
	v_add3_u32 v3, v4, v3, 0x80fffff
                                        ; implicit-def: $vgpr4
	v_lshrrev_b32_e32 v3, 21, v3
; %bb.736:
	s_and_not1_saveexec_b32 s30, s30
; %bb.737:
	v_add_f32_e32 v3, 0x43000000, v4
; %bb.738:
	s_or_b32 exec_lo, exec_lo, s30
                                        ; implicit-def: $vgpr4
.LBB22_739:
	s_and_not1_saveexec_b32 s29, s29
; %bb.740:
	v_mov_b32_e32 v3, 0x7f
	v_cmp_lt_u32_e32 vcc_lo, 0x7f800000, v4
	s_delay_alu instid0(VALU_DEP_2)
	v_cndmask_b32_e32 v3, 0x7c, v3, vcc_lo
; %bb.741:
	s_or_b32 exec_lo, exec_lo, s29
	global_store_b8 v[0:1], v3, off
.LBB22_742:
	s_mov_b32 s30, 0
	s_mov_b32 s29, -1
.LBB22_743:
	s_and_not1_b32 vcc_lo, exec_lo, s30
	s_cbranch_vccnz .LBB22_751
; %bb.744:
	s_cmp_gt_i32 s28, 14
	s_mov_b32 s30, -1
	s_cbranch_scc0 .LBB22_748
; %bb.745:
	s_cmp_eq_u32 s28, 15
	s_mov_b32 s0, -1
	s_cbranch_scc0 .LBB22_747
; %bb.746:
	s_wait_xcnt 0x0
	v_cvt_f32_ubyte0_e32 v3, v2
	s_mov_b32 s29, -1
	s_mov_b32 s0, 0
	s_delay_alu instid0(VALU_DEP_1) | instskip(NEXT) | instid1(VALU_DEP_1)
	v_bfe_u32 v4, v3, 16, 1
	v_add3_u32 v3, v3, v4, 0x7fff
	global_store_d16_hi_b16 v[0:1], v3, off
.LBB22_747:
	s_mov_b32 s30, 0
.LBB22_748:
	s_delay_alu instid0(SALU_CYCLE_1)
	s_and_b32 vcc_lo, exec_lo, s30
	s_cbranch_vccz .LBB22_751
; %bb.749:
	s_cmp_eq_u32 s28, 11
	s_mov_b32 s0, -1
	s_cbranch_scc0 .LBB22_751
; %bb.750:
	s_wait_xcnt 0x0
	v_and_b32_e32 v3, 0xff, v2
	s_mov_b32 s0, 0
	s_mov_b32 s29, -1
	s_delay_alu instid0(VALU_DEP_1)
	v_cmp_ne_u16_e32 vcc_lo, 0, v3
	v_cndmask_b32_e64 v3, 0, 1, vcc_lo
	global_store_b8 v[0:1], v3, off
.LBB22_751:
	s_mov_b32 s28, 0
.LBB22_752:
	s_delay_alu instid0(SALU_CYCLE_1)
	s_and_b32 vcc_lo, exec_lo, s28
	s_cbranch_vccz .LBB22_791
; %bb.753:
	s_and_b32 s25, 0xffff, s25
	s_mov_b32 s28, -1
	s_cmp_lt_i32 s25, 5
	s_cbranch_scc1 .LBB22_774
; %bb.754:
	s_cmp_lt_i32 s25, 8
	s_cbranch_scc1 .LBB22_764
; %bb.755:
	;; [unrolled: 3-line block ×3, first 2 shown]
	s_cmp_gt_i32 s25, 9
	s_cbranch_scc0 .LBB22_758
; %bb.757:
	s_wait_xcnt 0x0
	v_and_b32_e32 v3, 0xff, v2
	v_mov_b32_e32 v6, 0
	s_mov_b32 s28, 0
	s_delay_alu instid0(VALU_DEP_2) | instskip(NEXT) | instid1(VALU_DEP_2)
	v_and_b32_e32 v3, 0xffff, v3
	v_mov_b32_e32 v7, v6
	s_delay_alu instid0(VALU_DEP_2)
	v_cvt_f64_u32_e32 v[4:5], v3
	global_store_b128 v[0:1], v[4:7], off
.LBB22_758:
	s_and_not1_b32 vcc_lo, exec_lo, s28
	s_cbranch_vccnz .LBB22_760
; %bb.759:
	s_wait_xcnt 0x0
	v_cvt_f32_ubyte0_e32 v4, v2
	v_mov_b32_e32 v5, 0
	global_store_b64 v[0:1], v[4:5], off
.LBB22_760:
	s_mov_b32 s28, 0
.LBB22_761:
	s_delay_alu instid0(SALU_CYCLE_1)
	s_and_not1_b32 vcc_lo, exec_lo, s28
	s_cbranch_vccnz .LBB22_763
; %bb.762:
	s_wait_xcnt 0x0
	v_and_b32_e32 v3, 0xff, v2
	s_delay_alu instid0(VALU_DEP_1) | instskip(NEXT) | instid1(VALU_DEP_1)
	v_cvt_f16_u16_e32 v3, v3
	v_and_b32_e32 v3, 0xffff, v3
	global_store_b32 v[0:1], v3, off
.LBB22_763:
	s_mov_b32 s28, 0
.LBB22_764:
	s_delay_alu instid0(SALU_CYCLE_1)
	s_and_not1_b32 vcc_lo, exec_lo, s28
	s_cbranch_vccnz .LBB22_773
; %bb.765:
	s_cmp_lt_i32 s25, 6
	s_mov_b32 s28, -1
	s_cbranch_scc1 .LBB22_771
; %bb.766:
	s_cmp_gt_i32 s25, 6
	s_cbranch_scc0 .LBB22_768
; %bb.767:
	s_wait_xcnt 0x0
	v_and_b32_e32 v3, 0xff, v2
	s_mov_b32 s28, 0
	s_delay_alu instid0(VALU_DEP_1) | instskip(NEXT) | instid1(VALU_DEP_1)
	v_and_b32_e32 v3, 0xffff, v3
	v_cvt_f64_u32_e32 v[4:5], v3
	global_store_b64 v[0:1], v[4:5], off
.LBB22_768:
	s_and_not1_b32 vcc_lo, exec_lo, s28
	s_cbranch_vccnz .LBB22_770
; %bb.769:
	s_wait_xcnt 0x0
	v_cvt_f32_ubyte0_e32 v3, v2
	global_store_b32 v[0:1], v3, off
.LBB22_770:
	s_mov_b32 s28, 0
.LBB22_771:
	s_delay_alu instid0(SALU_CYCLE_1)
	s_and_not1_b32 vcc_lo, exec_lo, s28
	s_cbranch_vccnz .LBB22_773
; %bb.772:
	s_wait_xcnt 0x0
	v_and_b32_e32 v3, 0xff, v2
	s_delay_alu instid0(VALU_DEP_1)
	v_cvt_f16_u16_e32 v3, v3
	global_store_b16 v[0:1], v3, off
.LBB22_773:
	s_mov_b32 s28, 0
.LBB22_774:
	s_delay_alu instid0(SALU_CYCLE_1)
	s_and_not1_b32 vcc_lo, exec_lo, s28
	s_cbranch_vccnz .LBB22_790
; %bb.775:
	s_cmp_lt_i32 s25, 2
	s_mov_b32 s28, -1
	s_cbranch_scc1 .LBB22_785
; %bb.776:
	s_cmp_lt_i32 s25, 3
	s_cbranch_scc1 .LBB22_782
; %bb.777:
	s_cmp_gt_i32 s25, 3
	s_cbranch_scc0 .LBB22_779
; %bb.778:
	s_wait_xcnt 0x0
	v_and_b32_e32 v4, 0xff, v2
	v_mov_b32_e32 v5, 0
	s_mov_b32 s28, 0
	global_store_b64 v[0:1], v[4:5], off
.LBB22_779:
	s_and_not1_b32 vcc_lo, exec_lo, s28
	s_cbranch_vccnz .LBB22_781
; %bb.780:
	s_wait_xcnt 0x0
	v_and_b32_e32 v3, 0xff, v2
	global_store_b32 v[0:1], v3, off
.LBB22_781:
	s_mov_b32 s28, 0
.LBB22_782:
	s_delay_alu instid0(SALU_CYCLE_1)
	s_and_not1_b32 vcc_lo, exec_lo, s28
	s_cbranch_vccnz .LBB22_784
; %bb.783:
	s_wait_xcnt 0x0
	v_and_b32_e32 v3, 0xff, v2
	global_store_b16 v[0:1], v3, off
.LBB22_784:
	s_mov_b32 s28, 0
.LBB22_785:
	s_delay_alu instid0(SALU_CYCLE_1)
	s_and_not1_b32 vcc_lo, exec_lo, s28
	s_cbranch_vccnz .LBB22_790
; %bb.786:
	s_cmp_gt_i32 s25, 0
	s_mov_b32 s25, -1
	s_cbranch_scc0 .LBB22_788
; %bb.787:
	s_mov_b32 s25, 0
	global_store_b8 v[0:1], v2, off
.LBB22_788:
	s_and_not1_b32 vcc_lo, exec_lo, s25
	s_cbranch_vccnz .LBB22_790
; %bb.789:
	global_store_b8 v[0:1], v2, off
.LBB22_790:
	s_mov_b32 s29, -1
.LBB22_791:
	s_delay_alu instid0(SALU_CYCLE_1)
	s_and_not1_b32 vcc_lo, exec_lo, s29
	s_cbranch_vccnz .LBB22_802
; %bb.792:
	v_add_nc_u32_e32 v18, 0x80, v18
	s_mov_b32 s28, -1
.LBB22_793:
	s_and_not1_b32 s25, s17, exec_lo
	s_and_b32 s0, s0, exec_lo
	s_and_not1_b32 s29, s19, exec_lo
	s_and_b32 s30, s24, exec_lo
	s_or_b32 s24, s25, s0
	s_or_b32 s25, s29, s30
	s_and_not1_b32 s0, s20, exec_lo
	s_and_b32 s23, s23, exec_lo
	s_and_not1_b32 s29, s21, exec_lo
	s_and_b32 s30, s26, exec_lo
	s_or_b32 s26, s0, s23
	s_or_b32 s23, s29, s30
	s_or_not1_b32 s28, s28, exec_lo
.LBB22_794:
	s_wait_xcnt 0x0
	s_or_b32 exec_lo, exec_lo, s27
	s_mov_b32 s0, 0
	s_and_saveexec_b32 s27, s28
	s_cbranch_execz .LBB22_1220
; %bb.795:
	s_mov_b32 s30, -1
	s_mov_b32 s0, s23
	s_mov_b32 s29, s26
	;; [unrolled: 1-line block ×4, first 2 shown]
	s_mov_b32 s28, exec_lo
	v_cmpx_gt_i32_e64 s18, v18
	s_cbranch_execz .LBB22_1196
; %bb.796:
	s_and_b32 s29, s15, 0xff
	s_delay_alu instid0(SALU_CYCLE_1)
	s_cmp_lt_i32 s29, 23
	s_cbranch_scc1 .LBB22_800
; %bb.797:
	s_and_b32 s31, 0xffff, s29
	s_delay_alu instid0(SALU_CYCLE_1)
	s_cmp_gt_i32 s31, 43
	s_cbranch_scc0 .LBB22_801
; %bb.798:
	s_cmp_gt_i32 s31, 45
	s_cbranch_scc0 .LBB22_803
; %bb.799:
	s_cmp_eq_u32 s31, 46
	s_mov_b32 s33, 0
	s_cselect_b32 s0, -1, 0
	s_or_b32 s30, s23, exec_lo
	s_branch .LBB22_804
.LBB22_800:
	s_mov_b32 s31, -1
	s_mov_b32 s0, 0
	s_mov_b32 s30, s23
	s_branch .LBB22_810
.LBB22_801:
	s_mov_b32 s33, -1
	s_mov_b32 s0, 0
	s_mov_b32 s30, s23
	s_branch .LBB22_807
.LBB22_802:
	s_mov_b32 s28, 0
	s_branch .LBB22_422
.LBB22_803:
	s_mov_b32 s33, -1
	s_mov_b32 s0, 0
	s_mov_b32 s30, s23
.LBB22_804:
	s_and_not1_b32 vcc_lo, exec_lo, s33
	s_cbranch_vccnz .LBB22_806
; %bb.805:
	s_cmp_eq_u32 s31, 44
	s_cselect_b32 s0, -1, 0
	s_cmp_lg_u32 s31, 44
	s_cselect_b32 s33, -1, 0
	s_and_not1_b32 s30, s30, exec_lo
	s_and_b32 s33, s33, exec_lo
	s_delay_alu instid0(SALU_CYCLE_1)
	s_or_b32 s30, s30, s33
.LBB22_806:
	s_mov_b32 s33, 0
.LBB22_807:
	s_delay_alu instid0(SALU_CYCLE_1)
	s_and_b32 vcc_lo, exec_lo, s33
	s_cbranch_vccz .LBB22_809
; %bb.808:
	s_cmp_lt_i32 s31, 30
	s_cselect_b32 s0, -1, 0
	s_cmp_gt_i32 s31, 29
	s_cselect_b32 s31, -1, 0
	s_and_not1_b32 s30, s30, exec_lo
	s_and_b32 s31, s31, exec_lo
	s_delay_alu instid0(SALU_CYCLE_1)
	s_or_b32 s30, s30, s31
.LBB22_809:
	s_mov_b32 s31, 0
.LBB22_810:
	s_delay_alu instid0(SALU_CYCLE_1)
	s_and_b32 vcc_lo, exec_lo, s31
	s_cbranch_vccz .LBB22_815
; %bb.811:
	s_and_b32 s29, 0xffff, s29
	s_mov_b32 s31, -1
	s_cmp_gt_i32 s29, 14
	s_cbranch_scc0 .LBB22_813
; %bb.812:
	s_cmp_eq_u32 s29, 15
	s_cselect_b32 s0, -1, 0
	s_cmp_lg_u32 s29, 15
	s_cselect_b32 s31, -1, 0
	s_and_not1_b32 s30, s30, exec_lo
	s_and_b32 s33, s31, exec_lo
	s_mov_b32 s31, 0
	s_or_b32 s30, s30, s33
.LBB22_813:
	s_and_not1_b32 vcc_lo, exec_lo, s31
	s_cbranch_vccnz .LBB22_815
; %bb.814:
	s_cmp_lt_i32 s29, 12
	s_cselect_b32 s0, -1, 0
	s_cmp_gt_i32 s29, 11
	s_cselect_b32 s29, -1, 0
	s_and_not1_b32 s30, s30, exec_lo
	s_and_b32 s29, s29, exec_lo
	s_delay_alu instid0(SALU_CYCLE_1)
	s_or_b32 s30, s30, s29
.LBB22_815:
	s_and_b32 vcc_lo, exec_lo, s0
	s_cbranch_vccz .LBB22_823
; %bb.816:
	s_wait_loadcnt 0x0
	v_mul_lo_u32 v0, v18, s4
	s_and_b32 s0, s12, 0xff
	s_delay_alu instid0(SALU_CYCLE_1) | instskip(NEXT) | instid1(VALU_DEP_1)
	s_cmp_lt_i32 s0, 11
	v_ashrrev_i32_e32 v1, 31, v0
	s_delay_alu instid0(VALU_DEP_1)
	v_add_nc_u64_e32 v[2:3], s[8:9], v[0:1]
	s_cbranch_scc1 .LBB22_825
; %bb.817:
	s_and_b32 s30, 0xffff, s0
	s_delay_alu instid0(SALU_CYCLE_1)
	s_cmp_gt_i32 s30, 25
	s_cbranch_scc0 .LBB22_826
; %bb.818:
	s_cmp_gt_i32 s30, 28
	s_cbranch_scc0 .LBB22_827
; %bb.819:
	;; [unrolled: 3-line block ×4, first 2 shown]
	s_cmp_eq_u32 s30, 46
	s_mov_b32 s33, 0
	s_cbranch_scc0 .LBB22_832
; %bb.822:
	global_load_b32 v0, v[2:3], off
	s_mov_b32 s31, -1
	s_mov_b32 s29, 0
	s_wait_loadcnt 0x0
	v_lshlrev_b32_e32 v0, 16, v0
	s_delay_alu instid0(VALU_DEP_1) | instskip(NEXT) | instid1(VALU_DEP_1)
	v_trunc_f32_e32 v0, v0
	v_mul_f32_e64 v1, 0x2f800000, |v0|
	s_delay_alu instid0(VALU_DEP_1) | instskip(NEXT) | instid1(VALU_DEP_1)
	v_floor_f32_e32 v1, v1
	v_fma_f32 v1, 0xcf800000, v1, |v0|
	v_ashrrev_i32_e32 v0, 31, v0
	s_delay_alu instid0(VALU_DEP_2) | instskip(NEXT) | instid1(VALU_DEP_1)
	v_cvt_u32_f32_e32 v1, v1
	v_xor_b32_e32 v1, v1, v0
	s_delay_alu instid0(VALU_DEP_1)
	v_sub_nc_u32_e32 v0, v1, v0
	s_branch .LBB22_834
.LBB22_823:
	s_mov_b32 s34, 0
	s_mov_b32 s0, s24
	;; [unrolled: 1-line block ×4, first 2 shown]
.LBB22_824:
                                        ; implicit-def: $vgpr18
	s_branch .LBB22_1195
.LBB22_825:
	s_mov_b32 s30, -1
	s_mov_b32 s31, 0
	s_mov_b32 s29, s26
                                        ; implicit-def: $vgpr0
	s_branch .LBB22_895
.LBB22_826:
	s_mov_b32 s33, -1
	s_mov_b32 s31, 0
	s_mov_b32 s29, s26
                                        ; implicit-def: $vgpr0
	s_branch .LBB22_861
.LBB22_827:
	s_mov_b32 s33, -1
	s_mov_b32 s31, 0
	s_mov_b32 s29, s26
                                        ; implicit-def: $vgpr0
	s_branch .LBB22_844
.LBB22_828:
	s_mov_b32 s33, -1
	s_mov_b32 s31, 0
	s_mov_b32 s29, s26
                                        ; implicit-def: $vgpr0
	s_branch .LBB22_839
.LBB22_829:
	s_mov_b32 s33, -1
	s_mov_b32 s31, 0
	s_mov_b32 s29, s26
	s_branch .LBB22_833
.LBB22_830:
	s_and_not1_saveexec_b32 s31, s31
	s_cbranch_execz .LBB22_704
.LBB22_831:
	v_add_f32_e32 v3, 0x46000000, v4
	s_and_not1_b32 s30, s30, exec_lo
	s_delay_alu instid0(VALU_DEP_1) | instskip(NEXT) | instid1(VALU_DEP_1)
	v_and_b32_e32 v3, 0xff, v3
	v_cmp_ne_u32_e32 vcc_lo, 0, v3
	s_and_b32 s33, vcc_lo, exec_lo
	s_delay_alu instid0(SALU_CYCLE_1)
	s_or_b32 s30, s30, s33
	s_or_b32 exec_lo, exec_lo, s31
	v_mov_b32_e32 v5, 0
	s_and_saveexec_b32 s31, s30
	s_cbranch_execnz .LBB22_705
	s_branch .LBB22_706
.LBB22_832:
	s_mov_b32 s29, -1
	s_mov_b32 s31, 0
.LBB22_833:
                                        ; implicit-def: $vgpr0
.LBB22_834:
	s_and_b32 vcc_lo, exec_lo, s33
	s_cbranch_vccz .LBB22_838
; %bb.835:
	s_cmp_eq_u32 s30, 44
	s_cbranch_scc0 .LBB22_837
; %bb.836:
	global_load_u8 v0, v[2:3], off
	s_mov_b32 s29, 0
	s_mov_b32 s31, -1
	s_wait_loadcnt 0x0
	v_lshlrev_b32_e32 v1, 23, v0
	v_cmp_ne_u32_e32 vcc_lo, 0, v0
	s_delay_alu instid0(VALU_DEP_2) | instskip(NEXT) | instid1(VALU_DEP_1)
	v_trunc_f32_e32 v1, v1
	v_mul_f32_e64 v4, 0x2f800000, |v1|
	s_delay_alu instid0(VALU_DEP_1) | instskip(NEXT) | instid1(VALU_DEP_1)
	v_floor_f32_e32 v4, v4
	v_fma_f32 v4, 0xcf800000, v4, |v1|
	v_ashrrev_i32_e32 v1, 31, v1
	s_delay_alu instid0(VALU_DEP_2) | instskip(NEXT) | instid1(VALU_DEP_1)
	v_cvt_u32_f32_e32 v4, v4
	v_xor_b32_e32 v4, v4, v1
	s_delay_alu instid0(VALU_DEP_1) | instskip(NEXT) | instid1(VALU_DEP_1)
	v_sub_nc_u32_e32 v1, v4, v1
	v_cndmask_b32_e32 v0, 0, v1, vcc_lo
	s_branch .LBB22_838
.LBB22_837:
	s_mov_b32 s29, -1
                                        ; implicit-def: $vgpr0
.LBB22_838:
	s_mov_b32 s33, 0
.LBB22_839:
	s_delay_alu instid0(SALU_CYCLE_1)
	s_and_b32 vcc_lo, exec_lo, s33
	s_cbranch_vccz .LBB22_843
; %bb.840:
	s_cmp_eq_u32 s30, 29
	s_cbranch_scc0 .LBB22_842
; %bb.841:
	global_load_b64 v[0:1], v[2:3], off
	s_mov_b32 s31, -1
	s_mov_b32 s29, 0
	s_branch .LBB22_843
.LBB22_842:
	s_mov_b32 s29, -1
                                        ; implicit-def: $vgpr0
.LBB22_843:
	s_mov_b32 s33, 0
.LBB22_844:
	s_delay_alu instid0(SALU_CYCLE_1)
	s_and_b32 vcc_lo, exec_lo, s33
	s_cbranch_vccz .LBB22_860
; %bb.845:
	s_cmp_lt_i32 s30, 27
	s_cbranch_scc1 .LBB22_848
; %bb.846:
	s_cmp_gt_i32 s30, 27
	s_cbranch_scc0 .LBB22_849
; %bb.847:
	s_wait_loadcnt 0x0
	global_load_b32 v0, v[2:3], off
	s_mov_b32 s31, 0
	s_branch .LBB22_850
.LBB22_848:
	s_mov_b32 s31, -1
                                        ; implicit-def: $vgpr0
	s_branch .LBB22_853
.LBB22_849:
	s_mov_b32 s31, -1
                                        ; implicit-def: $vgpr0
.LBB22_850:
	s_delay_alu instid0(SALU_CYCLE_1)
	s_and_not1_b32 vcc_lo, exec_lo, s31
	s_cbranch_vccnz .LBB22_852
; %bb.851:
	s_wait_loadcnt 0x0
	global_load_u16 v0, v[2:3], off
.LBB22_852:
	s_mov_b32 s31, 0
.LBB22_853:
	s_delay_alu instid0(SALU_CYCLE_1)
	s_and_not1_b32 vcc_lo, exec_lo, s31
	s_cbranch_vccnz .LBB22_859
; %bb.854:
	s_wait_loadcnt 0x0
	global_load_u8 v1, v[2:3], off
	s_mov_b32 s33, 0
	s_mov_b32 s31, exec_lo
	s_wait_loadcnt 0x0
	v_cmpx_lt_i16_e32 0x7f, v1
	s_xor_b32 s31, exec_lo, s31
	s_cbranch_execz .LBB22_871
; %bb.855:
	v_cmp_ne_u16_e32 vcc_lo, 0x80, v1
	s_and_b32 s33, vcc_lo, exec_lo
	s_and_not1_saveexec_b32 s31, s31
	s_cbranch_execnz .LBB22_872
.LBB22_856:
	s_or_b32 exec_lo, exec_lo, s31
	v_mov_b32_e32 v0, 0
	s_and_saveexec_b32 s31, s33
	s_cbranch_execz .LBB22_858
.LBB22_857:
	v_and_b32_e32 v0, 0xffff, v1
	s_delay_alu instid0(VALU_DEP_1) | instskip(SKIP_1) | instid1(VALU_DEP_2)
	v_and_b32_e32 v4, 7, v0
	v_bfe_u32 v7, v0, 3, 4
	v_clz_i32_u32_e32 v5, v4
	s_delay_alu instid0(VALU_DEP_2) | instskip(NEXT) | instid1(VALU_DEP_2)
	v_cmp_eq_u32_e32 vcc_lo, 0, v7
	v_min_u32_e32 v5, 32, v5
	s_delay_alu instid0(VALU_DEP_1) | instskip(NEXT) | instid1(VALU_DEP_1)
	v_subrev_nc_u32_e32 v6, 28, v5
	v_dual_lshlrev_b32 v0, v6, v0 :: v_dual_sub_nc_u32 v5, 29, v5
	s_delay_alu instid0(VALU_DEP_1) | instskip(NEXT) | instid1(VALU_DEP_1)
	v_dual_lshlrev_b32 v1, 24, v1 :: v_dual_bitop2_b32 v0, 7, v0 bitop3:0x40
	v_dual_cndmask_b32 v0, v4, v0 :: v_dual_cndmask_b32 v5, v7, v5
	s_delay_alu instid0(VALU_DEP_2) | instskip(NEXT) | instid1(VALU_DEP_2)
	v_and_b32_e32 v1, 0x80000000, v1
	v_lshlrev_b32_e32 v0, 20, v0
	s_delay_alu instid0(VALU_DEP_3) | instskip(NEXT) | instid1(VALU_DEP_1)
	v_lshl_add_u32 v4, v5, 23, 0x3b800000
	v_or3_b32 v0, v1, v4, v0
	s_delay_alu instid0(VALU_DEP_1) | instskip(NEXT) | instid1(VALU_DEP_1)
	v_trunc_f32_e32 v0, v0
	v_mul_f32_e64 v1, 0x2f800000, |v0|
	s_delay_alu instid0(VALU_DEP_1) | instskip(NEXT) | instid1(VALU_DEP_1)
	v_floor_f32_e32 v1, v1
	v_fma_f32 v1, 0xcf800000, v1, |v0|
	v_ashrrev_i32_e32 v0, 31, v0
	s_delay_alu instid0(VALU_DEP_2) | instskip(NEXT) | instid1(VALU_DEP_1)
	v_cvt_u32_f32_e32 v1, v1
	v_xor_b32_e32 v1, v1, v0
	s_delay_alu instid0(VALU_DEP_1)
	v_sub_nc_u32_e32 v0, v1, v0
.LBB22_858:
	s_or_b32 exec_lo, exec_lo, s31
.LBB22_859:
	s_mov_b32 s31, -1
.LBB22_860:
	s_mov_b32 s33, 0
.LBB22_861:
	s_delay_alu instid0(SALU_CYCLE_1)
	s_and_b32 vcc_lo, exec_lo, s33
	s_cbranch_vccz .LBB22_894
; %bb.862:
	s_cmp_gt_i32 s30, 22
	s_cbranch_scc0 .LBB22_870
; %bb.863:
	s_cmp_lt_i32 s30, 24
	s_cbranch_scc1 .LBB22_873
; %bb.864:
	s_cmp_gt_i32 s30, 24
	s_cbranch_scc0 .LBB22_874
; %bb.865:
	s_wait_loadcnt 0x0
	global_load_u8 v1, v[2:3], off
	s_mov_b32 s33, 0
	s_mov_b32 s31, exec_lo
	s_wait_loadcnt 0x0
	v_cmpx_lt_i16_e32 0x7f, v1
	s_xor_b32 s31, exec_lo, s31
	s_cbranch_execz .LBB22_886
; %bb.866:
	v_cmp_ne_u16_e32 vcc_lo, 0x80, v1
	s_and_b32 s33, vcc_lo, exec_lo
	s_and_not1_saveexec_b32 s31, s31
	s_cbranch_execnz .LBB22_887
.LBB22_867:
	s_or_b32 exec_lo, exec_lo, s31
	v_mov_b32_e32 v0, 0
	s_and_saveexec_b32 s31, s33
	s_cbranch_execz .LBB22_869
.LBB22_868:
	v_and_b32_e32 v0, 0xffff, v1
	s_delay_alu instid0(VALU_DEP_1) | instskip(SKIP_1) | instid1(VALU_DEP_2)
	v_and_b32_e32 v4, 3, v0
	v_bfe_u32 v7, v0, 2, 5
	v_clz_i32_u32_e32 v5, v4
	s_delay_alu instid0(VALU_DEP_2) | instskip(NEXT) | instid1(VALU_DEP_2)
	v_cmp_eq_u32_e32 vcc_lo, 0, v7
	v_min_u32_e32 v5, 32, v5
	s_delay_alu instid0(VALU_DEP_1) | instskip(NEXT) | instid1(VALU_DEP_1)
	v_subrev_nc_u32_e32 v6, 29, v5
	v_dual_lshlrev_b32 v0, v6, v0 :: v_dual_sub_nc_u32 v5, 30, v5
	s_delay_alu instid0(VALU_DEP_1) | instskip(NEXT) | instid1(VALU_DEP_1)
	v_dual_lshlrev_b32 v1, 24, v1 :: v_dual_bitop2_b32 v0, 3, v0 bitop3:0x40
	v_dual_cndmask_b32 v0, v4, v0 :: v_dual_cndmask_b32 v5, v7, v5
	s_delay_alu instid0(VALU_DEP_2) | instskip(NEXT) | instid1(VALU_DEP_2)
	v_and_b32_e32 v1, 0x80000000, v1
	v_lshlrev_b32_e32 v0, 21, v0
	s_delay_alu instid0(VALU_DEP_3) | instskip(NEXT) | instid1(VALU_DEP_1)
	v_lshl_add_u32 v4, v5, 23, 0x37800000
	v_or3_b32 v0, v1, v4, v0
	s_delay_alu instid0(VALU_DEP_1) | instskip(NEXT) | instid1(VALU_DEP_1)
	v_trunc_f32_e32 v0, v0
	v_mul_f32_e64 v1, 0x2f800000, |v0|
	s_delay_alu instid0(VALU_DEP_1) | instskip(NEXT) | instid1(VALU_DEP_1)
	v_floor_f32_e32 v1, v1
	v_fma_f32 v1, 0xcf800000, v1, |v0|
	v_ashrrev_i32_e32 v0, 31, v0
	s_delay_alu instid0(VALU_DEP_2) | instskip(NEXT) | instid1(VALU_DEP_1)
	v_cvt_u32_f32_e32 v1, v1
	v_xor_b32_e32 v1, v1, v0
	s_delay_alu instid0(VALU_DEP_1)
	v_sub_nc_u32_e32 v0, v1, v0
.LBB22_869:
	s_or_b32 exec_lo, exec_lo, s31
	s_mov_b32 s31, 0
	s_branch .LBB22_875
.LBB22_870:
	s_mov_b32 s33, -1
                                        ; implicit-def: $vgpr0
	s_branch .LBB22_881
.LBB22_871:
	s_and_not1_saveexec_b32 s31, s31
	s_cbranch_execz .LBB22_856
.LBB22_872:
	v_cmp_ne_u16_e32 vcc_lo, 0, v1
	s_and_not1_b32 s33, s33, exec_lo
	s_and_b32 s34, vcc_lo, exec_lo
	s_delay_alu instid0(SALU_CYCLE_1)
	s_or_b32 s33, s33, s34
	s_or_b32 exec_lo, exec_lo, s31
	v_mov_b32_e32 v0, 0
	s_and_saveexec_b32 s31, s33
	s_cbranch_execnz .LBB22_857
	s_branch .LBB22_858
.LBB22_873:
	s_mov_b32 s31, -1
                                        ; implicit-def: $vgpr0
	s_branch .LBB22_878
.LBB22_874:
	s_mov_b32 s31, -1
                                        ; implicit-def: $vgpr0
.LBB22_875:
	s_delay_alu instid0(SALU_CYCLE_1)
	s_and_b32 vcc_lo, exec_lo, s31
	s_cbranch_vccz .LBB22_877
; %bb.876:
	s_wait_loadcnt 0x0
	global_load_u8 v0, v[2:3], off
	s_wait_loadcnt 0x0
	v_lshlrev_b32_e32 v0, 24, v0
	s_delay_alu instid0(VALU_DEP_1) | instskip(NEXT) | instid1(VALU_DEP_1)
	v_and_b32_e32 v1, 0x7f000000, v0
	v_clz_i32_u32_e32 v4, v1
	v_cmp_ne_u32_e32 vcc_lo, 0, v1
	v_add_nc_u32_e32 v6, 0x1000000, v1
	s_delay_alu instid0(VALU_DEP_3) | instskip(NEXT) | instid1(VALU_DEP_1)
	v_min_u32_e32 v4, 32, v4
	v_sub_nc_u32_e64 v4, v4, 4 clamp
	s_delay_alu instid0(VALU_DEP_1) | instskip(NEXT) | instid1(VALU_DEP_1)
	v_dual_lshlrev_b32 v5, v4, v1 :: v_dual_lshlrev_b32 v4, 23, v4
	v_lshrrev_b32_e32 v5, 4, v5
	s_delay_alu instid0(VALU_DEP_1) | instskip(NEXT) | instid1(VALU_DEP_1)
	v_dual_sub_nc_u32 v4, v5, v4 :: v_dual_ashrrev_i32 v5, 8, v6
	v_add_nc_u32_e32 v4, 0x3c000000, v4
	s_delay_alu instid0(VALU_DEP_1) | instskip(NEXT) | instid1(VALU_DEP_1)
	v_and_or_b32 v4, 0x7f800000, v5, v4
	v_cndmask_b32_e32 v1, 0, v4, vcc_lo
	s_delay_alu instid0(VALU_DEP_1) | instskip(NEXT) | instid1(VALU_DEP_1)
	v_and_or_b32 v0, 0x80000000, v0, v1
	v_trunc_f32_e32 v0, v0
	s_delay_alu instid0(VALU_DEP_1) | instskip(NEXT) | instid1(VALU_DEP_1)
	v_mul_f32_e64 v1, 0x2f800000, |v0|
	v_floor_f32_e32 v1, v1
	s_delay_alu instid0(VALU_DEP_1) | instskip(SKIP_1) | instid1(VALU_DEP_2)
	v_fma_f32 v1, 0xcf800000, v1, |v0|
	v_ashrrev_i32_e32 v0, 31, v0
	v_cvt_u32_f32_e32 v1, v1
	s_delay_alu instid0(VALU_DEP_1) | instskip(NEXT) | instid1(VALU_DEP_1)
	v_xor_b32_e32 v1, v1, v0
	v_sub_nc_u32_e32 v0, v1, v0
.LBB22_877:
	s_mov_b32 s31, 0
.LBB22_878:
	s_delay_alu instid0(SALU_CYCLE_1)
	s_and_not1_b32 vcc_lo, exec_lo, s31
	s_cbranch_vccnz .LBB22_880
; %bb.879:
	s_wait_loadcnt 0x0
	global_load_u8 v0, v[2:3], off
	s_wait_loadcnt 0x0
	v_lshlrev_b32_e32 v1, 25, v0
	v_lshlrev_b16 v0, 8, v0
	s_delay_alu instid0(VALU_DEP_1) | instskip(SKIP_1) | instid1(VALU_DEP_2)
	v_and_or_b32 v5, 0x7f00, v0, 0.5
	v_bfe_i32 v0, v0, 0, 16
	v_add_f32_e32 v5, -0.5, v5
	v_lshrrev_b32_e32 v4, 4, v1
	v_cmp_gt_u32_e32 vcc_lo, 0x8000000, v1
	s_delay_alu instid0(VALU_DEP_2) | instskip(NEXT) | instid1(VALU_DEP_1)
	v_or_b32_e32 v4, 0x70000000, v4
	v_mul_f32_e32 v4, 0x7800000, v4
	s_delay_alu instid0(VALU_DEP_1) | instskip(NEXT) | instid1(VALU_DEP_1)
	v_cndmask_b32_e32 v1, v4, v5, vcc_lo
	v_and_or_b32 v0, 0x80000000, v0, v1
	s_delay_alu instid0(VALU_DEP_1) | instskip(NEXT) | instid1(VALU_DEP_1)
	v_trunc_f32_e32 v0, v0
	v_mul_f32_e64 v1, 0x2f800000, |v0|
	s_delay_alu instid0(VALU_DEP_1) | instskip(NEXT) | instid1(VALU_DEP_1)
	v_floor_f32_e32 v1, v1
	v_fma_f32 v1, 0xcf800000, v1, |v0|
	v_ashrrev_i32_e32 v0, 31, v0
	s_delay_alu instid0(VALU_DEP_2) | instskip(NEXT) | instid1(VALU_DEP_1)
	v_cvt_u32_f32_e32 v1, v1
	v_xor_b32_e32 v1, v1, v0
	s_delay_alu instid0(VALU_DEP_1)
	v_sub_nc_u32_e32 v0, v1, v0
.LBB22_880:
	s_mov_b32 s33, 0
	s_mov_b32 s31, -1
.LBB22_881:
	s_and_not1_b32 vcc_lo, exec_lo, s33
	s_cbranch_vccnz .LBB22_894
; %bb.882:
	s_cmp_gt_i32 s30, 14
	s_cbranch_scc0 .LBB22_885
; %bb.883:
	s_cmp_eq_u32 s30, 15
	s_cbranch_scc0 .LBB22_888
; %bb.884:
	s_wait_loadcnt 0x0
	global_load_u16 v0, v[2:3], off
	s_mov_b32 s31, -1
	s_mov_b32 s29, 0
	s_wait_loadcnt 0x0
	v_lshlrev_b32_e32 v0, 16, v0
	s_delay_alu instid0(VALU_DEP_1) | instskip(NEXT) | instid1(VALU_DEP_1)
	v_trunc_f32_e32 v0, v0
	v_mul_f32_e64 v1, 0x2f800000, |v0|
	s_delay_alu instid0(VALU_DEP_1) | instskip(NEXT) | instid1(VALU_DEP_1)
	v_floor_f32_e32 v1, v1
	v_fma_f32 v1, 0xcf800000, v1, |v0|
	v_ashrrev_i32_e32 v0, 31, v0
	s_delay_alu instid0(VALU_DEP_2) | instskip(NEXT) | instid1(VALU_DEP_1)
	v_cvt_u32_f32_e32 v1, v1
	v_xor_b32_e32 v1, v1, v0
	s_delay_alu instid0(VALU_DEP_1)
	v_sub_nc_u32_e32 v0, v1, v0
	s_branch .LBB22_889
.LBB22_885:
	s_mov_b32 s33, -1
                                        ; implicit-def: $vgpr0
	s_branch .LBB22_890
.LBB22_886:
	s_and_not1_saveexec_b32 s31, s31
	s_cbranch_execz .LBB22_867
.LBB22_887:
	v_cmp_ne_u16_e32 vcc_lo, 0, v1
	s_and_not1_b32 s33, s33, exec_lo
	s_and_b32 s34, vcc_lo, exec_lo
	s_delay_alu instid0(SALU_CYCLE_1)
	s_or_b32 s33, s33, s34
	s_or_b32 exec_lo, exec_lo, s31
	v_mov_b32_e32 v0, 0
	s_and_saveexec_b32 s31, s33
	s_cbranch_execnz .LBB22_868
	s_branch .LBB22_869
.LBB22_888:
	s_mov_b32 s29, -1
                                        ; implicit-def: $vgpr0
.LBB22_889:
	s_mov_b32 s33, 0
.LBB22_890:
	s_delay_alu instid0(SALU_CYCLE_1)
	s_and_b32 vcc_lo, exec_lo, s33
	s_cbranch_vccz .LBB22_894
; %bb.891:
	s_cmp_eq_u32 s30, 11
	s_cbranch_scc0 .LBB22_893
; %bb.892:
	s_wait_loadcnt 0x0
	global_load_u8 v0, v[2:3], off
	s_mov_b32 s29, 0
	s_mov_b32 s31, -1
	s_wait_loadcnt 0x0
	v_cmp_ne_u16_e32 vcc_lo, 0, v0
	v_cndmask_b32_e64 v0, 0, 1, vcc_lo
	s_branch .LBB22_894
.LBB22_893:
	s_mov_b32 s29, -1
                                        ; implicit-def: $vgpr0
.LBB22_894:
	s_mov_b32 s30, 0
.LBB22_895:
	s_delay_alu instid0(SALU_CYCLE_1)
	s_and_b32 vcc_lo, exec_lo, s30
	s_cbranch_vccz .LBB22_944
; %bb.896:
	s_and_b32 s0, 0xffff, s0
	s_delay_alu instid0(SALU_CYCLE_1)
	s_cmp_lt_i32 s0, 5
	s_cbranch_scc1 .LBB22_901
; %bb.897:
	s_cmp_lt_i32 s0, 8
	s_cbranch_scc1 .LBB22_902
; %bb.898:
	;; [unrolled: 3-line block ×3, first 2 shown]
	s_cmp_gt_i32 s0, 9
	s_cbranch_scc0 .LBB22_904
; %bb.900:
	s_wait_loadcnt 0x0
	global_load_b64 v[0:1], v[2:3], off
	s_mov_b32 s30, 0
	s_wait_loadcnt 0x0
	v_trunc_f64_e32 v[0:1], v[0:1]
	s_delay_alu instid0(VALU_DEP_1) | instskip(NEXT) | instid1(VALU_DEP_1)
	v_ldexp_f64 v[4:5], v[0:1], 0xffffffe0
	v_floor_f64_e32 v[4:5], v[4:5]
	s_delay_alu instid0(VALU_DEP_1) | instskip(NEXT) | instid1(VALU_DEP_1)
	v_fmamk_f64 v[0:1], v[4:5], 0xc1f00000, v[0:1]
	v_cvt_u32_f64_e32 v0, v[0:1]
	s_branch .LBB22_905
.LBB22_901:
	s_mov_b32 s30, -1
                                        ; implicit-def: $vgpr0
	s_branch .LBB22_923
.LBB22_902:
	s_mov_b32 s30, -1
                                        ; implicit-def: $vgpr0
	s_branch .LBB22_911
.LBB22_903:
	s_mov_b32 s30, -1
                                        ; implicit-def: $vgpr0
	s_branch .LBB22_908
.LBB22_904:
	s_mov_b32 s30, -1
                                        ; implicit-def: $vgpr0
.LBB22_905:
	s_delay_alu instid0(SALU_CYCLE_1)
	s_and_not1_b32 vcc_lo, exec_lo, s30
	s_cbranch_vccnz .LBB22_907
; %bb.906:
	s_wait_loadcnt 0x0
	global_load_b32 v0, v[2:3], off
	s_wait_loadcnt 0x0
	v_trunc_f32_e32 v0, v0
	s_delay_alu instid0(VALU_DEP_1) | instskip(NEXT) | instid1(VALU_DEP_1)
	v_mul_f32_e64 v1, 0x2f800000, |v0|
	v_floor_f32_e32 v1, v1
	s_delay_alu instid0(VALU_DEP_1) | instskip(SKIP_1) | instid1(VALU_DEP_2)
	v_fma_f32 v1, 0xcf800000, v1, |v0|
	v_ashrrev_i32_e32 v0, 31, v0
	v_cvt_u32_f32_e32 v1, v1
	s_delay_alu instid0(VALU_DEP_1) | instskip(NEXT) | instid1(VALU_DEP_1)
	v_xor_b32_e32 v1, v1, v0
	v_sub_nc_u32_e32 v0, v1, v0
.LBB22_907:
	s_mov_b32 s30, 0
.LBB22_908:
	s_delay_alu instid0(SALU_CYCLE_1)
	s_and_not1_b32 vcc_lo, exec_lo, s30
	s_cbranch_vccnz .LBB22_910
; %bb.909:
	s_wait_loadcnt 0x0
	global_load_b32 v0, v[2:3], off
	s_wait_loadcnt 0x0
	v_cvt_f32_f16_e32 v0, v0
	s_delay_alu instid0(VALU_DEP_1)
	v_cvt_i32_f32_e32 v0, v0
.LBB22_910:
	s_mov_b32 s30, 0
.LBB22_911:
	s_delay_alu instid0(SALU_CYCLE_1)
	s_and_not1_b32 vcc_lo, exec_lo, s30
	s_cbranch_vccnz .LBB22_922
; %bb.912:
	s_cmp_lt_i32 s0, 6
	s_cbranch_scc1 .LBB22_915
; %bb.913:
	s_cmp_gt_i32 s0, 6
	s_cbranch_scc0 .LBB22_916
; %bb.914:
	s_wait_loadcnt 0x0
	global_load_b64 v[0:1], v[2:3], off
	s_mov_b32 s30, 0
	s_wait_loadcnt 0x0
	v_trunc_f64_e32 v[0:1], v[0:1]
	s_delay_alu instid0(VALU_DEP_1) | instskip(NEXT) | instid1(VALU_DEP_1)
	v_ldexp_f64 v[4:5], v[0:1], 0xffffffe0
	v_floor_f64_e32 v[4:5], v[4:5]
	s_delay_alu instid0(VALU_DEP_1) | instskip(NEXT) | instid1(VALU_DEP_1)
	v_fmamk_f64 v[0:1], v[4:5], 0xc1f00000, v[0:1]
	v_cvt_u32_f64_e32 v0, v[0:1]
	s_branch .LBB22_917
.LBB22_915:
	s_mov_b32 s30, -1
                                        ; implicit-def: $vgpr0
	s_branch .LBB22_920
.LBB22_916:
	s_mov_b32 s30, -1
                                        ; implicit-def: $vgpr0
.LBB22_917:
	s_delay_alu instid0(SALU_CYCLE_1)
	s_and_not1_b32 vcc_lo, exec_lo, s30
	s_cbranch_vccnz .LBB22_919
; %bb.918:
	s_wait_loadcnt 0x0
	global_load_b32 v0, v[2:3], off
	s_wait_loadcnt 0x0
	v_trunc_f32_e32 v0, v0
	s_delay_alu instid0(VALU_DEP_1) | instskip(NEXT) | instid1(VALU_DEP_1)
	v_mul_f32_e64 v1, 0x2f800000, |v0|
	v_floor_f32_e32 v1, v1
	s_delay_alu instid0(VALU_DEP_1) | instskip(SKIP_1) | instid1(VALU_DEP_2)
	v_fma_f32 v1, 0xcf800000, v1, |v0|
	v_ashrrev_i32_e32 v0, 31, v0
	v_cvt_u32_f32_e32 v1, v1
	s_delay_alu instid0(VALU_DEP_1) | instskip(NEXT) | instid1(VALU_DEP_1)
	v_xor_b32_e32 v1, v1, v0
	v_sub_nc_u32_e32 v0, v1, v0
.LBB22_919:
	s_mov_b32 s30, 0
.LBB22_920:
	s_delay_alu instid0(SALU_CYCLE_1)
	s_and_not1_b32 vcc_lo, exec_lo, s30
	s_cbranch_vccnz .LBB22_922
; %bb.921:
	s_wait_loadcnt 0x0
	global_load_u16 v0, v[2:3], off
	s_wait_loadcnt 0x0
	v_cvt_f32_f16_e32 v0, v0
	s_delay_alu instid0(VALU_DEP_1)
	v_cvt_i32_f32_e32 v0, v0
.LBB22_922:
	s_mov_b32 s30, 0
.LBB22_923:
	s_delay_alu instid0(SALU_CYCLE_1)
	s_and_not1_b32 vcc_lo, exec_lo, s30
	s_cbranch_vccnz .LBB22_943
; %bb.924:
	s_cmp_lt_i32 s0, 2
	s_cbranch_scc1 .LBB22_928
; %bb.925:
	s_cmp_lt_i32 s0, 3
	s_cbranch_scc1 .LBB22_929
; %bb.926:
	s_cmp_gt_i32 s0, 3
	s_cbranch_scc0 .LBB22_930
; %bb.927:
	s_wait_loadcnt 0x0
	global_load_b64 v[0:1], v[2:3], off
	s_mov_b32 s30, 0
	s_branch .LBB22_931
.LBB22_928:
	s_mov_b32 s30, -1
                                        ; implicit-def: $vgpr0
	s_branch .LBB22_937
.LBB22_929:
	s_mov_b32 s30, -1
                                        ; implicit-def: $vgpr0
	s_branch .LBB22_934
.LBB22_930:
	s_mov_b32 s30, -1
                                        ; implicit-def: $vgpr0
.LBB22_931:
	s_delay_alu instid0(SALU_CYCLE_1)
	s_and_not1_b32 vcc_lo, exec_lo, s30
	s_cbranch_vccnz .LBB22_933
; %bb.932:
	s_wait_loadcnt 0x0
	global_load_b32 v0, v[2:3], off
.LBB22_933:
	s_mov_b32 s30, 0
.LBB22_934:
	s_delay_alu instid0(SALU_CYCLE_1)
	s_and_not1_b32 vcc_lo, exec_lo, s30
	s_cbranch_vccnz .LBB22_936
; %bb.935:
	s_wait_loadcnt 0x0
	global_load_u16 v0, v[2:3], off
.LBB22_936:
	s_mov_b32 s30, 0
.LBB22_937:
	s_delay_alu instid0(SALU_CYCLE_1)
	s_and_not1_b32 vcc_lo, exec_lo, s30
	s_cbranch_vccnz .LBB22_943
; %bb.938:
	s_cmp_gt_i32 s0, 0
	s_mov_b32 s0, 0
	s_cbranch_scc0 .LBB22_940
; %bb.939:
	s_wait_loadcnt 0x0
	global_load_u8 v0, v[2:3], off
	s_branch .LBB22_941
.LBB22_940:
	s_mov_b32 s0, -1
                                        ; implicit-def: $vgpr0
.LBB22_941:
	s_delay_alu instid0(SALU_CYCLE_1)
	s_and_not1_b32 vcc_lo, exec_lo, s0
	s_cbranch_vccnz .LBB22_943
; %bb.942:
	s_wait_loadcnt 0x0
	global_load_u8 v0, v[2:3], off
.LBB22_943:
	s_mov_b32 s31, -1
.LBB22_944:
	s_mov_b32 s30, 0
	s_mov_b32 s0, s24
	s_and_not1_b32 vcc_lo, exec_lo, s31
	s_mov_b32 s31, s25
	s_mov_b32 s34, 0
	s_cbranch_vccnz .LBB22_1195
; %bb.945:
	s_wait_xcnt 0x0
	v_mul_lo_u32 v2, v18, s5
	s_and_b32 s0, s7, 0xff
	s_delay_alu instid0(SALU_CYCLE_1) | instskip(NEXT) | instid1(VALU_DEP_1)
	s_cmp_lt_i32 s0, 11
	v_ashrrev_i32_e32 v3, 31, v2
	s_delay_alu instid0(VALU_DEP_1)
	v_add_nc_u64_e32 v[2:3], s[10:11], v[2:3]
	s_cbranch_scc1 .LBB22_952
; %bb.946:
	s_and_b32 s33, 0xffff, s0
	s_delay_alu instid0(SALU_CYCLE_1)
	s_cmp_gt_i32 s33, 25
	s_cbranch_scc0 .LBB22_953
; %bb.947:
	s_cmp_gt_i32 s33, 28
	s_cbranch_scc0 .LBB22_954
; %bb.948:
	;; [unrolled: 3-line block ×4, first 2 shown]
	s_cmp_eq_u32 s33, 46
	s_mov_b32 s35, 0
	s_cbranch_scc0 .LBB22_959
; %bb.951:
	s_wait_loadcnt 0x0
	global_load_b32 v1, v[2:3], off
	s_mov_b32 s34, -1
	s_mov_b32 s31, 0
	s_wait_loadcnt 0x0
	v_lshlrev_b32_e32 v1, 16, v1
	s_delay_alu instid0(VALU_DEP_1) | instskip(NEXT) | instid1(VALU_DEP_1)
	v_trunc_f32_e32 v1, v1
	v_mul_f32_e64 v4, 0x2f800000, |v1|
	s_delay_alu instid0(VALU_DEP_1) | instskip(NEXT) | instid1(VALU_DEP_1)
	v_floor_f32_e32 v4, v4
	v_fma_f32 v4, 0xcf800000, v4, |v1|
	v_ashrrev_i32_e32 v1, 31, v1
	s_delay_alu instid0(VALU_DEP_2) | instskip(NEXT) | instid1(VALU_DEP_1)
	v_cvt_u32_f32_e32 v4, v4
	v_xor_b32_e32 v4, v4, v1
	s_delay_alu instid0(VALU_DEP_1)
	v_sub_nc_u32_e32 v4, v4, v1
	s_branch .LBB22_961
.LBB22_952:
	s_mov_b32 s33, -1
	s_mov_b32 s31, s25
                                        ; implicit-def: $vgpr4
	s_branch .LBB22_1022
.LBB22_953:
	s_mov_b32 s35, -1
	s_mov_b32 s31, s25
                                        ; implicit-def: $vgpr4
	s_branch .LBB22_988
.LBB22_954:
	s_mov_b32 s35, -1
	s_mov_b32 s31, s25
                                        ; implicit-def: $vgpr4
	s_branch .LBB22_971
.LBB22_955:
	s_mov_b32 s35, -1
	s_mov_b32 s31, s25
                                        ; implicit-def: $vgpr4
	s_branch .LBB22_966
.LBB22_956:
	s_mov_b32 s35, -1
	s_mov_b32 s31, s25
	s_branch .LBB22_960
.LBB22_957:
	s_and_not1_saveexec_b32 s31, s31
	s_cbranch_execz .LBB22_717
.LBB22_958:
	v_add_f32_e32 v3, 0x42800000, v4
	s_and_not1_b32 s30, s30, exec_lo
	s_delay_alu instid0(VALU_DEP_1) | instskip(NEXT) | instid1(VALU_DEP_1)
	v_and_b32_e32 v3, 0xff, v3
	v_cmp_ne_u32_e32 vcc_lo, 0, v3
	s_and_b32 s33, vcc_lo, exec_lo
	s_delay_alu instid0(SALU_CYCLE_1)
	s_or_b32 s30, s30, s33
	s_or_b32 exec_lo, exec_lo, s31
	v_mov_b32_e32 v5, 0
	s_and_saveexec_b32 s31, s30
	s_cbranch_execnz .LBB22_718
	s_branch .LBB22_719
.LBB22_959:
	s_mov_b32 s31, -1
.LBB22_960:
                                        ; implicit-def: $vgpr4
.LBB22_961:
	s_and_b32 vcc_lo, exec_lo, s35
	s_cbranch_vccz .LBB22_965
; %bb.962:
	s_cmp_eq_u32 s33, 44
	s_cbranch_scc0 .LBB22_964
; %bb.963:
	s_wait_loadcnt 0x0
	global_load_u8 v1, v[2:3], off
	s_mov_b32 s31, 0
	s_mov_b32 s34, -1
	s_wait_loadcnt 0x0
	v_lshlrev_b32_e32 v4, 23, v1
	v_cmp_ne_u32_e32 vcc_lo, 0, v1
	s_delay_alu instid0(VALU_DEP_2) | instskip(NEXT) | instid1(VALU_DEP_1)
	v_trunc_f32_e32 v4, v4
	v_mul_f32_e64 v5, 0x2f800000, |v4|
	s_delay_alu instid0(VALU_DEP_1) | instskip(NEXT) | instid1(VALU_DEP_1)
	v_floor_f32_e32 v5, v5
	v_fma_f32 v5, 0xcf800000, v5, |v4|
	v_ashrrev_i32_e32 v4, 31, v4
	s_delay_alu instid0(VALU_DEP_2) | instskip(NEXT) | instid1(VALU_DEP_1)
	v_cvt_u32_f32_e32 v5, v5
	v_xor_b32_e32 v5, v5, v4
	s_delay_alu instid0(VALU_DEP_1) | instskip(NEXT) | instid1(VALU_DEP_1)
	v_sub_nc_u32_e32 v4, v5, v4
	v_cndmask_b32_e32 v4, 0, v4, vcc_lo
	s_branch .LBB22_965
.LBB22_964:
	s_mov_b32 s31, -1
                                        ; implicit-def: $vgpr4
.LBB22_965:
	s_mov_b32 s35, 0
.LBB22_966:
	s_delay_alu instid0(SALU_CYCLE_1)
	s_and_b32 vcc_lo, exec_lo, s35
	s_cbranch_vccz .LBB22_970
; %bb.967:
	s_cmp_eq_u32 s33, 29
	s_cbranch_scc0 .LBB22_969
; %bb.968:
	global_load_b64 v[4:5], v[2:3], off
	s_mov_b32 s34, -1
	s_mov_b32 s31, 0
	s_branch .LBB22_970
.LBB22_969:
	s_mov_b32 s31, -1
                                        ; implicit-def: $vgpr4
.LBB22_970:
	s_mov_b32 s35, 0
.LBB22_971:
	s_delay_alu instid0(SALU_CYCLE_1)
	s_and_b32 vcc_lo, exec_lo, s35
	s_cbranch_vccz .LBB22_987
; %bb.972:
	s_cmp_lt_i32 s33, 27
	s_cbranch_scc1 .LBB22_975
; %bb.973:
	s_cmp_gt_i32 s33, 27
	s_cbranch_scc0 .LBB22_976
; %bb.974:
	s_wait_loadcnt 0x0
	global_load_b32 v4, v[2:3], off
	s_mov_b32 s34, 0
	s_branch .LBB22_977
.LBB22_975:
	s_mov_b32 s34, -1
                                        ; implicit-def: $vgpr4
	s_branch .LBB22_980
.LBB22_976:
	s_mov_b32 s34, -1
                                        ; implicit-def: $vgpr4
.LBB22_977:
	s_delay_alu instid0(SALU_CYCLE_1)
	s_and_not1_b32 vcc_lo, exec_lo, s34
	s_cbranch_vccnz .LBB22_979
; %bb.978:
	s_wait_loadcnt 0x0
	global_load_u16 v4, v[2:3], off
.LBB22_979:
	s_mov_b32 s34, 0
.LBB22_980:
	s_delay_alu instid0(SALU_CYCLE_1)
	s_and_not1_b32 vcc_lo, exec_lo, s34
	s_cbranch_vccnz .LBB22_986
; %bb.981:
	s_wait_loadcnt 0x0
	global_load_u8 v1, v[2:3], off
	s_mov_b32 s35, 0
	s_mov_b32 s34, exec_lo
	s_wait_loadcnt 0x0
	v_cmpx_lt_i16_e32 0x7f, v1
	s_xor_b32 s34, exec_lo, s34
	s_cbranch_execz .LBB22_998
; %bb.982:
	v_cmp_ne_u16_e32 vcc_lo, 0x80, v1
	s_and_b32 s35, vcc_lo, exec_lo
	s_and_not1_saveexec_b32 s34, s34
	s_cbranch_execnz .LBB22_999
.LBB22_983:
	s_or_b32 exec_lo, exec_lo, s34
	v_mov_b32_e32 v4, 0
	s_and_saveexec_b32 s34, s35
	s_cbranch_execz .LBB22_985
.LBB22_984:
	v_and_b32_e32 v4, 0xffff, v1
	s_delay_alu instid0(VALU_DEP_1) | instskip(SKIP_1) | instid1(VALU_DEP_2)
	v_and_b32_e32 v5, 7, v4
	v_bfe_u32 v8, v4, 3, 4
	v_clz_i32_u32_e32 v6, v5
	s_delay_alu instid0(VALU_DEP_2) | instskip(NEXT) | instid1(VALU_DEP_2)
	v_cmp_eq_u32_e32 vcc_lo, 0, v8
	v_min_u32_e32 v6, 32, v6
	s_delay_alu instid0(VALU_DEP_1) | instskip(NEXT) | instid1(VALU_DEP_1)
	v_subrev_nc_u32_e32 v7, 28, v6
	v_dual_lshlrev_b32 v4, v7, v4 :: v_dual_sub_nc_u32 v6, 29, v6
	s_delay_alu instid0(VALU_DEP_1) | instskip(NEXT) | instid1(VALU_DEP_1)
	v_dual_lshlrev_b32 v1, 24, v1 :: v_dual_bitop2_b32 v4, 7, v4 bitop3:0x40
	v_dual_cndmask_b32 v6, v8, v6, vcc_lo :: v_dual_cndmask_b32 v4, v5, v4, vcc_lo
	s_delay_alu instid0(VALU_DEP_2) | instskip(NEXT) | instid1(VALU_DEP_2)
	v_and_b32_e32 v1, 0x80000000, v1
	v_lshl_add_u32 v5, v6, 23, 0x3b800000
	s_delay_alu instid0(VALU_DEP_3) | instskip(NEXT) | instid1(VALU_DEP_1)
	v_lshlrev_b32_e32 v4, 20, v4
	v_or3_b32 v1, v1, v5, v4
	s_delay_alu instid0(VALU_DEP_1) | instskip(NEXT) | instid1(VALU_DEP_1)
	v_trunc_f32_e32 v1, v1
	v_mul_f32_e64 v4, 0x2f800000, |v1|
	s_delay_alu instid0(VALU_DEP_1) | instskip(NEXT) | instid1(VALU_DEP_1)
	v_floor_f32_e32 v4, v4
	v_fma_f32 v4, 0xcf800000, v4, |v1|
	v_ashrrev_i32_e32 v1, 31, v1
	s_delay_alu instid0(VALU_DEP_2) | instskip(NEXT) | instid1(VALU_DEP_1)
	v_cvt_u32_f32_e32 v4, v4
	v_xor_b32_e32 v4, v4, v1
	s_delay_alu instid0(VALU_DEP_1)
	v_sub_nc_u32_e32 v4, v4, v1
.LBB22_985:
	s_or_b32 exec_lo, exec_lo, s34
.LBB22_986:
	s_mov_b32 s34, -1
.LBB22_987:
	s_mov_b32 s35, 0
.LBB22_988:
	s_delay_alu instid0(SALU_CYCLE_1)
	s_and_b32 vcc_lo, exec_lo, s35
	s_cbranch_vccz .LBB22_1021
; %bb.989:
	s_cmp_gt_i32 s33, 22
	s_cbranch_scc0 .LBB22_997
; %bb.990:
	s_cmp_lt_i32 s33, 24
	s_cbranch_scc1 .LBB22_1000
; %bb.991:
	s_cmp_gt_i32 s33, 24
	s_cbranch_scc0 .LBB22_1001
; %bb.992:
	s_wait_loadcnt 0x0
	global_load_u8 v1, v[2:3], off
	s_mov_b32 s35, 0
	s_mov_b32 s34, exec_lo
	s_wait_loadcnt 0x0
	v_cmpx_lt_i16_e32 0x7f, v1
	s_xor_b32 s34, exec_lo, s34
	s_cbranch_execz .LBB22_1013
; %bb.993:
	v_cmp_ne_u16_e32 vcc_lo, 0x80, v1
	s_and_b32 s35, vcc_lo, exec_lo
	s_and_not1_saveexec_b32 s34, s34
	s_cbranch_execnz .LBB22_1014
.LBB22_994:
	s_or_b32 exec_lo, exec_lo, s34
	v_mov_b32_e32 v4, 0
	s_and_saveexec_b32 s34, s35
	s_cbranch_execz .LBB22_996
.LBB22_995:
	v_and_b32_e32 v4, 0xffff, v1
	s_delay_alu instid0(VALU_DEP_1) | instskip(SKIP_1) | instid1(VALU_DEP_2)
	v_and_b32_e32 v5, 3, v4
	v_bfe_u32 v8, v4, 2, 5
	v_clz_i32_u32_e32 v6, v5
	s_delay_alu instid0(VALU_DEP_2) | instskip(NEXT) | instid1(VALU_DEP_2)
	v_cmp_eq_u32_e32 vcc_lo, 0, v8
	v_min_u32_e32 v6, 32, v6
	s_delay_alu instid0(VALU_DEP_1) | instskip(NEXT) | instid1(VALU_DEP_1)
	v_subrev_nc_u32_e32 v7, 29, v6
	v_dual_lshlrev_b32 v4, v7, v4 :: v_dual_sub_nc_u32 v6, 30, v6
	s_delay_alu instid0(VALU_DEP_1) | instskip(NEXT) | instid1(VALU_DEP_1)
	v_dual_lshlrev_b32 v1, 24, v1 :: v_dual_bitop2_b32 v4, 3, v4 bitop3:0x40
	v_dual_cndmask_b32 v6, v8, v6, vcc_lo :: v_dual_cndmask_b32 v4, v5, v4, vcc_lo
	s_delay_alu instid0(VALU_DEP_2) | instskip(NEXT) | instid1(VALU_DEP_2)
	v_and_b32_e32 v1, 0x80000000, v1
	v_lshl_add_u32 v5, v6, 23, 0x37800000
	s_delay_alu instid0(VALU_DEP_3) | instskip(NEXT) | instid1(VALU_DEP_1)
	v_lshlrev_b32_e32 v4, 21, v4
	v_or3_b32 v1, v1, v5, v4
	s_delay_alu instid0(VALU_DEP_1) | instskip(NEXT) | instid1(VALU_DEP_1)
	v_trunc_f32_e32 v1, v1
	v_mul_f32_e64 v4, 0x2f800000, |v1|
	s_delay_alu instid0(VALU_DEP_1) | instskip(NEXT) | instid1(VALU_DEP_1)
	v_floor_f32_e32 v4, v4
	v_fma_f32 v4, 0xcf800000, v4, |v1|
	v_ashrrev_i32_e32 v1, 31, v1
	s_delay_alu instid0(VALU_DEP_2) | instskip(NEXT) | instid1(VALU_DEP_1)
	v_cvt_u32_f32_e32 v4, v4
	v_xor_b32_e32 v4, v4, v1
	s_delay_alu instid0(VALU_DEP_1)
	v_sub_nc_u32_e32 v4, v4, v1
.LBB22_996:
	s_or_b32 exec_lo, exec_lo, s34
	s_mov_b32 s34, 0
	s_branch .LBB22_1002
.LBB22_997:
	s_mov_b32 s35, -1
                                        ; implicit-def: $vgpr4
	s_branch .LBB22_1008
.LBB22_998:
	s_and_not1_saveexec_b32 s34, s34
	s_cbranch_execz .LBB22_983
.LBB22_999:
	v_cmp_ne_u16_e32 vcc_lo, 0, v1
	s_and_not1_b32 s35, s35, exec_lo
	s_and_b32 s36, vcc_lo, exec_lo
	s_delay_alu instid0(SALU_CYCLE_1)
	s_or_b32 s35, s35, s36
	s_or_b32 exec_lo, exec_lo, s34
	v_mov_b32_e32 v4, 0
	s_and_saveexec_b32 s34, s35
	s_cbranch_execnz .LBB22_984
	s_branch .LBB22_985
.LBB22_1000:
	s_mov_b32 s34, -1
                                        ; implicit-def: $vgpr4
	s_branch .LBB22_1005
.LBB22_1001:
	s_mov_b32 s34, -1
                                        ; implicit-def: $vgpr4
.LBB22_1002:
	s_delay_alu instid0(SALU_CYCLE_1)
	s_and_b32 vcc_lo, exec_lo, s34
	s_cbranch_vccz .LBB22_1004
; %bb.1003:
	s_wait_loadcnt 0x0
	global_load_u8 v1, v[2:3], off
	s_wait_loadcnt 0x0
	v_lshlrev_b32_e32 v1, 24, v1
	s_delay_alu instid0(VALU_DEP_1) | instskip(NEXT) | instid1(VALU_DEP_1)
	v_and_b32_e32 v4, 0x7f000000, v1
	v_clz_i32_u32_e32 v5, v4
	v_cmp_ne_u32_e32 vcc_lo, 0, v4
	v_add_nc_u32_e32 v7, 0x1000000, v4
	s_delay_alu instid0(VALU_DEP_3) | instskip(NEXT) | instid1(VALU_DEP_1)
	v_min_u32_e32 v5, 32, v5
	v_sub_nc_u32_e64 v5, v5, 4 clamp
	s_delay_alu instid0(VALU_DEP_1) | instskip(NEXT) | instid1(VALU_DEP_1)
	v_dual_lshlrev_b32 v6, v5, v4 :: v_dual_lshlrev_b32 v5, 23, v5
	v_lshrrev_b32_e32 v6, 4, v6
	s_delay_alu instid0(VALU_DEP_1) | instskip(NEXT) | instid1(VALU_DEP_1)
	v_dual_sub_nc_u32 v5, v6, v5 :: v_dual_ashrrev_i32 v6, 8, v7
	v_add_nc_u32_e32 v5, 0x3c000000, v5
	s_delay_alu instid0(VALU_DEP_1) | instskip(NEXT) | instid1(VALU_DEP_1)
	v_and_or_b32 v5, 0x7f800000, v6, v5
	v_cndmask_b32_e32 v4, 0, v5, vcc_lo
	s_delay_alu instid0(VALU_DEP_1) | instskip(NEXT) | instid1(VALU_DEP_1)
	v_and_or_b32 v1, 0x80000000, v1, v4
	v_trunc_f32_e32 v1, v1
	s_delay_alu instid0(VALU_DEP_1) | instskip(NEXT) | instid1(VALU_DEP_1)
	v_mul_f32_e64 v4, 0x2f800000, |v1|
	v_floor_f32_e32 v4, v4
	s_delay_alu instid0(VALU_DEP_1) | instskip(SKIP_1) | instid1(VALU_DEP_2)
	v_fma_f32 v4, 0xcf800000, v4, |v1|
	v_ashrrev_i32_e32 v1, 31, v1
	v_cvt_u32_f32_e32 v4, v4
	s_delay_alu instid0(VALU_DEP_1) | instskip(NEXT) | instid1(VALU_DEP_1)
	v_xor_b32_e32 v4, v4, v1
	v_sub_nc_u32_e32 v4, v4, v1
.LBB22_1004:
	s_mov_b32 s34, 0
.LBB22_1005:
	s_delay_alu instid0(SALU_CYCLE_1)
	s_and_not1_b32 vcc_lo, exec_lo, s34
	s_cbranch_vccnz .LBB22_1007
; %bb.1006:
	s_wait_loadcnt 0x0
	global_load_u8 v1, v[2:3], off
	s_wait_loadcnt 0x0
	v_lshlrev_b32_e32 v4, 25, v1
	v_lshlrev_b16 v1, 8, v1
	s_delay_alu instid0(VALU_DEP_1) | instskip(SKIP_1) | instid1(VALU_DEP_2)
	v_and_or_b32 v6, 0x7f00, v1, 0.5
	v_bfe_i32 v1, v1, 0, 16
	v_dual_add_f32 v6, -0.5, v6 :: v_dual_lshrrev_b32 v5, 4, v4
	v_cmp_gt_u32_e32 vcc_lo, 0x8000000, v4
	s_delay_alu instid0(VALU_DEP_2) | instskip(NEXT) | instid1(VALU_DEP_1)
	v_or_b32_e32 v5, 0x70000000, v5
	v_mul_f32_e32 v5, 0x7800000, v5
	s_delay_alu instid0(VALU_DEP_1) | instskip(NEXT) | instid1(VALU_DEP_1)
	v_cndmask_b32_e32 v4, v5, v6, vcc_lo
	v_and_or_b32 v1, 0x80000000, v1, v4
	s_delay_alu instid0(VALU_DEP_1) | instskip(NEXT) | instid1(VALU_DEP_1)
	v_trunc_f32_e32 v1, v1
	v_mul_f32_e64 v4, 0x2f800000, |v1|
	s_delay_alu instid0(VALU_DEP_1) | instskip(NEXT) | instid1(VALU_DEP_1)
	v_floor_f32_e32 v4, v4
	v_fma_f32 v4, 0xcf800000, v4, |v1|
	v_ashrrev_i32_e32 v1, 31, v1
	s_delay_alu instid0(VALU_DEP_2) | instskip(NEXT) | instid1(VALU_DEP_1)
	v_cvt_u32_f32_e32 v4, v4
	v_xor_b32_e32 v4, v4, v1
	s_delay_alu instid0(VALU_DEP_1)
	v_sub_nc_u32_e32 v4, v4, v1
.LBB22_1007:
	s_mov_b32 s35, 0
	s_mov_b32 s34, -1
.LBB22_1008:
	s_and_not1_b32 vcc_lo, exec_lo, s35
	s_cbranch_vccnz .LBB22_1021
; %bb.1009:
	s_cmp_gt_i32 s33, 14
	s_cbranch_scc0 .LBB22_1012
; %bb.1010:
	s_cmp_eq_u32 s33, 15
	s_cbranch_scc0 .LBB22_1015
; %bb.1011:
	s_wait_loadcnt 0x0
	global_load_u16 v1, v[2:3], off
	s_mov_b32 s34, -1
	s_mov_b32 s31, 0
	s_wait_loadcnt 0x0
	v_lshlrev_b32_e32 v1, 16, v1
	s_delay_alu instid0(VALU_DEP_1) | instskip(NEXT) | instid1(VALU_DEP_1)
	v_trunc_f32_e32 v1, v1
	v_mul_f32_e64 v4, 0x2f800000, |v1|
	s_delay_alu instid0(VALU_DEP_1) | instskip(NEXT) | instid1(VALU_DEP_1)
	v_floor_f32_e32 v4, v4
	v_fma_f32 v4, 0xcf800000, v4, |v1|
	v_ashrrev_i32_e32 v1, 31, v1
	s_delay_alu instid0(VALU_DEP_2) | instskip(NEXT) | instid1(VALU_DEP_1)
	v_cvt_u32_f32_e32 v4, v4
	v_xor_b32_e32 v4, v4, v1
	s_delay_alu instid0(VALU_DEP_1)
	v_sub_nc_u32_e32 v4, v4, v1
	s_branch .LBB22_1016
.LBB22_1012:
	s_mov_b32 s35, -1
                                        ; implicit-def: $vgpr4
	s_branch .LBB22_1017
.LBB22_1013:
	s_and_not1_saveexec_b32 s34, s34
	s_cbranch_execz .LBB22_994
.LBB22_1014:
	v_cmp_ne_u16_e32 vcc_lo, 0, v1
	s_and_not1_b32 s35, s35, exec_lo
	s_and_b32 s36, vcc_lo, exec_lo
	s_delay_alu instid0(SALU_CYCLE_1)
	s_or_b32 s35, s35, s36
	s_or_b32 exec_lo, exec_lo, s34
	v_mov_b32_e32 v4, 0
	s_and_saveexec_b32 s34, s35
	s_cbranch_execnz .LBB22_995
	s_branch .LBB22_996
.LBB22_1015:
	s_mov_b32 s31, -1
                                        ; implicit-def: $vgpr4
.LBB22_1016:
	s_mov_b32 s35, 0
.LBB22_1017:
	s_delay_alu instid0(SALU_CYCLE_1)
	s_and_b32 vcc_lo, exec_lo, s35
	s_cbranch_vccz .LBB22_1021
; %bb.1018:
	s_cmp_eq_u32 s33, 11
	s_cbranch_scc0 .LBB22_1020
; %bb.1019:
	s_wait_loadcnt 0x0
	global_load_u8 v1, v[2:3], off
	s_mov_b32 s31, 0
	s_mov_b32 s34, -1
	s_wait_loadcnt 0x0
	v_cmp_ne_u16_e32 vcc_lo, 0, v1
	v_cndmask_b32_e64 v4, 0, 1, vcc_lo
	s_branch .LBB22_1021
.LBB22_1020:
	s_mov_b32 s31, -1
                                        ; implicit-def: $vgpr4
.LBB22_1021:
	s_mov_b32 s33, 0
.LBB22_1022:
	s_delay_alu instid0(SALU_CYCLE_1)
	s_and_b32 vcc_lo, exec_lo, s33
	s_cbranch_vccz .LBB22_1071
; %bb.1023:
	s_and_b32 s0, 0xffff, s0
	s_delay_alu instid0(SALU_CYCLE_1)
	s_cmp_lt_i32 s0, 5
	s_cbranch_scc1 .LBB22_1028
; %bb.1024:
	s_cmp_lt_i32 s0, 8
	s_cbranch_scc1 .LBB22_1029
; %bb.1025:
	;; [unrolled: 3-line block ×3, first 2 shown]
	s_cmp_gt_i32 s0, 9
	s_cbranch_scc0 .LBB22_1031
; %bb.1027:
	s_wait_loadcnt 0x0
	global_load_b64 v[4:5], v[2:3], off
	s_mov_b32 s33, 0
	s_wait_loadcnt 0x0
	v_trunc_f64_e32 v[4:5], v[4:5]
	s_delay_alu instid0(VALU_DEP_1) | instskip(NEXT) | instid1(VALU_DEP_1)
	v_ldexp_f64 v[6:7], v[4:5], 0xffffffe0
	v_floor_f64_e32 v[6:7], v[6:7]
	s_delay_alu instid0(VALU_DEP_1) | instskip(NEXT) | instid1(VALU_DEP_1)
	v_fmamk_f64 v[4:5], v[6:7], 0xc1f00000, v[4:5]
	v_cvt_u32_f64_e32 v4, v[4:5]
	s_branch .LBB22_1032
.LBB22_1028:
	s_mov_b32 s33, -1
                                        ; implicit-def: $vgpr4
	s_branch .LBB22_1050
.LBB22_1029:
	s_mov_b32 s33, -1
                                        ; implicit-def: $vgpr4
	s_branch .LBB22_1038
.LBB22_1030:
	s_mov_b32 s33, -1
                                        ; implicit-def: $vgpr4
	s_branch .LBB22_1035
.LBB22_1031:
	s_mov_b32 s33, -1
                                        ; implicit-def: $vgpr4
.LBB22_1032:
	s_delay_alu instid0(SALU_CYCLE_1)
	s_and_not1_b32 vcc_lo, exec_lo, s33
	s_cbranch_vccnz .LBB22_1034
; %bb.1033:
	s_wait_loadcnt 0x0
	global_load_b32 v1, v[2:3], off
	s_wait_loadcnt 0x0
	v_trunc_f32_e32 v1, v1
	s_delay_alu instid0(VALU_DEP_1) | instskip(NEXT) | instid1(VALU_DEP_1)
	v_mul_f32_e64 v4, 0x2f800000, |v1|
	v_floor_f32_e32 v4, v4
	s_delay_alu instid0(VALU_DEP_1) | instskip(SKIP_1) | instid1(VALU_DEP_2)
	v_fma_f32 v4, 0xcf800000, v4, |v1|
	v_ashrrev_i32_e32 v1, 31, v1
	v_cvt_u32_f32_e32 v4, v4
	s_delay_alu instid0(VALU_DEP_1) | instskip(NEXT) | instid1(VALU_DEP_1)
	v_xor_b32_e32 v4, v4, v1
	v_sub_nc_u32_e32 v4, v4, v1
.LBB22_1034:
	s_mov_b32 s33, 0
.LBB22_1035:
	s_delay_alu instid0(SALU_CYCLE_1)
	s_and_not1_b32 vcc_lo, exec_lo, s33
	s_cbranch_vccnz .LBB22_1037
; %bb.1036:
	s_wait_loadcnt 0x0
	global_load_b32 v1, v[2:3], off
	s_wait_loadcnt 0x0
	v_cvt_f32_f16_e32 v1, v1
	s_delay_alu instid0(VALU_DEP_1)
	v_cvt_i32_f32_e32 v4, v1
.LBB22_1037:
	s_mov_b32 s33, 0
.LBB22_1038:
	s_delay_alu instid0(SALU_CYCLE_1)
	s_and_not1_b32 vcc_lo, exec_lo, s33
	s_cbranch_vccnz .LBB22_1049
; %bb.1039:
	s_cmp_lt_i32 s0, 6
	s_cbranch_scc1 .LBB22_1042
; %bb.1040:
	s_cmp_gt_i32 s0, 6
	s_cbranch_scc0 .LBB22_1043
; %bb.1041:
	s_wait_loadcnt 0x0
	global_load_b64 v[4:5], v[2:3], off
	s_mov_b32 s33, 0
	s_wait_loadcnt 0x0
	v_trunc_f64_e32 v[4:5], v[4:5]
	s_delay_alu instid0(VALU_DEP_1) | instskip(NEXT) | instid1(VALU_DEP_1)
	v_ldexp_f64 v[6:7], v[4:5], 0xffffffe0
	v_floor_f64_e32 v[6:7], v[6:7]
	s_delay_alu instid0(VALU_DEP_1) | instskip(NEXT) | instid1(VALU_DEP_1)
	v_fmamk_f64 v[4:5], v[6:7], 0xc1f00000, v[4:5]
	v_cvt_u32_f64_e32 v4, v[4:5]
	s_branch .LBB22_1044
.LBB22_1042:
	s_mov_b32 s33, -1
                                        ; implicit-def: $vgpr4
	s_branch .LBB22_1047
.LBB22_1043:
	s_mov_b32 s33, -1
                                        ; implicit-def: $vgpr4
.LBB22_1044:
	s_delay_alu instid0(SALU_CYCLE_1)
	s_and_not1_b32 vcc_lo, exec_lo, s33
	s_cbranch_vccnz .LBB22_1046
; %bb.1045:
	s_wait_loadcnt 0x0
	global_load_b32 v1, v[2:3], off
	s_wait_loadcnt 0x0
	v_trunc_f32_e32 v1, v1
	s_delay_alu instid0(VALU_DEP_1) | instskip(NEXT) | instid1(VALU_DEP_1)
	v_mul_f32_e64 v4, 0x2f800000, |v1|
	v_floor_f32_e32 v4, v4
	s_delay_alu instid0(VALU_DEP_1) | instskip(SKIP_1) | instid1(VALU_DEP_2)
	v_fma_f32 v4, 0xcf800000, v4, |v1|
	v_ashrrev_i32_e32 v1, 31, v1
	v_cvt_u32_f32_e32 v4, v4
	s_delay_alu instid0(VALU_DEP_1) | instskip(NEXT) | instid1(VALU_DEP_1)
	v_xor_b32_e32 v4, v4, v1
	v_sub_nc_u32_e32 v4, v4, v1
.LBB22_1046:
	s_mov_b32 s33, 0
.LBB22_1047:
	s_delay_alu instid0(SALU_CYCLE_1)
	s_and_not1_b32 vcc_lo, exec_lo, s33
	s_cbranch_vccnz .LBB22_1049
; %bb.1048:
	s_wait_loadcnt 0x0
	global_load_u16 v1, v[2:3], off
	s_wait_loadcnt 0x0
	v_cvt_f32_f16_e32 v1, v1
	s_delay_alu instid0(VALU_DEP_1)
	v_cvt_i32_f32_e32 v4, v1
.LBB22_1049:
	s_mov_b32 s33, 0
.LBB22_1050:
	s_delay_alu instid0(SALU_CYCLE_1)
	s_and_not1_b32 vcc_lo, exec_lo, s33
	s_cbranch_vccnz .LBB22_1070
; %bb.1051:
	s_cmp_lt_i32 s0, 2
	s_cbranch_scc1 .LBB22_1055
; %bb.1052:
	s_cmp_lt_i32 s0, 3
	s_cbranch_scc1 .LBB22_1056
; %bb.1053:
	s_cmp_gt_i32 s0, 3
	s_cbranch_scc0 .LBB22_1057
; %bb.1054:
	s_wait_loadcnt 0x0
	global_load_b64 v[4:5], v[2:3], off
	s_mov_b32 s33, 0
	s_branch .LBB22_1058
.LBB22_1055:
	s_mov_b32 s33, -1
                                        ; implicit-def: $vgpr4
	s_branch .LBB22_1064
.LBB22_1056:
	s_mov_b32 s33, -1
                                        ; implicit-def: $vgpr4
	s_branch .LBB22_1061
.LBB22_1057:
	s_mov_b32 s33, -1
                                        ; implicit-def: $vgpr4
.LBB22_1058:
	s_delay_alu instid0(SALU_CYCLE_1)
	s_and_not1_b32 vcc_lo, exec_lo, s33
	s_cbranch_vccnz .LBB22_1060
; %bb.1059:
	s_wait_loadcnt 0x0
	global_load_b32 v4, v[2:3], off
.LBB22_1060:
	s_mov_b32 s33, 0
.LBB22_1061:
	s_delay_alu instid0(SALU_CYCLE_1)
	s_and_not1_b32 vcc_lo, exec_lo, s33
	s_cbranch_vccnz .LBB22_1063
; %bb.1062:
	s_wait_loadcnt 0x0
	global_load_u16 v4, v[2:3], off
.LBB22_1063:
	s_mov_b32 s33, 0
.LBB22_1064:
	s_delay_alu instid0(SALU_CYCLE_1)
	s_and_not1_b32 vcc_lo, exec_lo, s33
	s_cbranch_vccnz .LBB22_1070
; %bb.1065:
	s_cmp_gt_i32 s0, 0
	s_mov_b32 s0, 0
	s_cbranch_scc0 .LBB22_1067
; %bb.1066:
	s_wait_loadcnt 0x0
	global_load_u8 v4, v[2:3], off
	s_branch .LBB22_1068
.LBB22_1067:
	s_mov_b32 s0, -1
                                        ; implicit-def: $vgpr4
.LBB22_1068:
	s_delay_alu instid0(SALU_CYCLE_1)
	s_and_not1_b32 vcc_lo, exec_lo, s0
	s_cbranch_vccnz .LBB22_1070
; %bb.1069:
	s_wait_loadcnt 0x0
	global_load_u8 v4, v[2:3], off
.LBB22_1070:
	s_mov_b32 s34, -1
.LBB22_1071:
	s_delay_alu instid0(SALU_CYCLE_1)
	s_and_not1_b32 vcc_lo, exec_lo, s34
	s_cbranch_vccnz .LBB22_1079
; %bb.1072:
	s_wait_xcnt 0x0
	v_mul_lo_u32 v2, v18, s14
	s_wait_loadcnt 0x0
	v_mul_lo_u16 v5, v0, s6
	s_and_b32 s33, s1, 0xff
	s_delay_alu instid0(SALU_CYCLE_1) | instskip(NEXT) | instid1(VALU_DEP_2)
	s_cmp_lt_i32 s33, 11
	v_ashrrev_i32_e32 v3, 31, v2
	s_delay_alu instid0(VALU_DEP_1)
	v_add_nc_u64_e32 v[0:1], s[2:3], v[2:3]
	v_mul_lo_u16 v2, v5, v4
	s_cbranch_scc1 .LBB22_1080
; %bb.1073:
	s_and_b32 s34, 0xffff, s33
	s_delay_alu instid0(SALU_CYCLE_1)
	s_cmp_gt_i32 s34, 25
	s_cbranch_scc0 .LBB22_1081
; %bb.1074:
	s_cmp_gt_i32 s34, 28
	s_cbranch_scc0 .LBB22_1082
; %bb.1075:
	;; [unrolled: 3-line block ×4, first 2 shown]
	s_mov_b32 s36, 0
	s_mov_b32 s0, -1
	s_cmp_eq_u32 s34, 46
	s_mov_b32 s35, 0
	s_cbranch_scc0 .LBB22_1085
; %bb.1078:
	v_cvt_f32_ubyte0_e32 v3, v2
	s_mov_b32 s35, -1
	s_mov_b32 s0, 0
	s_delay_alu instid0(VALU_DEP_1) | instskip(NEXT) | instid1(VALU_DEP_1)
	v_bfe_u32 v4, v3, 16, 1
	v_add3_u32 v3, v3, v4, 0x7fff
	s_delay_alu instid0(VALU_DEP_1)
	v_lshrrev_b32_e32 v3, 16, v3
	global_store_b32 v[0:1], v3, off
	s_branch .LBB22_1085
.LBB22_1079:
	s_mov_b32 s34, 0
	s_mov_b32 s0, s24
	s_branch .LBB22_824
.LBB22_1080:
	s_mov_b32 s34, -1
	s_mov_b32 s35, 0
	s_mov_b32 s0, s24
	s_branch .LBB22_1154
.LBB22_1081:
	s_mov_b32 s36, -1
	s_mov_b32 s35, 0
	s_mov_b32 s0, s24
	s_branch .LBB22_1112
.LBB22_1082:
	s_mov_b32 s36, -1
	s_mov_b32 s35, 0
	s_mov_b32 s0, s24
	s_branch .LBB22_1095
.LBB22_1083:
	s_mov_b32 s36, -1
	s_mov_b32 s35, 0
	s_mov_b32 s0, s24
	s_branch .LBB22_1091
.LBB22_1084:
	s_mov_b32 s36, -1
	s_mov_b32 s35, 0
	s_mov_b32 s0, s24
.LBB22_1085:
	s_and_b32 vcc_lo, exec_lo, s36
	s_cbranch_vccz .LBB22_1090
; %bb.1086:
	s_cmp_eq_u32 s34, 44
	s_mov_b32 s0, -1
	s_cbranch_scc0 .LBB22_1090
; %bb.1087:
	v_cvt_f32_ubyte0_e32 v5, v2
	s_mov_b32 s35, exec_lo
	s_wait_xcnt 0x0
	s_delay_alu instid0(VALU_DEP_1) | instskip(NEXT) | instid1(VALU_DEP_1)
	v_dual_mov_b32 v4, 0xff :: v_dual_lshrrev_b32 v3, 23, v5
	v_cmpx_ne_u32_e32 0xff, v3
; %bb.1088:
	v_and_b32_e32 v4, 0x400000, v5
	v_and_or_b32 v5, 0x3fffff, v5, v3
	s_delay_alu instid0(VALU_DEP_2) | instskip(NEXT) | instid1(VALU_DEP_2)
	v_cmp_ne_u32_e32 vcc_lo, 0, v4
	v_cmp_ne_u32_e64 s0, 0, v5
	s_and_b32 s0, vcc_lo, s0
	s_delay_alu instid0(SALU_CYCLE_1) | instskip(NEXT) | instid1(VALU_DEP_1)
	v_cndmask_b32_e64 v4, 0, 1, s0
	v_add_nc_u32_e32 v4, v3, v4
; %bb.1089:
	s_or_b32 exec_lo, exec_lo, s35
	s_mov_b32 s35, -1
	s_mov_b32 s0, 0
	global_store_b8 v[0:1], v4, off
.LBB22_1090:
	s_mov_b32 s36, 0
.LBB22_1091:
	s_delay_alu instid0(SALU_CYCLE_1)
	s_and_b32 vcc_lo, exec_lo, s36
	s_cbranch_vccz .LBB22_1094
; %bb.1092:
	s_cmp_eq_u32 s34, 29
	s_mov_b32 s0, -1
	s_cbranch_scc0 .LBB22_1094
; %bb.1093:
	s_wait_xcnt 0x0
	v_and_b32_e32 v4, 0xff, v2
	v_mov_b32_e32 v5, 0
	s_mov_b32 s35, -1
	s_mov_b32 s0, 0
	s_mov_b32 s36, 0
	global_store_b64 v[0:1], v[4:5], off
	s_branch .LBB22_1095
.LBB22_1094:
	s_mov_b32 s36, 0
.LBB22_1095:
	s_delay_alu instid0(SALU_CYCLE_1)
	s_and_b32 vcc_lo, exec_lo, s36
	s_cbranch_vccz .LBB22_1111
; %bb.1096:
	s_cmp_lt_i32 s34, 27
	s_mov_b32 s35, -1
	s_cbranch_scc1 .LBB22_1102
; %bb.1097:
	s_cmp_gt_i32 s34, 27
	s_cbranch_scc0 .LBB22_1099
; %bb.1098:
	s_wait_xcnt 0x0
	v_and_b32_e32 v3, 0xff, v2
	s_mov_b32 s35, 0
	global_store_b32 v[0:1], v3, off
.LBB22_1099:
	s_and_not1_b32 vcc_lo, exec_lo, s35
	s_cbranch_vccnz .LBB22_1101
; %bb.1100:
	s_wait_xcnt 0x0
	v_and_b32_e32 v3, 0xff, v2
	global_store_b16 v[0:1], v3, off
.LBB22_1101:
	s_mov_b32 s35, 0
.LBB22_1102:
	s_delay_alu instid0(SALU_CYCLE_1)
	s_and_not1_b32 vcc_lo, exec_lo, s35
	s_cbranch_vccnz .LBB22_1110
; %bb.1103:
	s_wait_xcnt 0x0
	v_cvt_f32_ubyte0_e32 v4, v2
	v_mov_b32_e32 v5, 0x80
	s_mov_b32 s35, exec_lo
	s_delay_alu instid0(VALU_DEP_2)
	v_cmpx_gt_u32_e32 0x43800000, v4
	s_cbranch_execz .LBB22_1109
; %bb.1104:
	s_mov_b32 s36, 0
	s_mov_b32 s37, exec_lo
                                        ; implicit-def: $vgpr3
	v_cmpx_lt_u32_e32 0x3bffffff, v4
	s_xor_b32 s37, exec_lo, s37
	s_cbranch_execz .LBB22_2025
; %bb.1105:
	v_bfe_u32 v3, v4, 20, 1
	s_mov_b32 s36, exec_lo
	s_delay_alu instid0(VALU_DEP_1) | instskip(NEXT) | instid1(VALU_DEP_1)
	v_add3_u32 v3, v4, v3, 0x487ffff
                                        ; implicit-def: $vgpr4
	v_lshrrev_b32_e32 v3, 20, v3
	s_and_not1_saveexec_b32 s37, s37
	s_cbranch_execnz .LBB22_2026
.LBB22_1106:
	s_or_b32 exec_lo, exec_lo, s37
	v_mov_b32_e32 v5, 0
	s_and_saveexec_b32 s37, s36
.LBB22_1107:
	v_mov_b32_e32 v5, v3
.LBB22_1108:
	s_or_b32 exec_lo, exec_lo, s37
.LBB22_1109:
	s_delay_alu instid0(SALU_CYCLE_1)
	s_or_b32 exec_lo, exec_lo, s35
	global_store_b8 v[0:1], v5, off
.LBB22_1110:
	s_mov_b32 s35, -1
.LBB22_1111:
	s_mov_b32 s36, 0
.LBB22_1112:
	s_delay_alu instid0(SALU_CYCLE_1)
	s_and_b32 vcc_lo, exec_lo, s36
	s_cbranch_vccz .LBB22_1153
; %bb.1113:
	s_cmp_gt_i32 s34, 22
	s_mov_b32 s36, -1
	s_cbranch_scc0 .LBB22_1145
; %bb.1114:
	s_cmp_lt_i32 s34, 24
	s_mov_b32 s35, -1
	s_cbranch_scc1 .LBB22_1134
; %bb.1115:
	s_cmp_gt_i32 s34, 24
	s_cbranch_scc0 .LBB22_1123
; %bb.1116:
	s_wait_xcnt 0x0
	v_cvt_f32_ubyte0_e32 v4, v2
	v_mov_b32_e32 v5, 0x80
	s_mov_b32 s35, exec_lo
	s_delay_alu instid0(VALU_DEP_2)
	v_cmpx_gt_u32_e32 0x47800000, v4
	s_cbranch_execz .LBB22_1122
; %bb.1117:
	s_mov_b32 s36, 0
	s_mov_b32 s37, exec_lo
                                        ; implicit-def: $vgpr3
	v_cmpx_lt_u32_e32 0x37ffffff, v4
	s_xor_b32 s37, exec_lo, s37
	s_cbranch_execz .LBB22_2174
; %bb.1118:
	v_bfe_u32 v3, v4, 21, 1
	s_mov_b32 s36, exec_lo
	s_delay_alu instid0(VALU_DEP_1) | instskip(NEXT) | instid1(VALU_DEP_1)
	v_add3_u32 v3, v4, v3, 0x88fffff
                                        ; implicit-def: $vgpr4
	v_lshrrev_b32_e32 v3, 21, v3
	s_and_not1_saveexec_b32 s37, s37
	s_cbranch_execnz .LBB22_2175
.LBB22_1119:
	s_or_b32 exec_lo, exec_lo, s37
	v_mov_b32_e32 v5, 0
	s_and_saveexec_b32 s37, s36
.LBB22_1120:
	v_mov_b32_e32 v5, v3
.LBB22_1121:
	s_or_b32 exec_lo, exec_lo, s37
.LBB22_1122:
	s_delay_alu instid0(SALU_CYCLE_1)
	s_or_b32 exec_lo, exec_lo, s35
	s_mov_b32 s35, 0
	global_store_b8 v[0:1], v5, off
.LBB22_1123:
	s_and_b32 vcc_lo, exec_lo, s35
	s_cbranch_vccz .LBB22_1133
; %bb.1124:
	s_wait_xcnt 0x0
	v_cvt_f32_ubyte0_e32 v4, v2
	s_mov_b32 s35, exec_lo
                                        ; implicit-def: $vgpr3
	s_delay_alu instid0(VALU_DEP_1)
	v_cmpx_gt_u32_e32 0x43f00000, v4
	s_xor_b32 s35, exec_lo, s35
	s_cbranch_execz .LBB22_1130
; %bb.1125:
	s_mov_b32 s36, exec_lo
                                        ; implicit-def: $vgpr3
	v_cmpx_lt_u32_e32 0x3c7fffff, v4
	s_xor_b32 s36, exec_lo, s36
; %bb.1126:
	v_bfe_u32 v3, v4, 20, 1
	s_delay_alu instid0(VALU_DEP_1) | instskip(NEXT) | instid1(VALU_DEP_1)
	v_add3_u32 v3, v4, v3, 0x407ffff
	v_and_b32_e32 v4, 0xff00000, v3
	v_lshrrev_b32_e32 v3, 20, v3
	s_delay_alu instid0(VALU_DEP_2) | instskip(NEXT) | instid1(VALU_DEP_2)
	v_cmp_ne_u32_e32 vcc_lo, 0x7f00000, v4
                                        ; implicit-def: $vgpr4
	v_cndmask_b32_e32 v3, 0x7e, v3, vcc_lo
; %bb.1127:
	s_and_not1_saveexec_b32 s36, s36
; %bb.1128:
	v_add_f32_e32 v3, 0x46800000, v4
; %bb.1129:
	s_or_b32 exec_lo, exec_lo, s36
                                        ; implicit-def: $vgpr4
.LBB22_1130:
	s_and_not1_saveexec_b32 s35, s35
; %bb.1131:
	v_mov_b32_e32 v3, 0x7f
	v_cmp_lt_u32_e32 vcc_lo, 0x7f800000, v4
	s_delay_alu instid0(VALU_DEP_2)
	v_cndmask_b32_e32 v3, 0x7e, v3, vcc_lo
; %bb.1132:
	s_or_b32 exec_lo, exec_lo, s35
	global_store_b8 v[0:1], v3, off
.LBB22_1133:
	s_mov_b32 s35, 0
.LBB22_1134:
	s_delay_alu instid0(SALU_CYCLE_1)
	s_and_not1_b32 vcc_lo, exec_lo, s35
	s_cbranch_vccnz .LBB22_1144
; %bb.1135:
	s_wait_xcnt 0x0
	v_cvt_f32_ubyte0_e32 v4, v2
	s_mov_b32 s35, exec_lo
                                        ; implicit-def: $vgpr3
	s_delay_alu instid0(VALU_DEP_1)
	v_cmpx_gt_u32_e32 0x47800000, v4
	s_xor_b32 s35, exec_lo, s35
	s_cbranch_execz .LBB22_1141
; %bb.1136:
	s_mov_b32 s36, exec_lo
                                        ; implicit-def: $vgpr3
	v_cmpx_lt_u32_e32 0x387fffff, v4
	s_xor_b32 s36, exec_lo, s36
; %bb.1137:
	v_bfe_u32 v3, v4, 21, 1
	s_delay_alu instid0(VALU_DEP_1) | instskip(NEXT) | instid1(VALU_DEP_1)
	v_add3_u32 v3, v4, v3, 0x80fffff
                                        ; implicit-def: $vgpr4
	v_lshrrev_b32_e32 v3, 21, v3
; %bb.1138:
	s_and_not1_saveexec_b32 s36, s36
; %bb.1139:
	v_add_f32_e32 v3, 0x43000000, v4
; %bb.1140:
	s_or_b32 exec_lo, exec_lo, s36
                                        ; implicit-def: $vgpr4
.LBB22_1141:
	s_and_not1_saveexec_b32 s35, s35
; %bb.1142:
	v_mov_b32_e32 v3, 0x7f
	v_cmp_lt_u32_e32 vcc_lo, 0x7f800000, v4
	s_delay_alu instid0(VALU_DEP_2)
	v_cndmask_b32_e32 v3, 0x7c, v3, vcc_lo
; %bb.1143:
	s_or_b32 exec_lo, exec_lo, s35
	global_store_b8 v[0:1], v3, off
.LBB22_1144:
	s_mov_b32 s36, 0
	s_mov_b32 s35, -1
.LBB22_1145:
	s_and_not1_b32 vcc_lo, exec_lo, s36
	s_cbranch_vccnz .LBB22_1153
; %bb.1146:
	s_cmp_gt_i32 s34, 14
	s_mov_b32 s36, -1
	s_cbranch_scc0 .LBB22_1150
; %bb.1147:
	s_cmp_eq_u32 s34, 15
	s_mov_b32 s0, -1
	s_cbranch_scc0 .LBB22_1149
; %bb.1148:
	s_wait_xcnt 0x0
	v_cvt_f32_ubyte0_e32 v3, v2
	s_mov_b32 s35, -1
	s_mov_b32 s0, 0
	s_delay_alu instid0(VALU_DEP_1) | instskip(NEXT) | instid1(VALU_DEP_1)
	v_bfe_u32 v4, v3, 16, 1
	v_add3_u32 v3, v3, v4, 0x7fff
	global_store_d16_hi_b16 v[0:1], v3, off
.LBB22_1149:
	s_mov_b32 s36, 0
.LBB22_1150:
	s_delay_alu instid0(SALU_CYCLE_1)
	s_and_b32 vcc_lo, exec_lo, s36
	s_cbranch_vccz .LBB22_1153
; %bb.1151:
	s_cmp_eq_u32 s34, 11
	s_mov_b32 s0, -1
	s_cbranch_scc0 .LBB22_1153
; %bb.1152:
	s_wait_xcnt 0x0
	v_and_b32_e32 v3, 0xff, v2
	s_mov_b32 s0, 0
	s_mov_b32 s35, -1
	s_delay_alu instid0(VALU_DEP_1)
	v_cmp_ne_u16_e32 vcc_lo, 0, v3
	v_cndmask_b32_e64 v3, 0, 1, vcc_lo
	global_store_b8 v[0:1], v3, off
.LBB22_1153:
	s_mov_b32 s34, 0
.LBB22_1154:
	s_delay_alu instid0(SALU_CYCLE_1)
	s_and_b32 vcc_lo, exec_lo, s34
	s_cbranch_vccz .LBB22_1193
; %bb.1155:
	s_and_b32 s33, 0xffff, s33
	s_mov_b32 s34, -1
	s_cmp_lt_i32 s33, 5
	s_cbranch_scc1 .LBB22_1176
; %bb.1156:
	s_cmp_lt_i32 s33, 8
	s_cbranch_scc1 .LBB22_1166
; %bb.1157:
	;; [unrolled: 3-line block ×3, first 2 shown]
	s_cmp_gt_i32 s33, 9
	s_cbranch_scc0 .LBB22_1160
; %bb.1159:
	s_wait_xcnt 0x0
	v_and_b32_e32 v3, 0xff, v2
	v_mov_b32_e32 v6, 0
	s_mov_b32 s34, 0
	s_delay_alu instid0(VALU_DEP_2) | instskip(NEXT) | instid1(VALU_DEP_2)
	v_and_b32_e32 v3, 0xffff, v3
	v_mov_b32_e32 v7, v6
	s_delay_alu instid0(VALU_DEP_2)
	v_cvt_f64_u32_e32 v[4:5], v3
	global_store_b128 v[0:1], v[4:7], off
.LBB22_1160:
	s_and_not1_b32 vcc_lo, exec_lo, s34
	s_cbranch_vccnz .LBB22_1162
; %bb.1161:
	s_wait_xcnt 0x0
	v_cvt_f32_ubyte0_e32 v4, v2
	v_mov_b32_e32 v5, 0
	global_store_b64 v[0:1], v[4:5], off
.LBB22_1162:
	s_mov_b32 s34, 0
.LBB22_1163:
	s_delay_alu instid0(SALU_CYCLE_1)
	s_and_not1_b32 vcc_lo, exec_lo, s34
	s_cbranch_vccnz .LBB22_1165
; %bb.1164:
	s_wait_xcnt 0x0
	v_and_b32_e32 v3, 0xff, v2
	s_delay_alu instid0(VALU_DEP_1) | instskip(NEXT) | instid1(VALU_DEP_1)
	v_cvt_f16_u16_e32 v3, v3
	v_and_b32_e32 v3, 0xffff, v3
	global_store_b32 v[0:1], v3, off
.LBB22_1165:
	s_mov_b32 s34, 0
.LBB22_1166:
	s_delay_alu instid0(SALU_CYCLE_1)
	s_and_not1_b32 vcc_lo, exec_lo, s34
	s_cbranch_vccnz .LBB22_1175
; %bb.1167:
	s_cmp_lt_i32 s33, 6
	s_mov_b32 s34, -1
	s_cbranch_scc1 .LBB22_1173
; %bb.1168:
	s_cmp_gt_i32 s33, 6
	s_cbranch_scc0 .LBB22_1170
; %bb.1169:
	s_wait_xcnt 0x0
	v_and_b32_e32 v3, 0xff, v2
	s_mov_b32 s34, 0
	s_delay_alu instid0(VALU_DEP_1) | instskip(NEXT) | instid1(VALU_DEP_1)
	v_and_b32_e32 v3, 0xffff, v3
	v_cvt_f64_u32_e32 v[4:5], v3
	global_store_b64 v[0:1], v[4:5], off
.LBB22_1170:
	s_and_not1_b32 vcc_lo, exec_lo, s34
	s_cbranch_vccnz .LBB22_1172
; %bb.1171:
	s_wait_xcnt 0x0
	v_cvt_f32_ubyte0_e32 v3, v2
	global_store_b32 v[0:1], v3, off
.LBB22_1172:
	s_mov_b32 s34, 0
.LBB22_1173:
	s_delay_alu instid0(SALU_CYCLE_1)
	s_and_not1_b32 vcc_lo, exec_lo, s34
	s_cbranch_vccnz .LBB22_1175
; %bb.1174:
	s_wait_xcnt 0x0
	v_and_b32_e32 v3, 0xff, v2
	s_delay_alu instid0(VALU_DEP_1)
	v_cvt_f16_u16_e32 v3, v3
	global_store_b16 v[0:1], v3, off
.LBB22_1175:
	s_mov_b32 s34, 0
.LBB22_1176:
	s_delay_alu instid0(SALU_CYCLE_1)
	s_and_not1_b32 vcc_lo, exec_lo, s34
	s_cbranch_vccnz .LBB22_1192
; %bb.1177:
	s_cmp_lt_i32 s33, 2
	s_mov_b32 s34, -1
	s_cbranch_scc1 .LBB22_1187
; %bb.1178:
	s_cmp_lt_i32 s33, 3
	s_cbranch_scc1 .LBB22_1184
; %bb.1179:
	s_cmp_gt_i32 s33, 3
	s_cbranch_scc0 .LBB22_1181
; %bb.1180:
	s_wait_xcnt 0x0
	v_and_b32_e32 v4, 0xff, v2
	v_mov_b32_e32 v5, 0
	s_mov_b32 s34, 0
	global_store_b64 v[0:1], v[4:5], off
.LBB22_1181:
	s_and_not1_b32 vcc_lo, exec_lo, s34
	s_cbranch_vccnz .LBB22_1183
; %bb.1182:
	s_wait_xcnt 0x0
	v_and_b32_e32 v3, 0xff, v2
	global_store_b32 v[0:1], v3, off
.LBB22_1183:
	s_mov_b32 s34, 0
.LBB22_1184:
	s_delay_alu instid0(SALU_CYCLE_1)
	s_and_not1_b32 vcc_lo, exec_lo, s34
	s_cbranch_vccnz .LBB22_1186
; %bb.1185:
	s_wait_xcnt 0x0
	v_and_b32_e32 v3, 0xff, v2
	global_store_b16 v[0:1], v3, off
.LBB22_1186:
	s_mov_b32 s34, 0
.LBB22_1187:
	s_delay_alu instid0(SALU_CYCLE_1)
	s_and_not1_b32 vcc_lo, exec_lo, s34
	s_cbranch_vccnz .LBB22_1192
; %bb.1188:
	s_cmp_gt_i32 s33, 0
	s_mov_b32 s33, -1
	s_cbranch_scc0 .LBB22_1190
; %bb.1189:
	s_mov_b32 s33, 0
	global_store_b8 v[0:1], v2, off
.LBB22_1190:
	s_and_not1_b32 vcc_lo, exec_lo, s33
	s_cbranch_vccnz .LBB22_1192
; %bb.1191:
	global_store_b8 v[0:1], v2, off
.LBB22_1192:
	s_mov_b32 s35, -1
.LBB22_1193:
	s_delay_alu instid0(SALU_CYCLE_1)
	s_and_not1_b32 vcc_lo, exec_lo, s35
	s_cbranch_vccnz .LBB22_1204
; %bb.1194:
	v_add_nc_u32_e32 v18, 0x80, v18
	s_mov_b32 s34, -1
.LBB22_1195:
	s_and_not1_b32 s33, s24, exec_lo
	s_and_b32 s0, s0, exec_lo
	s_and_not1_b32 s35, s25, exec_lo
	s_and_b32 s31, s31, exec_lo
	s_or_b32 s33, s33, s0
	s_or_b32 s31, s35, s31
	s_and_not1_b32 s0, s26, exec_lo
	s_and_b32 s29, s29, exec_lo
	s_and_not1_b32 s35, s23, exec_lo
	s_and_b32 s30, s30, exec_lo
	s_or_b32 s29, s0, s29
	s_or_b32 s0, s35, s30
	s_or_not1_b32 s30, s34, exec_lo
.LBB22_1196:
	s_wait_xcnt 0x0
	s_or_b32 exec_lo, exec_lo, s28
	s_mov_b32 s34, 0
	s_and_saveexec_b32 s28, s30
	s_cbranch_execz .LBB22_1219
; %bb.1197:
	v_cmp_gt_i32_e32 vcc_lo, s18, v18
	s_mov_b32 s30, 0
	s_mov_b32 s34, s0
	s_and_saveexec_b32 s18, vcc_lo
	s_cbranch_execz .LBB22_1218
; %bb.1198:
	s_and_b32 s35, s15, 0xff
	s_delay_alu instid0(SALU_CYCLE_1)
	s_cmp_lt_i32 s35, 23
	s_cbranch_scc1 .LBB22_1202
; %bb.1199:
	s_and_b32 s36, 0xffff, s35
	s_delay_alu instid0(SALU_CYCLE_1)
	s_cmp_gt_i32 s36, 43
	s_cbranch_scc0 .LBB22_1203
; %bb.1200:
	s_cmp_gt_i32 s36, 45
	s_cbranch_scc0 .LBB22_1205
; %bb.1201:
	s_cmp_lg_u32 s36, 46
	s_mov_b32 s37, 0
	s_cselect_b32 s30, -1, 0
	s_and_not1_b32 s34, s0, exec_lo
	s_and_b32 s38, s30, exec_lo
	s_mov_b32 s30, -1
	s_or_b32 s34, s34, s38
	s_branch .LBB22_1206
.LBB22_1202:
	s_mov_b32 s36, -1
	s_mov_b32 s34, s0
	s_branch .LBB22_1212
.LBB22_1203:
	s_mov_b32 s37, -1
	s_mov_b32 s34, s0
	s_branch .LBB22_1209
.LBB22_1204:
	s_mov_b32 s34, 0
	s_branch .LBB22_824
.LBB22_1205:
	s_mov_b32 s37, -1
	s_mov_b32 s34, s0
.LBB22_1206:
	s_and_not1_b32 vcc_lo, exec_lo, s37
	s_cbranch_vccnz .LBB22_1208
; %bb.1207:
	s_cmp_eq_u32 s36, 44
	s_cselect_b32 s30, -1, 0
	s_cmp_lg_u32 s36, 44
	s_cselect_b32 s37, -1, 0
	s_and_not1_b32 s34, s34, exec_lo
	s_and_b32 s37, s37, exec_lo
	s_delay_alu instid0(SALU_CYCLE_1)
	s_or_b32 s34, s34, s37
.LBB22_1208:
	s_mov_b32 s37, 0
.LBB22_1209:
	s_delay_alu instid0(SALU_CYCLE_1)
	s_and_b32 vcc_lo, exec_lo, s37
	s_cbranch_vccz .LBB22_1211
; %bb.1210:
	s_cmp_lt_i32 s36, 30
	s_cselect_b32 s30, -1, 0
	s_cmp_gt_i32 s36, 29
	s_cselect_b32 s36, -1, 0
	s_and_not1_b32 s34, s34, exec_lo
	s_and_b32 s36, s36, exec_lo
	s_delay_alu instid0(SALU_CYCLE_1)
	s_or_b32 s34, s34, s36
.LBB22_1211:
	s_mov_b32 s36, 0
.LBB22_1212:
	s_delay_alu instid0(SALU_CYCLE_1)
	s_and_b32 vcc_lo, exec_lo, s36
	s_cbranch_vccz .LBB22_1217
; %bb.1213:
	s_and_b32 s35, 0xffff, s35
	s_mov_b32 s36, -1
	s_cmp_gt_i32 s35, 14
	s_cbranch_scc0 .LBB22_1215
; %bb.1214:
	s_cmp_eq_u32 s35, 15
	s_cselect_b32 s30, -1, 0
	s_cmp_lg_u32 s35, 15
	s_cselect_b32 s36, -1, 0
	s_and_not1_b32 s34, s34, exec_lo
	s_and_b32 s37, s36, exec_lo
	s_mov_b32 s36, 0
	s_or_b32 s34, s34, s37
.LBB22_1215:
	s_and_not1_b32 vcc_lo, exec_lo, s36
	s_cbranch_vccnz .LBB22_1217
; %bb.1216:
	s_cmp_lt_i32 s35, 12
	s_cselect_b32 s30, -1, 0
	s_cmp_gt_i32 s35, 11
	s_cselect_b32 s35, -1, 0
	s_and_not1_b32 s34, s34, exec_lo
	s_and_b32 s35, s35, exec_lo
	s_delay_alu instid0(SALU_CYCLE_1)
	s_or_b32 s34, s34, s35
.LBB22_1217:
	s_and_not1_b32 s35, s0, exec_lo
	s_and_b32 s34, s34, exec_lo
	s_and_b32 s30, s30, exec_lo
	s_or_b32 s34, s35, s34
.LBB22_1218:
	s_or_b32 exec_lo, exec_lo, s18
	s_delay_alu instid0(SALU_CYCLE_1)
	s_and_not1_b32 s0, s0, exec_lo
	s_and_b32 s18, s34, exec_lo
	s_and_b32 s34, s30, exec_lo
	s_or_b32 s0, s0, s18
.LBB22_1219:
	s_or_b32 exec_lo, exec_lo, s28
	s_delay_alu instid0(SALU_CYCLE_1)
	s_and_not1_b32 s18, s24, exec_lo
	s_and_b32 s24, s33, exec_lo
	s_and_not1_b32 s26, s26, exec_lo
	s_or_b32 s24, s18, s24
	s_and_not1_b32 s18, s25, exec_lo
	s_and_b32 s25, s31, exec_lo
	s_and_b32 s28, s29, exec_lo
	s_or_b32 s25, s18, s25
	s_and_not1_b32 s18, s23, exec_lo
	s_and_b32 s23, s0, exec_lo
	s_or_b32 s26, s26, s28
	s_and_b32 s0, s34, exec_lo
	s_or_b32 s23, s18, s23
.LBB22_1220:
	s_or_b32 exec_lo, exec_lo, s27
	s_delay_alu instid0(SALU_CYCLE_1)
	s_and_not1_b32 s17, s17, exec_lo
	s_and_b32 s18, s24, exec_lo
	s_and_not1_b32 s20, s20, exec_lo
	s_or_b32 s17, s17, s18
	s_and_not1_b32 s18, s19, exec_lo
	s_and_b32 s19, s25, exec_lo
	s_and_b32 s24, s26, exec_lo
	s_or_b32 s19, s18, s19
	s_and_not1_b32 s18, s21, exec_lo
	s_and_b32 s21, s23, exec_lo
	s_or_b32 s20, s20, s24
	s_and_b32 s23, s0, exec_lo
	s_or_b32 s21, s18, s21
.LBB22_1221:
	s_or_b32 exec_lo, exec_lo, s22
	s_mov_b32 s24, 0
	s_mov_b32 s18, 0
	s_and_saveexec_b32 s0, s21
	s_cbranch_execnz .LBB22_1236
.LBB22_1222:
	s_or_b32 exec_lo, exec_lo, s0
	s_mov_b32 s25, 0
	s_mov_b32 s22, 0
                                        ; implicit-def: $sgpr0
                                        ; implicit-def: $vgpr2_vgpr3
                                        ; implicit-def: $vgpr0
	s_and_saveexec_b32 s21, s23
	s_cbranch_execz .LBB22_1230
; %bb.1223:
	s_wait_loadcnt 0x0
	v_mul_lo_u32 v0, v18, s4
	s_and_b32 s0, s12, 0xff
	s_delay_alu instid0(SALU_CYCLE_1) | instskip(NEXT) | instid1(VALU_DEP_1)
	s_cmp_lt_i32 s0, 11
	v_ashrrev_i32_e32 v1, 31, v0
	s_delay_alu instid0(VALU_DEP_1)
	v_add_nc_u64_e32 v[2:3], s[8:9], v[0:1]
	s_cbranch_scc1 .LBB22_1233
; %bb.1224:
	s_and_b32 s22, 0xffff, s0
	s_delay_alu instid0(SALU_CYCLE_1)
	s_cmp_gt_i32 s22, 25
	s_cbranch_scc0 .LBB22_1234
; %bb.1225:
	s_cmp_gt_i32 s22, 28
	s_cbranch_scc0 .LBB22_1235
; %bb.1226:
	;; [unrolled: 3-line block ×4, first 2 shown]
	s_cmp_eq_u32 s22, 46
	s_mov_b32 s26, 0
	s_cbranch_scc0 .LBB22_1239
; %bb.1229:
	global_load_b32 v0, v[2:3], off
	s_mov_b32 s23, 0
	s_mov_b32 s25, -1
	s_wait_loadcnt 0x0
	v_lshlrev_b32_e32 v0, 16, v0
	s_delay_alu instid0(VALU_DEP_1) | instskip(NEXT) | instid1(VALU_DEP_1)
	v_trunc_f32_e32 v0, v0
	v_mul_f32_e64 v1, 0x2f800000, |v0|
	s_delay_alu instid0(VALU_DEP_1) | instskip(NEXT) | instid1(VALU_DEP_1)
	v_floor_f32_e32 v1, v1
	v_fma_f32 v1, 0xcf800000, v1, |v0|
	v_ashrrev_i32_e32 v0, 31, v0
	s_delay_alu instid0(VALU_DEP_2) | instskip(NEXT) | instid1(VALU_DEP_1)
	v_cvt_u32_f32_e32 v1, v1
	v_xor_b32_e32 v1, v1, v0
	s_delay_alu instid0(VALU_DEP_1)
	v_sub_nc_u32_e32 v0, v1, v0
	s_branch .LBB22_1241
.LBB22_1230:
	s_or_b32 exec_lo, exec_lo, s21
	s_and_saveexec_b32 s21, s20
	s_cbranch_execnz .LBB22_1300
.LBB22_1231:
	s_or_b32 exec_lo, exec_lo, s21
	s_and_saveexec_b32 s20, s24
	s_delay_alu instid0(SALU_CYCLE_1)
	s_xor_b32 s20, exec_lo, s20
	s_cbranch_execz .LBB22_1301
.LBB22_1232:
	s_wait_loadcnt 0x0
	global_load_u8 v0, v[2:3], off
	s_or_b32 s22, s22, exec_lo
	s_wait_loadcnt 0x0
	v_cmp_ne_u16_e32 vcc_lo, 0, v0
	v_cndmask_b32_e64 v0, 0, 1, vcc_lo
	s_wait_xcnt 0x0
	s_or_b32 exec_lo, exec_lo, s20
	s_and_saveexec_b32 s20, s25
	s_cbranch_execz .LBB22_1347
	s_branch .LBB22_1302
.LBB22_1233:
	s_mov_b32 s26, -1
	s_mov_b32 s23, s20
                                        ; implicit-def: $vgpr0
	s_branch .LBB22_1299
.LBB22_1234:
	s_mov_b32 s23, s20
                                        ; implicit-def: $vgpr0
	s_cbranch_execnz .LBB22_1268
	s_branch .LBB22_1298
.LBB22_1235:
	s_mov_b32 s26, -1
	s_mov_b32 s23, s20
                                        ; implicit-def: $vgpr0
	s_branch .LBB22_1251
.LBB22_1236:
	s_mov_b32 s18, exec_lo
	s_and_not1_b32 s23, s23, exec_lo
	s_trap 2
	s_branch .LBB22_1222
.LBB22_1237:
	s_mov_b32 s26, -1
	s_mov_b32 s23, s20
                                        ; implicit-def: $vgpr0
	s_branch .LBB22_1246
.LBB22_1238:
	s_mov_b32 s26, -1
	s_mov_b32 s23, s20
	s_branch .LBB22_1240
.LBB22_1239:
	s_mov_b32 s23, -1
.LBB22_1240:
                                        ; implicit-def: $vgpr0
.LBB22_1241:
	s_and_b32 vcc_lo, exec_lo, s26
	s_cbranch_vccz .LBB22_1245
; %bb.1242:
	s_cmp_eq_u32 s22, 44
	s_cbranch_scc0 .LBB22_1244
; %bb.1243:
	global_load_u8 v0, v[2:3], off
	s_mov_b32 s23, 0
	s_mov_b32 s25, -1
	s_wait_loadcnt 0x0
	v_lshlrev_b32_e32 v1, 23, v0
	v_cmp_ne_u32_e32 vcc_lo, 0, v0
	s_delay_alu instid0(VALU_DEP_2) | instskip(NEXT) | instid1(VALU_DEP_1)
	v_trunc_f32_e32 v1, v1
	v_mul_f32_e64 v4, 0x2f800000, |v1|
	s_delay_alu instid0(VALU_DEP_1) | instskip(NEXT) | instid1(VALU_DEP_1)
	v_floor_f32_e32 v4, v4
	v_fma_f32 v4, 0xcf800000, v4, |v1|
	v_ashrrev_i32_e32 v1, 31, v1
	s_delay_alu instid0(VALU_DEP_2) | instskip(NEXT) | instid1(VALU_DEP_1)
	v_cvt_u32_f32_e32 v4, v4
	v_xor_b32_e32 v4, v4, v1
	s_delay_alu instid0(VALU_DEP_1) | instskip(NEXT) | instid1(VALU_DEP_1)
	v_sub_nc_u32_e32 v1, v4, v1
	v_cndmask_b32_e32 v0, 0, v1, vcc_lo
	s_branch .LBB22_1245
.LBB22_1244:
	s_mov_b32 s23, -1
                                        ; implicit-def: $vgpr0
.LBB22_1245:
	s_mov_b32 s26, 0
.LBB22_1246:
	s_delay_alu instid0(SALU_CYCLE_1)
	s_and_b32 vcc_lo, exec_lo, s26
	s_cbranch_vccz .LBB22_1250
; %bb.1247:
	s_cmp_eq_u32 s22, 29
	s_cbranch_scc0 .LBB22_1249
; %bb.1248:
	global_load_b64 v[0:1], v[2:3], off
	s_mov_b32 s23, 0
	s_mov_b32 s25, -1
	s_branch .LBB22_1250
.LBB22_1249:
	s_mov_b32 s23, -1
                                        ; implicit-def: $vgpr0
.LBB22_1250:
	s_mov_b32 s26, 0
.LBB22_1251:
	s_delay_alu instid0(SALU_CYCLE_1)
	s_and_b32 vcc_lo, exec_lo, s26
	s_cbranch_vccz .LBB22_1267
; %bb.1252:
	s_cmp_lt_i32 s22, 27
	s_cbranch_scc1 .LBB22_1255
; %bb.1253:
	s_cmp_gt_i32 s22, 27
	s_cbranch_scc0 .LBB22_1256
; %bb.1254:
	s_wait_loadcnt 0x0
	global_load_b32 v0, v[2:3], off
	s_mov_b32 s25, 0
	s_branch .LBB22_1257
.LBB22_1255:
	s_mov_b32 s25, -1
                                        ; implicit-def: $vgpr0
	s_branch .LBB22_1260
.LBB22_1256:
	s_mov_b32 s25, -1
                                        ; implicit-def: $vgpr0
.LBB22_1257:
	s_delay_alu instid0(SALU_CYCLE_1)
	s_and_not1_b32 vcc_lo, exec_lo, s25
	s_cbranch_vccnz .LBB22_1259
; %bb.1258:
	s_wait_loadcnt 0x0
	global_load_u16 v0, v[2:3], off
.LBB22_1259:
	s_mov_b32 s25, 0
.LBB22_1260:
	s_delay_alu instid0(SALU_CYCLE_1)
	s_and_not1_b32 vcc_lo, exec_lo, s25
	s_cbranch_vccnz .LBB22_1266
; %bb.1261:
	s_wait_loadcnt 0x0
	global_load_u8 v1, v[2:3], off
	s_mov_b32 s26, 0
	s_mov_b32 s25, exec_lo
	s_wait_loadcnt 0x0
	v_cmpx_lt_i16_e32 0x7f, v1
	s_xor_b32 s25, exec_lo, s25
	s_cbranch_execz .LBB22_1277
; %bb.1262:
	v_cmp_ne_u16_e32 vcc_lo, 0x80, v1
	s_and_b32 s26, vcc_lo, exec_lo
	s_and_not1_saveexec_b32 s25, s25
	s_cbranch_execnz .LBB22_1278
.LBB22_1263:
	s_or_b32 exec_lo, exec_lo, s25
	v_mov_b32_e32 v0, 0
	s_and_saveexec_b32 s25, s26
	s_cbranch_execz .LBB22_1265
.LBB22_1264:
	v_and_b32_e32 v0, 0xffff, v1
	s_delay_alu instid0(VALU_DEP_1) | instskip(SKIP_1) | instid1(VALU_DEP_2)
	v_and_b32_e32 v4, 7, v0
	v_bfe_u32 v7, v0, 3, 4
	v_clz_i32_u32_e32 v5, v4
	s_delay_alu instid0(VALU_DEP_2) | instskip(NEXT) | instid1(VALU_DEP_2)
	v_cmp_eq_u32_e32 vcc_lo, 0, v7
	v_min_u32_e32 v5, 32, v5
	s_delay_alu instid0(VALU_DEP_1) | instskip(NEXT) | instid1(VALU_DEP_1)
	v_subrev_nc_u32_e32 v6, 28, v5
	v_dual_lshlrev_b32 v0, v6, v0 :: v_dual_sub_nc_u32 v5, 29, v5
	s_delay_alu instid0(VALU_DEP_1) | instskip(NEXT) | instid1(VALU_DEP_1)
	v_dual_lshlrev_b32 v1, 24, v1 :: v_dual_bitop2_b32 v0, 7, v0 bitop3:0x40
	v_dual_cndmask_b32 v0, v4, v0 :: v_dual_cndmask_b32 v5, v7, v5
	s_delay_alu instid0(VALU_DEP_2) | instskip(NEXT) | instid1(VALU_DEP_2)
	v_and_b32_e32 v1, 0x80000000, v1
	v_lshlrev_b32_e32 v0, 20, v0
	s_delay_alu instid0(VALU_DEP_3) | instskip(NEXT) | instid1(VALU_DEP_1)
	v_lshl_add_u32 v4, v5, 23, 0x3b800000
	v_or3_b32 v0, v1, v4, v0
	s_delay_alu instid0(VALU_DEP_1) | instskip(NEXT) | instid1(VALU_DEP_1)
	v_trunc_f32_e32 v0, v0
	v_mul_f32_e64 v1, 0x2f800000, |v0|
	s_delay_alu instid0(VALU_DEP_1) | instskip(NEXT) | instid1(VALU_DEP_1)
	v_floor_f32_e32 v1, v1
	v_fma_f32 v1, 0xcf800000, v1, |v0|
	v_ashrrev_i32_e32 v0, 31, v0
	s_delay_alu instid0(VALU_DEP_2) | instskip(NEXT) | instid1(VALU_DEP_1)
	v_cvt_u32_f32_e32 v1, v1
	v_xor_b32_e32 v1, v1, v0
	s_delay_alu instid0(VALU_DEP_1)
	v_sub_nc_u32_e32 v0, v1, v0
.LBB22_1265:
	s_or_b32 exec_lo, exec_lo, s25
.LBB22_1266:
	s_mov_b32 s25, -1
.LBB22_1267:
	s_branch .LBB22_1298
.LBB22_1268:
	s_cmp_gt_i32 s22, 22
	s_cbranch_scc0 .LBB22_1276
; %bb.1269:
	s_cmp_lt_i32 s22, 24
	s_cbranch_scc1 .LBB22_1279
; %bb.1270:
	s_cmp_gt_i32 s22, 24
	s_cbranch_scc0 .LBB22_1280
; %bb.1271:
	s_wait_loadcnt 0x0
	global_load_u8 v1, v[2:3], off
	s_mov_b32 s25, 0
	s_mov_b32 s24, exec_lo
	s_wait_loadcnt 0x0
	v_cmpx_lt_i16_e32 0x7f, v1
	s_xor_b32 s24, exec_lo, s24
	s_cbranch_execz .LBB22_1292
; %bb.1272:
	v_cmp_ne_u16_e32 vcc_lo, 0x80, v1
	s_and_b32 s25, vcc_lo, exec_lo
	s_and_not1_saveexec_b32 s24, s24
	s_cbranch_execnz .LBB22_1293
.LBB22_1273:
	s_or_b32 exec_lo, exec_lo, s24
	v_mov_b32_e32 v0, 0
	s_and_saveexec_b32 s24, s25
	s_cbranch_execz .LBB22_1275
.LBB22_1274:
	v_and_b32_e32 v0, 0xffff, v1
	s_delay_alu instid0(VALU_DEP_1) | instskip(SKIP_1) | instid1(VALU_DEP_2)
	v_and_b32_e32 v4, 3, v0
	v_bfe_u32 v7, v0, 2, 5
	v_clz_i32_u32_e32 v5, v4
	s_delay_alu instid0(VALU_DEP_2) | instskip(NEXT) | instid1(VALU_DEP_2)
	v_cmp_eq_u32_e32 vcc_lo, 0, v7
	v_min_u32_e32 v5, 32, v5
	s_delay_alu instid0(VALU_DEP_1) | instskip(NEXT) | instid1(VALU_DEP_1)
	v_subrev_nc_u32_e32 v6, 29, v5
	v_dual_lshlrev_b32 v0, v6, v0 :: v_dual_sub_nc_u32 v5, 30, v5
	s_delay_alu instid0(VALU_DEP_1) | instskip(NEXT) | instid1(VALU_DEP_1)
	v_dual_lshlrev_b32 v1, 24, v1 :: v_dual_bitop2_b32 v0, 3, v0 bitop3:0x40
	v_dual_cndmask_b32 v0, v4, v0 :: v_dual_cndmask_b32 v5, v7, v5
	s_delay_alu instid0(VALU_DEP_2) | instskip(NEXT) | instid1(VALU_DEP_2)
	v_and_b32_e32 v1, 0x80000000, v1
	v_lshlrev_b32_e32 v0, 21, v0
	s_delay_alu instid0(VALU_DEP_3) | instskip(NEXT) | instid1(VALU_DEP_1)
	v_lshl_add_u32 v4, v5, 23, 0x37800000
	v_or3_b32 v0, v1, v4, v0
	s_delay_alu instid0(VALU_DEP_1) | instskip(NEXT) | instid1(VALU_DEP_1)
	v_trunc_f32_e32 v0, v0
	v_mul_f32_e64 v1, 0x2f800000, |v0|
	s_delay_alu instid0(VALU_DEP_1) | instskip(NEXT) | instid1(VALU_DEP_1)
	v_floor_f32_e32 v1, v1
	v_fma_f32 v1, 0xcf800000, v1, |v0|
	v_ashrrev_i32_e32 v0, 31, v0
	s_delay_alu instid0(VALU_DEP_2) | instskip(NEXT) | instid1(VALU_DEP_1)
	v_cvt_u32_f32_e32 v1, v1
	v_xor_b32_e32 v1, v1, v0
	s_delay_alu instid0(VALU_DEP_1)
	v_sub_nc_u32_e32 v0, v1, v0
.LBB22_1275:
	s_or_b32 exec_lo, exec_lo, s24
	s_mov_b32 s24, 0
	s_branch .LBB22_1281
.LBB22_1276:
	s_mov_b32 s24, -1
                                        ; implicit-def: $vgpr0
	s_branch .LBB22_1287
.LBB22_1277:
	s_and_not1_saveexec_b32 s25, s25
	s_cbranch_execz .LBB22_1263
.LBB22_1278:
	v_cmp_ne_u16_e32 vcc_lo, 0, v1
	s_and_not1_b32 s26, s26, exec_lo
	s_and_b32 s27, vcc_lo, exec_lo
	s_delay_alu instid0(SALU_CYCLE_1)
	s_or_b32 s26, s26, s27
	s_or_b32 exec_lo, exec_lo, s25
	v_mov_b32_e32 v0, 0
	s_and_saveexec_b32 s25, s26
	s_cbranch_execnz .LBB22_1264
	s_branch .LBB22_1265
.LBB22_1279:
	s_mov_b32 s24, -1
                                        ; implicit-def: $vgpr0
	s_branch .LBB22_1284
.LBB22_1280:
	s_mov_b32 s24, -1
                                        ; implicit-def: $vgpr0
.LBB22_1281:
	s_delay_alu instid0(SALU_CYCLE_1)
	s_and_b32 vcc_lo, exec_lo, s24
	s_cbranch_vccz .LBB22_1283
; %bb.1282:
	s_wait_loadcnt 0x0
	global_load_u8 v0, v[2:3], off
	s_wait_loadcnt 0x0
	v_lshlrev_b32_e32 v0, 24, v0
	s_delay_alu instid0(VALU_DEP_1) | instskip(NEXT) | instid1(VALU_DEP_1)
	v_and_b32_e32 v1, 0x7f000000, v0
	v_clz_i32_u32_e32 v4, v1
	v_cmp_ne_u32_e32 vcc_lo, 0, v1
	v_add_nc_u32_e32 v6, 0x1000000, v1
	s_delay_alu instid0(VALU_DEP_3) | instskip(NEXT) | instid1(VALU_DEP_1)
	v_min_u32_e32 v4, 32, v4
	v_sub_nc_u32_e64 v4, v4, 4 clamp
	s_delay_alu instid0(VALU_DEP_1) | instskip(NEXT) | instid1(VALU_DEP_1)
	v_dual_lshlrev_b32 v5, v4, v1 :: v_dual_lshlrev_b32 v4, 23, v4
	v_lshrrev_b32_e32 v5, 4, v5
	s_delay_alu instid0(VALU_DEP_1) | instskip(NEXT) | instid1(VALU_DEP_1)
	v_dual_sub_nc_u32 v4, v5, v4 :: v_dual_ashrrev_i32 v5, 8, v6
	v_add_nc_u32_e32 v4, 0x3c000000, v4
	s_delay_alu instid0(VALU_DEP_1) | instskip(NEXT) | instid1(VALU_DEP_1)
	v_and_or_b32 v4, 0x7f800000, v5, v4
	v_cndmask_b32_e32 v1, 0, v4, vcc_lo
	s_delay_alu instid0(VALU_DEP_1) | instskip(NEXT) | instid1(VALU_DEP_1)
	v_and_or_b32 v0, 0x80000000, v0, v1
	v_trunc_f32_e32 v0, v0
	s_delay_alu instid0(VALU_DEP_1) | instskip(NEXT) | instid1(VALU_DEP_1)
	v_mul_f32_e64 v1, 0x2f800000, |v0|
	v_floor_f32_e32 v1, v1
	s_delay_alu instid0(VALU_DEP_1) | instskip(SKIP_1) | instid1(VALU_DEP_2)
	v_fma_f32 v1, 0xcf800000, v1, |v0|
	v_ashrrev_i32_e32 v0, 31, v0
	v_cvt_u32_f32_e32 v1, v1
	s_delay_alu instid0(VALU_DEP_1) | instskip(NEXT) | instid1(VALU_DEP_1)
	v_xor_b32_e32 v1, v1, v0
	v_sub_nc_u32_e32 v0, v1, v0
.LBB22_1283:
	s_mov_b32 s24, 0
.LBB22_1284:
	s_delay_alu instid0(SALU_CYCLE_1)
	s_and_not1_b32 vcc_lo, exec_lo, s24
	s_cbranch_vccnz .LBB22_1286
; %bb.1285:
	s_wait_loadcnt 0x0
	global_load_u8 v0, v[2:3], off
	s_wait_loadcnt 0x0
	v_lshlrev_b32_e32 v1, 25, v0
	v_lshlrev_b16 v0, 8, v0
	s_delay_alu instid0(VALU_DEP_1) | instskip(SKIP_1) | instid1(VALU_DEP_2)
	v_and_or_b32 v5, 0x7f00, v0, 0.5
	v_bfe_i32 v0, v0, 0, 16
	v_add_f32_e32 v5, -0.5, v5
	v_lshrrev_b32_e32 v4, 4, v1
	v_cmp_gt_u32_e32 vcc_lo, 0x8000000, v1
	s_delay_alu instid0(VALU_DEP_2) | instskip(NEXT) | instid1(VALU_DEP_1)
	v_or_b32_e32 v4, 0x70000000, v4
	v_mul_f32_e32 v4, 0x7800000, v4
	s_delay_alu instid0(VALU_DEP_1) | instskip(NEXT) | instid1(VALU_DEP_1)
	v_cndmask_b32_e32 v1, v4, v5, vcc_lo
	v_and_or_b32 v0, 0x80000000, v0, v1
	s_delay_alu instid0(VALU_DEP_1) | instskip(NEXT) | instid1(VALU_DEP_1)
	v_trunc_f32_e32 v0, v0
	v_mul_f32_e64 v1, 0x2f800000, |v0|
	s_delay_alu instid0(VALU_DEP_1) | instskip(NEXT) | instid1(VALU_DEP_1)
	v_floor_f32_e32 v1, v1
	v_fma_f32 v1, 0xcf800000, v1, |v0|
	v_ashrrev_i32_e32 v0, 31, v0
	s_delay_alu instid0(VALU_DEP_2) | instskip(NEXT) | instid1(VALU_DEP_1)
	v_cvt_u32_f32_e32 v1, v1
	v_xor_b32_e32 v1, v1, v0
	s_delay_alu instid0(VALU_DEP_1)
	v_sub_nc_u32_e32 v0, v1, v0
.LBB22_1286:
	s_mov_b32 s24, 0
	s_mov_b32 s25, -1
.LBB22_1287:
	s_and_not1_b32 vcc_lo, exec_lo, s24
	s_mov_b32 s24, 0
	s_cbranch_vccnz .LBB22_1298
; %bb.1288:
	s_cmp_gt_i32 s22, 14
	s_cbranch_scc0 .LBB22_1291
; %bb.1289:
	s_cmp_eq_u32 s22, 15
	s_cbranch_scc0 .LBB22_1294
; %bb.1290:
	s_wait_loadcnt 0x0
	global_load_u16 v0, v[2:3], off
	s_mov_b32 s23, 0
	s_mov_b32 s25, -1
	s_wait_loadcnt 0x0
	v_lshlrev_b32_e32 v0, 16, v0
	s_delay_alu instid0(VALU_DEP_1) | instskip(NEXT) | instid1(VALU_DEP_1)
	v_trunc_f32_e32 v0, v0
	v_mul_f32_e64 v1, 0x2f800000, |v0|
	s_delay_alu instid0(VALU_DEP_1) | instskip(NEXT) | instid1(VALU_DEP_1)
	v_floor_f32_e32 v1, v1
	v_fma_f32 v1, 0xcf800000, v1, |v0|
	v_ashrrev_i32_e32 v0, 31, v0
	s_delay_alu instid0(VALU_DEP_2) | instskip(NEXT) | instid1(VALU_DEP_1)
	v_cvt_u32_f32_e32 v1, v1
	v_xor_b32_e32 v1, v1, v0
	s_delay_alu instid0(VALU_DEP_1)
	v_sub_nc_u32_e32 v0, v1, v0
	s_branch .LBB22_1296
.LBB22_1291:
	s_mov_b32 s24, -1
	s_branch .LBB22_1295
.LBB22_1292:
	s_and_not1_saveexec_b32 s24, s24
	s_cbranch_execz .LBB22_1273
.LBB22_1293:
	v_cmp_ne_u16_e32 vcc_lo, 0, v1
	s_and_not1_b32 s25, s25, exec_lo
	s_and_b32 s26, vcc_lo, exec_lo
	s_delay_alu instid0(SALU_CYCLE_1)
	s_or_b32 s25, s25, s26
	s_or_b32 exec_lo, exec_lo, s24
	v_mov_b32_e32 v0, 0
	s_and_saveexec_b32 s24, s25
	s_cbranch_execnz .LBB22_1274
	s_branch .LBB22_1275
.LBB22_1294:
	s_mov_b32 s23, -1
.LBB22_1295:
                                        ; implicit-def: $vgpr0
.LBB22_1296:
	s_and_b32 vcc_lo, exec_lo, s24
	s_mov_b32 s24, 0
	s_cbranch_vccz .LBB22_1298
; %bb.1297:
	s_cmp_lg_u32 s22, 11
	s_mov_b32 s24, -1
	s_cselect_b32 s22, -1, 0
	s_and_not1_b32 s23, s23, exec_lo
	s_and_b32 s22, s22, exec_lo
	s_delay_alu instid0(SALU_CYCLE_1)
	s_or_b32 s23, s23, s22
.LBB22_1298:
	s_mov_b32 s26, 0
.LBB22_1299:
	s_and_not1_b32 s20, s20, exec_lo
	s_and_b32 s23, s23, exec_lo
	s_and_b32 s22, s25, exec_lo
	s_and_b32 s25, s26, exec_lo
	s_and_b32 s24, s24, exec_lo
	s_or_b32 s20, s20, s23
	s_wait_xcnt 0x0
	s_or_b32 exec_lo, exec_lo, s21
	s_and_saveexec_b32 s21, s20
	s_cbranch_execz .LBB22_1231
.LBB22_1300:
	s_or_b32 s18, s18, exec_lo
	s_and_not1_b32 s24, s24, exec_lo
	s_trap 2
	s_or_b32 exec_lo, exec_lo, s21
	s_and_saveexec_b32 s20, s24
	s_delay_alu instid0(SALU_CYCLE_1)
	s_xor_b32 s20, exec_lo, s20
	s_cbranch_execnz .LBB22_1232
.LBB22_1301:
	s_or_b32 exec_lo, exec_lo, s20
	s_and_saveexec_b32 s20, s25
	s_cbranch_execz .LBB22_1347
.LBB22_1302:
	s_sext_i32_i16 s21, s0
	s_delay_alu instid0(SALU_CYCLE_1)
	s_cmp_lt_i32 s21, 5
	s_cbranch_scc1 .LBB22_1307
; %bb.1303:
	s_cmp_lt_i32 s21, 8
	s_cbranch_scc1 .LBB22_1308
; %bb.1304:
	;; [unrolled: 3-line block ×3, first 2 shown]
	s_cmp_gt_i32 s21, 9
	s_cbranch_scc0 .LBB22_1310
; %bb.1306:
	s_wait_loadcnt 0x0
	global_load_b64 v[0:1], v[2:3], off
	s_mov_b32 s21, 0
	s_wait_loadcnt 0x0
	v_trunc_f64_e32 v[0:1], v[0:1]
	s_delay_alu instid0(VALU_DEP_1) | instskip(NEXT) | instid1(VALU_DEP_1)
	v_ldexp_f64 v[4:5], v[0:1], 0xffffffe0
	v_floor_f64_e32 v[4:5], v[4:5]
	s_delay_alu instid0(VALU_DEP_1) | instskip(NEXT) | instid1(VALU_DEP_1)
	v_fmamk_f64 v[0:1], v[4:5], 0xc1f00000, v[0:1]
	v_cvt_u32_f64_e32 v0, v[0:1]
	s_branch .LBB22_1311
.LBB22_1307:
                                        ; implicit-def: $vgpr0
	s_branch .LBB22_1328
.LBB22_1308:
                                        ; implicit-def: $vgpr0
	s_branch .LBB22_1317
.LBB22_1309:
	s_mov_b32 s21, -1
                                        ; implicit-def: $vgpr0
	s_branch .LBB22_1314
.LBB22_1310:
	s_mov_b32 s21, -1
                                        ; implicit-def: $vgpr0
.LBB22_1311:
	s_delay_alu instid0(SALU_CYCLE_1)
	s_and_not1_b32 vcc_lo, exec_lo, s21
	s_cbranch_vccnz .LBB22_1313
; %bb.1312:
	s_wait_loadcnt 0x0
	global_load_b32 v0, v[2:3], off
	s_wait_loadcnt 0x0
	v_trunc_f32_e32 v0, v0
	s_delay_alu instid0(VALU_DEP_1) | instskip(NEXT) | instid1(VALU_DEP_1)
	v_mul_f32_e64 v1, 0x2f800000, |v0|
	v_floor_f32_e32 v1, v1
	s_delay_alu instid0(VALU_DEP_1) | instskip(SKIP_1) | instid1(VALU_DEP_2)
	v_fma_f32 v1, 0xcf800000, v1, |v0|
	v_ashrrev_i32_e32 v0, 31, v0
	v_cvt_u32_f32_e32 v1, v1
	s_delay_alu instid0(VALU_DEP_1) | instskip(NEXT) | instid1(VALU_DEP_1)
	v_xor_b32_e32 v1, v1, v0
	v_sub_nc_u32_e32 v0, v1, v0
.LBB22_1313:
	s_mov_b32 s21, 0
.LBB22_1314:
	s_delay_alu instid0(SALU_CYCLE_1)
	s_and_not1_b32 vcc_lo, exec_lo, s21
	s_cbranch_vccnz .LBB22_1316
; %bb.1315:
	s_wait_loadcnt 0x0
	global_load_b32 v0, v[2:3], off
	s_wait_loadcnt 0x0
	v_cvt_f32_f16_e32 v0, v0
	s_delay_alu instid0(VALU_DEP_1)
	v_cvt_i32_f32_e32 v0, v0
.LBB22_1316:
	s_cbranch_execnz .LBB22_1327
.LBB22_1317:
	s_sext_i32_i16 s21, s0
	s_delay_alu instid0(SALU_CYCLE_1)
	s_cmp_lt_i32 s21, 6
	s_cbranch_scc1 .LBB22_1320
; %bb.1318:
	s_cmp_gt_i32 s21, 6
	s_cbranch_scc0 .LBB22_1321
; %bb.1319:
	s_wait_loadcnt 0x0
	global_load_b64 v[0:1], v[2:3], off
	s_mov_b32 s21, 0
	s_wait_loadcnt 0x0
	v_trunc_f64_e32 v[0:1], v[0:1]
	s_delay_alu instid0(VALU_DEP_1) | instskip(NEXT) | instid1(VALU_DEP_1)
	v_ldexp_f64 v[4:5], v[0:1], 0xffffffe0
	v_floor_f64_e32 v[4:5], v[4:5]
	s_delay_alu instid0(VALU_DEP_1) | instskip(NEXT) | instid1(VALU_DEP_1)
	v_fmamk_f64 v[0:1], v[4:5], 0xc1f00000, v[0:1]
	v_cvt_u32_f64_e32 v0, v[0:1]
	s_branch .LBB22_1322
.LBB22_1320:
	s_mov_b32 s21, -1
                                        ; implicit-def: $vgpr0
	s_branch .LBB22_1325
.LBB22_1321:
	s_mov_b32 s21, -1
                                        ; implicit-def: $vgpr0
.LBB22_1322:
	s_delay_alu instid0(SALU_CYCLE_1)
	s_and_not1_b32 vcc_lo, exec_lo, s21
	s_cbranch_vccnz .LBB22_1324
; %bb.1323:
	s_wait_loadcnt 0x0
	global_load_b32 v0, v[2:3], off
	s_wait_loadcnt 0x0
	v_trunc_f32_e32 v0, v0
	s_delay_alu instid0(VALU_DEP_1) | instskip(NEXT) | instid1(VALU_DEP_1)
	v_mul_f32_e64 v1, 0x2f800000, |v0|
	v_floor_f32_e32 v1, v1
	s_delay_alu instid0(VALU_DEP_1) | instskip(SKIP_1) | instid1(VALU_DEP_2)
	v_fma_f32 v1, 0xcf800000, v1, |v0|
	v_ashrrev_i32_e32 v0, 31, v0
	v_cvt_u32_f32_e32 v1, v1
	s_delay_alu instid0(VALU_DEP_1) | instskip(NEXT) | instid1(VALU_DEP_1)
	v_xor_b32_e32 v1, v1, v0
	v_sub_nc_u32_e32 v0, v1, v0
.LBB22_1324:
	s_mov_b32 s21, 0
.LBB22_1325:
	s_delay_alu instid0(SALU_CYCLE_1)
	s_and_not1_b32 vcc_lo, exec_lo, s21
	s_cbranch_vccnz .LBB22_1327
; %bb.1326:
	s_wait_loadcnt 0x0
	global_load_u16 v0, v[2:3], off
	s_wait_loadcnt 0x0
	v_cvt_f32_f16_e32 v0, v0
	s_delay_alu instid0(VALU_DEP_1)
	v_cvt_i32_f32_e32 v0, v0
.LBB22_1327:
	s_cbranch_execnz .LBB22_1346
.LBB22_1328:
	s_sext_i32_i16 s21, s0
	s_delay_alu instid0(SALU_CYCLE_1)
	s_cmp_lt_i32 s21, 2
	s_cbranch_scc1 .LBB22_1332
; %bb.1329:
	s_cmp_lt_i32 s21, 3
	s_cbranch_scc1 .LBB22_1333
; %bb.1330:
	s_cmp_gt_i32 s21, 3
	s_cbranch_scc0 .LBB22_1334
; %bb.1331:
	s_wait_loadcnt 0x0
	global_load_b64 v[0:1], v[2:3], off
	s_mov_b32 s21, 0
	s_branch .LBB22_1335
.LBB22_1332:
                                        ; implicit-def: $vgpr0
	s_branch .LBB22_1341
.LBB22_1333:
	s_mov_b32 s21, -1
                                        ; implicit-def: $vgpr0
	s_branch .LBB22_1338
.LBB22_1334:
	s_mov_b32 s21, -1
                                        ; implicit-def: $vgpr0
.LBB22_1335:
	s_delay_alu instid0(SALU_CYCLE_1)
	s_and_not1_b32 vcc_lo, exec_lo, s21
	s_cbranch_vccnz .LBB22_1337
; %bb.1336:
	s_wait_loadcnt 0x0
	global_load_b32 v0, v[2:3], off
.LBB22_1337:
	s_mov_b32 s21, 0
.LBB22_1338:
	s_delay_alu instid0(SALU_CYCLE_1)
	s_and_not1_b32 vcc_lo, exec_lo, s21
	s_cbranch_vccnz .LBB22_1340
; %bb.1339:
	s_wait_loadcnt 0x0
	global_load_u16 v0, v[2:3], off
.LBB22_1340:
	s_cbranch_execnz .LBB22_1346
.LBB22_1341:
	s_sext_i32_i16 s0, s0
	s_delay_alu instid0(SALU_CYCLE_1)
	s_cmp_gt_i32 s0, 0
	s_mov_b32 s0, 0
	s_cbranch_scc0 .LBB22_1343
; %bb.1342:
	s_wait_loadcnt 0x0
	global_load_u8 v0, v[2:3], off
	s_branch .LBB22_1344
.LBB22_1343:
	s_mov_b32 s0, -1
                                        ; implicit-def: $vgpr0
.LBB22_1344:
	s_delay_alu instid0(SALU_CYCLE_1)
	s_and_not1_b32 vcc_lo, exec_lo, s0
	s_cbranch_vccnz .LBB22_1346
; %bb.1345:
	s_wait_loadcnt 0x0
	global_load_u8 v0, v[2:3], off
.LBB22_1346:
	s_or_b32 s22, s22, exec_lo
.LBB22_1347:
	s_wait_xcnt 0x0
	s_or_b32 exec_lo, exec_lo, s20
	s_mov_b32 s23, 0
	s_mov_b32 s24, 0
	;; [unrolled: 1-line block ×3, first 2 shown]
                                        ; implicit-def: $sgpr0
                                        ; implicit-def: $vgpr2_vgpr3
                                        ; implicit-def: $vgpr4
	s_and_saveexec_b32 s20, s22
	s_cbranch_execz .LBB22_1355
; %bb.1348:
	v_mul_lo_u32 v2, v18, s5
	s_and_b32 s0, s7, 0xff
	s_delay_alu instid0(SALU_CYCLE_1) | instskip(NEXT) | instid1(VALU_DEP_1)
	s_cmp_lt_i32 s0, 11
	v_ashrrev_i32_e32 v3, 31, v2
	s_delay_alu instid0(VALU_DEP_1)
	v_add_nc_u64_e32 v[2:3], s[10:11], v[2:3]
	s_cbranch_scc1 .LBB22_1358
; %bb.1349:
	s_and_b32 s21, 0xffff, s0
	s_delay_alu instid0(SALU_CYCLE_1)
	s_cmp_gt_i32 s21, 25
	s_cbranch_scc0 .LBB22_1359
; %bb.1350:
	s_cmp_gt_i32 s21, 28
	s_cbranch_scc0 .LBB22_1360
; %bb.1351:
	;; [unrolled: 3-line block ×4, first 2 shown]
	s_cmp_eq_u32 s21, 46
	s_mov_b32 s25, 0
	s_cbranch_scc0 .LBB22_1363
; %bb.1354:
	s_wait_loadcnt 0x0
	global_load_b32 v1, v[2:3], off
	s_mov_b32 s22, 0
	s_mov_b32 s24, -1
	s_wait_loadcnt 0x0
	v_lshlrev_b32_e32 v1, 16, v1
	s_delay_alu instid0(VALU_DEP_1) | instskip(NEXT) | instid1(VALU_DEP_1)
	v_trunc_f32_e32 v1, v1
	v_mul_f32_e64 v4, 0x2f800000, |v1|
	s_delay_alu instid0(VALU_DEP_1) | instskip(NEXT) | instid1(VALU_DEP_1)
	v_floor_f32_e32 v4, v4
	v_fma_f32 v4, 0xcf800000, v4, |v1|
	v_ashrrev_i32_e32 v1, 31, v1
	s_delay_alu instid0(VALU_DEP_2) | instskip(NEXT) | instid1(VALU_DEP_1)
	v_cvt_u32_f32_e32 v4, v4
	v_xor_b32_e32 v4, v4, v1
	s_delay_alu instid0(VALU_DEP_1)
	v_sub_nc_u32_e32 v4, v4, v1
	s_branch .LBB22_1365
.LBB22_1355:
	s_or_b32 exec_lo, exec_lo, s20
	s_and_saveexec_b32 s20, s19
	s_cbranch_execnz .LBB22_1424
.LBB22_1356:
	s_or_b32 exec_lo, exec_lo, s20
	s_and_saveexec_b32 s19, s23
	s_delay_alu instid0(SALU_CYCLE_1)
	s_xor_b32 s19, exec_lo, s19
	s_cbranch_execz .LBB22_1425
.LBB22_1357:
	s_wait_loadcnt 0x0
	global_load_u8 v1, v[2:3], off
	s_or_b32 s21, s21, exec_lo
	s_wait_loadcnt 0x0
	v_cmp_ne_u16_e32 vcc_lo, 0, v1
	v_cndmask_b32_e64 v4, 0, 1, vcc_lo
	s_wait_xcnt 0x0
	s_or_b32 exec_lo, exec_lo, s19
	s_and_saveexec_b32 s19, s24
	s_cbranch_execz .LBB22_1471
	s_branch .LBB22_1426
.LBB22_1358:
	s_mov_b32 s25, -1
	s_mov_b32 s22, s19
                                        ; implicit-def: $vgpr4
	s_branch .LBB22_1423
.LBB22_1359:
	s_mov_b32 s22, s19
                                        ; implicit-def: $vgpr4
	s_cbranch_execnz .LBB22_1392
	s_branch .LBB22_1422
.LBB22_1360:
	s_mov_b32 s25, -1
	s_mov_b32 s22, s19
                                        ; implicit-def: $vgpr4
	s_branch .LBB22_1375
.LBB22_1361:
	s_mov_b32 s25, -1
	s_mov_b32 s22, s19
                                        ; implicit-def: $vgpr4
	s_branch .LBB22_1370
.LBB22_1362:
	s_mov_b32 s25, -1
	s_mov_b32 s22, s19
	s_branch .LBB22_1364
.LBB22_1363:
	s_mov_b32 s22, -1
.LBB22_1364:
                                        ; implicit-def: $vgpr4
.LBB22_1365:
	s_and_b32 vcc_lo, exec_lo, s25
	s_cbranch_vccz .LBB22_1369
; %bb.1366:
	s_cmp_eq_u32 s21, 44
	s_cbranch_scc0 .LBB22_1368
; %bb.1367:
	s_wait_loadcnt 0x0
	global_load_u8 v1, v[2:3], off
	s_mov_b32 s22, 0
	s_mov_b32 s24, -1
	s_wait_loadcnt 0x0
	v_lshlrev_b32_e32 v4, 23, v1
	v_cmp_ne_u32_e32 vcc_lo, 0, v1
	s_delay_alu instid0(VALU_DEP_2) | instskip(NEXT) | instid1(VALU_DEP_1)
	v_trunc_f32_e32 v4, v4
	v_mul_f32_e64 v5, 0x2f800000, |v4|
	s_delay_alu instid0(VALU_DEP_1) | instskip(NEXT) | instid1(VALU_DEP_1)
	v_floor_f32_e32 v5, v5
	v_fma_f32 v5, 0xcf800000, v5, |v4|
	v_ashrrev_i32_e32 v4, 31, v4
	s_delay_alu instid0(VALU_DEP_2) | instskip(NEXT) | instid1(VALU_DEP_1)
	v_cvt_u32_f32_e32 v5, v5
	v_xor_b32_e32 v5, v5, v4
	s_delay_alu instid0(VALU_DEP_1) | instskip(NEXT) | instid1(VALU_DEP_1)
	v_sub_nc_u32_e32 v4, v5, v4
	v_cndmask_b32_e32 v4, 0, v4, vcc_lo
	s_branch .LBB22_1369
.LBB22_1368:
	s_mov_b32 s22, -1
                                        ; implicit-def: $vgpr4
.LBB22_1369:
	s_mov_b32 s25, 0
.LBB22_1370:
	s_delay_alu instid0(SALU_CYCLE_1)
	s_and_b32 vcc_lo, exec_lo, s25
	s_cbranch_vccz .LBB22_1374
; %bb.1371:
	s_cmp_eq_u32 s21, 29
	s_cbranch_scc0 .LBB22_1373
; %bb.1372:
	s_wait_loadcnt 0x0
	global_load_b64 v[4:5], v[2:3], off
	s_mov_b32 s22, 0
	s_mov_b32 s24, -1
	s_branch .LBB22_1374
.LBB22_1373:
	s_mov_b32 s22, -1
                                        ; implicit-def: $vgpr4
.LBB22_1374:
	s_mov_b32 s25, 0
.LBB22_1375:
	s_delay_alu instid0(SALU_CYCLE_1)
	s_and_b32 vcc_lo, exec_lo, s25
	s_cbranch_vccz .LBB22_1391
; %bb.1376:
	s_cmp_lt_i32 s21, 27
	s_cbranch_scc1 .LBB22_1379
; %bb.1377:
	s_cmp_gt_i32 s21, 27
	s_cbranch_scc0 .LBB22_1380
; %bb.1378:
	s_wait_loadcnt 0x0
	global_load_b32 v4, v[2:3], off
	s_mov_b32 s24, 0
	s_branch .LBB22_1381
.LBB22_1379:
	s_mov_b32 s24, -1
                                        ; implicit-def: $vgpr4
	s_branch .LBB22_1384
.LBB22_1380:
	s_mov_b32 s24, -1
                                        ; implicit-def: $vgpr4
.LBB22_1381:
	s_delay_alu instid0(SALU_CYCLE_1)
	s_and_not1_b32 vcc_lo, exec_lo, s24
	s_cbranch_vccnz .LBB22_1383
; %bb.1382:
	s_wait_loadcnt 0x0
	global_load_u16 v4, v[2:3], off
.LBB22_1383:
	s_mov_b32 s24, 0
.LBB22_1384:
	s_delay_alu instid0(SALU_CYCLE_1)
	s_and_not1_b32 vcc_lo, exec_lo, s24
	s_cbranch_vccnz .LBB22_1390
; %bb.1385:
	s_wait_loadcnt 0x0
	global_load_u8 v1, v[2:3], off
	s_mov_b32 s25, 0
	s_mov_b32 s24, exec_lo
	s_wait_loadcnt 0x0
	v_cmpx_lt_i16_e32 0x7f, v1
	s_xor_b32 s24, exec_lo, s24
	s_cbranch_execz .LBB22_1401
; %bb.1386:
	v_cmp_ne_u16_e32 vcc_lo, 0x80, v1
	s_and_b32 s25, vcc_lo, exec_lo
	s_and_not1_saveexec_b32 s24, s24
	s_cbranch_execnz .LBB22_1402
.LBB22_1387:
	s_or_b32 exec_lo, exec_lo, s24
	v_mov_b32_e32 v4, 0
	s_and_saveexec_b32 s24, s25
	s_cbranch_execz .LBB22_1389
.LBB22_1388:
	v_and_b32_e32 v4, 0xffff, v1
	s_delay_alu instid0(VALU_DEP_1) | instskip(SKIP_1) | instid1(VALU_DEP_2)
	v_and_b32_e32 v5, 7, v4
	v_bfe_u32 v8, v4, 3, 4
	v_clz_i32_u32_e32 v6, v5
	s_delay_alu instid0(VALU_DEP_2) | instskip(NEXT) | instid1(VALU_DEP_2)
	v_cmp_eq_u32_e32 vcc_lo, 0, v8
	v_min_u32_e32 v6, 32, v6
	s_delay_alu instid0(VALU_DEP_1) | instskip(NEXT) | instid1(VALU_DEP_1)
	v_subrev_nc_u32_e32 v7, 28, v6
	v_dual_lshlrev_b32 v4, v7, v4 :: v_dual_sub_nc_u32 v6, 29, v6
	s_delay_alu instid0(VALU_DEP_1) | instskip(NEXT) | instid1(VALU_DEP_1)
	v_dual_lshlrev_b32 v1, 24, v1 :: v_dual_bitop2_b32 v4, 7, v4 bitop3:0x40
	v_dual_cndmask_b32 v6, v8, v6, vcc_lo :: v_dual_cndmask_b32 v4, v5, v4, vcc_lo
	s_delay_alu instid0(VALU_DEP_2) | instskip(NEXT) | instid1(VALU_DEP_2)
	v_and_b32_e32 v1, 0x80000000, v1
	v_lshl_add_u32 v5, v6, 23, 0x3b800000
	s_delay_alu instid0(VALU_DEP_3) | instskip(NEXT) | instid1(VALU_DEP_1)
	v_lshlrev_b32_e32 v4, 20, v4
	v_or3_b32 v1, v1, v5, v4
	s_delay_alu instid0(VALU_DEP_1) | instskip(NEXT) | instid1(VALU_DEP_1)
	v_trunc_f32_e32 v1, v1
	v_mul_f32_e64 v4, 0x2f800000, |v1|
	s_delay_alu instid0(VALU_DEP_1) | instskip(NEXT) | instid1(VALU_DEP_1)
	v_floor_f32_e32 v4, v4
	v_fma_f32 v4, 0xcf800000, v4, |v1|
	v_ashrrev_i32_e32 v1, 31, v1
	s_delay_alu instid0(VALU_DEP_2) | instskip(NEXT) | instid1(VALU_DEP_1)
	v_cvt_u32_f32_e32 v4, v4
	v_xor_b32_e32 v4, v4, v1
	s_delay_alu instid0(VALU_DEP_1)
	v_sub_nc_u32_e32 v4, v4, v1
.LBB22_1389:
	s_or_b32 exec_lo, exec_lo, s24
.LBB22_1390:
	s_mov_b32 s24, -1
.LBB22_1391:
	s_branch .LBB22_1422
.LBB22_1392:
	s_cmp_gt_i32 s21, 22
	s_cbranch_scc0 .LBB22_1400
; %bb.1393:
	s_cmp_lt_i32 s21, 24
	s_cbranch_scc1 .LBB22_1403
; %bb.1394:
	s_cmp_gt_i32 s21, 24
	s_cbranch_scc0 .LBB22_1404
; %bb.1395:
	s_wait_loadcnt 0x0
	global_load_u8 v1, v[2:3], off
	s_mov_b32 s24, 0
	s_mov_b32 s23, exec_lo
	s_wait_loadcnt 0x0
	v_cmpx_lt_i16_e32 0x7f, v1
	s_xor_b32 s23, exec_lo, s23
	s_cbranch_execz .LBB22_1416
; %bb.1396:
	v_cmp_ne_u16_e32 vcc_lo, 0x80, v1
	s_and_b32 s24, vcc_lo, exec_lo
	s_and_not1_saveexec_b32 s23, s23
	s_cbranch_execnz .LBB22_1417
.LBB22_1397:
	s_or_b32 exec_lo, exec_lo, s23
	v_mov_b32_e32 v4, 0
	s_and_saveexec_b32 s23, s24
	s_cbranch_execz .LBB22_1399
.LBB22_1398:
	v_and_b32_e32 v4, 0xffff, v1
	s_delay_alu instid0(VALU_DEP_1) | instskip(SKIP_1) | instid1(VALU_DEP_2)
	v_and_b32_e32 v5, 3, v4
	v_bfe_u32 v8, v4, 2, 5
	v_clz_i32_u32_e32 v6, v5
	s_delay_alu instid0(VALU_DEP_2) | instskip(NEXT) | instid1(VALU_DEP_2)
	v_cmp_eq_u32_e32 vcc_lo, 0, v8
	v_min_u32_e32 v6, 32, v6
	s_delay_alu instid0(VALU_DEP_1) | instskip(NEXT) | instid1(VALU_DEP_1)
	v_subrev_nc_u32_e32 v7, 29, v6
	v_dual_lshlrev_b32 v4, v7, v4 :: v_dual_sub_nc_u32 v6, 30, v6
	s_delay_alu instid0(VALU_DEP_1) | instskip(NEXT) | instid1(VALU_DEP_1)
	v_dual_lshlrev_b32 v1, 24, v1 :: v_dual_bitop2_b32 v4, 3, v4 bitop3:0x40
	v_dual_cndmask_b32 v6, v8, v6, vcc_lo :: v_dual_cndmask_b32 v4, v5, v4, vcc_lo
	s_delay_alu instid0(VALU_DEP_2) | instskip(NEXT) | instid1(VALU_DEP_2)
	v_and_b32_e32 v1, 0x80000000, v1
	v_lshl_add_u32 v5, v6, 23, 0x37800000
	s_delay_alu instid0(VALU_DEP_3) | instskip(NEXT) | instid1(VALU_DEP_1)
	v_lshlrev_b32_e32 v4, 21, v4
	v_or3_b32 v1, v1, v5, v4
	s_delay_alu instid0(VALU_DEP_1) | instskip(NEXT) | instid1(VALU_DEP_1)
	v_trunc_f32_e32 v1, v1
	v_mul_f32_e64 v4, 0x2f800000, |v1|
	s_delay_alu instid0(VALU_DEP_1) | instskip(NEXT) | instid1(VALU_DEP_1)
	v_floor_f32_e32 v4, v4
	v_fma_f32 v4, 0xcf800000, v4, |v1|
	v_ashrrev_i32_e32 v1, 31, v1
	s_delay_alu instid0(VALU_DEP_2) | instskip(NEXT) | instid1(VALU_DEP_1)
	v_cvt_u32_f32_e32 v4, v4
	v_xor_b32_e32 v4, v4, v1
	s_delay_alu instid0(VALU_DEP_1)
	v_sub_nc_u32_e32 v4, v4, v1
.LBB22_1399:
	s_or_b32 exec_lo, exec_lo, s23
	s_mov_b32 s23, 0
	s_branch .LBB22_1405
.LBB22_1400:
	s_mov_b32 s23, -1
                                        ; implicit-def: $vgpr4
	s_branch .LBB22_1411
.LBB22_1401:
	s_and_not1_saveexec_b32 s24, s24
	s_cbranch_execz .LBB22_1387
.LBB22_1402:
	v_cmp_ne_u16_e32 vcc_lo, 0, v1
	s_and_not1_b32 s25, s25, exec_lo
	s_and_b32 s26, vcc_lo, exec_lo
	s_delay_alu instid0(SALU_CYCLE_1)
	s_or_b32 s25, s25, s26
	s_or_b32 exec_lo, exec_lo, s24
	v_mov_b32_e32 v4, 0
	s_and_saveexec_b32 s24, s25
	s_cbranch_execnz .LBB22_1388
	s_branch .LBB22_1389
.LBB22_1403:
	s_mov_b32 s23, -1
                                        ; implicit-def: $vgpr4
	s_branch .LBB22_1408
.LBB22_1404:
	s_mov_b32 s23, -1
                                        ; implicit-def: $vgpr4
.LBB22_1405:
	s_delay_alu instid0(SALU_CYCLE_1)
	s_and_b32 vcc_lo, exec_lo, s23
	s_cbranch_vccz .LBB22_1407
; %bb.1406:
	s_wait_loadcnt 0x0
	global_load_u8 v1, v[2:3], off
	s_wait_loadcnt 0x0
	v_lshlrev_b32_e32 v1, 24, v1
	s_delay_alu instid0(VALU_DEP_1) | instskip(NEXT) | instid1(VALU_DEP_1)
	v_and_b32_e32 v4, 0x7f000000, v1
	v_clz_i32_u32_e32 v5, v4
	v_cmp_ne_u32_e32 vcc_lo, 0, v4
	v_add_nc_u32_e32 v7, 0x1000000, v4
	s_delay_alu instid0(VALU_DEP_3) | instskip(NEXT) | instid1(VALU_DEP_1)
	v_min_u32_e32 v5, 32, v5
	v_sub_nc_u32_e64 v5, v5, 4 clamp
	s_delay_alu instid0(VALU_DEP_1) | instskip(NEXT) | instid1(VALU_DEP_1)
	v_dual_lshlrev_b32 v6, v5, v4 :: v_dual_lshlrev_b32 v5, 23, v5
	v_lshrrev_b32_e32 v6, 4, v6
	s_delay_alu instid0(VALU_DEP_1) | instskip(NEXT) | instid1(VALU_DEP_1)
	v_dual_sub_nc_u32 v5, v6, v5 :: v_dual_ashrrev_i32 v6, 8, v7
	v_add_nc_u32_e32 v5, 0x3c000000, v5
	s_delay_alu instid0(VALU_DEP_1) | instskip(NEXT) | instid1(VALU_DEP_1)
	v_and_or_b32 v5, 0x7f800000, v6, v5
	v_cndmask_b32_e32 v4, 0, v5, vcc_lo
	s_delay_alu instid0(VALU_DEP_1) | instskip(NEXT) | instid1(VALU_DEP_1)
	v_and_or_b32 v1, 0x80000000, v1, v4
	v_trunc_f32_e32 v1, v1
	s_delay_alu instid0(VALU_DEP_1) | instskip(NEXT) | instid1(VALU_DEP_1)
	v_mul_f32_e64 v4, 0x2f800000, |v1|
	v_floor_f32_e32 v4, v4
	s_delay_alu instid0(VALU_DEP_1) | instskip(SKIP_1) | instid1(VALU_DEP_2)
	v_fma_f32 v4, 0xcf800000, v4, |v1|
	v_ashrrev_i32_e32 v1, 31, v1
	v_cvt_u32_f32_e32 v4, v4
	s_delay_alu instid0(VALU_DEP_1) | instskip(NEXT) | instid1(VALU_DEP_1)
	v_xor_b32_e32 v4, v4, v1
	v_sub_nc_u32_e32 v4, v4, v1
.LBB22_1407:
	s_mov_b32 s23, 0
.LBB22_1408:
	s_delay_alu instid0(SALU_CYCLE_1)
	s_and_not1_b32 vcc_lo, exec_lo, s23
	s_cbranch_vccnz .LBB22_1410
; %bb.1409:
	s_wait_loadcnt 0x0
	global_load_u8 v1, v[2:3], off
	s_wait_loadcnt 0x0
	v_lshlrev_b32_e32 v4, 25, v1
	v_lshlrev_b16 v1, 8, v1
	s_delay_alu instid0(VALU_DEP_1) | instskip(SKIP_1) | instid1(VALU_DEP_2)
	v_and_or_b32 v6, 0x7f00, v1, 0.5
	v_bfe_i32 v1, v1, 0, 16
	v_dual_add_f32 v6, -0.5, v6 :: v_dual_lshrrev_b32 v5, 4, v4
	v_cmp_gt_u32_e32 vcc_lo, 0x8000000, v4
	s_delay_alu instid0(VALU_DEP_2) | instskip(NEXT) | instid1(VALU_DEP_1)
	v_or_b32_e32 v5, 0x70000000, v5
	v_mul_f32_e32 v5, 0x7800000, v5
	s_delay_alu instid0(VALU_DEP_1) | instskip(NEXT) | instid1(VALU_DEP_1)
	v_cndmask_b32_e32 v4, v5, v6, vcc_lo
	v_and_or_b32 v1, 0x80000000, v1, v4
	s_delay_alu instid0(VALU_DEP_1) | instskip(NEXT) | instid1(VALU_DEP_1)
	v_trunc_f32_e32 v1, v1
	v_mul_f32_e64 v4, 0x2f800000, |v1|
	s_delay_alu instid0(VALU_DEP_1) | instskip(NEXT) | instid1(VALU_DEP_1)
	v_floor_f32_e32 v4, v4
	v_fma_f32 v4, 0xcf800000, v4, |v1|
	v_ashrrev_i32_e32 v1, 31, v1
	s_delay_alu instid0(VALU_DEP_2) | instskip(NEXT) | instid1(VALU_DEP_1)
	v_cvt_u32_f32_e32 v4, v4
	v_xor_b32_e32 v4, v4, v1
	s_delay_alu instid0(VALU_DEP_1)
	v_sub_nc_u32_e32 v4, v4, v1
.LBB22_1410:
	s_mov_b32 s23, 0
	s_mov_b32 s24, -1
.LBB22_1411:
	s_and_not1_b32 vcc_lo, exec_lo, s23
	s_mov_b32 s23, 0
	s_cbranch_vccnz .LBB22_1422
; %bb.1412:
	s_cmp_gt_i32 s21, 14
	s_cbranch_scc0 .LBB22_1415
; %bb.1413:
	s_cmp_eq_u32 s21, 15
	s_cbranch_scc0 .LBB22_1418
; %bb.1414:
	s_wait_loadcnt 0x0
	global_load_u16 v1, v[2:3], off
	s_mov_b32 s22, 0
	s_mov_b32 s24, -1
	s_wait_loadcnt 0x0
	v_lshlrev_b32_e32 v1, 16, v1
	s_delay_alu instid0(VALU_DEP_1) | instskip(NEXT) | instid1(VALU_DEP_1)
	v_trunc_f32_e32 v1, v1
	v_mul_f32_e64 v4, 0x2f800000, |v1|
	s_delay_alu instid0(VALU_DEP_1) | instskip(NEXT) | instid1(VALU_DEP_1)
	v_floor_f32_e32 v4, v4
	v_fma_f32 v4, 0xcf800000, v4, |v1|
	v_ashrrev_i32_e32 v1, 31, v1
	s_delay_alu instid0(VALU_DEP_2) | instskip(NEXT) | instid1(VALU_DEP_1)
	v_cvt_u32_f32_e32 v4, v4
	v_xor_b32_e32 v4, v4, v1
	s_delay_alu instid0(VALU_DEP_1)
	v_sub_nc_u32_e32 v4, v4, v1
	s_branch .LBB22_1420
.LBB22_1415:
	s_mov_b32 s23, -1
	s_branch .LBB22_1419
.LBB22_1416:
	s_and_not1_saveexec_b32 s23, s23
	s_cbranch_execz .LBB22_1397
.LBB22_1417:
	v_cmp_ne_u16_e32 vcc_lo, 0, v1
	s_and_not1_b32 s24, s24, exec_lo
	s_and_b32 s25, vcc_lo, exec_lo
	s_delay_alu instid0(SALU_CYCLE_1)
	s_or_b32 s24, s24, s25
	s_or_b32 exec_lo, exec_lo, s23
	v_mov_b32_e32 v4, 0
	s_and_saveexec_b32 s23, s24
	s_cbranch_execnz .LBB22_1398
	s_branch .LBB22_1399
.LBB22_1418:
	s_mov_b32 s22, -1
.LBB22_1419:
                                        ; implicit-def: $vgpr4
.LBB22_1420:
	s_and_b32 vcc_lo, exec_lo, s23
	s_mov_b32 s23, 0
	s_cbranch_vccz .LBB22_1422
; %bb.1421:
	s_cmp_lg_u32 s21, 11
	s_mov_b32 s23, -1
	s_cselect_b32 s21, -1, 0
	s_and_not1_b32 s22, s22, exec_lo
	s_and_b32 s21, s21, exec_lo
	s_delay_alu instid0(SALU_CYCLE_1)
	s_or_b32 s22, s22, s21
.LBB22_1422:
	s_mov_b32 s25, 0
.LBB22_1423:
	s_and_not1_b32 s19, s19, exec_lo
	s_and_b32 s22, s22, exec_lo
	s_and_b32 s21, s24, exec_lo
	;; [unrolled: 1-line block ×4, first 2 shown]
	s_or_b32 s19, s19, s22
	s_wait_xcnt 0x0
	s_or_b32 exec_lo, exec_lo, s20
	s_and_saveexec_b32 s20, s19
	s_cbranch_execz .LBB22_1356
.LBB22_1424:
	s_or_b32 s18, s18, exec_lo
	s_and_not1_b32 s23, s23, exec_lo
	s_trap 2
	s_or_b32 exec_lo, exec_lo, s20
	s_and_saveexec_b32 s19, s23
	s_delay_alu instid0(SALU_CYCLE_1)
	s_xor_b32 s19, exec_lo, s19
	s_cbranch_execnz .LBB22_1357
.LBB22_1425:
	s_or_b32 exec_lo, exec_lo, s19
	s_and_saveexec_b32 s19, s24
	s_cbranch_execz .LBB22_1471
.LBB22_1426:
	s_sext_i32_i16 s20, s0
	s_delay_alu instid0(SALU_CYCLE_1)
	s_cmp_lt_i32 s20, 5
	s_cbranch_scc1 .LBB22_1431
; %bb.1427:
	s_cmp_lt_i32 s20, 8
	s_cbranch_scc1 .LBB22_1432
; %bb.1428:
	;; [unrolled: 3-line block ×3, first 2 shown]
	s_cmp_gt_i32 s20, 9
	s_cbranch_scc0 .LBB22_1434
; %bb.1430:
	s_wait_loadcnt 0x0
	global_load_b64 v[4:5], v[2:3], off
	s_mov_b32 s20, 0
	s_wait_loadcnt 0x0
	v_trunc_f64_e32 v[4:5], v[4:5]
	s_delay_alu instid0(VALU_DEP_1) | instskip(NEXT) | instid1(VALU_DEP_1)
	v_ldexp_f64 v[6:7], v[4:5], 0xffffffe0
	v_floor_f64_e32 v[6:7], v[6:7]
	s_delay_alu instid0(VALU_DEP_1) | instskip(NEXT) | instid1(VALU_DEP_1)
	v_fmamk_f64 v[4:5], v[6:7], 0xc1f00000, v[4:5]
	v_cvt_u32_f64_e32 v4, v[4:5]
	s_branch .LBB22_1435
.LBB22_1431:
                                        ; implicit-def: $vgpr4
	s_branch .LBB22_1452
.LBB22_1432:
                                        ; implicit-def: $vgpr4
	s_branch .LBB22_1441
.LBB22_1433:
	s_mov_b32 s20, -1
                                        ; implicit-def: $vgpr4
	s_branch .LBB22_1438
.LBB22_1434:
	s_mov_b32 s20, -1
                                        ; implicit-def: $vgpr4
.LBB22_1435:
	s_delay_alu instid0(SALU_CYCLE_1)
	s_and_not1_b32 vcc_lo, exec_lo, s20
	s_cbranch_vccnz .LBB22_1437
; %bb.1436:
	s_wait_loadcnt 0x0
	global_load_b32 v1, v[2:3], off
	s_wait_loadcnt 0x0
	v_trunc_f32_e32 v1, v1
	s_delay_alu instid0(VALU_DEP_1) | instskip(NEXT) | instid1(VALU_DEP_1)
	v_mul_f32_e64 v4, 0x2f800000, |v1|
	v_floor_f32_e32 v4, v4
	s_delay_alu instid0(VALU_DEP_1) | instskip(SKIP_1) | instid1(VALU_DEP_2)
	v_fma_f32 v4, 0xcf800000, v4, |v1|
	v_ashrrev_i32_e32 v1, 31, v1
	v_cvt_u32_f32_e32 v4, v4
	s_delay_alu instid0(VALU_DEP_1) | instskip(NEXT) | instid1(VALU_DEP_1)
	v_xor_b32_e32 v4, v4, v1
	v_sub_nc_u32_e32 v4, v4, v1
.LBB22_1437:
	s_mov_b32 s20, 0
.LBB22_1438:
	s_delay_alu instid0(SALU_CYCLE_1)
	s_and_not1_b32 vcc_lo, exec_lo, s20
	s_cbranch_vccnz .LBB22_1440
; %bb.1439:
	s_wait_loadcnt 0x0
	global_load_b32 v1, v[2:3], off
	s_wait_loadcnt 0x0
	v_cvt_f32_f16_e32 v1, v1
	s_delay_alu instid0(VALU_DEP_1)
	v_cvt_i32_f32_e32 v4, v1
.LBB22_1440:
	s_cbranch_execnz .LBB22_1451
.LBB22_1441:
	s_sext_i32_i16 s20, s0
	s_delay_alu instid0(SALU_CYCLE_1)
	s_cmp_lt_i32 s20, 6
	s_cbranch_scc1 .LBB22_1444
; %bb.1442:
	s_cmp_gt_i32 s20, 6
	s_cbranch_scc0 .LBB22_1445
; %bb.1443:
	s_wait_loadcnt 0x0
	global_load_b64 v[4:5], v[2:3], off
	s_mov_b32 s20, 0
	s_wait_loadcnt 0x0
	v_trunc_f64_e32 v[4:5], v[4:5]
	s_delay_alu instid0(VALU_DEP_1) | instskip(NEXT) | instid1(VALU_DEP_1)
	v_ldexp_f64 v[6:7], v[4:5], 0xffffffe0
	v_floor_f64_e32 v[6:7], v[6:7]
	s_delay_alu instid0(VALU_DEP_1) | instskip(NEXT) | instid1(VALU_DEP_1)
	v_fmamk_f64 v[4:5], v[6:7], 0xc1f00000, v[4:5]
	v_cvt_u32_f64_e32 v4, v[4:5]
	s_branch .LBB22_1446
.LBB22_1444:
	s_mov_b32 s20, -1
                                        ; implicit-def: $vgpr4
	s_branch .LBB22_1449
.LBB22_1445:
	s_mov_b32 s20, -1
                                        ; implicit-def: $vgpr4
.LBB22_1446:
	s_delay_alu instid0(SALU_CYCLE_1)
	s_and_not1_b32 vcc_lo, exec_lo, s20
	s_cbranch_vccnz .LBB22_1448
; %bb.1447:
	s_wait_loadcnt 0x0
	global_load_b32 v1, v[2:3], off
	s_wait_loadcnt 0x0
	v_trunc_f32_e32 v1, v1
	s_delay_alu instid0(VALU_DEP_1) | instskip(NEXT) | instid1(VALU_DEP_1)
	v_mul_f32_e64 v4, 0x2f800000, |v1|
	v_floor_f32_e32 v4, v4
	s_delay_alu instid0(VALU_DEP_1) | instskip(SKIP_1) | instid1(VALU_DEP_2)
	v_fma_f32 v4, 0xcf800000, v4, |v1|
	v_ashrrev_i32_e32 v1, 31, v1
	v_cvt_u32_f32_e32 v4, v4
	s_delay_alu instid0(VALU_DEP_1) | instskip(NEXT) | instid1(VALU_DEP_1)
	v_xor_b32_e32 v4, v4, v1
	v_sub_nc_u32_e32 v4, v4, v1
.LBB22_1448:
	s_mov_b32 s20, 0
.LBB22_1449:
	s_delay_alu instid0(SALU_CYCLE_1)
	s_and_not1_b32 vcc_lo, exec_lo, s20
	s_cbranch_vccnz .LBB22_1451
; %bb.1450:
	s_wait_loadcnt 0x0
	global_load_u16 v1, v[2:3], off
	s_wait_loadcnt 0x0
	v_cvt_f32_f16_e32 v1, v1
	s_delay_alu instid0(VALU_DEP_1)
	v_cvt_i32_f32_e32 v4, v1
.LBB22_1451:
	s_cbranch_execnz .LBB22_1470
.LBB22_1452:
	s_sext_i32_i16 s20, s0
	s_delay_alu instid0(SALU_CYCLE_1)
	s_cmp_lt_i32 s20, 2
	s_cbranch_scc1 .LBB22_1456
; %bb.1453:
	s_cmp_lt_i32 s20, 3
	s_cbranch_scc1 .LBB22_1457
; %bb.1454:
	s_cmp_gt_i32 s20, 3
	s_cbranch_scc0 .LBB22_1458
; %bb.1455:
	s_wait_loadcnt 0x0
	global_load_b64 v[4:5], v[2:3], off
	s_mov_b32 s20, 0
	s_branch .LBB22_1459
.LBB22_1456:
                                        ; implicit-def: $vgpr4
	s_branch .LBB22_1465
.LBB22_1457:
	s_mov_b32 s20, -1
                                        ; implicit-def: $vgpr4
	s_branch .LBB22_1462
.LBB22_1458:
	s_mov_b32 s20, -1
                                        ; implicit-def: $vgpr4
.LBB22_1459:
	s_delay_alu instid0(SALU_CYCLE_1)
	s_and_not1_b32 vcc_lo, exec_lo, s20
	s_cbranch_vccnz .LBB22_1461
; %bb.1460:
	s_wait_loadcnt 0x0
	global_load_b32 v4, v[2:3], off
.LBB22_1461:
	s_mov_b32 s20, 0
.LBB22_1462:
	s_delay_alu instid0(SALU_CYCLE_1)
	s_and_not1_b32 vcc_lo, exec_lo, s20
	s_cbranch_vccnz .LBB22_1464
; %bb.1463:
	s_wait_loadcnt 0x0
	global_load_u16 v4, v[2:3], off
.LBB22_1464:
	s_cbranch_execnz .LBB22_1470
.LBB22_1465:
	s_sext_i32_i16 s0, s0
	s_delay_alu instid0(SALU_CYCLE_1)
	s_cmp_gt_i32 s0, 0
	s_mov_b32 s0, 0
	s_cbranch_scc0 .LBB22_1467
; %bb.1466:
	s_wait_loadcnt 0x0
	global_load_u8 v4, v[2:3], off
	s_branch .LBB22_1468
.LBB22_1467:
	s_mov_b32 s0, -1
                                        ; implicit-def: $vgpr4
.LBB22_1468:
	s_delay_alu instid0(SALU_CYCLE_1)
	s_and_not1_b32 vcc_lo, exec_lo, s0
	s_cbranch_vccnz .LBB22_1470
; %bb.1469:
	s_wait_loadcnt 0x0
	global_load_u8 v4, v[2:3], off
.LBB22_1470:
	s_or_b32 s21, s21, exec_lo
.LBB22_1471:
	s_wait_xcnt 0x0
	s_or_b32 exec_lo, exec_lo, s19
	s_mov_b32 s0, 0
	s_mov_b32 s22, 0
                                        ; implicit-def: $sgpr19
                                        ; implicit-def: $vgpr2_vgpr3
                                        ; implicit-def: $vgpr1
	s_and_saveexec_b32 s20, s21
	s_cbranch_execz .LBB22_1479
; %bb.1472:
	v_mul_lo_u32 v2, v18, s14
	s_wait_loadcnt 0x0
	v_mul_lo_u16 v0, v0, s6
	s_and_b32 s19, s1, 0xff
	s_delay_alu instid0(SALU_CYCLE_1) | instskip(NEXT) | instid1(VALU_DEP_1)
	s_cmp_lt_i32 s19, 11
	v_mul_lo_u16 v1, v0, v4
	s_delay_alu instid0(VALU_DEP_3) | instskip(NEXT) | instid1(VALU_DEP_1)
	v_ashrrev_i32_e32 v3, 31, v2
	v_add_nc_u64_e32 v[2:3], s[2:3], v[2:3]
	s_cbranch_scc1 .LBB22_1482
; %bb.1473:
	s_and_b32 s21, 0xffff, s19
	s_mov_b32 s22, -1
	s_cmp_gt_i32 s21, 25
	s_mov_b32 s0, s17
	s_cbranch_scc0 .LBB22_1510
; %bb.1474:
	s_cmp_gt_i32 s21, 28
	s_mov_b32 s0, s17
	s_cbranch_scc0 .LBB22_1494
; %bb.1475:
	;; [unrolled: 4-line block ×4, first 2 shown]
	s_cmp_eq_u32 s21, 46
	s_mov_b32 s0, -1
	s_cbranch_scc0 .LBB22_1483
; %bb.1478:
	v_cvt_f32_ubyte0_e32 v0, v1
	s_mov_b32 s0, 0
	s_mov_b32 s22, 0
	s_delay_alu instid0(VALU_DEP_1) | instskip(NEXT) | instid1(VALU_DEP_1)
	v_bfe_u32 v4, v0, 16, 1
	v_add3_u32 v0, v0, v4, 0x7fff
	s_delay_alu instid0(VALU_DEP_1)
	v_lshrrev_b32_e32 v0, 16, v0
	global_store_b32 v[2:3], v0, off
	s_branch .LBB22_1484
.LBB22_1479:
	s_or_b32 exec_lo, exec_lo, s20
	s_and_saveexec_b32 s20, s17
	s_cbranch_execnz .LBB22_1552
.LBB22_1480:
	s_or_b32 exec_lo, exec_lo, s20
	s_and_saveexec_b32 s17, s0
	s_delay_alu instid0(SALU_CYCLE_1)
	s_xor_b32 s0, exec_lo, s17
	s_cbranch_execz .LBB22_1553
.LBB22_1481:
	s_wait_loadcnt 0x0
	v_and_b32_e32 v0, 0xff, v1
	s_delay_alu instid0(VALU_DEP_1)
	v_cmp_ne_u16_e32 vcc_lo, 0, v0
	v_cndmask_b32_e64 v0, 0, 1, vcc_lo
	global_store_b8 v[2:3], v0, off
	s_wait_xcnt 0x0
	s_or_b32 exec_lo, exec_lo, s0
	s_and_saveexec_b32 s0, s22
	s_delay_alu instid0(SALU_CYCLE_1)
	s_xor_b32 s0, exec_lo, s0
	s_cbranch_execz .LBB22_1591
	s_branch .LBB22_1554
.LBB22_1482:
	s_mov_b32 s23, 0
	s_mov_b32 s22, -1
	s_mov_b32 s0, s17
	s_branch .LBB22_1551
.LBB22_1483:
	s_mov_b32 s22, 0
.LBB22_1484:
	s_delay_alu instid0(SALU_CYCLE_1)
	s_and_b32 vcc_lo, exec_lo, s22
	s_cbranch_vccz .LBB22_1489
; %bb.1485:
	s_cmp_eq_u32 s21, 44
	s_mov_b32 s0, -1
	s_cbranch_scc0 .LBB22_1489
; %bb.1486:
	v_cvt_f32_ubyte0_e32 v5, v1
	v_mov_b32_e32 v4, 0xff
	s_mov_b32 s22, exec_lo
	s_wait_xcnt 0x0
	s_delay_alu instid0(VALU_DEP_2) | instskip(NEXT) | instid1(VALU_DEP_1)
	v_lshrrev_b32_e32 v0, 23, v5
	v_cmpx_ne_u32_e32 0xff, v0
; %bb.1487:
	v_and_b32_e32 v4, 0x400000, v5
	v_and_or_b32 v5, 0x3fffff, v5, v0
	s_delay_alu instid0(VALU_DEP_2) | instskip(NEXT) | instid1(VALU_DEP_2)
	v_cmp_ne_u32_e32 vcc_lo, 0, v4
	v_cmp_ne_u32_e64 s0, 0, v5
	s_and_b32 s0, vcc_lo, s0
	s_delay_alu instid0(SALU_CYCLE_1) | instskip(NEXT) | instid1(VALU_DEP_1)
	v_cndmask_b32_e64 v4, 0, 1, s0
	v_add_nc_u32_e32 v4, v0, v4
; %bb.1488:
	s_or_b32 exec_lo, exec_lo, s22
	s_mov_b32 s0, 0
	global_store_b8 v[2:3], v4, off
.LBB22_1489:
	s_mov_b32 s22, 0
.LBB22_1490:
	s_delay_alu instid0(SALU_CYCLE_1)
	s_and_b32 vcc_lo, exec_lo, s22
	s_cbranch_vccz .LBB22_1493
; %bb.1491:
	s_cmp_eq_u32 s21, 29
	s_mov_b32 s0, -1
	s_cbranch_scc0 .LBB22_1493
; %bb.1492:
	s_wait_xcnt 0x0
	v_and_b32_e32 v4, 0xff, v1
	v_mov_b32_e32 v5, 0
	s_mov_b32 s0, 0
	s_mov_b32 s22, 0
	global_store_b64 v[2:3], v[4:5], off
	s_branch .LBB22_1494
.LBB22_1493:
	s_mov_b32 s22, 0
.LBB22_1494:
	s_delay_alu instid0(SALU_CYCLE_1)
	s_and_b32 vcc_lo, exec_lo, s22
	s_cbranch_vccz .LBB22_1509
; %bb.1495:
	s_cmp_lt_i32 s21, 27
	s_mov_b32 s22, -1
	s_cbranch_scc1 .LBB22_1501
; %bb.1496:
	s_wait_xcnt 0x0
	v_and_b32_e32 v0, 0xff, v1
	s_cmp_gt_i32 s21, 27
	s_cbranch_scc0 .LBB22_1498
; %bb.1497:
	s_mov_b32 s22, 0
	global_store_b32 v[2:3], v0, off
.LBB22_1498:
	s_and_not1_b32 vcc_lo, exec_lo, s22
	s_cbranch_vccnz .LBB22_1500
; %bb.1499:
	global_store_b16 v[2:3], v0, off
.LBB22_1500:
	s_mov_b32 s22, 0
.LBB22_1501:
	s_delay_alu instid0(SALU_CYCLE_1)
	s_and_not1_b32 vcc_lo, exec_lo, s22
	s_cbranch_vccnz .LBB22_1509
; %bb.1502:
	s_wait_xcnt 0x0
	v_cvt_f32_ubyte0_e32 v4, v1
	v_mov_b32_e32 v5, 0x80
	s_mov_b32 s22, exec_lo
	s_delay_alu instid0(VALU_DEP_2)
	v_cmpx_gt_u32_e32 0x43800000, v4
	s_cbranch_execz .LBB22_1508
; %bb.1503:
	s_mov_b32 s23, 0
	s_mov_b32 s24, exec_lo
                                        ; implicit-def: $vgpr0
	v_cmpx_lt_u32_e32 0x3bffffff, v4
	s_xor_b32 s24, exec_lo, s24
	s_cbranch_execz .LBB22_1623
; %bb.1504:
	v_bfe_u32 v0, v4, 20, 1
	s_mov_b32 s23, exec_lo
	s_delay_alu instid0(VALU_DEP_1) | instskip(NEXT) | instid1(VALU_DEP_1)
	v_add3_u32 v0, v4, v0, 0x487ffff
                                        ; implicit-def: $vgpr4
	v_lshrrev_b32_e32 v0, 20, v0
	s_and_not1_saveexec_b32 s24, s24
	s_cbranch_execnz .LBB22_1624
.LBB22_1505:
	s_or_b32 exec_lo, exec_lo, s24
	v_mov_b32_e32 v5, 0
	s_and_saveexec_b32 s24, s23
.LBB22_1506:
	v_mov_b32_e32 v5, v0
.LBB22_1507:
	s_or_b32 exec_lo, exec_lo, s24
.LBB22_1508:
	s_delay_alu instid0(SALU_CYCLE_1)
	s_or_b32 exec_lo, exec_lo, s22
	global_store_b8 v[2:3], v5, off
.LBB22_1509:
	s_mov_b32 s22, 0
.LBB22_1510:
	s_delay_alu instid0(SALU_CYCLE_1)
	s_and_b32 vcc_lo, exec_lo, s22
	s_mov_b32 s22, 0
	s_cbranch_vccz .LBB22_1550
; %bb.1511:
	s_cmp_gt_i32 s21, 22
	s_mov_b32 s23, -1
	s_cbranch_scc0 .LBB22_1543
; %bb.1512:
	s_cmp_lt_i32 s21, 24
	s_cbranch_scc1 .LBB22_1532
; %bb.1513:
	s_cmp_gt_i32 s21, 24
	s_cbranch_scc0 .LBB22_1521
; %bb.1514:
	s_wait_xcnt 0x0
	v_cvt_f32_ubyte0_e32 v4, v1
	v_mov_b32_e32 v5, 0x80
	s_mov_b32 s23, exec_lo
	s_delay_alu instid0(VALU_DEP_2)
	v_cmpx_gt_u32_e32 0x47800000, v4
	s_cbranch_execz .LBB22_1520
; %bb.1515:
	s_mov_b32 s24, 0
	s_mov_b32 s25, exec_lo
                                        ; implicit-def: $vgpr0
	v_cmpx_lt_u32_e32 0x37ffffff, v4
	s_xor_b32 s25, exec_lo, s25
	s_cbranch_execz .LBB22_1626
; %bb.1516:
	v_bfe_u32 v0, v4, 21, 1
	s_mov_b32 s24, exec_lo
	s_delay_alu instid0(VALU_DEP_1) | instskip(NEXT) | instid1(VALU_DEP_1)
	v_add3_u32 v0, v4, v0, 0x88fffff
                                        ; implicit-def: $vgpr4
	v_lshrrev_b32_e32 v0, 21, v0
	s_and_not1_saveexec_b32 s25, s25
	s_cbranch_execnz .LBB22_1627
.LBB22_1517:
	s_or_b32 exec_lo, exec_lo, s25
	v_mov_b32_e32 v5, 0
	s_and_saveexec_b32 s25, s24
.LBB22_1518:
	v_mov_b32_e32 v5, v0
.LBB22_1519:
	s_or_b32 exec_lo, exec_lo, s25
.LBB22_1520:
	s_delay_alu instid0(SALU_CYCLE_1)
	s_or_b32 exec_lo, exec_lo, s23
	s_mov_b32 s23, 0
	global_store_b8 v[2:3], v5, off
.LBB22_1521:
	s_and_b32 vcc_lo, exec_lo, s23
	s_cbranch_vccz .LBB22_1531
; %bb.1522:
	s_wait_xcnt 0x0
	v_cvt_f32_ubyte0_e32 v4, v1
	s_mov_b32 s23, exec_lo
                                        ; implicit-def: $vgpr0
	s_delay_alu instid0(VALU_DEP_1)
	v_cmpx_gt_u32_e32 0x43f00000, v4
	s_xor_b32 s23, exec_lo, s23
	s_cbranch_execz .LBB22_1528
; %bb.1523:
	s_mov_b32 s24, exec_lo
                                        ; implicit-def: $vgpr0
	v_cmpx_lt_u32_e32 0x3c7fffff, v4
	s_xor_b32 s24, exec_lo, s24
; %bb.1524:
	v_bfe_u32 v0, v4, 20, 1
	s_delay_alu instid0(VALU_DEP_1) | instskip(NEXT) | instid1(VALU_DEP_1)
	v_add3_u32 v0, v4, v0, 0x407ffff
	v_and_b32_e32 v4, 0xff00000, v0
	v_lshrrev_b32_e32 v0, 20, v0
	s_delay_alu instid0(VALU_DEP_2) | instskip(NEXT) | instid1(VALU_DEP_2)
	v_cmp_ne_u32_e32 vcc_lo, 0x7f00000, v4
                                        ; implicit-def: $vgpr4
	v_cndmask_b32_e32 v0, 0x7e, v0, vcc_lo
; %bb.1525:
	s_and_not1_saveexec_b32 s24, s24
; %bb.1526:
	v_add_f32_e32 v0, 0x46800000, v4
; %bb.1527:
	s_or_b32 exec_lo, exec_lo, s24
                                        ; implicit-def: $vgpr4
.LBB22_1528:
	s_and_not1_saveexec_b32 s23, s23
; %bb.1529:
	v_mov_b32_e32 v0, 0x7f
	v_cmp_lt_u32_e32 vcc_lo, 0x7f800000, v4
	s_delay_alu instid0(VALU_DEP_2)
	v_cndmask_b32_e32 v0, 0x7e, v0, vcc_lo
; %bb.1530:
	s_or_b32 exec_lo, exec_lo, s23
	global_store_b8 v[2:3], v0, off
.LBB22_1531:
	s_mov_b32 s23, 0
.LBB22_1532:
	s_delay_alu instid0(SALU_CYCLE_1)
	s_and_not1_b32 vcc_lo, exec_lo, s23
	s_cbranch_vccnz .LBB22_1542
; %bb.1533:
	s_wait_xcnt 0x0
	v_cvt_f32_ubyte0_e32 v4, v1
	s_mov_b32 s23, exec_lo
                                        ; implicit-def: $vgpr0
	s_delay_alu instid0(VALU_DEP_1)
	v_cmpx_gt_u32_e32 0x47800000, v4
	s_xor_b32 s23, exec_lo, s23
	s_cbranch_execz .LBB22_1539
; %bb.1534:
	s_mov_b32 s24, exec_lo
                                        ; implicit-def: $vgpr0
	v_cmpx_lt_u32_e32 0x387fffff, v4
	s_xor_b32 s24, exec_lo, s24
; %bb.1535:
	v_bfe_u32 v0, v4, 21, 1
	s_delay_alu instid0(VALU_DEP_1) | instskip(NEXT) | instid1(VALU_DEP_1)
	v_add3_u32 v0, v4, v0, 0x80fffff
                                        ; implicit-def: $vgpr4
	v_lshrrev_b32_e32 v0, 21, v0
; %bb.1536:
	s_and_not1_saveexec_b32 s24, s24
; %bb.1537:
	v_add_f32_e32 v0, 0x43000000, v4
; %bb.1538:
	s_or_b32 exec_lo, exec_lo, s24
                                        ; implicit-def: $vgpr4
.LBB22_1539:
	s_and_not1_saveexec_b32 s23, s23
; %bb.1540:
	v_mov_b32_e32 v0, 0x7f
	v_cmp_lt_u32_e32 vcc_lo, 0x7f800000, v4
	s_delay_alu instid0(VALU_DEP_2)
	v_cndmask_b32_e32 v0, 0x7c, v0, vcc_lo
; %bb.1541:
	s_or_b32 exec_lo, exec_lo, s23
	global_store_b8 v[2:3], v0, off
.LBB22_1542:
	s_mov_b32 s23, 0
.LBB22_1543:
	s_delay_alu instid0(SALU_CYCLE_1)
	s_and_not1_b32 vcc_lo, exec_lo, s23
	s_mov_b32 s23, 0
	s_cbranch_vccnz .LBB22_1551
; %bb.1544:
	s_cmp_gt_i32 s21, 14
	s_mov_b32 s23, -1
	s_cbranch_scc0 .LBB22_1548
; %bb.1545:
	s_cmp_eq_u32 s21, 15
	s_mov_b32 s0, -1
	s_cbranch_scc0 .LBB22_1547
; %bb.1546:
	s_wait_xcnt 0x0
	v_cvt_f32_ubyte0_e32 v0, v1
	s_mov_b32 s0, 0
	s_delay_alu instid0(VALU_DEP_1) | instskip(NEXT) | instid1(VALU_DEP_1)
	v_bfe_u32 v4, v0, 16, 1
	v_add3_u32 v0, v0, v4, 0x7fff
	global_store_d16_hi_b16 v[2:3], v0, off
.LBB22_1547:
	s_mov_b32 s23, 0
.LBB22_1548:
	s_delay_alu instid0(SALU_CYCLE_1)
	s_and_b32 vcc_lo, exec_lo, s23
	s_mov_b32 s23, 0
	s_cbranch_vccz .LBB22_1551
; %bb.1549:
	s_cmp_lg_u32 s21, 11
	s_mov_b32 s23, -1
	s_cselect_b32 s21, -1, 0
	s_and_not1_b32 s0, s0, exec_lo
	s_and_b32 s21, s21, exec_lo
	s_delay_alu instid0(SALU_CYCLE_1)
	s_or_b32 s0, s0, s21
	s_branch .LBB22_1551
.LBB22_1550:
	s_mov_b32 s23, 0
.LBB22_1551:
	s_and_not1_b32 s17, s17, exec_lo
	s_and_b32 s21, s0, exec_lo
	s_and_b32 s22, s22, exec_lo
	;; [unrolled: 1-line block ×3, first 2 shown]
	s_or_b32 s17, s17, s21
	s_wait_xcnt 0x0
	s_or_b32 exec_lo, exec_lo, s20
	s_and_saveexec_b32 s20, s17
	s_cbranch_execz .LBB22_1480
.LBB22_1552:
	s_or_b32 s18, s18, exec_lo
	s_and_not1_b32 s0, s0, exec_lo
	s_trap 2
	s_or_b32 exec_lo, exec_lo, s20
	s_and_saveexec_b32 s17, s0
	s_delay_alu instid0(SALU_CYCLE_1)
	s_xor_b32 s0, exec_lo, s17
	s_cbranch_execnz .LBB22_1481
.LBB22_1553:
	s_or_b32 exec_lo, exec_lo, s0
	s_and_saveexec_b32 s0, s22
	s_delay_alu instid0(SALU_CYCLE_1)
	s_xor_b32 s0, exec_lo, s0
	s_cbranch_execz .LBB22_1591
.LBB22_1554:
	s_sext_i32_i16 s20, s19
	s_mov_b32 s17, -1
	s_cmp_lt_i32 s20, 5
	s_cbranch_scc1 .LBB22_1575
; %bb.1555:
	s_cmp_lt_i32 s20, 8
	s_cbranch_scc1 .LBB22_1565
; %bb.1556:
	;; [unrolled: 3-line block ×3, first 2 shown]
	s_cmp_gt_i32 s20, 9
	s_cbranch_scc0 .LBB22_1559
; %bb.1558:
	s_wait_loadcnt 0x0
	v_and_b32_e32 v0, 0xff, v1
	v_mov_b32_e32 v6, 0
	s_mov_b32 s17, 0
	s_delay_alu instid0(VALU_DEP_2) | instskip(NEXT) | instid1(VALU_DEP_2)
	v_and_b32_e32 v0, 0xffff, v0
	v_mov_b32_e32 v7, v6
	s_delay_alu instid0(VALU_DEP_2)
	v_cvt_f64_u32_e32 v[4:5], v0
	global_store_b128 v[2:3], v[4:7], off
.LBB22_1559:
	s_and_not1_b32 vcc_lo, exec_lo, s17
	s_cbranch_vccnz .LBB22_1561
; %bb.1560:
	s_wait_loadcnt 0x0
	v_cvt_f32_ubyte0_e32 v4, v1
	v_mov_b32_e32 v5, 0
	global_store_b64 v[2:3], v[4:5], off
.LBB22_1561:
	s_mov_b32 s17, 0
.LBB22_1562:
	s_delay_alu instid0(SALU_CYCLE_1)
	s_and_not1_b32 vcc_lo, exec_lo, s17
	s_cbranch_vccnz .LBB22_1564
; %bb.1563:
	s_wait_loadcnt 0x0
	v_and_b32_e32 v0, 0xff, v1
	s_delay_alu instid0(VALU_DEP_1) | instskip(NEXT) | instid1(VALU_DEP_1)
	v_cvt_f16_u16_e32 v0, v0
	v_and_b32_e32 v0, 0xffff, v0
	global_store_b32 v[2:3], v0, off
.LBB22_1564:
	s_mov_b32 s17, 0
.LBB22_1565:
	s_delay_alu instid0(SALU_CYCLE_1)
	s_and_not1_b32 vcc_lo, exec_lo, s17
	s_cbranch_vccnz .LBB22_1574
; %bb.1566:
	s_sext_i32_i16 s20, s19
	s_mov_b32 s17, -1
	s_cmp_lt_i32 s20, 6
	s_cbranch_scc1 .LBB22_1572
; %bb.1567:
	s_cmp_gt_i32 s20, 6
	s_cbranch_scc0 .LBB22_1569
; %bb.1568:
	s_wait_loadcnt 0x0
	v_and_b32_e32 v0, 0xff, v1
	s_mov_b32 s17, 0
	s_delay_alu instid0(VALU_DEP_1) | instskip(NEXT) | instid1(VALU_DEP_1)
	v_and_b32_e32 v0, 0xffff, v0
	v_cvt_f64_u32_e32 v[4:5], v0
	global_store_b64 v[2:3], v[4:5], off
.LBB22_1569:
	s_and_not1_b32 vcc_lo, exec_lo, s17
	s_cbranch_vccnz .LBB22_1571
; %bb.1570:
	s_wait_loadcnt 0x0
	v_cvt_f32_ubyte0_e32 v0, v1
	global_store_b32 v[2:3], v0, off
.LBB22_1571:
	s_mov_b32 s17, 0
.LBB22_1572:
	s_delay_alu instid0(SALU_CYCLE_1)
	s_and_not1_b32 vcc_lo, exec_lo, s17
	s_cbranch_vccnz .LBB22_1574
; %bb.1573:
	s_wait_loadcnt 0x0
	v_and_b32_e32 v0, 0xff, v1
	s_delay_alu instid0(VALU_DEP_1)
	v_cvt_f16_u16_e32 v0, v0
	global_store_b16 v[2:3], v0, off
.LBB22_1574:
	s_mov_b32 s17, 0
.LBB22_1575:
	s_delay_alu instid0(SALU_CYCLE_1)
	s_and_not1_b32 vcc_lo, exec_lo, s17
	s_cbranch_vccnz .LBB22_1591
; %bb.1576:
	s_sext_i32_i16 s20, s19
	s_mov_b32 s17, -1
	s_cmp_lt_i32 s20, 2
	s_cbranch_scc1 .LBB22_1586
; %bb.1577:
	s_cmp_lt_i32 s20, 3
	s_cbranch_scc1 .LBB22_1583
; %bb.1578:
	s_cmp_gt_i32 s20, 3
	s_cbranch_scc0 .LBB22_1580
; %bb.1579:
	s_wait_loadcnt 0x0
	v_and_b32_e32 v4, 0xff, v1
	v_mov_b32_e32 v5, 0
	s_mov_b32 s17, 0
	global_store_b64 v[2:3], v[4:5], off
.LBB22_1580:
	s_and_not1_b32 vcc_lo, exec_lo, s17
	s_cbranch_vccnz .LBB22_1582
; %bb.1581:
	s_wait_loadcnt 0x0
	v_and_b32_e32 v0, 0xff, v1
	global_store_b32 v[2:3], v0, off
.LBB22_1582:
	s_mov_b32 s17, 0
.LBB22_1583:
	s_delay_alu instid0(SALU_CYCLE_1)
	s_and_not1_b32 vcc_lo, exec_lo, s17
	s_cbranch_vccnz .LBB22_1585
; %bb.1584:
	s_wait_loadcnt 0x0
	v_and_b32_e32 v0, 0xff, v1
	global_store_b16 v[2:3], v0, off
.LBB22_1585:
	s_mov_b32 s17, 0
.LBB22_1586:
	s_delay_alu instid0(SALU_CYCLE_1)
	s_and_not1_b32 vcc_lo, exec_lo, s17
	s_cbranch_vccnz .LBB22_1591
; %bb.1587:
	s_sext_i32_i16 s17, s19
	s_delay_alu instid0(SALU_CYCLE_1)
	s_cmp_gt_i32 s17, 0
	s_mov_b32 s17, -1
	s_cbranch_scc0 .LBB22_1589
; %bb.1588:
	s_mov_b32 s17, 0
	s_wait_loadcnt 0x0
	global_store_b8 v[2:3], v1, off
.LBB22_1589:
	s_and_not1_b32 vcc_lo, exec_lo, s17
	s_cbranch_vccnz .LBB22_1591
; %bb.1590:
	s_wait_loadcnt 0x0
	global_store_b8 v[2:3], v1, off
.LBB22_1591:
	s_wait_xcnt 0x0
	s_or_b32 exec_lo, exec_lo, s0
	s_delay_alu instid0(SALU_CYCLE_1)
	s_and_b32 s17, s18, exec_lo
                                        ; implicit-def: $vgpr18
.LBB22_1592:
	s_or_saveexec_b32 s16, s16
	s_mov_b32 s0, 0
                                        ; implicit-def: $sgpr18
                                        ; implicit-def: $vgpr0_vgpr1
                                        ; implicit-def: $vgpr2
	s_xor_b32 exec_lo, exec_lo, s16
	s_cbranch_execz .LBB22_3128
; %bb.1593:
	s_and_b32 s15, s15, 0xff
	s_delay_alu instid0(SALU_CYCLE_1)
	s_cmp_lt_i32 s15, 23
	s_cbranch_scc1 .LBB22_1597
; %bb.1594:
	s_and_b32 s18, 0xffff, s15
	s_delay_alu instid0(SALU_CYCLE_1)
	s_cmp_gt_i32 s18, 43
	s_cbranch_scc0 .LBB22_1598
; %bb.1595:
	s_cmp_gt_i32 s18, 45
	s_cbranch_scc0 .LBB22_1599
; %bb.1596:
	s_cmp_lg_u32 s18, 46
	s_mov_b32 s0, -1
	s_cselect_b32 s13, -1, 0
	s_cbranch_execz .LBB22_1600
	s_branch .LBB22_1601
.LBB22_1597:
	s_cbranch_execnz .LBB22_1604
	s_branch .LBB22_1608
.LBB22_1598:
	s_cbranch_execnz .LBB22_1602
	s_branch .LBB22_1603
.LBB22_1599:
.LBB22_1600:
	s_cmp_eq_u32 s18, 44
	s_cselect_b32 s0, -1, 0
	s_cmp_lg_u32 s18, 44
	s_cselect_b32 s13, -1, 0
.LBB22_1601:
	s_branch .LBB22_1603
.LBB22_1602:
	s_cmp_lt_i32 s18, 30
	s_cselect_b32 s0, -1, 0
	s_cmp_gt_i32 s18, 29
	s_cselect_b32 s13, -1, 0
.LBB22_1603:
	s_branch .LBB22_1608
.LBB22_1604:
	s_and_b32 s18, 0xffff, s15
	s_mov_b32 s19, -1
	s_cmp_gt_i32 s18, 14
	s_cbranch_scc0 .LBB22_1606
; %bb.1605:
	s_cmp_eq_u32 s18, 15
	s_mov_b32 s19, 0
	s_cselect_b32 s0, -1, 0
	s_cmp_lg_u32 s18, 15
	s_cselect_b32 s13, -1, 0
.LBB22_1606:
	s_and_not1_b32 vcc_lo, exec_lo, s19
	s_cbranch_vccnz .LBB22_1608
; %bb.1607:
	s_cmp_lt_i32 s18, 12
	s_cselect_b32 s0, -1, 0
	s_cmp_gt_i32 s18, 11
	s_cselect_b32 s13, -1, 0
.LBB22_1608:
	s_delay_alu instid0(SALU_CYCLE_1)
	s_and_b32 vcc_lo, exec_lo, s13
	s_mov_b32 s13, s17
	s_cbranch_vccnz .LBB22_1621
; %bb.1609:
	s_and_not1_b32 vcc_lo, exec_lo, s0
	s_cbranch_vccnz .LBB22_3126
.LBB22_1610:
	s_wait_loadcnt 0x0
	v_mul_lo_u32 v4, s4, v18
	s_and_b32 s0, s12, 0xff
	s_delay_alu instid0(SALU_CYCLE_1) | instskip(NEXT) | instid1(VALU_DEP_1)
	s_cmp_lt_i32 s0, 11
	v_ashrrev_i32_e32 v5, 31, v4
	s_delay_alu instid0(VALU_DEP_1)
	v_add_nc_u64_e32 v[2:3], s[8:9], v[4:5]
	s_cbranch_scc1 .LBB22_1617
; %bb.1611:
	s_and_b32 s12, 0xffff, s0
	s_mov_b32 s19, 0
	s_cmp_gt_i32 s12, 25
	s_cbranch_scc0 .LBB22_1619
; %bb.1612:
	s_cmp_gt_i32 s12, 28
	s_cbranch_scc0 .LBB22_1620
; %bb.1613:
	;; [unrolled: 3-line block ×4, first 2 shown]
	s_cmp_eq_u32 s12, 46
	s_mov_b32 s21, 0
	s_cbranch_scc0 .LBB22_1628
; %bb.1616:
	global_load_b32 v0, v[2:3], off
	s_mov_b32 s18, 0
	s_mov_b32 s20, -1
	s_wait_loadcnt 0x0
	v_lshlrev_b32_e32 v0, 16, v0
	s_delay_alu instid0(VALU_DEP_1) | instskip(NEXT) | instid1(VALU_DEP_1)
	v_trunc_f32_e32 v0, v0
	v_mul_f32_e64 v1, 0x2f800000, |v0|
	s_delay_alu instid0(VALU_DEP_1) | instskip(NEXT) | instid1(VALU_DEP_1)
	v_floor_f32_e32 v1, v1
	v_fma_f32 v1, 0xcf800000, v1, |v0|
	v_ashrrev_i32_e32 v0, 31, v0
	s_delay_alu instid0(VALU_DEP_2) | instskip(NEXT) | instid1(VALU_DEP_1)
	v_cvt_u32_f32_e32 v1, v1
	v_xor_b32_e32 v1, v1, v0
	s_delay_alu instid0(VALU_DEP_1)
	v_sub_nc_u32_e32 v0, v1, v0
	s_branch .LBB22_1630
.LBB22_1617:
	s_mov_b32 s20, 0
                                        ; implicit-def: $vgpr0
	s_cbranch_execnz .LBB22_1691
.LBB22_1618:
	s_and_not1_b32 vcc_lo, exec_lo, s20
	s_cbranch_vccz .LBB22_1738
	s_branch .LBB22_3126
.LBB22_1619:
	s_mov_b32 s20, 0
	s_mov_b32 s18, 0
                                        ; implicit-def: $vgpr0
	s_cbranch_execnz .LBB22_1657
	s_branch .LBB22_1687
.LBB22_1620:
	s_mov_b32 s21, -1
	s_mov_b32 s20, 0
	s_mov_b32 s18, 0
                                        ; implicit-def: $vgpr0
	s_branch .LBB22_1640
.LBB22_1621:
	s_or_b32 s13, s17, exec_lo
	s_trap 2
	s_cbranch_execz .LBB22_1610
	s_branch .LBB22_3126
.LBB22_1622:
	s_mov_b32 s21, -1
	s_mov_b32 s20, 0
	s_mov_b32 s18, 0
                                        ; implicit-def: $vgpr0
	s_branch .LBB22_1635
.LBB22_1623:
	s_and_not1_saveexec_b32 s24, s24
	s_cbranch_execz .LBB22_1505
.LBB22_1624:
	v_add_f32_e32 v0, 0x46000000, v4
	s_and_not1_b32 s23, s23, exec_lo
	s_delay_alu instid0(VALU_DEP_1) | instskip(NEXT) | instid1(VALU_DEP_1)
	v_and_b32_e32 v0, 0xff, v0
	v_cmp_ne_u32_e32 vcc_lo, 0, v0
	s_and_b32 s25, vcc_lo, exec_lo
	s_delay_alu instid0(SALU_CYCLE_1)
	s_or_b32 s23, s23, s25
	s_or_b32 exec_lo, exec_lo, s24
	v_mov_b32_e32 v5, 0
	s_and_saveexec_b32 s24, s23
	s_cbranch_execnz .LBB22_1506
	s_branch .LBB22_1507
.LBB22_1625:
	s_mov_b32 s21, -1
	s_mov_b32 s20, 0
	s_mov_b32 s18, 0
	s_branch .LBB22_1629
.LBB22_1626:
	s_and_not1_saveexec_b32 s25, s25
	s_cbranch_execz .LBB22_1517
.LBB22_1627:
	v_add_f32_e32 v0, 0x42800000, v4
	s_and_not1_b32 s24, s24, exec_lo
	s_delay_alu instid0(VALU_DEP_1) | instskip(NEXT) | instid1(VALU_DEP_1)
	v_and_b32_e32 v0, 0xff, v0
	v_cmp_ne_u32_e32 vcc_lo, 0, v0
	s_and_b32 s26, vcc_lo, exec_lo
	s_delay_alu instid0(SALU_CYCLE_1)
	s_or_b32 s24, s24, s26
	s_or_b32 exec_lo, exec_lo, s25
	v_mov_b32_e32 v5, 0
	s_and_saveexec_b32 s25, s24
	s_cbranch_execnz .LBB22_1518
	s_branch .LBB22_1519
.LBB22_1628:
	s_mov_b32 s18, -1
	s_mov_b32 s20, 0
.LBB22_1629:
                                        ; implicit-def: $vgpr0
.LBB22_1630:
	s_and_b32 vcc_lo, exec_lo, s21
	s_cbranch_vccz .LBB22_1634
; %bb.1631:
	s_cmp_eq_u32 s12, 44
	s_cbranch_scc0 .LBB22_1633
; %bb.1632:
	global_load_u8 v0, v[2:3], off
	s_mov_b32 s18, 0
	s_mov_b32 s20, -1
	s_wait_loadcnt 0x0
	v_lshlrev_b32_e32 v1, 23, v0
	v_cmp_ne_u32_e32 vcc_lo, 0, v0
	s_delay_alu instid0(VALU_DEP_2) | instskip(NEXT) | instid1(VALU_DEP_1)
	v_trunc_f32_e32 v1, v1
	v_mul_f32_e64 v5, 0x2f800000, |v1|
	s_delay_alu instid0(VALU_DEP_1) | instskip(NEXT) | instid1(VALU_DEP_1)
	v_floor_f32_e32 v5, v5
	v_fma_f32 v5, 0xcf800000, v5, |v1|
	v_ashrrev_i32_e32 v1, 31, v1
	s_delay_alu instid0(VALU_DEP_2) | instskip(NEXT) | instid1(VALU_DEP_1)
	v_cvt_u32_f32_e32 v5, v5
	v_xor_b32_e32 v5, v5, v1
	s_delay_alu instid0(VALU_DEP_1) | instskip(NEXT) | instid1(VALU_DEP_1)
	v_sub_nc_u32_e32 v1, v5, v1
	v_cndmask_b32_e32 v0, 0, v1, vcc_lo
	s_branch .LBB22_1634
.LBB22_1633:
	s_mov_b32 s18, -1
                                        ; implicit-def: $vgpr0
.LBB22_1634:
	s_mov_b32 s21, 0
.LBB22_1635:
	s_delay_alu instid0(SALU_CYCLE_1)
	s_and_b32 vcc_lo, exec_lo, s21
	s_cbranch_vccz .LBB22_1639
; %bb.1636:
	s_cmp_eq_u32 s12, 29
	s_cbranch_scc0 .LBB22_1638
; %bb.1637:
	global_load_b64 v[0:1], v[2:3], off
	s_mov_b32 s18, 0
	s_mov_b32 s20, -1
	s_branch .LBB22_1639
.LBB22_1638:
	s_mov_b32 s18, -1
                                        ; implicit-def: $vgpr0
.LBB22_1639:
	s_mov_b32 s21, 0
.LBB22_1640:
	s_delay_alu instid0(SALU_CYCLE_1)
	s_and_b32 vcc_lo, exec_lo, s21
	s_cbranch_vccz .LBB22_1656
; %bb.1641:
	s_cmp_lt_i32 s12, 27
	s_cbranch_scc1 .LBB22_1644
; %bb.1642:
	s_cmp_gt_i32 s12, 27
	s_cbranch_scc0 .LBB22_1645
; %bb.1643:
	s_wait_loadcnt 0x0
	global_load_b32 v0, v[2:3], off
	s_mov_b32 s20, 0
	s_branch .LBB22_1646
.LBB22_1644:
	s_mov_b32 s20, -1
                                        ; implicit-def: $vgpr0
	s_branch .LBB22_1649
.LBB22_1645:
	s_mov_b32 s20, -1
                                        ; implicit-def: $vgpr0
.LBB22_1646:
	s_delay_alu instid0(SALU_CYCLE_1)
	s_and_not1_b32 vcc_lo, exec_lo, s20
	s_cbranch_vccnz .LBB22_1648
; %bb.1647:
	s_wait_loadcnt 0x0
	global_load_u16 v0, v[2:3], off
.LBB22_1648:
	s_mov_b32 s20, 0
.LBB22_1649:
	s_delay_alu instid0(SALU_CYCLE_1)
	s_and_not1_b32 vcc_lo, exec_lo, s20
	s_cbranch_vccnz .LBB22_1655
; %bb.1650:
	s_wait_loadcnt 0x0
	global_load_u8 v1, v[2:3], off
	s_mov_b32 s21, 0
	s_mov_b32 s20, exec_lo
	s_wait_loadcnt 0x0
	v_cmpx_lt_i16_e32 0x7f, v1
	s_xor_b32 s20, exec_lo, s20
	s_cbranch_execz .LBB22_1666
; %bb.1651:
	v_cmp_ne_u16_e32 vcc_lo, 0x80, v1
	s_and_b32 s21, vcc_lo, exec_lo
	s_and_not1_saveexec_b32 s20, s20
	s_cbranch_execnz .LBB22_1667
.LBB22_1652:
	s_or_b32 exec_lo, exec_lo, s20
	v_mov_b32_e32 v0, 0
	s_and_saveexec_b32 s20, s21
	s_cbranch_execz .LBB22_1654
.LBB22_1653:
	v_and_b32_e32 v0, 0xffff, v1
	s_delay_alu instid0(VALU_DEP_1) | instskip(SKIP_1) | instid1(VALU_DEP_2)
	v_and_b32_e32 v5, 7, v0
	v_bfe_u32 v8, v0, 3, 4
	v_clz_i32_u32_e32 v6, v5
	s_delay_alu instid0(VALU_DEP_2) | instskip(NEXT) | instid1(VALU_DEP_2)
	v_cmp_eq_u32_e32 vcc_lo, 0, v8
	v_min_u32_e32 v6, 32, v6
	s_delay_alu instid0(VALU_DEP_1) | instskip(NEXT) | instid1(VALU_DEP_1)
	v_subrev_nc_u32_e32 v7, 28, v6
	v_dual_lshlrev_b32 v0, v7, v0 :: v_dual_sub_nc_u32 v6, 29, v6
	s_delay_alu instid0(VALU_DEP_1) | instskip(NEXT) | instid1(VALU_DEP_1)
	v_dual_lshlrev_b32 v1, 24, v1 :: v_dual_bitop2_b32 v0, 7, v0 bitop3:0x40
	v_dual_cndmask_b32 v6, v8, v6, vcc_lo :: v_dual_cndmask_b32 v0, v5, v0, vcc_lo
	s_delay_alu instid0(VALU_DEP_2) | instskip(NEXT) | instid1(VALU_DEP_2)
	v_and_b32_e32 v1, 0x80000000, v1
	v_lshl_add_u32 v5, v6, 23, 0x3b800000
	s_delay_alu instid0(VALU_DEP_3) | instskip(NEXT) | instid1(VALU_DEP_1)
	v_lshlrev_b32_e32 v0, 20, v0
	v_or3_b32 v0, v1, v5, v0
	s_delay_alu instid0(VALU_DEP_1) | instskip(NEXT) | instid1(VALU_DEP_1)
	v_trunc_f32_e32 v0, v0
	v_mul_f32_e64 v1, 0x2f800000, |v0|
	s_delay_alu instid0(VALU_DEP_1) | instskip(NEXT) | instid1(VALU_DEP_1)
	v_floor_f32_e32 v1, v1
	v_fma_f32 v1, 0xcf800000, v1, |v0|
	v_ashrrev_i32_e32 v0, 31, v0
	s_delay_alu instid0(VALU_DEP_2) | instskip(NEXT) | instid1(VALU_DEP_1)
	v_cvt_u32_f32_e32 v1, v1
	v_xor_b32_e32 v1, v1, v0
	s_delay_alu instid0(VALU_DEP_1)
	v_sub_nc_u32_e32 v0, v1, v0
.LBB22_1654:
	s_or_b32 exec_lo, exec_lo, s20
.LBB22_1655:
	s_mov_b32 s20, -1
.LBB22_1656:
	s_branch .LBB22_1687
.LBB22_1657:
	s_cmp_gt_i32 s12, 22
	s_cbranch_scc0 .LBB22_1665
; %bb.1658:
	s_cmp_lt_i32 s12, 24
	s_cbranch_scc1 .LBB22_1668
; %bb.1659:
	s_cmp_gt_i32 s12, 24
	s_cbranch_scc0 .LBB22_1669
; %bb.1660:
	s_wait_loadcnt 0x0
	global_load_u8 v1, v[2:3], off
	s_mov_b32 s20, 0
	s_mov_b32 s19, exec_lo
	s_wait_loadcnt 0x0
	v_cmpx_lt_i16_e32 0x7f, v1
	s_xor_b32 s19, exec_lo, s19
	s_cbranch_execz .LBB22_1681
; %bb.1661:
	v_cmp_ne_u16_e32 vcc_lo, 0x80, v1
	s_and_b32 s20, vcc_lo, exec_lo
	s_and_not1_saveexec_b32 s19, s19
	s_cbranch_execnz .LBB22_1682
.LBB22_1662:
	s_or_b32 exec_lo, exec_lo, s19
	v_mov_b32_e32 v0, 0
	s_and_saveexec_b32 s19, s20
	s_cbranch_execz .LBB22_1664
.LBB22_1663:
	v_and_b32_e32 v0, 0xffff, v1
	s_delay_alu instid0(VALU_DEP_1) | instskip(SKIP_1) | instid1(VALU_DEP_2)
	v_and_b32_e32 v5, 3, v0
	v_bfe_u32 v8, v0, 2, 5
	v_clz_i32_u32_e32 v6, v5
	s_delay_alu instid0(VALU_DEP_2) | instskip(NEXT) | instid1(VALU_DEP_2)
	v_cmp_eq_u32_e32 vcc_lo, 0, v8
	v_min_u32_e32 v6, 32, v6
	s_delay_alu instid0(VALU_DEP_1) | instskip(NEXT) | instid1(VALU_DEP_1)
	v_subrev_nc_u32_e32 v7, 29, v6
	v_dual_lshlrev_b32 v0, v7, v0 :: v_dual_sub_nc_u32 v6, 30, v6
	s_delay_alu instid0(VALU_DEP_1) | instskip(NEXT) | instid1(VALU_DEP_1)
	v_dual_lshlrev_b32 v1, 24, v1 :: v_dual_bitop2_b32 v0, 3, v0 bitop3:0x40
	v_dual_cndmask_b32 v6, v8, v6, vcc_lo :: v_dual_cndmask_b32 v0, v5, v0, vcc_lo
	s_delay_alu instid0(VALU_DEP_2) | instskip(NEXT) | instid1(VALU_DEP_2)
	v_and_b32_e32 v1, 0x80000000, v1
	v_lshl_add_u32 v5, v6, 23, 0x37800000
	s_delay_alu instid0(VALU_DEP_3) | instskip(NEXT) | instid1(VALU_DEP_1)
	v_lshlrev_b32_e32 v0, 21, v0
	v_or3_b32 v0, v1, v5, v0
	s_delay_alu instid0(VALU_DEP_1) | instskip(NEXT) | instid1(VALU_DEP_1)
	v_trunc_f32_e32 v0, v0
	v_mul_f32_e64 v1, 0x2f800000, |v0|
	s_delay_alu instid0(VALU_DEP_1) | instskip(NEXT) | instid1(VALU_DEP_1)
	v_floor_f32_e32 v1, v1
	v_fma_f32 v1, 0xcf800000, v1, |v0|
	v_ashrrev_i32_e32 v0, 31, v0
	s_delay_alu instid0(VALU_DEP_2) | instskip(NEXT) | instid1(VALU_DEP_1)
	v_cvt_u32_f32_e32 v1, v1
	v_xor_b32_e32 v1, v1, v0
	s_delay_alu instid0(VALU_DEP_1)
	v_sub_nc_u32_e32 v0, v1, v0
.LBB22_1664:
	s_or_b32 exec_lo, exec_lo, s19
	s_mov_b32 s19, 0
	s_branch .LBB22_1670
.LBB22_1665:
	s_mov_b32 s19, -1
                                        ; implicit-def: $vgpr0
	s_branch .LBB22_1676
.LBB22_1666:
	s_and_not1_saveexec_b32 s20, s20
	s_cbranch_execz .LBB22_1652
.LBB22_1667:
	v_cmp_ne_u16_e32 vcc_lo, 0, v1
	s_and_not1_b32 s21, s21, exec_lo
	s_and_b32 s22, vcc_lo, exec_lo
	s_delay_alu instid0(SALU_CYCLE_1)
	s_or_b32 s21, s21, s22
	s_or_b32 exec_lo, exec_lo, s20
	v_mov_b32_e32 v0, 0
	s_and_saveexec_b32 s20, s21
	s_cbranch_execnz .LBB22_1653
	s_branch .LBB22_1654
.LBB22_1668:
	s_mov_b32 s19, -1
                                        ; implicit-def: $vgpr0
	s_branch .LBB22_1673
.LBB22_1669:
	s_mov_b32 s19, -1
                                        ; implicit-def: $vgpr0
.LBB22_1670:
	s_delay_alu instid0(SALU_CYCLE_1)
	s_and_b32 vcc_lo, exec_lo, s19
	s_cbranch_vccz .LBB22_1672
; %bb.1671:
	s_wait_loadcnt 0x0
	global_load_u8 v0, v[2:3], off
	s_wait_loadcnt 0x0
	v_lshlrev_b32_e32 v0, 24, v0
	s_delay_alu instid0(VALU_DEP_1) | instskip(NEXT) | instid1(VALU_DEP_1)
	v_and_b32_e32 v1, 0x7f000000, v0
	v_clz_i32_u32_e32 v5, v1
	v_add_nc_u32_e32 v7, 0x1000000, v1
	v_cmp_ne_u32_e32 vcc_lo, 0, v1
	s_delay_alu instid0(VALU_DEP_3) | instskip(NEXT) | instid1(VALU_DEP_1)
	v_min_u32_e32 v5, 32, v5
	v_sub_nc_u32_e64 v5, v5, 4 clamp
	s_delay_alu instid0(VALU_DEP_1) | instskip(NEXT) | instid1(VALU_DEP_1)
	v_lshlrev_b32_e32 v6, v5, v1
	v_dual_lshlrev_b32 v5, 23, v5 :: v_dual_lshrrev_b32 v6, 4, v6
	s_delay_alu instid0(VALU_DEP_1) | instskip(NEXT) | instid1(VALU_DEP_1)
	v_dual_sub_nc_u32 v5, v6, v5 :: v_dual_ashrrev_i32 v6, 8, v7
	v_add_nc_u32_e32 v5, 0x3c000000, v5
	s_delay_alu instid0(VALU_DEP_1) | instskip(NEXT) | instid1(VALU_DEP_1)
	v_and_or_b32 v5, 0x7f800000, v6, v5
	v_cndmask_b32_e32 v1, 0, v5, vcc_lo
	s_delay_alu instid0(VALU_DEP_1) | instskip(NEXT) | instid1(VALU_DEP_1)
	v_and_or_b32 v0, 0x80000000, v0, v1
	v_trunc_f32_e32 v0, v0
	s_delay_alu instid0(VALU_DEP_1) | instskip(NEXT) | instid1(VALU_DEP_1)
	v_mul_f32_e64 v1, 0x2f800000, |v0|
	v_floor_f32_e32 v1, v1
	s_delay_alu instid0(VALU_DEP_1) | instskip(SKIP_1) | instid1(VALU_DEP_2)
	v_fma_f32 v1, 0xcf800000, v1, |v0|
	v_ashrrev_i32_e32 v0, 31, v0
	v_cvt_u32_f32_e32 v1, v1
	s_delay_alu instid0(VALU_DEP_1) | instskip(NEXT) | instid1(VALU_DEP_1)
	v_xor_b32_e32 v1, v1, v0
	v_sub_nc_u32_e32 v0, v1, v0
.LBB22_1672:
	s_mov_b32 s19, 0
.LBB22_1673:
	s_delay_alu instid0(SALU_CYCLE_1)
	s_and_not1_b32 vcc_lo, exec_lo, s19
	s_cbranch_vccnz .LBB22_1675
; %bb.1674:
	s_wait_loadcnt 0x0
	global_load_u8 v0, v[2:3], off
	s_wait_loadcnt 0x0
	v_lshlrev_b32_e32 v1, 25, v0
	v_lshlrev_b16 v0, 8, v0
	s_delay_alu instid0(VALU_DEP_1) | instskip(SKIP_1) | instid1(VALU_DEP_2)
	v_and_or_b32 v6, 0x7f00, v0, 0.5
	v_bfe_i32 v0, v0, 0, 16
	v_dual_add_f32 v6, -0.5, v6 :: v_dual_lshrrev_b32 v5, 4, v1
	v_cmp_gt_u32_e32 vcc_lo, 0x8000000, v1
	s_delay_alu instid0(VALU_DEP_2) | instskip(NEXT) | instid1(VALU_DEP_1)
	v_or_b32_e32 v5, 0x70000000, v5
	v_mul_f32_e32 v5, 0x7800000, v5
	s_delay_alu instid0(VALU_DEP_1) | instskip(NEXT) | instid1(VALU_DEP_1)
	v_cndmask_b32_e32 v1, v5, v6, vcc_lo
	v_and_or_b32 v0, 0x80000000, v0, v1
	s_delay_alu instid0(VALU_DEP_1) | instskip(NEXT) | instid1(VALU_DEP_1)
	v_trunc_f32_e32 v0, v0
	v_mul_f32_e64 v1, 0x2f800000, |v0|
	s_delay_alu instid0(VALU_DEP_1) | instskip(NEXT) | instid1(VALU_DEP_1)
	v_floor_f32_e32 v1, v1
	v_fma_f32 v1, 0xcf800000, v1, |v0|
	v_ashrrev_i32_e32 v0, 31, v0
	s_delay_alu instid0(VALU_DEP_2) | instskip(NEXT) | instid1(VALU_DEP_1)
	v_cvt_u32_f32_e32 v1, v1
	v_xor_b32_e32 v1, v1, v0
	s_delay_alu instid0(VALU_DEP_1)
	v_sub_nc_u32_e32 v0, v1, v0
.LBB22_1675:
	s_mov_b32 s19, 0
	s_mov_b32 s20, -1
.LBB22_1676:
	s_and_not1_b32 vcc_lo, exec_lo, s19
	s_mov_b32 s19, 0
	s_cbranch_vccnz .LBB22_1687
; %bb.1677:
	s_cmp_gt_i32 s12, 14
	s_cbranch_scc0 .LBB22_1680
; %bb.1678:
	s_cmp_eq_u32 s12, 15
	s_cbranch_scc0 .LBB22_1683
; %bb.1679:
	s_wait_loadcnt 0x0
	global_load_u16 v0, v[2:3], off
	s_mov_b32 s18, 0
	s_mov_b32 s20, -1
	s_wait_loadcnt 0x0
	v_lshlrev_b32_e32 v0, 16, v0
	s_delay_alu instid0(VALU_DEP_1) | instskip(NEXT) | instid1(VALU_DEP_1)
	v_trunc_f32_e32 v0, v0
	v_mul_f32_e64 v1, 0x2f800000, |v0|
	s_delay_alu instid0(VALU_DEP_1) | instskip(NEXT) | instid1(VALU_DEP_1)
	v_floor_f32_e32 v1, v1
	v_fma_f32 v1, 0xcf800000, v1, |v0|
	v_ashrrev_i32_e32 v0, 31, v0
	s_delay_alu instid0(VALU_DEP_2) | instskip(NEXT) | instid1(VALU_DEP_1)
	v_cvt_u32_f32_e32 v1, v1
	v_xor_b32_e32 v1, v1, v0
	s_delay_alu instid0(VALU_DEP_1)
	v_sub_nc_u32_e32 v0, v1, v0
	s_branch .LBB22_1685
.LBB22_1680:
	s_mov_b32 s19, -1
	s_branch .LBB22_1684
.LBB22_1681:
	s_and_not1_saveexec_b32 s19, s19
	s_cbranch_execz .LBB22_1662
.LBB22_1682:
	v_cmp_ne_u16_e32 vcc_lo, 0, v1
	s_and_not1_b32 s20, s20, exec_lo
	s_and_b32 s21, vcc_lo, exec_lo
	s_delay_alu instid0(SALU_CYCLE_1)
	s_or_b32 s20, s20, s21
	s_or_b32 exec_lo, exec_lo, s19
	v_mov_b32_e32 v0, 0
	s_and_saveexec_b32 s19, s20
	s_cbranch_execnz .LBB22_1663
	s_branch .LBB22_1664
.LBB22_1683:
	s_mov_b32 s18, -1
.LBB22_1684:
                                        ; implicit-def: $vgpr0
.LBB22_1685:
	s_and_b32 vcc_lo, exec_lo, s19
	s_mov_b32 s19, 0
	s_cbranch_vccz .LBB22_1687
; %bb.1686:
	s_cmp_lg_u32 s12, 11
	s_mov_b32 s19, -1
	s_cselect_b32 s18, -1, 0
.LBB22_1687:
	s_delay_alu instid0(SALU_CYCLE_1)
	s_and_b32 vcc_lo, exec_lo, s18
	s_cbranch_vccnz .LBB22_1750
; %bb.1688:
	s_and_not1_b32 vcc_lo, exec_lo, s19
	s_cbranch_vccnz .LBB22_1690
.LBB22_1689:
	s_wait_loadcnt 0x0
	global_load_u8 v0, v[2:3], off
	s_mov_b32 s20, -1
	s_wait_loadcnt 0x0
	v_cmp_ne_u16_e32 vcc_lo, 0, v0
	v_cndmask_b32_e64 v0, 0, 1, vcc_lo
.LBB22_1690:
	s_branch .LBB22_1618
.LBB22_1691:
	s_and_b32 s12, 0xffff, s0
	s_delay_alu instid0(SALU_CYCLE_1)
	s_cmp_lt_i32 s12, 5
	s_cbranch_scc1 .LBB22_1696
; %bb.1692:
	s_cmp_lt_i32 s12, 8
	s_cbranch_scc1 .LBB22_1697
; %bb.1693:
	;; [unrolled: 3-line block ×3, first 2 shown]
	s_cmp_gt_i32 s12, 9
	s_cbranch_scc0 .LBB22_1699
; %bb.1695:
	s_wait_loadcnt 0x0
	global_load_b64 v[0:1], v[2:3], off
	s_mov_b32 s18, 0
	s_wait_loadcnt 0x0
	v_trunc_f64_e32 v[0:1], v[0:1]
	s_delay_alu instid0(VALU_DEP_1) | instskip(NEXT) | instid1(VALU_DEP_1)
	v_ldexp_f64 v[6:7], v[0:1], 0xffffffe0
	v_floor_f64_e32 v[6:7], v[6:7]
	s_delay_alu instid0(VALU_DEP_1) | instskip(NEXT) | instid1(VALU_DEP_1)
	v_fmamk_f64 v[0:1], v[6:7], 0xc1f00000, v[0:1]
	v_cvt_u32_f64_e32 v0, v[0:1]
	s_branch .LBB22_1700
.LBB22_1696:
                                        ; implicit-def: $vgpr0
	s_branch .LBB22_1718
.LBB22_1697:
	s_mov_b32 s18, -1
                                        ; implicit-def: $vgpr0
	s_branch .LBB22_1706
.LBB22_1698:
	s_mov_b32 s18, -1
                                        ; implicit-def: $vgpr0
	s_branch .LBB22_1703
.LBB22_1699:
	s_mov_b32 s18, -1
                                        ; implicit-def: $vgpr0
.LBB22_1700:
	s_delay_alu instid0(SALU_CYCLE_1)
	s_and_not1_b32 vcc_lo, exec_lo, s18
	s_cbranch_vccnz .LBB22_1702
; %bb.1701:
	s_wait_loadcnt 0x0
	global_load_b32 v0, v[2:3], off
	s_wait_loadcnt 0x0
	v_trunc_f32_e32 v0, v0
	s_delay_alu instid0(VALU_DEP_1) | instskip(NEXT) | instid1(VALU_DEP_1)
	v_mul_f32_e64 v1, 0x2f800000, |v0|
	v_floor_f32_e32 v1, v1
	s_delay_alu instid0(VALU_DEP_1) | instskip(SKIP_1) | instid1(VALU_DEP_2)
	v_fma_f32 v1, 0xcf800000, v1, |v0|
	v_ashrrev_i32_e32 v0, 31, v0
	v_cvt_u32_f32_e32 v1, v1
	s_delay_alu instid0(VALU_DEP_1) | instskip(NEXT) | instid1(VALU_DEP_1)
	v_xor_b32_e32 v1, v1, v0
	v_sub_nc_u32_e32 v0, v1, v0
.LBB22_1702:
	s_mov_b32 s18, 0
.LBB22_1703:
	s_delay_alu instid0(SALU_CYCLE_1)
	s_and_not1_b32 vcc_lo, exec_lo, s18
	s_cbranch_vccnz .LBB22_1705
; %bb.1704:
	s_wait_loadcnt 0x0
	global_load_b32 v0, v[2:3], off
	s_wait_loadcnt 0x0
	v_cvt_f32_f16_e32 v0, v0
	s_delay_alu instid0(VALU_DEP_1)
	v_cvt_i32_f32_e32 v0, v0
.LBB22_1705:
	s_mov_b32 s18, 0
.LBB22_1706:
	s_delay_alu instid0(SALU_CYCLE_1)
	s_and_not1_b32 vcc_lo, exec_lo, s18
	s_cbranch_vccnz .LBB22_1717
; %bb.1707:
	s_cmp_lt_i32 s12, 6
	s_cbranch_scc1 .LBB22_1710
; %bb.1708:
	s_cmp_gt_i32 s12, 6
	s_cbranch_scc0 .LBB22_1711
; %bb.1709:
	s_wait_loadcnt 0x0
	global_load_b64 v[0:1], v[2:3], off
	s_mov_b32 s18, 0
	s_wait_loadcnt 0x0
	v_trunc_f64_e32 v[0:1], v[0:1]
	s_delay_alu instid0(VALU_DEP_1) | instskip(NEXT) | instid1(VALU_DEP_1)
	v_ldexp_f64 v[6:7], v[0:1], 0xffffffe0
	v_floor_f64_e32 v[6:7], v[6:7]
	s_delay_alu instid0(VALU_DEP_1) | instskip(NEXT) | instid1(VALU_DEP_1)
	v_fmamk_f64 v[0:1], v[6:7], 0xc1f00000, v[0:1]
	v_cvt_u32_f64_e32 v0, v[0:1]
	s_branch .LBB22_1712
.LBB22_1710:
	s_mov_b32 s18, -1
                                        ; implicit-def: $vgpr0
	s_branch .LBB22_1715
.LBB22_1711:
	s_mov_b32 s18, -1
                                        ; implicit-def: $vgpr0
.LBB22_1712:
	s_delay_alu instid0(SALU_CYCLE_1)
	s_and_not1_b32 vcc_lo, exec_lo, s18
	s_cbranch_vccnz .LBB22_1714
; %bb.1713:
	s_wait_loadcnt 0x0
	global_load_b32 v0, v[2:3], off
	s_wait_loadcnt 0x0
	v_trunc_f32_e32 v0, v0
	s_delay_alu instid0(VALU_DEP_1) | instskip(NEXT) | instid1(VALU_DEP_1)
	v_mul_f32_e64 v1, 0x2f800000, |v0|
	v_floor_f32_e32 v1, v1
	s_delay_alu instid0(VALU_DEP_1) | instskip(SKIP_1) | instid1(VALU_DEP_2)
	v_fma_f32 v1, 0xcf800000, v1, |v0|
	v_ashrrev_i32_e32 v0, 31, v0
	v_cvt_u32_f32_e32 v1, v1
	s_delay_alu instid0(VALU_DEP_1) | instskip(NEXT) | instid1(VALU_DEP_1)
	v_xor_b32_e32 v1, v1, v0
	v_sub_nc_u32_e32 v0, v1, v0
.LBB22_1714:
	s_mov_b32 s18, 0
.LBB22_1715:
	s_delay_alu instid0(SALU_CYCLE_1)
	s_and_not1_b32 vcc_lo, exec_lo, s18
	s_cbranch_vccnz .LBB22_1717
; %bb.1716:
	s_wait_loadcnt 0x0
	global_load_u16 v0, v[2:3], off
	s_wait_loadcnt 0x0
	v_cvt_f32_f16_e32 v0, v0
	s_delay_alu instid0(VALU_DEP_1)
	v_cvt_i32_f32_e32 v0, v0
.LBB22_1717:
	s_cbranch_execnz .LBB22_1737
.LBB22_1718:
	s_cmp_lt_i32 s12, 2
	s_cbranch_scc1 .LBB22_1722
; %bb.1719:
	s_cmp_lt_i32 s12, 3
	s_cbranch_scc1 .LBB22_1723
; %bb.1720:
	s_cmp_gt_i32 s12, 3
	s_cbranch_scc0 .LBB22_1724
; %bb.1721:
	s_wait_loadcnt 0x0
	global_load_b64 v[0:1], v[2:3], off
	s_mov_b32 s18, 0
	s_branch .LBB22_1725
.LBB22_1722:
	s_mov_b32 s18, -1
                                        ; implicit-def: $vgpr0
	s_branch .LBB22_1731
.LBB22_1723:
	s_mov_b32 s18, -1
                                        ; implicit-def: $vgpr0
	s_branch .LBB22_1728
.LBB22_1724:
	s_mov_b32 s18, -1
                                        ; implicit-def: $vgpr0
.LBB22_1725:
	s_delay_alu instid0(SALU_CYCLE_1)
	s_and_not1_b32 vcc_lo, exec_lo, s18
	s_cbranch_vccnz .LBB22_1727
; %bb.1726:
	s_wait_loadcnt 0x0
	global_load_b32 v0, v[2:3], off
.LBB22_1727:
	s_mov_b32 s18, 0
.LBB22_1728:
	s_delay_alu instid0(SALU_CYCLE_1)
	s_and_not1_b32 vcc_lo, exec_lo, s18
	s_cbranch_vccnz .LBB22_1730
; %bb.1729:
	s_wait_loadcnt 0x0
	global_load_u16 v0, v[2:3], off
.LBB22_1730:
	s_mov_b32 s18, 0
.LBB22_1731:
	s_delay_alu instid0(SALU_CYCLE_1)
	s_and_not1_b32 vcc_lo, exec_lo, s18
	s_cbranch_vccnz .LBB22_1737
; %bb.1732:
	s_cmp_gt_i32 s12, 0
	s_mov_b32 s12, 0
	s_cbranch_scc0 .LBB22_1734
; %bb.1733:
	s_wait_loadcnt 0x0
	global_load_u8 v0, v[2:3], off
	s_branch .LBB22_1735
.LBB22_1734:
	s_mov_b32 s12, -1
                                        ; implicit-def: $vgpr0
.LBB22_1735:
	s_delay_alu instid0(SALU_CYCLE_1)
	s_and_not1_b32 vcc_lo, exec_lo, s12
	s_cbranch_vccnz .LBB22_1737
; %bb.1736:
	s_wait_loadcnt 0x0
	global_load_u8 v0, v[2:3], off
.LBB22_1737:
.LBB22_1738:
	v_mul_lo_u32 v6, s5, v18
	s_and_b32 s7, s7, 0xff
	s_delay_alu instid0(SALU_CYCLE_1) | instskip(NEXT) | instid1(VALU_DEP_1)
	s_cmp_lt_i32 s7, 11
	v_ashrrev_i32_e32 v7, 31, v6
	s_delay_alu instid0(VALU_DEP_1)
	v_add_nc_u64_e32 v[8:9], s[10:11], v[6:7]
	s_cbranch_scc1 .LBB22_1745
; %bb.1739:
	s_and_b32 s12, 0xffff, s7
	s_mov_b32 s19, 0
	s_cmp_gt_i32 s12, 25
	s_cbranch_scc0 .LBB22_1747
; %bb.1740:
	s_cmp_gt_i32 s12, 28
	s_cbranch_scc0 .LBB22_1748
; %bb.1741:
	;; [unrolled: 3-line block ×4, first 2 shown]
	s_cmp_eq_u32 s12, 46
	s_mov_b32 s21, 0
	s_cbranch_scc0 .LBB22_1752
; %bb.1744:
	s_wait_loadcnt 0x0
	global_load_b32 v1, v[8:9], off
	s_mov_b32 s18, 0
	s_mov_b32 s20, -1
	s_wait_loadcnt 0x0
	v_lshlrev_b32_e32 v1, 16, v1
	s_delay_alu instid0(VALU_DEP_1) | instskip(SKIP_1) | instid1(VALU_DEP_1)
	v_trunc_f32_e32 v1, v1
	s_wait_xcnt 0x1
	v_mul_f32_e64 v2, 0x2f800000, |v1|
	s_delay_alu instid0(VALU_DEP_1) | instskip(NEXT) | instid1(VALU_DEP_1)
	v_floor_f32_e32 v2, v2
	v_fma_f32 v2, 0xcf800000, v2, |v1|
	v_ashrrev_i32_e32 v1, 31, v1
	s_delay_alu instid0(VALU_DEP_2) | instskip(NEXT) | instid1(VALU_DEP_1)
	v_cvt_u32_f32_e32 v2, v2
	v_xor_b32_e32 v2, v2, v1
	s_delay_alu instid0(VALU_DEP_1)
	v_sub_nc_u32_e32 v2, v2, v1
	s_branch .LBB22_1754
.LBB22_1745:
	s_mov_b32 s20, 0
                                        ; implicit-def: $vgpr2
	s_cbranch_execnz .LBB22_1816
.LBB22_1746:
	s_and_not1_b32 vcc_lo, exec_lo, s20
	s_cbranch_vccz .LBB22_1864
	s_branch .LBB22_3126
.LBB22_1747:
	s_mov_b32 s21, -1
	s_mov_b32 s20, 0
	s_mov_b32 s18, 0
                                        ; implicit-def: $vgpr2
	s_branch .LBB22_1781
.LBB22_1748:
	s_mov_b32 s21, -1
	s_mov_b32 s20, 0
	s_mov_b32 s18, 0
                                        ; implicit-def: $vgpr2
	s_branch .LBB22_1764
.LBB22_1749:
	s_mov_b32 s21, -1
	s_mov_b32 s20, 0
	s_mov_b32 s18, 0
                                        ; implicit-def: $vgpr2
	s_branch .LBB22_1759
.LBB22_1750:
	s_or_b32 s13, s13, exec_lo
	s_trap 2
	s_cbranch_execz .LBB22_1689
	s_branch .LBB22_1690
.LBB22_1751:
	s_mov_b32 s21, -1
	s_mov_b32 s20, 0
	s_mov_b32 s18, 0
	s_branch .LBB22_1753
.LBB22_1752:
	s_mov_b32 s18, -1
	s_mov_b32 s20, 0
.LBB22_1753:
                                        ; implicit-def: $vgpr2
.LBB22_1754:
	s_and_b32 vcc_lo, exec_lo, s21
	s_cbranch_vccz .LBB22_1758
; %bb.1755:
	s_cmp_eq_u32 s12, 44
	s_cbranch_scc0 .LBB22_1757
; %bb.1756:
	s_wait_loadcnt 0x0
	global_load_u8 v1, v[8:9], off
	s_mov_b32 s18, 0
	s_mov_b32 s20, -1
	s_wait_loadcnt 0x0
	s_wait_xcnt 0x1
	v_lshlrev_b32_e32 v2, 23, v1
	v_cmp_ne_u32_e32 vcc_lo, 0, v1
	s_delay_alu instid0(VALU_DEP_2) | instskip(NEXT) | instid1(VALU_DEP_1)
	v_trunc_f32_e32 v2, v2
	v_mul_f32_e64 v3, 0x2f800000, |v2|
	s_delay_alu instid0(VALU_DEP_1) | instskip(NEXT) | instid1(VALU_DEP_1)
	v_floor_f32_e32 v3, v3
	v_fma_f32 v3, 0xcf800000, v3, |v2|
	v_ashrrev_i32_e32 v2, 31, v2
	s_delay_alu instid0(VALU_DEP_2) | instskip(NEXT) | instid1(VALU_DEP_1)
	v_cvt_u32_f32_e32 v3, v3
	v_xor_b32_e32 v3, v3, v2
	s_delay_alu instid0(VALU_DEP_1) | instskip(NEXT) | instid1(VALU_DEP_1)
	v_sub_nc_u32_e32 v2, v3, v2
	v_cndmask_b32_e32 v2, 0, v2, vcc_lo
	s_branch .LBB22_1758
.LBB22_1757:
	s_mov_b32 s18, -1
                                        ; implicit-def: $vgpr2
.LBB22_1758:
	s_mov_b32 s21, 0
.LBB22_1759:
	s_delay_alu instid0(SALU_CYCLE_1)
	s_and_b32 vcc_lo, exec_lo, s21
	s_cbranch_vccz .LBB22_1763
; %bb.1760:
	s_cmp_eq_u32 s12, 29
	s_cbranch_scc0 .LBB22_1762
; %bb.1761:
	global_load_b64 v[2:3], v[8:9], off
	s_mov_b32 s18, 0
	s_mov_b32 s20, -1
	s_branch .LBB22_1763
.LBB22_1762:
	s_mov_b32 s18, -1
                                        ; implicit-def: $vgpr2
.LBB22_1763:
	s_mov_b32 s21, 0
.LBB22_1764:
	s_delay_alu instid0(SALU_CYCLE_1)
	s_and_b32 vcc_lo, exec_lo, s21
	s_cbranch_vccz .LBB22_1780
; %bb.1765:
	s_cmp_lt_i32 s12, 27
	s_cbranch_scc1 .LBB22_1768
; %bb.1766:
	s_cmp_gt_i32 s12, 27
	s_cbranch_scc0 .LBB22_1769
; %bb.1767:
	s_wait_loadcnt 0x0
	global_load_b32 v2, v[8:9], off
	s_mov_b32 s20, 0
	s_branch .LBB22_1770
.LBB22_1768:
	s_mov_b32 s20, -1
                                        ; implicit-def: $vgpr2
	s_branch .LBB22_1773
.LBB22_1769:
	s_mov_b32 s20, -1
                                        ; implicit-def: $vgpr2
.LBB22_1770:
	s_delay_alu instid0(SALU_CYCLE_1)
	s_and_not1_b32 vcc_lo, exec_lo, s20
	s_cbranch_vccnz .LBB22_1772
; %bb.1771:
	s_wait_loadcnt 0x0
	global_load_u16 v2, v[8:9], off
.LBB22_1772:
	s_mov_b32 s20, 0
.LBB22_1773:
	s_delay_alu instid0(SALU_CYCLE_1)
	s_and_not1_b32 vcc_lo, exec_lo, s20
	s_cbranch_vccnz .LBB22_1779
; %bb.1774:
	s_wait_loadcnt 0x0
	global_load_u8 v1, v[8:9], off
	s_mov_b32 s21, 0
	s_mov_b32 s20, exec_lo
	s_wait_loadcnt 0x0
	v_cmpx_lt_i16_e32 0x7f, v1
	s_xor_b32 s20, exec_lo, s20
	s_cbranch_execz .LBB22_1791
; %bb.1775:
	v_cmp_ne_u16_e32 vcc_lo, 0x80, v1
	s_and_b32 s21, vcc_lo, exec_lo
	s_and_not1_saveexec_b32 s20, s20
	s_cbranch_execnz .LBB22_1792
.LBB22_1776:
	s_or_b32 exec_lo, exec_lo, s20
	v_mov_b32_e32 v2, 0
	s_and_saveexec_b32 s20, s21
	s_cbranch_execz .LBB22_1778
.LBB22_1777:
	v_and_b32_e32 v2, 0xffff, v1
	s_delay_alu instid0(VALU_DEP_1) | instskip(SKIP_1) | instid1(VALU_DEP_2)
	v_and_b32_e32 v3, 7, v2
	v_bfe_u32 v10, v2, 3, 4
	v_clz_i32_u32_e32 v5, v3
	s_delay_alu instid0(VALU_DEP_2) | instskip(NEXT) | instid1(VALU_DEP_2)
	v_cmp_eq_u32_e32 vcc_lo, 0, v10
	v_min_u32_e32 v5, 32, v5
	s_delay_alu instid0(VALU_DEP_1) | instskip(NEXT) | instid1(VALU_DEP_1)
	v_subrev_nc_u32_e32 v7, 28, v5
	v_dual_lshlrev_b32 v2, v7, v2 :: v_dual_sub_nc_u32 v5, 29, v5
	s_delay_alu instid0(VALU_DEP_1) | instskip(NEXT) | instid1(VALU_DEP_1)
	v_dual_lshlrev_b32 v1, 24, v1 :: v_dual_bitop2_b32 v2, 7, v2 bitop3:0x40
	v_dual_cndmask_b32 v2, v3, v2 :: v_dual_cndmask_b32 v5, v10, v5
	s_delay_alu instid0(VALU_DEP_2) | instskip(NEXT) | instid1(VALU_DEP_2)
	v_and_b32_e32 v1, 0x80000000, v1
	v_lshlrev_b32_e32 v2, 20, v2
	s_delay_alu instid0(VALU_DEP_3) | instskip(NEXT) | instid1(VALU_DEP_1)
	v_lshl_add_u32 v3, v5, 23, 0x3b800000
	v_or3_b32 v1, v1, v3, v2
	s_delay_alu instid0(VALU_DEP_1) | instskip(NEXT) | instid1(VALU_DEP_1)
	v_trunc_f32_e32 v1, v1
	v_mul_f32_e64 v2, 0x2f800000, |v1|
	s_delay_alu instid0(VALU_DEP_1) | instskip(NEXT) | instid1(VALU_DEP_1)
	v_floor_f32_e32 v2, v2
	v_fma_f32 v2, 0xcf800000, v2, |v1|
	v_ashrrev_i32_e32 v1, 31, v1
	s_delay_alu instid0(VALU_DEP_2) | instskip(NEXT) | instid1(VALU_DEP_1)
	v_cvt_u32_f32_e32 v2, v2
	v_xor_b32_e32 v2, v2, v1
	s_delay_alu instid0(VALU_DEP_1)
	v_sub_nc_u32_e32 v2, v2, v1
.LBB22_1778:
	s_or_b32 exec_lo, exec_lo, s20
.LBB22_1779:
	s_mov_b32 s20, -1
.LBB22_1780:
	s_mov_b32 s21, 0
.LBB22_1781:
	s_delay_alu instid0(SALU_CYCLE_1)
	s_and_b32 vcc_lo, exec_lo, s21
	s_cbranch_vccz .LBB22_1812
; %bb.1782:
	s_cmp_gt_i32 s12, 22
	s_cbranch_scc0 .LBB22_1790
; %bb.1783:
	s_cmp_lt_i32 s12, 24
	s_cbranch_scc1 .LBB22_1793
; %bb.1784:
	s_cmp_gt_i32 s12, 24
	s_cbranch_scc0 .LBB22_1794
; %bb.1785:
	s_wait_loadcnt 0x0
	global_load_u8 v1, v[8:9], off
	s_mov_b32 s20, 0
	s_mov_b32 s19, exec_lo
	s_wait_loadcnt 0x0
	v_cmpx_lt_i16_e32 0x7f, v1
	s_xor_b32 s19, exec_lo, s19
	s_cbranch_execz .LBB22_1806
; %bb.1786:
	v_cmp_ne_u16_e32 vcc_lo, 0x80, v1
	s_and_b32 s20, vcc_lo, exec_lo
	s_and_not1_saveexec_b32 s19, s19
	s_cbranch_execnz .LBB22_1807
.LBB22_1787:
	s_or_b32 exec_lo, exec_lo, s19
	v_mov_b32_e32 v2, 0
	s_and_saveexec_b32 s19, s20
	s_cbranch_execz .LBB22_1789
.LBB22_1788:
	v_and_b32_e32 v2, 0xffff, v1
	s_delay_alu instid0(VALU_DEP_1) | instskip(SKIP_1) | instid1(VALU_DEP_2)
	v_and_b32_e32 v3, 3, v2
	v_bfe_u32 v10, v2, 2, 5
	v_clz_i32_u32_e32 v5, v3
	s_delay_alu instid0(VALU_DEP_2) | instskip(NEXT) | instid1(VALU_DEP_2)
	v_cmp_eq_u32_e32 vcc_lo, 0, v10
	v_min_u32_e32 v5, 32, v5
	s_delay_alu instid0(VALU_DEP_1) | instskip(NEXT) | instid1(VALU_DEP_1)
	v_subrev_nc_u32_e32 v7, 29, v5
	v_dual_lshlrev_b32 v2, v7, v2 :: v_dual_sub_nc_u32 v5, 30, v5
	s_delay_alu instid0(VALU_DEP_1) | instskip(NEXT) | instid1(VALU_DEP_1)
	v_dual_lshlrev_b32 v1, 24, v1 :: v_dual_bitop2_b32 v2, 3, v2 bitop3:0x40
	v_dual_cndmask_b32 v2, v3, v2 :: v_dual_cndmask_b32 v5, v10, v5
	s_delay_alu instid0(VALU_DEP_2) | instskip(NEXT) | instid1(VALU_DEP_2)
	v_and_b32_e32 v1, 0x80000000, v1
	v_lshlrev_b32_e32 v2, 21, v2
	s_delay_alu instid0(VALU_DEP_3) | instskip(NEXT) | instid1(VALU_DEP_1)
	v_lshl_add_u32 v3, v5, 23, 0x37800000
	v_or3_b32 v1, v1, v3, v2
	s_delay_alu instid0(VALU_DEP_1) | instskip(NEXT) | instid1(VALU_DEP_1)
	v_trunc_f32_e32 v1, v1
	v_mul_f32_e64 v2, 0x2f800000, |v1|
	s_delay_alu instid0(VALU_DEP_1) | instskip(NEXT) | instid1(VALU_DEP_1)
	v_floor_f32_e32 v2, v2
	v_fma_f32 v2, 0xcf800000, v2, |v1|
	v_ashrrev_i32_e32 v1, 31, v1
	s_delay_alu instid0(VALU_DEP_2) | instskip(NEXT) | instid1(VALU_DEP_1)
	v_cvt_u32_f32_e32 v2, v2
	v_xor_b32_e32 v2, v2, v1
	s_delay_alu instid0(VALU_DEP_1)
	v_sub_nc_u32_e32 v2, v2, v1
.LBB22_1789:
	s_or_b32 exec_lo, exec_lo, s19
	s_mov_b32 s19, 0
	s_branch .LBB22_1795
.LBB22_1790:
	s_mov_b32 s19, -1
                                        ; implicit-def: $vgpr2
	s_branch .LBB22_1801
.LBB22_1791:
	s_and_not1_saveexec_b32 s20, s20
	s_cbranch_execz .LBB22_1776
.LBB22_1792:
	v_cmp_ne_u16_e32 vcc_lo, 0, v1
	s_and_not1_b32 s21, s21, exec_lo
	s_and_b32 s22, vcc_lo, exec_lo
	s_delay_alu instid0(SALU_CYCLE_1)
	s_or_b32 s21, s21, s22
	s_or_b32 exec_lo, exec_lo, s20
	v_mov_b32_e32 v2, 0
	s_and_saveexec_b32 s20, s21
	s_cbranch_execnz .LBB22_1777
	s_branch .LBB22_1778
.LBB22_1793:
	s_mov_b32 s19, -1
                                        ; implicit-def: $vgpr2
	s_branch .LBB22_1798
.LBB22_1794:
	s_mov_b32 s19, -1
                                        ; implicit-def: $vgpr2
.LBB22_1795:
	s_delay_alu instid0(SALU_CYCLE_1)
	s_and_b32 vcc_lo, exec_lo, s19
	s_cbranch_vccz .LBB22_1797
; %bb.1796:
	s_wait_loadcnt 0x0
	global_load_u8 v1, v[8:9], off
	s_wait_loadcnt 0x0
	v_lshlrev_b32_e32 v1, 24, v1
	s_wait_xcnt 0x1
	s_delay_alu instid0(VALU_DEP_1) | instskip(NEXT) | instid1(VALU_DEP_1)
	v_and_b32_e32 v2, 0x7f000000, v1
	v_clz_i32_u32_e32 v3, v2
	v_cmp_ne_u32_e32 vcc_lo, 0, v2
	v_add_nc_u32_e32 v7, 0x1000000, v2
	s_delay_alu instid0(VALU_DEP_3) | instskip(NEXT) | instid1(VALU_DEP_1)
	v_min_u32_e32 v3, 32, v3
	v_sub_nc_u32_e64 v3, v3, 4 clamp
	s_delay_alu instid0(VALU_DEP_1) | instskip(NEXT) | instid1(VALU_DEP_1)
	v_dual_lshlrev_b32 v5, v3, v2 :: v_dual_lshlrev_b32 v3, 23, v3
	v_lshrrev_b32_e32 v5, 4, v5
	s_delay_alu instid0(VALU_DEP_1) | instskip(SKIP_1) | instid1(VALU_DEP_2)
	v_sub_nc_u32_e32 v3, v5, v3
	v_ashrrev_i32_e32 v5, 8, v7
	v_add_nc_u32_e32 v3, 0x3c000000, v3
	s_delay_alu instid0(VALU_DEP_1) | instskip(NEXT) | instid1(VALU_DEP_1)
	v_and_or_b32 v3, 0x7f800000, v5, v3
	v_cndmask_b32_e32 v2, 0, v3, vcc_lo
	s_delay_alu instid0(VALU_DEP_1) | instskip(NEXT) | instid1(VALU_DEP_1)
	v_and_or_b32 v1, 0x80000000, v1, v2
	v_trunc_f32_e32 v1, v1
	s_delay_alu instid0(VALU_DEP_1) | instskip(NEXT) | instid1(VALU_DEP_1)
	v_mul_f32_e64 v2, 0x2f800000, |v1|
	v_floor_f32_e32 v2, v2
	s_delay_alu instid0(VALU_DEP_1) | instskip(SKIP_1) | instid1(VALU_DEP_2)
	v_fma_f32 v2, 0xcf800000, v2, |v1|
	v_ashrrev_i32_e32 v1, 31, v1
	v_cvt_u32_f32_e32 v2, v2
	s_delay_alu instid0(VALU_DEP_1) | instskip(NEXT) | instid1(VALU_DEP_1)
	v_xor_b32_e32 v2, v2, v1
	v_sub_nc_u32_e32 v2, v2, v1
.LBB22_1797:
	s_mov_b32 s19, 0
.LBB22_1798:
	s_delay_alu instid0(SALU_CYCLE_1)
	s_and_not1_b32 vcc_lo, exec_lo, s19
	s_cbranch_vccnz .LBB22_1800
; %bb.1799:
	s_wait_loadcnt 0x0
	global_load_u8 v1, v[8:9], off
	s_wait_loadcnt 0x0
	s_wait_xcnt 0x1
	v_lshlrev_b32_e32 v2, 25, v1
	v_lshlrev_b16 v1, 8, v1
	s_delay_alu instid0(VALU_DEP_1) | instskip(NEXT) | instid1(VALU_DEP_3)
	v_and_or_b32 v5, 0x7f00, v1, 0.5
	v_lshrrev_b32_e32 v3, 4, v2
	v_bfe_i32 v1, v1, 0, 16
	s_delay_alu instid0(VALU_DEP_3) | instskip(NEXT) | instid1(VALU_DEP_3)
	v_add_f32_e32 v5, -0.5, v5
	v_or_b32_e32 v3, 0x70000000, v3
	s_delay_alu instid0(VALU_DEP_1) | instskip(SKIP_1) | instid1(VALU_DEP_2)
	v_mul_f32_e32 v3, 0x7800000, v3
	v_cmp_gt_u32_e32 vcc_lo, 0x8000000, v2
	v_cndmask_b32_e32 v2, v3, v5, vcc_lo
	s_delay_alu instid0(VALU_DEP_1) | instskip(NEXT) | instid1(VALU_DEP_1)
	v_and_or_b32 v1, 0x80000000, v1, v2
	v_trunc_f32_e32 v1, v1
	s_delay_alu instid0(VALU_DEP_1) | instskip(NEXT) | instid1(VALU_DEP_1)
	v_mul_f32_e64 v2, 0x2f800000, |v1|
	v_floor_f32_e32 v2, v2
	s_delay_alu instid0(VALU_DEP_1) | instskip(SKIP_1) | instid1(VALU_DEP_2)
	v_fma_f32 v2, 0xcf800000, v2, |v1|
	v_ashrrev_i32_e32 v1, 31, v1
	v_cvt_u32_f32_e32 v2, v2
	s_delay_alu instid0(VALU_DEP_1) | instskip(NEXT) | instid1(VALU_DEP_1)
	v_xor_b32_e32 v2, v2, v1
	v_sub_nc_u32_e32 v2, v2, v1
.LBB22_1800:
	s_mov_b32 s19, 0
	s_mov_b32 s20, -1
.LBB22_1801:
	s_and_not1_b32 vcc_lo, exec_lo, s19
	s_mov_b32 s19, 0
	s_cbranch_vccnz .LBB22_1812
; %bb.1802:
	s_cmp_gt_i32 s12, 14
	s_cbranch_scc0 .LBB22_1805
; %bb.1803:
	s_cmp_eq_u32 s12, 15
	s_cbranch_scc0 .LBB22_1808
; %bb.1804:
	s_wait_loadcnt 0x0
	global_load_u16 v1, v[8:9], off
	s_mov_b32 s18, 0
	s_mov_b32 s20, -1
	s_wait_loadcnt 0x0
	v_lshlrev_b32_e32 v1, 16, v1
	s_delay_alu instid0(VALU_DEP_1) | instskip(SKIP_1) | instid1(VALU_DEP_1)
	v_trunc_f32_e32 v1, v1
	s_wait_xcnt 0x1
	v_mul_f32_e64 v2, 0x2f800000, |v1|
	s_delay_alu instid0(VALU_DEP_1) | instskip(NEXT) | instid1(VALU_DEP_1)
	v_floor_f32_e32 v2, v2
	v_fma_f32 v2, 0xcf800000, v2, |v1|
	v_ashrrev_i32_e32 v1, 31, v1
	s_delay_alu instid0(VALU_DEP_2) | instskip(NEXT) | instid1(VALU_DEP_1)
	v_cvt_u32_f32_e32 v2, v2
	v_xor_b32_e32 v2, v2, v1
	s_delay_alu instid0(VALU_DEP_1)
	v_sub_nc_u32_e32 v2, v2, v1
	s_branch .LBB22_1810
.LBB22_1805:
	s_mov_b32 s19, -1
	s_branch .LBB22_1809
.LBB22_1806:
	s_and_not1_saveexec_b32 s19, s19
	s_cbranch_execz .LBB22_1787
.LBB22_1807:
	v_cmp_ne_u16_e32 vcc_lo, 0, v1
	s_and_not1_b32 s20, s20, exec_lo
	s_and_b32 s21, vcc_lo, exec_lo
	s_delay_alu instid0(SALU_CYCLE_1)
	s_or_b32 s20, s20, s21
	s_or_b32 exec_lo, exec_lo, s19
	v_mov_b32_e32 v2, 0
	s_and_saveexec_b32 s19, s20
	s_cbranch_execnz .LBB22_1788
	s_branch .LBB22_1789
.LBB22_1808:
	s_mov_b32 s18, -1
.LBB22_1809:
                                        ; implicit-def: $vgpr2
.LBB22_1810:
	s_and_b32 vcc_lo, exec_lo, s19
	s_mov_b32 s19, 0
	s_cbranch_vccz .LBB22_1812
; %bb.1811:
	s_cmp_lg_u32 s12, 11
	s_mov_b32 s19, -1
	s_cselect_b32 s18, -1, 0
.LBB22_1812:
	s_delay_alu instid0(SALU_CYCLE_1)
	s_and_b32 vcc_lo, exec_lo, s18
	s_cbranch_vccnz .LBB22_1894
; %bb.1813:
	s_and_not1_b32 vcc_lo, exec_lo, s19
	s_cbranch_vccnz .LBB22_1815
.LBB22_1814:
	s_wait_loadcnt 0x0
	global_load_u8 v1, v[8:9], off
	s_mov_b32 s20, -1
	s_wait_loadcnt 0x0
	v_cmp_ne_u16_e32 vcc_lo, 0, v1
	s_wait_xcnt 0x1
	v_cndmask_b32_e64 v2, 0, 1, vcc_lo
.LBB22_1815:
	s_branch .LBB22_1746
.LBB22_1816:
	s_and_b32 s12, 0xffff, s7
	s_delay_alu instid0(SALU_CYCLE_1)
	s_cmp_lt_i32 s12, 5
	s_cbranch_scc1 .LBB22_1821
; %bb.1817:
	s_cmp_lt_i32 s12, 8
	s_cbranch_scc1 .LBB22_1822
; %bb.1818:
	;; [unrolled: 3-line block ×3, first 2 shown]
	s_cmp_gt_i32 s12, 9
	s_cbranch_scc0 .LBB22_1824
; %bb.1820:
	s_wait_loadcnt 0x0
	global_load_b64 v[2:3], v[8:9], off
	s_mov_b32 s18, 0
	s_wait_loadcnt 0x0
	v_trunc_f64_e32 v[2:3], v[2:3]
	s_delay_alu instid0(VALU_DEP_1) | instskip(NEXT) | instid1(VALU_DEP_1)
	v_ldexp_f64 v[10:11], v[2:3], 0xffffffe0
	v_floor_f64_e32 v[10:11], v[10:11]
	s_delay_alu instid0(VALU_DEP_1) | instskip(NEXT) | instid1(VALU_DEP_1)
	v_fmamk_f64 v[2:3], v[10:11], 0xc1f00000, v[2:3]
	v_cvt_u32_f64_e32 v2, v[2:3]
	s_branch .LBB22_1825
.LBB22_1821:
	s_mov_b32 s18, -1
                                        ; implicit-def: $vgpr2
	s_branch .LBB22_1843
.LBB22_1822:
	s_mov_b32 s18, -1
                                        ; implicit-def: $vgpr2
	s_branch .LBB22_1831
.LBB22_1823:
	s_mov_b32 s18, -1
                                        ; implicit-def: $vgpr2
	s_branch .LBB22_1828
.LBB22_1824:
	s_mov_b32 s18, -1
                                        ; implicit-def: $vgpr2
.LBB22_1825:
	s_delay_alu instid0(SALU_CYCLE_1)
	s_and_not1_b32 vcc_lo, exec_lo, s18
	s_cbranch_vccnz .LBB22_1827
; %bb.1826:
	s_wait_loadcnt 0x0
	global_load_b32 v1, v[8:9], off
	s_wait_loadcnt 0x0
	v_trunc_f32_e32 v1, v1
	s_wait_xcnt 0x1
	s_delay_alu instid0(VALU_DEP_1) | instskip(NEXT) | instid1(VALU_DEP_1)
	v_mul_f32_e64 v2, 0x2f800000, |v1|
	v_floor_f32_e32 v2, v2
	s_delay_alu instid0(VALU_DEP_1) | instskip(SKIP_1) | instid1(VALU_DEP_2)
	v_fma_f32 v2, 0xcf800000, v2, |v1|
	v_ashrrev_i32_e32 v1, 31, v1
	v_cvt_u32_f32_e32 v2, v2
	s_delay_alu instid0(VALU_DEP_1) | instskip(NEXT) | instid1(VALU_DEP_1)
	v_xor_b32_e32 v2, v2, v1
	v_sub_nc_u32_e32 v2, v2, v1
.LBB22_1827:
	s_mov_b32 s18, 0
.LBB22_1828:
	s_delay_alu instid0(SALU_CYCLE_1)
	s_and_not1_b32 vcc_lo, exec_lo, s18
	s_cbranch_vccnz .LBB22_1830
; %bb.1829:
	s_wait_loadcnt 0x0
	global_load_b32 v1, v[8:9], off
	s_wait_loadcnt 0x0
	v_cvt_f32_f16_e32 v1, v1
	s_wait_xcnt 0x1
	s_delay_alu instid0(VALU_DEP_1)
	v_cvt_i32_f32_e32 v2, v1
.LBB22_1830:
	s_mov_b32 s18, 0
.LBB22_1831:
	s_delay_alu instid0(SALU_CYCLE_1)
	s_and_not1_b32 vcc_lo, exec_lo, s18
	s_cbranch_vccnz .LBB22_1842
; %bb.1832:
	s_cmp_lt_i32 s12, 6
	s_cbranch_scc1 .LBB22_1835
; %bb.1833:
	s_cmp_gt_i32 s12, 6
	s_cbranch_scc0 .LBB22_1836
; %bb.1834:
	s_wait_loadcnt 0x0
	global_load_b64 v[2:3], v[8:9], off
	s_mov_b32 s18, 0
	s_wait_loadcnt 0x0
	v_trunc_f64_e32 v[2:3], v[2:3]
	s_delay_alu instid0(VALU_DEP_1) | instskip(NEXT) | instid1(VALU_DEP_1)
	v_ldexp_f64 v[10:11], v[2:3], 0xffffffe0
	v_floor_f64_e32 v[10:11], v[10:11]
	s_delay_alu instid0(VALU_DEP_1) | instskip(NEXT) | instid1(VALU_DEP_1)
	v_fmamk_f64 v[2:3], v[10:11], 0xc1f00000, v[2:3]
	v_cvt_u32_f64_e32 v2, v[2:3]
	s_branch .LBB22_1837
.LBB22_1835:
	s_mov_b32 s18, -1
                                        ; implicit-def: $vgpr2
	s_branch .LBB22_1840
.LBB22_1836:
	s_mov_b32 s18, -1
                                        ; implicit-def: $vgpr2
.LBB22_1837:
	s_delay_alu instid0(SALU_CYCLE_1)
	s_and_not1_b32 vcc_lo, exec_lo, s18
	s_cbranch_vccnz .LBB22_1839
; %bb.1838:
	s_wait_loadcnt 0x0
	global_load_b32 v1, v[8:9], off
	s_wait_loadcnt 0x0
	v_trunc_f32_e32 v1, v1
	s_wait_xcnt 0x1
	s_delay_alu instid0(VALU_DEP_1) | instskip(NEXT) | instid1(VALU_DEP_1)
	v_mul_f32_e64 v2, 0x2f800000, |v1|
	v_floor_f32_e32 v2, v2
	s_delay_alu instid0(VALU_DEP_1) | instskip(SKIP_1) | instid1(VALU_DEP_2)
	v_fma_f32 v2, 0xcf800000, v2, |v1|
	v_ashrrev_i32_e32 v1, 31, v1
	v_cvt_u32_f32_e32 v2, v2
	s_delay_alu instid0(VALU_DEP_1) | instskip(NEXT) | instid1(VALU_DEP_1)
	v_xor_b32_e32 v2, v2, v1
	v_sub_nc_u32_e32 v2, v2, v1
.LBB22_1839:
	s_mov_b32 s18, 0
.LBB22_1840:
	s_delay_alu instid0(SALU_CYCLE_1)
	s_and_not1_b32 vcc_lo, exec_lo, s18
	s_cbranch_vccnz .LBB22_1842
; %bb.1841:
	s_wait_loadcnt 0x0
	global_load_u16 v1, v[8:9], off
	s_wait_loadcnt 0x0
	v_cvt_f32_f16_e32 v1, v1
	s_wait_xcnt 0x1
	s_delay_alu instid0(VALU_DEP_1)
	v_cvt_i32_f32_e32 v2, v1
.LBB22_1842:
	s_mov_b32 s18, 0
.LBB22_1843:
	s_delay_alu instid0(SALU_CYCLE_1)
	s_and_not1_b32 vcc_lo, exec_lo, s18
	s_cbranch_vccnz .LBB22_1863
; %bb.1844:
	s_cmp_lt_i32 s12, 2
	s_cbranch_scc1 .LBB22_1848
; %bb.1845:
	s_cmp_lt_i32 s12, 3
	s_cbranch_scc1 .LBB22_1849
; %bb.1846:
	s_cmp_gt_i32 s12, 3
	s_cbranch_scc0 .LBB22_1850
; %bb.1847:
	s_wait_loadcnt 0x0
	global_load_b64 v[2:3], v[8:9], off
	s_mov_b32 s18, 0
	s_branch .LBB22_1851
.LBB22_1848:
	s_mov_b32 s18, -1
                                        ; implicit-def: $vgpr2
	s_branch .LBB22_1857
.LBB22_1849:
	s_mov_b32 s18, -1
                                        ; implicit-def: $vgpr2
	s_branch .LBB22_1854
.LBB22_1850:
	s_mov_b32 s18, -1
                                        ; implicit-def: $vgpr2
.LBB22_1851:
	s_delay_alu instid0(SALU_CYCLE_1)
	s_and_not1_b32 vcc_lo, exec_lo, s18
	s_cbranch_vccnz .LBB22_1853
; %bb.1852:
	s_wait_loadcnt 0x0
	global_load_b32 v2, v[8:9], off
.LBB22_1853:
	s_mov_b32 s18, 0
.LBB22_1854:
	s_delay_alu instid0(SALU_CYCLE_1)
	s_and_not1_b32 vcc_lo, exec_lo, s18
	s_cbranch_vccnz .LBB22_1856
; %bb.1855:
	s_wait_loadcnt 0x0
	global_load_u16 v2, v[8:9], off
.LBB22_1856:
	s_mov_b32 s18, 0
.LBB22_1857:
	s_delay_alu instid0(SALU_CYCLE_1)
	s_and_not1_b32 vcc_lo, exec_lo, s18
	s_cbranch_vccnz .LBB22_1863
; %bb.1858:
	s_cmp_gt_i32 s12, 0
	s_mov_b32 s12, 0
	s_cbranch_scc0 .LBB22_1860
; %bb.1859:
	s_wait_loadcnt 0x0
	global_load_u8 v2, v[8:9], off
	s_branch .LBB22_1861
.LBB22_1860:
	s_mov_b32 s12, -1
                                        ; implicit-def: $vgpr2
.LBB22_1861:
	s_delay_alu instid0(SALU_CYCLE_1)
	s_and_not1_b32 vcc_lo, exec_lo, s12
	s_cbranch_vccnz .LBB22_1863
; %bb.1862:
	s_wait_loadcnt 0x0
	global_load_u8 v2, v[8:9], off
.LBB22_1863:
.LBB22_1864:
	s_cmp_lt_i32 s15, 23
	s_cbranch_scc1 .LBB22_1868
; %bb.1865:
	s_and_b32 s19, 0xffff, s15
	s_delay_alu instid0(SALU_CYCLE_1)
	s_cmp_gt_i32 s19, 43
	s_cbranch_scc0 .LBB22_1869
; %bb.1866:
	s_cmp_gt_i32 s19, 45
	s_cbranch_scc0 .LBB22_1870
; %bb.1867:
	s_cmp_lg_u32 s19, 46
	s_mov_b32 s20, 0
	s_mov_b32 s12, -1
	s_cselect_b32 s18, -1, 0
	s_branch .LBB22_1871
.LBB22_1868:
	s_mov_b32 s19, -1
	s_mov_b32 s12, 0
	s_mov_b32 s18, 0
	s_branch .LBB22_1877
.LBB22_1869:
	s_mov_b32 s20, -1
	s_mov_b32 s12, 0
	s_mov_b32 s18, 0
	s_branch .LBB22_1874
.LBB22_1870:
	s_mov_b32 s20, -1
	s_mov_b32 s12, 0
	s_mov_b32 s18, 0
.LBB22_1871:
	s_and_not1_b32 vcc_lo, exec_lo, s20
	s_cbranch_vccnz .LBB22_1873
; %bb.1872:
	s_cmp_eq_u32 s19, 44
	s_cselect_b32 s12, -1, 0
	s_cmp_lg_u32 s19, 44
	s_cselect_b32 s18, -1, 0
.LBB22_1873:
	s_mov_b32 s20, 0
.LBB22_1874:
	s_delay_alu instid0(SALU_CYCLE_1)
	s_and_b32 vcc_lo, exec_lo, s20
	s_cbranch_vccz .LBB22_1876
; %bb.1875:
	s_cmp_lt_i32 s19, 30
	s_cselect_b32 s12, -1, 0
	s_cmp_gt_i32 s19, 29
	s_cselect_b32 s18, -1, 0
.LBB22_1876:
	s_mov_b32 s19, 0
.LBB22_1877:
	s_delay_alu instid0(SALU_CYCLE_1)
	s_and_b32 vcc_lo, exec_lo, s19
	s_cbranch_vccz .LBB22_1882
; %bb.1878:
	s_and_b32 s19, 0xffff, s15
	s_mov_b32 s20, -1
	s_cmp_gt_i32 s19, 14
	s_cbranch_scc0 .LBB22_1880
; %bb.1879:
	s_cmp_eq_u32 s19, 15
	s_mov_b32 s20, 0
	s_cselect_b32 s12, -1, 0
	s_cmp_lg_u32 s19, 15
	s_cselect_b32 s18, -1, 0
.LBB22_1880:
	s_and_not1_b32 vcc_lo, exec_lo, s20
	s_cbranch_vccnz .LBB22_1882
; %bb.1881:
	s_cmp_lt_i32 s19, 12
	s_cselect_b32 s12, -1, 0
	s_cmp_gt_i32 s19, 11
	s_cselect_b32 s18, -1, 0
.LBB22_1882:
	s_delay_alu instid0(SALU_CYCLE_1)
	s_and_b32 vcc_lo, exec_lo, s18
	s_cbranch_vccnz .LBB22_1895
; %bb.1883:
	s_and_not1_b32 vcc_lo, exec_lo, s12
	s_cbranch_vccnz .LBB22_3126
.LBB22_1884:
	s_lshl_b32 s4, s4, 7
	s_cmp_lt_i32 s0, 11
	s_wait_xcnt 0x0
	v_add_nc_u32_e32 v8, s4, v4
	s_delay_alu instid0(VALU_DEP_1) | instskip(NEXT) | instid1(VALU_DEP_1)
	v_ashrrev_i32_e32 v9, 31, v8
	v_add_nc_u64_e32 v[10:11], s[8:9], v[8:9]
	s_cbranch_scc1 .LBB22_1891
; %bb.1885:
	s_and_b32 s12, 0xffff, s0
	s_mov_b32 s19, 0
	s_cmp_gt_i32 s12, 25
	s_cbranch_scc0 .LBB22_1892
; %bb.1886:
	s_cmp_gt_i32 s12, 28
	s_cbranch_scc0 .LBB22_1893
; %bb.1887:
	s_cmp_gt_i32 s12, 43
	s_cbranch_scc0 .LBB22_1896
; %bb.1888:
	s_cmp_gt_i32 s12, 45
	s_cbranch_scc0 .LBB22_1897
; %bb.1889:
	s_cmp_eq_u32 s12, 46
	s_mov_b32 s21, 0
	s_cbranch_scc0 .LBB22_1898
; %bb.1890:
	s_wait_loadcnt 0x0
	global_load_b32 v1, v[10:11], off
	s_mov_b32 s18, 0
	s_mov_b32 s20, -1
	s_wait_loadcnt 0x0
	v_lshlrev_b32_e32 v1, 16, v1
	s_delay_alu instid0(VALU_DEP_1) | instskip(NEXT) | instid1(VALU_DEP_1)
	v_trunc_f32_e32 v1, v1
	v_mul_f32_e64 v3, 0x2f800000, |v1|
	s_delay_alu instid0(VALU_DEP_1) | instskip(NEXT) | instid1(VALU_DEP_1)
	v_floor_f32_e32 v3, v3
	v_fma_f32 v3, 0xcf800000, v3, |v1|
	v_ashrrev_i32_e32 v1, 31, v1
	s_delay_alu instid0(VALU_DEP_2) | instskip(NEXT) | instid1(VALU_DEP_1)
	v_cvt_u32_f32_e32 v3, v3
	v_xor_b32_e32 v3, v3, v1
	s_delay_alu instid0(VALU_DEP_1)
	v_sub_nc_u32_e32 v4, v3, v1
	s_branch .LBB22_1900
.LBB22_1891:
	s_mov_b32 s12, -1
	s_mov_b32 s20, 0
                                        ; implicit-def: $vgpr4
	s_branch .LBB22_1962
.LBB22_1892:
	s_mov_b32 s21, -1
	s_mov_b32 s20, 0
	s_mov_b32 s18, 0
                                        ; implicit-def: $vgpr4
	s_branch .LBB22_1927
.LBB22_1893:
	s_mov_b32 s21, -1
	s_mov_b32 s20, 0
	s_mov_b32 s18, 0
                                        ; implicit-def: $vgpr4
	s_branch .LBB22_1910
.LBB22_1894:
	s_or_b32 s13, s13, exec_lo
	s_trap 2
	s_cbranch_execz .LBB22_1814
	s_branch .LBB22_1815
.LBB22_1895:
	s_or_b32 s13, s13, exec_lo
	s_trap 2
	s_cbranch_execz .LBB22_1884
	s_branch .LBB22_3126
.LBB22_1896:
	s_mov_b32 s21, -1
	s_mov_b32 s20, 0
	s_mov_b32 s18, 0
                                        ; implicit-def: $vgpr4
	s_branch .LBB22_1905
.LBB22_1897:
	s_mov_b32 s21, -1
	s_mov_b32 s20, 0
	s_mov_b32 s18, 0
	s_branch .LBB22_1899
.LBB22_1898:
	s_mov_b32 s18, -1
	s_mov_b32 s20, 0
.LBB22_1899:
                                        ; implicit-def: $vgpr4
.LBB22_1900:
	s_and_b32 vcc_lo, exec_lo, s21
	s_cbranch_vccz .LBB22_1904
; %bb.1901:
	s_cmp_eq_u32 s12, 44
	s_cbranch_scc0 .LBB22_1903
; %bb.1902:
	s_wait_loadcnt 0x0
	global_load_u8 v1, v[10:11], off
	s_mov_b32 s18, 0
	s_mov_b32 s20, -1
	s_wait_loadcnt 0x0
	v_lshlrev_b32_e32 v3, 23, v1
	v_cmp_ne_u32_e32 vcc_lo, 0, v1
	s_delay_alu instid0(VALU_DEP_2) | instskip(NEXT) | instid1(VALU_DEP_1)
	v_trunc_f32_e32 v3, v3
	v_mul_f32_e64 v4, 0x2f800000, |v3|
	s_delay_alu instid0(VALU_DEP_1) | instskip(NEXT) | instid1(VALU_DEP_1)
	v_floor_f32_e32 v4, v4
	v_fma_f32 v4, 0xcf800000, v4, |v3|
	v_ashrrev_i32_e32 v3, 31, v3
	s_delay_alu instid0(VALU_DEP_2) | instskip(NEXT) | instid1(VALU_DEP_1)
	v_cvt_u32_f32_e32 v4, v4
	v_xor_b32_e32 v4, v4, v3
	s_delay_alu instid0(VALU_DEP_1) | instskip(NEXT) | instid1(VALU_DEP_1)
	v_sub_nc_u32_e32 v3, v4, v3
	v_cndmask_b32_e32 v4, 0, v3, vcc_lo
	s_branch .LBB22_1904
.LBB22_1903:
	s_mov_b32 s18, -1
                                        ; implicit-def: $vgpr4
.LBB22_1904:
	s_mov_b32 s21, 0
.LBB22_1905:
	s_delay_alu instid0(SALU_CYCLE_1)
	s_and_b32 vcc_lo, exec_lo, s21
	s_cbranch_vccz .LBB22_1909
; %bb.1906:
	s_cmp_eq_u32 s12, 29
	s_cbranch_scc0 .LBB22_1908
; %bb.1907:
	global_load_b64 v[4:5], v[10:11], off
	s_mov_b32 s18, 0
	s_mov_b32 s20, -1
	s_branch .LBB22_1909
.LBB22_1908:
	s_mov_b32 s18, -1
                                        ; implicit-def: $vgpr4
.LBB22_1909:
	s_mov_b32 s21, 0
.LBB22_1910:
	s_delay_alu instid0(SALU_CYCLE_1)
	s_and_b32 vcc_lo, exec_lo, s21
	s_cbranch_vccz .LBB22_1926
; %bb.1911:
	s_cmp_lt_i32 s12, 27
	s_cbranch_scc1 .LBB22_1914
; %bb.1912:
	s_cmp_gt_i32 s12, 27
	s_cbranch_scc0 .LBB22_1915
; %bb.1913:
	s_wait_loadcnt 0x0
	global_load_b32 v4, v[10:11], off
	s_mov_b32 s20, 0
	s_branch .LBB22_1916
.LBB22_1914:
	s_mov_b32 s20, -1
                                        ; implicit-def: $vgpr4
	s_branch .LBB22_1919
.LBB22_1915:
	s_mov_b32 s20, -1
                                        ; implicit-def: $vgpr4
.LBB22_1916:
	s_delay_alu instid0(SALU_CYCLE_1)
	s_and_not1_b32 vcc_lo, exec_lo, s20
	s_cbranch_vccnz .LBB22_1918
; %bb.1917:
	s_wait_loadcnt 0x0
	global_load_u16 v4, v[10:11], off
.LBB22_1918:
	s_mov_b32 s20, 0
.LBB22_1919:
	s_delay_alu instid0(SALU_CYCLE_1)
	s_and_not1_b32 vcc_lo, exec_lo, s20
	s_cbranch_vccnz .LBB22_1925
; %bb.1920:
	s_wait_loadcnt 0x0
	global_load_u8 v1, v[10:11], off
	s_mov_b32 s21, 0
	s_mov_b32 s20, exec_lo
	s_wait_loadcnt 0x0
	v_cmpx_lt_i16_e32 0x7f, v1
	s_xor_b32 s20, exec_lo, s20
	s_cbranch_execz .LBB22_1937
; %bb.1921:
	v_cmp_ne_u16_e32 vcc_lo, 0x80, v1
	s_and_b32 s21, vcc_lo, exec_lo
	s_and_not1_saveexec_b32 s20, s20
	s_cbranch_execnz .LBB22_1938
.LBB22_1922:
	s_or_b32 exec_lo, exec_lo, s20
	v_mov_b32_e32 v4, 0
	s_and_saveexec_b32 s20, s21
	s_cbranch_execz .LBB22_1924
.LBB22_1923:
	v_and_b32_e32 v3, 0xffff, v1
	s_delay_alu instid0(VALU_DEP_1) | instskip(SKIP_1) | instid1(VALU_DEP_2)
	v_and_b32_e32 v4, 7, v3
	v_bfe_u32 v9, v3, 3, 4
	v_clz_i32_u32_e32 v5, v4
	s_delay_alu instid0(VALU_DEP_2) | instskip(NEXT) | instid1(VALU_DEP_2)
	v_cmp_eq_u32_e32 vcc_lo, 0, v9
	v_min_u32_e32 v5, 32, v5
	s_delay_alu instid0(VALU_DEP_1) | instskip(NEXT) | instid1(VALU_DEP_1)
	v_subrev_nc_u32_e32 v7, 28, v5
	v_dual_lshlrev_b32 v3, v7, v3 :: v_dual_sub_nc_u32 v5, 29, v5
	s_delay_alu instid0(VALU_DEP_1) | instskip(NEXT) | instid1(VALU_DEP_1)
	v_dual_lshlrev_b32 v1, 24, v1 :: v_dual_bitop2_b32 v3, 7, v3 bitop3:0x40
	v_dual_cndmask_b32 v3, v4, v3, vcc_lo :: v_dual_cndmask_b32 v5, v9, v5, vcc_lo
	s_delay_alu instid0(VALU_DEP_2) | instskip(NEXT) | instid1(VALU_DEP_2)
	v_and_b32_e32 v1, 0x80000000, v1
	v_lshlrev_b32_e32 v3, 20, v3
	s_delay_alu instid0(VALU_DEP_3) | instskip(NEXT) | instid1(VALU_DEP_1)
	v_lshl_add_u32 v4, v5, 23, 0x3b800000
	v_or3_b32 v1, v1, v4, v3
	s_delay_alu instid0(VALU_DEP_1) | instskip(NEXT) | instid1(VALU_DEP_1)
	v_trunc_f32_e32 v1, v1
	v_mul_f32_e64 v3, 0x2f800000, |v1|
	s_delay_alu instid0(VALU_DEP_1) | instskip(NEXT) | instid1(VALU_DEP_1)
	v_floor_f32_e32 v3, v3
	v_fma_f32 v3, 0xcf800000, v3, |v1|
	v_ashrrev_i32_e32 v1, 31, v1
	s_delay_alu instid0(VALU_DEP_2) | instskip(NEXT) | instid1(VALU_DEP_1)
	v_cvt_u32_f32_e32 v3, v3
	v_xor_b32_e32 v3, v3, v1
	s_delay_alu instid0(VALU_DEP_1)
	v_sub_nc_u32_e32 v4, v3, v1
.LBB22_1924:
	s_or_b32 exec_lo, exec_lo, s20
.LBB22_1925:
	s_mov_b32 s20, -1
.LBB22_1926:
	s_mov_b32 s21, 0
.LBB22_1927:
	s_delay_alu instid0(SALU_CYCLE_1)
	s_and_b32 vcc_lo, exec_lo, s21
	s_cbranch_vccz .LBB22_1958
; %bb.1928:
	s_cmp_gt_i32 s12, 22
	s_cbranch_scc0 .LBB22_1936
; %bb.1929:
	s_cmp_lt_i32 s12, 24
	s_cbranch_scc1 .LBB22_1939
; %bb.1930:
	s_cmp_gt_i32 s12, 24
	s_cbranch_scc0 .LBB22_1940
; %bb.1931:
	s_wait_loadcnt 0x0
	global_load_u8 v1, v[10:11], off
	s_mov_b32 s20, 0
	s_mov_b32 s19, exec_lo
	s_wait_loadcnt 0x0
	v_cmpx_lt_i16_e32 0x7f, v1
	s_xor_b32 s19, exec_lo, s19
	s_cbranch_execz .LBB22_1952
; %bb.1932:
	v_cmp_ne_u16_e32 vcc_lo, 0x80, v1
	s_and_b32 s20, vcc_lo, exec_lo
	s_and_not1_saveexec_b32 s19, s19
	s_cbranch_execnz .LBB22_1953
.LBB22_1933:
	s_or_b32 exec_lo, exec_lo, s19
	v_mov_b32_e32 v4, 0
	s_and_saveexec_b32 s19, s20
	s_cbranch_execz .LBB22_1935
.LBB22_1934:
	v_and_b32_e32 v3, 0xffff, v1
	s_delay_alu instid0(VALU_DEP_1) | instskip(SKIP_1) | instid1(VALU_DEP_2)
	v_and_b32_e32 v4, 3, v3
	v_bfe_u32 v9, v3, 2, 5
	v_clz_i32_u32_e32 v5, v4
	s_delay_alu instid0(VALU_DEP_2) | instskip(NEXT) | instid1(VALU_DEP_2)
	v_cmp_eq_u32_e32 vcc_lo, 0, v9
	v_min_u32_e32 v5, 32, v5
	s_delay_alu instid0(VALU_DEP_1) | instskip(NEXT) | instid1(VALU_DEP_1)
	v_subrev_nc_u32_e32 v7, 29, v5
	v_dual_lshlrev_b32 v3, v7, v3 :: v_dual_sub_nc_u32 v5, 30, v5
	s_delay_alu instid0(VALU_DEP_1) | instskip(NEXT) | instid1(VALU_DEP_1)
	v_dual_lshlrev_b32 v1, 24, v1 :: v_dual_bitop2_b32 v3, 3, v3 bitop3:0x40
	v_dual_cndmask_b32 v3, v4, v3, vcc_lo :: v_dual_cndmask_b32 v5, v9, v5, vcc_lo
	s_delay_alu instid0(VALU_DEP_2) | instskip(NEXT) | instid1(VALU_DEP_2)
	v_and_b32_e32 v1, 0x80000000, v1
	v_lshlrev_b32_e32 v3, 21, v3
	s_delay_alu instid0(VALU_DEP_3) | instskip(NEXT) | instid1(VALU_DEP_1)
	v_lshl_add_u32 v4, v5, 23, 0x37800000
	v_or3_b32 v1, v1, v4, v3
	s_delay_alu instid0(VALU_DEP_1) | instskip(NEXT) | instid1(VALU_DEP_1)
	v_trunc_f32_e32 v1, v1
	v_mul_f32_e64 v3, 0x2f800000, |v1|
	s_delay_alu instid0(VALU_DEP_1) | instskip(NEXT) | instid1(VALU_DEP_1)
	v_floor_f32_e32 v3, v3
	v_fma_f32 v3, 0xcf800000, v3, |v1|
	v_ashrrev_i32_e32 v1, 31, v1
	s_delay_alu instid0(VALU_DEP_2) | instskip(NEXT) | instid1(VALU_DEP_1)
	v_cvt_u32_f32_e32 v3, v3
	v_xor_b32_e32 v3, v3, v1
	s_delay_alu instid0(VALU_DEP_1)
	v_sub_nc_u32_e32 v4, v3, v1
.LBB22_1935:
	s_or_b32 exec_lo, exec_lo, s19
	s_mov_b32 s19, 0
	s_branch .LBB22_1941
.LBB22_1936:
	s_mov_b32 s19, -1
                                        ; implicit-def: $vgpr4
	s_branch .LBB22_1947
.LBB22_1937:
	s_and_not1_saveexec_b32 s20, s20
	s_cbranch_execz .LBB22_1922
.LBB22_1938:
	v_cmp_ne_u16_e32 vcc_lo, 0, v1
	s_and_not1_b32 s21, s21, exec_lo
	s_and_b32 s22, vcc_lo, exec_lo
	s_delay_alu instid0(SALU_CYCLE_1)
	s_or_b32 s21, s21, s22
	s_or_b32 exec_lo, exec_lo, s20
	v_mov_b32_e32 v4, 0
	s_and_saveexec_b32 s20, s21
	s_cbranch_execnz .LBB22_1923
	s_branch .LBB22_1924
.LBB22_1939:
	s_mov_b32 s19, -1
                                        ; implicit-def: $vgpr4
	s_branch .LBB22_1944
.LBB22_1940:
	s_mov_b32 s19, -1
                                        ; implicit-def: $vgpr4
.LBB22_1941:
	s_delay_alu instid0(SALU_CYCLE_1)
	s_and_b32 vcc_lo, exec_lo, s19
	s_cbranch_vccz .LBB22_1943
; %bb.1942:
	s_wait_loadcnt 0x0
	global_load_u8 v1, v[10:11], off
	s_wait_loadcnt 0x0
	v_lshlrev_b32_e32 v1, 24, v1
	s_delay_alu instid0(VALU_DEP_1) | instskip(NEXT) | instid1(VALU_DEP_1)
	v_and_b32_e32 v3, 0x7f000000, v1
	v_clz_i32_u32_e32 v4, v3
	v_add_nc_u32_e32 v7, 0x1000000, v3
	v_cmp_ne_u32_e32 vcc_lo, 0, v3
	s_delay_alu instid0(VALU_DEP_3) | instskip(NEXT) | instid1(VALU_DEP_1)
	v_min_u32_e32 v4, 32, v4
	v_sub_nc_u32_e64 v4, v4, 4 clamp
	s_delay_alu instid0(VALU_DEP_1) | instskip(NEXT) | instid1(VALU_DEP_1)
	v_dual_lshlrev_b32 v5, v4, v3 :: v_dual_lshlrev_b32 v4, 23, v4
	v_lshrrev_b32_e32 v5, 4, v5
	s_delay_alu instid0(VALU_DEP_1) | instskip(NEXT) | instid1(VALU_DEP_1)
	v_dual_sub_nc_u32 v4, v5, v4 :: v_dual_ashrrev_i32 v5, 8, v7
	v_add_nc_u32_e32 v4, 0x3c000000, v4
	s_delay_alu instid0(VALU_DEP_1) | instskip(NEXT) | instid1(VALU_DEP_1)
	v_and_or_b32 v4, 0x7f800000, v5, v4
	v_cndmask_b32_e32 v3, 0, v4, vcc_lo
	s_delay_alu instid0(VALU_DEP_1) | instskip(NEXT) | instid1(VALU_DEP_1)
	v_and_or_b32 v1, 0x80000000, v1, v3
	v_trunc_f32_e32 v1, v1
	s_delay_alu instid0(VALU_DEP_1) | instskip(NEXT) | instid1(VALU_DEP_1)
	v_mul_f32_e64 v3, 0x2f800000, |v1|
	v_floor_f32_e32 v3, v3
	s_delay_alu instid0(VALU_DEP_1) | instskip(SKIP_1) | instid1(VALU_DEP_2)
	v_fma_f32 v3, 0xcf800000, v3, |v1|
	v_ashrrev_i32_e32 v1, 31, v1
	v_cvt_u32_f32_e32 v3, v3
	s_delay_alu instid0(VALU_DEP_1) | instskip(NEXT) | instid1(VALU_DEP_1)
	v_xor_b32_e32 v3, v3, v1
	v_sub_nc_u32_e32 v4, v3, v1
.LBB22_1943:
	s_mov_b32 s19, 0
.LBB22_1944:
	s_delay_alu instid0(SALU_CYCLE_1)
	s_and_not1_b32 vcc_lo, exec_lo, s19
	s_cbranch_vccnz .LBB22_1946
; %bb.1945:
	s_wait_loadcnt 0x0
	global_load_u8 v1, v[10:11], off
	s_wait_loadcnt 0x0
	v_lshlrev_b32_e32 v3, 25, v1
	v_lshlrev_b16 v1, 8, v1
	s_delay_alu instid0(VALU_DEP_1) | instskip(NEXT) | instid1(VALU_DEP_3)
	v_and_or_b32 v5, 0x7f00, v1, 0.5
	v_lshrrev_b32_e32 v4, 4, v3
	v_bfe_i32 v1, v1, 0, 16
	s_delay_alu instid0(VALU_DEP_3) | instskip(NEXT) | instid1(VALU_DEP_3)
	v_add_f32_e32 v5, -0.5, v5
	v_or_b32_e32 v4, 0x70000000, v4
	s_delay_alu instid0(VALU_DEP_1) | instskip(SKIP_1) | instid1(VALU_DEP_2)
	v_mul_f32_e32 v4, 0x7800000, v4
	v_cmp_gt_u32_e32 vcc_lo, 0x8000000, v3
	v_cndmask_b32_e32 v3, v4, v5, vcc_lo
	s_delay_alu instid0(VALU_DEP_1) | instskip(NEXT) | instid1(VALU_DEP_1)
	v_and_or_b32 v1, 0x80000000, v1, v3
	v_trunc_f32_e32 v1, v1
	s_delay_alu instid0(VALU_DEP_1) | instskip(NEXT) | instid1(VALU_DEP_1)
	v_mul_f32_e64 v3, 0x2f800000, |v1|
	v_floor_f32_e32 v3, v3
	s_delay_alu instid0(VALU_DEP_1) | instskip(SKIP_1) | instid1(VALU_DEP_2)
	v_fma_f32 v3, 0xcf800000, v3, |v1|
	v_ashrrev_i32_e32 v1, 31, v1
	v_cvt_u32_f32_e32 v3, v3
	s_delay_alu instid0(VALU_DEP_1) | instskip(NEXT) | instid1(VALU_DEP_1)
	v_xor_b32_e32 v3, v3, v1
	v_sub_nc_u32_e32 v4, v3, v1
.LBB22_1946:
	s_mov_b32 s19, 0
	s_mov_b32 s20, -1
.LBB22_1947:
	s_and_not1_b32 vcc_lo, exec_lo, s19
	s_mov_b32 s19, 0
	s_cbranch_vccnz .LBB22_1958
; %bb.1948:
	s_cmp_gt_i32 s12, 14
	s_cbranch_scc0 .LBB22_1951
; %bb.1949:
	s_cmp_eq_u32 s12, 15
	s_cbranch_scc0 .LBB22_1954
; %bb.1950:
	s_wait_loadcnt 0x0
	global_load_u16 v1, v[10:11], off
	s_mov_b32 s18, 0
	s_mov_b32 s20, -1
	s_wait_loadcnt 0x0
	v_lshlrev_b32_e32 v1, 16, v1
	s_delay_alu instid0(VALU_DEP_1) | instskip(NEXT) | instid1(VALU_DEP_1)
	v_trunc_f32_e32 v1, v1
	v_mul_f32_e64 v3, 0x2f800000, |v1|
	s_delay_alu instid0(VALU_DEP_1) | instskip(NEXT) | instid1(VALU_DEP_1)
	v_floor_f32_e32 v3, v3
	v_fma_f32 v3, 0xcf800000, v3, |v1|
	v_ashrrev_i32_e32 v1, 31, v1
	s_delay_alu instid0(VALU_DEP_2) | instskip(NEXT) | instid1(VALU_DEP_1)
	v_cvt_u32_f32_e32 v3, v3
	v_xor_b32_e32 v3, v3, v1
	s_delay_alu instid0(VALU_DEP_1)
	v_sub_nc_u32_e32 v4, v3, v1
	s_branch .LBB22_1956
.LBB22_1951:
	s_mov_b32 s19, -1
	s_branch .LBB22_1955
.LBB22_1952:
	s_and_not1_saveexec_b32 s19, s19
	s_cbranch_execz .LBB22_1933
.LBB22_1953:
	v_cmp_ne_u16_e32 vcc_lo, 0, v1
	s_and_not1_b32 s20, s20, exec_lo
	s_and_b32 s21, vcc_lo, exec_lo
	s_delay_alu instid0(SALU_CYCLE_1)
	s_or_b32 s20, s20, s21
	s_or_b32 exec_lo, exec_lo, s19
	v_mov_b32_e32 v4, 0
	s_and_saveexec_b32 s19, s20
	s_cbranch_execnz .LBB22_1934
	s_branch .LBB22_1935
.LBB22_1954:
	s_mov_b32 s18, -1
.LBB22_1955:
                                        ; implicit-def: $vgpr4
.LBB22_1956:
	s_and_b32 vcc_lo, exec_lo, s19
	s_mov_b32 s19, 0
	s_cbranch_vccz .LBB22_1958
; %bb.1957:
	s_cmp_lg_u32 s12, 11
	s_mov_b32 s19, -1
	s_cselect_b32 s18, -1, 0
.LBB22_1958:
	s_delay_alu instid0(SALU_CYCLE_1)
	s_and_b32 vcc_lo, exec_lo, s18
	s_cbranch_vccnz .LBB22_2023
; %bb.1959:
	s_and_not1_b32 vcc_lo, exec_lo, s19
	s_cbranch_vccnz .LBB22_1961
.LBB22_1960:
	s_wait_loadcnt 0x0
	global_load_u8 v1, v[10:11], off
	s_mov_b32 s20, -1
	s_wait_loadcnt 0x0
	v_cmp_ne_u16_e32 vcc_lo, 0, v1
	v_cndmask_b32_e64 v4, 0, 1, vcc_lo
.LBB22_1961:
	s_mov_b32 s12, 0
.LBB22_1962:
	s_delay_alu instid0(SALU_CYCLE_1)
	s_and_b32 vcc_lo, exec_lo, s12
	s_cbranch_vccz .LBB22_2011
; %bb.1963:
	s_and_b32 s12, 0xffff, s0
	s_delay_alu instid0(SALU_CYCLE_1)
	s_cmp_lt_i32 s12, 5
	s_cbranch_scc1 .LBB22_1968
; %bb.1964:
	s_cmp_lt_i32 s12, 8
	s_cbranch_scc1 .LBB22_1969
; %bb.1965:
	;; [unrolled: 3-line block ×3, first 2 shown]
	s_cmp_gt_i32 s12, 9
	s_cbranch_scc0 .LBB22_1971
; %bb.1967:
	s_wait_loadcnt 0x0
	global_load_b64 v[4:5], v[10:11], off
	s_mov_b32 s18, 0
	s_wait_loadcnt 0x0
	v_trunc_f64_e32 v[4:5], v[4:5]
	s_delay_alu instid0(VALU_DEP_1) | instskip(NEXT) | instid1(VALU_DEP_1)
	v_ldexp_f64 v[12:13], v[4:5], 0xffffffe0
	v_floor_f64_e32 v[12:13], v[12:13]
	s_delay_alu instid0(VALU_DEP_1) | instskip(NEXT) | instid1(VALU_DEP_1)
	v_fmamk_f64 v[4:5], v[12:13], 0xc1f00000, v[4:5]
	v_cvt_u32_f64_e32 v4, v[4:5]
	s_branch .LBB22_1972
.LBB22_1968:
	s_mov_b32 s18, -1
                                        ; implicit-def: $vgpr4
	s_branch .LBB22_1990
.LBB22_1969:
	s_mov_b32 s18, -1
                                        ; implicit-def: $vgpr4
	s_branch .LBB22_1978
.LBB22_1970:
	s_mov_b32 s18, -1
                                        ; implicit-def: $vgpr4
	s_branch .LBB22_1975
.LBB22_1971:
	s_mov_b32 s18, -1
                                        ; implicit-def: $vgpr4
.LBB22_1972:
	s_delay_alu instid0(SALU_CYCLE_1)
	s_and_not1_b32 vcc_lo, exec_lo, s18
	s_cbranch_vccnz .LBB22_1974
; %bb.1973:
	s_wait_loadcnt 0x0
	global_load_b32 v1, v[10:11], off
	s_wait_loadcnt 0x0
	v_trunc_f32_e32 v1, v1
	s_delay_alu instid0(VALU_DEP_1) | instskip(NEXT) | instid1(VALU_DEP_1)
	v_mul_f32_e64 v3, 0x2f800000, |v1|
	v_floor_f32_e32 v3, v3
	s_delay_alu instid0(VALU_DEP_1) | instskip(SKIP_1) | instid1(VALU_DEP_2)
	v_fma_f32 v3, 0xcf800000, v3, |v1|
	v_ashrrev_i32_e32 v1, 31, v1
	v_cvt_u32_f32_e32 v3, v3
	s_delay_alu instid0(VALU_DEP_1) | instskip(NEXT) | instid1(VALU_DEP_1)
	v_xor_b32_e32 v3, v3, v1
	v_sub_nc_u32_e32 v4, v3, v1
.LBB22_1974:
	s_mov_b32 s18, 0
.LBB22_1975:
	s_delay_alu instid0(SALU_CYCLE_1)
	s_and_not1_b32 vcc_lo, exec_lo, s18
	s_cbranch_vccnz .LBB22_1977
; %bb.1976:
	s_wait_loadcnt 0x0
	global_load_b32 v1, v[10:11], off
	s_wait_loadcnt 0x0
	v_cvt_f32_f16_e32 v1, v1
	s_delay_alu instid0(VALU_DEP_1)
	v_cvt_i32_f32_e32 v4, v1
.LBB22_1977:
	s_mov_b32 s18, 0
.LBB22_1978:
	s_delay_alu instid0(SALU_CYCLE_1)
	s_and_not1_b32 vcc_lo, exec_lo, s18
	s_cbranch_vccnz .LBB22_1989
; %bb.1979:
	s_cmp_lt_i32 s12, 6
	s_cbranch_scc1 .LBB22_1982
; %bb.1980:
	s_cmp_gt_i32 s12, 6
	s_cbranch_scc0 .LBB22_1983
; %bb.1981:
	s_wait_loadcnt 0x0
	global_load_b64 v[4:5], v[10:11], off
	s_mov_b32 s18, 0
	s_wait_loadcnt 0x0
	v_trunc_f64_e32 v[4:5], v[4:5]
	s_delay_alu instid0(VALU_DEP_1) | instskip(NEXT) | instid1(VALU_DEP_1)
	v_ldexp_f64 v[12:13], v[4:5], 0xffffffe0
	v_floor_f64_e32 v[12:13], v[12:13]
	s_delay_alu instid0(VALU_DEP_1) | instskip(NEXT) | instid1(VALU_DEP_1)
	v_fmamk_f64 v[4:5], v[12:13], 0xc1f00000, v[4:5]
	v_cvt_u32_f64_e32 v4, v[4:5]
	s_branch .LBB22_1984
.LBB22_1982:
	s_mov_b32 s18, -1
                                        ; implicit-def: $vgpr4
	s_branch .LBB22_1987
.LBB22_1983:
	s_mov_b32 s18, -1
                                        ; implicit-def: $vgpr4
.LBB22_1984:
	s_delay_alu instid0(SALU_CYCLE_1)
	s_and_not1_b32 vcc_lo, exec_lo, s18
	s_cbranch_vccnz .LBB22_1986
; %bb.1985:
	s_wait_loadcnt 0x0
	global_load_b32 v1, v[10:11], off
	s_wait_loadcnt 0x0
	v_trunc_f32_e32 v1, v1
	s_delay_alu instid0(VALU_DEP_1) | instskip(NEXT) | instid1(VALU_DEP_1)
	v_mul_f32_e64 v3, 0x2f800000, |v1|
	v_floor_f32_e32 v3, v3
	s_delay_alu instid0(VALU_DEP_1) | instskip(SKIP_1) | instid1(VALU_DEP_2)
	v_fma_f32 v3, 0xcf800000, v3, |v1|
	v_ashrrev_i32_e32 v1, 31, v1
	v_cvt_u32_f32_e32 v3, v3
	s_delay_alu instid0(VALU_DEP_1) | instskip(NEXT) | instid1(VALU_DEP_1)
	v_xor_b32_e32 v3, v3, v1
	v_sub_nc_u32_e32 v4, v3, v1
.LBB22_1986:
	s_mov_b32 s18, 0
.LBB22_1987:
	s_delay_alu instid0(SALU_CYCLE_1)
	s_and_not1_b32 vcc_lo, exec_lo, s18
	s_cbranch_vccnz .LBB22_1989
; %bb.1988:
	s_wait_loadcnt 0x0
	global_load_u16 v1, v[10:11], off
	s_wait_loadcnt 0x0
	v_cvt_f32_f16_e32 v1, v1
	s_delay_alu instid0(VALU_DEP_1)
	v_cvt_i32_f32_e32 v4, v1
.LBB22_1989:
	s_mov_b32 s18, 0
.LBB22_1990:
	s_delay_alu instid0(SALU_CYCLE_1)
	s_and_not1_b32 vcc_lo, exec_lo, s18
	s_cbranch_vccnz .LBB22_2010
; %bb.1991:
	s_cmp_lt_i32 s12, 2
	s_cbranch_scc1 .LBB22_1995
; %bb.1992:
	s_cmp_lt_i32 s12, 3
	s_cbranch_scc1 .LBB22_1996
; %bb.1993:
	s_cmp_gt_i32 s12, 3
	s_cbranch_scc0 .LBB22_1997
; %bb.1994:
	s_wait_loadcnt 0x0
	global_load_b64 v[4:5], v[10:11], off
	s_mov_b32 s18, 0
	s_branch .LBB22_1998
.LBB22_1995:
	s_mov_b32 s18, -1
                                        ; implicit-def: $vgpr4
	s_branch .LBB22_2004
.LBB22_1996:
	s_mov_b32 s18, -1
                                        ; implicit-def: $vgpr4
	s_branch .LBB22_2001
.LBB22_1997:
	s_mov_b32 s18, -1
                                        ; implicit-def: $vgpr4
.LBB22_1998:
	s_delay_alu instid0(SALU_CYCLE_1)
	s_and_not1_b32 vcc_lo, exec_lo, s18
	s_cbranch_vccnz .LBB22_2000
; %bb.1999:
	s_wait_loadcnt 0x0
	global_load_b32 v4, v[10:11], off
.LBB22_2000:
	s_mov_b32 s18, 0
.LBB22_2001:
	s_delay_alu instid0(SALU_CYCLE_1)
	s_and_not1_b32 vcc_lo, exec_lo, s18
	s_cbranch_vccnz .LBB22_2003
; %bb.2002:
	s_wait_loadcnt 0x0
	global_load_u16 v4, v[10:11], off
.LBB22_2003:
	s_mov_b32 s18, 0
.LBB22_2004:
	s_delay_alu instid0(SALU_CYCLE_1)
	s_and_not1_b32 vcc_lo, exec_lo, s18
	s_cbranch_vccnz .LBB22_2010
; %bb.2005:
	s_cmp_gt_i32 s12, 0
	s_mov_b32 s12, 0
	s_cbranch_scc0 .LBB22_2007
; %bb.2006:
	s_wait_loadcnt 0x0
	global_load_u8 v4, v[10:11], off
	s_branch .LBB22_2008
.LBB22_2007:
	s_mov_b32 s12, -1
                                        ; implicit-def: $vgpr4
.LBB22_2008:
	s_delay_alu instid0(SALU_CYCLE_1)
	s_and_not1_b32 vcc_lo, exec_lo, s12
	s_cbranch_vccnz .LBB22_2010
; %bb.2009:
	s_wait_loadcnt 0x0
	global_load_u8 v4, v[10:11], off
.LBB22_2010:
	s_mov_b32 s20, -1
.LBB22_2011:
	s_delay_alu instid0(SALU_CYCLE_1)
	s_and_not1_b32 vcc_lo, exec_lo, s20
	s_cbranch_vccnz .LBB22_3126
; %bb.2012:
	s_lshl_b32 s5, s5, 7
	s_cmp_lt_i32 s7, 11
	s_wait_xcnt 0x0
	v_add_nc_u32_e32 v10, s5, v6
	s_delay_alu instid0(VALU_DEP_1) | instskip(NEXT) | instid1(VALU_DEP_1)
	v_ashrrev_i32_e32 v11, 31, v10
	v_add_nc_u64_e32 v[12:13], s[10:11], v[10:11]
	s_cbranch_scc1 .LBB22_2019
; %bb.2013:
	s_and_b32 s12, 0xffff, s7
	s_mov_b32 s19, 0
	s_cmp_gt_i32 s12, 25
	s_cbranch_scc0 .LBB22_2020
; %bb.2014:
	s_cmp_gt_i32 s12, 28
	s_cbranch_scc0 .LBB22_2021
; %bb.2015:
	;; [unrolled: 3-line block ×4, first 2 shown]
	s_cmp_eq_u32 s12, 46
	s_mov_b32 s21, 0
	s_cbranch_scc0 .LBB22_2027
; %bb.2018:
	s_wait_loadcnt 0x0
	global_load_b32 v1, v[12:13], off
	s_mov_b32 s18, 0
	s_mov_b32 s20, -1
	s_wait_loadcnt 0x0
	v_lshlrev_b32_e32 v1, 16, v1
	s_delay_alu instid0(VALU_DEP_1) | instskip(NEXT) | instid1(VALU_DEP_1)
	v_trunc_f32_e32 v1, v1
	v_mul_f32_e64 v3, 0x2f800000, |v1|
	s_delay_alu instid0(VALU_DEP_1) | instskip(NEXT) | instid1(VALU_DEP_1)
	v_floor_f32_e32 v3, v3
	v_fma_f32 v3, 0xcf800000, v3, |v1|
	v_ashrrev_i32_e32 v1, 31, v1
	s_delay_alu instid0(VALU_DEP_2) | instskip(NEXT) | instid1(VALU_DEP_1)
	v_cvt_u32_f32_e32 v3, v3
	v_xor_b32_e32 v3, v3, v1
	s_delay_alu instid0(VALU_DEP_1)
	v_sub_nc_u32_e32 v6, v3, v1
	s_branch .LBB22_2029
.LBB22_2019:
	s_mov_b32 s12, -1
	s_mov_b32 s20, 0
                                        ; implicit-def: $vgpr6
	s_branch .LBB22_2091
.LBB22_2020:
	s_mov_b32 s21, -1
	s_mov_b32 s20, 0
	s_mov_b32 s18, 0
                                        ; implicit-def: $vgpr6
	s_branch .LBB22_2056
.LBB22_2021:
	s_mov_b32 s21, -1
	s_mov_b32 s20, 0
	s_mov_b32 s18, 0
                                        ; implicit-def: $vgpr6
	s_branch .LBB22_2039
.LBB22_2022:
	s_mov_b32 s21, -1
	s_mov_b32 s20, 0
	s_mov_b32 s18, 0
                                        ; implicit-def: $vgpr6
	s_branch .LBB22_2034
.LBB22_2023:
	s_or_b32 s13, s13, exec_lo
	s_trap 2
	s_cbranch_execz .LBB22_1960
	s_branch .LBB22_1961
.LBB22_2024:
	s_mov_b32 s21, -1
	s_mov_b32 s20, 0
	s_mov_b32 s18, 0
	s_branch .LBB22_2028
.LBB22_2025:
	s_and_not1_saveexec_b32 s37, s37
	s_cbranch_execz .LBB22_1106
.LBB22_2026:
	v_add_f32_e32 v3, 0x46000000, v4
	s_and_not1_b32 s36, s36, exec_lo
	s_delay_alu instid0(VALU_DEP_1) | instskip(NEXT) | instid1(VALU_DEP_1)
	v_and_b32_e32 v3, 0xff, v3
	v_cmp_ne_u32_e32 vcc_lo, 0, v3
	s_and_b32 s38, vcc_lo, exec_lo
	s_delay_alu instid0(SALU_CYCLE_1)
	s_or_b32 s36, s36, s38
	s_or_b32 exec_lo, exec_lo, s37
	v_mov_b32_e32 v5, 0
	s_and_saveexec_b32 s37, s36
	s_cbranch_execnz .LBB22_1107
	s_branch .LBB22_1108
.LBB22_2027:
	s_mov_b32 s18, -1
	s_mov_b32 s20, 0
.LBB22_2028:
                                        ; implicit-def: $vgpr6
.LBB22_2029:
	s_and_b32 vcc_lo, exec_lo, s21
	s_cbranch_vccz .LBB22_2033
; %bb.2030:
	s_cmp_eq_u32 s12, 44
	s_cbranch_scc0 .LBB22_2032
; %bb.2031:
	s_wait_loadcnt 0x0
	global_load_u8 v1, v[12:13], off
	s_mov_b32 s18, 0
	s_mov_b32 s20, -1
	s_wait_loadcnt 0x0
	v_lshlrev_b32_e32 v3, 23, v1
	v_cmp_ne_u32_e32 vcc_lo, 0, v1
	s_delay_alu instid0(VALU_DEP_2) | instskip(NEXT) | instid1(VALU_DEP_1)
	v_trunc_f32_e32 v3, v3
	v_mul_f32_e64 v5, 0x2f800000, |v3|
	s_delay_alu instid0(VALU_DEP_1) | instskip(NEXT) | instid1(VALU_DEP_1)
	v_floor_f32_e32 v5, v5
	v_fma_f32 v5, 0xcf800000, v5, |v3|
	v_ashrrev_i32_e32 v3, 31, v3
	s_delay_alu instid0(VALU_DEP_2) | instskip(NEXT) | instid1(VALU_DEP_1)
	v_cvt_u32_f32_e32 v5, v5
	v_xor_b32_e32 v5, v5, v3
	s_delay_alu instid0(VALU_DEP_1) | instskip(NEXT) | instid1(VALU_DEP_1)
	v_sub_nc_u32_e32 v3, v5, v3
	v_cndmask_b32_e32 v6, 0, v3, vcc_lo
	s_branch .LBB22_2033
.LBB22_2032:
	s_mov_b32 s18, -1
                                        ; implicit-def: $vgpr6
.LBB22_2033:
	s_mov_b32 s21, 0
.LBB22_2034:
	s_delay_alu instid0(SALU_CYCLE_1)
	s_and_b32 vcc_lo, exec_lo, s21
	s_cbranch_vccz .LBB22_2038
; %bb.2035:
	s_cmp_eq_u32 s12, 29
	s_cbranch_scc0 .LBB22_2037
; %bb.2036:
	global_load_b64 v[6:7], v[12:13], off
	s_mov_b32 s18, 0
	s_mov_b32 s20, -1
	s_branch .LBB22_2038
.LBB22_2037:
	s_mov_b32 s18, -1
                                        ; implicit-def: $vgpr6
.LBB22_2038:
	s_mov_b32 s21, 0
.LBB22_2039:
	s_delay_alu instid0(SALU_CYCLE_1)
	s_and_b32 vcc_lo, exec_lo, s21
	s_cbranch_vccz .LBB22_2055
; %bb.2040:
	s_cmp_lt_i32 s12, 27
	s_cbranch_scc1 .LBB22_2043
; %bb.2041:
	s_cmp_gt_i32 s12, 27
	s_cbranch_scc0 .LBB22_2044
; %bb.2042:
	s_wait_loadcnt 0x0
	global_load_b32 v6, v[12:13], off
	s_mov_b32 s20, 0
	s_branch .LBB22_2045
.LBB22_2043:
	s_mov_b32 s20, -1
                                        ; implicit-def: $vgpr6
	s_branch .LBB22_2048
.LBB22_2044:
	s_mov_b32 s20, -1
                                        ; implicit-def: $vgpr6
.LBB22_2045:
	s_delay_alu instid0(SALU_CYCLE_1)
	s_and_not1_b32 vcc_lo, exec_lo, s20
	s_cbranch_vccnz .LBB22_2047
; %bb.2046:
	s_wait_loadcnt 0x0
	global_load_u16 v6, v[12:13], off
.LBB22_2047:
	s_mov_b32 s20, 0
.LBB22_2048:
	s_delay_alu instid0(SALU_CYCLE_1)
	s_and_not1_b32 vcc_lo, exec_lo, s20
	s_cbranch_vccnz .LBB22_2054
; %bb.2049:
	s_wait_loadcnt 0x0
	global_load_u8 v1, v[12:13], off
	s_mov_b32 s21, 0
	s_mov_b32 s20, exec_lo
	s_wait_loadcnt 0x0
	v_cmpx_lt_i16_e32 0x7f, v1
	s_xor_b32 s20, exec_lo, s20
	s_cbranch_execz .LBB22_2066
; %bb.2050:
	v_cmp_ne_u16_e32 vcc_lo, 0x80, v1
	s_and_b32 s21, vcc_lo, exec_lo
	s_and_not1_saveexec_b32 s20, s20
	s_cbranch_execnz .LBB22_2067
.LBB22_2051:
	s_or_b32 exec_lo, exec_lo, s20
	v_mov_b32_e32 v6, 0
	s_and_saveexec_b32 s20, s21
	s_cbranch_execz .LBB22_2053
.LBB22_2052:
	v_and_b32_e32 v3, 0xffff, v1
	s_delay_alu instid0(VALU_DEP_1) | instskip(SKIP_1) | instid1(VALU_DEP_2)
	v_and_b32_e32 v5, 7, v3
	v_bfe_u32 v9, v3, 3, 4
	v_clz_i32_u32_e32 v6, v5
	s_delay_alu instid0(VALU_DEP_2) | instskip(NEXT) | instid1(VALU_DEP_2)
	v_cmp_eq_u32_e32 vcc_lo, 0, v9
	v_min_u32_e32 v6, 32, v6
	s_delay_alu instid0(VALU_DEP_1) | instskip(NEXT) | instid1(VALU_DEP_1)
	v_subrev_nc_u32_e32 v7, 28, v6
	v_dual_lshlrev_b32 v3, v7, v3 :: v_dual_sub_nc_u32 v6, 29, v6
	s_delay_alu instid0(VALU_DEP_1) | instskip(NEXT) | instid1(VALU_DEP_2)
	v_dual_lshlrev_b32 v1, 24, v1 :: v_dual_bitop2_b32 v3, 7, v3 bitop3:0x40
	v_cndmask_b32_e32 v6, v9, v6, vcc_lo
	s_delay_alu instid0(VALU_DEP_2) | instskip(NEXT) | instid1(VALU_DEP_3)
	v_cndmask_b32_e32 v3, v5, v3, vcc_lo
	v_and_b32_e32 v1, 0x80000000, v1
	s_delay_alu instid0(VALU_DEP_3) | instskip(NEXT) | instid1(VALU_DEP_3)
	v_lshl_add_u32 v5, v6, 23, 0x3b800000
	v_lshlrev_b32_e32 v3, 20, v3
	s_delay_alu instid0(VALU_DEP_1) | instskip(NEXT) | instid1(VALU_DEP_1)
	v_or3_b32 v1, v1, v5, v3
	v_trunc_f32_e32 v1, v1
	s_delay_alu instid0(VALU_DEP_1) | instskip(NEXT) | instid1(VALU_DEP_1)
	v_mul_f32_e64 v3, 0x2f800000, |v1|
	v_floor_f32_e32 v3, v3
	s_delay_alu instid0(VALU_DEP_1) | instskip(SKIP_1) | instid1(VALU_DEP_2)
	v_fma_f32 v3, 0xcf800000, v3, |v1|
	v_ashrrev_i32_e32 v1, 31, v1
	v_cvt_u32_f32_e32 v3, v3
	s_delay_alu instid0(VALU_DEP_1) | instskip(NEXT) | instid1(VALU_DEP_1)
	v_xor_b32_e32 v3, v3, v1
	v_sub_nc_u32_e32 v6, v3, v1
.LBB22_2053:
	s_or_b32 exec_lo, exec_lo, s20
.LBB22_2054:
	s_mov_b32 s20, -1
.LBB22_2055:
	s_mov_b32 s21, 0
.LBB22_2056:
	s_delay_alu instid0(SALU_CYCLE_1)
	s_and_b32 vcc_lo, exec_lo, s21
	s_cbranch_vccz .LBB22_2087
; %bb.2057:
	s_cmp_gt_i32 s12, 22
	s_cbranch_scc0 .LBB22_2065
; %bb.2058:
	s_cmp_lt_i32 s12, 24
	s_cbranch_scc1 .LBB22_2068
; %bb.2059:
	s_cmp_gt_i32 s12, 24
	s_cbranch_scc0 .LBB22_2069
; %bb.2060:
	s_wait_loadcnt 0x0
	global_load_u8 v1, v[12:13], off
	s_mov_b32 s20, 0
	s_mov_b32 s19, exec_lo
	s_wait_loadcnt 0x0
	v_cmpx_lt_i16_e32 0x7f, v1
	s_xor_b32 s19, exec_lo, s19
	s_cbranch_execz .LBB22_2081
; %bb.2061:
	v_cmp_ne_u16_e32 vcc_lo, 0x80, v1
	s_and_b32 s20, vcc_lo, exec_lo
	s_and_not1_saveexec_b32 s19, s19
	s_cbranch_execnz .LBB22_2082
.LBB22_2062:
	s_or_b32 exec_lo, exec_lo, s19
	v_mov_b32_e32 v6, 0
	s_and_saveexec_b32 s19, s20
	s_cbranch_execz .LBB22_2064
.LBB22_2063:
	v_and_b32_e32 v3, 0xffff, v1
	s_delay_alu instid0(VALU_DEP_1) | instskip(SKIP_1) | instid1(VALU_DEP_2)
	v_and_b32_e32 v5, 3, v3
	v_bfe_u32 v9, v3, 2, 5
	v_clz_i32_u32_e32 v6, v5
	s_delay_alu instid0(VALU_DEP_2) | instskip(NEXT) | instid1(VALU_DEP_2)
	v_cmp_eq_u32_e32 vcc_lo, 0, v9
	v_min_u32_e32 v6, 32, v6
	s_delay_alu instid0(VALU_DEP_1) | instskip(NEXT) | instid1(VALU_DEP_1)
	v_subrev_nc_u32_e32 v7, 29, v6
	v_dual_lshlrev_b32 v3, v7, v3 :: v_dual_sub_nc_u32 v6, 30, v6
	s_delay_alu instid0(VALU_DEP_1) | instskip(NEXT) | instid1(VALU_DEP_2)
	v_dual_lshlrev_b32 v1, 24, v1 :: v_dual_bitop2_b32 v3, 3, v3 bitop3:0x40
	v_cndmask_b32_e32 v6, v9, v6, vcc_lo
	s_delay_alu instid0(VALU_DEP_2) | instskip(NEXT) | instid1(VALU_DEP_3)
	v_cndmask_b32_e32 v3, v5, v3, vcc_lo
	v_and_b32_e32 v1, 0x80000000, v1
	s_delay_alu instid0(VALU_DEP_3) | instskip(NEXT) | instid1(VALU_DEP_3)
	v_lshl_add_u32 v5, v6, 23, 0x37800000
	v_lshlrev_b32_e32 v3, 21, v3
	s_delay_alu instid0(VALU_DEP_1) | instskip(NEXT) | instid1(VALU_DEP_1)
	v_or3_b32 v1, v1, v5, v3
	v_trunc_f32_e32 v1, v1
	s_delay_alu instid0(VALU_DEP_1) | instskip(NEXT) | instid1(VALU_DEP_1)
	v_mul_f32_e64 v3, 0x2f800000, |v1|
	v_floor_f32_e32 v3, v3
	s_delay_alu instid0(VALU_DEP_1) | instskip(SKIP_1) | instid1(VALU_DEP_2)
	v_fma_f32 v3, 0xcf800000, v3, |v1|
	v_ashrrev_i32_e32 v1, 31, v1
	v_cvt_u32_f32_e32 v3, v3
	s_delay_alu instid0(VALU_DEP_1) | instskip(NEXT) | instid1(VALU_DEP_1)
	v_xor_b32_e32 v3, v3, v1
	v_sub_nc_u32_e32 v6, v3, v1
.LBB22_2064:
	s_or_b32 exec_lo, exec_lo, s19
	s_mov_b32 s19, 0
	s_branch .LBB22_2070
.LBB22_2065:
	s_mov_b32 s19, -1
                                        ; implicit-def: $vgpr6
	s_branch .LBB22_2076
.LBB22_2066:
	s_and_not1_saveexec_b32 s20, s20
	s_cbranch_execz .LBB22_2051
.LBB22_2067:
	v_cmp_ne_u16_e32 vcc_lo, 0, v1
	s_and_not1_b32 s21, s21, exec_lo
	s_and_b32 s22, vcc_lo, exec_lo
	s_delay_alu instid0(SALU_CYCLE_1)
	s_or_b32 s21, s21, s22
	s_or_b32 exec_lo, exec_lo, s20
	v_mov_b32_e32 v6, 0
	s_and_saveexec_b32 s20, s21
	s_cbranch_execnz .LBB22_2052
	s_branch .LBB22_2053
.LBB22_2068:
	s_mov_b32 s19, -1
                                        ; implicit-def: $vgpr6
	s_branch .LBB22_2073
.LBB22_2069:
	s_mov_b32 s19, -1
                                        ; implicit-def: $vgpr6
.LBB22_2070:
	s_delay_alu instid0(SALU_CYCLE_1)
	s_and_b32 vcc_lo, exec_lo, s19
	s_cbranch_vccz .LBB22_2072
; %bb.2071:
	s_wait_loadcnt 0x0
	global_load_u8 v1, v[12:13], off
	s_wait_loadcnt 0x0
	v_lshlrev_b32_e32 v1, 24, v1
	s_delay_alu instid0(VALU_DEP_1) | instskip(NEXT) | instid1(VALU_DEP_1)
	v_and_b32_e32 v3, 0x7f000000, v1
	v_clz_i32_u32_e32 v5, v3
	v_add_nc_u32_e32 v7, 0x1000000, v3
	v_cmp_ne_u32_e32 vcc_lo, 0, v3
	s_delay_alu instid0(VALU_DEP_3) | instskip(NEXT) | instid1(VALU_DEP_1)
	v_min_u32_e32 v5, 32, v5
	v_sub_nc_u32_e64 v5, v5, 4 clamp
	s_delay_alu instid0(VALU_DEP_1) | instskip(NEXT) | instid1(VALU_DEP_1)
	v_dual_lshlrev_b32 v6, v5, v3 :: v_dual_lshlrev_b32 v5, 23, v5
	v_lshrrev_b32_e32 v6, 4, v6
	s_delay_alu instid0(VALU_DEP_1) | instskip(NEXT) | instid1(VALU_DEP_1)
	v_dual_sub_nc_u32 v5, v6, v5 :: v_dual_ashrrev_i32 v6, 8, v7
	v_add_nc_u32_e32 v5, 0x3c000000, v5
	s_delay_alu instid0(VALU_DEP_1) | instskip(NEXT) | instid1(VALU_DEP_1)
	v_and_or_b32 v5, 0x7f800000, v6, v5
	v_cndmask_b32_e32 v3, 0, v5, vcc_lo
	s_delay_alu instid0(VALU_DEP_1) | instskip(NEXT) | instid1(VALU_DEP_1)
	v_and_or_b32 v1, 0x80000000, v1, v3
	v_trunc_f32_e32 v1, v1
	s_delay_alu instid0(VALU_DEP_1) | instskip(NEXT) | instid1(VALU_DEP_1)
	v_mul_f32_e64 v3, 0x2f800000, |v1|
	v_floor_f32_e32 v3, v3
	s_delay_alu instid0(VALU_DEP_1) | instskip(SKIP_1) | instid1(VALU_DEP_2)
	v_fma_f32 v3, 0xcf800000, v3, |v1|
	v_ashrrev_i32_e32 v1, 31, v1
	v_cvt_u32_f32_e32 v3, v3
	s_delay_alu instid0(VALU_DEP_1) | instskip(NEXT) | instid1(VALU_DEP_1)
	v_xor_b32_e32 v3, v3, v1
	v_sub_nc_u32_e32 v6, v3, v1
.LBB22_2072:
	s_mov_b32 s19, 0
.LBB22_2073:
	s_delay_alu instid0(SALU_CYCLE_1)
	s_and_not1_b32 vcc_lo, exec_lo, s19
	s_cbranch_vccnz .LBB22_2075
; %bb.2074:
	s_wait_loadcnt 0x0
	global_load_u8 v1, v[12:13], off
	s_wait_loadcnt 0x0
	v_lshlrev_b32_e32 v3, 25, v1
	v_lshlrev_b16 v1, 8, v1
	s_delay_alu instid0(VALU_DEP_1) | instskip(SKIP_1) | instid1(VALU_DEP_2)
	v_and_or_b32 v6, 0x7f00, v1, 0.5
	v_bfe_i32 v1, v1, 0, 16
	v_dual_add_f32 v6, -0.5, v6 :: v_dual_lshrrev_b32 v5, 4, v3
	v_cmp_gt_u32_e32 vcc_lo, 0x8000000, v3
	s_delay_alu instid0(VALU_DEP_2) | instskip(NEXT) | instid1(VALU_DEP_1)
	v_or_b32_e32 v5, 0x70000000, v5
	v_mul_f32_e32 v5, 0x7800000, v5
	s_delay_alu instid0(VALU_DEP_1) | instskip(NEXT) | instid1(VALU_DEP_1)
	v_cndmask_b32_e32 v3, v5, v6, vcc_lo
	v_and_or_b32 v1, 0x80000000, v1, v3
	s_delay_alu instid0(VALU_DEP_1) | instskip(NEXT) | instid1(VALU_DEP_1)
	v_trunc_f32_e32 v1, v1
	v_mul_f32_e64 v3, 0x2f800000, |v1|
	s_delay_alu instid0(VALU_DEP_1) | instskip(NEXT) | instid1(VALU_DEP_1)
	v_floor_f32_e32 v3, v3
	v_fma_f32 v3, 0xcf800000, v3, |v1|
	v_ashrrev_i32_e32 v1, 31, v1
	s_delay_alu instid0(VALU_DEP_2) | instskip(NEXT) | instid1(VALU_DEP_1)
	v_cvt_u32_f32_e32 v3, v3
	v_xor_b32_e32 v3, v3, v1
	s_delay_alu instid0(VALU_DEP_1)
	v_sub_nc_u32_e32 v6, v3, v1
.LBB22_2075:
	s_mov_b32 s19, 0
	s_mov_b32 s20, -1
.LBB22_2076:
	s_and_not1_b32 vcc_lo, exec_lo, s19
	s_mov_b32 s19, 0
	s_cbranch_vccnz .LBB22_2087
; %bb.2077:
	s_cmp_gt_i32 s12, 14
	s_cbranch_scc0 .LBB22_2080
; %bb.2078:
	s_cmp_eq_u32 s12, 15
	s_cbranch_scc0 .LBB22_2083
; %bb.2079:
	s_wait_loadcnt 0x0
	global_load_u16 v1, v[12:13], off
	s_mov_b32 s18, 0
	s_mov_b32 s20, -1
	s_wait_loadcnt 0x0
	v_lshlrev_b32_e32 v1, 16, v1
	s_delay_alu instid0(VALU_DEP_1) | instskip(NEXT) | instid1(VALU_DEP_1)
	v_trunc_f32_e32 v1, v1
	v_mul_f32_e64 v3, 0x2f800000, |v1|
	s_delay_alu instid0(VALU_DEP_1) | instskip(NEXT) | instid1(VALU_DEP_1)
	v_floor_f32_e32 v3, v3
	v_fma_f32 v3, 0xcf800000, v3, |v1|
	v_ashrrev_i32_e32 v1, 31, v1
	s_delay_alu instid0(VALU_DEP_2) | instskip(NEXT) | instid1(VALU_DEP_1)
	v_cvt_u32_f32_e32 v3, v3
	v_xor_b32_e32 v3, v3, v1
	s_delay_alu instid0(VALU_DEP_1)
	v_sub_nc_u32_e32 v6, v3, v1
	s_branch .LBB22_2085
.LBB22_2080:
	s_mov_b32 s19, -1
	s_branch .LBB22_2084
.LBB22_2081:
	s_and_not1_saveexec_b32 s19, s19
	s_cbranch_execz .LBB22_2062
.LBB22_2082:
	v_cmp_ne_u16_e32 vcc_lo, 0, v1
	s_and_not1_b32 s20, s20, exec_lo
	s_and_b32 s21, vcc_lo, exec_lo
	s_delay_alu instid0(SALU_CYCLE_1)
	s_or_b32 s20, s20, s21
	s_or_b32 exec_lo, exec_lo, s19
	v_mov_b32_e32 v6, 0
	s_and_saveexec_b32 s19, s20
	s_cbranch_execnz .LBB22_2063
	s_branch .LBB22_2064
.LBB22_2083:
	s_mov_b32 s18, -1
.LBB22_2084:
                                        ; implicit-def: $vgpr6
.LBB22_2085:
	s_and_b32 vcc_lo, exec_lo, s19
	s_mov_b32 s19, 0
	s_cbranch_vccz .LBB22_2087
; %bb.2086:
	s_cmp_lg_u32 s12, 11
	s_mov_b32 s19, -1
	s_cselect_b32 s18, -1, 0
.LBB22_2087:
	s_delay_alu instid0(SALU_CYCLE_1)
	s_and_b32 vcc_lo, exec_lo, s18
	s_cbranch_vccnz .LBB22_2171
; %bb.2088:
	s_and_not1_b32 vcc_lo, exec_lo, s19
	s_cbranch_vccnz .LBB22_2090
.LBB22_2089:
	s_wait_loadcnt 0x0
	global_load_u8 v1, v[12:13], off
	s_mov_b32 s20, -1
	s_wait_loadcnt 0x0
	v_cmp_ne_u16_e32 vcc_lo, 0, v1
	v_cndmask_b32_e64 v6, 0, 1, vcc_lo
.LBB22_2090:
	s_mov_b32 s12, 0
.LBB22_2091:
	s_delay_alu instid0(SALU_CYCLE_1)
	s_and_b32 vcc_lo, exec_lo, s12
	s_cbranch_vccz .LBB22_2140
; %bb.2092:
	s_and_b32 s12, 0xffff, s7
	s_delay_alu instid0(SALU_CYCLE_1)
	s_cmp_lt_i32 s12, 5
	s_cbranch_scc1 .LBB22_2097
; %bb.2093:
	s_cmp_lt_i32 s12, 8
	s_cbranch_scc1 .LBB22_2098
; %bb.2094:
	;; [unrolled: 3-line block ×3, first 2 shown]
	s_cmp_gt_i32 s12, 9
	s_cbranch_scc0 .LBB22_2100
; %bb.2096:
	s_wait_loadcnt 0x0
	global_load_b64 v[6:7], v[12:13], off
	s_mov_b32 s18, 0
	s_wait_loadcnt 0x0
	v_trunc_f64_e32 v[6:7], v[6:7]
	s_delay_alu instid0(VALU_DEP_1) | instskip(NEXT) | instid1(VALU_DEP_1)
	v_ldexp_f64 v[14:15], v[6:7], 0xffffffe0
	v_floor_f64_e32 v[14:15], v[14:15]
	s_delay_alu instid0(VALU_DEP_1) | instskip(NEXT) | instid1(VALU_DEP_1)
	v_fmamk_f64 v[6:7], v[14:15], 0xc1f00000, v[6:7]
	v_cvt_u32_f64_e32 v6, v[6:7]
	s_branch .LBB22_2101
.LBB22_2097:
	s_mov_b32 s18, -1
                                        ; implicit-def: $vgpr6
	s_branch .LBB22_2119
.LBB22_2098:
	s_mov_b32 s18, -1
                                        ; implicit-def: $vgpr6
	s_branch .LBB22_2107
.LBB22_2099:
	s_mov_b32 s18, -1
                                        ; implicit-def: $vgpr6
	s_branch .LBB22_2104
.LBB22_2100:
	s_mov_b32 s18, -1
                                        ; implicit-def: $vgpr6
.LBB22_2101:
	s_delay_alu instid0(SALU_CYCLE_1)
	s_and_not1_b32 vcc_lo, exec_lo, s18
	s_cbranch_vccnz .LBB22_2103
; %bb.2102:
	s_wait_loadcnt 0x0
	global_load_b32 v1, v[12:13], off
	s_wait_loadcnt 0x0
	v_trunc_f32_e32 v1, v1
	s_delay_alu instid0(VALU_DEP_1) | instskip(NEXT) | instid1(VALU_DEP_1)
	v_mul_f32_e64 v3, 0x2f800000, |v1|
	v_floor_f32_e32 v3, v3
	s_delay_alu instid0(VALU_DEP_1) | instskip(SKIP_1) | instid1(VALU_DEP_2)
	v_fma_f32 v3, 0xcf800000, v3, |v1|
	v_ashrrev_i32_e32 v1, 31, v1
	v_cvt_u32_f32_e32 v3, v3
	s_delay_alu instid0(VALU_DEP_1) | instskip(NEXT) | instid1(VALU_DEP_1)
	v_xor_b32_e32 v3, v3, v1
	v_sub_nc_u32_e32 v6, v3, v1
.LBB22_2103:
	s_mov_b32 s18, 0
.LBB22_2104:
	s_delay_alu instid0(SALU_CYCLE_1)
	s_and_not1_b32 vcc_lo, exec_lo, s18
	s_cbranch_vccnz .LBB22_2106
; %bb.2105:
	s_wait_loadcnt 0x0
	global_load_b32 v1, v[12:13], off
	s_wait_loadcnt 0x0
	v_cvt_f32_f16_e32 v1, v1
	s_delay_alu instid0(VALU_DEP_1)
	v_cvt_i32_f32_e32 v6, v1
.LBB22_2106:
	s_mov_b32 s18, 0
.LBB22_2107:
	s_delay_alu instid0(SALU_CYCLE_1)
	s_and_not1_b32 vcc_lo, exec_lo, s18
	s_cbranch_vccnz .LBB22_2118
; %bb.2108:
	s_cmp_lt_i32 s12, 6
	s_cbranch_scc1 .LBB22_2111
; %bb.2109:
	s_cmp_gt_i32 s12, 6
	s_cbranch_scc0 .LBB22_2112
; %bb.2110:
	s_wait_loadcnt 0x0
	global_load_b64 v[6:7], v[12:13], off
	s_mov_b32 s18, 0
	s_wait_loadcnt 0x0
	v_trunc_f64_e32 v[6:7], v[6:7]
	s_delay_alu instid0(VALU_DEP_1) | instskip(NEXT) | instid1(VALU_DEP_1)
	v_ldexp_f64 v[14:15], v[6:7], 0xffffffe0
	v_floor_f64_e32 v[14:15], v[14:15]
	s_delay_alu instid0(VALU_DEP_1) | instskip(NEXT) | instid1(VALU_DEP_1)
	v_fmamk_f64 v[6:7], v[14:15], 0xc1f00000, v[6:7]
	v_cvt_u32_f64_e32 v6, v[6:7]
	s_branch .LBB22_2113
.LBB22_2111:
	s_mov_b32 s18, -1
                                        ; implicit-def: $vgpr6
	s_branch .LBB22_2116
.LBB22_2112:
	s_mov_b32 s18, -1
                                        ; implicit-def: $vgpr6
.LBB22_2113:
	s_delay_alu instid0(SALU_CYCLE_1)
	s_and_not1_b32 vcc_lo, exec_lo, s18
	s_cbranch_vccnz .LBB22_2115
; %bb.2114:
	s_wait_loadcnt 0x0
	global_load_b32 v1, v[12:13], off
	s_wait_loadcnt 0x0
	v_trunc_f32_e32 v1, v1
	s_delay_alu instid0(VALU_DEP_1) | instskip(NEXT) | instid1(VALU_DEP_1)
	v_mul_f32_e64 v3, 0x2f800000, |v1|
	v_floor_f32_e32 v3, v3
	s_delay_alu instid0(VALU_DEP_1) | instskip(SKIP_1) | instid1(VALU_DEP_2)
	v_fma_f32 v3, 0xcf800000, v3, |v1|
	v_ashrrev_i32_e32 v1, 31, v1
	v_cvt_u32_f32_e32 v3, v3
	s_delay_alu instid0(VALU_DEP_1) | instskip(NEXT) | instid1(VALU_DEP_1)
	v_xor_b32_e32 v3, v3, v1
	v_sub_nc_u32_e32 v6, v3, v1
.LBB22_2115:
	s_mov_b32 s18, 0
.LBB22_2116:
	s_delay_alu instid0(SALU_CYCLE_1)
	s_and_not1_b32 vcc_lo, exec_lo, s18
	s_cbranch_vccnz .LBB22_2118
; %bb.2117:
	s_wait_loadcnt 0x0
	global_load_u16 v1, v[12:13], off
	s_wait_loadcnt 0x0
	v_cvt_f32_f16_e32 v1, v1
	s_delay_alu instid0(VALU_DEP_1)
	v_cvt_i32_f32_e32 v6, v1
.LBB22_2118:
	s_mov_b32 s18, 0
.LBB22_2119:
	s_delay_alu instid0(SALU_CYCLE_1)
	s_and_not1_b32 vcc_lo, exec_lo, s18
	s_cbranch_vccnz .LBB22_2139
; %bb.2120:
	s_cmp_lt_i32 s12, 2
	s_cbranch_scc1 .LBB22_2124
; %bb.2121:
	s_cmp_lt_i32 s12, 3
	s_cbranch_scc1 .LBB22_2125
; %bb.2122:
	s_cmp_gt_i32 s12, 3
	s_cbranch_scc0 .LBB22_2126
; %bb.2123:
	s_wait_loadcnt 0x0
	global_load_b64 v[6:7], v[12:13], off
	s_mov_b32 s18, 0
	s_branch .LBB22_2127
.LBB22_2124:
	s_mov_b32 s18, -1
                                        ; implicit-def: $vgpr6
	s_branch .LBB22_2133
.LBB22_2125:
	s_mov_b32 s18, -1
                                        ; implicit-def: $vgpr6
	s_branch .LBB22_2130
.LBB22_2126:
	s_mov_b32 s18, -1
                                        ; implicit-def: $vgpr6
.LBB22_2127:
	s_delay_alu instid0(SALU_CYCLE_1)
	s_and_not1_b32 vcc_lo, exec_lo, s18
	s_cbranch_vccnz .LBB22_2129
; %bb.2128:
	s_wait_loadcnt 0x0
	global_load_b32 v6, v[12:13], off
.LBB22_2129:
	s_mov_b32 s18, 0
.LBB22_2130:
	s_delay_alu instid0(SALU_CYCLE_1)
	s_and_not1_b32 vcc_lo, exec_lo, s18
	s_cbranch_vccnz .LBB22_2132
; %bb.2131:
	s_wait_loadcnt 0x0
	global_load_u16 v6, v[12:13], off
.LBB22_2132:
	s_mov_b32 s18, 0
.LBB22_2133:
	s_delay_alu instid0(SALU_CYCLE_1)
	s_and_not1_b32 vcc_lo, exec_lo, s18
	s_cbranch_vccnz .LBB22_2139
; %bb.2134:
	s_cmp_gt_i32 s12, 0
	s_mov_b32 s12, 0
	s_cbranch_scc0 .LBB22_2136
; %bb.2135:
	s_wait_loadcnt 0x0
	global_load_u8 v6, v[12:13], off
	s_branch .LBB22_2137
.LBB22_2136:
	s_mov_b32 s12, -1
                                        ; implicit-def: $vgpr6
.LBB22_2137:
	s_delay_alu instid0(SALU_CYCLE_1)
	s_and_not1_b32 vcc_lo, exec_lo, s12
	s_cbranch_vccnz .LBB22_2139
; %bb.2138:
	s_wait_loadcnt 0x0
	global_load_u8 v6, v[12:13], off
.LBB22_2139:
	s_mov_b32 s20, -1
.LBB22_2140:
	s_delay_alu instid0(SALU_CYCLE_1)
	s_and_not1_b32 vcc_lo, exec_lo, s20
	s_cbranch_vccnz .LBB22_3126
; %bb.2141:
	s_cmp_lt_i32 s15, 23
	s_cbranch_scc1 .LBB22_2145
; %bb.2142:
	s_and_b32 s19, 0xffff, s15
	s_delay_alu instid0(SALU_CYCLE_1)
	s_cmp_gt_i32 s19, 43
	s_cbranch_scc0 .LBB22_2146
; %bb.2143:
	s_cmp_gt_i32 s19, 45
	s_cbranch_scc0 .LBB22_2147
; %bb.2144:
	s_cmp_lg_u32 s19, 46
	s_mov_b32 s20, 0
	s_mov_b32 s12, -1
	s_cselect_b32 s18, -1, 0
	s_branch .LBB22_2148
.LBB22_2145:
	s_mov_b32 s19, -1
	s_mov_b32 s12, 0
	s_mov_b32 s18, 0
	s_branch .LBB22_2154
.LBB22_2146:
	s_mov_b32 s20, -1
	s_mov_b32 s12, 0
	s_mov_b32 s18, 0
	s_branch .LBB22_2151
.LBB22_2147:
	s_mov_b32 s20, -1
	s_mov_b32 s12, 0
	s_mov_b32 s18, 0
.LBB22_2148:
	s_and_not1_b32 vcc_lo, exec_lo, s20
	s_cbranch_vccnz .LBB22_2150
; %bb.2149:
	s_cmp_eq_u32 s19, 44
	s_cselect_b32 s12, -1, 0
	s_cmp_lg_u32 s19, 44
	s_cselect_b32 s18, -1, 0
.LBB22_2150:
	s_mov_b32 s20, 0
.LBB22_2151:
	s_delay_alu instid0(SALU_CYCLE_1)
	s_and_b32 vcc_lo, exec_lo, s20
	s_cbranch_vccz .LBB22_2153
; %bb.2152:
	s_cmp_lt_i32 s19, 30
	s_cselect_b32 s12, -1, 0
	s_cmp_gt_i32 s19, 29
	s_cselect_b32 s18, -1, 0
.LBB22_2153:
	s_mov_b32 s19, 0
.LBB22_2154:
	s_delay_alu instid0(SALU_CYCLE_1)
	s_and_b32 vcc_lo, exec_lo, s19
	s_cbranch_vccz .LBB22_2159
; %bb.2155:
	s_and_b32 s19, 0xffff, s15
	s_mov_b32 s20, -1
	s_cmp_gt_i32 s19, 14
	s_cbranch_scc0 .LBB22_2157
; %bb.2156:
	s_cmp_eq_u32 s19, 15
	s_mov_b32 s20, 0
	s_cselect_b32 s12, -1, 0
	s_cmp_lg_u32 s19, 15
	s_cselect_b32 s18, -1, 0
.LBB22_2157:
	s_and_not1_b32 vcc_lo, exec_lo, s20
	s_cbranch_vccnz .LBB22_2159
; %bb.2158:
	s_cmp_lt_i32 s19, 12
	s_cselect_b32 s12, -1, 0
	s_cmp_gt_i32 s19, 11
	s_cselect_b32 s18, -1, 0
.LBB22_2159:
	s_delay_alu instid0(SALU_CYCLE_1)
	s_and_b32 vcc_lo, exec_lo, s18
	s_cbranch_vccnz .LBB22_2172
; %bb.2160:
	s_and_not1_b32 vcc_lo, exec_lo, s12
	s_cbranch_vccnz .LBB22_3126
.LBB22_2161:
	s_wait_xcnt 0x0
	v_add_nc_u32_e32 v12, s4, v8
	s_cmp_lt_i32 s0, 11
	s_delay_alu instid0(VALU_DEP_1) | instskip(NEXT) | instid1(VALU_DEP_1)
	v_ashrrev_i32_e32 v13, 31, v12
	v_add_nc_u64_e32 v[14:15], s[8:9], v[12:13]
	s_cbranch_scc1 .LBB22_2168
; %bb.2162:
	s_and_b32 s12, 0xffff, s0
	s_mov_b32 s19, 0
	s_cmp_gt_i32 s12, 25
	s_cbranch_scc0 .LBB22_2169
; %bb.2163:
	s_cmp_gt_i32 s12, 28
	s_cbranch_scc0 .LBB22_2170
; %bb.2164:
	;; [unrolled: 3-line block ×4, first 2 shown]
	s_cmp_eq_u32 s12, 46
	s_mov_b32 s21, 0
	s_cbranch_scc0 .LBB22_2177
; %bb.2167:
	s_wait_loadcnt 0x0
	global_load_b32 v1, v[14:15], off
	s_mov_b32 s18, 0
	s_mov_b32 s20, -1
	s_wait_loadcnt 0x0
	v_lshlrev_b32_e32 v1, 16, v1
	s_delay_alu instid0(VALU_DEP_1) | instskip(NEXT) | instid1(VALU_DEP_1)
	v_trunc_f32_e32 v1, v1
	v_mul_f32_e64 v3, 0x2f800000, |v1|
	s_delay_alu instid0(VALU_DEP_1) | instskip(NEXT) | instid1(VALU_DEP_1)
	v_floor_f32_e32 v3, v3
	v_fma_f32 v3, 0xcf800000, v3, |v1|
	v_ashrrev_i32_e32 v1, 31, v1
	s_delay_alu instid0(VALU_DEP_2) | instskip(NEXT) | instid1(VALU_DEP_1)
	v_cvt_u32_f32_e32 v3, v3
	v_xor_b32_e32 v3, v3, v1
	s_delay_alu instid0(VALU_DEP_1)
	v_sub_nc_u32_e32 v8, v3, v1
	s_branch .LBB22_2179
.LBB22_2168:
	s_mov_b32 s12, -1
	s_mov_b32 s20, 0
                                        ; implicit-def: $vgpr8
	s_branch .LBB22_2241
.LBB22_2169:
	s_mov_b32 s21, -1
	s_mov_b32 s20, 0
	s_mov_b32 s18, 0
                                        ; implicit-def: $vgpr8
	s_branch .LBB22_2206
.LBB22_2170:
	s_mov_b32 s21, -1
	s_mov_b32 s20, 0
	s_mov_b32 s18, 0
                                        ; implicit-def: $vgpr8
	s_branch .LBB22_2189
.LBB22_2171:
	s_or_b32 s13, s13, exec_lo
	s_trap 2
	s_cbranch_execz .LBB22_2089
	s_branch .LBB22_2090
.LBB22_2172:
	s_or_b32 s13, s13, exec_lo
	s_trap 2
	s_cbranch_execz .LBB22_2161
	s_branch .LBB22_3126
.LBB22_2173:
	s_mov_b32 s21, -1
	s_mov_b32 s20, 0
	s_mov_b32 s18, 0
                                        ; implicit-def: $vgpr8
	s_branch .LBB22_2184
.LBB22_2174:
	s_and_not1_saveexec_b32 s37, s37
	s_cbranch_execz .LBB22_1119
.LBB22_2175:
	v_add_f32_e32 v3, 0x42800000, v4
	s_and_not1_b32 s36, s36, exec_lo
	s_delay_alu instid0(VALU_DEP_1) | instskip(NEXT) | instid1(VALU_DEP_1)
	v_and_b32_e32 v3, 0xff, v3
	v_cmp_ne_u32_e32 vcc_lo, 0, v3
	s_and_b32 s38, vcc_lo, exec_lo
	s_delay_alu instid0(SALU_CYCLE_1)
	s_or_b32 s36, s36, s38
	s_or_b32 exec_lo, exec_lo, s37
	v_mov_b32_e32 v5, 0
	s_and_saveexec_b32 s37, s36
	s_cbranch_execnz .LBB22_1120
	s_branch .LBB22_1121
.LBB22_2176:
	s_mov_b32 s21, -1
	s_mov_b32 s20, 0
	s_mov_b32 s18, 0
	s_branch .LBB22_2178
.LBB22_2177:
	s_mov_b32 s18, -1
	s_mov_b32 s20, 0
.LBB22_2178:
                                        ; implicit-def: $vgpr8
.LBB22_2179:
	s_and_b32 vcc_lo, exec_lo, s21
	s_cbranch_vccz .LBB22_2183
; %bb.2180:
	s_cmp_eq_u32 s12, 44
	s_cbranch_scc0 .LBB22_2182
; %bb.2181:
	s_wait_loadcnt 0x0
	global_load_u8 v1, v[14:15], off
	s_mov_b32 s18, 0
	s_mov_b32 s20, -1
	s_wait_loadcnt 0x0
	v_lshlrev_b32_e32 v3, 23, v1
	v_cmp_ne_u32_e32 vcc_lo, 0, v1
	s_delay_alu instid0(VALU_DEP_2) | instskip(NEXT) | instid1(VALU_DEP_1)
	v_trunc_f32_e32 v3, v3
	v_mul_f32_e64 v5, 0x2f800000, |v3|
	s_delay_alu instid0(VALU_DEP_1) | instskip(NEXT) | instid1(VALU_DEP_1)
	v_floor_f32_e32 v5, v5
	v_fma_f32 v5, 0xcf800000, v5, |v3|
	v_ashrrev_i32_e32 v3, 31, v3
	s_delay_alu instid0(VALU_DEP_2) | instskip(NEXT) | instid1(VALU_DEP_1)
	v_cvt_u32_f32_e32 v5, v5
	v_xor_b32_e32 v5, v5, v3
	s_delay_alu instid0(VALU_DEP_1) | instskip(NEXT) | instid1(VALU_DEP_1)
	v_sub_nc_u32_e32 v3, v5, v3
	v_cndmask_b32_e32 v8, 0, v3, vcc_lo
	s_branch .LBB22_2183
.LBB22_2182:
	s_mov_b32 s18, -1
                                        ; implicit-def: $vgpr8
.LBB22_2183:
	s_mov_b32 s21, 0
.LBB22_2184:
	s_delay_alu instid0(SALU_CYCLE_1)
	s_and_b32 vcc_lo, exec_lo, s21
	s_cbranch_vccz .LBB22_2188
; %bb.2185:
	s_cmp_eq_u32 s12, 29
	s_cbranch_scc0 .LBB22_2187
; %bb.2186:
	global_load_b64 v[8:9], v[14:15], off
	s_mov_b32 s18, 0
	s_mov_b32 s20, -1
	s_branch .LBB22_2188
.LBB22_2187:
	s_mov_b32 s18, -1
                                        ; implicit-def: $vgpr8
.LBB22_2188:
	s_mov_b32 s21, 0
.LBB22_2189:
	s_delay_alu instid0(SALU_CYCLE_1)
	s_and_b32 vcc_lo, exec_lo, s21
	s_cbranch_vccz .LBB22_2205
; %bb.2190:
	s_cmp_lt_i32 s12, 27
	s_cbranch_scc1 .LBB22_2193
; %bb.2191:
	s_cmp_gt_i32 s12, 27
	s_cbranch_scc0 .LBB22_2194
; %bb.2192:
	s_wait_loadcnt 0x0
	global_load_b32 v8, v[14:15], off
	s_mov_b32 s20, 0
	s_branch .LBB22_2195
.LBB22_2193:
	s_mov_b32 s20, -1
                                        ; implicit-def: $vgpr8
	s_branch .LBB22_2198
.LBB22_2194:
	s_mov_b32 s20, -1
                                        ; implicit-def: $vgpr8
.LBB22_2195:
	s_delay_alu instid0(SALU_CYCLE_1)
	s_and_not1_b32 vcc_lo, exec_lo, s20
	s_cbranch_vccnz .LBB22_2197
; %bb.2196:
	s_wait_loadcnt 0x0
	global_load_u16 v8, v[14:15], off
.LBB22_2197:
	s_mov_b32 s20, 0
.LBB22_2198:
	s_delay_alu instid0(SALU_CYCLE_1)
	s_and_not1_b32 vcc_lo, exec_lo, s20
	s_cbranch_vccnz .LBB22_2204
; %bb.2199:
	s_wait_loadcnt 0x0
	global_load_u8 v1, v[14:15], off
	s_mov_b32 s21, 0
	s_mov_b32 s20, exec_lo
	s_wait_loadcnt 0x0
	v_cmpx_lt_i16_e32 0x7f, v1
	s_xor_b32 s20, exec_lo, s20
	s_cbranch_execz .LBB22_2216
; %bb.2200:
	v_cmp_ne_u16_e32 vcc_lo, 0x80, v1
	s_and_b32 s21, vcc_lo, exec_lo
	s_and_not1_saveexec_b32 s20, s20
	s_cbranch_execnz .LBB22_2217
.LBB22_2201:
	s_or_b32 exec_lo, exec_lo, s20
	v_mov_b32_e32 v8, 0
	s_and_saveexec_b32 s20, s21
	s_cbranch_execz .LBB22_2203
.LBB22_2202:
	v_and_b32_e32 v3, 0xffff, v1
	s_delay_alu instid0(VALU_DEP_1) | instskip(SKIP_1) | instid1(VALU_DEP_2)
	v_dual_lshlrev_b32 v1, 24, v1 :: v_dual_bitop2_b32 v5, 7, v3 bitop3:0x40
	v_bfe_u32 v9, v3, 3, 4
	v_and_b32_e32 v1, 0x80000000, v1
	s_delay_alu instid0(VALU_DEP_3) | instskip(NEXT) | instid1(VALU_DEP_3)
	v_clz_i32_u32_e32 v7, v5
	v_cmp_eq_u32_e32 vcc_lo, 0, v9
	s_delay_alu instid0(VALU_DEP_2) | instskip(NEXT) | instid1(VALU_DEP_1)
	v_min_u32_e32 v7, 32, v7
	v_subrev_nc_u32_e32 v8, 28, v7
	v_sub_nc_u32_e32 v7, 29, v7
	s_delay_alu instid0(VALU_DEP_2) | instskip(NEXT) | instid1(VALU_DEP_2)
	v_lshlrev_b32_e32 v3, v8, v3
	v_cndmask_b32_e32 v7, v9, v7, vcc_lo
	s_delay_alu instid0(VALU_DEP_2) | instskip(NEXT) | instid1(VALU_DEP_1)
	v_and_b32_e32 v3, 7, v3
	v_cndmask_b32_e32 v3, v5, v3, vcc_lo
	s_delay_alu instid0(VALU_DEP_3) | instskip(NEXT) | instid1(VALU_DEP_2)
	v_lshl_add_u32 v5, v7, 23, 0x3b800000
	v_lshlrev_b32_e32 v3, 20, v3
	s_delay_alu instid0(VALU_DEP_1) | instskip(NEXT) | instid1(VALU_DEP_1)
	v_or3_b32 v1, v1, v5, v3
	v_trunc_f32_e32 v1, v1
	s_delay_alu instid0(VALU_DEP_1) | instskip(NEXT) | instid1(VALU_DEP_1)
	v_mul_f32_e64 v3, 0x2f800000, |v1|
	v_floor_f32_e32 v3, v3
	s_delay_alu instid0(VALU_DEP_1) | instskip(SKIP_1) | instid1(VALU_DEP_2)
	v_fma_f32 v3, 0xcf800000, v3, |v1|
	v_ashrrev_i32_e32 v1, 31, v1
	v_cvt_u32_f32_e32 v3, v3
	s_delay_alu instid0(VALU_DEP_1) | instskip(NEXT) | instid1(VALU_DEP_1)
	v_xor_b32_e32 v3, v3, v1
	v_sub_nc_u32_e32 v8, v3, v1
.LBB22_2203:
	s_or_b32 exec_lo, exec_lo, s20
.LBB22_2204:
	s_mov_b32 s20, -1
.LBB22_2205:
	s_mov_b32 s21, 0
.LBB22_2206:
	s_delay_alu instid0(SALU_CYCLE_1)
	s_and_b32 vcc_lo, exec_lo, s21
	s_cbranch_vccz .LBB22_2237
; %bb.2207:
	s_cmp_gt_i32 s12, 22
	s_cbranch_scc0 .LBB22_2215
; %bb.2208:
	s_cmp_lt_i32 s12, 24
	s_cbranch_scc1 .LBB22_2218
; %bb.2209:
	s_cmp_gt_i32 s12, 24
	s_cbranch_scc0 .LBB22_2219
; %bb.2210:
	s_wait_loadcnt 0x0
	global_load_u8 v1, v[14:15], off
	s_mov_b32 s20, 0
	s_mov_b32 s19, exec_lo
	s_wait_loadcnt 0x0
	v_cmpx_lt_i16_e32 0x7f, v1
	s_xor_b32 s19, exec_lo, s19
	s_cbranch_execz .LBB22_2231
; %bb.2211:
	v_cmp_ne_u16_e32 vcc_lo, 0x80, v1
	s_and_b32 s20, vcc_lo, exec_lo
	s_and_not1_saveexec_b32 s19, s19
	s_cbranch_execnz .LBB22_2232
.LBB22_2212:
	s_or_b32 exec_lo, exec_lo, s19
	v_mov_b32_e32 v8, 0
	s_and_saveexec_b32 s19, s20
	s_cbranch_execz .LBB22_2214
.LBB22_2213:
	v_and_b32_e32 v3, 0xffff, v1
	s_delay_alu instid0(VALU_DEP_1) | instskip(SKIP_1) | instid1(VALU_DEP_2)
	v_dual_lshlrev_b32 v1, 24, v1 :: v_dual_bitop2_b32 v5, 3, v3 bitop3:0x40
	v_bfe_u32 v9, v3, 2, 5
	v_and_b32_e32 v1, 0x80000000, v1
	s_delay_alu instid0(VALU_DEP_3) | instskip(NEXT) | instid1(VALU_DEP_3)
	v_clz_i32_u32_e32 v7, v5
	v_cmp_eq_u32_e32 vcc_lo, 0, v9
	s_delay_alu instid0(VALU_DEP_2) | instskip(NEXT) | instid1(VALU_DEP_1)
	v_min_u32_e32 v7, 32, v7
	v_subrev_nc_u32_e32 v8, 29, v7
	v_sub_nc_u32_e32 v7, 30, v7
	s_delay_alu instid0(VALU_DEP_2) | instskip(NEXT) | instid1(VALU_DEP_2)
	v_lshlrev_b32_e32 v3, v8, v3
	v_cndmask_b32_e32 v7, v9, v7, vcc_lo
	s_delay_alu instid0(VALU_DEP_2) | instskip(NEXT) | instid1(VALU_DEP_1)
	v_and_b32_e32 v3, 3, v3
	v_cndmask_b32_e32 v3, v5, v3, vcc_lo
	s_delay_alu instid0(VALU_DEP_3) | instskip(NEXT) | instid1(VALU_DEP_2)
	v_lshl_add_u32 v5, v7, 23, 0x37800000
	v_lshlrev_b32_e32 v3, 21, v3
	s_delay_alu instid0(VALU_DEP_1) | instskip(NEXT) | instid1(VALU_DEP_1)
	v_or3_b32 v1, v1, v5, v3
	v_trunc_f32_e32 v1, v1
	s_delay_alu instid0(VALU_DEP_1) | instskip(NEXT) | instid1(VALU_DEP_1)
	v_mul_f32_e64 v3, 0x2f800000, |v1|
	v_floor_f32_e32 v3, v3
	s_delay_alu instid0(VALU_DEP_1) | instskip(SKIP_1) | instid1(VALU_DEP_2)
	v_fma_f32 v3, 0xcf800000, v3, |v1|
	v_ashrrev_i32_e32 v1, 31, v1
	v_cvt_u32_f32_e32 v3, v3
	s_delay_alu instid0(VALU_DEP_1) | instskip(NEXT) | instid1(VALU_DEP_1)
	v_xor_b32_e32 v3, v3, v1
	v_sub_nc_u32_e32 v8, v3, v1
.LBB22_2214:
	s_or_b32 exec_lo, exec_lo, s19
	s_mov_b32 s19, 0
	s_branch .LBB22_2220
.LBB22_2215:
	s_mov_b32 s19, -1
                                        ; implicit-def: $vgpr8
	s_branch .LBB22_2226
.LBB22_2216:
	s_and_not1_saveexec_b32 s20, s20
	s_cbranch_execz .LBB22_2201
.LBB22_2217:
	v_cmp_ne_u16_e32 vcc_lo, 0, v1
	s_and_not1_b32 s21, s21, exec_lo
	s_and_b32 s22, vcc_lo, exec_lo
	s_delay_alu instid0(SALU_CYCLE_1)
	s_or_b32 s21, s21, s22
	s_or_b32 exec_lo, exec_lo, s20
	v_mov_b32_e32 v8, 0
	s_and_saveexec_b32 s20, s21
	s_cbranch_execnz .LBB22_2202
	s_branch .LBB22_2203
.LBB22_2218:
	s_mov_b32 s19, -1
                                        ; implicit-def: $vgpr8
	s_branch .LBB22_2223
.LBB22_2219:
	s_mov_b32 s19, -1
                                        ; implicit-def: $vgpr8
.LBB22_2220:
	s_delay_alu instid0(SALU_CYCLE_1)
	s_and_b32 vcc_lo, exec_lo, s19
	s_cbranch_vccz .LBB22_2222
; %bb.2221:
	s_wait_loadcnt 0x0
	global_load_u8 v1, v[14:15], off
	s_wait_loadcnt 0x0
	v_lshlrev_b32_e32 v1, 24, v1
	s_delay_alu instid0(VALU_DEP_1) | instskip(NEXT) | instid1(VALU_DEP_1)
	v_and_b32_e32 v3, 0x7f000000, v1
	v_clz_i32_u32_e32 v5, v3
	v_cmp_ne_u32_e32 vcc_lo, 0, v3
	v_add_nc_u32_e32 v8, 0x1000000, v3
	s_delay_alu instid0(VALU_DEP_3) | instskip(NEXT) | instid1(VALU_DEP_1)
	v_min_u32_e32 v5, 32, v5
	v_sub_nc_u32_e64 v5, v5, 4 clamp
	s_delay_alu instid0(VALU_DEP_1) | instskip(NEXT) | instid1(VALU_DEP_1)
	v_dual_lshlrev_b32 v7, v5, v3 :: v_dual_lshlrev_b32 v5, 23, v5
	v_lshrrev_b32_e32 v7, 4, v7
	s_delay_alu instid0(VALU_DEP_1) | instskip(NEXT) | instid1(VALU_DEP_1)
	v_dual_sub_nc_u32 v5, v7, v5 :: v_dual_ashrrev_i32 v7, 8, v8
	v_add_nc_u32_e32 v5, 0x3c000000, v5
	s_delay_alu instid0(VALU_DEP_1) | instskip(NEXT) | instid1(VALU_DEP_1)
	v_and_or_b32 v5, 0x7f800000, v7, v5
	v_cndmask_b32_e32 v3, 0, v5, vcc_lo
	s_delay_alu instid0(VALU_DEP_1) | instskip(NEXT) | instid1(VALU_DEP_1)
	v_and_or_b32 v1, 0x80000000, v1, v3
	v_trunc_f32_e32 v1, v1
	s_delay_alu instid0(VALU_DEP_1) | instskip(NEXT) | instid1(VALU_DEP_1)
	v_mul_f32_e64 v3, 0x2f800000, |v1|
	v_floor_f32_e32 v3, v3
	s_delay_alu instid0(VALU_DEP_1) | instskip(SKIP_1) | instid1(VALU_DEP_2)
	v_fma_f32 v3, 0xcf800000, v3, |v1|
	v_ashrrev_i32_e32 v1, 31, v1
	v_cvt_u32_f32_e32 v3, v3
	s_delay_alu instid0(VALU_DEP_1) | instskip(NEXT) | instid1(VALU_DEP_1)
	v_xor_b32_e32 v3, v3, v1
	v_sub_nc_u32_e32 v8, v3, v1
.LBB22_2222:
	s_mov_b32 s19, 0
.LBB22_2223:
	s_delay_alu instid0(SALU_CYCLE_1)
	s_and_not1_b32 vcc_lo, exec_lo, s19
	s_cbranch_vccnz .LBB22_2225
; %bb.2224:
	s_wait_loadcnt 0x0
	global_load_u8 v1, v[14:15], off
	s_wait_loadcnt 0x0
	v_lshlrev_b32_e32 v3, 25, v1
	v_lshlrev_b16 v1, 8, v1
	s_delay_alu instid0(VALU_DEP_1) | instskip(SKIP_1) | instid1(VALU_DEP_2)
	v_and_or_b32 v7, 0x7f00, v1, 0.5
	v_bfe_i32 v1, v1, 0, 16
	v_add_f32_e32 v7, -0.5, v7
	v_lshrrev_b32_e32 v5, 4, v3
	v_cmp_gt_u32_e32 vcc_lo, 0x8000000, v3
	s_delay_alu instid0(VALU_DEP_2) | instskip(NEXT) | instid1(VALU_DEP_1)
	v_or_b32_e32 v5, 0x70000000, v5
	v_mul_f32_e32 v5, 0x7800000, v5
	s_delay_alu instid0(VALU_DEP_1) | instskip(NEXT) | instid1(VALU_DEP_1)
	v_cndmask_b32_e32 v3, v5, v7, vcc_lo
	v_and_or_b32 v1, 0x80000000, v1, v3
	s_delay_alu instid0(VALU_DEP_1) | instskip(NEXT) | instid1(VALU_DEP_1)
	v_trunc_f32_e32 v1, v1
	v_mul_f32_e64 v3, 0x2f800000, |v1|
	s_delay_alu instid0(VALU_DEP_1) | instskip(NEXT) | instid1(VALU_DEP_1)
	v_floor_f32_e32 v3, v3
	v_fma_f32 v3, 0xcf800000, v3, |v1|
	v_ashrrev_i32_e32 v1, 31, v1
	s_delay_alu instid0(VALU_DEP_2) | instskip(NEXT) | instid1(VALU_DEP_1)
	v_cvt_u32_f32_e32 v3, v3
	v_xor_b32_e32 v3, v3, v1
	s_delay_alu instid0(VALU_DEP_1)
	v_sub_nc_u32_e32 v8, v3, v1
.LBB22_2225:
	s_mov_b32 s19, 0
	s_mov_b32 s20, -1
.LBB22_2226:
	s_and_not1_b32 vcc_lo, exec_lo, s19
	s_mov_b32 s19, 0
	s_cbranch_vccnz .LBB22_2237
; %bb.2227:
	s_cmp_gt_i32 s12, 14
	s_cbranch_scc0 .LBB22_2230
; %bb.2228:
	s_cmp_eq_u32 s12, 15
	s_cbranch_scc0 .LBB22_2233
; %bb.2229:
	s_wait_loadcnt 0x0
	global_load_u16 v1, v[14:15], off
	s_mov_b32 s18, 0
	s_mov_b32 s20, -1
	s_wait_loadcnt 0x0
	v_lshlrev_b32_e32 v1, 16, v1
	s_delay_alu instid0(VALU_DEP_1) | instskip(NEXT) | instid1(VALU_DEP_1)
	v_trunc_f32_e32 v1, v1
	v_mul_f32_e64 v3, 0x2f800000, |v1|
	s_delay_alu instid0(VALU_DEP_1) | instskip(NEXT) | instid1(VALU_DEP_1)
	v_floor_f32_e32 v3, v3
	v_fma_f32 v3, 0xcf800000, v3, |v1|
	v_ashrrev_i32_e32 v1, 31, v1
	s_delay_alu instid0(VALU_DEP_2) | instskip(NEXT) | instid1(VALU_DEP_1)
	v_cvt_u32_f32_e32 v3, v3
	v_xor_b32_e32 v3, v3, v1
	s_delay_alu instid0(VALU_DEP_1)
	v_sub_nc_u32_e32 v8, v3, v1
	s_branch .LBB22_2235
.LBB22_2230:
	s_mov_b32 s19, -1
	s_branch .LBB22_2234
.LBB22_2231:
	s_and_not1_saveexec_b32 s19, s19
	s_cbranch_execz .LBB22_2212
.LBB22_2232:
	v_cmp_ne_u16_e32 vcc_lo, 0, v1
	s_and_not1_b32 s20, s20, exec_lo
	s_and_b32 s21, vcc_lo, exec_lo
	s_delay_alu instid0(SALU_CYCLE_1)
	s_or_b32 s20, s20, s21
	s_or_b32 exec_lo, exec_lo, s19
	v_mov_b32_e32 v8, 0
	s_and_saveexec_b32 s19, s20
	s_cbranch_execnz .LBB22_2213
	s_branch .LBB22_2214
.LBB22_2233:
	s_mov_b32 s18, -1
.LBB22_2234:
                                        ; implicit-def: $vgpr8
.LBB22_2235:
	s_and_b32 vcc_lo, exec_lo, s19
	s_mov_b32 s19, 0
	s_cbranch_vccz .LBB22_2237
; %bb.2236:
	s_cmp_lg_u32 s12, 11
	s_mov_b32 s19, -1
	s_cselect_b32 s18, -1, 0
.LBB22_2237:
	s_delay_alu instid0(SALU_CYCLE_1)
	s_and_b32 vcc_lo, exec_lo, s18
	s_cbranch_vccnz .LBB22_2302
; %bb.2238:
	s_and_not1_b32 vcc_lo, exec_lo, s19
	s_cbranch_vccnz .LBB22_2240
.LBB22_2239:
	s_wait_loadcnt 0x0
	global_load_u8 v1, v[14:15], off
	s_mov_b32 s20, -1
	s_wait_loadcnt 0x0
	v_cmp_ne_u16_e32 vcc_lo, 0, v1
	v_cndmask_b32_e64 v8, 0, 1, vcc_lo
.LBB22_2240:
	s_mov_b32 s12, 0
.LBB22_2241:
	s_delay_alu instid0(SALU_CYCLE_1)
	s_and_b32 vcc_lo, exec_lo, s12
	s_cbranch_vccz .LBB22_2290
; %bb.2242:
	s_and_b32 s12, 0xffff, s0
	s_delay_alu instid0(SALU_CYCLE_1)
	s_cmp_lt_i32 s12, 5
	s_cbranch_scc1 .LBB22_2247
; %bb.2243:
	s_cmp_lt_i32 s12, 8
	s_cbranch_scc1 .LBB22_2248
; %bb.2244:
	;; [unrolled: 3-line block ×3, first 2 shown]
	s_cmp_gt_i32 s12, 9
	s_cbranch_scc0 .LBB22_2250
; %bb.2246:
	s_wait_loadcnt 0x0
	global_load_b64 v[8:9], v[14:15], off
	s_mov_b32 s18, 0
	s_wait_loadcnt 0x0
	v_trunc_f64_e32 v[8:9], v[8:9]
	s_delay_alu instid0(VALU_DEP_1) | instskip(NEXT) | instid1(VALU_DEP_1)
	v_ldexp_f64 v[16:17], v[8:9], 0xffffffe0
	v_floor_f64_e32 v[16:17], v[16:17]
	s_delay_alu instid0(VALU_DEP_1) | instskip(NEXT) | instid1(VALU_DEP_1)
	v_fmamk_f64 v[8:9], v[16:17], 0xc1f00000, v[8:9]
	v_cvt_u32_f64_e32 v8, v[8:9]
	s_branch .LBB22_2251
.LBB22_2247:
	s_mov_b32 s18, -1
                                        ; implicit-def: $vgpr8
	s_branch .LBB22_2269
.LBB22_2248:
	s_mov_b32 s18, -1
                                        ; implicit-def: $vgpr8
	s_branch .LBB22_2257
.LBB22_2249:
	s_mov_b32 s18, -1
                                        ; implicit-def: $vgpr8
	s_branch .LBB22_2254
.LBB22_2250:
	s_mov_b32 s18, -1
                                        ; implicit-def: $vgpr8
.LBB22_2251:
	s_delay_alu instid0(SALU_CYCLE_1)
	s_and_not1_b32 vcc_lo, exec_lo, s18
	s_cbranch_vccnz .LBB22_2253
; %bb.2252:
	s_wait_loadcnt 0x0
	global_load_b32 v1, v[14:15], off
	s_wait_loadcnt 0x0
	v_trunc_f32_e32 v1, v1
	s_delay_alu instid0(VALU_DEP_1) | instskip(NEXT) | instid1(VALU_DEP_1)
	v_mul_f32_e64 v3, 0x2f800000, |v1|
	v_floor_f32_e32 v3, v3
	s_delay_alu instid0(VALU_DEP_1) | instskip(SKIP_1) | instid1(VALU_DEP_2)
	v_fma_f32 v3, 0xcf800000, v3, |v1|
	v_ashrrev_i32_e32 v1, 31, v1
	v_cvt_u32_f32_e32 v3, v3
	s_delay_alu instid0(VALU_DEP_1) | instskip(NEXT) | instid1(VALU_DEP_1)
	v_xor_b32_e32 v3, v3, v1
	v_sub_nc_u32_e32 v8, v3, v1
.LBB22_2253:
	s_mov_b32 s18, 0
.LBB22_2254:
	s_delay_alu instid0(SALU_CYCLE_1)
	s_and_not1_b32 vcc_lo, exec_lo, s18
	s_cbranch_vccnz .LBB22_2256
; %bb.2255:
	s_wait_loadcnt 0x0
	global_load_b32 v1, v[14:15], off
	s_wait_loadcnt 0x0
	v_cvt_f32_f16_e32 v1, v1
	s_delay_alu instid0(VALU_DEP_1)
	v_cvt_i32_f32_e32 v8, v1
.LBB22_2256:
	s_mov_b32 s18, 0
.LBB22_2257:
	s_delay_alu instid0(SALU_CYCLE_1)
	s_and_not1_b32 vcc_lo, exec_lo, s18
	s_cbranch_vccnz .LBB22_2268
; %bb.2258:
	s_cmp_lt_i32 s12, 6
	s_cbranch_scc1 .LBB22_2261
; %bb.2259:
	s_cmp_gt_i32 s12, 6
	s_cbranch_scc0 .LBB22_2262
; %bb.2260:
	s_wait_loadcnt 0x0
	global_load_b64 v[8:9], v[14:15], off
	s_mov_b32 s18, 0
	s_wait_loadcnt 0x0
	v_trunc_f64_e32 v[8:9], v[8:9]
	s_delay_alu instid0(VALU_DEP_1) | instskip(NEXT) | instid1(VALU_DEP_1)
	v_ldexp_f64 v[16:17], v[8:9], 0xffffffe0
	v_floor_f64_e32 v[16:17], v[16:17]
	s_delay_alu instid0(VALU_DEP_1) | instskip(NEXT) | instid1(VALU_DEP_1)
	v_fmamk_f64 v[8:9], v[16:17], 0xc1f00000, v[8:9]
	v_cvt_u32_f64_e32 v8, v[8:9]
	s_branch .LBB22_2263
.LBB22_2261:
	s_mov_b32 s18, -1
                                        ; implicit-def: $vgpr8
	s_branch .LBB22_2266
.LBB22_2262:
	s_mov_b32 s18, -1
                                        ; implicit-def: $vgpr8
.LBB22_2263:
	s_delay_alu instid0(SALU_CYCLE_1)
	s_and_not1_b32 vcc_lo, exec_lo, s18
	s_cbranch_vccnz .LBB22_2265
; %bb.2264:
	s_wait_loadcnt 0x0
	global_load_b32 v1, v[14:15], off
	s_wait_loadcnt 0x0
	v_trunc_f32_e32 v1, v1
	s_delay_alu instid0(VALU_DEP_1) | instskip(NEXT) | instid1(VALU_DEP_1)
	v_mul_f32_e64 v3, 0x2f800000, |v1|
	v_floor_f32_e32 v3, v3
	s_delay_alu instid0(VALU_DEP_1) | instskip(SKIP_1) | instid1(VALU_DEP_2)
	v_fma_f32 v3, 0xcf800000, v3, |v1|
	v_ashrrev_i32_e32 v1, 31, v1
	v_cvt_u32_f32_e32 v3, v3
	s_delay_alu instid0(VALU_DEP_1) | instskip(NEXT) | instid1(VALU_DEP_1)
	v_xor_b32_e32 v3, v3, v1
	v_sub_nc_u32_e32 v8, v3, v1
.LBB22_2265:
	s_mov_b32 s18, 0
.LBB22_2266:
	s_delay_alu instid0(SALU_CYCLE_1)
	s_and_not1_b32 vcc_lo, exec_lo, s18
	s_cbranch_vccnz .LBB22_2268
; %bb.2267:
	s_wait_loadcnt 0x0
	global_load_u16 v1, v[14:15], off
	s_wait_loadcnt 0x0
	v_cvt_f32_f16_e32 v1, v1
	s_delay_alu instid0(VALU_DEP_1)
	v_cvt_i32_f32_e32 v8, v1
.LBB22_2268:
	s_mov_b32 s18, 0
.LBB22_2269:
	s_delay_alu instid0(SALU_CYCLE_1)
	s_and_not1_b32 vcc_lo, exec_lo, s18
	s_cbranch_vccnz .LBB22_2289
; %bb.2270:
	s_cmp_lt_i32 s12, 2
	s_cbranch_scc1 .LBB22_2274
; %bb.2271:
	s_cmp_lt_i32 s12, 3
	s_cbranch_scc1 .LBB22_2275
; %bb.2272:
	s_cmp_gt_i32 s12, 3
	s_cbranch_scc0 .LBB22_2276
; %bb.2273:
	s_wait_loadcnt 0x0
	global_load_b64 v[8:9], v[14:15], off
	s_mov_b32 s18, 0
	s_branch .LBB22_2277
.LBB22_2274:
	s_mov_b32 s18, -1
                                        ; implicit-def: $vgpr8
	s_branch .LBB22_2283
.LBB22_2275:
	s_mov_b32 s18, -1
                                        ; implicit-def: $vgpr8
	s_branch .LBB22_2280
.LBB22_2276:
	s_mov_b32 s18, -1
                                        ; implicit-def: $vgpr8
.LBB22_2277:
	s_delay_alu instid0(SALU_CYCLE_1)
	s_and_not1_b32 vcc_lo, exec_lo, s18
	s_cbranch_vccnz .LBB22_2279
; %bb.2278:
	s_wait_loadcnt 0x0
	global_load_b32 v8, v[14:15], off
.LBB22_2279:
	s_mov_b32 s18, 0
.LBB22_2280:
	s_delay_alu instid0(SALU_CYCLE_1)
	s_and_not1_b32 vcc_lo, exec_lo, s18
	s_cbranch_vccnz .LBB22_2282
; %bb.2281:
	s_wait_loadcnt 0x0
	global_load_u16 v8, v[14:15], off
.LBB22_2282:
	s_mov_b32 s18, 0
.LBB22_2283:
	s_delay_alu instid0(SALU_CYCLE_1)
	s_and_not1_b32 vcc_lo, exec_lo, s18
	s_cbranch_vccnz .LBB22_2289
; %bb.2284:
	s_cmp_gt_i32 s12, 0
	s_mov_b32 s12, 0
	s_cbranch_scc0 .LBB22_2286
; %bb.2285:
	s_wait_loadcnt 0x0
	global_load_u8 v8, v[14:15], off
	s_branch .LBB22_2287
.LBB22_2286:
	s_mov_b32 s12, -1
                                        ; implicit-def: $vgpr8
.LBB22_2287:
	s_delay_alu instid0(SALU_CYCLE_1)
	s_and_not1_b32 vcc_lo, exec_lo, s12
	s_cbranch_vccnz .LBB22_2289
; %bb.2288:
	s_wait_loadcnt 0x0
	global_load_u8 v8, v[14:15], off
.LBB22_2289:
	s_mov_b32 s20, -1
.LBB22_2290:
	s_delay_alu instid0(SALU_CYCLE_1)
	s_and_not1_b32 vcc_lo, exec_lo, s20
	s_cbranch_vccnz .LBB22_3126
; %bb.2291:
	s_wait_xcnt 0x0
	v_add_nc_u32_e32 v14, s5, v10
	s_cmp_lt_i32 s7, 11
	s_delay_alu instid0(VALU_DEP_1) | instskip(NEXT) | instid1(VALU_DEP_1)
	v_ashrrev_i32_e32 v15, 31, v14
	v_add_nc_u64_e32 v[16:17], s[10:11], v[14:15]
	s_cbranch_scc1 .LBB22_2298
; %bb.2292:
	s_and_b32 s12, 0xffff, s7
	s_mov_b32 s19, 0
	s_cmp_gt_i32 s12, 25
	s_cbranch_scc0 .LBB22_2299
; %bb.2293:
	s_cmp_gt_i32 s12, 28
	s_cbranch_scc0 .LBB22_2300
; %bb.2294:
	;; [unrolled: 3-line block ×4, first 2 shown]
	s_cmp_eq_u32 s12, 46
	s_mov_b32 s21, 0
	s_cbranch_scc0 .LBB22_2304
; %bb.2297:
	s_wait_loadcnt 0x0
	global_load_b32 v1, v[16:17], off
	s_mov_b32 s18, 0
	s_mov_b32 s20, -1
	s_wait_loadcnt 0x0
	v_lshlrev_b32_e32 v1, 16, v1
	s_delay_alu instid0(VALU_DEP_1) | instskip(NEXT) | instid1(VALU_DEP_1)
	v_trunc_f32_e32 v1, v1
	v_mul_f32_e64 v3, 0x2f800000, |v1|
	s_delay_alu instid0(VALU_DEP_1) | instskip(NEXT) | instid1(VALU_DEP_1)
	v_floor_f32_e32 v3, v3
	v_fma_f32 v3, 0xcf800000, v3, |v1|
	v_ashrrev_i32_e32 v1, 31, v1
	s_delay_alu instid0(VALU_DEP_2) | instskip(NEXT) | instid1(VALU_DEP_1)
	v_cvt_u32_f32_e32 v3, v3
	v_xor_b32_e32 v3, v3, v1
	s_delay_alu instid0(VALU_DEP_1)
	v_sub_nc_u32_e32 v10, v3, v1
	s_branch .LBB22_2306
.LBB22_2298:
	s_mov_b32 s12, -1
	s_mov_b32 s20, 0
                                        ; implicit-def: $vgpr10
	s_branch .LBB22_2368
.LBB22_2299:
	s_mov_b32 s21, -1
	s_mov_b32 s20, 0
	s_mov_b32 s18, 0
                                        ; implicit-def: $vgpr10
	s_branch .LBB22_2333
.LBB22_2300:
	s_mov_b32 s21, -1
	s_mov_b32 s20, 0
	s_mov_b32 s18, 0
                                        ; implicit-def: $vgpr10
	s_branch .LBB22_2316
.LBB22_2301:
	s_mov_b32 s21, -1
	s_mov_b32 s20, 0
	s_mov_b32 s18, 0
                                        ; implicit-def: $vgpr10
	s_branch .LBB22_2311
.LBB22_2302:
	s_or_b32 s13, s13, exec_lo
	s_trap 2
	s_cbranch_execz .LBB22_2239
	s_branch .LBB22_2240
.LBB22_2303:
	s_mov_b32 s21, -1
	s_mov_b32 s20, 0
	s_mov_b32 s18, 0
	s_branch .LBB22_2305
.LBB22_2304:
	s_mov_b32 s18, -1
	s_mov_b32 s20, 0
.LBB22_2305:
                                        ; implicit-def: $vgpr10
.LBB22_2306:
	s_and_b32 vcc_lo, exec_lo, s21
	s_cbranch_vccz .LBB22_2310
; %bb.2307:
	s_cmp_eq_u32 s12, 44
	s_cbranch_scc0 .LBB22_2309
; %bb.2308:
	s_wait_loadcnt 0x0
	global_load_u8 v1, v[16:17], off
	s_mov_b32 s18, 0
	s_mov_b32 s20, -1
	s_wait_loadcnt 0x0
	v_lshlrev_b32_e32 v3, 23, v1
	v_cmp_ne_u32_e32 vcc_lo, 0, v1
	s_delay_alu instid0(VALU_DEP_2) | instskip(NEXT) | instid1(VALU_DEP_1)
	v_trunc_f32_e32 v3, v3
	v_mul_f32_e64 v5, 0x2f800000, |v3|
	s_delay_alu instid0(VALU_DEP_1) | instskip(NEXT) | instid1(VALU_DEP_1)
	v_floor_f32_e32 v5, v5
	v_fma_f32 v5, 0xcf800000, v5, |v3|
	v_ashrrev_i32_e32 v3, 31, v3
	s_delay_alu instid0(VALU_DEP_2) | instskip(NEXT) | instid1(VALU_DEP_1)
	v_cvt_u32_f32_e32 v5, v5
	v_xor_b32_e32 v5, v5, v3
	s_delay_alu instid0(VALU_DEP_1) | instskip(NEXT) | instid1(VALU_DEP_1)
	v_sub_nc_u32_e32 v3, v5, v3
	v_cndmask_b32_e32 v10, 0, v3, vcc_lo
	s_branch .LBB22_2310
.LBB22_2309:
	s_mov_b32 s18, -1
                                        ; implicit-def: $vgpr10
.LBB22_2310:
	s_mov_b32 s21, 0
.LBB22_2311:
	s_delay_alu instid0(SALU_CYCLE_1)
	s_and_b32 vcc_lo, exec_lo, s21
	s_cbranch_vccz .LBB22_2315
; %bb.2312:
	s_cmp_eq_u32 s12, 29
	s_cbranch_scc0 .LBB22_2314
; %bb.2313:
	global_load_b64 v[10:11], v[16:17], off
	s_mov_b32 s18, 0
	s_mov_b32 s20, -1
	s_branch .LBB22_2315
.LBB22_2314:
	s_mov_b32 s18, -1
                                        ; implicit-def: $vgpr10
.LBB22_2315:
	s_mov_b32 s21, 0
.LBB22_2316:
	s_delay_alu instid0(SALU_CYCLE_1)
	s_and_b32 vcc_lo, exec_lo, s21
	s_cbranch_vccz .LBB22_2332
; %bb.2317:
	s_cmp_lt_i32 s12, 27
	s_cbranch_scc1 .LBB22_2320
; %bb.2318:
	s_cmp_gt_i32 s12, 27
	s_cbranch_scc0 .LBB22_2321
; %bb.2319:
	s_wait_loadcnt 0x0
	global_load_b32 v10, v[16:17], off
	s_mov_b32 s20, 0
	s_branch .LBB22_2322
.LBB22_2320:
	s_mov_b32 s20, -1
                                        ; implicit-def: $vgpr10
	s_branch .LBB22_2325
.LBB22_2321:
	s_mov_b32 s20, -1
                                        ; implicit-def: $vgpr10
.LBB22_2322:
	s_delay_alu instid0(SALU_CYCLE_1)
	s_and_not1_b32 vcc_lo, exec_lo, s20
	s_cbranch_vccnz .LBB22_2324
; %bb.2323:
	s_wait_loadcnt 0x0
	global_load_u16 v10, v[16:17], off
.LBB22_2324:
	s_mov_b32 s20, 0
.LBB22_2325:
	s_delay_alu instid0(SALU_CYCLE_1)
	s_and_not1_b32 vcc_lo, exec_lo, s20
	s_cbranch_vccnz .LBB22_2331
; %bb.2326:
	s_wait_loadcnt 0x0
	global_load_u8 v1, v[16:17], off
	s_mov_b32 s21, 0
	s_mov_b32 s20, exec_lo
	s_wait_loadcnt 0x0
	v_cmpx_lt_i16_e32 0x7f, v1
	s_xor_b32 s20, exec_lo, s20
	s_cbranch_execz .LBB22_2343
; %bb.2327:
	v_cmp_ne_u16_e32 vcc_lo, 0x80, v1
	s_and_b32 s21, vcc_lo, exec_lo
	s_and_not1_saveexec_b32 s20, s20
	s_cbranch_execnz .LBB22_2344
.LBB22_2328:
	s_or_b32 exec_lo, exec_lo, s20
	v_mov_b32_e32 v10, 0
	s_and_saveexec_b32 s20, s21
	s_cbranch_execz .LBB22_2330
.LBB22_2329:
	v_and_b32_e32 v3, 0xffff, v1
	s_delay_alu instid0(VALU_DEP_1) | instskip(SKIP_1) | instid1(VALU_DEP_2)
	v_dual_lshlrev_b32 v1, 24, v1 :: v_dual_bitop2_b32 v5, 7, v3 bitop3:0x40
	v_bfe_u32 v10, v3, 3, 4
	v_and_b32_e32 v1, 0x80000000, v1
	s_delay_alu instid0(VALU_DEP_3) | instskip(NEXT) | instid1(VALU_DEP_3)
	v_clz_i32_u32_e32 v7, v5
	v_cmp_eq_u32_e32 vcc_lo, 0, v10
	s_delay_alu instid0(VALU_DEP_2) | instskip(NEXT) | instid1(VALU_DEP_1)
	v_min_u32_e32 v7, 32, v7
	v_subrev_nc_u32_e32 v9, 28, v7
	v_sub_nc_u32_e32 v7, 29, v7
	s_delay_alu instid0(VALU_DEP_2) | instskip(NEXT) | instid1(VALU_DEP_2)
	v_lshlrev_b32_e32 v3, v9, v3
	v_cndmask_b32_e32 v7, v10, v7, vcc_lo
	s_delay_alu instid0(VALU_DEP_2) | instskip(NEXT) | instid1(VALU_DEP_1)
	v_and_b32_e32 v3, 7, v3
	v_cndmask_b32_e32 v3, v5, v3, vcc_lo
	s_delay_alu instid0(VALU_DEP_3) | instskip(NEXT) | instid1(VALU_DEP_2)
	v_lshl_add_u32 v5, v7, 23, 0x3b800000
	v_lshlrev_b32_e32 v3, 20, v3
	s_delay_alu instid0(VALU_DEP_1) | instskip(NEXT) | instid1(VALU_DEP_1)
	v_or3_b32 v1, v1, v5, v3
	v_trunc_f32_e32 v1, v1
	s_delay_alu instid0(VALU_DEP_1) | instskip(NEXT) | instid1(VALU_DEP_1)
	v_mul_f32_e64 v3, 0x2f800000, |v1|
	v_floor_f32_e32 v3, v3
	s_delay_alu instid0(VALU_DEP_1) | instskip(SKIP_1) | instid1(VALU_DEP_2)
	v_fma_f32 v3, 0xcf800000, v3, |v1|
	v_ashrrev_i32_e32 v1, 31, v1
	v_cvt_u32_f32_e32 v3, v3
	s_delay_alu instid0(VALU_DEP_1) | instskip(NEXT) | instid1(VALU_DEP_1)
	v_xor_b32_e32 v3, v3, v1
	v_sub_nc_u32_e32 v10, v3, v1
.LBB22_2330:
	s_or_b32 exec_lo, exec_lo, s20
.LBB22_2331:
	s_mov_b32 s20, -1
.LBB22_2332:
	s_mov_b32 s21, 0
.LBB22_2333:
	s_delay_alu instid0(SALU_CYCLE_1)
	s_and_b32 vcc_lo, exec_lo, s21
	s_cbranch_vccz .LBB22_2364
; %bb.2334:
	s_cmp_gt_i32 s12, 22
	s_cbranch_scc0 .LBB22_2342
; %bb.2335:
	s_cmp_lt_i32 s12, 24
	s_cbranch_scc1 .LBB22_2345
; %bb.2336:
	s_cmp_gt_i32 s12, 24
	s_cbranch_scc0 .LBB22_2346
; %bb.2337:
	s_wait_loadcnt 0x0
	global_load_u8 v1, v[16:17], off
	s_mov_b32 s20, 0
	s_mov_b32 s19, exec_lo
	s_wait_loadcnt 0x0
	v_cmpx_lt_i16_e32 0x7f, v1
	s_xor_b32 s19, exec_lo, s19
	s_cbranch_execz .LBB22_2358
; %bb.2338:
	v_cmp_ne_u16_e32 vcc_lo, 0x80, v1
	s_and_b32 s20, vcc_lo, exec_lo
	s_and_not1_saveexec_b32 s19, s19
	s_cbranch_execnz .LBB22_2359
.LBB22_2339:
	s_or_b32 exec_lo, exec_lo, s19
	v_mov_b32_e32 v10, 0
	s_and_saveexec_b32 s19, s20
	s_cbranch_execz .LBB22_2341
.LBB22_2340:
	v_and_b32_e32 v3, 0xffff, v1
	s_delay_alu instid0(VALU_DEP_1) | instskip(SKIP_1) | instid1(VALU_DEP_2)
	v_dual_lshlrev_b32 v1, 24, v1 :: v_dual_bitop2_b32 v5, 3, v3 bitop3:0x40
	v_bfe_u32 v10, v3, 2, 5
	v_and_b32_e32 v1, 0x80000000, v1
	s_delay_alu instid0(VALU_DEP_3) | instskip(NEXT) | instid1(VALU_DEP_3)
	v_clz_i32_u32_e32 v7, v5
	v_cmp_eq_u32_e32 vcc_lo, 0, v10
	s_delay_alu instid0(VALU_DEP_2) | instskip(NEXT) | instid1(VALU_DEP_1)
	v_min_u32_e32 v7, 32, v7
	v_subrev_nc_u32_e32 v9, 29, v7
	v_sub_nc_u32_e32 v7, 30, v7
	s_delay_alu instid0(VALU_DEP_2) | instskip(NEXT) | instid1(VALU_DEP_2)
	v_lshlrev_b32_e32 v3, v9, v3
	v_cndmask_b32_e32 v7, v10, v7, vcc_lo
	s_delay_alu instid0(VALU_DEP_2) | instskip(NEXT) | instid1(VALU_DEP_1)
	v_and_b32_e32 v3, 3, v3
	v_cndmask_b32_e32 v3, v5, v3, vcc_lo
	s_delay_alu instid0(VALU_DEP_3) | instskip(NEXT) | instid1(VALU_DEP_2)
	v_lshl_add_u32 v5, v7, 23, 0x37800000
	v_lshlrev_b32_e32 v3, 21, v3
	s_delay_alu instid0(VALU_DEP_1) | instskip(NEXT) | instid1(VALU_DEP_1)
	v_or3_b32 v1, v1, v5, v3
	v_trunc_f32_e32 v1, v1
	s_delay_alu instid0(VALU_DEP_1) | instskip(NEXT) | instid1(VALU_DEP_1)
	v_mul_f32_e64 v3, 0x2f800000, |v1|
	v_floor_f32_e32 v3, v3
	s_delay_alu instid0(VALU_DEP_1) | instskip(SKIP_1) | instid1(VALU_DEP_2)
	v_fma_f32 v3, 0xcf800000, v3, |v1|
	v_ashrrev_i32_e32 v1, 31, v1
	v_cvt_u32_f32_e32 v3, v3
	s_delay_alu instid0(VALU_DEP_1) | instskip(NEXT) | instid1(VALU_DEP_1)
	v_xor_b32_e32 v3, v3, v1
	v_sub_nc_u32_e32 v10, v3, v1
.LBB22_2341:
	s_or_b32 exec_lo, exec_lo, s19
	s_mov_b32 s19, 0
	s_branch .LBB22_2347
.LBB22_2342:
	s_mov_b32 s19, -1
                                        ; implicit-def: $vgpr10
	s_branch .LBB22_2353
.LBB22_2343:
	s_and_not1_saveexec_b32 s20, s20
	s_cbranch_execz .LBB22_2328
.LBB22_2344:
	v_cmp_ne_u16_e32 vcc_lo, 0, v1
	s_and_not1_b32 s21, s21, exec_lo
	s_and_b32 s22, vcc_lo, exec_lo
	s_delay_alu instid0(SALU_CYCLE_1)
	s_or_b32 s21, s21, s22
	s_or_b32 exec_lo, exec_lo, s20
	v_mov_b32_e32 v10, 0
	s_and_saveexec_b32 s20, s21
	s_cbranch_execnz .LBB22_2329
	s_branch .LBB22_2330
.LBB22_2345:
	s_mov_b32 s19, -1
                                        ; implicit-def: $vgpr10
	s_branch .LBB22_2350
.LBB22_2346:
	s_mov_b32 s19, -1
                                        ; implicit-def: $vgpr10
.LBB22_2347:
	s_delay_alu instid0(SALU_CYCLE_1)
	s_and_b32 vcc_lo, exec_lo, s19
	s_cbranch_vccz .LBB22_2349
; %bb.2348:
	s_wait_loadcnt 0x0
	global_load_u8 v1, v[16:17], off
	s_wait_loadcnt 0x0
	v_lshlrev_b32_e32 v1, 24, v1
	s_delay_alu instid0(VALU_DEP_1) | instskip(NEXT) | instid1(VALU_DEP_1)
	v_and_b32_e32 v3, 0x7f000000, v1
	v_clz_i32_u32_e32 v5, v3
	v_add_nc_u32_e32 v9, 0x1000000, v3
	v_cmp_ne_u32_e32 vcc_lo, 0, v3
	s_delay_alu instid0(VALU_DEP_3) | instskip(NEXT) | instid1(VALU_DEP_1)
	v_min_u32_e32 v5, 32, v5
	v_sub_nc_u32_e64 v5, v5, 4 clamp
	s_delay_alu instid0(VALU_DEP_1) | instskip(NEXT) | instid1(VALU_DEP_1)
	v_dual_lshlrev_b32 v7, v5, v3 :: v_dual_lshlrev_b32 v5, 23, v5
	v_lshrrev_b32_e32 v7, 4, v7
	s_delay_alu instid0(VALU_DEP_1) | instskip(SKIP_1) | instid1(VALU_DEP_2)
	v_sub_nc_u32_e32 v5, v7, v5
	v_ashrrev_i32_e32 v7, 8, v9
	v_add_nc_u32_e32 v5, 0x3c000000, v5
	s_delay_alu instid0(VALU_DEP_1) | instskip(NEXT) | instid1(VALU_DEP_1)
	v_and_or_b32 v5, 0x7f800000, v7, v5
	v_cndmask_b32_e32 v3, 0, v5, vcc_lo
	s_delay_alu instid0(VALU_DEP_1) | instskip(NEXT) | instid1(VALU_DEP_1)
	v_and_or_b32 v1, 0x80000000, v1, v3
	v_trunc_f32_e32 v1, v1
	s_delay_alu instid0(VALU_DEP_1) | instskip(NEXT) | instid1(VALU_DEP_1)
	v_mul_f32_e64 v3, 0x2f800000, |v1|
	v_floor_f32_e32 v3, v3
	s_delay_alu instid0(VALU_DEP_1) | instskip(SKIP_1) | instid1(VALU_DEP_2)
	v_fma_f32 v3, 0xcf800000, v3, |v1|
	v_ashrrev_i32_e32 v1, 31, v1
	v_cvt_u32_f32_e32 v3, v3
	s_delay_alu instid0(VALU_DEP_1) | instskip(NEXT) | instid1(VALU_DEP_1)
	v_xor_b32_e32 v3, v3, v1
	v_sub_nc_u32_e32 v10, v3, v1
.LBB22_2349:
	s_mov_b32 s19, 0
.LBB22_2350:
	s_delay_alu instid0(SALU_CYCLE_1)
	s_and_not1_b32 vcc_lo, exec_lo, s19
	s_cbranch_vccnz .LBB22_2352
; %bb.2351:
	s_wait_loadcnt 0x0
	global_load_u8 v1, v[16:17], off
	s_wait_loadcnt 0x0
	v_lshlrev_b32_e32 v3, 25, v1
	v_lshlrev_b16 v1, 8, v1
	s_delay_alu instid0(VALU_DEP_1) | instskip(SKIP_1) | instid1(VALU_DEP_2)
	v_and_or_b32 v7, 0x7f00, v1, 0.5
	v_bfe_i32 v1, v1, 0, 16
	v_add_f32_e32 v7, -0.5, v7
	v_lshrrev_b32_e32 v5, 4, v3
	v_cmp_gt_u32_e32 vcc_lo, 0x8000000, v3
	s_delay_alu instid0(VALU_DEP_2) | instskip(NEXT) | instid1(VALU_DEP_1)
	v_or_b32_e32 v5, 0x70000000, v5
	v_mul_f32_e32 v5, 0x7800000, v5
	s_delay_alu instid0(VALU_DEP_1) | instskip(NEXT) | instid1(VALU_DEP_1)
	v_cndmask_b32_e32 v3, v5, v7, vcc_lo
	v_and_or_b32 v1, 0x80000000, v1, v3
	s_delay_alu instid0(VALU_DEP_1) | instskip(NEXT) | instid1(VALU_DEP_1)
	v_trunc_f32_e32 v1, v1
	v_mul_f32_e64 v3, 0x2f800000, |v1|
	s_delay_alu instid0(VALU_DEP_1) | instskip(NEXT) | instid1(VALU_DEP_1)
	v_floor_f32_e32 v3, v3
	v_fma_f32 v3, 0xcf800000, v3, |v1|
	v_ashrrev_i32_e32 v1, 31, v1
	s_delay_alu instid0(VALU_DEP_2) | instskip(NEXT) | instid1(VALU_DEP_1)
	v_cvt_u32_f32_e32 v3, v3
	v_xor_b32_e32 v3, v3, v1
	s_delay_alu instid0(VALU_DEP_1)
	v_sub_nc_u32_e32 v10, v3, v1
.LBB22_2352:
	s_mov_b32 s19, 0
	s_mov_b32 s20, -1
.LBB22_2353:
	s_and_not1_b32 vcc_lo, exec_lo, s19
	s_mov_b32 s19, 0
	s_cbranch_vccnz .LBB22_2364
; %bb.2354:
	s_cmp_gt_i32 s12, 14
	s_cbranch_scc0 .LBB22_2357
; %bb.2355:
	s_cmp_eq_u32 s12, 15
	s_cbranch_scc0 .LBB22_2360
; %bb.2356:
	s_wait_loadcnt 0x0
	global_load_u16 v1, v[16:17], off
	s_mov_b32 s18, 0
	s_mov_b32 s20, -1
	s_wait_loadcnt 0x0
	v_lshlrev_b32_e32 v1, 16, v1
	s_delay_alu instid0(VALU_DEP_1) | instskip(NEXT) | instid1(VALU_DEP_1)
	v_trunc_f32_e32 v1, v1
	v_mul_f32_e64 v3, 0x2f800000, |v1|
	s_delay_alu instid0(VALU_DEP_1) | instskip(NEXT) | instid1(VALU_DEP_1)
	v_floor_f32_e32 v3, v3
	v_fma_f32 v3, 0xcf800000, v3, |v1|
	v_ashrrev_i32_e32 v1, 31, v1
	s_delay_alu instid0(VALU_DEP_2) | instskip(NEXT) | instid1(VALU_DEP_1)
	v_cvt_u32_f32_e32 v3, v3
	v_xor_b32_e32 v3, v3, v1
	s_delay_alu instid0(VALU_DEP_1)
	v_sub_nc_u32_e32 v10, v3, v1
	s_branch .LBB22_2362
.LBB22_2357:
	s_mov_b32 s19, -1
	s_branch .LBB22_2361
.LBB22_2358:
	s_and_not1_saveexec_b32 s19, s19
	s_cbranch_execz .LBB22_2339
.LBB22_2359:
	v_cmp_ne_u16_e32 vcc_lo, 0, v1
	s_and_not1_b32 s20, s20, exec_lo
	s_and_b32 s21, vcc_lo, exec_lo
	s_delay_alu instid0(SALU_CYCLE_1)
	s_or_b32 s20, s20, s21
	s_or_b32 exec_lo, exec_lo, s19
	v_mov_b32_e32 v10, 0
	s_and_saveexec_b32 s19, s20
	s_cbranch_execnz .LBB22_2340
	s_branch .LBB22_2341
.LBB22_2360:
	s_mov_b32 s18, -1
.LBB22_2361:
                                        ; implicit-def: $vgpr10
.LBB22_2362:
	s_and_b32 vcc_lo, exec_lo, s19
	s_mov_b32 s19, 0
	s_cbranch_vccz .LBB22_2364
; %bb.2363:
	s_cmp_lg_u32 s12, 11
	s_mov_b32 s19, -1
	s_cselect_b32 s18, -1, 0
.LBB22_2364:
	s_delay_alu instid0(SALU_CYCLE_1)
	s_and_b32 vcc_lo, exec_lo, s18
	s_cbranch_vccnz .LBB22_2448
; %bb.2365:
	s_and_not1_b32 vcc_lo, exec_lo, s19
	s_cbranch_vccnz .LBB22_2367
.LBB22_2366:
	s_wait_loadcnt 0x0
	global_load_u8 v1, v[16:17], off
	s_mov_b32 s20, -1
	s_wait_loadcnt 0x0
	v_cmp_ne_u16_e32 vcc_lo, 0, v1
	v_cndmask_b32_e64 v10, 0, 1, vcc_lo
.LBB22_2367:
	s_mov_b32 s12, 0
.LBB22_2368:
	s_delay_alu instid0(SALU_CYCLE_1)
	s_and_b32 vcc_lo, exec_lo, s12
	s_cbranch_vccz .LBB22_2417
; %bb.2369:
	s_and_b32 s12, 0xffff, s7
	s_delay_alu instid0(SALU_CYCLE_1)
	s_cmp_lt_i32 s12, 5
	s_cbranch_scc1 .LBB22_2374
; %bb.2370:
	s_cmp_lt_i32 s12, 8
	s_cbranch_scc1 .LBB22_2375
; %bb.2371:
	;; [unrolled: 3-line block ×3, first 2 shown]
	s_cmp_gt_i32 s12, 9
	s_cbranch_scc0 .LBB22_2377
; %bb.2373:
	s_wait_loadcnt 0x0
	global_load_b64 v[10:11], v[16:17], off
	s_mov_b32 s18, 0
	s_wait_loadcnt 0x0
	v_trunc_f64_e32 v[10:11], v[10:11]
	s_delay_alu instid0(VALU_DEP_1) | instskip(NEXT) | instid1(VALU_DEP_1)
	v_ldexp_f64 v[20:21], v[10:11], 0xffffffe0
	v_floor_f64_e32 v[20:21], v[20:21]
	s_delay_alu instid0(VALU_DEP_1) | instskip(NEXT) | instid1(VALU_DEP_1)
	v_fmamk_f64 v[10:11], v[20:21], 0xc1f00000, v[10:11]
	v_cvt_u32_f64_e32 v10, v[10:11]
	s_branch .LBB22_2378
.LBB22_2374:
	s_mov_b32 s18, -1
                                        ; implicit-def: $vgpr10
	s_branch .LBB22_2396
.LBB22_2375:
	s_mov_b32 s18, -1
                                        ; implicit-def: $vgpr10
	s_branch .LBB22_2384
.LBB22_2376:
	s_mov_b32 s18, -1
                                        ; implicit-def: $vgpr10
	s_branch .LBB22_2381
.LBB22_2377:
	s_mov_b32 s18, -1
                                        ; implicit-def: $vgpr10
.LBB22_2378:
	s_delay_alu instid0(SALU_CYCLE_1)
	s_and_not1_b32 vcc_lo, exec_lo, s18
	s_cbranch_vccnz .LBB22_2380
; %bb.2379:
	s_wait_loadcnt 0x0
	global_load_b32 v1, v[16:17], off
	s_wait_loadcnt 0x0
	v_trunc_f32_e32 v1, v1
	s_delay_alu instid0(VALU_DEP_1) | instskip(NEXT) | instid1(VALU_DEP_1)
	v_mul_f32_e64 v3, 0x2f800000, |v1|
	v_floor_f32_e32 v3, v3
	s_delay_alu instid0(VALU_DEP_1) | instskip(SKIP_1) | instid1(VALU_DEP_2)
	v_fma_f32 v3, 0xcf800000, v3, |v1|
	v_ashrrev_i32_e32 v1, 31, v1
	v_cvt_u32_f32_e32 v3, v3
	s_delay_alu instid0(VALU_DEP_1) | instskip(NEXT) | instid1(VALU_DEP_1)
	v_xor_b32_e32 v3, v3, v1
	v_sub_nc_u32_e32 v10, v3, v1
.LBB22_2380:
	s_mov_b32 s18, 0
.LBB22_2381:
	s_delay_alu instid0(SALU_CYCLE_1)
	s_and_not1_b32 vcc_lo, exec_lo, s18
	s_cbranch_vccnz .LBB22_2383
; %bb.2382:
	s_wait_loadcnt 0x0
	global_load_b32 v1, v[16:17], off
	s_wait_loadcnt 0x0
	v_cvt_f32_f16_e32 v1, v1
	s_delay_alu instid0(VALU_DEP_1)
	v_cvt_i32_f32_e32 v10, v1
.LBB22_2383:
	s_mov_b32 s18, 0
.LBB22_2384:
	s_delay_alu instid0(SALU_CYCLE_1)
	s_and_not1_b32 vcc_lo, exec_lo, s18
	s_cbranch_vccnz .LBB22_2395
; %bb.2385:
	s_cmp_lt_i32 s12, 6
	s_cbranch_scc1 .LBB22_2388
; %bb.2386:
	s_cmp_gt_i32 s12, 6
	s_cbranch_scc0 .LBB22_2389
; %bb.2387:
	s_wait_loadcnt 0x0
	global_load_b64 v[10:11], v[16:17], off
	s_mov_b32 s18, 0
	s_wait_loadcnt 0x0
	v_trunc_f64_e32 v[10:11], v[10:11]
	s_delay_alu instid0(VALU_DEP_1) | instskip(NEXT) | instid1(VALU_DEP_1)
	v_ldexp_f64 v[20:21], v[10:11], 0xffffffe0
	v_floor_f64_e32 v[20:21], v[20:21]
	s_delay_alu instid0(VALU_DEP_1) | instskip(NEXT) | instid1(VALU_DEP_1)
	v_fmamk_f64 v[10:11], v[20:21], 0xc1f00000, v[10:11]
	v_cvt_u32_f64_e32 v10, v[10:11]
	s_branch .LBB22_2390
.LBB22_2388:
	s_mov_b32 s18, -1
                                        ; implicit-def: $vgpr10
	s_branch .LBB22_2393
.LBB22_2389:
	s_mov_b32 s18, -1
                                        ; implicit-def: $vgpr10
.LBB22_2390:
	s_delay_alu instid0(SALU_CYCLE_1)
	s_and_not1_b32 vcc_lo, exec_lo, s18
	s_cbranch_vccnz .LBB22_2392
; %bb.2391:
	s_wait_loadcnt 0x0
	global_load_b32 v1, v[16:17], off
	s_wait_loadcnt 0x0
	v_trunc_f32_e32 v1, v1
	s_delay_alu instid0(VALU_DEP_1) | instskip(NEXT) | instid1(VALU_DEP_1)
	v_mul_f32_e64 v3, 0x2f800000, |v1|
	v_floor_f32_e32 v3, v3
	s_delay_alu instid0(VALU_DEP_1) | instskip(SKIP_1) | instid1(VALU_DEP_2)
	v_fma_f32 v3, 0xcf800000, v3, |v1|
	v_ashrrev_i32_e32 v1, 31, v1
	v_cvt_u32_f32_e32 v3, v3
	s_delay_alu instid0(VALU_DEP_1) | instskip(NEXT) | instid1(VALU_DEP_1)
	v_xor_b32_e32 v3, v3, v1
	v_sub_nc_u32_e32 v10, v3, v1
.LBB22_2392:
	s_mov_b32 s18, 0
.LBB22_2393:
	s_delay_alu instid0(SALU_CYCLE_1)
	s_and_not1_b32 vcc_lo, exec_lo, s18
	s_cbranch_vccnz .LBB22_2395
; %bb.2394:
	s_wait_loadcnt 0x0
	global_load_u16 v1, v[16:17], off
	s_wait_loadcnt 0x0
	v_cvt_f32_f16_e32 v1, v1
	s_delay_alu instid0(VALU_DEP_1)
	v_cvt_i32_f32_e32 v10, v1
.LBB22_2395:
	s_mov_b32 s18, 0
.LBB22_2396:
	s_delay_alu instid0(SALU_CYCLE_1)
	s_and_not1_b32 vcc_lo, exec_lo, s18
	s_cbranch_vccnz .LBB22_2416
; %bb.2397:
	s_cmp_lt_i32 s12, 2
	s_cbranch_scc1 .LBB22_2401
; %bb.2398:
	s_cmp_lt_i32 s12, 3
	s_cbranch_scc1 .LBB22_2402
; %bb.2399:
	s_cmp_gt_i32 s12, 3
	s_cbranch_scc0 .LBB22_2403
; %bb.2400:
	s_wait_loadcnt 0x0
	global_load_b64 v[10:11], v[16:17], off
	s_mov_b32 s18, 0
	s_branch .LBB22_2404
.LBB22_2401:
	s_mov_b32 s18, -1
                                        ; implicit-def: $vgpr10
	s_branch .LBB22_2410
.LBB22_2402:
	s_mov_b32 s18, -1
                                        ; implicit-def: $vgpr10
	s_branch .LBB22_2407
.LBB22_2403:
	s_mov_b32 s18, -1
                                        ; implicit-def: $vgpr10
.LBB22_2404:
	s_delay_alu instid0(SALU_CYCLE_1)
	s_and_not1_b32 vcc_lo, exec_lo, s18
	s_cbranch_vccnz .LBB22_2406
; %bb.2405:
	s_wait_loadcnt 0x0
	global_load_b32 v10, v[16:17], off
.LBB22_2406:
	s_mov_b32 s18, 0
.LBB22_2407:
	s_delay_alu instid0(SALU_CYCLE_1)
	s_and_not1_b32 vcc_lo, exec_lo, s18
	s_cbranch_vccnz .LBB22_2409
; %bb.2408:
	s_wait_loadcnt 0x0
	global_load_u16 v10, v[16:17], off
.LBB22_2409:
	s_mov_b32 s18, 0
.LBB22_2410:
	s_delay_alu instid0(SALU_CYCLE_1)
	s_and_not1_b32 vcc_lo, exec_lo, s18
	s_cbranch_vccnz .LBB22_2416
; %bb.2411:
	s_cmp_gt_i32 s12, 0
	s_mov_b32 s12, 0
	s_cbranch_scc0 .LBB22_2413
; %bb.2412:
	s_wait_loadcnt 0x0
	global_load_u8 v10, v[16:17], off
	s_branch .LBB22_2414
.LBB22_2413:
	s_mov_b32 s12, -1
                                        ; implicit-def: $vgpr10
.LBB22_2414:
	s_delay_alu instid0(SALU_CYCLE_1)
	s_and_not1_b32 vcc_lo, exec_lo, s12
	s_cbranch_vccnz .LBB22_2416
; %bb.2415:
	s_wait_loadcnt 0x0
	global_load_u8 v10, v[16:17], off
.LBB22_2416:
	s_mov_b32 s20, -1
.LBB22_2417:
	s_delay_alu instid0(SALU_CYCLE_1)
	s_and_not1_b32 vcc_lo, exec_lo, s20
	s_cbranch_vccnz .LBB22_3126
; %bb.2418:
	s_cmp_lt_i32 s15, 23
	s_cbranch_scc1 .LBB22_2422
; %bb.2419:
	s_and_b32 s19, 0xffff, s15
	s_delay_alu instid0(SALU_CYCLE_1)
	s_cmp_gt_i32 s19, 43
	s_cbranch_scc0 .LBB22_2423
; %bb.2420:
	s_cmp_gt_i32 s19, 45
	s_cbranch_scc0 .LBB22_2424
; %bb.2421:
	s_cmp_lg_u32 s19, 46
	s_mov_b32 s20, 0
	s_mov_b32 s12, -1
	s_cselect_b32 s18, -1, 0
	s_branch .LBB22_2425
.LBB22_2422:
	s_mov_b32 s19, -1
	s_mov_b32 s12, 0
	s_mov_b32 s18, 0
	s_branch .LBB22_2431
.LBB22_2423:
	s_mov_b32 s20, -1
	s_mov_b32 s12, 0
	s_mov_b32 s18, 0
	s_branch .LBB22_2428
.LBB22_2424:
	s_mov_b32 s20, -1
	s_mov_b32 s12, 0
	s_mov_b32 s18, 0
.LBB22_2425:
	s_and_not1_b32 vcc_lo, exec_lo, s20
	s_cbranch_vccnz .LBB22_2427
; %bb.2426:
	s_cmp_eq_u32 s19, 44
	s_cselect_b32 s12, -1, 0
	s_cmp_lg_u32 s19, 44
	s_cselect_b32 s18, -1, 0
.LBB22_2427:
	s_mov_b32 s20, 0
.LBB22_2428:
	s_delay_alu instid0(SALU_CYCLE_1)
	s_and_b32 vcc_lo, exec_lo, s20
	s_cbranch_vccz .LBB22_2430
; %bb.2429:
	s_cmp_lt_i32 s19, 30
	s_cselect_b32 s12, -1, 0
	s_cmp_gt_i32 s19, 29
	s_cselect_b32 s18, -1, 0
.LBB22_2430:
	s_mov_b32 s19, 0
.LBB22_2431:
	s_delay_alu instid0(SALU_CYCLE_1)
	s_and_b32 vcc_lo, exec_lo, s19
	s_cbranch_vccz .LBB22_2436
; %bb.2432:
	s_and_b32 s15, 0xffff, s15
	s_mov_b32 s19, -1
	s_cmp_gt_i32 s15, 14
	s_cbranch_scc0 .LBB22_2434
; %bb.2433:
	s_cmp_eq_u32 s15, 15
	s_mov_b32 s19, 0
	s_cselect_b32 s12, -1, 0
	s_cmp_lg_u32 s15, 15
	s_cselect_b32 s18, -1, 0
.LBB22_2434:
	s_and_not1_b32 vcc_lo, exec_lo, s19
	s_cbranch_vccnz .LBB22_2436
; %bb.2435:
	s_cmp_lt_i32 s15, 12
	s_cselect_b32 s12, -1, 0
	s_cmp_gt_i32 s15, 11
	s_cselect_b32 s18, -1, 0
.LBB22_2436:
	s_delay_alu instid0(SALU_CYCLE_1)
	s_and_b32 vcc_lo, exec_lo, s18
	s_cbranch_vccnz .LBB22_2449
; %bb.2437:
	s_and_not1_b32 vcc_lo, exec_lo, s12
	s_cbranch_vccnz .LBB22_3126
.LBB22_2438:
	v_add_nc_u32_e32 v12, s4, v12
	s_cmp_lt_i32 s0, 11
	s_delay_alu instid0(VALU_DEP_1) | instskip(SKIP_1) | instid1(VALU_DEP_1)
	v_ashrrev_i32_e32 v13, 31, v12
	s_wait_xcnt 0x0
	v_add_nc_u64_e32 v[16:17], s[8:9], v[12:13]
	s_cbranch_scc1 .LBB22_2445
; %bb.2439:
	s_and_b32 s4, 0xffff, s0
	s_mov_b32 s9, 0
	s_cmp_gt_i32 s4, 25
	s_cbranch_scc0 .LBB22_2446
; %bb.2440:
	s_cmp_gt_i32 s4, 28
	s_cbranch_scc0 .LBB22_2447
; %bb.2441:
	;; [unrolled: 3-line block ×4, first 2 shown]
	s_cmp_eq_u32 s4, 46
	s_mov_b32 s15, 0
	s_cbranch_scc0 .LBB22_2452
; %bb.2444:
	s_wait_loadcnt 0x0
	global_load_b32 v1, v[16:17], off
	s_mov_b32 s8, 0
	s_mov_b32 s12, -1
	s_wait_loadcnt 0x0
	v_lshlrev_b32_e32 v1, 16, v1
	s_delay_alu instid0(VALU_DEP_1) | instskip(NEXT) | instid1(VALU_DEP_1)
	v_trunc_f32_e32 v1, v1
	v_mul_f32_e64 v3, 0x2f800000, |v1|
	s_delay_alu instid0(VALU_DEP_1) | instskip(NEXT) | instid1(VALU_DEP_1)
	v_floor_f32_e32 v3, v3
	v_fma_f32 v3, 0xcf800000, v3, |v1|
	v_ashrrev_i32_e32 v1, 31, v1
	s_delay_alu instid0(VALU_DEP_2) | instskip(NEXT) | instid1(VALU_DEP_1)
	v_cvt_u32_f32_e32 v3, v3
	v_xor_b32_e32 v3, v3, v1
	s_delay_alu instid0(VALU_DEP_1)
	v_sub_nc_u32_e32 v12, v3, v1
	s_branch .LBB22_2454
.LBB22_2445:
	s_mov_b32 s4, -1
	s_mov_b32 s12, 0
                                        ; implicit-def: $vgpr12
	s_branch .LBB22_2516
.LBB22_2446:
	s_mov_b32 s15, -1
	s_mov_b32 s12, 0
	s_mov_b32 s8, 0
                                        ; implicit-def: $vgpr12
	s_branch .LBB22_2481
.LBB22_2447:
	s_mov_b32 s15, -1
	s_mov_b32 s12, 0
	s_mov_b32 s8, 0
                                        ; implicit-def: $vgpr12
	s_branch .LBB22_2464
.LBB22_2448:
	s_or_b32 s13, s13, exec_lo
	s_trap 2
	s_cbranch_execz .LBB22_2366
	s_branch .LBB22_2367
.LBB22_2449:
	s_or_b32 s13, s13, exec_lo
	s_trap 2
	s_cbranch_execz .LBB22_2438
	s_branch .LBB22_3126
.LBB22_2450:
	s_mov_b32 s15, -1
	s_mov_b32 s12, 0
	s_mov_b32 s8, 0
                                        ; implicit-def: $vgpr12
	s_branch .LBB22_2459
.LBB22_2451:
	s_mov_b32 s15, -1
	s_mov_b32 s12, 0
	s_mov_b32 s8, 0
	s_branch .LBB22_2453
.LBB22_2452:
	s_mov_b32 s8, -1
	s_mov_b32 s12, 0
.LBB22_2453:
                                        ; implicit-def: $vgpr12
.LBB22_2454:
	s_and_b32 vcc_lo, exec_lo, s15
	s_cbranch_vccz .LBB22_2458
; %bb.2455:
	s_cmp_eq_u32 s4, 44
	s_cbranch_scc0 .LBB22_2457
; %bb.2456:
	s_wait_loadcnt 0x0
	global_load_u8 v1, v[16:17], off
	s_mov_b32 s8, 0
	s_mov_b32 s12, -1
	s_wait_loadcnt 0x0
	v_lshlrev_b32_e32 v3, 23, v1
	v_cmp_ne_u32_e32 vcc_lo, 0, v1
	s_delay_alu instid0(VALU_DEP_2) | instskip(NEXT) | instid1(VALU_DEP_1)
	v_trunc_f32_e32 v3, v3
	v_mul_f32_e64 v5, 0x2f800000, |v3|
	s_delay_alu instid0(VALU_DEP_1) | instskip(NEXT) | instid1(VALU_DEP_1)
	v_floor_f32_e32 v5, v5
	v_fma_f32 v5, 0xcf800000, v5, |v3|
	v_ashrrev_i32_e32 v3, 31, v3
	s_delay_alu instid0(VALU_DEP_2) | instskip(NEXT) | instid1(VALU_DEP_1)
	v_cvt_u32_f32_e32 v5, v5
	v_xor_b32_e32 v5, v5, v3
	s_delay_alu instid0(VALU_DEP_1) | instskip(NEXT) | instid1(VALU_DEP_1)
	v_sub_nc_u32_e32 v3, v5, v3
	v_cndmask_b32_e32 v12, 0, v3, vcc_lo
	s_branch .LBB22_2458
.LBB22_2457:
	s_mov_b32 s8, -1
                                        ; implicit-def: $vgpr12
.LBB22_2458:
	s_mov_b32 s15, 0
.LBB22_2459:
	s_delay_alu instid0(SALU_CYCLE_1)
	s_and_b32 vcc_lo, exec_lo, s15
	s_cbranch_vccz .LBB22_2463
; %bb.2460:
	s_cmp_eq_u32 s4, 29
	s_cbranch_scc0 .LBB22_2462
; %bb.2461:
	global_load_b64 v[12:13], v[16:17], off
	s_mov_b32 s8, 0
	s_mov_b32 s12, -1
	s_branch .LBB22_2463
.LBB22_2462:
	s_mov_b32 s8, -1
                                        ; implicit-def: $vgpr12
.LBB22_2463:
	s_mov_b32 s15, 0
.LBB22_2464:
	s_delay_alu instid0(SALU_CYCLE_1)
	s_and_b32 vcc_lo, exec_lo, s15
	s_cbranch_vccz .LBB22_2480
; %bb.2465:
	s_cmp_lt_i32 s4, 27
	s_cbranch_scc1 .LBB22_2468
; %bb.2466:
	s_cmp_gt_i32 s4, 27
	s_cbranch_scc0 .LBB22_2469
; %bb.2467:
	s_wait_loadcnt 0x0
	global_load_b32 v12, v[16:17], off
	s_mov_b32 s12, 0
	s_branch .LBB22_2470
.LBB22_2468:
	s_mov_b32 s12, -1
                                        ; implicit-def: $vgpr12
	s_branch .LBB22_2473
.LBB22_2469:
	s_mov_b32 s12, -1
                                        ; implicit-def: $vgpr12
.LBB22_2470:
	s_delay_alu instid0(SALU_CYCLE_1)
	s_and_not1_b32 vcc_lo, exec_lo, s12
	s_cbranch_vccnz .LBB22_2472
; %bb.2471:
	s_wait_loadcnt 0x0
	global_load_u16 v12, v[16:17], off
.LBB22_2472:
	s_mov_b32 s12, 0
.LBB22_2473:
	s_delay_alu instid0(SALU_CYCLE_1)
	s_and_not1_b32 vcc_lo, exec_lo, s12
	s_cbranch_vccnz .LBB22_2479
; %bb.2474:
	s_wait_loadcnt 0x0
	global_load_u8 v1, v[16:17], off
	s_mov_b32 s15, 0
	s_mov_b32 s12, exec_lo
	s_wait_loadcnt 0x0
	v_cmpx_lt_i16_e32 0x7f, v1
	s_xor_b32 s12, exec_lo, s12
	s_cbranch_execz .LBB22_2491
; %bb.2475:
	v_cmp_ne_u16_e32 vcc_lo, 0x80, v1
	s_and_b32 s15, vcc_lo, exec_lo
	s_and_not1_saveexec_b32 s12, s12
	s_cbranch_execnz .LBB22_2492
.LBB22_2476:
	s_or_b32 exec_lo, exec_lo, s12
	v_mov_b32_e32 v12, 0
	s_and_saveexec_b32 s12, s15
	s_cbranch_execz .LBB22_2478
.LBB22_2477:
	v_and_b32_e32 v3, 0xffff, v1
	s_delay_alu instid0(VALU_DEP_1) | instskip(SKIP_1) | instid1(VALU_DEP_2)
	v_dual_lshlrev_b32 v1, 24, v1 :: v_dual_bitop2_b32 v5, 7, v3 bitop3:0x40
	v_bfe_u32 v11, v3, 3, 4
	v_and_b32_e32 v1, 0x80000000, v1
	s_delay_alu instid0(VALU_DEP_3) | instskip(NEXT) | instid1(VALU_DEP_3)
	v_clz_i32_u32_e32 v7, v5
	v_cmp_eq_u32_e32 vcc_lo, 0, v11
	s_delay_alu instid0(VALU_DEP_2) | instskip(NEXT) | instid1(VALU_DEP_1)
	v_min_u32_e32 v7, 32, v7
	v_subrev_nc_u32_e32 v9, 28, v7
	v_sub_nc_u32_e32 v7, 29, v7
	s_delay_alu instid0(VALU_DEP_2) | instskip(NEXT) | instid1(VALU_DEP_2)
	v_lshlrev_b32_e32 v3, v9, v3
	v_cndmask_b32_e32 v7, v11, v7, vcc_lo
	s_delay_alu instid0(VALU_DEP_2) | instskip(NEXT) | instid1(VALU_DEP_1)
	v_and_b32_e32 v3, 7, v3
	v_cndmask_b32_e32 v3, v5, v3, vcc_lo
	s_delay_alu instid0(VALU_DEP_3) | instskip(NEXT) | instid1(VALU_DEP_2)
	v_lshl_add_u32 v5, v7, 23, 0x3b800000
	v_lshlrev_b32_e32 v3, 20, v3
	s_delay_alu instid0(VALU_DEP_1) | instskip(NEXT) | instid1(VALU_DEP_1)
	v_or3_b32 v1, v1, v5, v3
	v_trunc_f32_e32 v1, v1
	s_delay_alu instid0(VALU_DEP_1) | instskip(NEXT) | instid1(VALU_DEP_1)
	v_mul_f32_e64 v3, 0x2f800000, |v1|
	v_floor_f32_e32 v3, v3
	s_delay_alu instid0(VALU_DEP_1) | instskip(SKIP_1) | instid1(VALU_DEP_2)
	v_fma_f32 v3, 0xcf800000, v3, |v1|
	v_ashrrev_i32_e32 v1, 31, v1
	v_cvt_u32_f32_e32 v3, v3
	s_delay_alu instid0(VALU_DEP_1) | instskip(NEXT) | instid1(VALU_DEP_1)
	v_xor_b32_e32 v3, v3, v1
	v_sub_nc_u32_e32 v12, v3, v1
.LBB22_2478:
	s_or_b32 exec_lo, exec_lo, s12
.LBB22_2479:
	s_mov_b32 s12, -1
.LBB22_2480:
	s_mov_b32 s15, 0
.LBB22_2481:
	s_delay_alu instid0(SALU_CYCLE_1)
	s_and_b32 vcc_lo, exec_lo, s15
	s_cbranch_vccz .LBB22_2512
; %bb.2482:
	s_cmp_gt_i32 s4, 22
	s_cbranch_scc0 .LBB22_2490
; %bb.2483:
	s_cmp_lt_i32 s4, 24
	s_cbranch_scc1 .LBB22_2493
; %bb.2484:
	s_cmp_gt_i32 s4, 24
	s_cbranch_scc0 .LBB22_2494
; %bb.2485:
	s_wait_loadcnt 0x0
	global_load_u8 v1, v[16:17], off
	s_mov_b32 s12, 0
	s_mov_b32 s9, exec_lo
	s_wait_loadcnt 0x0
	v_cmpx_lt_i16_e32 0x7f, v1
	s_xor_b32 s9, exec_lo, s9
	s_cbranch_execz .LBB22_2506
; %bb.2486:
	v_cmp_ne_u16_e32 vcc_lo, 0x80, v1
	s_and_b32 s12, vcc_lo, exec_lo
	s_and_not1_saveexec_b32 s9, s9
	s_cbranch_execnz .LBB22_2507
.LBB22_2487:
	s_or_b32 exec_lo, exec_lo, s9
	v_mov_b32_e32 v12, 0
	s_and_saveexec_b32 s9, s12
	s_cbranch_execz .LBB22_2489
.LBB22_2488:
	v_and_b32_e32 v3, 0xffff, v1
	s_delay_alu instid0(VALU_DEP_1) | instskip(SKIP_1) | instid1(VALU_DEP_2)
	v_dual_lshlrev_b32 v1, 24, v1 :: v_dual_bitop2_b32 v5, 3, v3 bitop3:0x40
	v_bfe_u32 v11, v3, 2, 5
	v_and_b32_e32 v1, 0x80000000, v1
	s_delay_alu instid0(VALU_DEP_3) | instskip(NEXT) | instid1(VALU_DEP_3)
	v_clz_i32_u32_e32 v7, v5
	v_cmp_eq_u32_e32 vcc_lo, 0, v11
	s_delay_alu instid0(VALU_DEP_2) | instskip(NEXT) | instid1(VALU_DEP_1)
	v_min_u32_e32 v7, 32, v7
	v_subrev_nc_u32_e32 v9, 29, v7
	v_sub_nc_u32_e32 v7, 30, v7
	s_delay_alu instid0(VALU_DEP_2) | instskip(NEXT) | instid1(VALU_DEP_2)
	v_lshlrev_b32_e32 v3, v9, v3
	v_cndmask_b32_e32 v7, v11, v7, vcc_lo
	s_delay_alu instid0(VALU_DEP_2) | instskip(NEXT) | instid1(VALU_DEP_1)
	v_and_b32_e32 v3, 3, v3
	v_cndmask_b32_e32 v3, v5, v3, vcc_lo
	s_delay_alu instid0(VALU_DEP_3) | instskip(NEXT) | instid1(VALU_DEP_2)
	v_lshl_add_u32 v5, v7, 23, 0x37800000
	v_lshlrev_b32_e32 v3, 21, v3
	s_delay_alu instid0(VALU_DEP_1) | instskip(NEXT) | instid1(VALU_DEP_1)
	v_or3_b32 v1, v1, v5, v3
	v_trunc_f32_e32 v1, v1
	s_delay_alu instid0(VALU_DEP_1) | instskip(NEXT) | instid1(VALU_DEP_1)
	v_mul_f32_e64 v3, 0x2f800000, |v1|
	v_floor_f32_e32 v3, v3
	s_delay_alu instid0(VALU_DEP_1) | instskip(SKIP_1) | instid1(VALU_DEP_2)
	v_fma_f32 v3, 0xcf800000, v3, |v1|
	v_ashrrev_i32_e32 v1, 31, v1
	v_cvt_u32_f32_e32 v3, v3
	s_delay_alu instid0(VALU_DEP_1) | instskip(NEXT) | instid1(VALU_DEP_1)
	v_xor_b32_e32 v3, v3, v1
	v_sub_nc_u32_e32 v12, v3, v1
.LBB22_2489:
	s_or_b32 exec_lo, exec_lo, s9
	s_mov_b32 s9, 0
	s_branch .LBB22_2495
.LBB22_2490:
	s_mov_b32 s9, -1
                                        ; implicit-def: $vgpr12
	s_branch .LBB22_2501
.LBB22_2491:
	s_and_not1_saveexec_b32 s12, s12
	s_cbranch_execz .LBB22_2476
.LBB22_2492:
	v_cmp_ne_u16_e32 vcc_lo, 0, v1
	s_and_not1_b32 s15, s15, exec_lo
	s_and_b32 s18, vcc_lo, exec_lo
	s_delay_alu instid0(SALU_CYCLE_1)
	s_or_b32 s15, s15, s18
	s_or_b32 exec_lo, exec_lo, s12
	v_mov_b32_e32 v12, 0
	s_and_saveexec_b32 s12, s15
	s_cbranch_execnz .LBB22_2477
	s_branch .LBB22_2478
.LBB22_2493:
	s_mov_b32 s9, -1
                                        ; implicit-def: $vgpr12
	s_branch .LBB22_2498
.LBB22_2494:
	s_mov_b32 s9, -1
                                        ; implicit-def: $vgpr12
.LBB22_2495:
	s_delay_alu instid0(SALU_CYCLE_1)
	s_and_b32 vcc_lo, exec_lo, s9
	s_cbranch_vccz .LBB22_2497
; %bb.2496:
	s_wait_loadcnt 0x0
	global_load_u8 v1, v[16:17], off
	s_wait_loadcnt 0x0
	v_lshlrev_b32_e32 v1, 24, v1
	s_delay_alu instid0(VALU_DEP_1) | instskip(NEXT) | instid1(VALU_DEP_1)
	v_and_b32_e32 v3, 0x7f000000, v1
	v_clz_i32_u32_e32 v5, v3
	v_add_nc_u32_e32 v9, 0x1000000, v3
	v_cmp_ne_u32_e32 vcc_lo, 0, v3
	s_delay_alu instid0(VALU_DEP_3) | instskip(NEXT) | instid1(VALU_DEP_1)
	v_min_u32_e32 v5, 32, v5
	v_sub_nc_u32_e64 v5, v5, 4 clamp
	s_delay_alu instid0(VALU_DEP_1) | instskip(NEXT) | instid1(VALU_DEP_1)
	v_dual_lshlrev_b32 v7, v5, v3 :: v_dual_lshlrev_b32 v5, 23, v5
	v_lshrrev_b32_e32 v7, 4, v7
	s_delay_alu instid0(VALU_DEP_1) | instskip(SKIP_1) | instid1(VALU_DEP_2)
	v_sub_nc_u32_e32 v5, v7, v5
	v_ashrrev_i32_e32 v7, 8, v9
	v_add_nc_u32_e32 v5, 0x3c000000, v5
	s_delay_alu instid0(VALU_DEP_1) | instskip(NEXT) | instid1(VALU_DEP_1)
	v_and_or_b32 v5, 0x7f800000, v7, v5
	v_cndmask_b32_e32 v3, 0, v5, vcc_lo
	s_delay_alu instid0(VALU_DEP_1) | instskip(NEXT) | instid1(VALU_DEP_1)
	v_and_or_b32 v1, 0x80000000, v1, v3
	v_trunc_f32_e32 v1, v1
	s_delay_alu instid0(VALU_DEP_1) | instskip(NEXT) | instid1(VALU_DEP_1)
	v_mul_f32_e64 v3, 0x2f800000, |v1|
	v_floor_f32_e32 v3, v3
	s_delay_alu instid0(VALU_DEP_1) | instskip(SKIP_1) | instid1(VALU_DEP_2)
	v_fma_f32 v3, 0xcf800000, v3, |v1|
	v_ashrrev_i32_e32 v1, 31, v1
	v_cvt_u32_f32_e32 v3, v3
	s_delay_alu instid0(VALU_DEP_1) | instskip(NEXT) | instid1(VALU_DEP_1)
	v_xor_b32_e32 v3, v3, v1
	v_sub_nc_u32_e32 v12, v3, v1
.LBB22_2497:
	s_mov_b32 s9, 0
.LBB22_2498:
	s_delay_alu instid0(SALU_CYCLE_1)
	s_and_not1_b32 vcc_lo, exec_lo, s9
	s_cbranch_vccnz .LBB22_2500
; %bb.2499:
	s_wait_loadcnt 0x0
	global_load_u8 v1, v[16:17], off
	s_wait_loadcnt 0x0
	v_lshlrev_b32_e32 v3, 25, v1
	v_lshlrev_b16 v1, 8, v1
	s_delay_alu instid0(VALU_DEP_1) | instskip(SKIP_1) | instid1(VALU_DEP_2)
	v_and_or_b32 v7, 0x7f00, v1, 0.5
	v_bfe_i32 v1, v1, 0, 16
	v_add_f32_e32 v7, -0.5, v7
	v_lshrrev_b32_e32 v5, 4, v3
	v_cmp_gt_u32_e32 vcc_lo, 0x8000000, v3
	s_delay_alu instid0(VALU_DEP_2) | instskip(NEXT) | instid1(VALU_DEP_1)
	v_or_b32_e32 v5, 0x70000000, v5
	v_mul_f32_e32 v5, 0x7800000, v5
	s_delay_alu instid0(VALU_DEP_1) | instskip(NEXT) | instid1(VALU_DEP_1)
	v_cndmask_b32_e32 v3, v5, v7, vcc_lo
	v_and_or_b32 v1, 0x80000000, v1, v3
	s_delay_alu instid0(VALU_DEP_1) | instskip(NEXT) | instid1(VALU_DEP_1)
	v_trunc_f32_e32 v1, v1
	v_mul_f32_e64 v3, 0x2f800000, |v1|
	s_delay_alu instid0(VALU_DEP_1) | instskip(NEXT) | instid1(VALU_DEP_1)
	v_floor_f32_e32 v3, v3
	v_fma_f32 v3, 0xcf800000, v3, |v1|
	v_ashrrev_i32_e32 v1, 31, v1
	s_delay_alu instid0(VALU_DEP_2) | instskip(NEXT) | instid1(VALU_DEP_1)
	v_cvt_u32_f32_e32 v3, v3
	v_xor_b32_e32 v3, v3, v1
	s_delay_alu instid0(VALU_DEP_1)
	v_sub_nc_u32_e32 v12, v3, v1
.LBB22_2500:
	s_mov_b32 s9, 0
	s_mov_b32 s12, -1
.LBB22_2501:
	s_and_not1_b32 vcc_lo, exec_lo, s9
	s_mov_b32 s9, 0
	s_cbranch_vccnz .LBB22_2512
; %bb.2502:
	s_cmp_gt_i32 s4, 14
	s_cbranch_scc0 .LBB22_2505
; %bb.2503:
	s_cmp_eq_u32 s4, 15
	s_cbranch_scc0 .LBB22_2508
; %bb.2504:
	s_wait_loadcnt 0x0
	global_load_u16 v1, v[16:17], off
	s_mov_b32 s8, 0
	s_mov_b32 s12, -1
	s_wait_loadcnt 0x0
	v_lshlrev_b32_e32 v1, 16, v1
	s_delay_alu instid0(VALU_DEP_1) | instskip(NEXT) | instid1(VALU_DEP_1)
	v_trunc_f32_e32 v1, v1
	v_mul_f32_e64 v3, 0x2f800000, |v1|
	s_delay_alu instid0(VALU_DEP_1) | instskip(NEXT) | instid1(VALU_DEP_1)
	v_floor_f32_e32 v3, v3
	v_fma_f32 v3, 0xcf800000, v3, |v1|
	v_ashrrev_i32_e32 v1, 31, v1
	s_delay_alu instid0(VALU_DEP_2) | instskip(NEXT) | instid1(VALU_DEP_1)
	v_cvt_u32_f32_e32 v3, v3
	v_xor_b32_e32 v3, v3, v1
	s_delay_alu instid0(VALU_DEP_1)
	v_sub_nc_u32_e32 v12, v3, v1
	s_branch .LBB22_2510
.LBB22_2505:
	s_mov_b32 s9, -1
	s_branch .LBB22_2509
.LBB22_2506:
	s_and_not1_saveexec_b32 s9, s9
	s_cbranch_execz .LBB22_2487
.LBB22_2507:
	v_cmp_ne_u16_e32 vcc_lo, 0, v1
	s_and_not1_b32 s12, s12, exec_lo
	s_and_b32 s15, vcc_lo, exec_lo
	s_delay_alu instid0(SALU_CYCLE_1)
	s_or_b32 s12, s12, s15
	s_or_b32 exec_lo, exec_lo, s9
	v_mov_b32_e32 v12, 0
	s_and_saveexec_b32 s9, s12
	s_cbranch_execnz .LBB22_2488
	s_branch .LBB22_2489
.LBB22_2508:
	s_mov_b32 s8, -1
.LBB22_2509:
                                        ; implicit-def: $vgpr12
.LBB22_2510:
	s_and_b32 vcc_lo, exec_lo, s9
	s_mov_b32 s9, 0
	s_cbranch_vccz .LBB22_2512
; %bb.2511:
	s_cmp_lg_u32 s4, 11
	s_mov_b32 s9, -1
	s_cselect_b32 s8, -1, 0
.LBB22_2512:
	s_delay_alu instid0(SALU_CYCLE_1)
	s_and_b32 vcc_lo, exec_lo, s8
	s_cbranch_vccnz .LBB22_2577
; %bb.2513:
	s_and_not1_b32 vcc_lo, exec_lo, s9
	s_cbranch_vccnz .LBB22_2515
.LBB22_2514:
	s_wait_loadcnt 0x0
	global_load_u8 v1, v[16:17], off
	s_mov_b32 s12, -1
	s_wait_loadcnt 0x0
	v_cmp_ne_u16_e32 vcc_lo, 0, v1
	v_cndmask_b32_e64 v12, 0, 1, vcc_lo
.LBB22_2515:
	s_mov_b32 s4, 0
.LBB22_2516:
	s_delay_alu instid0(SALU_CYCLE_1)
	s_and_b32 vcc_lo, exec_lo, s4
	s_cbranch_vccz .LBB22_2565
; %bb.2517:
	s_and_b32 s0, 0xffff, s0
	s_delay_alu instid0(SALU_CYCLE_1)
	s_cmp_lt_i32 s0, 5
	s_cbranch_scc1 .LBB22_2522
; %bb.2518:
	s_cmp_lt_i32 s0, 8
	s_cbranch_scc1 .LBB22_2523
; %bb.2519:
	s_cmp_lt_i32 s0, 9
	s_cbranch_scc1 .LBB22_2524
; %bb.2520:
	s_cmp_gt_i32 s0, 9
	s_cbranch_scc0 .LBB22_2525
; %bb.2521:
	s_wait_loadcnt 0x0
	global_load_b64 v[12:13], v[16:17], off
	s_mov_b32 s4, 0
	s_wait_loadcnt 0x0
	v_trunc_f64_e32 v[12:13], v[12:13]
	s_delay_alu instid0(VALU_DEP_1) | instskip(NEXT) | instid1(VALU_DEP_1)
	v_ldexp_f64 v[20:21], v[12:13], 0xffffffe0
	v_floor_f64_e32 v[20:21], v[20:21]
	s_delay_alu instid0(VALU_DEP_1) | instskip(NEXT) | instid1(VALU_DEP_1)
	v_fmamk_f64 v[12:13], v[20:21], 0xc1f00000, v[12:13]
	v_cvt_u32_f64_e32 v12, v[12:13]
	s_branch .LBB22_2526
.LBB22_2522:
	s_mov_b32 s4, -1
                                        ; implicit-def: $vgpr12
	s_branch .LBB22_2544
.LBB22_2523:
	s_mov_b32 s4, -1
                                        ; implicit-def: $vgpr12
	s_branch .LBB22_2532
.LBB22_2524:
	s_mov_b32 s4, -1
                                        ; implicit-def: $vgpr12
	s_branch .LBB22_2529
.LBB22_2525:
	s_mov_b32 s4, -1
                                        ; implicit-def: $vgpr12
.LBB22_2526:
	s_delay_alu instid0(SALU_CYCLE_1)
	s_and_not1_b32 vcc_lo, exec_lo, s4
	s_cbranch_vccnz .LBB22_2528
; %bb.2527:
	s_wait_loadcnt 0x0
	global_load_b32 v1, v[16:17], off
	s_wait_loadcnt 0x0
	v_trunc_f32_e32 v1, v1
	s_delay_alu instid0(VALU_DEP_1) | instskip(NEXT) | instid1(VALU_DEP_1)
	v_mul_f32_e64 v3, 0x2f800000, |v1|
	v_floor_f32_e32 v3, v3
	s_delay_alu instid0(VALU_DEP_1) | instskip(SKIP_1) | instid1(VALU_DEP_2)
	v_fma_f32 v3, 0xcf800000, v3, |v1|
	v_ashrrev_i32_e32 v1, 31, v1
	v_cvt_u32_f32_e32 v3, v3
	s_delay_alu instid0(VALU_DEP_1) | instskip(NEXT) | instid1(VALU_DEP_1)
	v_xor_b32_e32 v3, v3, v1
	v_sub_nc_u32_e32 v12, v3, v1
.LBB22_2528:
	s_mov_b32 s4, 0
.LBB22_2529:
	s_delay_alu instid0(SALU_CYCLE_1)
	s_and_not1_b32 vcc_lo, exec_lo, s4
	s_cbranch_vccnz .LBB22_2531
; %bb.2530:
	s_wait_loadcnt 0x0
	global_load_b32 v1, v[16:17], off
	s_wait_loadcnt 0x0
	v_cvt_f32_f16_e32 v1, v1
	s_delay_alu instid0(VALU_DEP_1)
	v_cvt_i32_f32_e32 v12, v1
.LBB22_2531:
	s_mov_b32 s4, 0
.LBB22_2532:
	s_delay_alu instid0(SALU_CYCLE_1)
	s_and_not1_b32 vcc_lo, exec_lo, s4
	s_cbranch_vccnz .LBB22_2543
; %bb.2533:
	s_cmp_lt_i32 s0, 6
	s_cbranch_scc1 .LBB22_2536
; %bb.2534:
	s_cmp_gt_i32 s0, 6
	s_cbranch_scc0 .LBB22_2537
; %bb.2535:
	s_wait_loadcnt 0x0
	global_load_b64 v[12:13], v[16:17], off
	s_mov_b32 s4, 0
	s_wait_loadcnt 0x0
	v_trunc_f64_e32 v[12:13], v[12:13]
	s_delay_alu instid0(VALU_DEP_1) | instskip(NEXT) | instid1(VALU_DEP_1)
	v_ldexp_f64 v[20:21], v[12:13], 0xffffffe0
	v_floor_f64_e32 v[20:21], v[20:21]
	s_delay_alu instid0(VALU_DEP_1) | instskip(NEXT) | instid1(VALU_DEP_1)
	v_fmamk_f64 v[12:13], v[20:21], 0xc1f00000, v[12:13]
	v_cvt_u32_f64_e32 v12, v[12:13]
	s_branch .LBB22_2538
.LBB22_2536:
	s_mov_b32 s4, -1
                                        ; implicit-def: $vgpr12
	s_branch .LBB22_2541
.LBB22_2537:
	s_mov_b32 s4, -1
                                        ; implicit-def: $vgpr12
.LBB22_2538:
	s_delay_alu instid0(SALU_CYCLE_1)
	s_and_not1_b32 vcc_lo, exec_lo, s4
	s_cbranch_vccnz .LBB22_2540
; %bb.2539:
	s_wait_loadcnt 0x0
	global_load_b32 v1, v[16:17], off
	s_wait_loadcnt 0x0
	v_trunc_f32_e32 v1, v1
	s_delay_alu instid0(VALU_DEP_1) | instskip(NEXT) | instid1(VALU_DEP_1)
	v_mul_f32_e64 v3, 0x2f800000, |v1|
	v_floor_f32_e32 v3, v3
	s_delay_alu instid0(VALU_DEP_1) | instskip(SKIP_1) | instid1(VALU_DEP_2)
	v_fma_f32 v3, 0xcf800000, v3, |v1|
	v_ashrrev_i32_e32 v1, 31, v1
	v_cvt_u32_f32_e32 v3, v3
	s_delay_alu instid0(VALU_DEP_1) | instskip(NEXT) | instid1(VALU_DEP_1)
	v_xor_b32_e32 v3, v3, v1
	v_sub_nc_u32_e32 v12, v3, v1
.LBB22_2540:
	s_mov_b32 s4, 0
.LBB22_2541:
	s_delay_alu instid0(SALU_CYCLE_1)
	s_and_not1_b32 vcc_lo, exec_lo, s4
	s_cbranch_vccnz .LBB22_2543
; %bb.2542:
	s_wait_loadcnt 0x0
	global_load_u16 v1, v[16:17], off
	s_wait_loadcnt 0x0
	v_cvt_f32_f16_e32 v1, v1
	s_delay_alu instid0(VALU_DEP_1)
	v_cvt_i32_f32_e32 v12, v1
.LBB22_2543:
	s_mov_b32 s4, 0
.LBB22_2544:
	s_delay_alu instid0(SALU_CYCLE_1)
	s_and_not1_b32 vcc_lo, exec_lo, s4
	s_cbranch_vccnz .LBB22_2564
; %bb.2545:
	s_cmp_lt_i32 s0, 2
	s_cbranch_scc1 .LBB22_2549
; %bb.2546:
	s_cmp_lt_i32 s0, 3
	s_cbranch_scc1 .LBB22_2550
; %bb.2547:
	s_cmp_gt_i32 s0, 3
	s_cbranch_scc0 .LBB22_2551
; %bb.2548:
	s_wait_loadcnt 0x0
	global_load_b64 v[12:13], v[16:17], off
	s_mov_b32 s4, 0
	s_branch .LBB22_2552
.LBB22_2549:
	s_mov_b32 s4, -1
                                        ; implicit-def: $vgpr12
	s_branch .LBB22_2558
.LBB22_2550:
	s_mov_b32 s4, -1
                                        ; implicit-def: $vgpr12
	s_branch .LBB22_2555
.LBB22_2551:
	s_mov_b32 s4, -1
                                        ; implicit-def: $vgpr12
.LBB22_2552:
	s_delay_alu instid0(SALU_CYCLE_1)
	s_and_not1_b32 vcc_lo, exec_lo, s4
	s_cbranch_vccnz .LBB22_2554
; %bb.2553:
	s_wait_loadcnt 0x0
	global_load_b32 v12, v[16:17], off
.LBB22_2554:
	s_mov_b32 s4, 0
.LBB22_2555:
	s_delay_alu instid0(SALU_CYCLE_1)
	s_and_not1_b32 vcc_lo, exec_lo, s4
	s_cbranch_vccnz .LBB22_2557
; %bb.2556:
	s_wait_loadcnt 0x0
	global_load_u16 v12, v[16:17], off
.LBB22_2557:
	s_mov_b32 s4, 0
.LBB22_2558:
	s_delay_alu instid0(SALU_CYCLE_1)
	s_and_not1_b32 vcc_lo, exec_lo, s4
	s_cbranch_vccnz .LBB22_2564
; %bb.2559:
	s_cmp_gt_i32 s0, 0
	s_mov_b32 s0, 0
	s_cbranch_scc0 .LBB22_2561
; %bb.2560:
	s_wait_loadcnt 0x0
	global_load_u8 v12, v[16:17], off
	s_branch .LBB22_2562
.LBB22_2561:
	s_mov_b32 s0, -1
                                        ; implicit-def: $vgpr12
.LBB22_2562:
	s_delay_alu instid0(SALU_CYCLE_1)
	s_and_not1_b32 vcc_lo, exec_lo, s0
	s_cbranch_vccnz .LBB22_2564
; %bb.2563:
	s_wait_loadcnt 0x0
	global_load_u8 v12, v[16:17], off
.LBB22_2564:
	s_mov_b32 s12, -1
.LBB22_2565:
	s_delay_alu instid0(SALU_CYCLE_1)
	s_and_not1_b32 vcc_lo, exec_lo, s12
	s_cbranch_vccnz .LBB22_3126
; %bb.2566:
	v_add_nc_u32_e32 v14, s5, v14
	s_cmp_lt_i32 s7, 11
	s_delay_alu instid0(VALU_DEP_1) | instskip(SKIP_1) | instid1(VALU_DEP_1)
	v_ashrrev_i32_e32 v15, 31, v14
	s_wait_xcnt 0x0
	v_add_nc_u64_e32 v[16:17], s[10:11], v[14:15]
	s_cbranch_scc1 .LBB22_2573
; %bb.2567:
	s_and_b32 s0, 0xffff, s7
	s_mov_b32 s5, 0
	s_cmp_gt_i32 s0, 25
	s_cbranch_scc0 .LBB22_2574
; %bb.2568:
	s_cmp_gt_i32 s0, 28
	s_cbranch_scc0 .LBB22_2575
; %bb.2569:
	;; [unrolled: 3-line block ×4, first 2 shown]
	s_cmp_eq_u32 s0, 46
	s_mov_b32 s9, 0
	s_cbranch_scc0 .LBB22_2579
; %bb.2572:
	s_wait_loadcnt 0x0
	global_load_b32 v1, v[16:17], off
	s_mov_b32 s4, 0
	s_mov_b32 s8, -1
	s_wait_loadcnt 0x0
	v_lshlrev_b32_e32 v1, 16, v1
	s_delay_alu instid0(VALU_DEP_1) | instskip(NEXT) | instid1(VALU_DEP_1)
	v_trunc_f32_e32 v1, v1
	v_mul_f32_e64 v3, 0x2f800000, |v1|
	s_delay_alu instid0(VALU_DEP_1) | instskip(NEXT) | instid1(VALU_DEP_1)
	v_floor_f32_e32 v3, v3
	v_fma_f32 v3, 0xcf800000, v3, |v1|
	v_ashrrev_i32_e32 v1, 31, v1
	s_delay_alu instid0(VALU_DEP_2) | instskip(NEXT) | instid1(VALU_DEP_1)
	v_cvt_u32_f32_e32 v3, v3
	v_xor_b32_e32 v3, v3, v1
	s_delay_alu instid0(VALU_DEP_1)
	v_sub_nc_u32_e32 v14, v3, v1
	s_branch .LBB22_2581
.LBB22_2573:
	s_mov_b32 s0, -1
	s_mov_b32 s8, 0
                                        ; implicit-def: $vgpr14
	s_branch .LBB22_2643
.LBB22_2574:
	s_mov_b32 s9, -1
	s_mov_b32 s8, 0
	s_mov_b32 s4, 0
                                        ; implicit-def: $vgpr14
	s_branch .LBB22_2608
.LBB22_2575:
	s_mov_b32 s9, -1
	s_mov_b32 s8, 0
	s_mov_b32 s4, 0
                                        ; implicit-def: $vgpr14
	s_branch .LBB22_2591
.LBB22_2576:
	s_mov_b32 s9, -1
	s_mov_b32 s8, 0
	s_mov_b32 s4, 0
                                        ; implicit-def: $vgpr14
	s_branch .LBB22_2586
.LBB22_2577:
	s_or_b32 s13, s13, exec_lo
	s_trap 2
	s_cbranch_execz .LBB22_2514
	s_branch .LBB22_2515
.LBB22_2578:
	s_mov_b32 s9, -1
	s_mov_b32 s8, 0
	s_mov_b32 s4, 0
	s_branch .LBB22_2580
.LBB22_2579:
	s_mov_b32 s4, -1
	s_mov_b32 s8, 0
.LBB22_2580:
                                        ; implicit-def: $vgpr14
.LBB22_2581:
	s_and_b32 vcc_lo, exec_lo, s9
	s_cbranch_vccz .LBB22_2585
; %bb.2582:
	s_cmp_eq_u32 s0, 44
	s_cbranch_scc0 .LBB22_2584
; %bb.2583:
	s_wait_loadcnt 0x0
	global_load_u8 v1, v[16:17], off
	s_mov_b32 s4, 0
	s_mov_b32 s8, -1
	s_wait_loadcnt 0x0
	v_lshlrev_b32_e32 v3, 23, v1
	v_cmp_ne_u32_e32 vcc_lo, 0, v1
	s_delay_alu instid0(VALU_DEP_2) | instskip(NEXT) | instid1(VALU_DEP_1)
	v_trunc_f32_e32 v3, v3
	v_mul_f32_e64 v5, 0x2f800000, |v3|
	s_delay_alu instid0(VALU_DEP_1) | instskip(NEXT) | instid1(VALU_DEP_1)
	v_floor_f32_e32 v5, v5
	v_fma_f32 v5, 0xcf800000, v5, |v3|
	v_ashrrev_i32_e32 v3, 31, v3
	s_delay_alu instid0(VALU_DEP_2) | instskip(NEXT) | instid1(VALU_DEP_1)
	v_cvt_u32_f32_e32 v5, v5
	v_xor_b32_e32 v5, v5, v3
	s_delay_alu instid0(VALU_DEP_1) | instskip(NEXT) | instid1(VALU_DEP_1)
	v_sub_nc_u32_e32 v3, v5, v3
	v_cndmask_b32_e32 v14, 0, v3, vcc_lo
	s_branch .LBB22_2585
.LBB22_2584:
	s_mov_b32 s4, -1
                                        ; implicit-def: $vgpr14
.LBB22_2585:
	s_mov_b32 s9, 0
.LBB22_2586:
	s_delay_alu instid0(SALU_CYCLE_1)
	s_and_b32 vcc_lo, exec_lo, s9
	s_cbranch_vccz .LBB22_2590
; %bb.2587:
	s_cmp_eq_u32 s0, 29
	s_cbranch_scc0 .LBB22_2589
; %bb.2588:
	global_load_b64 v[14:15], v[16:17], off
	s_mov_b32 s4, 0
	s_mov_b32 s8, -1
	s_branch .LBB22_2590
.LBB22_2589:
	s_mov_b32 s4, -1
                                        ; implicit-def: $vgpr14
.LBB22_2590:
	s_mov_b32 s9, 0
.LBB22_2591:
	s_delay_alu instid0(SALU_CYCLE_1)
	s_and_b32 vcc_lo, exec_lo, s9
	s_cbranch_vccz .LBB22_2607
; %bb.2592:
	s_cmp_lt_i32 s0, 27
	s_cbranch_scc1 .LBB22_2595
; %bb.2593:
	s_cmp_gt_i32 s0, 27
	s_cbranch_scc0 .LBB22_2596
; %bb.2594:
	s_wait_loadcnt 0x0
	global_load_b32 v14, v[16:17], off
	s_mov_b32 s8, 0
	s_branch .LBB22_2597
.LBB22_2595:
	s_mov_b32 s8, -1
                                        ; implicit-def: $vgpr14
	s_branch .LBB22_2600
.LBB22_2596:
	s_mov_b32 s8, -1
                                        ; implicit-def: $vgpr14
.LBB22_2597:
	s_delay_alu instid0(SALU_CYCLE_1)
	s_and_not1_b32 vcc_lo, exec_lo, s8
	s_cbranch_vccnz .LBB22_2599
; %bb.2598:
	s_wait_loadcnt 0x0
	global_load_u16 v14, v[16:17], off
.LBB22_2599:
	s_mov_b32 s8, 0
.LBB22_2600:
	s_delay_alu instid0(SALU_CYCLE_1)
	s_and_not1_b32 vcc_lo, exec_lo, s8
	s_cbranch_vccnz .LBB22_2606
; %bb.2601:
	s_wait_loadcnt 0x0
	global_load_u8 v1, v[16:17], off
	s_mov_b32 s9, 0
	s_mov_b32 s8, exec_lo
	s_wait_loadcnt 0x0
	v_cmpx_lt_i16_e32 0x7f, v1
	s_xor_b32 s8, exec_lo, s8
	s_cbranch_execz .LBB22_2618
; %bb.2602:
	v_cmp_ne_u16_e32 vcc_lo, 0x80, v1
	s_and_b32 s9, vcc_lo, exec_lo
	s_and_not1_saveexec_b32 s8, s8
	s_cbranch_execnz .LBB22_2619
.LBB22_2603:
	s_or_b32 exec_lo, exec_lo, s8
	v_mov_b32_e32 v14, 0
	s_and_saveexec_b32 s8, s9
	s_cbranch_execz .LBB22_2605
.LBB22_2604:
	v_and_b32_e32 v3, 0xffff, v1
	s_delay_alu instid0(VALU_DEP_1) | instskip(SKIP_1) | instid1(VALU_DEP_2)
	v_dual_lshlrev_b32 v1, 24, v1 :: v_dual_bitop2_b32 v5, 7, v3 bitop3:0x40
	v_bfe_u32 v11, v3, 3, 4
	v_and_b32_e32 v1, 0x80000000, v1
	s_delay_alu instid0(VALU_DEP_3) | instskip(NEXT) | instid1(VALU_DEP_3)
	v_clz_i32_u32_e32 v7, v5
	v_cmp_eq_u32_e32 vcc_lo, 0, v11
	s_delay_alu instid0(VALU_DEP_2) | instskip(NEXT) | instid1(VALU_DEP_1)
	v_min_u32_e32 v7, 32, v7
	v_subrev_nc_u32_e32 v9, 28, v7
	v_sub_nc_u32_e32 v7, 29, v7
	s_delay_alu instid0(VALU_DEP_2) | instskip(NEXT) | instid1(VALU_DEP_2)
	v_lshlrev_b32_e32 v3, v9, v3
	v_cndmask_b32_e32 v7, v11, v7, vcc_lo
	s_delay_alu instid0(VALU_DEP_2) | instskip(NEXT) | instid1(VALU_DEP_1)
	v_and_b32_e32 v3, 7, v3
	v_cndmask_b32_e32 v3, v5, v3, vcc_lo
	s_delay_alu instid0(VALU_DEP_3) | instskip(NEXT) | instid1(VALU_DEP_2)
	v_lshl_add_u32 v5, v7, 23, 0x3b800000
	v_lshlrev_b32_e32 v3, 20, v3
	s_delay_alu instid0(VALU_DEP_1) | instskip(NEXT) | instid1(VALU_DEP_1)
	v_or3_b32 v1, v1, v5, v3
	v_trunc_f32_e32 v1, v1
	s_delay_alu instid0(VALU_DEP_1) | instskip(NEXT) | instid1(VALU_DEP_1)
	v_mul_f32_e64 v3, 0x2f800000, |v1|
	v_floor_f32_e32 v3, v3
	s_delay_alu instid0(VALU_DEP_1) | instskip(SKIP_1) | instid1(VALU_DEP_2)
	v_fma_f32 v3, 0xcf800000, v3, |v1|
	v_ashrrev_i32_e32 v1, 31, v1
	v_cvt_u32_f32_e32 v3, v3
	s_delay_alu instid0(VALU_DEP_1) | instskip(NEXT) | instid1(VALU_DEP_1)
	v_xor_b32_e32 v3, v3, v1
	v_sub_nc_u32_e32 v14, v3, v1
.LBB22_2605:
	s_or_b32 exec_lo, exec_lo, s8
.LBB22_2606:
	s_mov_b32 s8, -1
.LBB22_2607:
	s_mov_b32 s9, 0
.LBB22_2608:
	s_delay_alu instid0(SALU_CYCLE_1)
	s_and_b32 vcc_lo, exec_lo, s9
	s_cbranch_vccz .LBB22_2639
; %bb.2609:
	s_cmp_gt_i32 s0, 22
	s_cbranch_scc0 .LBB22_2617
; %bb.2610:
	s_cmp_lt_i32 s0, 24
	s_cbranch_scc1 .LBB22_2620
; %bb.2611:
	s_cmp_gt_i32 s0, 24
	s_cbranch_scc0 .LBB22_2621
; %bb.2612:
	s_wait_loadcnt 0x0
	global_load_u8 v1, v[16:17], off
	s_mov_b32 s8, 0
	s_mov_b32 s5, exec_lo
	s_wait_loadcnt 0x0
	v_cmpx_lt_i16_e32 0x7f, v1
	s_xor_b32 s5, exec_lo, s5
	s_cbranch_execz .LBB22_2633
; %bb.2613:
	v_cmp_ne_u16_e32 vcc_lo, 0x80, v1
	s_and_b32 s8, vcc_lo, exec_lo
	s_and_not1_saveexec_b32 s5, s5
	s_cbranch_execnz .LBB22_2634
.LBB22_2614:
	s_or_b32 exec_lo, exec_lo, s5
	v_mov_b32_e32 v14, 0
	s_and_saveexec_b32 s5, s8
	s_cbranch_execz .LBB22_2616
.LBB22_2615:
	v_and_b32_e32 v3, 0xffff, v1
	s_delay_alu instid0(VALU_DEP_1) | instskip(SKIP_1) | instid1(VALU_DEP_2)
	v_dual_lshlrev_b32 v1, 24, v1 :: v_dual_bitop2_b32 v5, 3, v3 bitop3:0x40
	v_bfe_u32 v11, v3, 2, 5
	v_and_b32_e32 v1, 0x80000000, v1
	s_delay_alu instid0(VALU_DEP_3) | instskip(NEXT) | instid1(VALU_DEP_3)
	v_clz_i32_u32_e32 v7, v5
	v_cmp_eq_u32_e32 vcc_lo, 0, v11
	s_delay_alu instid0(VALU_DEP_2) | instskip(NEXT) | instid1(VALU_DEP_1)
	v_min_u32_e32 v7, 32, v7
	v_subrev_nc_u32_e32 v9, 29, v7
	v_sub_nc_u32_e32 v7, 30, v7
	s_delay_alu instid0(VALU_DEP_2) | instskip(NEXT) | instid1(VALU_DEP_2)
	v_lshlrev_b32_e32 v3, v9, v3
	v_cndmask_b32_e32 v7, v11, v7, vcc_lo
	s_delay_alu instid0(VALU_DEP_2) | instskip(NEXT) | instid1(VALU_DEP_1)
	v_and_b32_e32 v3, 3, v3
	v_cndmask_b32_e32 v3, v5, v3, vcc_lo
	s_delay_alu instid0(VALU_DEP_3) | instskip(NEXT) | instid1(VALU_DEP_2)
	v_lshl_add_u32 v5, v7, 23, 0x37800000
	v_lshlrev_b32_e32 v3, 21, v3
	s_delay_alu instid0(VALU_DEP_1) | instskip(NEXT) | instid1(VALU_DEP_1)
	v_or3_b32 v1, v1, v5, v3
	v_trunc_f32_e32 v1, v1
	s_delay_alu instid0(VALU_DEP_1) | instskip(NEXT) | instid1(VALU_DEP_1)
	v_mul_f32_e64 v3, 0x2f800000, |v1|
	v_floor_f32_e32 v3, v3
	s_delay_alu instid0(VALU_DEP_1) | instskip(SKIP_1) | instid1(VALU_DEP_2)
	v_fma_f32 v3, 0xcf800000, v3, |v1|
	v_ashrrev_i32_e32 v1, 31, v1
	v_cvt_u32_f32_e32 v3, v3
	s_delay_alu instid0(VALU_DEP_1) | instskip(NEXT) | instid1(VALU_DEP_1)
	v_xor_b32_e32 v3, v3, v1
	v_sub_nc_u32_e32 v14, v3, v1
.LBB22_2616:
	s_or_b32 exec_lo, exec_lo, s5
	s_mov_b32 s5, 0
	s_branch .LBB22_2622
.LBB22_2617:
	s_mov_b32 s5, -1
                                        ; implicit-def: $vgpr14
	s_branch .LBB22_2628
.LBB22_2618:
	s_and_not1_saveexec_b32 s8, s8
	s_cbranch_execz .LBB22_2603
.LBB22_2619:
	v_cmp_ne_u16_e32 vcc_lo, 0, v1
	s_and_not1_b32 s9, s9, exec_lo
	s_and_b32 s10, vcc_lo, exec_lo
	s_delay_alu instid0(SALU_CYCLE_1)
	s_or_b32 s9, s9, s10
	s_or_b32 exec_lo, exec_lo, s8
	v_mov_b32_e32 v14, 0
	s_and_saveexec_b32 s8, s9
	s_cbranch_execnz .LBB22_2604
	s_branch .LBB22_2605
.LBB22_2620:
	s_mov_b32 s5, -1
                                        ; implicit-def: $vgpr14
	s_branch .LBB22_2625
.LBB22_2621:
	s_mov_b32 s5, -1
                                        ; implicit-def: $vgpr14
.LBB22_2622:
	s_delay_alu instid0(SALU_CYCLE_1)
	s_and_b32 vcc_lo, exec_lo, s5
	s_cbranch_vccz .LBB22_2624
; %bb.2623:
	s_wait_loadcnt 0x0
	global_load_u8 v1, v[16:17], off
	s_wait_loadcnt 0x0
	v_lshlrev_b32_e32 v1, 24, v1
	s_delay_alu instid0(VALU_DEP_1) | instskip(NEXT) | instid1(VALU_DEP_1)
	v_and_b32_e32 v3, 0x7f000000, v1
	v_clz_i32_u32_e32 v5, v3
	v_add_nc_u32_e32 v9, 0x1000000, v3
	v_cmp_ne_u32_e32 vcc_lo, 0, v3
	s_delay_alu instid0(VALU_DEP_3) | instskip(NEXT) | instid1(VALU_DEP_1)
	v_min_u32_e32 v5, 32, v5
	v_sub_nc_u32_e64 v5, v5, 4 clamp
	s_delay_alu instid0(VALU_DEP_1) | instskip(NEXT) | instid1(VALU_DEP_1)
	v_dual_lshlrev_b32 v7, v5, v3 :: v_dual_lshlrev_b32 v5, 23, v5
	v_lshrrev_b32_e32 v7, 4, v7
	s_delay_alu instid0(VALU_DEP_1) | instskip(SKIP_1) | instid1(VALU_DEP_2)
	v_sub_nc_u32_e32 v5, v7, v5
	v_ashrrev_i32_e32 v7, 8, v9
	v_add_nc_u32_e32 v5, 0x3c000000, v5
	s_delay_alu instid0(VALU_DEP_1) | instskip(NEXT) | instid1(VALU_DEP_1)
	v_and_or_b32 v5, 0x7f800000, v7, v5
	v_cndmask_b32_e32 v3, 0, v5, vcc_lo
	s_delay_alu instid0(VALU_DEP_1) | instskip(NEXT) | instid1(VALU_DEP_1)
	v_and_or_b32 v1, 0x80000000, v1, v3
	v_trunc_f32_e32 v1, v1
	s_delay_alu instid0(VALU_DEP_1) | instskip(NEXT) | instid1(VALU_DEP_1)
	v_mul_f32_e64 v3, 0x2f800000, |v1|
	v_floor_f32_e32 v3, v3
	s_delay_alu instid0(VALU_DEP_1) | instskip(SKIP_1) | instid1(VALU_DEP_2)
	v_fma_f32 v3, 0xcf800000, v3, |v1|
	v_ashrrev_i32_e32 v1, 31, v1
	v_cvt_u32_f32_e32 v3, v3
	s_delay_alu instid0(VALU_DEP_1) | instskip(NEXT) | instid1(VALU_DEP_1)
	v_xor_b32_e32 v3, v3, v1
	v_sub_nc_u32_e32 v14, v3, v1
.LBB22_2624:
	s_mov_b32 s5, 0
.LBB22_2625:
	s_delay_alu instid0(SALU_CYCLE_1)
	s_and_not1_b32 vcc_lo, exec_lo, s5
	s_cbranch_vccnz .LBB22_2627
; %bb.2626:
	s_wait_loadcnt 0x0
	global_load_u8 v1, v[16:17], off
	s_wait_loadcnt 0x0
	v_lshlrev_b32_e32 v3, 25, v1
	v_lshlrev_b16 v1, 8, v1
	s_delay_alu instid0(VALU_DEP_1) | instskip(SKIP_1) | instid1(VALU_DEP_2)
	v_and_or_b32 v7, 0x7f00, v1, 0.5
	v_bfe_i32 v1, v1, 0, 16
	v_add_f32_e32 v7, -0.5, v7
	v_lshrrev_b32_e32 v5, 4, v3
	v_cmp_gt_u32_e32 vcc_lo, 0x8000000, v3
	s_delay_alu instid0(VALU_DEP_2) | instskip(NEXT) | instid1(VALU_DEP_1)
	v_or_b32_e32 v5, 0x70000000, v5
	v_mul_f32_e32 v5, 0x7800000, v5
	s_delay_alu instid0(VALU_DEP_1) | instskip(NEXT) | instid1(VALU_DEP_1)
	v_cndmask_b32_e32 v3, v5, v7, vcc_lo
	v_and_or_b32 v1, 0x80000000, v1, v3
	s_delay_alu instid0(VALU_DEP_1) | instskip(NEXT) | instid1(VALU_DEP_1)
	v_trunc_f32_e32 v1, v1
	v_mul_f32_e64 v3, 0x2f800000, |v1|
	s_delay_alu instid0(VALU_DEP_1) | instskip(NEXT) | instid1(VALU_DEP_1)
	v_floor_f32_e32 v3, v3
	v_fma_f32 v3, 0xcf800000, v3, |v1|
	v_ashrrev_i32_e32 v1, 31, v1
	s_delay_alu instid0(VALU_DEP_2) | instskip(NEXT) | instid1(VALU_DEP_1)
	v_cvt_u32_f32_e32 v3, v3
	v_xor_b32_e32 v3, v3, v1
	s_delay_alu instid0(VALU_DEP_1)
	v_sub_nc_u32_e32 v14, v3, v1
.LBB22_2627:
	s_mov_b32 s5, 0
	s_mov_b32 s8, -1
.LBB22_2628:
	s_and_not1_b32 vcc_lo, exec_lo, s5
	s_mov_b32 s5, 0
	s_cbranch_vccnz .LBB22_2639
; %bb.2629:
	s_cmp_gt_i32 s0, 14
	s_cbranch_scc0 .LBB22_2632
; %bb.2630:
	s_cmp_eq_u32 s0, 15
	s_cbranch_scc0 .LBB22_2635
; %bb.2631:
	s_wait_loadcnt 0x0
	global_load_u16 v1, v[16:17], off
	s_mov_b32 s4, 0
	s_mov_b32 s8, -1
	s_wait_loadcnt 0x0
	v_lshlrev_b32_e32 v1, 16, v1
	s_delay_alu instid0(VALU_DEP_1) | instskip(NEXT) | instid1(VALU_DEP_1)
	v_trunc_f32_e32 v1, v1
	v_mul_f32_e64 v3, 0x2f800000, |v1|
	s_delay_alu instid0(VALU_DEP_1) | instskip(NEXT) | instid1(VALU_DEP_1)
	v_floor_f32_e32 v3, v3
	v_fma_f32 v3, 0xcf800000, v3, |v1|
	v_ashrrev_i32_e32 v1, 31, v1
	s_delay_alu instid0(VALU_DEP_2) | instskip(NEXT) | instid1(VALU_DEP_1)
	v_cvt_u32_f32_e32 v3, v3
	v_xor_b32_e32 v3, v3, v1
	s_delay_alu instid0(VALU_DEP_1)
	v_sub_nc_u32_e32 v14, v3, v1
	s_branch .LBB22_2637
.LBB22_2632:
	s_mov_b32 s5, -1
	s_branch .LBB22_2636
.LBB22_2633:
	s_and_not1_saveexec_b32 s5, s5
	s_cbranch_execz .LBB22_2614
.LBB22_2634:
	v_cmp_ne_u16_e32 vcc_lo, 0, v1
	s_and_not1_b32 s8, s8, exec_lo
	s_and_b32 s9, vcc_lo, exec_lo
	s_delay_alu instid0(SALU_CYCLE_1)
	s_or_b32 s8, s8, s9
	s_or_b32 exec_lo, exec_lo, s5
	v_mov_b32_e32 v14, 0
	s_and_saveexec_b32 s5, s8
	s_cbranch_execnz .LBB22_2615
	s_branch .LBB22_2616
.LBB22_2635:
	s_mov_b32 s4, -1
.LBB22_2636:
                                        ; implicit-def: $vgpr14
.LBB22_2637:
	s_and_b32 vcc_lo, exec_lo, s5
	s_mov_b32 s5, 0
	s_cbranch_vccz .LBB22_2639
; %bb.2638:
	s_cmp_lg_u32 s0, 11
	s_mov_b32 s5, -1
	s_cselect_b32 s4, -1, 0
.LBB22_2639:
	s_delay_alu instid0(SALU_CYCLE_1)
	s_and_b32 vcc_lo, exec_lo, s4
	s_cbranch_vccnz .LBB22_3172
; %bb.2640:
	s_and_not1_b32 vcc_lo, exec_lo, s5
	s_cbranch_vccnz .LBB22_2642
.LBB22_2641:
	s_wait_loadcnt 0x0
	global_load_u8 v1, v[16:17], off
	s_mov_b32 s8, -1
	s_wait_loadcnt 0x0
	v_cmp_ne_u16_e32 vcc_lo, 0, v1
	v_cndmask_b32_e64 v14, 0, 1, vcc_lo
.LBB22_2642:
	s_mov_b32 s0, 0
.LBB22_2643:
	s_delay_alu instid0(SALU_CYCLE_1)
	s_and_b32 vcc_lo, exec_lo, s0
	s_cbranch_vccz .LBB22_2692
; %bb.2644:
	s_and_b32 s0, 0xffff, s7
	s_delay_alu instid0(SALU_CYCLE_1)
	s_cmp_lt_i32 s0, 5
	s_cbranch_scc1 .LBB22_2649
; %bb.2645:
	s_cmp_lt_i32 s0, 8
	s_cbranch_scc1 .LBB22_2650
; %bb.2646:
	;; [unrolled: 3-line block ×3, first 2 shown]
	s_cmp_gt_i32 s0, 9
	s_cbranch_scc0 .LBB22_2652
; %bb.2648:
	s_wait_loadcnt 0x0
	global_load_b64 v[14:15], v[16:17], off
	s_mov_b32 s4, 0
	s_wait_loadcnt 0x0
	v_trunc_f64_e32 v[14:15], v[14:15]
	s_delay_alu instid0(VALU_DEP_1) | instskip(NEXT) | instid1(VALU_DEP_1)
	v_ldexp_f64 v[20:21], v[14:15], 0xffffffe0
	v_floor_f64_e32 v[20:21], v[20:21]
	s_delay_alu instid0(VALU_DEP_1) | instskip(NEXT) | instid1(VALU_DEP_1)
	v_fmamk_f64 v[14:15], v[20:21], 0xc1f00000, v[14:15]
	v_cvt_u32_f64_e32 v14, v[14:15]
	s_branch .LBB22_2653
.LBB22_2649:
	s_mov_b32 s4, -1
                                        ; implicit-def: $vgpr14
	s_branch .LBB22_2671
.LBB22_2650:
	s_mov_b32 s4, -1
                                        ; implicit-def: $vgpr14
	s_branch .LBB22_2659
.LBB22_2651:
	s_mov_b32 s4, -1
                                        ; implicit-def: $vgpr14
	s_branch .LBB22_2656
.LBB22_2652:
	s_mov_b32 s4, -1
                                        ; implicit-def: $vgpr14
.LBB22_2653:
	s_delay_alu instid0(SALU_CYCLE_1)
	s_and_not1_b32 vcc_lo, exec_lo, s4
	s_cbranch_vccnz .LBB22_2655
; %bb.2654:
	s_wait_loadcnt 0x0
	global_load_b32 v1, v[16:17], off
	s_wait_loadcnt 0x0
	v_trunc_f32_e32 v1, v1
	s_delay_alu instid0(VALU_DEP_1) | instskip(NEXT) | instid1(VALU_DEP_1)
	v_mul_f32_e64 v3, 0x2f800000, |v1|
	v_floor_f32_e32 v3, v3
	s_delay_alu instid0(VALU_DEP_1) | instskip(SKIP_1) | instid1(VALU_DEP_2)
	v_fma_f32 v3, 0xcf800000, v3, |v1|
	v_ashrrev_i32_e32 v1, 31, v1
	v_cvt_u32_f32_e32 v3, v3
	s_delay_alu instid0(VALU_DEP_1) | instskip(NEXT) | instid1(VALU_DEP_1)
	v_xor_b32_e32 v3, v3, v1
	v_sub_nc_u32_e32 v14, v3, v1
.LBB22_2655:
	s_mov_b32 s4, 0
.LBB22_2656:
	s_delay_alu instid0(SALU_CYCLE_1)
	s_and_not1_b32 vcc_lo, exec_lo, s4
	s_cbranch_vccnz .LBB22_2658
; %bb.2657:
	s_wait_loadcnt 0x0
	global_load_b32 v1, v[16:17], off
	s_wait_loadcnt 0x0
	v_cvt_f32_f16_e32 v1, v1
	s_delay_alu instid0(VALU_DEP_1)
	v_cvt_i32_f32_e32 v14, v1
.LBB22_2658:
	s_mov_b32 s4, 0
.LBB22_2659:
	s_delay_alu instid0(SALU_CYCLE_1)
	s_and_not1_b32 vcc_lo, exec_lo, s4
	s_cbranch_vccnz .LBB22_2670
; %bb.2660:
	s_cmp_lt_i32 s0, 6
	s_cbranch_scc1 .LBB22_2663
; %bb.2661:
	s_cmp_gt_i32 s0, 6
	s_cbranch_scc0 .LBB22_2664
; %bb.2662:
	s_wait_loadcnt 0x0
	global_load_b64 v[14:15], v[16:17], off
	s_mov_b32 s4, 0
	s_wait_loadcnt 0x0
	v_trunc_f64_e32 v[14:15], v[14:15]
	s_delay_alu instid0(VALU_DEP_1) | instskip(NEXT) | instid1(VALU_DEP_1)
	v_ldexp_f64 v[20:21], v[14:15], 0xffffffe0
	v_floor_f64_e32 v[20:21], v[20:21]
	s_delay_alu instid0(VALU_DEP_1) | instskip(NEXT) | instid1(VALU_DEP_1)
	v_fmamk_f64 v[14:15], v[20:21], 0xc1f00000, v[14:15]
	v_cvt_u32_f64_e32 v14, v[14:15]
	s_branch .LBB22_2665
.LBB22_2663:
	s_mov_b32 s4, -1
                                        ; implicit-def: $vgpr14
	s_branch .LBB22_2668
.LBB22_2664:
	s_mov_b32 s4, -1
                                        ; implicit-def: $vgpr14
.LBB22_2665:
	s_delay_alu instid0(SALU_CYCLE_1)
	s_and_not1_b32 vcc_lo, exec_lo, s4
	s_cbranch_vccnz .LBB22_2667
; %bb.2666:
	s_wait_loadcnt 0x0
	global_load_b32 v1, v[16:17], off
	s_wait_loadcnt 0x0
	v_trunc_f32_e32 v1, v1
	s_delay_alu instid0(VALU_DEP_1) | instskip(NEXT) | instid1(VALU_DEP_1)
	v_mul_f32_e64 v3, 0x2f800000, |v1|
	v_floor_f32_e32 v3, v3
	s_delay_alu instid0(VALU_DEP_1) | instskip(SKIP_1) | instid1(VALU_DEP_2)
	v_fma_f32 v3, 0xcf800000, v3, |v1|
	v_ashrrev_i32_e32 v1, 31, v1
	v_cvt_u32_f32_e32 v3, v3
	s_delay_alu instid0(VALU_DEP_1) | instskip(NEXT) | instid1(VALU_DEP_1)
	v_xor_b32_e32 v3, v3, v1
	v_sub_nc_u32_e32 v14, v3, v1
.LBB22_2667:
	s_mov_b32 s4, 0
.LBB22_2668:
	s_delay_alu instid0(SALU_CYCLE_1)
	s_and_not1_b32 vcc_lo, exec_lo, s4
	s_cbranch_vccnz .LBB22_2670
; %bb.2669:
	s_wait_loadcnt 0x0
	global_load_u16 v1, v[16:17], off
	s_wait_loadcnt 0x0
	v_cvt_f32_f16_e32 v1, v1
	s_delay_alu instid0(VALU_DEP_1)
	v_cvt_i32_f32_e32 v14, v1
.LBB22_2670:
	s_mov_b32 s4, 0
.LBB22_2671:
	s_delay_alu instid0(SALU_CYCLE_1)
	s_and_not1_b32 vcc_lo, exec_lo, s4
	s_cbranch_vccnz .LBB22_2691
; %bb.2672:
	s_cmp_lt_i32 s0, 2
	s_cbranch_scc1 .LBB22_2676
; %bb.2673:
	s_cmp_lt_i32 s0, 3
	s_cbranch_scc1 .LBB22_2677
; %bb.2674:
	s_cmp_gt_i32 s0, 3
	s_cbranch_scc0 .LBB22_2678
; %bb.2675:
	s_wait_loadcnt 0x0
	global_load_b64 v[14:15], v[16:17], off
	s_mov_b32 s4, 0
	s_branch .LBB22_2679
.LBB22_2676:
	s_mov_b32 s4, -1
                                        ; implicit-def: $vgpr14
	s_branch .LBB22_2685
.LBB22_2677:
	s_mov_b32 s4, -1
                                        ; implicit-def: $vgpr14
	s_branch .LBB22_2682
.LBB22_2678:
	s_mov_b32 s4, -1
                                        ; implicit-def: $vgpr14
.LBB22_2679:
	s_delay_alu instid0(SALU_CYCLE_1)
	s_and_not1_b32 vcc_lo, exec_lo, s4
	s_cbranch_vccnz .LBB22_2681
; %bb.2680:
	s_wait_loadcnt 0x0
	global_load_b32 v14, v[16:17], off
.LBB22_2681:
	s_mov_b32 s4, 0
.LBB22_2682:
	s_delay_alu instid0(SALU_CYCLE_1)
	s_and_not1_b32 vcc_lo, exec_lo, s4
	s_cbranch_vccnz .LBB22_2684
; %bb.2683:
	s_wait_loadcnt 0x0
	global_load_u16 v14, v[16:17], off
.LBB22_2684:
	s_mov_b32 s4, 0
.LBB22_2685:
	s_delay_alu instid0(SALU_CYCLE_1)
	s_and_not1_b32 vcc_lo, exec_lo, s4
	s_cbranch_vccnz .LBB22_2691
; %bb.2686:
	s_cmp_gt_i32 s0, 0
	s_mov_b32 s0, 0
	s_cbranch_scc0 .LBB22_2688
; %bb.2687:
	s_wait_loadcnt 0x0
	global_load_u8 v14, v[16:17], off
	s_branch .LBB22_2689
.LBB22_2688:
	s_mov_b32 s0, -1
                                        ; implicit-def: $vgpr14
.LBB22_2689:
	s_delay_alu instid0(SALU_CYCLE_1)
	s_and_not1_b32 vcc_lo, exec_lo, s0
	s_cbranch_vccnz .LBB22_2691
; %bb.2690:
	s_wait_loadcnt 0x0
	global_load_u8 v14, v[16:17], off
.LBB22_2691:
	s_mov_b32 s8, -1
.LBB22_2692:
	s_delay_alu instid0(SALU_CYCLE_1)
	s_and_not1_b32 vcc_lo, exec_lo, s8
	s_cbranch_vccnz .LBB22_3126
; %bb.2693:
	s_wait_xcnt 0x0
	v_mul_lo_u32 v16, s14, v18
	s_wait_loadcnt 0x0
	v_mul_lo_u16 v3, v0, s6
	s_and_b32 s18, s1, 0xff
	s_delay_alu instid0(SALU_CYCLE_1) | instskip(NEXT) | instid1(VALU_DEP_1)
	s_cmp_lt_i32 s18, 11
	v_mul_lo_u16 v2, v3, v2
	s_delay_alu instid0(VALU_DEP_3) | instskip(NEXT) | instid1(VALU_DEP_1)
	v_ashrrev_i32_e32 v17, 31, v16
	v_add_nc_u64_e32 v[0:1], s[2:3], v[16:17]
	s_cbranch_scc1 .LBB22_2771
; %bb.2694:
	s_and_b32 s1, 0xffff, s18
	s_mov_b32 s7, -1
	s_mov_b32 s4, 0
	s_cmp_gt_i32 s1, 25
	s_mov_b32 s5, 0
	s_mov_b32 s0, 0
	s_cbranch_scc0 .LBB22_2727
; %bb.2695:
	s_cmp_gt_i32 s1, 28
	s_cbranch_scc0 .LBB22_2710
; %bb.2696:
	s_cmp_gt_i32 s1, 43
	;; [unrolled: 3-line block ×3, first 2 shown]
	s_cbranch_scc0 .LBB22_2700
; %bb.2698:
	s_mov_b32 s0, -1
	s_mov_b32 s7, 0
	s_cmp_eq_u32 s1, 46
	s_cbranch_scc0 .LBB22_2700
; %bb.2699:
	v_cvt_f32_ubyte0_e32 v3, v2
	s_mov_b32 s0, 0
	s_mov_b32 s5, -1
	s_delay_alu instid0(VALU_DEP_1) | instskip(NEXT) | instid1(VALU_DEP_1)
	v_bfe_u32 v5, v3, 16, 1
	v_add3_u32 v3, v3, v5, 0x7fff
	s_delay_alu instid0(VALU_DEP_1)
	v_lshrrev_b32_e32 v3, 16, v3
	global_store_b32 v[0:1], v3, off
.LBB22_2700:
	s_and_b32 vcc_lo, exec_lo, s7
	s_cbranch_vccz .LBB22_2705
; %bb.2701:
	s_cmp_eq_u32 s1, 44
	s_mov_b32 s0, -1
	s_cbranch_scc0 .LBB22_2705
; %bb.2702:
	v_cvt_f32_ubyte0_e32 v7, v2
	v_mov_b32_e32 v5, 0xff
	s_mov_b32 s5, exec_lo
	s_wait_xcnt 0x0
	s_delay_alu instid0(VALU_DEP_2) | instskip(NEXT) | instid1(VALU_DEP_1)
	v_lshrrev_b32_e32 v3, 23, v7
	v_cmpx_ne_u32_e32 0xff, v3
; %bb.2703:
	v_and_b32_e32 v5, 0x400000, v7
	v_and_or_b32 v7, 0x3fffff, v7, v3
	s_delay_alu instid0(VALU_DEP_2) | instskip(NEXT) | instid1(VALU_DEP_2)
	v_cmp_ne_u32_e32 vcc_lo, 0, v5
	v_cmp_ne_u32_e64 s0, 0, v7
	s_and_b32 s0, vcc_lo, s0
	s_delay_alu instid0(SALU_CYCLE_1) | instskip(NEXT) | instid1(VALU_DEP_1)
	v_cndmask_b32_e64 v5, 0, 1, s0
	v_add_nc_u32_e32 v5, v3, v5
; %bb.2704:
	s_or_b32 exec_lo, exec_lo, s5
	s_mov_b32 s0, 0
	s_mov_b32 s5, -1
	global_store_b8 v[0:1], v5, off
.LBB22_2705:
	s_mov_b32 s7, 0
.LBB22_2706:
	s_delay_alu instid0(SALU_CYCLE_1)
	s_and_b32 vcc_lo, exec_lo, s7
	s_cbranch_vccz .LBB22_2709
; %bb.2707:
	s_cmp_eq_u32 s1, 29
	s_mov_b32 s0, -1
	s_cbranch_scc0 .LBB22_2709
; %bb.2708:
	v_and_b32_e32 v18, 0xff, v2
	v_mov_b32_e32 v19, 0
	s_mov_b32 s0, 0
	s_mov_b32 s5, -1
	global_store_b64 v[0:1], v[18:19], off
.LBB22_2709:
	s_mov_b32 s7, 0
.LBB22_2710:
	s_delay_alu instid0(SALU_CYCLE_1)
	s_and_b32 vcc_lo, exec_lo, s7
	s_cbranch_vccz .LBB22_2726
; %bb.2711:
	s_cmp_lt_i32 s1, 27
	s_mov_b32 s5, -1
	s_cbranch_scc1 .LBB22_2717
; %bb.2712:
	s_cmp_gt_i32 s1, 27
	s_cbranch_scc0 .LBB22_2714
; %bb.2713:
	s_wait_xcnt 0x0
	v_and_b32_e32 v3, 0xff, v2
	s_mov_b32 s5, 0
	global_store_b32 v[0:1], v3, off
.LBB22_2714:
	s_and_not1_b32 vcc_lo, exec_lo, s5
	s_cbranch_vccnz .LBB22_2716
; %bb.2715:
	s_wait_xcnt 0x0
	v_and_b32_e32 v3, 0xff, v2
	global_store_b16 v[0:1], v3, off
.LBB22_2716:
	s_mov_b32 s5, 0
.LBB22_2717:
	s_delay_alu instid0(SALU_CYCLE_1)
	s_and_not1_b32 vcc_lo, exec_lo, s5
	s_cbranch_vccnz .LBB22_2725
; %bb.2718:
	s_wait_xcnt 0x0
	v_cvt_f32_ubyte0_e32 v5, v2
	v_mov_b32_e32 v7, 0x80
	s_mov_b32 s5, exec_lo
	s_delay_alu instid0(VALU_DEP_2)
	v_cmpx_gt_u32_e32 0x43800000, v5
	s_cbranch_execz .LBB22_2724
; %bb.2719:
	s_mov_b32 s7, 0
	s_mov_b32 s8, exec_lo
                                        ; implicit-def: $vgpr3
	v_cmpx_lt_u32_e32 0x3bffffff, v5
	s_xor_b32 s8, exec_lo, s8
	s_cbranch_execz .LBB22_3173
; %bb.2720:
	v_bfe_u32 v3, v5, 20, 1
	s_mov_b32 s7, exec_lo
	s_delay_alu instid0(VALU_DEP_1) | instskip(NEXT) | instid1(VALU_DEP_1)
	v_add3_u32 v3, v5, v3, 0x487ffff
                                        ; implicit-def: $vgpr5
	v_lshrrev_b32_e32 v3, 20, v3
	s_and_not1_saveexec_b32 s8, s8
	s_cbranch_execnz .LBB22_3174
.LBB22_2721:
	s_or_b32 exec_lo, exec_lo, s8
	v_mov_b32_e32 v7, 0
	s_and_saveexec_b32 s8, s7
.LBB22_2722:
	v_mov_b32_e32 v7, v3
.LBB22_2723:
	s_or_b32 exec_lo, exec_lo, s8
.LBB22_2724:
	s_delay_alu instid0(SALU_CYCLE_1)
	s_or_b32 exec_lo, exec_lo, s5
	global_store_b8 v[0:1], v7, off
.LBB22_2725:
	s_mov_b32 s5, -1
.LBB22_2726:
	s_mov_b32 s7, 0
.LBB22_2727:
	s_delay_alu instid0(SALU_CYCLE_1)
	s_and_b32 vcc_lo, exec_lo, s7
	s_cbranch_vccz .LBB22_2767
; %bb.2728:
	s_cmp_gt_i32 s1, 22
	s_mov_b32 s4, -1
	s_cbranch_scc0 .LBB22_2760
; %bb.2729:
	s_cmp_lt_i32 s1, 24
	s_cbranch_scc1 .LBB22_2749
; %bb.2730:
	s_cmp_gt_i32 s1, 24
	s_cbranch_scc0 .LBB22_2738
; %bb.2731:
	s_wait_xcnt 0x0
	v_cvt_f32_ubyte0_e32 v5, v2
	v_mov_b32_e32 v7, 0x80
	s_mov_b32 s4, exec_lo
	s_delay_alu instid0(VALU_DEP_2)
	v_cmpx_gt_u32_e32 0x47800000, v5
	s_cbranch_execz .LBB22_2737
; %bb.2732:
	s_mov_b32 s5, 0
	s_mov_b32 s7, exec_lo
                                        ; implicit-def: $vgpr3
	v_cmpx_lt_u32_e32 0x37ffffff, v5
	s_xor_b32 s7, exec_lo, s7
	s_cbranch_execz .LBB22_3176
; %bb.2733:
	v_bfe_u32 v3, v5, 21, 1
	s_mov_b32 s5, exec_lo
	s_delay_alu instid0(VALU_DEP_1) | instskip(NEXT) | instid1(VALU_DEP_1)
	v_add3_u32 v3, v5, v3, 0x88fffff
                                        ; implicit-def: $vgpr5
	v_lshrrev_b32_e32 v3, 21, v3
	s_and_not1_saveexec_b32 s7, s7
	s_cbranch_execnz .LBB22_3177
.LBB22_2734:
	s_or_b32 exec_lo, exec_lo, s7
	v_mov_b32_e32 v7, 0
	s_and_saveexec_b32 s7, s5
.LBB22_2735:
	v_mov_b32_e32 v7, v3
.LBB22_2736:
	s_or_b32 exec_lo, exec_lo, s7
.LBB22_2737:
	s_delay_alu instid0(SALU_CYCLE_1)
	s_or_b32 exec_lo, exec_lo, s4
	s_mov_b32 s4, 0
	global_store_b8 v[0:1], v7, off
.LBB22_2738:
	s_and_b32 vcc_lo, exec_lo, s4
	s_cbranch_vccz .LBB22_2748
; %bb.2739:
	s_wait_xcnt 0x0
	v_cvt_f32_ubyte0_e32 v5, v2
	s_mov_b32 s4, exec_lo
                                        ; implicit-def: $vgpr3
	s_delay_alu instid0(VALU_DEP_1)
	v_cmpx_gt_u32_e32 0x43f00000, v5
	s_xor_b32 s4, exec_lo, s4
	s_cbranch_execz .LBB22_2745
; %bb.2740:
	s_mov_b32 s5, exec_lo
                                        ; implicit-def: $vgpr3
	v_cmpx_lt_u32_e32 0x3c7fffff, v5
	s_xor_b32 s5, exec_lo, s5
; %bb.2741:
	v_bfe_u32 v3, v5, 20, 1
	s_delay_alu instid0(VALU_DEP_1) | instskip(NEXT) | instid1(VALU_DEP_1)
	v_add3_u32 v3, v5, v3, 0x407ffff
	v_and_b32_e32 v5, 0xff00000, v3
	v_lshrrev_b32_e32 v3, 20, v3
	s_delay_alu instid0(VALU_DEP_2) | instskip(NEXT) | instid1(VALU_DEP_2)
	v_cmp_ne_u32_e32 vcc_lo, 0x7f00000, v5
                                        ; implicit-def: $vgpr5
	v_cndmask_b32_e32 v3, 0x7e, v3, vcc_lo
; %bb.2742:
	s_and_not1_saveexec_b32 s5, s5
; %bb.2743:
	v_add_f32_e32 v3, 0x46800000, v5
; %bb.2744:
	s_or_b32 exec_lo, exec_lo, s5
                                        ; implicit-def: $vgpr5
.LBB22_2745:
	s_and_not1_saveexec_b32 s4, s4
; %bb.2746:
	v_mov_b32_e32 v3, 0x7f
	v_cmp_lt_u32_e32 vcc_lo, 0x7f800000, v5
	s_delay_alu instid0(VALU_DEP_2)
	v_cndmask_b32_e32 v3, 0x7e, v3, vcc_lo
; %bb.2747:
	s_or_b32 exec_lo, exec_lo, s4
	global_store_b8 v[0:1], v3, off
.LBB22_2748:
	s_mov_b32 s4, 0
.LBB22_2749:
	s_delay_alu instid0(SALU_CYCLE_1)
	s_and_not1_b32 vcc_lo, exec_lo, s4
	s_cbranch_vccnz .LBB22_2759
; %bb.2750:
	s_wait_xcnt 0x0
	v_cvt_f32_ubyte0_e32 v5, v2
	s_mov_b32 s4, exec_lo
                                        ; implicit-def: $vgpr3
	s_delay_alu instid0(VALU_DEP_1)
	v_cmpx_gt_u32_e32 0x47800000, v5
	s_xor_b32 s4, exec_lo, s4
	s_cbranch_execz .LBB22_2756
; %bb.2751:
	s_mov_b32 s5, exec_lo
                                        ; implicit-def: $vgpr3
	v_cmpx_lt_u32_e32 0x387fffff, v5
	s_xor_b32 s5, exec_lo, s5
; %bb.2752:
	v_bfe_u32 v3, v5, 21, 1
	s_delay_alu instid0(VALU_DEP_1) | instskip(NEXT) | instid1(VALU_DEP_1)
	v_add3_u32 v3, v5, v3, 0x80fffff
                                        ; implicit-def: $vgpr5
	v_lshrrev_b32_e32 v3, 21, v3
; %bb.2753:
	s_and_not1_saveexec_b32 s5, s5
; %bb.2754:
	v_add_f32_e32 v3, 0x43000000, v5
; %bb.2755:
	s_or_b32 exec_lo, exec_lo, s5
                                        ; implicit-def: $vgpr5
.LBB22_2756:
	s_and_not1_saveexec_b32 s4, s4
; %bb.2757:
	v_mov_b32_e32 v3, 0x7f
	v_cmp_lt_u32_e32 vcc_lo, 0x7f800000, v5
	s_delay_alu instid0(VALU_DEP_2)
	v_cndmask_b32_e32 v3, 0x7c, v3, vcc_lo
; %bb.2758:
	s_or_b32 exec_lo, exec_lo, s4
	global_store_b8 v[0:1], v3, off
.LBB22_2759:
	s_mov_b32 s4, 0
	s_mov_b32 s5, -1
.LBB22_2760:
	s_and_not1_b32 vcc_lo, exec_lo, s4
	s_mov_b32 s4, 0
	s_cbranch_vccnz .LBB22_2767
; %bb.2761:
	s_cmp_gt_i32 s1, 14
	s_mov_b32 s4, -1
	s_cbranch_scc0 .LBB22_2765
; %bb.2762:
	s_cmp_eq_u32 s1, 15
	s_mov_b32 s0, -1
	s_cbranch_scc0 .LBB22_2764
; %bb.2763:
	s_wait_xcnt 0x0
	v_cvt_f32_ubyte0_e32 v3, v2
	s_mov_b32 s0, 0
	s_mov_b32 s5, -1
	s_delay_alu instid0(VALU_DEP_1) | instskip(NEXT) | instid1(VALU_DEP_1)
	v_bfe_u32 v5, v3, 16, 1
	v_add3_u32 v3, v3, v5, 0x7fff
	global_store_d16_hi_b16 v[0:1], v3, off
.LBB22_2764:
	s_mov_b32 s4, 0
.LBB22_2765:
	s_delay_alu instid0(SALU_CYCLE_1)
	s_and_b32 vcc_lo, exec_lo, s4
	s_mov_b32 s4, 0
	s_cbranch_vccz .LBB22_2767
; %bb.2766:
	s_cmp_lg_u32 s1, 11
	s_mov_b32 s4, -1
	s_cselect_b32 s0, -1, 0
.LBB22_2767:
	s_delay_alu instid0(SALU_CYCLE_1)
	s_and_b32 vcc_lo, exec_lo, s0
	s_cbranch_vccnz .LBB22_3175
; %bb.2768:
	s_and_not1_b32 vcc_lo, exec_lo, s4
	s_cbranch_vccnz .LBB22_2770
.LBB22_2769:
	s_wait_xcnt 0x0
	v_and_b32_e32 v3, 0xff, v2
	s_mov_b32 s5, -1
	s_delay_alu instid0(VALU_DEP_1)
	v_cmp_ne_u16_e32 vcc_lo, 0, v3
	v_cndmask_b32_e64 v3, 0, 1, vcc_lo
	global_store_b8 v[0:1], v3, off
.LBB22_2770:
	s_mov_b32 s0, 0
	s_branch .LBB22_2772
.LBB22_2771:
	s_mov_b32 s0, -1
	s_mov_b32 s5, 0
.LBB22_2772:
	s_and_b32 vcc_lo, exec_lo, s0
	s_cbranch_vccz .LBB22_2811
; %bb.2773:
	s_and_b32 s0, 0xffff, s18
	s_mov_b32 s1, -1
	s_cmp_lt_i32 s0, 5
	s_cbranch_scc1 .LBB22_2794
; %bb.2774:
	s_cmp_lt_i32 s0, 8
	s_cbranch_scc1 .LBB22_2784
; %bb.2775:
	;; [unrolled: 3-line block ×3, first 2 shown]
	s_cmp_gt_i32 s0, 9
	s_cbranch_scc0 .LBB22_2778
; %bb.2777:
	s_wait_xcnt 0x0
	v_and_b32_e32 v3, 0xff, v2
	v_mov_b32_e32 v20, 0
	s_mov_b32 s1, 0
	s_delay_alu instid0(VALU_DEP_2) | instskip(NEXT) | instid1(VALU_DEP_2)
	v_and_b32_e32 v3, 0xffff, v3
	v_mov_b32_e32 v21, v20
	s_delay_alu instid0(VALU_DEP_2)
	v_cvt_f64_u32_e32 v[18:19], v3
	global_store_b128 v[0:1], v[18:21], off
.LBB22_2778:
	s_and_not1_b32 vcc_lo, exec_lo, s1
	s_cbranch_vccnz .LBB22_2780
; %bb.2779:
	s_wait_xcnt 0x0
	v_cvt_f32_ubyte0_e32 v18, v2
	v_mov_b32_e32 v19, 0
	global_store_b64 v[0:1], v[18:19], off
.LBB22_2780:
	s_mov_b32 s1, 0
.LBB22_2781:
	s_delay_alu instid0(SALU_CYCLE_1)
	s_and_not1_b32 vcc_lo, exec_lo, s1
	s_cbranch_vccnz .LBB22_2783
; %bb.2782:
	s_wait_xcnt 0x0
	v_and_b32_e32 v3, 0xff, v2
	s_delay_alu instid0(VALU_DEP_1) | instskip(NEXT) | instid1(VALU_DEP_1)
	v_cvt_f16_u16_e32 v3, v3
	v_and_b32_e32 v3, 0xffff, v3
	global_store_b32 v[0:1], v3, off
.LBB22_2783:
	s_mov_b32 s1, 0
.LBB22_2784:
	s_delay_alu instid0(SALU_CYCLE_1)
	s_and_not1_b32 vcc_lo, exec_lo, s1
	s_cbranch_vccnz .LBB22_2793
; %bb.2785:
	s_cmp_lt_i32 s0, 6
	s_mov_b32 s1, -1
	s_cbranch_scc1 .LBB22_2791
; %bb.2786:
	s_cmp_gt_i32 s0, 6
	s_cbranch_scc0 .LBB22_2788
; %bb.2787:
	s_wait_xcnt 0x0
	v_and_b32_e32 v3, 0xff, v2
	s_mov_b32 s1, 0
	s_delay_alu instid0(VALU_DEP_1) | instskip(NEXT) | instid1(VALU_DEP_1)
	v_and_b32_e32 v3, 0xffff, v3
	v_cvt_f64_u32_e32 v[18:19], v3
	global_store_b64 v[0:1], v[18:19], off
.LBB22_2788:
	s_and_not1_b32 vcc_lo, exec_lo, s1
	s_cbranch_vccnz .LBB22_2790
; %bb.2789:
	s_wait_xcnt 0x0
	v_cvt_f32_ubyte0_e32 v3, v2
	global_store_b32 v[0:1], v3, off
.LBB22_2790:
	s_mov_b32 s1, 0
.LBB22_2791:
	s_delay_alu instid0(SALU_CYCLE_1)
	s_and_not1_b32 vcc_lo, exec_lo, s1
	s_cbranch_vccnz .LBB22_2793
; %bb.2792:
	s_wait_xcnt 0x0
	v_and_b32_e32 v3, 0xff, v2
	s_delay_alu instid0(VALU_DEP_1)
	v_cvt_f16_u16_e32 v3, v3
	global_store_b16 v[0:1], v3, off
.LBB22_2793:
	s_mov_b32 s1, 0
.LBB22_2794:
	s_delay_alu instid0(SALU_CYCLE_1)
	s_and_not1_b32 vcc_lo, exec_lo, s1
	s_cbranch_vccnz .LBB22_2810
; %bb.2795:
	s_cmp_lt_i32 s0, 2
	s_mov_b32 s1, -1
	s_cbranch_scc1 .LBB22_2805
; %bb.2796:
	s_cmp_lt_i32 s0, 3
	s_cbranch_scc1 .LBB22_2802
; %bb.2797:
	s_cmp_gt_i32 s0, 3
	s_cbranch_scc0 .LBB22_2799
; %bb.2798:
	s_wait_xcnt 0x0
	v_and_b32_e32 v18, 0xff, v2
	v_mov_b32_e32 v19, 0
	s_mov_b32 s1, 0
	global_store_b64 v[0:1], v[18:19], off
.LBB22_2799:
	s_and_not1_b32 vcc_lo, exec_lo, s1
	s_cbranch_vccnz .LBB22_2801
; %bb.2800:
	s_wait_xcnt 0x0
	v_and_b32_e32 v3, 0xff, v2
	global_store_b32 v[0:1], v3, off
.LBB22_2801:
	s_mov_b32 s1, 0
.LBB22_2802:
	s_delay_alu instid0(SALU_CYCLE_1)
	s_and_not1_b32 vcc_lo, exec_lo, s1
	s_cbranch_vccnz .LBB22_2804
; %bb.2803:
	s_wait_xcnt 0x0
	v_and_b32_e32 v3, 0xff, v2
	global_store_b16 v[0:1], v3, off
.LBB22_2804:
	s_mov_b32 s1, 0
.LBB22_2805:
	s_delay_alu instid0(SALU_CYCLE_1)
	s_and_not1_b32 vcc_lo, exec_lo, s1
	s_cbranch_vccnz .LBB22_2810
; %bb.2806:
	s_cmp_gt_i32 s0, 0
	s_mov_b32 s0, -1
	s_cbranch_scc0 .LBB22_2808
; %bb.2807:
	s_mov_b32 s0, 0
	global_store_b8 v[0:1], v2, off
.LBB22_2808:
	s_and_not1_b32 vcc_lo, exec_lo, s0
	s_cbranch_vccnz .LBB22_2810
; %bb.2809:
	global_store_b8 v[0:1], v2, off
.LBB22_2810:
	s_mov_b32 s5, -1
.LBB22_2811:
	s_delay_alu instid0(SALU_CYCLE_1)
	s_and_not1_b32 vcc_lo, exec_lo, s5
	s_cbranch_vccnz .LBB22_3126
; %bb.2812:
	s_lshl_b32 s1, s14, 7
	v_mul_lo_u16 v4, v4, s6
	s_wait_xcnt 0x0
	v_add_nc_u32_e32 v0, s1, v16
	s_cmp_lt_i32 s18, 11
	s_delay_alu instid0(VALU_DEP_1) | instskip(NEXT) | instid1(VALU_DEP_1)
	v_ashrrev_i32_e32 v1, 31, v0
	v_add_nc_u64_e32 v[2:3], s[2:3], v[0:1]
	v_mul_lo_u16 v1, v4, v6
	s_cbranch_scc1 .LBB22_2890
; %bb.2813:
	s_and_b32 s4, 0xffff, s18
	s_mov_b32 s8, -1
	s_mov_b32 s5, 0
	s_cmp_gt_i32 s4, 25
	s_mov_b32 s7, 0
	s_mov_b32 s0, 0
	s_cbranch_scc0 .LBB22_2846
; %bb.2814:
	s_cmp_gt_i32 s4, 28
	s_cbranch_scc0 .LBB22_2829
; %bb.2815:
	s_cmp_gt_i32 s4, 43
	;; [unrolled: 3-line block ×3, first 2 shown]
	s_cbranch_scc0 .LBB22_2819
; %bb.2817:
	s_mov_b32 s0, -1
	s_mov_b32 s8, 0
	s_cmp_eq_u32 s4, 46
	s_cbranch_scc0 .LBB22_2819
; %bb.2818:
	v_cvt_f32_ubyte0_e32 v4, v1
	s_mov_b32 s0, 0
	s_mov_b32 s7, -1
	s_delay_alu instid0(VALU_DEP_1) | instskip(NEXT) | instid1(VALU_DEP_1)
	v_bfe_u32 v5, v4, 16, 1
	v_add3_u32 v4, v4, v5, 0x7fff
	s_delay_alu instid0(VALU_DEP_1)
	v_lshrrev_b32_e32 v4, 16, v4
	global_store_b32 v[2:3], v4, off
.LBB22_2819:
	s_and_b32 vcc_lo, exec_lo, s8
	s_cbranch_vccz .LBB22_2824
; %bb.2820:
	s_cmp_eq_u32 s4, 44
	s_mov_b32 s0, -1
	s_cbranch_scc0 .LBB22_2824
; %bb.2821:
	v_cvt_f32_ubyte0_e32 v6, v1
	s_mov_b32 s7, exec_lo
	s_wait_xcnt 0x0
	s_delay_alu instid0(VALU_DEP_1) | instskip(NEXT) | instid1(VALU_DEP_1)
	v_dual_mov_b32 v5, 0xff :: v_dual_lshrrev_b32 v4, 23, v6
	v_cmpx_ne_u32_e32 0xff, v4
; %bb.2822:
	v_and_b32_e32 v5, 0x400000, v6
	v_and_or_b32 v6, 0x3fffff, v6, v4
	s_delay_alu instid0(VALU_DEP_2) | instskip(NEXT) | instid1(VALU_DEP_2)
	v_cmp_ne_u32_e32 vcc_lo, 0, v5
	v_cmp_ne_u32_e64 s0, 0, v6
	s_and_b32 s0, vcc_lo, s0
	s_delay_alu instid0(SALU_CYCLE_1) | instskip(NEXT) | instid1(VALU_DEP_1)
	v_cndmask_b32_e64 v5, 0, 1, s0
	v_add_nc_u32_e32 v5, v4, v5
; %bb.2823:
	s_or_b32 exec_lo, exec_lo, s7
	s_mov_b32 s0, 0
	s_mov_b32 s7, -1
	global_store_b8 v[2:3], v5, off
.LBB22_2824:
	s_mov_b32 s8, 0
.LBB22_2825:
	s_delay_alu instid0(SALU_CYCLE_1)
	s_and_b32 vcc_lo, exec_lo, s8
	s_cbranch_vccz .LBB22_2828
; %bb.2826:
	s_cmp_eq_u32 s4, 29
	s_mov_b32 s0, -1
	s_cbranch_scc0 .LBB22_2828
; %bb.2827:
	s_wait_xcnt 0x0
	v_and_b32_e32 v4, 0xff, v1
	v_mov_b32_e32 v5, 0
	s_mov_b32 s0, 0
	s_mov_b32 s7, -1
	global_store_b64 v[2:3], v[4:5], off
.LBB22_2828:
	s_mov_b32 s8, 0
.LBB22_2829:
	s_delay_alu instid0(SALU_CYCLE_1)
	s_and_b32 vcc_lo, exec_lo, s8
	s_cbranch_vccz .LBB22_2845
; %bb.2830:
	s_cmp_lt_i32 s4, 27
	s_mov_b32 s7, -1
	s_cbranch_scc1 .LBB22_2836
; %bb.2831:
	s_cmp_gt_i32 s4, 27
	s_cbranch_scc0 .LBB22_2833
; %bb.2832:
	s_wait_xcnt 0x0
	v_and_b32_e32 v4, 0xff, v1
	s_mov_b32 s7, 0
	global_store_b32 v[2:3], v4, off
.LBB22_2833:
	s_and_not1_b32 vcc_lo, exec_lo, s7
	s_cbranch_vccnz .LBB22_2835
; %bb.2834:
	s_wait_xcnt 0x0
	v_and_b32_e32 v4, 0xff, v1
	global_store_b16 v[2:3], v4, off
.LBB22_2835:
	s_mov_b32 s7, 0
.LBB22_2836:
	s_delay_alu instid0(SALU_CYCLE_1)
	s_and_not1_b32 vcc_lo, exec_lo, s7
	s_cbranch_vccnz .LBB22_2844
; %bb.2837:
	s_wait_xcnt 0x0
	v_cvt_f32_ubyte0_e32 v5, v1
	v_mov_b32_e32 v6, 0x80
	s_mov_b32 s7, exec_lo
	s_delay_alu instid0(VALU_DEP_2)
	v_cmpx_gt_u32_e32 0x43800000, v5
	s_cbranch_execz .LBB22_2843
; %bb.2838:
	s_mov_b32 s8, 0
	s_mov_b32 s9, exec_lo
                                        ; implicit-def: $vgpr4
	v_cmpx_lt_u32_e32 0x3bffffff, v5
	s_xor_b32 s9, exec_lo, s9
	s_cbranch_execz .LBB22_3178
; %bb.2839:
	v_bfe_u32 v4, v5, 20, 1
	s_mov_b32 s8, exec_lo
	s_delay_alu instid0(VALU_DEP_1) | instskip(NEXT) | instid1(VALU_DEP_1)
	v_add3_u32 v4, v5, v4, 0x487ffff
                                        ; implicit-def: $vgpr5
	v_lshrrev_b32_e32 v4, 20, v4
	s_and_not1_saveexec_b32 s9, s9
	s_cbranch_execnz .LBB22_3179
.LBB22_2840:
	s_or_b32 exec_lo, exec_lo, s9
	v_mov_b32_e32 v6, 0
	s_and_saveexec_b32 s9, s8
.LBB22_2841:
	v_mov_b32_e32 v6, v4
.LBB22_2842:
	s_or_b32 exec_lo, exec_lo, s9
.LBB22_2843:
	s_delay_alu instid0(SALU_CYCLE_1)
	s_or_b32 exec_lo, exec_lo, s7
	global_store_b8 v[2:3], v6, off
.LBB22_2844:
	s_mov_b32 s7, -1
.LBB22_2845:
	s_mov_b32 s8, 0
.LBB22_2846:
	s_delay_alu instid0(SALU_CYCLE_1)
	s_and_b32 vcc_lo, exec_lo, s8
	s_cbranch_vccz .LBB22_2886
; %bb.2847:
	s_cmp_gt_i32 s4, 22
	s_mov_b32 s5, -1
	s_cbranch_scc0 .LBB22_2879
; %bb.2848:
	s_cmp_lt_i32 s4, 24
	s_cbranch_scc1 .LBB22_2868
; %bb.2849:
	s_cmp_gt_i32 s4, 24
	s_cbranch_scc0 .LBB22_2857
; %bb.2850:
	s_wait_xcnt 0x0
	v_cvt_f32_ubyte0_e32 v5, v1
	v_mov_b32_e32 v6, 0x80
	s_mov_b32 s5, exec_lo
	s_delay_alu instid0(VALU_DEP_2)
	v_cmpx_gt_u32_e32 0x47800000, v5
	s_cbranch_execz .LBB22_2856
; %bb.2851:
	s_mov_b32 s7, 0
	s_mov_b32 s8, exec_lo
                                        ; implicit-def: $vgpr4
	v_cmpx_lt_u32_e32 0x37ffffff, v5
	s_xor_b32 s8, exec_lo, s8
	s_cbranch_execz .LBB22_3181
; %bb.2852:
	v_bfe_u32 v4, v5, 21, 1
	s_mov_b32 s7, exec_lo
	s_delay_alu instid0(VALU_DEP_1) | instskip(NEXT) | instid1(VALU_DEP_1)
	v_add3_u32 v4, v5, v4, 0x88fffff
                                        ; implicit-def: $vgpr5
	v_lshrrev_b32_e32 v4, 21, v4
	s_and_not1_saveexec_b32 s8, s8
	s_cbranch_execnz .LBB22_3182
.LBB22_2853:
	s_or_b32 exec_lo, exec_lo, s8
	v_mov_b32_e32 v6, 0
	s_and_saveexec_b32 s8, s7
.LBB22_2854:
	v_mov_b32_e32 v6, v4
.LBB22_2855:
	s_or_b32 exec_lo, exec_lo, s8
.LBB22_2856:
	s_delay_alu instid0(SALU_CYCLE_1)
	s_or_b32 exec_lo, exec_lo, s5
	s_mov_b32 s5, 0
	global_store_b8 v[2:3], v6, off
.LBB22_2857:
	s_and_b32 vcc_lo, exec_lo, s5
	s_cbranch_vccz .LBB22_2867
; %bb.2858:
	s_wait_xcnt 0x0
	v_cvt_f32_ubyte0_e32 v5, v1
	s_mov_b32 s5, exec_lo
                                        ; implicit-def: $vgpr4
	s_delay_alu instid0(VALU_DEP_1)
	v_cmpx_gt_u32_e32 0x43f00000, v5
	s_xor_b32 s5, exec_lo, s5
	s_cbranch_execz .LBB22_2864
; %bb.2859:
	s_mov_b32 s7, exec_lo
                                        ; implicit-def: $vgpr4
	v_cmpx_lt_u32_e32 0x3c7fffff, v5
	s_xor_b32 s7, exec_lo, s7
; %bb.2860:
	v_bfe_u32 v4, v5, 20, 1
	s_delay_alu instid0(VALU_DEP_1) | instskip(NEXT) | instid1(VALU_DEP_1)
	v_add3_u32 v4, v5, v4, 0x407ffff
	v_and_b32_e32 v5, 0xff00000, v4
	v_lshrrev_b32_e32 v4, 20, v4
	s_delay_alu instid0(VALU_DEP_2) | instskip(NEXT) | instid1(VALU_DEP_2)
	v_cmp_ne_u32_e32 vcc_lo, 0x7f00000, v5
                                        ; implicit-def: $vgpr5
	v_cndmask_b32_e32 v4, 0x7e, v4, vcc_lo
; %bb.2861:
	s_and_not1_saveexec_b32 s7, s7
; %bb.2862:
	v_add_f32_e32 v4, 0x46800000, v5
; %bb.2863:
	s_or_b32 exec_lo, exec_lo, s7
                                        ; implicit-def: $vgpr5
.LBB22_2864:
	s_and_not1_saveexec_b32 s5, s5
; %bb.2865:
	v_mov_b32_e32 v4, 0x7f
	v_cmp_lt_u32_e32 vcc_lo, 0x7f800000, v5
	s_delay_alu instid0(VALU_DEP_2)
	v_cndmask_b32_e32 v4, 0x7e, v4, vcc_lo
; %bb.2866:
	s_or_b32 exec_lo, exec_lo, s5
	global_store_b8 v[2:3], v4, off
.LBB22_2867:
	s_mov_b32 s5, 0
.LBB22_2868:
	s_delay_alu instid0(SALU_CYCLE_1)
	s_and_not1_b32 vcc_lo, exec_lo, s5
	s_cbranch_vccnz .LBB22_2878
; %bb.2869:
	s_wait_xcnt 0x0
	v_cvt_f32_ubyte0_e32 v5, v1
	s_mov_b32 s5, exec_lo
                                        ; implicit-def: $vgpr4
	s_delay_alu instid0(VALU_DEP_1)
	v_cmpx_gt_u32_e32 0x47800000, v5
	s_xor_b32 s5, exec_lo, s5
	s_cbranch_execz .LBB22_2875
; %bb.2870:
	s_mov_b32 s7, exec_lo
                                        ; implicit-def: $vgpr4
	v_cmpx_lt_u32_e32 0x387fffff, v5
	s_xor_b32 s7, exec_lo, s7
; %bb.2871:
	v_bfe_u32 v4, v5, 21, 1
	s_delay_alu instid0(VALU_DEP_1) | instskip(NEXT) | instid1(VALU_DEP_1)
	v_add3_u32 v4, v5, v4, 0x80fffff
                                        ; implicit-def: $vgpr5
	v_lshrrev_b32_e32 v4, 21, v4
; %bb.2872:
	s_and_not1_saveexec_b32 s7, s7
; %bb.2873:
	v_add_f32_e32 v4, 0x43000000, v5
; %bb.2874:
	s_or_b32 exec_lo, exec_lo, s7
                                        ; implicit-def: $vgpr5
.LBB22_2875:
	s_and_not1_saveexec_b32 s5, s5
; %bb.2876:
	v_mov_b32_e32 v4, 0x7f
	v_cmp_lt_u32_e32 vcc_lo, 0x7f800000, v5
	s_delay_alu instid0(VALU_DEP_2)
	v_cndmask_b32_e32 v4, 0x7c, v4, vcc_lo
; %bb.2877:
	s_or_b32 exec_lo, exec_lo, s5
	global_store_b8 v[2:3], v4, off
.LBB22_2878:
	s_mov_b32 s5, 0
	s_mov_b32 s7, -1
.LBB22_2879:
	s_and_not1_b32 vcc_lo, exec_lo, s5
	s_mov_b32 s5, 0
	s_cbranch_vccnz .LBB22_2886
; %bb.2880:
	s_cmp_gt_i32 s4, 14
	s_mov_b32 s5, -1
	s_cbranch_scc0 .LBB22_2884
; %bb.2881:
	s_cmp_eq_u32 s4, 15
	s_mov_b32 s0, -1
	s_cbranch_scc0 .LBB22_2883
; %bb.2882:
	s_wait_xcnt 0x0
	v_cvt_f32_ubyte0_e32 v4, v1
	s_mov_b32 s0, 0
	s_mov_b32 s7, -1
	s_delay_alu instid0(VALU_DEP_1) | instskip(NEXT) | instid1(VALU_DEP_1)
	v_bfe_u32 v5, v4, 16, 1
	v_add3_u32 v4, v4, v5, 0x7fff
	global_store_d16_hi_b16 v[2:3], v4, off
.LBB22_2883:
	s_mov_b32 s5, 0
.LBB22_2884:
	s_delay_alu instid0(SALU_CYCLE_1)
	s_and_b32 vcc_lo, exec_lo, s5
	s_mov_b32 s5, 0
	s_cbranch_vccz .LBB22_2886
; %bb.2885:
	s_cmp_lg_u32 s4, 11
	s_mov_b32 s5, -1
	s_cselect_b32 s0, -1, 0
.LBB22_2886:
	s_delay_alu instid0(SALU_CYCLE_1)
	s_and_b32 vcc_lo, exec_lo, s0
	s_cbranch_vccnz .LBB22_3180
; %bb.2887:
	s_and_not1_b32 vcc_lo, exec_lo, s5
	s_cbranch_vccnz .LBB22_2889
.LBB22_2888:
	s_wait_xcnt 0x0
	v_and_b32_e32 v4, 0xff, v1
	s_mov_b32 s7, -1
	s_delay_alu instid0(VALU_DEP_1)
	v_cmp_ne_u16_e32 vcc_lo, 0, v4
	v_cndmask_b32_e64 v4, 0, 1, vcc_lo
	global_store_b8 v[2:3], v4, off
.LBB22_2889:
	s_mov_b32 s0, 0
	s_branch .LBB22_2891
.LBB22_2890:
	s_mov_b32 s0, -1
	s_mov_b32 s7, 0
.LBB22_2891:
	s_and_b32 vcc_lo, exec_lo, s0
	s_cbranch_vccz .LBB22_2930
; %bb.2892:
	s_and_b32 s0, 0xffff, s18
	s_mov_b32 s4, -1
	s_cmp_lt_i32 s0, 5
	s_cbranch_scc1 .LBB22_2913
; %bb.2893:
	s_cmp_lt_i32 s0, 8
	s_cbranch_scc1 .LBB22_2903
; %bb.2894:
	;; [unrolled: 3-line block ×3, first 2 shown]
	s_cmp_gt_i32 s0, 9
	s_cbranch_scc0 .LBB22_2897
; %bb.2896:
	s_wait_xcnt 0x0
	v_and_b32_e32 v4, 0xff, v1
	v_mov_b32_e32 v6, 0
	s_mov_b32 s4, 0
	s_delay_alu instid0(VALU_DEP_2) | instskip(NEXT) | instid1(VALU_DEP_2)
	v_and_b32_e32 v4, 0xffff, v4
	v_mov_b32_e32 v7, v6
	s_delay_alu instid0(VALU_DEP_2)
	v_cvt_f64_u32_e32 v[4:5], v4
	global_store_b128 v[2:3], v[4:7], off
.LBB22_2897:
	s_and_not1_b32 vcc_lo, exec_lo, s4
	s_cbranch_vccnz .LBB22_2899
; %bb.2898:
	s_wait_xcnt 0x0
	v_cvt_f32_ubyte0_e32 v4, v1
	v_mov_b32_e32 v5, 0
	global_store_b64 v[2:3], v[4:5], off
.LBB22_2899:
	s_mov_b32 s4, 0
.LBB22_2900:
	s_delay_alu instid0(SALU_CYCLE_1)
	s_and_not1_b32 vcc_lo, exec_lo, s4
	s_cbranch_vccnz .LBB22_2902
; %bb.2901:
	s_wait_xcnt 0x0
	v_and_b32_e32 v4, 0xff, v1
	s_delay_alu instid0(VALU_DEP_1) | instskip(NEXT) | instid1(VALU_DEP_1)
	v_cvt_f16_u16_e32 v4, v4
	v_and_b32_e32 v4, 0xffff, v4
	global_store_b32 v[2:3], v4, off
.LBB22_2902:
	s_mov_b32 s4, 0
.LBB22_2903:
	s_delay_alu instid0(SALU_CYCLE_1)
	s_and_not1_b32 vcc_lo, exec_lo, s4
	s_cbranch_vccnz .LBB22_2912
; %bb.2904:
	s_cmp_lt_i32 s0, 6
	s_mov_b32 s4, -1
	s_cbranch_scc1 .LBB22_2910
; %bb.2905:
	s_cmp_gt_i32 s0, 6
	s_cbranch_scc0 .LBB22_2907
; %bb.2906:
	s_wait_xcnt 0x0
	v_and_b32_e32 v4, 0xff, v1
	s_mov_b32 s4, 0
	s_delay_alu instid0(VALU_DEP_1) | instskip(NEXT) | instid1(VALU_DEP_1)
	v_and_b32_e32 v4, 0xffff, v4
	v_cvt_f64_u32_e32 v[4:5], v4
	global_store_b64 v[2:3], v[4:5], off
.LBB22_2907:
	s_and_not1_b32 vcc_lo, exec_lo, s4
	s_cbranch_vccnz .LBB22_2909
; %bb.2908:
	s_wait_xcnt 0x0
	v_cvt_f32_ubyte0_e32 v4, v1
	global_store_b32 v[2:3], v4, off
.LBB22_2909:
	s_mov_b32 s4, 0
.LBB22_2910:
	s_delay_alu instid0(SALU_CYCLE_1)
	s_and_not1_b32 vcc_lo, exec_lo, s4
	s_cbranch_vccnz .LBB22_2912
; %bb.2911:
	s_wait_xcnt 0x0
	v_and_b32_e32 v4, 0xff, v1
	s_delay_alu instid0(VALU_DEP_1)
	v_cvt_f16_u16_e32 v4, v4
	global_store_b16 v[2:3], v4, off
.LBB22_2912:
	s_mov_b32 s4, 0
.LBB22_2913:
	s_delay_alu instid0(SALU_CYCLE_1)
	s_and_not1_b32 vcc_lo, exec_lo, s4
	s_cbranch_vccnz .LBB22_2929
; %bb.2914:
	s_cmp_lt_i32 s0, 2
	s_mov_b32 s4, -1
	s_cbranch_scc1 .LBB22_2924
; %bb.2915:
	s_cmp_lt_i32 s0, 3
	s_cbranch_scc1 .LBB22_2921
; %bb.2916:
	s_cmp_gt_i32 s0, 3
	s_cbranch_scc0 .LBB22_2918
; %bb.2917:
	s_wait_xcnt 0x0
	v_and_b32_e32 v4, 0xff, v1
	v_mov_b32_e32 v5, 0
	s_mov_b32 s4, 0
	global_store_b64 v[2:3], v[4:5], off
.LBB22_2918:
	s_and_not1_b32 vcc_lo, exec_lo, s4
	s_cbranch_vccnz .LBB22_2920
; %bb.2919:
	s_wait_xcnt 0x0
	v_and_b32_e32 v4, 0xff, v1
	global_store_b32 v[2:3], v4, off
.LBB22_2920:
	s_mov_b32 s4, 0
.LBB22_2921:
	s_delay_alu instid0(SALU_CYCLE_1)
	s_and_not1_b32 vcc_lo, exec_lo, s4
	s_cbranch_vccnz .LBB22_2923
; %bb.2922:
	s_wait_xcnt 0x0
	v_and_b32_e32 v4, 0xff, v1
	global_store_b16 v[2:3], v4, off
.LBB22_2923:
	s_mov_b32 s4, 0
.LBB22_2924:
	s_delay_alu instid0(SALU_CYCLE_1)
	s_and_not1_b32 vcc_lo, exec_lo, s4
	s_cbranch_vccnz .LBB22_2929
; %bb.2925:
	s_cmp_gt_i32 s0, 0
	s_mov_b32 s0, -1
	s_cbranch_scc0 .LBB22_2927
; %bb.2926:
	s_mov_b32 s0, 0
	global_store_b8 v[2:3], v1, off
.LBB22_2927:
	s_and_not1_b32 vcc_lo, exec_lo, s0
	s_cbranch_vccnz .LBB22_2929
; %bb.2928:
	global_store_b8 v[2:3], v1, off
.LBB22_2929:
	s_mov_b32 s7, -1
.LBB22_2930:
	s_delay_alu instid0(SALU_CYCLE_1)
	s_and_not1_b32 vcc_lo, exec_lo, s7
	s_cbranch_vccnz .LBB22_3126
; %bb.2931:
	v_add_nc_u32_e32 v0, s1, v0
	s_wait_xcnt 0x0
	v_mul_lo_u16 v4, v8, s6
	s_cmp_lt_i32 s18, 11
	s_delay_alu instid0(VALU_DEP_2) | instskip(NEXT) | instid1(VALU_DEP_1)
	v_ashrrev_i32_e32 v1, 31, v0
	v_add_nc_u64_e32 v[2:3], s[2:3], v[0:1]
	s_delay_alu instid0(VALU_DEP_3)
	v_mul_lo_u16 v1, v4, v10
	s_cbranch_scc1 .LBB22_3009
; %bb.2932:
	s_and_b32 s4, 0xffff, s18
	s_mov_b32 s8, -1
	s_mov_b32 s5, 0
	s_cmp_gt_i32 s4, 25
	s_mov_b32 s7, 0
	s_mov_b32 s0, 0
	s_cbranch_scc0 .LBB22_2965
; %bb.2933:
	s_cmp_gt_i32 s4, 28
	s_cbranch_scc0 .LBB22_2948
; %bb.2934:
	s_cmp_gt_i32 s4, 43
	s_cbranch_scc0 .LBB22_2944
; %bb.2935:
	s_cmp_gt_i32 s4, 45
	s_cbranch_scc0 .LBB22_2938
; %bb.2936:
	s_mov_b32 s0, -1
	s_mov_b32 s8, 0
	s_cmp_eq_u32 s4, 46
	s_cbranch_scc0 .LBB22_2938
; %bb.2937:
	v_cvt_f32_ubyte0_e32 v4, v1
	s_mov_b32 s0, 0
	s_mov_b32 s7, -1
	s_delay_alu instid0(VALU_DEP_1) | instskip(NEXT) | instid1(VALU_DEP_1)
	v_bfe_u32 v5, v4, 16, 1
	v_add3_u32 v4, v4, v5, 0x7fff
	s_delay_alu instid0(VALU_DEP_1)
	v_lshrrev_b32_e32 v4, 16, v4
	global_store_b32 v[2:3], v4, off
.LBB22_2938:
	s_and_b32 vcc_lo, exec_lo, s8
	s_cbranch_vccz .LBB22_2943
; %bb.2939:
	s_cmp_eq_u32 s4, 44
	s_mov_b32 s0, -1
	s_cbranch_scc0 .LBB22_2943
; %bb.2940:
	v_cvt_f32_ubyte0_e32 v6, v1
	s_mov_b32 s7, exec_lo
	s_wait_xcnt 0x0
	s_delay_alu instid0(VALU_DEP_1) | instskip(NEXT) | instid1(VALU_DEP_1)
	v_dual_mov_b32 v5, 0xff :: v_dual_lshrrev_b32 v4, 23, v6
	v_cmpx_ne_u32_e32 0xff, v4
; %bb.2941:
	v_and_b32_e32 v5, 0x400000, v6
	v_and_or_b32 v6, 0x3fffff, v6, v4
	s_delay_alu instid0(VALU_DEP_2) | instskip(NEXT) | instid1(VALU_DEP_2)
	v_cmp_ne_u32_e32 vcc_lo, 0, v5
	v_cmp_ne_u32_e64 s0, 0, v6
	s_and_b32 s0, vcc_lo, s0
	s_delay_alu instid0(SALU_CYCLE_1) | instskip(NEXT) | instid1(VALU_DEP_1)
	v_cndmask_b32_e64 v5, 0, 1, s0
	v_add_nc_u32_e32 v5, v4, v5
; %bb.2942:
	s_or_b32 exec_lo, exec_lo, s7
	s_mov_b32 s0, 0
	s_mov_b32 s7, -1
	global_store_b8 v[2:3], v5, off
.LBB22_2943:
	s_mov_b32 s8, 0
.LBB22_2944:
	s_delay_alu instid0(SALU_CYCLE_1)
	s_and_b32 vcc_lo, exec_lo, s8
	s_cbranch_vccz .LBB22_2947
; %bb.2945:
	s_cmp_eq_u32 s4, 29
	s_mov_b32 s0, -1
	s_cbranch_scc0 .LBB22_2947
; %bb.2946:
	s_wait_xcnt 0x0
	v_and_b32_e32 v4, 0xff, v1
	v_mov_b32_e32 v5, 0
	s_mov_b32 s0, 0
	s_mov_b32 s7, -1
	global_store_b64 v[2:3], v[4:5], off
.LBB22_2947:
	s_mov_b32 s8, 0
.LBB22_2948:
	s_delay_alu instid0(SALU_CYCLE_1)
	s_and_b32 vcc_lo, exec_lo, s8
	s_cbranch_vccz .LBB22_2964
; %bb.2949:
	s_cmp_lt_i32 s4, 27
	s_mov_b32 s7, -1
	s_cbranch_scc1 .LBB22_2955
; %bb.2950:
	s_cmp_gt_i32 s4, 27
	s_cbranch_scc0 .LBB22_2952
; %bb.2951:
	s_wait_xcnt 0x0
	v_and_b32_e32 v4, 0xff, v1
	s_mov_b32 s7, 0
	global_store_b32 v[2:3], v4, off
.LBB22_2952:
	s_and_not1_b32 vcc_lo, exec_lo, s7
	s_cbranch_vccnz .LBB22_2954
; %bb.2953:
	s_wait_xcnt 0x0
	v_and_b32_e32 v4, 0xff, v1
	global_store_b16 v[2:3], v4, off
.LBB22_2954:
	s_mov_b32 s7, 0
.LBB22_2955:
	s_delay_alu instid0(SALU_CYCLE_1)
	s_and_not1_b32 vcc_lo, exec_lo, s7
	s_cbranch_vccnz .LBB22_2963
; %bb.2956:
	s_wait_xcnt 0x0
	v_cvt_f32_ubyte0_e32 v5, v1
	v_mov_b32_e32 v6, 0x80
	s_mov_b32 s7, exec_lo
	s_delay_alu instid0(VALU_DEP_2)
	v_cmpx_gt_u32_e32 0x43800000, v5
	s_cbranch_execz .LBB22_2962
; %bb.2957:
	s_mov_b32 s8, 0
	s_mov_b32 s9, exec_lo
                                        ; implicit-def: $vgpr4
	v_cmpx_lt_u32_e32 0x3bffffff, v5
	s_xor_b32 s9, exec_lo, s9
	s_cbranch_execz .LBB22_3183
; %bb.2958:
	v_bfe_u32 v4, v5, 20, 1
	s_mov_b32 s8, exec_lo
	s_delay_alu instid0(VALU_DEP_1) | instskip(NEXT) | instid1(VALU_DEP_1)
	v_add3_u32 v4, v5, v4, 0x487ffff
                                        ; implicit-def: $vgpr5
	v_lshrrev_b32_e32 v4, 20, v4
	s_and_not1_saveexec_b32 s9, s9
	s_cbranch_execnz .LBB22_3184
.LBB22_2959:
	s_or_b32 exec_lo, exec_lo, s9
	v_mov_b32_e32 v6, 0
	s_and_saveexec_b32 s9, s8
.LBB22_2960:
	v_mov_b32_e32 v6, v4
.LBB22_2961:
	s_or_b32 exec_lo, exec_lo, s9
.LBB22_2962:
	s_delay_alu instid0(SALU_CYCLE_1)
	s_or_b32 exec_lo, exec_lo, s7
	global_store_b8 v[2:3], v6, off
.LBB22_2963:
	s_mov_b32 s7, -1
.LBB22_2964:
	s_mov_b32 s8, 0
.LBB22_2965:
	s_delay_alu instid0(SALU_CYCLE_1)
	s_and_b32 vcc_lo, exec_lo, s8
	s_cbranch_vccz .LBB22_3005
; %bb.2966:
	s_cmp_gt_i32 s4, 22
	s_mov_b32 s5, -1
	s_cbranch_scc0 .LBB22_2998
; %bb.2967:
	s_cmp_lt_i32 s4, 24
	s_cbranch_scc1 .LBB22_2987
; %bb.2968:
	s_cmp_gt_i32 s4, 24
	s_cbranch_scc0 .LBB22_2976
; %bb.2969:
	s_wait_xcnt 0x0
	v_cvt_f32_ubyte0_e32 v5, v1
	v_mov_b32_e32 v6, 0x80
	s_mov_b32 s5, exec_lo
	s_delay_alu instid0(VALU_DEP_2)
	v_cmpx_gt_u32_e32 0x47800000, v5
	s_cbranch_execz .LBB22_2975
; %bb.2970:
	s_mov_b32 s7, 0
	s_mov_b32 s8, exec_lo
                                        ; implicit-def: $vgpr4
	v_cmpx_lt_u32_e32 0x37ffffff, v5
	s_xor_b32 s8, exec_lo, s8
	s_cbranch_execz .LBB22_3186
; %bb.2971:
	v_bfe_u32 v4, v5, 21, 1
	s_mov_b32 s7, exec_lo
	s_delay_alu instid0(VALU_DEP_1) | instskip(NEXT) | instid1(VALU_DEP_1)
	v_add3_u32 v4, v5, v4, 0x88fffff
                                        ; implicit-def: $vgpr5
	v_lshrrev_b32_e32 v4, 21, v4
	s_and_not1_saveexec_b32 s8, s8
	s_cbranch_execnz .LBB22_3187
.LBB22_2972:
	s_or_b32 exec_lo, exec_lo, s8
	v_mov_b32_e32 v6, 0
	s_and_saveexec_b32 s8, s7
.LBB22_2973:
	v_mov_b32_e32 v6, v4
.LBB22_2974:
	s_or_b32 exec_lo, exec_lo, s8
.LBB22_2975:
	s_delay_alu instid0(SALU_CYCLE_1)
	s_or_b32 exec_lo, exec_lo, s5
	s_mov_b32 s5, 0
	global_store_b8 v[2:3], v6, off
.LBB22_2976:
	s_and_b32 vcc_lo, exec_lo, s5
	s_cbranch_vccz .LBB22_2986
; %bb.2977:
	s_wait_xcnt 0x0
	v_cvt_f32_ubyte0_e32 v5, v1
	s_mov_b32 s5, exec_lo
                                        ; implicit-def: $vgpr4
	s_delay_alu instid0(VALU_DEP_1)
	v_cmpx_gt_u32_e32 0x43f00000, v5
	s_xor_b32 s5, exec_lo, s5
	s_cbranch_execz .LBB22_2983
; %bb.2978:
	s_mov_b32 s7, exec_lo
                                        ; implicit-def: $vgpr4
	v_cmpx_lt_u32_e32 0x3c7fffff, v5
	s_xor_b32 s7, exec_lo, s7
; %bb.2979:
	v_bfe_u32 v4, v5, 20, 1
	s_delay_alu instid0(VALU_DEP_1) | instskip(NEXT) | instid1(VALU_DEP_1)
	v_add3_u32 v4, v5, v4, 0x407ffff
	v_and_b32_e32 v5, 0xff00000, v4
	v_lshrrev_b32_e32 v4, 20, v4
	s_delay_alu instid0(VALU_DEP_2) | instskip(NEXT) | instid1(VALU_DEP_2)
	v_cmp_ne_u32_e32 vcc_lo, 0x7f00000, v5
                                        ; implicit-def: $vgpr5
	v_cndmask_b32_e32 v4, 0x7e, v4, vcc_lo
; %bb.2980:
	s_and_not1_saveexec_b32 s7, s7
; %bb.2981:
	v_add_f32_e32 v4, 0x46800000, v5
; %bb.2982:
	s_or_b32 exec_lo, exec_lo, s7
                                        ; implicit-def: $vgpr5
.LBB22_2983:
	s_and_not1_saveexec_b32 s5, s5
; %bb.2984:
	v_mov_b32_e32 v4, 0x7f
	v_cmp_lt_u32_e32 vcc_lo, 0x7f800000, v5
	s_delay_alu instid0(VALU_DEP_2)
	v_cndmask_b32_e32 v4, 0x7e, v4, vcc_lo
; %bb.2985:
	s_or_b32 exec_lo, exec_lo, s5
	global_store_b8 v[2:3], v4, off
.LBB22_2986:
	s_mov_b32 s5, 0
.LBB22_2987:
	s_delay_alu instid0(SALU_CYCLE_1)
	s_and_not1_b32 vcc_lo, exec_lo, s5
	s_cbranch_vccnz .LBB22_2997
; %bb.2988:
	s_wait_xcnt 0x0
	v_cvt_f32_ubyte0_e32 v5, v1
	s_mov_b32 s5, exec_lo
                                        ; implicit-def: $vgpr4
	s_delay_alu instid0(VALU_DEP_1)
	v_cmpx_gt_u32_e32 0x47800000, v5
	s_xor_b32 s5, exec_lo, s5
	s_cbranch_execz .LBB22_2994
; %bb.2989:
	s_mov_b32 s7, exec_lo
                                        ; implicit-def: $vgpr4
	v_cmpx_lt_u32_e32 0x387fffff, v5
	s_xor_b32 s7, exec_lo, s7
; %bb.2990:
	v_bfe_u32 v4, v5, 21, 1
	s_delay_alu instid0(VALU_DEP_1) | instskip(NEXT) | instid1(VALU_DEP_1)
	v_add3_u32 v4, v5, v4, 0x80fffff
                                        ; implicit-def: $vgpr5
	v_lshrrev_b32_e32 v4, 21, v4
; %bb.2991:
	s_and_not1_saveexec_b32 s7, s7
; %bb.2992:
	v_add_f32_e32 v4, 0x43000000, v5
; %bb.2993:
	s_or_b32 exec_lo, exec_lo, s7
                                        ; implicit-def: $vgpr5
.LBB22_2994:
	s_and_not1_saveexec_b32 s5, s5
; %bb.2995:
	v_mov_b32_e32 v4, 0x7f
	v_cmp_lt_u32_e32 vcc_lo, 0x7f800000, v5
	s_delay_alu instid0(VALU_DEP_2)
	v_cndmask_b32_e32 v4, 0x7c, v4, vcc_lo
; %bb.2996:
	s_or_b32 exec_lo, exec_lo, s5
	global_store_b8 v[2:3], v4, off
.LBB22_2997:
	s_mov_b32 s5, 0
	s_mov_b32 s7, -1
.LBB22_2998:
	s_and_not1_b32 vcc_lo, exec_lo, s5
	s_mov_b32 s5, 0
	s_cbranch_vccnz .LBB22_3005
; %bb.2999:
	s_cmp_gt_i32 s4, 14
	s_mov_b32 s5, -1
	s_cbranch_scc0 .LBB22_3003
; %bb.3000:
	s_cmp_eq_u32 s4, 15
	s_mov_b32 s0, -1
	s_cbranch_scc0 .LBB22_3002
; %bb.3001:
	s_wait_xcnt 0x0
	v_cvt_f32_ubyte0_e32 v4, v1
	s_mov_b32 s0, 0
	s_mov_b32 s7, -1
	s_delay_alu instid0(VALU_DEP_1) | instskip(NEXT) | instid1(VALU_DEP_1)
	v_bfe_u32 v5, v4, 16, 1
	v_add3_u32 v4, v4, v5, 0x7fff
	global_store_d16_hi_b16 v[2:3], v4, off
.LBB22_3002:
	s_mov_b32 s5, 0
.LBB22_3003:
	s_delay_alu instid0(SALU_CYCLE_1)
	s_and_b32 vcc_lo, exec_lo, s5
	s_mov_b32 s5, 0
	s_cbranch_vccz .LBB22_3005
; %bb.3004:
	s_cmp_lg_u32 s4, 11
	s_mov_b32 s5, -1
	s_cselect_b32 s0, -1, 0
.LBB22_3005:
	s_delay_alu instid0(SALU_CYCLE_1)
	s_and_b32 vcc_lo, exec_lo, s0
	s_cbranch_vccnz .LBB22_3185
; %bb.3006:
	s_and_not1_b32 vcc_lo, exec_lo, s5
	s_cbranch_vccnz .LBB22_3008
.LBB22_3007:
	s_wait_xcnt 0x0
	v_and_b32_e32 v4, 0xff, v1
	s_mov_b32 s7, -1
	s_delay_alu instid0(VALU_DEP_1)
	v_cmp_ne_u16_e32 vcc_lo, 0, v4
	v_cndmask_b32_e64 v4, 0, 1, vcc_lo
	global_store_b8 v[2:3], v4, off
.LBB22_3008:
	s_mov_b32 s0, 0
	s_branch .LBB22_3010
.LBB22_3009:
	s_mov_b32 s0, -1
	s_mov_b32 s7, 0
.LBB22_3010:
	s_and_b32 vcc_lo, exec_lo, s0
	s_cbranch_vccz .LBB22_3049
; %bb.3011:
	s_and_b32 s0, 0xffff, s18
	s_mov_b32 s4, -1
	s_cmp_lt_i32 s0, 5
	s_cbranch_scc1 .LBB22_3032
; %bb.3012:
	s_cmp_lt_i32 s0, 8
	s_cbranch_scc1 .LBB22_3022
; %bb.3013:
	;; [unrolled: 3-line block ×3, first 2 shown]
	s_cmp_gt_i32 s0, 9
	s_cbranch_scc0 .LBB22_3016
; %bb.3015:
	s_wait_xcnt 0x0
	v_and_b32_e32 v4, 0xff, v1
	v_mov_b32_e32 v6, 0
	s_mov_b32 s4, 0
	s_delay_alu instid0(VALU_DEP_2) | instskip(NEXT) | instid1(VALU_DEP_2)
	v_and_b32_e32 v4, 0xffff, v4
	v_mov_b32_e32 v7, v6
	s_delay_alu instid0(VALU_DEP_2)
	v_cvt_f64_u32_e32 v[4:5], v4
	global_store_b128 v[2:3], v[4:7], off
.LBB22_3016:
	s_and_not1_b32 vcc_lo, exec_lo, s4
	s_cbranch_vccnz .LBB22_3018
; %bb.3017:
	s_wait_xcnt 0x0
	v_cvt_f32_ubyte0_e32 v4, v1
	v_mov_b32_e32 v5, 0
	global_store_b64 v[2:3], v[4:5], off
.LBB22_3018:
	s_mov_b32 s4, 0
.LBB22_3019:
	s_delay_alu instid0(SALU_CYCLE_1)
	s_and_not1_b32 vcc_lo, exec_lo, s4
	s_cbranch_vccnz .LBB22_3021
; %bb.3020:
	s_wait_xcnt 0x0
	v_and_b32_e32 v4, 0xff, v1
	s_delay_alu instid0(VALU_DEP_1) | instskip(NEXT) | instid1(VALU_DEP_1)
	v_cvt_f16_u16_e32 v4, v4
	v_and_b32_e32 v4, 0xffff, v4
	global_store_b32 v[2:3], v4, off
.LBB22_3021:
	s_mov_b32 s4, 0
.LBB22_3022:
	s_delay_alu instid0(SALU_CYCLE_1)
	s_and_not1_b32 vcc_lo, exec_lo, s4
	s_cbranch_vccnz .LBB22_3031
; %bb.3023:
	s_cmp_lt_i32 s0, 6
	s_mov_b32 s4, -1
	s_cbranch_scc1 .LBB22_3029
; %bb.3024:
	s_cmp_gt_i32 s0, 6
	s_cbranch_scc0 .LBB22_3026
; %bb.3025:
	s_wait_xcnt 0x0
	v_and_b32_e32 v4, 0xff, v1
	s_mov_b32 s4, 0
	s_delay_alu instid0(VALU_DEP_1) | instskip(NEXT) | instid1(VALU_DEP_1)
	v_and_b32_e32 v4, 0xffff, v4
	v_cvt_f64_u32_e32 v[4:5], v4
	global_store_b64 v[2:3], v[4:5], off
.LBB22_3026:
	s_and_not1_b32 vcc_lo, exec_lo, s4
	s_cbranch_vccnz .LBB22_3028
; %bb.3027:
	s_wait_xcnt 0x0
	v_cvt_f32_ubyte0_e32 v4, v1
	global_store_b32 v[2:3], v4, off
.LBB22_3028:
	s_mov_b32 s4, 0
.LBB22_3029:
	s_delay_alu instid0(SALU_CYCLE_1)
	s_and_not1_b32 vcc_lo, exec_lo, s4
	s_cbranch_vccnz .LBB22_3031
; %bb.3030:
	s_wait_xcnt 0x0
	v_and_b32_e32 v4, 0xff, v1
	s_delay_alu instid0(VALU_DEP_1)
	v_cvt_f16_u16_e32 v4, v4
	global_store_b16 v[2:3], v4, off
.LBB22_3031:
	s_mov_b32 s4, 0
.LBB22_3032:
	s_delay_alu instid0(SALU_CYCLE_1)
	s_and_not1_b32 vcc_lo, exec_lo, s4
	s_cbranch_vccnz .LBB22_3048
; %bb.3033:
	s_cmp_lt_i32 s0, 2
	s_mov_b32 s4, -1
	s_cbranch_scc1 .LBB22_3043
; %bb.3034:
	s_cmp_lt_i32 s0, 3
	s_cbranch_scc1 .LBB22_3040
; %bb.3035:
	s_cmp_gt_i32 s0, 3
	s_cbranch_scc0 .LBB22_3037
; %bb.3036:
	s_wait_xcnt 0x0
	v_and_b32_e32 v4, 0xff, v1
	v_mov_b32_e32 v5, 0
	s_mov_b32 s4, 0
	global_store_b64 v[2:3], v[4:5], off
.LBB22_3037:
	s_and_not1_b32 vcc_lo, exec_lo, s4
	s_cbranch_vccnz .LBB22_3039
; %bb.3038:
	s_wait_xcnt 0x0
	v_and_b32_e32 v4, 0xff, v1
	global_store_b32 v[2:3], v4, off
.LBB22_3039:
	s_mov_b32 s4, 0
.LBB22_3040:
	s_delay_alu instid0(SALU_CYCLE_1)
	s_and_not1_b32 vcc_lo, exec_lo, s4
	s_cbranch_vccnz .LBB22_3042
; %bb.3041:
	s_wait_xcnt 0x0
	v_and_b32_e32 v4, 0xff, v1
	global_store_b16 v[2:3], v4, off
.LBB22_3042:
	s_mov_b32 s4, 0
.LBB22_3043:
	s_delay_alu instid0(SALU_CYCLE_1)
	s_and_not1_b32 vcc_lo, exec_lo, s4
	s_cbranch_vccnz .LBB22_3048
; %bb.3044:
	s_cmp_gt_i32 s0, 0
	s_mov_b32 s0, -1
	s_cbranch_scc0 .LBB22_3046
; %bb.3045:
	s_mov_b32 s0, 0
	global_store_b8 v[2:3], v1, off
.LBB22_3046:
	s_and_not1_b32 vcc_lo, exec_lo, s0
	s_cbranch_vccnz .LBB22_3048
; %bb.3047:
	global_store_b8 v[2:3], v1, off
.LBB22_3048:
	s_mov_b32 s7, -1
.LBB22_3049:
	s_delay_alu instid0(SALU_CYCLE_1)
	s_and_not1_b32 vcc_lo, exec_lo, s7
	s_cbranch_vccnz .LBB22_3126
; %bb.3050:
	v_add_nc_u32_e32 v0, s1, v0
	s_wait_xcnt 0x0
	v_mul_lo_u16 v2, v12, s6
	s_cmp_lt_i32 s18, 11
	s_delay_alu instid0(VALU_DEP_2) | instskip(NEXT) | instid1(VALU_DEP_2)
	v_ashrrev_i32_e32 v1, 31, v0
	v_mul_lo_u16 v2, v2, v14
	s_delay_alu instid0(VALU_DEP_2)
	v_add_nc_u64_e32 v[0:1], s[2:3], v[0:1]
	s_cbranch_scc1 .LBB22_3171
; %bb.3051:
	s_and_b32 s2, 0xffff, s18
	s_mov_b32 s3, -1
	s_mov_b32 s1, 0
	s_cmp_gt_i32 s2, 25
	s_mov_b32 s0, 0
	s_cbranch_scc0 .LBB22_3084
; %bb.3052:
	s_cmp_gt_i32 s2, 28
	s_cbranch_scc0 .LBB22_3068
; %bb.3053:
	s_cmp_gt_i32 s2, 43
	;; [unrolled: 3-line block ×3, first 2 shown]
	s_cbranch_scc0 .LBB22_3058
; %bb.3055:
	s_cmp_eq_u32 s2, 46
	s_mov_b32 s0, -1
	s_cbranch_scc0 .LBB22_3057
; %bb.3056:
	v_cvt_f32_ubyte0_e32 v3, v2
	s_mov_b32 s0, 0
	s_delay_alu instid0(VALU_DEP_1) | instskip(NEXT) | instid1(VALU_DEP_1)
	v_bfe_u32 v4, v3, 16, 1
	v_add3_u32 v3, v3, v4, 0x7fff
	s_delay_alu instid0(VALU_DEP_1)
	v_lshrrev_b32_e32 v3, 16, v3
	global_store_b32 v[0:1], v3, off
.LBB22_3057:
	s_mov_b32 s3, 0
.LBB22_3058:
	s_delay_alu instid0(SALU_CYCLE_1)
	s_and_b32 vcc_lo, exec_lo, s3
	s_cbranch_vccz .LBB22_3063
; %bb.3059:
	s_cmp_eq_u32 s2, 44
	s_mov_b32 s0, -1
	s_cbranch_scc0 .LBB22_3063
; %bb.3060:
	v_cvt_f32_ubyte0_e32 v5, v2
	s_mov_b32 s3, exec_lo
	s_wait_xcnt 0x0
	s_delay_alu instid0(VALU_DEP_1) | instskip(NEXT) | instid1(VALU_DEP_1)
	v_dual_mov_b32 v4, 0xff :: v_dual_lshrrev_b32 v3, 23, v5
	v_cmpx_ne_u32_e32 0xff, v3
; %bb.3061:
	v_and_b32_e32 v4, 0x400000, v5
	v_and_or_b32 v5, 0x3fffff, v5, v3
	s_delay_alu instid0(VALU_DEP_2) | instskip(NEXT) | instid1(VALU_DEP_2)
	v_cmp_ne_u32_e32 vcc_lo, 0, v4
	v_cmp_ne_u32_e64 s0, 0, v5
	s_and_b32 s0, vcc_lo, s0
	s_delay_alu instid0(SALU_CYCLE_1) | instskip(NEXT) | instid1(VALU_DEP_1)
	v_cndmask_b32_e64 v4, 0, 1, s0
	v_add_nc_u32_e32 v4, v3, v4
; %bb.3062:
	s_or_b32 exec_lo, exec_lo, s3
	s_mov_b32 s0, 0
	global_store_b8 v[0:1], v4, off
.LBB22_3063:
	s_mov_b32 s3, 0
.LBB22_3064:
	s_delay_alu instid0(SALU_CYCLE_1)
	s_and_b32 vcc_lo, exec_lo, s3
	s_cbranch_vccz .LBB22_3067
; %bb.3065:
	s_cmp_eq_u32 s2, 29
	s_mov_b32 s0, -1
	s_cbranch_scc0 .LBB22_3067
; %bb.3066:
	s_wait_xcnt 0x0
	v_and_b32_e32 v4, 0xff, v2
	v_mov_b32_e32 v5, 0
	s_mov_b32 s0, 0
	global_store_b64 v[0:1], v[4:5], off
.LBB22_3067:
	s_mov_b32 s3, 0
.LBB22_3068:
	s_delay_alu instid0(SALU_CYCLE_1)
	s_and_b32 vcc_lo, exec_lo, s3
	s_cbranch_vccz .LBB22_3083
; %bb.3069:
	s_cmp_lt_i32 s2, 27
	s_mov_b32 s3, -1
	s_cbranch_scc1 .LBB22_3075
; %bb.3070:
	s_wait_xcnt 0x0
	v_and_b32_e32 v3, 0xff, v2
	s_cmp_gt_i32 s2, 27
	s_cbranch_scc0 .LBB22_3072
; %bb.3071:
	s_mov_b32 s3, 0
	global_store_b32 v[0:1], v3, off
.LBB22_3072:
	s_and_not1_b32 vcc_lo, exec_lo, s3
	s_cbranch_vccnz .LBB22_3074
; %bb.3073:
	global_store_b16 v[0:1], v3, off
.LBB22_3074:
	s_mov_b32 s3, 0
.LBB22_3075:
	s_delay_alu instid0(SALU_CYCLE_1)
	s_and_not1_b32 vcc_lo, exec_lo, s3
	s_cbranch_vccnz .LBB22_3083
; %bb.3076:
	s_wait_xcnt 0x0
	v_cvt_f32_ubyte0_e32 v4, v2
	v_mov_b32_e32 v5, 0x80
	s_mov_b32 s3, exec_lo
	s_delay_alu instid0(VALU_DEP_2)
	v_cmpx_gt_u32_e32 0x43800000, v4
	s_cbranch_execz .LBB22_3082
; %bb.3077:
	s_mov_b32 s4, 0
	s_mov_b32 s5, exec_lo
                                        ; implicit-def: $vgpr3
	v_cmpx_lt_u32_e32 0x3bffffff, v4
	s_xor_b32 s5, exec_lo, s5
	s_cbranch_execz .LBB22_3188
; %bb.3078:
	v_bfe_u32 v3, v4, 20, 1
	s_mov_b32 s4, exec_lo
	s_delay_alu instid0(VALU_DEP_1) | instskip(NEXT) | instid1(VALU_DEP_1)
	v_add3_u32 v3, v4, v3, 0x487ffff
                                        ; implicit-def: $vgpr4
	v_lshrrev_b32_e32 v3, 20, v3
	s_and_not1_saveexec_b32 s5, s5
	s_cbranch_execnz .LBB22_3189
.LBB22_3079:
	s_or_b32 exec_lo, exec_lo, s5
	v_mov_b32_e32 v5, 0
	s_and_saveexec_b32 s5, s4
.LBB22_3080:
	v_mov_b32_e32 v5, v3
.LBB22_3081:
	s_or_b32 exec_lo, exec_lo, s5
.LBB22_3082:
	s_delay_alu instid0(SALU_CYCLE_1)
	s_or_b32 exec_lo, exec_lo, s3
	global_store_b8 v[0:1], v5, off
.LBB22_3083:
	s_mov_b32 s3, 0
.LBB22_3084:
	s_delay_alu instid0(SALU_CYCLE_1)
	s_and_b32 vcc_lo, exec_lo, s3
	s_cbranch_vccz .LBB22_3124
; %bb.3085:
	s_cmp_gt_i32 s2, 22
	s_mov_b32 s1, -1
	s_cbranch_scc0 .LBB22_3117
; %bb.3086:
	s_cmp_lt_i32 s2, 24
	s_cbranch_scc1 .LBB22_3106
; %bb.3087:
	s_cmp_gt_i32 s2, 24
	s_cbranch_scc0 .LBB22_3095
; %bb.3088:
	s_wait_xcnt 0x0
	v_cvt_f32_ubyte0_e32 v4, v2
	v_mov_b32_e32 v5, 0x80
	s_mov_b32 s1, exec_lo
	s_delay_alu instid0(VALU_DEP_2)
	v_cmpx_gt_u32_e32 0x47800000, v4
	s_cbranch_execz .LBB22_3094
; %bb.3089:
	s_mov_b32 s3, 0
	s_mov_b32 s4, exec_lo
                                        ; implicit-def: $vgpr3
	v_cmpx_lt_u32_e32 0x37ffffff, v4
	s_xor_b32 s4, exec_lo, s4
	s_cbranch_execz .LBB22_3191
; %bb.3090:
	v_bfe_u32 v3, v4, 21, 1
	s_mov_b32 s3, exec_lo
	s_delay_alu instid0(VALU_DEP_1) | instskip(NEXT) | instid1(VALU_DEP_1)
	v_add3_u32 v3, v4, v3, 0x88fffff
                                        ; implicit-def: $vgpr4
	v_lshrrev_b32_e32 v3, 21, v3
	s_and_not1_saveexec_b32 s4, s4
	s_cbranch_execnz .LBB22_3192
.LBB22_3091:
	s_or_b32 exec_lo, exec_lo, s4
	v_mov_b32_e32 v5, 0
	s_and_saveexec_b32 s4, s3
.LBB22_3092:
	v_mov_b32_e32 v5, v3
.LBB22_3093:
	s_or_b32 exec_lo, exec_lo, s4
.LBB22_3094:
	s_delay_alu instid0(SALU_CYCLE_1)
	s_or_b32 exec_lo, exec_lo, s1
	s_mov_b32 s1, 0
	global_store_b8 v[0:1], v5, off
.LBB22_3095:
	s_and_b32 vcc_lo, exec_lo, s1
	s_cbranch_vccz .LBB22_3105
; %bb.3096:
	s_wait_xcnt 0x0
	v_cvt_f32_ubyte0_e32 v4, v2
	s_mov_b32 s1, exec_lo
                                        ; implicit-def: $vgpr3
	s_delay_alu instid0(VALU_DEP_1)
	v_cmpx_gt_u32_e32 0x43f00000, v4
	s_xor_b32 s1, exec_lo, s1
	s_cbranch_execz .LBB22_3102
; %bb.3097:
	s_mov_b32 s3, exec_lo
                                        ; implicit-def: $vgpr3
	v_cmpx_lt_u32_e32 0x3c7fffff, v4
	s_xor_b32 s3, exec_lo, s3
; %bb.3098:
	v_bfe_u32 v3, v4, 20, 1
	s_delay_alu instid0(VALU_DEP_1) | instskip(NEXT) | instid1(VALU_DEP_1)
	v_add3_u32 v3, v4, v3, 0x407ffff
	v_and_b32_e32 v4, 0xff00000, v3
	v_lshrrev_b32_e32 v3, 20, v3
	s_delay_alu instid0(VALU_DEP_2) | instskip(NEXT) | instid1(VALU_DEP_2)
	v_cmp_ne_u32_e32 vcc_lo, 0x7f00000, v4
                                        ; implicit-def: $vgpr4
	v_cndmask_b32_e32 v3, 0x7e, v3, vcc_lo
; %bb.3099:
	s_and_not1_saveexec_b32 s3, s3
; %bb.3100:
	v_add_f32_e32 v3, 0x46800000, v4
; %bb.3101:
	s_or_b32 exec_lo, exec_lo, s3
                                        ; implicit-def: $vgpr4
.LBB22_3102:
	s_and_not1_saveexec_b32 s1, s1
; %bb.3103:
	v_mov_b32_e32 v3, 0x7f
	v_cmp_lt_u32_e32 vcc_lo, 0x7f800000, v4
	s_delay_alu instid0(VALU_DEP_2)
	v_cndmask_b32_e32 v3, 0x7e, v3, vcc_lo
; %bb.3104:
	s_or_b32 exec_lo, exec_lo, s1
	global_store_b8 v[0:1], v3, off
.LBB22_3105:
	s_mov_b32 s1, 0
.LBB22_3106:
	s_delay_alu instid0(SALU_CYCLE_1)
	s_and_not1_b32 vcc_lo, exec_lo, s1
	s_cbranch_vccnz .LBB22_3116
; %bb.3107:
	s_wait_xcnt 0x0
	v_cvt_f32_ubyte0_e32 v4, v2
	s_mov_b32 s1, exec_lo
                                        ; implicit-def: $vgpr3
	s_delay_alu instid0(VALU_DEP_1)
	v_cmpx_gt_u32_e32 0x47800000, v4
	s_xor_b32 s1, exec_lo, s1
	s_cbranch_execz .LBB22_3113
; %bb.3108:
	s_mov_b32 s3, exec_lo
                                        ; implicit-def: $vgpr3
	v_cmpx_lt_u32_e32 0x387fffff, v4
	s_xor_b32 s3, exec_lo, s3
; %bb.3109:
	v_bfe_u32 v3, v4, 21, 1
	s_delay_alu instid0(VALU_DEP_1) | instskip(NEXT) | instid1(VALU_DEP_1)
	v_add3_u32 v3, v4, v3, 0x80fffff
                                        ; implicit-def: $vgpr4
	v_lshrrev_b32_e32 v3, 21, v3
; %bb.3110:
	s_and_not1_saveexec_b32 s3, s3
; %bb.3111:
	v_add_f32_e32 v3, 0x43000000, v4
; %bb.3112:
	s_or_b32 exec_lo, exec_lo, s3
                                        ; implicit-def: $vgpr4
.LBB22_3113:
	s_and_not1_saveexec_b32 s1, s1
; %bb.3114:
	v_mov_b32_e32 v3, 0x7f
	v_cmp_lt_u32_e32 vcc_lo, 0x7f800000, v4
	s_delay_alu instid0(VALU_DEP_2)
	v_cndmask_b32_e32 v3, 0x7c, v3, vcc_lo
; %bb.3115:
	s_or_b32 exec_lo, exec_lo, s1
	global_store_b8 v[0:1], v3, off
.LBB22_3116:
	s_mov_b32 s1, 0
.LBB22_3117:
	s_delay_alu instid0(SALU_CYCLE_1)
	s_and_not1_b32 vcc_lo, exec_lo, s1
	s_mov_b32 s1, 0
	s_cbranch_vccnz .LBB22_3124
; %bb.3118:
	s_cmp_gt_i32 s2, 14
	s_mov_b32 s1, -1
	s_cbranch_scc0 .LBB22_3122
; %bb.3119:
	s_cmp_eq_u32 s2, 15
	s_mov_b32 s0, -1
	s_cbranch_scc0 .LBB22_3121
; %bb.3120:
	s_wait_xcnt 0x0
	v_cvt_f32_ubyte0_e32 v3, v2
	s_mov_b32 s0, 0
	s_delay_alu instid0(VALU_DEP_1) | instskip(NEXT) | instid1(VALU_DEP_1)
	v_bfe_u32 v4, v3, 16, 1
	v_add3_u32 v3, v3, v4, 0x7fff
	global_store_d16_hi_b16 v[0:1], v3, off
.LBB22_3121:
	s_mov_b32 s1, 0
.LBB22_3122:
	s_delay_alu instid0(SALU_CYCLE_1)
	s_and_b32 vcc_lo, exec_lo, s1
	s_mov_b32 s1, 0
	s_cbranch_vccz .LBB22_3124
; %bb.3123:
	s_cmp_lg_u32 s2, 11
	s_mov_b32 s1, -1
	s_cselect_b32 s0, -1, 0
.LBB22_3124:
	s_delay_alu instid0(SALU_CYCLE_1)
	s_and_b32 vcc_lo, exec_lo, s0
	s_cbranch_vccnz .LBB22_3190
.LBB22_3125:
	s_mov_b32 s0, 0
	s_branch .LBB22_3127
.LBB22_3126:
	s_mov_b32 s0, 0
	s_mov_b32 s1, 0
                                        ; implicit-def: $sgpr18
                                        ; implicit-def: $vgpr0_vgpr1
                                        ; implicit-def: $vgpr2
.LBB22_3127:
	s_and_not1_b32 s2, s17, exec_lo
	s_and_b32 s3, s13, exec_lo
	s_and_b32 s0, s0, exec_lo
	;; [unrolled: 1-line block ×3, first 2 shown]
	s_or_b32 s17, s2, s3
.LBB22_3128:
	s_wait_xcnt 0x0
	s_or_b32 exec_lo, exec_lo, s16
	s_and_saveexec_b32 s1, s17
	s_cbranch_execz .LBB22_3131
; %bb.3129:
	; divergent unreachable
	s_or_b32 exec_lo, exec_lo, s1
	s_and_saveexec_b32 s1, s13
	s_delay_alu instid0(SALU_CYCLE_1)
	s_xor_b32 s1, exec_lo, s1
	s_cbranch_execnz .LBB22_3132
.LBB22_3130:
	s_or_b32 exec_lo, exec_lo, s1
	s_and_saveexec_b32 s1, s0
	s_cbranch_execnz .LBB22_3133
	s_branch .LBB22_3170
.LBB22_3131:
	s_or_b32 exec_lo, exec_lo, s1
	s_and_saveexec_b32 s1, s13
	s_delay_alu instid0(SALU_CYCLE_1)
	s_xor_b32 s1, exec_lo, s1
	s_cbranch_execz .LBB22_3130
.LBB22_3132:
	s_wait_loadcnt 0x0
	v_and_b32_e32 v3, 0xff, v2
	s_delay_alu instid0(VALU_DEP_1)
	v_cmp_ne_u16_e32 vcc_lo, 0, v3
	v_cndmask_b32_e64 v3, 0, 1, vcc_lo
	global_store_b8 v[0:1], v3, off
	s_wait_xcnt 0x0
	s_or_b32 exec_lo, exec_lo, s1
	s_and_saveexec_b32 s1, s0
	s_cbranch_execz .LBB22_3170
.LBB22_3133:
	s_sext_i32_i16 s1, s18
	s_mov_b32 s0, -1
	s_cmp_lt_i32 s1, 5
	s_cbranch_scc1 .LBB22_3154
; %bb.3134:
	s_cmp_lt_i32 s1, 8
	s_cbranch_scc1 .LBB22_3144
; %bb.3135:
	;; [unrolled: 3-line block ×3, first 2 shown]
	s_cmp_gt_i32 s1, 9
	s_cbranch_scc0 .LBB22_3138
; %bb.3137:
	s_wait_loadcnt 0x0
	v_and_b32_e32 v3, 0xff, v2
	v_mov_b32_e32 v6, 0
	s_mov_b32 s0, 0
	s_delay_alu instid0(VALU_DEP_2) | instskip(NEXT) | instid1(VALU_DEP_2)
	v_and_b32_e32 v3, 0xffff, v3
	v_mov_b32_e32 v7, v6
	s_delay_alu instid0(VALU_DEP_2)
	v_cvt_f64_u32_e32 v[4:5], v3
	global_store_b128 v[0:1], v[4:7], off
.LBB22_3138:
	s_and_not1_b32 vcc_lo, exec_lo, s0
	s_cbranch_vccnz .LBB22_3140
; %bb.3139:
	s_wait_loadcnt 0x0
	v_cvt_f32_ubyte0_e32 v4, v2
	v_mov_b32_e32 v5, 0
	global_store_b64 v[0:1], v[4:5], off
.LBB22_3140:
	s_mov_b32 s0, 0
.LBB22_3141:
	s_delay_alu instid0(SALU_CYCLE_1)
	s_and_not1_b32 vcc_lo, exec_lo, s0
	s_cbranch_vccnz .LBB22_3143
; %bb.3142:
	s_wait_loadcnt 0x0
	v_and_b32_e32 v3, 0xff, v2
	s_delay_alu instid0(VALU_DEP_1) | instskip(NEXT) | instid1(VALU_DEP_1)
	v_cvt_f16_u16_e32 v3, v3
	v_and_b32_e32 v3, 0xffff, v3
	global_store_b32 v[0:1], v3, off
.LBB22_3143:
	s_mov_b32 s0, 0
.LBB22_3144:
	s_delay_alu instid0(SALU_CYCLE_1)
	s_and_not1_b32 vcc_lo, exec_lo, s0
	s_cbranch_vccnz .LBB22_3153
; %bb.3145:
	s_sext_i32_i16 s1, s18
	s_mov_b32 s0, -1
	s_cmp_lt_i32 s1, 6
	s_cbranch_scc1 .LBB22_3151
; %bb.3146:
	s_cmp_gt_i32 s1, 6
	s_cbranch_scc0 .LBB22_3148
; %bb.3147:
	s_wait_loadcnt 0x0
	v_and_b32_e32 v3, 0xff, v2
	s_mov_b32 s0, 0
	s_delay_alu instid0(VALU_DEP_1) | instskip(NEXT) | instid1(VALU_DEP_1)
	v_and_b32_e32 v3, 0xffff, v3
	v_cvt_f64_u32_e32 v[4:5], v3
	global_store_b64 v[0:1], v[4:5], off
.LBB22_3148:
	s_and_not1_b32 vcc_lo, exec_lo, s0
	s_cbranch_vccnz .LBB22_3150
; %bb.3149:
	s_wait_loadcnt 0x0
	v_cvt_f32_ubyte0_e32 v3, v2
	global_store_b32 v[0:1], v3, off
.LBB22_3150:
	s_mov_b32 s0, 0
.LBB22_3151:
	s_delay_alu instid0(SALU_CYCLE_1)
	s_and_not1_b32 vcc_lo, exec_lo, s0
	s_cbranch_vccnz .LBB22_3153
; %bb.3152:
	s_wait_loadcnt 0x0
	v_and_b32_e32 v3, 0xff, v2
	s_delay_alu instid0(VALU_DEP_1)
	v_cvt_f16_u16_e32 v3, v3
	global_store_b16 v[0:1], v3, off
.LBB22_3153:
	s_mov_b32 s0, 0
.LBB22_3154:
	s_delay_alu instid0(SALU_CYCLE_1)
	s_and_not1_b32 vcc_lo, exec_lo, s0
	s_cbranch_vccnz .LBB22_3170
; %bb.3155:
	s_sext_i32_i16 s1, s18
	s_mov_b32 s0, -1
	s_cmp_lt_i32 s1, 2
	s_cbranch_scc1 .LBB22_3165
; %bb.3156:
	s_cmp_lt_i32 s1, 3
	s_cbranch_scc1 .LBB22_3162
; %bb.3157:
	s_cmp_gt_i32 s1, 3
	s_cbranch_scc0 .LBB22_3159
; %bb.3158:
	s_wait_loadcnt 0x0
	v_and_b32_e32 v4, 0xff, v2
	v_mov_b32_e32 v5, 0
	s_mov_b32 s0, 0
	global_store_b64 v[0:1], v[4:5], off
.LBB22_3159:
	s_and_not1_b32 vcc_lo, exec_lo, s0
	s_cbranch_vccnz .LBB22_3161
; %bb.3160:
	s_wait_loadcnt 0x0
	v_and_b32_e32 v3, 0xff, v2
	global_store_b32 v[0:1], v3, off
.LBB22_3161:
	s_mov_b32 s0, 0
.LBB22_3162:
	s_delay_alu instid0(SALU_CYCLE_1)
	s_and_not1_b32 vcc_lo, exec_lo, s0
	s_cbranch_vccnz .LBB22_3164
; %bb.3163:
	s_wait_loadcnt 0x0
	v_and_b32_e32 v3, 0xff, v2
	global_store_b16 v[0:1], v3, off
.LBB22_3164:
	s_mov_b32 s0, 0
.LBB22_3165:
	s_delay_alu instid0(SALU_CYCLE_1)
	s_and_not1_b32 vcc_lo, exec_lo, s0
	s_cbranch_vccnz .LBB22_3170
; %bb.3166:
	s_sext_i32_i16 s0, s18
	s_delay_alu instid0(SALU_CYCLE_1)
	s_cmp_gt_i32 s0, 0
	s_mov_b32 s0, -1
	s_cbranch_scc0 .LBB22_3168
; %bb.3167:
	s_mov_b32 s0, 0
	s_wait_loadcnt 0x0
	global_store_b8 v[0:1], v2, off
.LBB22_3168:
	s_and_not1_b32 vcc_lo, exec_lo, s0
	s_cbranch_vccnz .LBB22_3170
; %bb.3169:
	s_wait_loadcnt 0x0
	global_store_b8 v[0:1], v2, off
	s_endpgm
.LBB22_3170:
	s_endpgm
.LBB22_3171:
	s_mov_b32 s1, 0
	s_mov_b32 s0, -1
	s_branch .LBB22_3127
.LBB22_3172:
	s_or_b32 s13, s13, exec_lo
	s_trap 2
	s_cbranch_execz .LBB22_2641
	s_branch .LBB22_2642
.LBB22_3173:
	s_and_not1_saveexec_b32 s8, s8
	s_cbranch_execz .LBB22_2721
.LBB22_3174:
	v_add_f32_e32 v3, 0x46000000, v5
	s_and_not1_b32 s7, s7, exec_lo
	s_delay_alu instid0(VALU_DEP_1) | instskip(NEXT) | instid1(VALU_DEP_1)
	v_and_b32_e32 v3, 0xff, v3
	v_cmp_ne_u32_e32 vcc_lo, 0, v3
	s_and_b32 s9, vcc_lo, exec_lo
	s_delay_alu instid0(SALU_CYCLE_1)
	s_or_b32 s7, s7, s9
	s_or_b32 exec_lo, exec_lo, s8
	v_mov_b32_e32 v7, 0
	s_and_saveexec_b32 s8, s7
	s_cbranch_execnz .LBB22_2722
	s_branch .LBB22_2723
.LBB22_3175:
	s_or_b32 s13, s13, exec_lo
	s_trap 2
	s_cbranch_execz .LBB22_2769
	s_branch .LBB22_2770
.LBB22_3176:
	s_and_not1_saveexec_b32 s7, s7
	s_cbranch_execz .LBB22_2734
.LBB22_3177:
	v_add_f32_e32 v3, 0x42800000, v5
	s_and_not1_b32 s5, s5, exec_lo
	s_delay_alu instid0(VALU_DEP_1) | instskip(NEXT) | instid1(VALU_DEP_1)
	v_and_b32_e32 v3, 0xff, v3
	v_cmp_ne_u32_e32 vcc_lo, 0, v3
	s_and_b32 s8, vcc_lo, exec_lo
	s_delay_alu instid0(SALU_CYCLE_1)
	s_or_b32 s5, s5, s8
	s_or_b32 exec_lo, exec_lo, s7
	v_mov_b32_e32 v7, 0
	s_and_saveexec_b32 s7, s5
	s_cbranch_execnz .LBB22_2735
	s_branch .LBB22_2736
.LBB22_3178:
	s_and_not1_saveexec_b32 s9, s9
	s_cbranch_execz .LBB22_2840
.LBB22_3179:
	v_add_f32_e32 v4, 0x46000000, v5
	s_and_not1_b32 s8, s8, exec_lo
	s_delay_alu instid0(VALU_DEP_1) | instskip(NEXT) | instid1(VALU_DEP_1)
	v_and_b32_e32 v4, 0xff, v4
	v_cmp_ne_u32_e32 vcc_lo, 0, v4
	s_and_b32 s10, vcc_lo, exec_lo
	s_delay_alu instid0(SALU_CYCLE_1)
	s_or_b32 s8, s8, s10
	s_or_b32 exec_lo, exec_lo, s9
	v_mov_b32_e32 v6, 0
	s_and_saveexec_b32 s9, s8
	s_cbranch_execnz .LBB22_2841
	s_branch .LBB22_2842
.LBB22_3180:
	s_or_b32 s13, s13, exec_lo
	s_trap 2
	s_cbranch_execz .LBB22_2888
	s_branch .LBB22_2889
.LBB22_3181:
	s_and_not1_saveexec_b32 s8, s8
	s_cbranch_execz .LBB22_2853
.LBB22_3182:
	v_add_f32_e32 v4, 0x42800000, v5
	s_and_not1_b32 s7, s7, exec_lo
	s_delay_alu instid0(VALU_DEP_1) | instskip(NEXT) | instid1(VALU_DEP_1)
	v_and_b32_e32 v4, 0xff, v4
	v_cmp_ne_u32_e32 vcc_lo, 0, v4
	s_and_b32 s9, vcc_lo, exec_lo
	s_delay_alu instid0(SALU_CYCLE_1)
	s_or_b32 s7, s7, s9
	s_or_b32 exec_lo, exec_lo, s8
	v_mov_b32_e32 v6, 0
	s_and_saveexec_b32 s8, s7
	s_cbranch_execnz .LBB22_2854
	s_branch .LBB22_2855
.LBB22_3183:
	s_and_not1_saveexec_b32 s9, s9
	s_cbranch_execz .LBB22_2959
.LBB22_3184:
	v_add_f32_e32 v4, 0x46000000, v5
	s_and_not1_b32 s8, s8, exec_lo
	s_delay_alu instid0(VALU_DEP_1) | instskip(NEXT) | instid1(VALU_DEP_1)
	v_and_b32_e32 v4, 0xff, v4
	v_cmp_ne_u32_e32 vcc_lo, 0, v4
	s_and_b32 s10, vcc_lo, exec_lo
	s_delay_alu instid0(SALU_CYCLE_1)
	s_or_b32 s8, s8, s10
	s_or_b32 exec_lo, exec_lo, s9
	v_mov_b32_e32 v6, 0
	s_and_saveexec_b32 s9, s8
	s_cbranch_execnz .LBB22_2960
	s_branch .LBB22_2961
.LBB22_3185:
	s_or_b32 s13, s13, exec_lo
	s_trap 2
	s_cbranch_execz .LBB22_3007
	s_branch .LBB22_3008
.LBB22_3186:
	s_and_not1_saveexec_b32 s8, s8
	s_cbranch_execz .LBB22_2972
.LBB22_3187:
	v_add_f32_e32 v4, 0x42800000, v5
	s_and_not1_b32 s7, s7, exec_lo
	s_delay_alu instid0(VALU_DEP_1) | instskip(NEXT) | instid1(VALU_DEP_1)
	v_and_b32_e32 v4, 0xff, v4
	v_cmp_ne_u32_e32 vcc_lo, 0, v4
	s_and_b32 s9, vcc_lo, exec_lo
	s_delay_alu instid0(SALU_CYCLE_1)
	s_or_b32 s7, s7, s9
	s_or_b32 exec_lo, exec_lo, s8
	v_mov_b32_e32 v6, 0
	s_and_saveexec_b32 s8, s7
	s_cbranch_execnz .LBB22_2973
	s_branch .LBB22_2974
.LBB22_3188:
	s_and_not1_saveexec_b32 s5, s5
	s_cbranch_execz .LBB22_3079
.LBB22_3189:
	v_add_f32_e32 v3, 0x46000000, v4
	s_and_not1_b32 s4, s4, exec_lo
	s_delay_alu instid0(VALU_DEP_1) | instskip(NEXT) | instid1(VALU_DEP_1)
	v_and_b32_e32 v3, 0xff, v3
	v_cmp_ne_u32_e32 vcc_lo, 0, v3
	s_and_b32 s6, vcc_lo, exec_lo
	s_delay_alu instid0(SALU_CYCLE_1)
	s_or_b32 s4, s4, s6
	s_or_b32 exec_lo, exec_lo, s5
	v_mov_b32_e32 v5, 0
	s_and_saveexec_b32 s5, s4
	s_cbranch_execnz .LBB22_3080
	s_branch .LBB22_3081
.LBB22_3190:
	s_mov_b32 s1, 0
	s_or_b32 s13, s13, exec_lo
	s_trap 2
	s_branch .LBB22_3125
.LBB22_3191:
	s_and_not1_saveexec_b32 s4, s4
	s_cbranch_execz .LBB22_3091
.LBB22_3192:
	v_add_f32_e32 v3, 0x42800000, v4
	s_and_not1_b32 s3, s3, exec_lo
	s_delay_alu instid0(VALU_DEP_1) | instskip(NEXT) | instid1(VALU_DEP_1)
	v_and_b32_e32 v3, 0xff, v3
	v_cmp_ne_u32_e32 vcc_lo, 0, v3
	s_and_b32 s5, vcc_lo, exec_lo
	s_delay_alu instid0(SALU_CYCLE_1)
	s_or_b32 s3, s3, s5
	s_or_b32 exec_lo, exec_lo, s4
	v_mov_b32_e32 v5, 0
	s_and_saveexec_b32 s4, s3
	s_cbranch_execnz .LBB22_3092
	s_branch .LBB22_3093
	.section	.rodata,"a",@progbits
	.p2align	6, 0x0
	.amdhsa_kernel _ZN2at6native32elementwise_kernel_manual_unrollILi128ELi4EZNS0_15gpu_kernel_implIZZZNS0_12_GLOBAL__N_116addr_kernel_cudaERNS_14TensorIteratorERKN3c106ScalarES9_ENKUlvE_clEvENKUlvE_clEvEUlhhhE_EEvRNS_18TensorIteratorBaseERKT_EUlibE_EEviT1_
		.amdhsa_group_segment_fixed_size 0
		.amdhsa_private_segment_fixed_size 0
		.amdhsa_kernarg_size 64
		.amdhsa_user_sgpr_count 2
		.amdhsa_user_sgpr_dispatch_ptr 0
		.amdhsa_user_sgpr_queue_ptr 0
		.amdhsa_user_sgpr_kernarg_segment_ptr 1
		.amdhsa_user_sgpr_dispatch_id 0
		.amdhsa_user_sgpr_kernarg_preload_length 0
		.amdhsa_user_sgpr_kernarg_preload_offset 0
		.amdhsa_user_sgpr_private_segment_size 0
		.amdhsa_wavefront_size32 1
		.amdhsa_uses_dynamic_stack 0
		.amdhsa_enable_private_segment 0
		.amdhsa_system_sgpr_workgroup_id_x 1
		.amdhsa_system_sgpr_workgroup_id_y 0
		.amdhsa_system_sgpr_workgroup_id_z 0
		.amdhsa_system_sgpr_workgroup_info 0
		.amdhsa_system_vgpr_workitem_id 0
		.amdhsa_next_free_vgpr 22
		.amdhsa_next_free_sgpr 39
		.amdhsa_named_barrier_count 0
		.amdhsa_reserve_vcc 1
		.amdhsa_float_round_mode_32 0
		.amdhsa_float_round_mode_16_64 0
		.amdhsa_float_denorm_mode_32 3
		.amdhsa_float_denorm_mode_16_64 3
		.amdhsa_fp16_overflow 0
		.amdhsa_memory_ordered 1
		.amdhsa_forward_progress 1
		.amdhsa_inst_pref_size 255
		.amdhsa_round_robin_scheduling 0
		.amdhsa_exception_fp_ieee_invalid_op 0
		.amdhsa_exception_fp_denorm_src 0
		.amdhsa_exception_fp_ieee_div_zero 0
		.amdhsa_exception_fp_ieee_overflow 0
		.amdhsa_exception_fp_ieee_underflow 0
		.amdhsa_exception_fp_ieee_inexact 0
		.amdhsa_exception_int_div_zero 0
	.end_amdhsa_kernel
	.section	.text._ZN2at6native32elementwise_kernel_manual_unrollILi128ELi4EZNS0_15gpu_kernel_implIZZZNS0_12_GLOBAL__N_116addr_kernel_cudaERNS_14TensorIteratorERKN3c106ScalarES9_ENKUlvE_clEvENKUlvE_clEvEUlhhhE_EEvRNS_18TensorIteratorBaseERKT_EUlibE_EEviT1_,"axG",@progbits,_ZN2at6native32elementwise_kernel_manual_unrollILi128ELi4EZNS0_15gpu_kernel_implIZZZNS0_12_GLOBAL__N_116addr_kernel_cudaERNS_14TensorIteratorERKN3c106ScalarES9_ENKUlvE_clEvENKUlvE_clEvEUlhhhE_EEvRNS_18TensorIteratorBaseERKT_EUlibE_EEviT1_,comdat
.Lfunc_end22:
	.size	_ZN2at6native32elementwise_kernel_manual_unrollILi128ELi4EZNS0_15gpu_kernel_implIZZZNS0_12_GLOBAL__N_116addr_kernel_cudaERNS_14TensorIteratorERKN3c106ScalarES9_ENKUlvE_clEvENKUlvE_clEvEUlhhhE_EEvRNS_18TensorIteratorBaseERKT_EUlibE_EEviT1_, .Lfunc_end22-_ZN2at6native32elementwise_kernel_manual_unrollILi128ELi4EZNS0_15gpu_kernel_implIZZZNS0_12_GLOBAL__N_116addr_kernel_cudaERNS_14TensorIteratorERKN3c106ScalarES9_ENKUlvE_clEvENKUlvE_clEvEUlhhhE_EEvRNS_18TensorIteratorBaseERKT_EUlibE_EEviT1_
                                        ; -- End function
	.set _ZN2at6native32elementwise_kernel_manual_unrollILi128ELi4EZNS0_15gpu_kernel_implIZZZNS0_12_GLOBAL__N_116addr_kernel_cudaERNS_14TensorIteratorERKN3c106ScalarES9_ENKUlvE_clEvENKUlvE_clEvEUlhhhE_EEvRNS_18TensorIteratorBaseERKT_EUlibE_EEviT1_.num_vgpr, 22
	.set _ZN2at6native32elementwise_kernel_manual_unrollILi128ELi4EZNS0_15gpu_kernel_implIZZZNS0_12_GLOBAL__N_116addr_kernel_cudaERNS_14TensorIteratorERKN3c106ScalarES9_ENKUlvE_clEvENKUlvE_clEvEUlhhhE_EEvRNS_18TensorIteratorBaseERKT_EUlibE_EEviT1_.num_agpr, 0
	.set _ZN2at6native32elementwise_kernel_manual_unrollILi128ELi4EZNS0_15gpu_kernel_implIZZZNS0_12_GLOBAL__N_116addr_kernel_cudaERNS_14TensorIteratorERKN3c106ScalarES9_ENKUlvE_clEvENKUlvE_clEvEUlhhhE_EEvRNS_18TensorIteratorBaseERKT_EUlibE_EEviT1_.numbered_sgpr, 39
	.set _ZN2at6native32elementwise_kernel_manual_unrollILi128ELi4EZNS0_15gpu_kernel_implIZZZNS0_12_GLOBAL__N_116addr_kernel_cudaERNS_14TensorIteratorERKN3c106ScalarES9_ENKUlvE_clEvENKUlvE_clEvEUlhhhE_EEvRNS_18TensorIteratorBaseERKT_EUlibE_EEviT1_.num_named_barrier, 0
	.set _ZN2at6native32elementwise_kernel_manual_unrollILi128ELi4EZNS0_15gpu_kernel_implIZZZNS0_12_GLOBAL__N_116addr_kernel_cudaERNS_14TensorIteratorERKN3c106ScalarES9_ENKUlvE_clEvENKUlvE_clEvEUlhhhE_EEvRNS_18TensorIteratorBaseERKT_EUlibE_EEviT1_.private_seg_size, 0
	.set _ZN2at6native32elementwise_kernel_manual_unrollILi128ELi4EZNS0_15gpu_kernel_implIZZZNS0_12_GLOBAL__N_116addr_kernel_cudaERNS_14TensorIteratorERKN3c106ScalarES9_ENKUlvE_clEvENKUlvE_clEvEUlhhhE_EEvRNS_18TensorIteratorBaseERKT_EUlibE_EEviT1_.uses_vcc, 1
	.set _ZN2at6native32elementwise_kernel_manual_unrollILi128ELi4EZNS0_15gpu_kernel_implIZZZNS0_12_GLOBAL__N_116addr_kernel_cudaERNS_14TensorIteratorERKN3c106ScalarES9_ENKUlvE_clEvENKUlvE_clEvEUlhhhE_EEvRNS_18TensorIteratorBaseERKT_EUlibE_EEviT1_.uses_flat_scratch, 0
	.set _ZN2at6native32elementwise_kernel_manual_unrollILi128ELi4EZNS0_15gpu_kernel_implIZZZNS0_12_GLOBAL__N_116addr_kernel_cudaERNS_14TensorIteratorERKN3c106ScalarES9_ENKUlvE_clEvENKUlvE_clEvEUlhhhE_EEvRNS_18TensorIteratorBaseERKT_EUlibE_EEviT1_.has_dyn_sized_stack, 0
	.set _ZN2at6native32elementwise_kernel_manual_unrollILi128ELi4EZNS0_15gpu_kernel_implIZZZNS0_12_GLOBAL__N_116addr_kernel_cudaERNS_14TensorIteratorERKN3c106ScalarES9_ENKUlvE_clEvENKUlvE_clEvEUlhhhE_EEvRNS_18TensorIteratorBaseERKT_EUlibE_EEviT1_.has_recursion, 0
	.set _ZN2at6native32elementwise_kernel_manual_unrollILi128ELi4EZNS0_15gpu_kernel_implIZZZNS0_12_GLOBAL__N_116addr_kernel_cudaERNS_14TensorIteratorERKN3c106ScalarES9_ENKUlvE_clEvENKUlvE_clEvEUlhhhE_EEvRNS_18TensorIteratorBaseERKT_EUlibE_EEviT1_.has_indirect_call, 0
	.section	.AMDGPU.csdata,"",@progbits
; Kernel info:
; codeLenInByte = 63736
; TotalNumSgprs: 41
; NumVgprs: 22
; ScratchSize: 0
; MemoryBound: 1
; FloatMode: 240
; IeeeMode: 1
; LDSByteSize: 0 bytes/workgroup (compile time only)
; SGPRBlocks: 0
; VGPRBlocks: 1
; NumSGPRsForWavesPerEU: 41
; NumVGPRsForWavesPerEU: 22
; NamedBarCnt: 0
; Occupancy: 16
; WaveLimiterHint : 0
; COMPUTE_PGM_RSRC2:SCRATCH_EN: 0
; COMPUTE_PGM_RSRC2:USER_SGPR: 2
; COMPUTE_PGM_RSRC2:TRAP_HANDLER: 0
; COMPUTE_PGM_RSRC2:TGID_X_EN: 1
; COMPUTE_PGM_RSRC2:TGID_Y_EN: 0
; COMPUTE_PGM_RSRC2:TGID_Z_EN: 0
; COMPUTE_PGM_RSRC2:TIDIG_COMP_CNT: 0
	.section	.text._ZN2at6native32elementwise_kernel_manual_unrollILi128ELi4EZNS0_15gpu_kernel_implIZZZNS0_12_GLOBAL__N_116addr_kernel_cudaERNS_14TensorIteratorERKN3c106ScalarES9_ENKUlvE_clEvENKUlvE_clEvEUlhhhE_EEvRNS_18TensorIteratorBaseERKT_EUlibE0_EEviT1_,"axG",@progbits,_ZN2at6native32elementwise_kernel_manual_unrollILi128ELi4EZNS0_15gpu_kernel_implIZZZNS0_12_GLOBAL__N_116addr_kernel_cudaERNS_14TensorIteratorERKN3c106ScalarES9_ENKUlvE_clEvENKUlvE_clEvEUlhhhE_EEvRNS_18TensorIteratorBaseERKT_EUlibE0_EEviT1_,comdat
	.globl	_ZN2at6native32elementwise_kernel_manual_unrollILi128ELi4EZNS0_15gpu_kernel_implIZZZNS0_12_GLOBAL__N_116addr_kernel_cudaERNS_14TensorIteratorERKN3c106ScalarES9_ENKUlvE_clEvENKUlvE_clEvEUlhhhE_EEvRNS_18TensorIteratorBaseERKT_EUlibE0_EEviT1_ ; -- Begin function _ZN2at6native32elementwise_kernel_manual_unrollILi128ELi4EZNS0_15gpu_kernel_implIZZZNS0_12_GLOBAL__N_116addr_kernel_cudaERNS_14TensorIteratorERKN3c106ScalarES9_ENKUlvE_clEvENKUlvE_clEvEUlhhhE_EEvRNS_18TensorIteratorBaseERKT_EUlibE0_EEviT1_
	.p2align	8
	.type	_ZN2at6native32elementwise_kernel_manual_unrollILi128ELi4EZNS0_15gpu_kernel_implIZZZNS0_12_GLOBAL__N_116addr_kernel_cudaERNS_14TensorIteratorERKN3c106ScalarES9_ENKUlvE_clEvENKUlvE_clEvEUlhhhE_EEvRNS_18TensorIteratorBaseERKT_EUlibE0_EEviT1_,@function
_ZN2at6native32elementwise_kernel_manual_unrollILi128ELi4EZNS0_15gpu_kernel_implIZZZNS0_12_GLOBAL__N_116addr_kernel_cudaERNS_14TensorIteratorERKN3c106ScalarES9_ENKUlvE_clEvENKUlvE_clEvEUlhhhE_EEvRNS_18TensorIteratorBaseERKT_EUlibE0_EEviT1_: ; @_ZN2at6native32elementwise_kernel_manual_unrollILi128ELi4EZNS0_15gpu_kernel_implIZZZNS0_12_GLOBAL__N_116addr_kernel_cudaERNS_14TensorIteratorERKN3c106ScalarES9_ENKUlvE_clEvENKUlvE_clEvEUlhhhE_EEvRNS_18TensorIteratorBaseERKT_EUlibE0_EEviT1_
; %bb.0:
	s_clause 0x1
	s_load_b32 s15, s[0:1], 0x8
	s_load_b32 s41, s[0:1], 0x0
	s_bfe_u32 s2, ttmp6, 0x4000c
	s_and_b32 s3, ttmp6, 15
	s_add_co_i32 s2, s2, 1
	s_getreg_b32 s4, hwreg(HW_REG_IB_STS2, 6, 4)
	s_mul_i32 s2, ttmp9, s2
	s_mov_b32 s34, 0
	s_add_co_i32 s3, s3, s2
	s_cmp_eq_u32 s4, 0
	s_mov_b32 s28, -1
	s_cselect_b32 s2, ttmp9, s3
	s_mov_b32 s6, 0
	v_lshl_or_b32 v0, s2, 9, v0
	s_add_nc_u64 s[2:3], s[0:1], 8
	s_wait_xcnt 0x0
	s_mov_b32 s0, exec_lo
	s_delay_alu instid0(VALU_DEP_1) | instskip(SKIP_2) | instid1(SALU_CYCLE_1)
	v_or_b32_e32 v5, 0x180, v0
	s_wait_kmcnt 0x0
	s_add_co_i32 s33, s15, -1
	s_cmp_gt_u32 s33, 1
	s_cselect_b32 s35, -1, 0
	v_cmpx_le_i32_e64 s41, v5
	s_xor_b32 s36, exec_lo, s0
	s_cbranch_execz .LBB23_1638
; %bb.1:
	s_clause 0x7
	s_load_b128 s[8:11], s[2:3], 0x4
	s_load_b64 s[0:1], s[2:3], 0x14
	s_load_b64 s[16:17], s[2:3], 0x1e8
	s_load_b32 s38, s[2:3], 0xc4
	s_load_b96 s[12:14], s[2:3], 0xcc
	s_load_b64 s[24:25], s[2:3], 0xdc
	s_load_b64 s[18:19], s[2:3], 0x1c8
	s_load_b128 s[4:7], s[2:3], 0x1d8
	s_cmp_lg_u32 s15, 0
	s_mov_b32 s23, 0
	s_cselect_b32 s42, -1, 0
	s_min_u32 s40, s33, 15
	s_cmp_gt_u32 s15, 1
	s_mov_b32 s27, s23
	s_cselect_b32 s39, -1, 0
	s_mov_b32 s45, s23
	s_mov_b32 s44, s23
	;; [unrolled: 1-line block ×3, first 2 shown]
	s_mov_b32 s46, exec_lo
	s_wait_kmcnt 0x0
	s_mov_b32 s22, s9
	s_mov_b32 s26, s0
	s_lshr_b64 s[20:21], s[16:17], 24
	s_lshr_b32 s9, s16, 8
	s_lshr_b32 s37, s16, 16
	s_mov_b32 s21, s23
	v_cmpx_gt_i32_e64 s41, v0
	s_cbranch_execz .LBB23_405
; %bb.2:
	s_and_not1_b32 vcc_lo, exec_lo, s35
	s_cbranch_vccnz .LBB23_8
; %bb.3:
	s_and_not1_b32 vcc_lo, exec_lo, s42
	s_cbranch_vccnz .LBB23_9
; %bb.4:
	v_dual_mov_b32 v2, 0 :: v_dual_mov_b32 v1, v0
	v_dual_mov_b32 v4, 0 :: v_dual_mov_b32 v6, 0
	s_add_co_i32 s0, s40, 1
	s_mov_b64 s[28:29], 0xffffffffffffffe0
	s_and_b32 s0, s0, 30
	s_add_nc_u64 s[28:29], s[2:3], s[28:29]
	s_mov_b64 s[30:31], s[2:3]
.LBB23_5:                               ; =>This Inner Loop Header: Depth=1
	s_clause 0x1
	s_load_b128 s[48:51], s[30:31], 0x4
	s_load_b64 s[44:45], s[30:31], 0x14
	s_load_b32 s21, s[28:29], 0xe4
	s_add_co_i32 s0, s0, -2
	s_wait_xcnt 0x0
	s_add_nc_u64 s[30:31], s[30:31], 24
	s_cmp_lg_u32 s0, 0
	s_wait_kmcnt 0x0
	v_mul_hi_u32 v3, s49, v1
	s_delay_alu instid0(VALU_DEP_1) | instskip(NEXT) | instid1(VALU_DEP_1)
	v_add_nc_u32_e32 v3, v1, v3
	v_lshrrev_b32_e32 v3, s50, v3
	s_delay_alu instid0(VALU_DEP_1) | instskip(SKIP_2) | instid1(VALU_DEP_1)
	v_mul_hi_u32 v5, s44, v3
	v_mul_lo_u32 v7, v3, s48
	s_load_b96 s[48:50], s[28:29], 0xec
	v_dual_add_nc_u32 v5, v3, v5 :: v_dual_sub_nc_u32 v7, v1, v7
	s_delay_alu instid0(VALU_DEP_1) | instskip(SKIP_1) | instid1(VALU_DEP_2)
	v_lshrrev_b32_e32 v1, s45, v5
	s_load_b64 s[44:45], s[28:29], 0xfc
	v_mad_u32 v2, v7, s21, v2
	s_wait_xcnt 0x0
	s_add_nc_u64 s[28:29], s[28:29], 32
	v_mul_lo_u32 v5, v1, s51
	s_wait_kmcnt 0x0
	v_mad_u32 v6, v7, s49, v6
	v_mad_u32 v4, v7, s48, v4
	s_delay_alu instid0(VALU_DEP_3) | instskip(NEXT) | instid1(VALU_DEP_1)
	v_sub_nc_u32_e32 v3, v3, v5
	v_mad_u32 v2, v3, s50, v2
	s_delay_alu instid0(VALU_DEP_4) | instskip(NEXT) | instid1(VALU_DEP_4)
	v_mad_u32 v6, v3, s45, v6
	v_mad_u32 v4, v3, s44, v4
	s_cbranch_scc1 .LBB23_5
; %bb.6:
	s_bitcmp1_b32 s40, 0
	s_cselect_b32 s0, -1, 0
	s_delay_alu instid0(SALU_CYCLE_1)
	s_and_b32 vcc_lo, exec_lo, s0
	s_cbranch_vccnz .LBB23_10
; %bb.7:
	s_load_b96 s[48:50], s[30:31], 0x4
	s_load_b32 s0, s[28:29], 0xe4
	s_wait_xcnt 0x0
	s_load_b64 s[30:31], s[28:29], 0xec
	s_wait_kmcnt 0x0
	v_mul_hi_u32 v3, s49, v1
	s_delay_alu instid0(VALU_DEP_1) | instskip(NEXT) | instid1(VALU_DEP_1)
	v_add_nc_u32_e32 v3, v1, v3
	v_lshrrev_b32_e32 v3, s50, v3
	s_delay_alu instid0(VALU_DEP_1) | instskip(NEXT) | instid1(VALU_DEP_1)
	v_mul_lo_u32 v3, v3, s48
	v_sub_nc_u32_e32 v1, v1, v3
	s_delay_alu instid0(VALU_DEP_1)
	v_mad_u32 v2, v1, s0, v2
	v_mad_u32 v4, v1, s30, v4
	;; [unrolled: 1-line block ×3, first 2 shown]
	s_cbranch_execz .LBB23_11
	s_branch .LBB23_13
.LBB23_8:
                                        ; implicit-def: $vgpr6
                                        ; implicit-def: $vgpr4
                                        ; implicit-def: $vgpr2
	s_branch .LBB23_11
.LBB23_9:
	v_dual_mov_b32 v6, 0 :: v_dual_mov_b32 v4, 0
	v_mov_b32_e32 v2, 0
.LBB23_10:
	s_cbranch_execnz .LBB23_13
.LBB23_11:
	v_mov_b32_e32 v1, 0
	s_and_not1_b32 vcc_lo, exec_lo, s39
	s_delay_alu instid0(VALU_DEP_1) | instskip(NEXT) | instid1(VALU_DEP_1)
	v_mul_u64_e32 v[2:3], s[22:23], v[0:1]
	v_add_nc_u32_e32 v2, v0, v3
	s_delay_alu instid0(VALU_DEP_1) | instskip(NEXT) | instid1(VALU_DEP_1)
	v_lshrrev_b32_e32 v8, s10, v2
	v_mul_lo_u32 v2, v8, s8
	s_delay_alu instid0(VALU_DEP_1) | instskip(NEXT) | instid1(VALU_DEP_1)
	v_sub_nc_u32_e32 v3, v0, v2
	v_mul_lo_u32 v2, v3, s38
	v_mul_lo_u32 v6, v3, s13
	;; [unrolled: 1-line block ×3, first 2 shown]
	s_cbranch_vccnz .LBB23_13
; %bb.12:
	v_mov_b32_e32 v9, v1
	s_delay_alu instid0(VALU_DEP_1) | instskip(NEXT) | instid1(VALU_DEP_1)
	v_mul_u64_e32 v[10:11], s[26:27], v[8:9]
	v_add_nc_u32_e32 v1, v8, v11
	s_delay_alu instid0(VALU_DEP_1) | instskip(NEXT) | instid1(VALU_DEP_1)
	v_lshrrev_b32_e32 v1, s1, v1
	v_mul_lo_u32 v1, v1, s11
	s_delay_alu instid0(VALU_DEP_1) | instskip(NEXT) | instid1(VALU_DEP_1)
	v_sub_nc_u32_e32 v1, v8, v1
	v_mad_u32 v2, v1, s14, v2
	v_mad_u32 v4, v1, s24, v4
	;; [unrolled: 1-line block ×3, first 2 shown]
.LBB23_13:
	s_and_b32 s21, s37, 0xff
	s_delay_alu instid0(SALU_CYCLE_1)
	s_cmp_lt_i32 s21, 23
	s_cbranch_scc1 .LBB23_17
; %bb.14:
	s_and_b32 s28, 0xffff, s21
	s_delay_alu instid0(SALU_CYCLE_1)
	s_cmp_gt_i32 s28, 43
	s_cbranch_scc0 .LBB23_18
; %bb.15:
	s_cmp_gt_i32 s28, 45
	s_cbranch_scc0 .LBB23_19
; %bb.16:
	s_cmp_eq_u32 s28, 46
	s_mov_b32 s30, 0
	s_mov_b32 s29, -1
	s_cselect_b32 s0, -1, 0
	s_branch .LBB23_20
.LBB23_17:
	s_mov_b32 s29, 0
	s_mov_b32 s0, 0
	s_cbranch_execnz .LBB23_25
	s_branch .LBB23_29
.LBB23_18:
	s_mov_b32 s29, 0
	s_mov_b32 s0, 0
	s_cbranch_execnz .LBB23_23
	s_branch .LBB23_24
.LBB23_19:
	s_mov_b32 s30, -1
	s_mov_b32 s29, 0
	s_mov_b32 s0, 0
.LBB23_20:
	s_and_not1_b32 vcc_lo, exec_lo, s30
	s_cbranch_vccnz .LBB23_22
; %bb.21:
	s_cmp_eq_u32 s28, 44
	s_cselect_b32 s0, -1, 0
	s_cmp_lg_u32 s28, 44
	s_cselect_b32 s29, -1, 0
.LBB23_22:
	s_branch .LBB23_24
.LBB23_23:
	s_cmp_lt_i32 s28, 30
	s_cselect_b32 s0, -1, 0
	s_cmp_gt_i32 s28, 29
	s_cselect_b32 s29, -1, 0
.LBB23_24:
	s_branch .LBB23_29
.LBB23_25:
	s_and_b32 s21, 0xffff, s21
	s_mov_b32 s28, -1
	s_cmp_gt_i32 s21, 14
	s_cbranch_scc0 .LBB23_27
; %bb.26:
	s_cmp_eq_u32 s21, 15
	s_mov_b32 s28, 0
	s_cselect_b32 s0, -1, 0
	s_cmp_lg_u32 s21, 15
	s_cselect_b32 s29, -1, 0
.LBB23_27:
	s_and_not1_b32 vcc_lo, exec_lo, s28
	s_cbranch_vccnz .LBB23_29
; %bb.28:
	s_cmp_lt_i32 s21, 12
	s_cselect_b32 s0, -1, 0
	s_cmp_gt_i32 s21, 11
	s_cselect_b32 s29, -1, 0
.LBB23_29:
	s_and_b32 vcc_lo, exec_lo, s0
	s_cbranch_vccz .LBB23_37
; %bb.30:
	v_mov_b32_e32 v5, 0
	s_and_b32 s0, s20, 0xff
	s_delay_alu instid0(SALU_CYCLE_1) | instskip(NEXT) | instid1(VALU_DEP_1)
	s_cmp_lt_i32 s0, 11
	v_add_nc_u64_e32 v[8:9], s[4:5], v[4:5]
	s_cbranch_scc1 .LBB23_39
; %bb.31:
	s_and_b32 s21, 0xffff, s0
	s_delay_alu instid0(SALU_CYCLE_1)
	s_cmp_gt_i32 s21, 25
	s_cbranch_scc0 .LBB23_40
; %bb.32:
	s_cmp_gt_i32 s21, 28
	s_cbranch_scc0 .LBB23_41
; %bb.33:
	;; [unrolled: 3-line block ×4, first 2 shown]
	s_cmp_eq_u32 s21, 46
	s_mov_b32 s29, 0
	s_cbranch_scc0 .LBB23_44
; %bb.36:
	global_load_b32 v1, v[8:9], off
	s_mov_b32 s30, -1
	s_mov_b32 s28, 0
	s_wait_loadcnt 0x0
	v_lshlrev_b32_e32 v1, 16, v1
	s_delay_alu instid0(VALU_DEP_1) | instskip(NEXT) | instid1(VALU_DEP_1)
	v_trunc_f32_e32 v1, v1
	v_mul_f32_e64 v3, 0x2f800000, |v1|
	s_delay_alu instid0(VALU_DEP_1) | instskip(NEXT) | instid1(VALU_DEP_1)
	v_floor_f32_e32 v3, v3
	v_fma_f32 v3, 0xcf800000, v3, |v1|
	v_ashrrev_i32_e32 v1, 31, v1
	s_delay_alu instid0(VALU_DEP_2) | instskip(NEXT) | instid1(VALU_DEP_1)
	v_cvt_u32_f32_e32 v3, v3
	v_xor_b32_e32 v3, v3, v1
	s_delay_alu instid0(VALU_DEP_1)
	v_sub_nc_u32_e32 v4, v3, v1
	s_branch .LBB23_46
.LBB23_37:
	s_mov_b32 s0, 0
	s_mov_b32 s30, 0
	;; [unrolled: 1-line block ×3, first 2 shown]
.LBB23_38:
	s_mov_b32 s31, 0
                                        ; implicit-def: $vgpr0
	s_branch .LBB23_404
.LBB23_39:
	s_mov_b32 s28, 0
	s_mov_b32 s30, 0
                                        ; implicit-def: $vgpr4
	s_cbranch_execnz .LBB23_107
	s_branch .LBB23_155
.LBB23_40:
	s_mov_b32 s29, -1
	s_mov_b32 s28, 0
	s_mov_b32 s30, 0
                                        ; implicit-def: $vgpr4
	s_branch .LBB23_73
.LBB23_41:
	s_mov_b32 s29, -1
	s_mov_b32 s28, 0
	s_mov_b32 s30, 0
                                        ; implicit-def: $vgpr4
	s_branch .LBB23_56
.LBB23_42:
	s_mov_b32 s29, -1
	s_mov_b32 s28, 0
	s_mov_b32 s30, 0
                                        ; implicit-def: $vgpr4
	s_branch .LBB23_51
.LBB23_43:
	s_mov_b32 s29, -1
	s_mov_b32 s28, 0
	s_branch .LBB23_45
.LBB23_44:
	s_mov_b32 s28, -1
.LBB23_45:
	s_mov_b32 s30, 0
                                        ; implicit-def: $vgpr4
.LBB23_46:
	s_and_b32 vcc_lo, exec_lo, s29
	s_cbranch_vccz .LBB23_50
; %bb.47:
	s_cmp_eq_u32 s21, 44
	s_cbranch_scc0 .LBB23_49
; %bb.48:
	global_load_u8 v1, v[8:9], off
	s_mov_b32 s28, 0
	s_mov_b32 s30, -1
	s_wait_loadcnt 0x0
	v_lshlrev_b32_e32 v3, 23, v1
	v_cmp_ne_u32_e32 vcc_lo, 0, v1
	s_delay_alu instid0(VALU_DEP_2) | instskip(NEXT) | instid1(VALU_DEP_1)
	v_trunc_f32_e32 v3, v3
	v_mul_f32_e64 v4, 0x2f800000, |v3|
	s_delay_alu instid0(VALU_DEP_1) | instskip(NEXT) | instid1(VALU_DEP_1)
	v_floor_f32_e32 v4, v4
	v_fma_f32 v4, 0xcf800000, v4, |v3|
	v_ashrrev_i32_e32 v3, 31, v3
	s_delay_alu instid0(VALU_DEP_2) | instskip(NEXT) | instid1(VALU_DEP_1)
	v_cvt_u32_f32_e32 v4, v4
	v_xor_b32_e32 v4, v4, v3
	s_delay_alu instid0(VALU_DEP_1) | instskip(NEXT) | instid1(VALU_DEP_1)
	v_sub_nc_u32_e32 v3, v4, v3
	v_cndmask_b32_e32 v4, 0, v3, vcc_lo
	s_branch .LBB23_50
.LBB23_49:
	s_mov_b32 s28, -1
                                        ; implicit-def: $vgpr4
.LBB23_50:
	s_mov_b32 s29, 0
.LBB23_51:
	s_delay_alu instid0(SALU_CYCLE_1)
	s_and_b32 vcc_lo, exec_lo, s29
	s_cbranch_vccz .LBB23_55
; %bb.52:
	s_cmp_eq_u32 s21, 29
	s_cbranch_scc0 .LBB23_54
; %bb.53:
	global_load_b64 v[4:5], v[8:9], off
	s_mov_b32 s30, -1
	s_mov_b32 s28, 0
	s_branch .LBB23_55
.LBB23_54:
	s_mov_b32 s28, -1
                                        ; implicit-def: $vgpr4
.LBB23_55:
	s_mov_b32 s29, 0
.LBB23_56:
	s_delay_alu instid0(SALU_CYCLE_1)
	s_and_b32 vcc_lo, exec_lo, s29
	s_cbranch_vccz .LBB23_72
; %bb.57:
	s_cmp_lt_i32 s21, 27
	s_cbranch_scc1 .LBB23_60
; %bb.58:
	s_cmp_gt_i32 s21, 27
	s_cbranch_scc0 .LBB23_61
; %bb.59:
	s_wait_loadcnt 0x0
	global_load_b32 v4, v[8:9], off
	s_mov_b32 s29, 0
	s_branch .LBB23_62
.LBB23_60:
	s_mov_b32 s29, -1
                                        ; implicit-def: $vgpr4
	s_branch .LBB23_65
.LBB23_61:
	s_mov_b32 s29, -1
                                        ; implicit-def: $vgpr4
.LBB23_62:
	s_delay_alu instid0(SALU_CYCLE_1)
	s_and_not1_b32 vcc_lo, exec_lo, s29
	s_cbranch_vccnz .LBB23_64
; %bb.63:
	s_wait_loadcnt 0x0
	global_load_u16 v4, v[8:9], off
.LBB23_64:
	s_mov_b32 s29, 0
.LBB23_65:
	s_delay_alu instid0(SALU_CYCLE_1)
	s_and_not1_b32 vcc_lo, exec_lo, s29
	s_cbranch_vccnz .LBB23_71
; %bb.66:
	global_load_u8 v1, v[8:9], off
	s_mov_b32 s30, 0
	s_mov_b32 s29, exec_lo
	s_wait_loadcnt 0x0
	v_cmpx_lt_i16_e32 0x7f, v1
	s_xor_b32 s29, exec_lo, s29
	s_cbranch_execz .LBB23_83
; %bb.67:
	v_cmp_ne_u16_e32 vcc_lo, 0x80, v1
	s_and_b32 s30, vcc_lo, exec_lo
	s_and_not1_saveexec_b32 s29, s29
	s_cbranch_execnz .LBB23_84
.LBB23_68:
	s_or_b32 exec_lo, exec_lo, s29
	v_mov_b32_e32 v4, 0
	s_and_saveexec_b32 s29, s30
	s_cbranch_execz .LBB23_70
.LBB23_69:
	v_and_b32_e32 v3, 0xffff, v1
	s_delay_alu instid0(VALU_DEP_1) | instskip(SKIP_1) | instid1(VALU_DEP_2)
	v_and_b32_e32 v4, 7, v3
	v_bfe_u32 v10, v3, 3, 4
	v_clz_i32_u32_e32 v5, v4
	s_delay_alu instid0(VALU_DEP_2) | instskip(NEXT) | instid1(VALU_DEP_2)
	v_cmp_eq_u32_e32 vcc_lo, 0, v10
	v_min_u32_e32 v5, 32, v5
	s_delay_alu instid0(VALU_DEP_1) | instskip(NEXT) | instid1(VALU_DEP_1)
	v_subrev_nc_u32_e32 v7, 28, v5
	v_dual_lshlrev_b32 v3, v7, v3 :: v_dual_sub_nc_u32 v5, 29, v5
	s_delay_alu instid0(VALU_DEP_1) | instskip(NEXT) | instid1(VALU_DEP_1)
	v_dual_lshlrev_b32 v1, 24, v1 :: v_dual_bitop2_b32 v3, 7, v3 bitop3:0x40
	v_dual_cndmask_b32 v3, v4, v3, vcc_lo :: v_dual_cndmask_b32 v5, v10, v5, vcc_lo
	s_delay_alu instid0(VALU_DEP_2) | instskip(NEXT) | instid1(VALU_DEP_2)
	v_and_b32_e32 v1, 0x80000000, v1
	v_lshlrev_b32_e32 v3, 20, v3
	s_delay_alu instid0(VALU_DEP_3) | instskip(NEXT) | instid1(VALU_DEP_1)
	v_lshl_add_u32 v4, v5, 23, 0x3b800000
	v_or3_b32 v1, v1, v4, v3
	s_delay_alu instid0(VALU_DEP_1) | instskip(NEXT) | instid1(VALU_DEP_1)
	v_trunc_f32_e32 v1, v1
	v_mul_f32_e64 v3, 0x2f800000, |v1|
	s_delay_alu instid0(VALU_DEP_1) | instskip(NEXT) | instid1(VALU_DEP_1)
	v_floor_f32_e32 v3, v3
	v_fma_f32 v3, 0xcf800000, v3, |v1|
	v_ashrrev_i32_e32 v1, 31, v1
	s_delay_alu instid0(VALU_DEP_2) | instskip(NEXT) | instid1(VALU_DEP_1)
	v_cvt_u32_f32_e32 v3, v3
	v_xor_b32_e32 v3, v3, v1
	s_delay_alu instid0(VALU_DEP_1)
	v_sub_nc_u32_e32 v4, v3, v1
.LBB23_70:
	s_or_b32 exec_lo, exec_lo, s29
.LBB23_71:
	s_mov_b32 s30, -1
.LBB23_72:
	s_mov_b32 s29, 0
.LBB23_73:
	s_delay_alu instid0(SALU_CYCLE_1)
	s_and_b32 vcc_lo, exec_lo, s29
	s_cbranch_vccz .LBB23_106
; %bb.74:
	s_cmp_gt_i32 s21, 22
	s_cbranch_scc0 .LBB23_82
; %bb.75:
	s_cmp_lt_i32 s21, 24
	s_cbranch_scc1 .LBB23_85
; %bb.76:
	s_cmp_gt_i32 s21, 24
	s_cbranch_scc0 .LBB23_86
; %bb.77:
	global_load_u8 v1, v[8:9], off
	s_mov_b32 s30, 0
	s_mov_b32 s29, exec_lo
	s_wait_loadcnt 0x0
	v_cmpx_lt_i16_e32 0x7f, v1
	s_xor_b32 s29, exec_lo, s29
	s_cbranch_execz .LBB23_98
; %bb.78:
	v_cmp_ne_u16_e32 vcc_lo, 0x80, v1
	s_and_b32 s30, vcc_lo, exec_lo
	s_and_not1_saveexec_b32 s29, s29
	s_cbranch_execnz .LBB23_99
.LBB23_79:
	s_or_b32 exec_lo, exec_lo, s29
	v_mov_b32_e32 v4, 0
	s_and_saveexec_b32 s29, s30
	s_cbranch_execz .LBB23_81
.LBB23_80:
	v_and_b32_e32 v3, 0xffff, v1
	s_delay_alu instid0(VALU_DEP_1) | instskip(SKIP_1) | instid1(VALU_DEP_2)
	v_and_b32_e32 v4, 3, v3
	v_bfe_u32 v10, v3, 2, 5
	v_clz_i32_u32_e32 v5, v4
	s_delay_alu instid0(VALU_DEP_2) | instskip(NEXT) | instid1(VALU_DEP_2)
	v_cmp_eq_u32_e32 vcc_lo, 0, v10
	v_min_u32_e32 v5, 32, v5
	s_delay_alu instid0(VALU_DEP_1) | instskip(NEXT) | instid1(VALU_DEP_1)
	v_subrev_nc_u32_e32 v7, 29, v5
	v_dual_lshlrev_b32 v3, v7, v3 :: v_dual_sub_nc_u32 v5, 30, v5
	s_delay_alu instid0(VALU_DEP_1) | instskip(NEXT) | instid1(VALU_DEP_1)
	v_dual_lshlrev_b32 v1, 24, v1 :: v_dual_bitop2_b32 v3, 3, v3 bitop3:0x40
	v_dual_cndmask_b32 v3, v4, v3, vcc_lo :: v_dual_cndmask_b32 v5, v10, v5, vcc_lo
	s_delay_alu instid0(VALU_DEP_2) | instskip(NEXT) | instid1(VALU_DEP_2)
	v_and_b32_e32 v1, 0x80000000, v1
	v_lshlrev_b32_e32 v3, 21, v3
	s_delay_alu instid0(VALU_DEP_3) | instskip(NEXT) | instid1(VALU_DEP_1)
	v_lshl_add_u32 v4, v5, 23, 0x37800000
	v_or3_b32 v1, v1, v4, v3
	s_delay_alu instid0(VALU_DEP_1) | instskip(NEXT) | instid1(VALU_DEP_1)
	v_trunc_f32_e32 v1, v1
	v_mul_f32_e64 v3, 0x2f800000, |v1|
	s_delay_alu instid0(VALU_DEP_1) | instskip(NEXT) | instid1(VALU_DEP_1)
	v_floor_f32_e32 v3, v3
	v_fma_f32 v3, 0xcf800000, v3, |v1|
	v_ashrrev_i32_e32 v1, 31, v1
	s_delay_alu instid0(VALU_DEP_2) | instskip(NEXT) | instid1(VALU_DEP_1)
	v_cvt_u32_f32_e32 v3, v3
	v_xor_b32_e32 v3, v3, v1
	s_delay_alu instid0(VALU_DEP_1)
	v_sub_nc_u32_e32 v4, v3, v1
.LBB23_81:
	s_or_b32 exec_lo, exec_lo, s29
	s_mov_b32 s29, 0
	s_branch .LBB23_87
.LBB23_82:
	s_mov_b32 s29, -1
                                        ; implicit-def: $vgpr4
	s_branch .LBB23_93
.LBB23_83:
	s_and_not1_saveexec_b32 s29, s29
	s_cbranch_execz .LBB23_68
.LBB23_84:
	v_cmp_ne_u16_e32 vcc_lo, 0, v1
	s_and_not1_b32 s30, s30, exec_lo
	s_and_b32 s31, vcc_lo, exec_lo
	s_delay_alu instid0(SALU_CYCLE_1)
	s_or_b32 s30, s30, s31
	s_or_b32 exec_lo, exec_lo, s29
	v_mov_b32_e32 v4, 0
	s_and_saveexec_b32 s29, s30
	s_cbranch_execnz .LBB23_69
	s_branch .LBB23_70
.LBB23_85:
	s_mov_b32 s29, -1
                                        ; implicit-def: $vgpr4
	s_branch .LBB23_90
.LBB23_86:
	s_mov_b32 s29, -1
                                        ; implicit-def: $vgpr4
.LBB23_87:
	s_delay_alu instid0(SALU_CYCLE_1)
	s_and_b32 vcc_lo, exec_lo, s29
	s_cbranch_vccz .LBB23_89
; %bb.88:
	global_load_u8 v1, v[8:9], off
	s_wait_loadcnt 0x0
	v_lshlrev_b32_e32 v1, 24, v1
	s_delay_alu instid0(VALU_DEP_1) | instskip(NEXT) | instid1(VALU_DEP_1)
	v_and_b32_e32 v3, 0x7f000000, v1
	v_clz_i32_u32_e32 v4, v3
	v_add_nc_u32_e32 v7, 0x1000000, v3
	v_cmp_ne_u32_e32 vcc_lo, 0, v3
	s_delay_alu instid0(VALU_DEP_3) | instskip(NEXT) | instid1(VALU_DEP_1)
	v_min_u32_e32 v4, 32, v4
	v_sub_nc_u32_e64 v4, v4, 4 clamp
	s_delay_alu instid0(VALU_DEP_1) | instskip(NEXT) | instid1(VALU_DEP_1)
	v_dual_lshlrev_b32 v5, v4, v3 :: v_dual_lshlrev_b32 v4, 23, v4
	v_lshrrev_b32_e32 v5, 4, v5
	s_delay_alu instid0(VALU_DEP_1) | instskip(NEXT) | instid1(VALU_DEP_1)
	v_dual_sub_nc_u32 v4, v5, v4 :: v_dual_ashrrev_i32 v5, 8, v7
	v_add_nc_u32_e32 v4, 0x3c000000, v4
	s_delay_alu instid0(VALU_DEP_1) | instskip(NEXT) | instid1(VALU_DEP_1)
	v_and_or_b32 v4, 0x7f800000, v5, v4
	v_cndmask_b32_e32 v3, 0, v4, vcc_lo
	s_delay_alu instid0(VALU_DEP_1) | instskip(NEXT) | instid1(VALU_DEP_1)
	v_and_or_b32 v1, 0x80000000, v1, v3
	v_trunc_f32_e32 v1, v1
	s_delay_alu instid0(VALU_DEP_1) | instskip(NEXT) | instid1(VALU_DEP_1)
	v_mul_f32_e64 v3, 0x2f800000, |v1|
	v_floor_f32_e32 v3, v3
	s_delay_alu instid0(VALU_DEP_1) | instskip(SKIP_1) | instid1(VALU_DEP_2)
	v_fma_f32 v3, 0xcf800000, v3, |v1|
	v_ashrrev_i32_e32 v1, 31, v1
	v_cvt_u32_f32_e32 v3, v3
	s_delay_alu instid0(VALU_DEP_1) | instskip(NEXT) | instid1(VALU_DEP_1)
	v_xor_b32_e32 v3, v3, v1
	v_sub_nc_u32_e32 v4, v3, v1
.LBB23_89:
	s_mov_b32 s29, 0
.LBB23_90:
	s_delay_alu instid0(SALU_CYCLE_1)
	s_and_not1_b32 vcc_lo, exec_lo, s29
	s_cbranch_vccnz .LBB23_92
; %bb.91:
	global_load_u8 v1, v[8:9], off
	s_wait_loadcnt 0x0
	v_lshlrev_b32_e32 v3, 25, v1
	v_lshlrev_b16 v1, 8, v1
	s_delay_alu instid0(VALU_DEP_1) | instskip(NEXT) | instid1(VALU_DEP_3)
	v_and_or_b32 v5, 0x7f00, v1, 0.5
	v_lshrrev_b32_e32 v4, 4, v3
	v_bfe_i32 v1, v1, 0, 16
	s_delay_alu instid0(VALU_DEP_3) | instskip(NEXT) | instid1(VALU_DEP_3)
	v_add_f32_e32 v5, -0.5, v5
	v_or_b32_e32 v4, 0x70000000, v4
	s_delay_alu instid0(VALU_DEP_1) | instskip(SKIP_1) | instid1(VALU_DEP_2)
	v_mul_f32_e32 v4, 0x7800000, v4
	v_cmp_gt_u32_e32 vcc_lo, 0x8000000, v3
	v_cndmask_b32_e32 v3, v4, v5, vcc_lo
	s_delay_alu instid0(VALU_DEP_1) | instskip(NEXT) | instid1(VALU_DEP_1)
	v_and_or_b32 v1, 0x80000000, v1, v3
	v_trunc_f32_e32 v1, v1
	s_delay_alu instid0(VALU_DEP_1) | instskip(NEXT) | instid1(VALU_DEP_1)
	v_mul_f32_e64 v3, 0x2f800000, |v1|
	v_floor_f32_e32 v3, v3
	s_delay_alu instid0(VALU_DEP_1) | instskip(SKIP_1) | instid1(VALU_DEP_2)
	v_fma_f32 v3, 0xcf800000, v3, |v1|
	v_ashrrev_i32_e32 v1, 31, v1
	v_cvt_u32_f32_e32 v3, v3
	s_delay_alu instid0(VALU_DEP_1) | instskip(NEXT) | instid1(VALU_DEP_1)
	v_xor_b32_e32 v3, v3, v1
	v_sub_nc_u32_e32 v4, v3, v1
.LBB23_92:
	s_mov_b32 s29, 0
	s_mov_b32 s30, -1
.LBB23_93:
	s_and_not1_b32 vcc_lo, exec_lo, s29
	s_cbranch_vccnz .LBB23_106
; %bb.94:
	s_cmp_gt_i32 s21, 14
	s_cbranch_scc0 .LBB23_97
; %bb.95:
	s_cmp_eq_u32 s21, 15
	s_cbranch_scc0 .LBB23_100
; %bb.96:
	global_load_u16 v1, v[8:9], off
	s_mov_b32 s30, -1
	s_mov_b32 s28, 0
	s_wait_loadcnt 0x0
	v_lshlrev_b32_e32 v1, 16, v1
	s_delay_alu instid0(VALU_DEP_1) | instskip(NEXT) | instid1(VALU_DEP_1)
	v_trunc_f32_e32 v1, v1
	v_mul_f32_e64 v3, 0x2f800000, |v1|
	s_delay_alu instid0(VALU_DEP_1) | instskip(NEXT) | instid1(VALU_DEP_1)
	v_floor_f32_e32 v3, v3
	v_fma_f32 v3, 0xcf800000, v3, |v1|
	v_ashrrev_i32_e32 v1, 31, v1
	s_delay_alu instid0(VALU_DEP_2) | instskip(NEXT) | instid1(VALU_DEP_1)
	v_cvt_u32_f32_e32 v3, v3
	v_xor_b32_e32 v3, v3, v1
	s_delay_alu instid0(VALU_DEP_1)
	v_sub_nc_u32_e32 v4, v3, v1
	s_branch .LBB23_101
.LBB23_97:
	s_mov_b32 s29, -1
                                        ; implicit-def: $vgpr4
	s_branch .LBB23_102
.LBB23_98:
	s_and_not1_saveexec_b32 s29, s29
	s_cbranch_execz .LBB23_79
.LBB23_99:
	v_cmp_ne_u16_e32 vcc_lo, 0, v1
	s_and_not1_b32 s30, s30, exec_lo
	s_and_b32 s31, vcc_lo, exec_lo
	s_delay_alu instid0(SALU_CYCLE_1)
	s_or_b32 s30, s30, s31
	s_or_b32 exec_lo, exec_lo, s29
	v_mov_b32_e32 v4, 0
	s_and_saveexec_b32 s29, s30
	s_cbranch_execnz .LBB23_80
	s_branch .LBB23_81
.LBB23_100:
	s_mov_b32 s28, -1
                                        ; implicit-def: $vgpr4
.LBB23_101:
	s_mov_b32 s29, 0
.LBB23_102:
	s_delay_alu instid0(SALU_CYCLE_1)
	s_and_b32 vcc_lo, exec_lo, s29
	s_cbranch_vccz .LBB23_106
; %bb.103:
	s_cmp_eq_u32 s21, 11
	s_cbranch_scc0 .LBB23_105
; %bb.104:
	global_load_u8 v1, v[8:9], off
	s_mov_b32 s28, 0
	s_mov_b32 s30, -1
	s_wait_loadcnt 0x0
	v_cmp_ne_u16_e32 vcc_lo, 0, v1
	v_cndmask_b32_e64 v4, 0, 1, vcc_lo
	s_branch .LBB23_106
.LBB23_105:
	s_mov_b32 s28, -1
                                        ; implicit-def: $vgpr4
.LBB23_106:
	s_branch .LBB23_155
.LBB23_107:
	s_and_b32 s0, 0xffff, s0
	s_delay_alu instid0(SALU_CYCLE_1)
	s_cmp_lt_i32 s0, 5
	s_cbranch_scc1 .LBB23_112
; %bb.108:
	s_cmp_lt_i32 s0, 8
	s_cbranch_scc1 .LBB23_113
; %bb.109:
	;; [unrolled: 3-line block ×3, first 2 shown]
	s_cmp_gt_i32 s0, 9
	s_cbranch_scc0 .LBB23_115
; %bb.111:
	s_wait_loadcnt 0x0
	global_load_b64 v[4:5], v[8:9], off
	s_mov_b32 s21, 0
	s_wait_loadcnt 0x0
	v_trunc_f64_e32 v[4:5], v[4:5]
	s_delay_alu instid0(VALU_DEP_1) | instskip(NEXT) | instid1(VALU_DEP_1)
	v_ldexp_f64 v[10:11], v[4:5], 0xffffffe0
	v_floor_f64_e32 v[10:11], v[10:11]
	s_delay_alu instid0(VALU_DEP_1) | instskip(NEXT) | instid1(VALU_DEP_1)
	v_fmamk_f64 v[4:5], v[10:11], 0xc1f00000, v[4:5]
	v_cvt_u32_f64_e32 v4, v[4:5]
	s_branch .LBB23_116
.LBB23_112:
	s_mov_b32 s21, -1
                                        ; implicit-def: $vgpr4
	s_branch .LBB23_134
.LBB23_113:
	s_mov_b32 s21, -1
                                        ; implicit-def: $vgpr4
	s_branch .LBB23_122
.LBB23_114:
	s_mov_b32 s21, -1
                                        ; implicit-def: $vgpr4
	s_branch .LBB23_119
.LBB23_115:
	s_mov_b32 s21, -1
                                        ; implicit-def: $vgpr4
.LBB23_116:
	s_delay_alu instid0(SALU_CYCLE_1)
	s_and_not1_b32 vcc_lo, exec_lo, s21
	s_cbranch_vccnz .LBB23_118
; %bb.117:
	global_load_b32 v1, v[8:9], off
	s_wait_loadcnt 0x0
	v_trunc_f32_e32 v1, v1
	s_delay_alu instid0(VALU_DEP_1) | instskip(NEXT) | instid1(VALU_DEP_1)
	v_mul_f32_e64 v3, 0x2f800000, |v1|
	v_floor_f32_e32 v3, v3
	s_delay_alu instid0(VALU_DEP_1) | instskip(SKIP_1) | instid1(VALU_DEP_2)
	v_fma_f32 v3, 0xcf800000, v3, |v1|
	v_ashrrev_i32_e32 v1, 31, v1
	v_cvt_u32_f32_e32 v3, v3
	s_delay_alu instid0(VALU_DEP_1) | instskip(NEXT) | instid1(VALU_DEP_1)
	v_xor_b32_e32 v3, v3, v1
	v_sub_nc_u32_e32 v4, v3, v1
.LBB23_118:
	s_mov_b32 s21, 0
.LBB23_119:
	s_delay_alu instid0(SALU_CYCLE_1)
	s_and_not1_b32 vcc_lo, exec_lo, s21
	s_cbranch_vccnz .LBB23_121
; %bb.120:
	global_load_b32 v1, v[8:9], off
	s_wait_loadcnt 0x0
	v_cvt_f32_f16_e32 v1, v1
	s_delay_alu instid0(VALU_DEP_1)
	v_cvt_i32_f32_e32 v4, v1
.LBB23_121:
	s_mov_b32 s21, 0
.LBB23_122:
	s_delay_alu instid0(SALU_CYCLE_1)
	s_and_not1_b32 vcc_lo, exec_lo, s21
	s_cbranch_vccnz .LBB23_133
; %bb.123:
	s_cmp_lt_i32 s0, 6
	s_cbranch_scc1 .LBB23_126
; %bb.124:
	s_cmp_gt_i32 s0, 6
	s_cbranch_scc0 .LBB23_127
; %bb.125:
	s_wait_loadcnt 0x0
	global_load_b64 v[4:5], v[8:9], off
	s_mov_b32 s21, 0
	s_wait_loadcnt 0x0
	v_trunc_f64_e32 v[4:5], v[4:5]
	s_delay_alu instid0(VALU_DEP_1) | instskip(NEXT) | instid1(VALU_DEP_1)
	v_ldexp_f64 v[10:11], v[4:5], 0xffffffe0
	v_floor_f64_e32 v[10:11], v[10:11]
	s_delay_alu instid0(VALU_DEP_1) | instskip(NEXT) | instid1(VALU_DEP_1)
	v_fmamk_f64 v[4:5], v[10:11], 0xc1f00000, v[4:5]
	v_cvt_u32_f64_e32 v4, v[4:5]
	s_branch .LBB23_128
.LBB23_126:
	s_mov_b32 s21, -1
                                        ; implicit-def: $vgpr4
	s_branch .LBB23_131
.LBB23_127:
	s_mov_b32 s21, -1
                                        ; implicit-def: $vgpr4
.LBB23_128:
	s_delay_alu instid0(SALU_CYCLE_1)
	s_and_not1_b32 vcc_lo, exec_lo, s21
	s_cbranch_vccnz .LBB23_130
; %bb.129:
	global_load_b32 v1, v[8:9], off
	s_wait_loadcnt 0x0
	v_trunc_f32_e32 v1, v1
	s_delay_alu instid0(VALU_DEP_1) | instskip(NEXT) | instid1(VALU_DEP_1)
	v_mul_f32_e64 v3, 0x2f800000, |v1|
	v_floor_f32_e32 v3, v3
	s_delay_alu instid0(VALU_DEP_1) | instskip(SKIP_1) | instid1(VALU_DEP_2)
	v_fma_f32 v3, 0xcf800000, v3, |v1|
	v_ashrrev_i32_e32 v1, 31, v1
	v_cvt_u32_f32_e32 v3, v3
	s_delay_alu instid0(VALU_DEP_1) | instskip(NEXT) | instid1(VALU_DEP_1)
	v_xor_b32_e32 v3, v3, v1
	v_sub_nc_u32_e32 v4, v3, v1
.LBB23_130:
	s_mov_b32 s21, 0
.LBB23_131:
	s_delay_alu instid0(SALU_CYCLE_1)
	s_and_not1_b32 vcc_lo, exec_lo, s21
	s_cbranch_vccnz .LBB23_133
; %bb.132:
	global_load_u16 v1, v[8:9], off
	s_wait_loadcnt 0x0
	v_cvt_f32_f16_e32 v1, v1
	s_delay_alu instid0(VALU_DEP_1)
	v_cvt_i32_f32_e32 v4, v1
.LBB23_133:
	s_mov_b32 s21, 0
.LBB23_134:
	s_delay_alu instid0(SALU_CYCLE_1)
	s_and_not1_b32 vcc_lo, exec_lo, s21
	s_cbranch_vccnz .LBB23_154
; %bb.135:
	s_cmp_lt_i32 s0, 2
	s_cbranch_scc1 .LBB23_139
; %bb.136:
	s_cmp_lt_i32 s0, 3
	s_cbranch_scc1 .LBB23_140
; %bb.137:
	s_cmp_gt_i32 s0, 3
	s_cbranch_scc0 .LBB23_141
; %bb.138:
	s_wait_loadcnt 0x0
	global_load_b64 v[4:5], v[8:9], off
	s_mov_b32 s21, 0
	s_branch .LBB23_142
.LBB23_139:
	s_mov_b32 s21, -1
                                        ; implicit-def: $vgpr4
	s_branch .LBB23_148
.LBB23_140:
	s_mov_b32 s21, -1
                                        ; implicit-def: $vgpr4
	s_branch .LBB23_145
.LBB23_141:
	s_mov_b32 s21, -1
                                        ; implicit-def: $vgpr4
.LBB23_142:
	s_delay_alu instid0(SALU_CYCLE_1)
	s_and_not1_b32 vcc_lo, exec_lo, s21
	s_cbranch_vccnz .LBB23_144
; %bb.143:
	s_wait_loadcnt 0x0
	global_load_b32 v4, v[8:9], off
.LBB23_144:
	s_mov_b32 s21, 0
.LBB23_145:
	s_delay_alu instid0(SALU_CYCLE_1)
	s_and_not1_b32 vcc_lo, exec_lo, s21
	s_cbranch_vccnz .LBB23_147
; %bb.146:
	s_wait_loadcnt 0x0
	global_load_u16 v4, v[8:9], off
.LBB23_147:
	s_mov_b32 s21, 0
.LBB23_148:
	s_delay_alu instid0(SALU_CYCLE_1)
	s_and_not1_b32 vcc_lo, exec_lo, s21
	s_cbranch_vccnz .LBB23_154
; %bb.149:
	s_cmp_gt_i32 s0, 0
	s_mov_b32 s0, 0
	s_cbranch_scc0 .LBB23_151
; %bb.150:
	s_wait_loadcnt 0x0
	global_load_u8 v4, v[8:9], off
	s_branch .LBB23_152
.LBB23_151:
	s_mov_b32 s0, -1
                                        ; implicit-def: $vgpr4
.LBB23_152:
	s_delay_alu instid0(SALU_CYCLE_1)
	s_and_not1_b32 vcc_lo, exec_lo, s0
	s_cbranch_vccnz .LBB23_154
; %bb.153:
	s_wait_loadcnt 0x0
	global_load_u8 v4, v[8:9], off
.LBB23_154:
	s_mov_b32 s30, -1
.LBB23_155:
	s_mov_b32 s29, 0
	s_mov_b32 s0, 0
	s_and_not1_b32 vcc_lo, exec_lo, s30
	s_mov_b32 s30, 0
	s_mov_b32 s31, 0
	s_cbranch_vccnz .LBB23_404
; %bb.156:
	v_mov_b32_e32 v7, 0
	s_and_b32 s0, s17, 0xff
	s_delay_alu instid0(SALU_CYCLE_1) | instskip(NEXT) | instid1(VALU_DEP_1)
	s_cmp_lt_i32 s0, 11
	v_add_nc_u64_e32 v[6:7], s[6:7], v[6:7]
	s_cbranch_scc1 .LBB23_163
; %bb.157:
	s_and_b32 s21, 0xffff, s0
	s_delay_alu instid0(SALU_CYCLE_1)
	s_cmp_gt_i32 s21, 25
	s_cbranch_scc0 .LBB23_164
; %bb.158:
	s_cmp_gt_i32 s21, 28
	s_cbranch_scc0 .LBB23_165
; %bb.159:
	;; [unrolled: 3-line block ×4, first 2 shown]
	s_cmp_eq_u32 s21, 46
	s_mov_b32 s43, 0
	s_cbranch_scc0 .LBB23_168
; %bb.162:
	global_load_b32 v1, v[6:7], off
	s_mov_b32 s31, -1
	s_wait_loadcnt 0x0
	v_lshlrev_b32_e32 v1, 16, v1
	s_delay_alu instid0(VALU_DEP_1) | instskip(NEXT) | instid1(VALU_DEP_1)
	v_trunc_f32_e32 v1, v1
	v_mul_f32_e64 v3, 0x2f800000, |v1|
	s_delay_alu instid0(VALU_DEP_1) | instskip(NEXT) | instid1(VALU_DEP_1)
	v_floor_f32_e32 v3, v3
	v_fma_f32 v3, 0xcf800000, v3, |v1|
	v_ashrrev_i32_e32 v1, 31, v1
	s_delay_alu instid0(VALU_DEP_2) | instskip(NEXT) | instid1(VALU_DEP_1)
	v_cvt_u32_f32_e32 v3, v3
	v_xor_b32_e32 v3, v3, v1
	s_delay_alu instid0(VALU_DEP_1)
	v_sub_nc_u32_e32 v8, v3, v1
	s_branch .LBB23_170
.LBB23_163:
	s_mov_b32 s21, -1
                                        ; implicit-def: $vgpr8
	s_branch .LBB23_231
.LBB23_164:
	s_mov_b32 s43, -1
                                        ; implicit-def: $vgpr8
	s_branch .LBB23_197
.LBB23_165:
	s_mov_b32 s43, -1
                                        ; implicit-def: $vgpr8
	s_branch .LBB23_180
.LBB23_166:
	s_mov_b32 s43, -1
                                        ; implicit-def: $vgpr8
	s_branch .LBB23_175
.LBB23_167:
	s_mov_b32 s43, -1
	s_branch .LBB23_169
.LBB23_168:
	s_mov_b32 s30, -1
.LBB23_169:
                                        ; implicit-def: $vgpr8
.LBB23_170:
	s_and_b32 vcc_lo, exec_lo, s43
	s_cbranch_vccz .LBB23_174
; %bb.171:
	s_cmp_eq_u32 s21, 44
	s_cbranch_scc0 .LBB23_173
; %bb.172:
	global_load_u8 v1, v[6:7], off
	s_mov_b32 s30, 0
	s_mov_b32 s31, -1
	s_wait_loadcnt 0x0
	v_lshlrev_b32_e32 v3, 23, v1
	v_cmp_ne_u32_e32 vcc_lo, 0, v1
	s_delay_alu instid0(VALU_DEP_2) | instskip(NEXT) | instid1(VALU_DEP_1)
	v_trunc_f32_e32 v3, v3
	v_mul_f32_e64 v5, 0x2f800000, |v3|
	s_delay_alu instid0(VALU_DEP_1) | instskip(NEXT) | instid1(VALU_DEP_1)
	v_floor_f32_e32 v5, v5
	v_fma_f32 v5, 0xcf800000, v5, |v3|
	v_ashrrev_i32_e32 v3, 31, v3
	s_delay_alu instid0(VALU_DEP_2) | instskip(NEXT) | instid1(VALU_DEP_1)
	v_cvt_u32_f32_e32 v5, v5
	v_xor_b32_e32 v5, v5, v3
	s_delay_alu instid0(VALU_DEP_1) | instskip(NEXT) | instid1(VALU_DEP_1)
	v_sub_nc_u32_e32 v3, v5, v3
	v_cndmask_b32_e32 v8, 0, v3, vcc_lo
	s_branch .LBB23_174
.LBB23_173:
	s_mov_b32 s30, -1
                                        ; implicit-def: $vgpr8
.LBB23_174:
	s_mov_b32 s43, 0
.LBB23_175:
	s_delay_alu instid0(SALU_CYCLE_1)
	s_and_b32 vcc_lo, exec_lo, s43
	s_cbranch_vccz .LBB23_179
; %bb.176:
	s_cmp_eq_u32 s21, 29
	s_cbranch_scc0 .LBB23_178
; %bb.177:
	global_load_b64 v[8:9], v[6:7], off
	s_mov_b32 s31, -1
	s_mov_b32 s30, 0
	s_branch .LBB23_179
.LBB23_178:
	s_mov_b32 s30, -1
                                        ; implicit-def: $vgpr8
.LBB23_179:
	s_mov_b32 s43, 0
.LBB23_180:
	s_delay_alu instid0(SALU_CYCLE_1)
	s_and_b32 vcc_lo, exec_lo, s43
	s_cbranch_vccz .LBB23_196
; %bb.181:
	s_cmp_lt_i32 s21, 27
	s_cbranch_scc1 .LBB23_184
; %bb.182:
	s_cmp_gt_i32 s21, 27
	s_cbranch_scc0 .LBB23_185
; %bb.183:
	s_wait_loadcnt 0x0
	global_load_b32 v8, v[6:7], off
	s_mov_b32 s31, 0
	s_branch .LBB23_186
.LBB23_184:
	s_mov_b32 s31, -1
                                        ; implicit-def: $vgpr8
	s_branch .LBB23_189
.LBB23_185:
	s_mov_b32 s31, -1
                                        ; implicit-def: $vgpr8
.LBB23_186:
	s_delay_alu instid0(SALU_CYCLE_1)
	s_and_not1_b32 vcc_lo, exec_lo, s31
	s_cbranch_vccnz .LBB23_188
; %bb.187:
	s_wait_loadcnt 0x0
	global_load_u16 v8, v[6:7], off
.LBB23_188:
	s_mov_b32 s31, 0
.LBB23_189:
	s_delay_alu instid0(SALU_CYCLE_1)
	s_and_not1_b32 vcc_lo, exec_lo, s31
	s_cbranch_vccnz .LBB23_195
; %bb.190:
	global_load_u8 v1, v[6:7], off
	s_mov_b32 s43, 0
	s_mov_b32 s31, exec_lo
	s_wait_loadcnt 0x0
	v_cmpx_lt_i16_e32 0x7f, v1
	s_xor_b32 s31, exec_lo, s31
	s_cbranch_execz .LBB23_207
; %bb.191:
	v_cmp_ne_u16_e32 vcc_lo, 0x80, v1
	s_and_b32 s43, vcc_lo, exec_lo
	s_and_not1_saveexec_b32 s31, s31
	s_cbranch_execnz .LBB23_208
.LBB23_192:
	s_or_b32 exec_lo, exec_lo, s31
	v_mov_b32_e32 v8, 0
	s_and_saveexec_b32 s31, s43
	s_cbranch_execz .LBB23_194
.LBB23_193:
	v_and_b32_e32 v3, 0xffff, v1
	s_delay_alu instid0(VALU_DEP_1) | instskip(SKIP_1) | instid1(VALU_DEP_2)
	v_and_b32_e32 v5, 7, v3
	v_bfe_u32 v10, v3, 3, 4
	v_clz_i32_u32_e32 v8, v5
	s_delay_alu instid0(VALU_DEP_2) | instskip(NEXT) | instid1(VALU_DEP_2)
	v_cmp_eq_u32_e32 vcc_lo, 0, v10
	v_min_u32_e32 v8, 32, v8
	s_delay_alu instid0(VALU_DEP_1) | instskip(NEXT) | instid1(VALU_DEP_1)
	v_subrev_nc_u32_e32 v9, 28, v8
	v_dual_lshlrev_b32 v3, v9, v3 :: v_dual_sub_nc_u32 v8, 29, v8
	s_delay_alu instid0(VALU_DEP_1) | instskip(NEXT) | instid1(VALU_DEP_1)
	v_dual_lshlrev_b32 v1, 24, v1 :: v_dual_bitop2_b32 v3, 7, v3 bitop3:0x40
	v_dual_cndmask_b32 v8, v10, v8 :: v_dual_cndmask_b32 v3, v5, v3
	s_delay_alu instid0(VALU_DEP_2) | instskip(NEXT) | instid1(VALU_DEP_2)
	v_and_b32_e32 v1, 0x80000000, v1
	v_lshl_add_u32 v5, v8, 23, 0x3b800000
	s_delay_alu instid0(VALU_DEP_3) | instskip(NEXT) | instid1(VALU_DEP_1)
	v_lshlrev_b32_e32 v3, 20, v3
	v_or3_b32 v1, v1, v5, v3
	s_delay_alu instid0(VALU_DEP_1) | instskip(NEXT) | instid1(VALU_DEP_1)
	v_trunc_f32_e32 v1, v1
	v_mul_f32_e64 v3, 0x2f800000, |v1|
	s_delay_alu instid0(VALU_DEP_1) | instskip(NEXT) | instid1(VALU_DEP_1)
	v_floor_f32_e32 v3, v3
	v_fma_f32 v3, 0xcf800000, v3, |v1|
	v_ashrrev_i32_e32 v1, 31, v1
	s_delay_alu instid0(VALU_DEP_2) | instskip(NEXT) | instid1(VALU_DEP_1)
	v_cvt_u32_f32_e32 v3, v3
	v_xor_b32_e32 v3, v3, v1
	s_delay_alu instid0(VALU_DEP_1)
	v_sub_nc_u32_e32 v8, v3, v1
.LBB23_194:
	s_or_b32 exec_lo, exec_lo, s31
.LBB23_195:
	s_mov_b32 s31, -1
.LBB23_196:
	s_mov_b32 s43, 0
.LBB23_197:
	s_delay_alu instid0(SALU_CYCLE_1)
	s_and_b32 vcc_lo, exec_lo, s43
	s_cbranch_vccz .LBB23_230
; %bb.198:
	s_cmp_gt_i32 s21, 22
	s_cbranch_scc0 .LBB23_206
; %bb.199:
	s_cmp_lt_i32 s21, 24
	s_cbranch_scc1 .LBB23_209
; %bb.200:
	s_cmp_gt_i32 s21, 24
	s_cbranch_scc0 .LBB23_210
; %bb.201:
	global_load_u8 v1, v[6:7], off
	s_mov_b32 s43, 0
	s_mov_b32 s31, exec_lo
	s_wait_loadcnt 0x0
	v_cmpx_lt_i16_e32 0x7f, v1
	s_xor_b32 s31, exec_lo, s31
	s_cbranch_execz .LBB23_222
; %bb.202:
	v_cmp_ne_u16_e32 vcc_lo, 0x80, v1
	s_and_b32 s43, vcc_lo, exec_lo
	s_and_not1_saveexec_b32 s31, s31
	s_cbranch_execnz .LBB23_223
.LBB23_203:
	s_or_b32 exec_lo, exec_lo, s31
	v_mov_b32_e32 v8, 0
	s_and_saveexec_b32 s31, s43
	s_cbranch_execz .LBB23_205
.LBB23_204:
	v_and_b32_e32 v3, 0xffff, v1
	s_delay_alu instid0(VALU_DEP_1) | instskip(SKIP_1) | instid1(VALU_DEP_2)
	v_and_b32_e32 v5, 3, v3
	v_bfe_u32 v10, v3, 2, 5
	v_clz_i32_u32_e32 v8, v5
	s_delay_alu instid0(VALU_DEP_2) | instskip(NEXT) | instid1(VALU_DEP_2)
	v_cmp_eq_u32_e32 vcc_lo, 0, v10
	v_min_u32_e32 v8, 32, v8
	s_delay_alu instid0(VALU_DEP_1) | instskip(NEXT) | instid1(VALU_DEP_1)
	v_subrev_nc_u32_e32 v9, 29, v8
	v_dual_lshlrev_b32 v3, v9, v3 :: v_dual_sub_nc_u32 v8, 30, v8
	s_delay_alu instid0(VALU_DEP_1) | instskip(NEXT) | instid1(VALU_DEP_1)
	v_dual_lshlrev_b32 v1, 24, v1 :: v_dual_bitop2_b32 v3, 3, v3 bitop3:0x40
	v_dual_cndmask_b32 v8, v10, v8 :: v_dual_cndmask_b32 v3, v5, v3
	s_delay_alu instid0(VALU_DEP_2) | instskip(NEXT) | instid1(VALU_DEP_2)
	v_and_b32_e32 v1, 0x80000000, v1
	v_lshl_add_u32 v5, v8, 23, 0x37800000
	s_delay_alu instid0(VALU_DEP_3) | instskip(NEXT) | instid1(VALU_DEP_1)
	v_lshlrev_b32_e32 v3, 21, v3
	v_or3_b32 v1, v1, v5, v3
	s_delay_alu instid0(VALU_DEP_1) | instskip(NEXT) | instid1(VALU_DEP_1)
	v_trunc_f32_e32 v1, v1
	v_mul_f32_e64 v3, 0x2f800000, |v1|
	s_delay_alu instid0(VALU_DEP_1) | instskip(NEXT) | instid1(VALU_DEP_1)
	v_floor_f32_e32 v3, v3
	v_fma_f32 v3, 0xcf800000, v3, |v1|
	v_ashrrev_i32_e32 v1, 31, v1
	s_delay_alu instid0(VALU_DEP_2) | instskip(NEXT) | instid1(VALU_DEP_1)
	v_cvt_u32_f32_e32 v3, v3
	v_xor_b32_e32 v3, v3, v1
	s_delay_alu instid0(VALU_DEP_1)
	v_sub_nc_u32_e32 v8, v3, v1
.LBB23_205:
	s_or_b32 exec_lo, exec_lo, s31
	s_mov_b32 s31, 0
	s_branch .LBB23_211
.LBB23_206:
	s_mov_b32 s43, -1
                                        ; implicit-def: $vgpr8
	s_branch .LBB23_217
.LBB23_207:
	s_and_not1_saveexec_b32 s31, s31
	s_cbranch_execz .LBB23_192
.LBB23_208:
	v_cmp_ne_u16_e32 vcc_lo, 0, v1
	s_and_not1_b32 s43, s43, exec_lo
	s_and_b32 s44, vcc_lo, exec_lo
	s_delay_alu instid0(SALU_CYCLE_1)
	s_or_b32 s43, s43, s44
	s_or_b32 exec_lo, exec_lo, s31
	v_mov_b32_e32 v8, 0
	s_and_saveexec_b32 s31, s43
	s_cbranch_execnz .LBB23_193
	s_branch .LBB23_194
.LBB23_209:
	s_mov_b32 s31, -1
                                        ; implicit-def: $vgpr8
	s_branch .LBB23_214
.LBB23_210:
	s_mov_b32 s31, -1
                                        ; implicit-def: $vgpr8
.LBB23_211:
	s_delay_alu instid0(SALU_CYCLE_1)
	s_and_b32 vcc_lo, exec_lo, s31
	s_cbranch_vccz .LBB23_213
; %bb.212:
	global_load_u8 v1, v[6:7], off
	s_wait_loadcnt 0x0
	v_lshlrev_b32_e32 v1, 24, v1
	s_delay_alu instid0(VALU_DEP_1) | instskip(NEXT) | instid1(VALU_DEP_1)
	v_and_b32_e32 v3, 0x7f000000, v1
	v_clz_i32_u32_e32 v5, v3
	v_add_nc_u32_e32 v9, 0x1000000, v3
	v_cmp_ne_u32_e32 vcc_lo, 0, v3
	s_delay_alu instid0(VALU_DEP_3) | instskip(NEXT) | instid1(VALU_DEP_1)
	v_min_u32_e32 v5, 32, v5
	v_sub_nc_u32_e64 v5, v5, 4 clamp
	s_delay_alu instid0(VALU_DEP_1) | instskip(NEXT) | instid1(VALU_DEP_1)
	v_dual_lshlrev_b32 v8, v5, v3 :: v_dual_lshlrev_b32 v5, 23, v5
	v_lshrrev_b32_e32 v8, 4, v8
	s_delay_alu instid0(VALU_DEP_1) | instskip(SKIP_1) | instid1(VALU_DEP_2)
	v_sub_nc_u32_e32 v5, v8, v5
	v_ashrrev_i32_e32 v8, 8, v9
	v_add_nc_u32_e32 v5, 0x3c000000, v5
	s_delay_alu instid0(VALU_DEP_1) | instskip(NEXT) | instid1(VALU_DEP_1)
	v_and_or_b32 v5, 0x7f800000, v8, v5
	v_cndmask_b32_e32 v3, 0, v5, vcc_lo
	s_delay_alu instid0(VALU_DEP_1) | instskip(NEXT) | instid1(VALU_DEP_1)
	v_and_or_b32 v1, 0x80000000, v1, v3
	v_trunc_f32_e32 v1, v1
	s_delay_alu instid0(VALU_DEP_1) | instskip(NEXT) | instid1(VALU_DEP_1)
	v_mul_f32_e64 v3, 0x2f800000, |v1|
	v_floor_f32_e32 v3, v3
	s_delay_alu instid0(VALU_DEP_1) | instskip(SKIP_1) | instid1(VALU_DEP_2)
	v_fma_f32 v3, 0xcf800000, v3, |v1|
	v_ashrrev_i32_e32 v1, 31, v1
	v_cvt_u32_f32_e32 v3, v3
	s_delay_alu instid0(VALU_DEP_1) | instskip(NEXT) | instid1(VALU_DEP_1)
	v_xor_b32_e32 v3, v3, v1
	v_sub_nc_u32_e32 v8, v3, v1
.LBB23_213:
	s_mov_b32 s31, 0
.LBB23_214:
	s_delay_alu instid0(SALU_CYCLE_1)
	s_and_not1_b32 vcc_lo, exec_lo, s31
	s_cbranch_vccnz .LBB23_216
; %bb.215:
	global_load_u8 v1, v[6:7], off
	s_wait_loadcnt 0x0
	v_lshlrev_b32_e32 v3, 25, v1
	v_lshlrev_b16 v1, 8, v1
	s_delay_alu instid0(VALU_DEP_1) | instskip(SKIP_1) | instid1(VALU_DEP_2)
	v_and_or_b32 v8, 0x7f00, v1, 0.5
	v_bfe_i32 v1, v1, 0, 16
	v_dual_add_f32 v8, -0.5, v8 :: v_dual_lshrrev_b32 v5, 4, v3
	v_cmp_gt_u32_e32 vcc_lo, 0x8000000, v3
	s_delay_alu instid0(VALU_DEP_2) | instskip(NEXT) | instid1(VALU_DEP_1)
	v_or_b32_e32 v5, 0x70000000, v5
	v_mul_f32_e32 v5, 0x7800000, v5
	s_delay_alu instid0(VALU_DEP_1) | instskip(NEXT) | instid1(VALU_DEP_1)
	v_cndmask_b32_e32 v3, v5, v8, vcc_lo
	v_and_or_b32 v1, 0x80000000, v1, v3
	s_delay_alu instid0(VALU_DEP_1) | instskip(NEXT) | instid1(VALU_DEP_1)
	v_trunc_f32_e32 v1, v1
	v_mul_f32_e64 v3, 0x2f800000, |v1|
	s_delay_alu instid0(VALU_DEP_1) | instskip(NEXT) | instid1(VALU_DEP_1)
	v_floor_f32_e32 v3, v3
	v_fma_f32 v3, 0xcf800000, v3, |v1|
	v_ashrrev_i32_e32 v1, 31, v1
	s_delay_alu instid0(VALU_DEP_2) | instskip(NEXT) | instid1(VALU_DEP_1)
	v_cvt_u32_f32_e32 v3, v3
	v_xor_b32_e32 v3, v3, v1
	s_delay_alu instid0(VALU_DEP_1)
	v_sub_nc_u32_e32 v8, v3, v1
.LBB23_216:
	s_mov_b32 s43, 0
	s_mov_b32 s31, -1
.LBB23_217:
	s_and_not1_b32 vcc_lo, exec_lo, s43
	s_cbranch_vccnz .LBB23_230
; %bb.218:
	s_cmp_gt_i32 s21, 14
	s_cbranch_scc0 .LBB23_221
; %bb.219:
	s_cmp_eq_u32 s21, 15
	s_cbranch_scc0 .LBB23_224
; %bb.220:
	global_load_u16 v1, v[6:7], off
	s_mov_b32 s31, -1
	s_mov_b32 s30, 0
	s_wait_loadcnt 0x0
	v_lshlrev_b32_e32 v1, 16, v1
	s_delay_alu instid0(VALU_DEP_1) | instskip(NEXT) | instid1(VALU_DEP_1)
	v_trunc_f32_e32 v1, v1
	v_mul_f32_e64 v3, 0x2f800000, |v1|
	s_delay_alu instid0(VALU_DEP_1) | instskip(NEXT) | instid1(VALU_DEP_1)
	v_floor_f32_e32 v3, v3
	v_fma_f32 v3, 0xcf800000, v3, |v1|
	v_ashrrev_i32_e32 v1, 31, v1
	s_delay_alu instid0(VALU_DEP_2) | instskip(NEXT) | instid1(VALU_DEP_1)
	v_cvt_u32_f32_e32 v3, v3
	v_xor_b32_e32 v3, v3, v1
	s_delay_alu instid0(VALU_DEP_1)
	v_sub_nc_u32_e32 v8, v3, v1
	s_branch .LBB23_225
.LBB23_221:
	s_mov_b32 s43, -1
                                        ; implicit-def: $vgpr8
	s_branch .LBB23_226
.LBB23_222:
	s_and_not1_saveexec_b32 s31, s31
	s_cbranch_execz .LBB23_203
.LBB23_223:
	v_cmp_ne_u16_e32 vcc_lo, 0, v1
	s_and_not1_b32 s43, s43, exec_lo
	s_and_b32 s44, vcc_lo, exec_lo
	s_delay_alu instid0(SALU_CYCLE_1)
	s_or_b32 s43, s43, s44
	s_or_b32 exec_lo, exec_lo, s31
	v_mov_b32_e32 v8, 0
	s_and_saveexec_b32 s31, s43
	s_cbranch_execnz .LBB23_204
	s_branch .LBB23_205
.LBB23_224:
	s_mov_b32 s30, -1
                                        ; implicit-def: $vgpr8
.LBB23_225:
	s_mov_b32 s43, 0
.LBB23_226:
	s_delay_alu instid0(SALU_CYCLE_1)
	s_and_b32 vcc_lo, exec_lo, s43
	s_cbranch_vccz .LBB23_230
; %bb.227:
	s_cmp_eq_u32 s21, 11
	s_cbranch_scc0 .LBB23_229
; %bb.228:
	global_load_u8 v1, v[6:7], off
	s_mov_b32 s30, 0
	s_mov_b32 s31, -1
	s_wait_loadcnt 0x0
	v_cmp_ne_u16_e32 vcc_lo, 0, v1
	v_cndmask_b32_e64 v8, 0, 1, vcc_lo
	s_branch .LBB23_230
.LBB23_229:
	s_mov_b32 s30, -1
                                        ; implicit-def: $vgpr8
.LBB23_230:
	s_mov_b32 s21, 0
.LBB23_231:
	s_delay_alu instid0(SALU_CYCLE_1)
	s_and_b32 vcc_lo, exec_lo, s21
	s_cbranch_vccz .LBB23_280
; %bb.232:
	s_and_b32 s0, 0xffff, s0
	s_delay_alu instid0(SALU_CYCLE_1)
	s_cmp_lt_i32 s0, 5
	s_cbranch_scc1 .LBB23_237
; %bb.233:
	s_cmp_lt_i32 s0, 8
	s_cbranch_scc1 .LBB23_238
; %bb.234:
	;; [unrolled: 3-line block ×3, first 2 shown]
	s_cmp_gt_i32 s0, 9
	s_cbranch_scc0 .LBB23_240
; %bb.236:
	s_wait_loadcnt 0x0
	global_load_b64 v[8:9], v[6:7], off
	s_mov_b32 s21, 0
	s_wait_loadcnt 0x0
	v_trunc_f64_e32 v[8:9], v[8:9]
	s_delay_alu instid0(VALU_DEP_1) | instskip(NEXT) | instid1(VALU_DEP_1)
	v_ldexp_f64 v[10:11], v[8:9], 0xffffffe0
	v_floor_f64_e32 v[10:11], v[10:11]
	s_delay_alu instid0(VALU_DEP_1) | instskip(NEXT) | instid1(VALU_DEP_1)
	v_fmamk_f64 v[8:9], v[10:11], 0xc1f00000, v[8:9]
	v_cvt_u32_f64_e32 v8, v[8:9]
	s_branch .LBB23_241
.LBB23_237:
	s_mov_b32 s21, -1
                                        ; implicit-def: $vgpr8
	s_branch .LBB23_259
.LBB23_238:
	s_mov_b32 s21, -1
                                        ; implicit-def: $vgpr8
	s_branch .LBB23_247
.LBB23_239:
	s_mov_b32 s21, -1
                                        ; implicit-def: $vgpr8
	s_branch .LBB23_244
.LBB23_240:
	s_mov_b32 s21, -1
                                        ; implicit-def: $vgpr8
.LBB23_241:
	s_delay_alu instid0(SALU_CYCLE_1)
	s_and_not1_b32 vcc_lo, exec_lo, s21
	s_cbranch_vccnz .LBB23_243
; %bb.242:
	global_load_b32 v1, v[6:7], off
	s_wait_loadcnt 0x0
	v_trunc_f32_e32 v1, v1
	s_delay_alu instid0(VALU_DEP_1) | instskip(NEXT) | instid1(VALU_DEP_1)
	v_mul_f32_e64 v3, 0x2f800000, |v1|
	v_floor_f32_e32 v3, v3
	s_delay_alu instid0(VALU_DEP_1) | instskip(SKIP_1) | instid1(VALU_DEP_2)
	v_fma_f32 v3, 0xcf800000, v3, |v1|
	v_ashrrev_i32_e32 v1, 31, v1
	v_cvt_u32_f32_e32 v3, v3
	s_delay_alu instid0(VALU_DEP_1) | instskip(NEXT) | instid1(VALU_DEP_1)
	v_xor_b32_e32 v3, v3, v1
	v_sub_nc_u32_e32 v8, v3, v1
.LBB23_243:
	s_mov_b32 s21, 0
.LBB23_244:
	s_delay_alu instid0(SALU_CYCLE_1)
	s_and_not1_b32 vcc_lo, exec_lo, s21
	s_cbranch_vccnz .LBB23_246
; %bb.245:
	global_load_b32 v1, v[6:7], off
	s_wait_loadcnt 0x0
	v_cvt_f32_f16_e32 v1, v1
	s_delay_alu instid0(VALU_DEP_1)
	v_cvt_i32_f32_e32 v8, v1
.LBB23_246:
	s_mov_b32 s21, 0
.LBB23_247:
	s_delay_alu instid0(SALU_CYCLE_1)
	s_and_not1_b32 vcc_lo, exec_lo, s21
	s_cbranch_vccnz .LBB23_258
; %bb.248:
	s_cmp_lt_i32 s0, 6
	s_cbranch_scc1 .LBB23_251
; %bb.249:
	s_cmp_gt_i32 s0, 6
	s_cbranch_scc0 .LBB23_252
; %bb.250:
	s_wait_loadcnt 0x0
	global_load_b64 v[8:9], v[6:7], off
	s_mov_b32 s21, 0
	s_wait_loadcnt 0x0
	v_trunc_f64_e32 v[8:9], v[8:9]
	s_delay_alu instid0(VALU_DEP_1) | instskip(NEXT) | instid1(VALU_DEP_1)
	v_ldexp_f64 v[10:11], v[8:9], 0xffffffe0
	v_floor_f64_e32 v[10:11], v[10:11]
	s_delay_alu instid0(VALU_DEP_1) | instskip(NEXT) | instid1(VALU_DEP_1)
	v_fmamk_f64 v[8:9], v[10:11], 0xc1f00000, v[8:9]
	v_cvt_u32_f64_e32 v8, v[8:9]
	s_branch .LBB23_253
.LBB23_251:
	s_mov_b32 s21, -1
                                        ; implicit-def: $vgpr8
	s_branch .LBB23_256
.LBB23_252:
	s_mov_b32 s21, -1
                                        ; implicit-def: $vgpr8
.LBB23_253:
	s_delay_alu instid0(SALU_CYCLE_1)
	s_and_not1_b32 vcc_lo, exec_lo, s21
	s_cbranch_vccnz .LBB23_255
; %bb.254:
	global_load_b32 v1, v[6:7], off
	s_wait_loadcnt 0x0
	v_trunc_f32_e32 v1, v1
	s_delay_alu instid0(VALU_DEP_1) | instskip(NEXT) | instid1(VALU_DEP_1)
	v_mul_f32_e64 v3, 0x2f800000, |v1|
	v_floor_f32_e32 v3, v3
	s_delay_alu instid0(VALU_DEP_1) | instskip(SKIP_1) | instid1(VALU_DEP_2)
	v_fma_f32 v3, 0xcf800000, v3, |v1|
	v_ashrrev_i32_e32 v1, 31, v1
	v_cvt_u32_f32_e32 v3, v3
	s_delay_alu instid0(VALU_DEP_1) | instskip(NEXT) | instid1(VALU_DEP_1)
	v_xor_b32_e32 v3, v3, v1
	v_sub_nc_u32_e32 v8, v3, v1
.LBB23_255:
	s_mov_b32 s21, 0
.LBB23_256:
	s_delay_alu instid0(SALU_CYCLE_1)
	s_and_not1_b32 vcc_lo, exec_lo, s21
	s_cbranch_vccnz .LBB23_258
; %bb.257:
	global_load_u16 v1, v[6:7], off
	s_wait_loadcnt 0x0
	v_cvt_f32_f16_e32 v1, v1
	s_delay_alu instid0(VALU_DEP_1)
	v_cvt_i32_f32_e32 v8, v1
.LBB23_258:
	s_mov_b32 s21, 0
.LBB23_259:
	s_delay_alu instid0(SALU_CYCLE_1)
	s_and_not1_b32 vcc_lo, exec_lo, s21
	s_cbranch_vccnz .LBB23_279
; %bb.260:
	s_cmp_lt_i32 s0, 2
	s_cbranch_scc1 .LBB23_264
; %bb.261:
	s_cmp_lt_i32 s0, 3
	s_cbranch_scc1 .LBB23_265
; %bb.262:
	s_cmp_gt_i32 s0, 3
	s_cbranch_scc0 .LBB23_266
; %bb.263:
	s_wait_loadcnt 0x0
	global_load_b64 v[8:9], v[6:7], off
	s_mov_b32 s21, 0
	s_branch .LBB23_267
.LBB23_264:
	s_mov_b32 s21, -1
                                        ; implicit-def: $vgpr8
	s_branch .LBB23_273
.LBB23_265:
	s_mov_b32 s21, -1
                                        ; implicit-def: $vgpr8
	s_branch .LBB23_270
.LBB23_266:
	s_mov_b32 s21, -1
                                        ; implicit-def: $vgpr8
.LBB23_267:
	s_delay_alu instid0(SALU_CYCLE_1)
	s_and_not1_b32 vcc_lo, exec_lo, s21
	s_cbranch_vccnz .LBB23_269
; %bb.268:
	s_wait_loadcnt 0x0
	global_load_b32 v8, v[6:7], off
.LBB23_269:
	s_mov_b32 s21, 0
.LBB23_270:
	s_delay_alu instid0(SALU_CYCLE_1)
	s_and_not1_b32 vcc_lo, exec_lo, s21
	s_cbranch_vccnz .LBB23_272
; %bb.271:
	s_wait_loadcnt 0x0
	global_load_u16 v8, v[6:7], off
.LBB23_272:
	s_mov_b32 s21, 0
.LBB23_273:
	s_delay_alu instid0(SALU_CYCLE_1)
	s_and_not1_b32 vcc_lo, exec_lo, s21
	s_cbranch_vccnz .LBB23_279
; %bb.274:
	s_cmp_gt_i32 s0, 0
	s_mov_b32 s0, 0
	s_cbranch_scc0 .LBB23_276
; %bb.275:
	s_wait_loadcnt 0x0
	global_load_u8 v8, v[6:7], off
	s_branch .LBB23_277
.LBB23_276:
	s_mov_b32 s0, -1
                                        ; implicit-def: $vgpr8
.LBB23_277:
	s_delay_alu instid0(SALU_CYCLE_1)
	s_and_not1_b32 vcc_lo, exec_lo, s0
	s_cbranch_vccnz .LBB23_279
; %bb.278:
	s_wait_loadcnt 0x0
	global_load_u8 v8, v[6:7], off
.LBB23_279:
	s_mov_b32 s31, -1
.LBB23_280:
	s_delay_alu instid0(SALU_CYCLE_1)
	s_and_not1_b32 vcc_lo, exec_lo, s31
	s_cbranch_vccnz .LBB23_288
; %bb.281:
	v_mov_b32_e32 v3, 0
	s_wait_loadcnt 0x0
	s_delay_alu instid0(VALU_DEP_4) | instskip(SKIP_1) | instid1(SALU_CYCLE_1)
	v_mul_lo_u16 v1, v4, s16
	s_and_b32 s21, s9, 0xff
	s_cmp_lt_i32 s21, 11
	v_add_nc_u64_e32 v[2:3], s[18:19], v[2:3]
	s_delay_alu instid0(VALU_DEP_2)
	v_mul_lo_u16 v1, v1, v8
	s_cbranch_scc1 .LBB23_289
; %bb.282:
	s_and_b32 s31, 0xffff, s21
	s_delay_alu instid0(SALU_CYCLE_1)
	s_cmp_gt_i32 s31, 25
	s_cbranch_scc0 .LBB23_290
; %bb.283:
	s_cmp_gt_i32 s31, 28
	s_cbranch_scc0 .LBB23_291
; %bb.284:
	;; [unrolled: 3-line block ×4, first 2 shown]
	s_mov_b32 s44, 0
	s_mov_b32 s0, -1
	s_cmp_eq_u32 s31, 46
	s_mov_b32 s43, 0
	s_cbranch_scc0 .LBB23_294
; %bb.287:
	v_cvt_f32_ubyte0_e32 v4, v1
	s_mov_b32 s43, -1
	s_mov_b32 s0, 0
	s_delay_alu instid0(VALU_DEP_1) | instskip(NEXT) | instid1(VALU_DEP_1)
	v_bfe_u32 v5, v4, 16, 1
	v_add3_u32 v4, v4, v5, 0x7fff
	s_delay_alu instid0(VALU_DEP_1)
	v_lshrrev_b32_e32 v4, 16, v4
	global_store_b32 v[2:3], v4, off
	s_branch .LBB23_294
.LBB23_288:
	s_mov_b32 s0, 0
	s_branch .LBB23_38
.LBB23_289:
	s_mov_b32 s31, -1
	s_mov_b32 s0, 0
	s_mov_b32 s43, 0
	s_branch .LBB23_363
.LBB23_290:
	s_mov_b32 s44, -1
	s_mov_b32 s0, 0
	s_mov_b32 s43, 0
	s_branch .LBB23_321
.LBB23_291:
	s_mov_b32 s44, -1
	s_mov_b32 s0, 0
	s_mov_b32 s43, 0
	s_branch .LBB23_304
.LBB23_292:
	s_mov_b32 s44, -1
	s_mov_b32 s0, 0
	s_mov_b32 s43, 0
	s_branch .LBB23_300
.LBB23_293:
	s_mov_b32 s44, -1
	s_mov_b32 s0, 0
	s_mov_b32 s43, 0
.LBB23_294:
	s_and_b32 vcc_lo, exec_lo, s44
	s_cbranch_vccz .LBB23_299
; %bb.295:
	s_cmp_eq_u32 s31, 44
	s_mov_b32 s0, -1
	s_cbranch_scc0 .LBB23_299
; %bb.296:
	v_cvt_f32_ubyte0_e32 v6, v1
	s_mov_b32 s43, exec_lo
	s_wait_xcnt 0x0
	s_delay_alu instid0(VALU_DEP_1) | instskip(NEXT) | instid1(VALU_DEP_1)
	v_dual_mov_b32 v5, 0xff :: v_dual_lshrrev_b32 v4, 23, v6
	v_cmpx_ne_u32_e32 0xff, v4
; %bb.297:
	v_and_b32_e32 v5, 0x400000, v6
	v_and_or_b32 v6, 0x3fffff, v6, v4
	s_delay_alu instid0(VALU_DEP_2) | instskip(NEXT) | instid1(VALU_DEP_2)
	v_cmp_ne_u32_e32 vcc_lo, 0, v5
	v_cmp_ne_u32_e64 s0, 0, v6
	s_and_b32 s0, vcc_lo, s0
	s_delay_alu instid0(SALU_CYCLE_1) | instskip(NEXT) | instid1(VALU_DEP_1)
	v_cndmask_b32_e64 v5, 0, 1, s0
	v_add_nc_u32_e32 v5, v4, v5
; %bb.298:
	s_or_b32 exec_lo, exec_lo, s43
	s_mov_b32 s43, -1
	s_mov_b32 s0, 0
	global_store_b8 v[2:3], v5, off
.LBB23_299:
	s_mov_b32 s44, 0
.LBB23_300:
	s_delay_alu instid0(SALU_CYCLE_1)
	s_and_b32 vcc_lo, exec_lo, s44
	s_cbranch_vccz .LBB23_303
; %bb.301:
	s_cmp_eq_u32 s31, 29
	s_mov_b32 s0, -1
	s_cbranch_scc0 .LBB23_303
; %bb.302:
	s_wait_xcnt 0x0
	v_and_b32_e32 v4, 0xff, v1
	v_mov_b32_e32 v5, 0
	s_mov_b32 s43, -1
	s_mov_b32 s0, 0
	s_mov_b32 s44, 0
	global_store_b64 v[2:3], v[4:5], off
	s_branch .LBB23_304
.LBB23_303:
	s_mov_b32 s44, 0
.LBB23_304:
	s_delay_alu instid0(SALU_CYCLE_1)
	s_and_b32 vcc_lo, exec_lo, s44
	s_cbranch_vccz .LBB23_320
; %bb.305:
	s_cmp_lt_i32 s31, 27
	s_mov_b32 s43, -1
	s_cbranch_scc1 .LBB23_311
; %bb.306:
	s_cmp_gt_i32 s31, 27
	s_cbranch_scc0 .LBB23_308
; %bb.307:
	s_wait_xcnt 0x0
	v_and_b32_e32 v4, 0xff, v1
	s_mov_b32 s43, 0
	global_store_b32 v[2:3], v4, off
.LBB23_308:
	s_and_not1_b32 vcc_lo, exec_lo, s43
	s_cbranch_vccnz .LBB23_310
; %bb.309:
	s_wait_xcnt 0x0
	v_and_b32_e32 v4, 0xff, v1
	global_store_b16 v[2:3], v4, off
.LBB23_310:
	s_mov_b32 s43, 0
.LBB23_311:
	s_delay_alu instid0(SALU_CYCLE_1)
	s_and_not1_b32 vcc_lo, exec_lo, s43
	s_cbranch_vccnz .LBB23_319
; %bb.312:
	s_wait_xcnt 0x0
	v_cvt_f32_ubyte0_e32 v5, v1
	v_mov_b32_e32 v6, 0x80
	s_mov_b32 s43, exec_lo
	s_delay_alu instid0(VALU_DEP_2)
	v_cmpx_gt_u32_e32 0x43800000, v5
	s_cbranch_execz .LBB23_318
; %bb.313:
	s_mov_b32 s44, 0
	s_mov_b32 s45, exec_lo
                                        ; implicit-def: $vgpr4
	v_cmpx_lt_u32_e32 0x3bffffff, v5
	s_xor_b32 s45, exec_lo, s45
	s_cbranch_execz .LBB23_450
; %bb.314:
	v_bfe_u32 v4, v5, 20, 1
	s_mov_b32 s44, exec_lo
	s_delay_alu instid0(VALU_DEP_1) | instskip(NEXT) | instid1(VALU_DEP_1)
	v_add3_u32 v4, v5, v4, 0x487ffff
                                        ; implicit-def: $vgpr5
	v_lshrrev_b32_e32 v4, 20, v4
	s_and_not1_saveexec_b32 s45, s45
	s_cbranch_execnz .LBB23_451
.LBB23_315:
	s_or_b32 exec_lo, exec_lo, s45
	v_mov_b32_e32 v6, 0
	s_and_saveexec_b32 s45, s44
.LBB23_316:
	v_mov_b32_e32 v6, v4
.LBB23_317:
	s_or_b32 exec_lo, exec_lo, s45
.LBB23_318:
	s_delay_alu instid0(SALU_CYCLE_1)
	s_or_b32 exec_lo, exec_lo, s43
	global_store_b8 v[2:3], v6, off
.LBB23_319:
	s_mov_b32 s43, -1
.LBB23_320:
	s_mov_b32 s44, 0
.LBB23_321:
	s_delay_alu instid0(SALU_CYCLE_1)
	s_and_b32 vcc_lo, exec_lo, s44
	s_cbranch_vccz .LBB23_362
; %bb.322:
	s_cmp_gt_i32 s31, 22
	s_mov_b32 s44, -1
	s_cbranch_scc0 .LBB23_354
; %bb.323:
	s_cmp_lt_i32 s31, 24
	s_mov_b32 s43, -1
	s_cbranch_scc1 .LBB23_343
; %bb.324:
	s_cmp_gt_i32 s31, 24
	s_cbranch_scc0 .LBB23_332
; %bb.325:
	s_wait_xcnt 0x0
	v_cvt_f32_ubyte0_e32 v5, v1
	v_mov_b32_e32 v6, 0x80
	s_mov_b32 s43, exec_lo
	s_delay_alu instid0(VALU_DEP_2)
	v_cmpx_gt_u32_e32 0x47800000, v5
	s_cbranch_execz .LBB23_331
; %bb.326:
	s_mov_b32 s44, 0
	s_mov_b32 s45, exec_lo
                                        ; implicit-def: $vgpr4
	v_cmpx_lt_u32_e32 0x37ffffff, v5
	s_xor_b32 s45, exec_lo, s45
	s_cbranch_execz .LBB23_577
; %bb.327:
	v_bfe_u32 v4, v5, 21, 1
	s_mov_b32 s44, exec_lo
	s_delay_alu instid0(VALU_DEP_1) | instskip(NEXT) | instid1(VALU_DEP_1)
	v_add3_u32 v4, v5, v4, 0x88fffff
                                        ; implicit-def: $vgpr5
	v_lshrrev_b32_e32 v4, 21, v4
	s_and_not1_saveexec_b32 s45, s45
	s_cbranch_execnz .LBB23_578
.LBB23_328:
	s_or_b32 exec_lo, exec_lo, s45
	v_mov_b32_e32 v6, 0
	s_and_saveexec_b32 s45, s44
.LBB23_329:
	v_mov_b32_e32 v6, v4
.LBB23_330:
	s_or_b32 exec_lo, exec_lo, s45
.LBB23_331:
	s_delay_alu instid0(SALU_CYCLE_1)
	s_or_b32 exec_lo, exec_lo, s43
	s_mov_b32 s43, 0
	global_store_b8 v[2:3], v6, off
.LBB23_332:
	s_and_b32 vcc_lo, exec_lo, s43
	s_cbranch_vccz .LBB23_342
; %bb.333:
	s_wait_xcnt 0x0
	v_cvt_f32_ubyte0_e32 v5, v1
	s_mov_b32 s43, exec_lo
                                        ; implicit-def: $vgpr4
	s_delay_alu instid0(VALU_DEP_1)
	v_cmpx_gt_u32_e32 0x43f00000, v5
	s_xor_b32 s43, exec_lo, s43
	s_cbranch_execz .LBB23_339
; %bb.334:
	s_mov_b32 s44, exec_lo
                                        ; implicit-def: $vgpr4
	v_cmpx_lt_u32_e32 0x3c7fffff, v5
	s_xor_b32 s44, exec_lo, s44
; %bb.335:
	v_bfe_u32 v4, v5, 20, 1
	s_delay_alu instid0(VALU_DEP_1) | instskip(NEXT) | instid1(VALU_DEP_1)
	v_add3_u32 v4, v5, v4, 0x407ffff
	v_and_b32_e32 v5, 0xff00000, v4
	v_lshrrev_b32_e32 v4, 20, v4
	s_delay_alu instid0(VALU_DEP_2) | instskip(NEXT) | instid1(VALU_DEP_2)
	v_cmp_ne_u32_e32 vcc_lo, 0x7f00000, v5
                                        ; implicit-def: $vgpr5
	v_cndmask_b32_e32 v4, 0x7e, v4, vcc_lo
; %bb.336:
	s_and_not1_saveexec_b32 s44, s44
; %bb.337:
	v_add_f32_e32 v4, 0x46800000, v5
; %bb.338:
	s_or_b32 exec_lo, exec_lo, s44
                                        ; implicit-def: $vgpr5
.LBB23_339:
	s_and_not1_saveexec_b32 s43, s43
; %bb.340:
	v_mov_b32_e32 v4, 0x7f
	v_cmp_lt_u32_e32 vcc_lo, 0x7f800000, v5
	s_delay_alu instid0(VALU_DEP_2)
	v_cndmask_b32_e32 v4, 0x7e, v4, vcc_lo
; %bb.341:
	s_or_b32 exec_lo, exec_lo, s43
	global_store_b8 v[2:3], v4, off
.LBB23_342:
	s_mov_b32 s43, 0
.LBB23_343:
	s_delay_alu instid0(SALU_CYCLE_1)
	s_and_not1_b32 vcc_lo, exec_lo, s43
	s_cbranch_vccnz .LBB23_353
; %bb.344:
	s_wait_xcnt 0x0
	v_cvt_f32_ubyte0_e32 v5, v1
	s_mov_b32 s43, exec_lo
                                        ; implicit-def: $vgpr4
	s_delay_alu instid0(VALU_DEP_1)
	v_cmpx_gt_u32_e32 0x47800000, v5
	s_xor_b32 s43, exec_lo, s43
	s_cbranch_execz .LBB23_350
; %bb.345:
	s_mov_b32 s44, exec_lo
                                        ; implicit-def: $vgpr4
	v_cmpx_lt_u32_e32 0x387fffff, v5
	s_xor_b32 s44, exec_lo, s44
; %bb.346:
	v_bfe_u32 v4, v5, 21, 1
	s_delay_alu instid0(VALU_DEP_1) | instskip(NEXT) | instid1(VALU_DEP_1)
	v_add3_u32 v4, v5, v4, 0x80fffff
                                        ; implicit-def: $vgpr5
	v_lshrrev_b32_e32 v4, 21, v4
; %bb.347:
	s_and_not1_saveexec_b32 s44, s44
; %bb.348:
	v_add_f32_e32 v4, 0x43000000, v5
; %bb.349:
	s_or_b32 exec_lo, exec_lo, s44
                                        ; implicit-def: $vgpr5
.LBB23_350:
	s_and_not1_saveexec_b32 s43, s43
; %bb.351:
	v_mov_b32_e32 v4, 0x7f
	v_cmp_lt_u32_e32 vcc_lo, 0x7f800000, v5
	s_delay_alu instid0(VALU_DEP_2)
	v_cndmask_b32_e32 v4, 0x7c, v4, vcc_lo
; %bb.352:
	s_or_b32 exec_lo, exec_lo, s43
	global_store_b8 v[2:3], v4, off
.LBB23_353:
	s_mov_b32 s44, 0
	s_mov_b32 s43, -1
.LBB23_354:
	s_and_not1_b32 vcc_lo, exec_lo, s44
	s_cbranch_vccnz .LBB23_362
; %bb.355:
	s_cmp_gt_i32 s31, 14
	s_mov_b32 s44, -1
	s_cbranch_scc0 .LBB23_359
; %bb.356:
	s_cmp_eq_u32 s31, 15
	s_mov_b32 s0, -1
	s_cbranch_scc0 .LBB23_358
; %bb.357:
	s_wait_xcnt 0x0
	v_cvt_f32_ubyte0_e32 v4, v1
	s_mov_b32 s43, -1
	s_mov_b32 s0, 0
	s_delay_alu instid0(VALU_DEP_1) | instskip(NEXT) | instid1(VALU_DEP_1)
	v_bfe_u32 v5, v4, 16, 1
	v_add3_u32 v4, v4, v5, 0x7fff
	global_store_d16_hi_b16 v[2:3], v4, off
.LBB23_358:
	s_mov_b32 s44, 0
.LBB23_359:
	s_delay_alu instid0(SALU_CYCLE_1)
	s_and_b32 vcc_lo, exec_lo, s44
	s_cbranch_vccz .LBB23_362
; %bb.360:
	s_cmp_eq_u32 s31, 11
	s_mov_b32 s0, -1
	s_cbranch_scc0 .LBB23_362
; %bb.361:
	s_wait_xcnt 0x0
	v_and_b32_e32 v4, 0xff, v1
	s_mov_b32 s0, 0
	s_mov_b32 s43, -1
	s_delay_alu instid0(VALU_DEP_1)
	v_cmp_ne_u16_e32 vcc_lo, 0, v4
	v_cndmask_b32_e64 v4, 0, 1, vcc_lo
	global_store_b8 v[2:3], v4, off
.LBB23_362:
	s_mov_b32 s31, 0
.LBB23_363:
	s_delay_alu instid0(SALU_CYCLE_1)
	s_and_b32 vcc_lo, exec_lo, s31
	s_cbranch_vccz .LBB23_402
; %bb.364:
	s_and_b32 s21, 0xffff, s21
	s_mov_b32 s31, -1
	s_cmp_lt_i32 s21, 5
	s_cbranch_scc1 .LBB23_385
; %bb.365:
	s_cmp_lt_i32 s21, 8
	s_cbranch_scc1 .LBB23_375
; %bb.366:
	;; [unrolled: 3-line block ×3, first 2 shown]
	s_cmp_gt_i32 s21, 9
	s_cbranch_scc0 .LBB23_369
; %bb.368:
	s_wait_xcnt 0x0
	v_and_b32_e32 v4, 0xff, v1
	v_mov_b32_e32 v6, 0
	s_mov_b32 s31, 0
	s_delay_alu instid0(VALU_DEP_2) | instskip(NEXT) | instid1(VALU_DEP_2)
	v_and_b32_e32 v4, 0xffff, v4
	v_mov_b32_e32 v7, v6
	s_delay_alu instid0(VALU_DEP_2)
	v_cvt_f64_u32_e32 v[4:5], v4
	global_store_b128 v[2:3], v[4:7], off
.LBB23_369:
	s_and_not1_b32 vcc_lo, exec_lo, s31
	s_cbranch_vccnz .LBB23_371
; %bb.370:
	s_wait_xcnt 0x0
	v_cvt_f32_ubyte0_e32 v4, v1
	v_mov_b32_e32 v5, 0
	global_store_b64 v[2:3], v[4:5], off
.LBB23_371:
	s_mov_b32 s31, 0
.LBB23_372:
	s_delay_alu instid0(SALU_CYCLE_1)
	s_and_not1_b32 vcc_lo, exec_lo, s31
	s_cbranch_vccnz .LBB23_374
; %bb.373:
	s_wait_xcnt 0x0
	v_and_b32_e32 v4, 0xff, v1
	s_delay_alu instid0(VALU_DEP_1) | instskip(NEXT) | instid1(VALU_DEP_1)
	v_cvt_f16_u16_e32 v4, v4
	v_and_b32_e32 v4, 0xffff, v4
	global_store_b32 v[2:3], v4, off
.LBB23_374:
	s_mov_b32 s31, 0
.LBB23_375:
	s_delay_alu instid0(SALU_CYCLE_1)
	s_and_not1_b32 vcc_lo, exec_lo, s31
	s_cbranch_vccnz .LBB23_384
; %bb.376:
	s_cmp_lt_i32 s21, 6
	s_mov_b32 s31, -1
	s_cbranch_scc1 .LBB23_382
; %bb.377:
	s_cmp_gt_i32 s21, 6
	s_cbranch_scc0 .LBB23_379
; %bb.378:
	s_wait_xcnt 0x0
	v_and_b32_e32 v4, 0xff, v1
	s_mov_b32 s31, 0
	s_delay_alu instid0(VALU_DEP_1) | instskip(NEXT) | instid1(VALU_DEP_1)
	v_and_b32_e32 v4, 0xffff, v4
	v_cvt_f64_u32_e32 v[4:5], v4
	global_store_b64 v[2:3], v[4:5], off
.LBB23_379:
	s_and_not1_b32 vcc_lo, exec_lo, s31
	s_cbranch_vccnz .LBB23_381
; %bb.380:
	s_wait_xcnt 0x0
	v_cvt_f32_ubyte0_e32 v4, v1
	global_store_b32 v[2:3], v4, off
.LBB23_381:
	s_mov_b32 s31, 0
.LBB23_382:
	s_delay_alu instid0(SALU_CYCLE_1)
	s_and_not1_b32 vcc_lo, exec_lo, s31
	s_cbranch_vccnz .LBB23_384
; %bb.383:
	s_wait_xcnt 0x0
	v_and_b32_e32 v4, 0xff, v1
	s_delay_alu instid0(VALU_DEP_1)
	v_cvt_f16_u16_e32 v4, v4
	global_store_b16 v[2:3], v4, off
.LBB23_384:
	s_mov_b32 s31, 0
.LBB23_385:
	s_delay_alu instid0(SALU_CYCLE_1)
	s_and_not1_b32 vcc_lo, exec_lo, s31
	s_cbranch_vccnz .LBB23_401
; %bb.386:
	s_cmp_lt_i32 s21, 2
	s_mov_b32 s31, -1
	s_cbranch_scc1 .LBB23_396
; %bb.387:
	s_cmp_lt_i32 s21, 3
	s_cbranch_scc1 .LBB23_393
; %bb.388:
	s_cmp_gt_i32 s21, 3
	s_cbranch_scc0 .LBB23_390
; %bb.389:
	s_wait_xcnt 0x0
	v_and_b32_e32 v4, 0xff, v1
	v_mov_b32_e32 v5, 0
	s_mov_b32 s31, 0
	global_store_b64 v[2:3], v[4:5], off
.LBB23_390:
	s_and_not1_b32 vcc_lo, exec_lo, s31
	s_cbranch_vccnz .LBB23_392
; %bb.391:
	s_wait_xcnt 0x0
	v_and_b32_e32 v4, 0xff, v1
	global_store_b32 v[2:3], v4, off
.LBB23_392:
	s_mov_b32 s31, 0
.LBB23_393:
	s_delay_alu instid0(SALU_CYCLE_1)
	s_and_not1_b32 vcc_lo, exec_lo, s31
	s_cbranch_vccnz .LBB23_395
; %bb.394:
	s_wait_xcnt 0x0
	v_and_b32_e32 v4, 0xff, v1
	global_store_b16 v[2:3], v4, off
.LBB23_395:
	s_mov_b32 s31, 0
.LBB23_396:
	s_delay_alu instid0(SALU_CYCLE_1)
	s_and_not1_b32 vcc_lo, exec_lo, s31
	s_cbranch_vccnz .LBB23_401
; %bb.397:
	s_cmp_gt_i32 s21, 0
	s_mov_b32 s21, -1
	s_cbranch_scc0 .LBB23_399
; %bb.398:
	s_mov_b32 s21, 0
	global_store_b8 v[2:3], v1, off
.LBB23_399:
	s_and_not1_b32 vcc_lo, exec_lo, s21
	s_cbranch_vccnz .LBB23_401
; %bb.400:
	global_store_b8 v[2:3], v1, off
.LBB23_401:
	s_mov_b32 s43, -1
.LBB23_402:
	s_delay_alu instid0(SALU_CYCLE_1)
	s_and_not1_b32 vcc_lo, exec_lo, s43
	s_cbranch_vccnz .LBB23_38
; %bb.403:
	v_add_nc_u32_e32 v0, 0x80, v0
	s_mov_b32 s31, -1
.LBB23_404:
	s_and_b32 s21, s0, exec_lo
	s_and_b32 s43, s30, exec_lo
	;; [unrolled: 1-line block ×4, first 2 shown]
	s_or_not1_b32 s28, s31, exec_lo
.LBB23_405:
	s_wait_xcnt 0x0
	s_or_b32 exec_lo, exec_lo, s46
                                        ; implicit-def: $vgpr4
                                        ; implicit-def: $vgpr8
                                        ; implicit-def: $vgpr2
	s_and_saveexec_b32 s46, s28
	s_cbranch_execz .LBB23_1267
; %bb.406:
	s_mov_b32 s28, -1
	s_mov_b32 s47, s45
	s_mov_b32 s50, s44
	;; [unrolled: 1-line block ×4, first 2 shown]
	s_mov_b32 s51, exec_lo
	v_cmpx_gt_i32_e64 s41, v0
	s_cbranch_execz .LBB23_816
; %bb.407:
	s_and_not1_b32 vcc_lo, exec_lo, s35
	s_cbranch_vccnz .LBB23_413
; %bb.408:
	s_and_not1_b32 vcc_lo, exec_lo, s42
	s_cbranch_vccnz .LBB23_414
; %bb.409:
	v_dual_mov_b32 v2, 0 :: v_dual_mov_b32 v1, v0
	s_wait_loadcnt 0x0
	v_dual_mov_b32 v4, 0 :: v_dual_mov_b32 v6, 0
	s_add_co_i32 s0, s40, 1
	s_mov_b64 s[28:29], 0xffffffffffffffe0
	s_and_b32 s0, s0, 30
	s_add_nc_u64 s[28:29], s[2:3], s[28:29]
	s_mov_b64 s[30:31], s[2:3]
.LBB23_410:                             ; =>This Inner Loop Header: Depth=1
	s_clause 0x1
	s_load_b128 s[52:55], s[30:31], 0x4
	s_load_b64 s[56:57], s[30:31], 0x14
	s_clause 0x1
	s_load_b32 s47, s[28:29], 0xe4
	s_load_b96 s[48:50], s[28:29], 0xec
	s_add_co_i32 s0, s0, -2
	s_wait_xcnt 0x0
	s_add_nc_u64 s[30:31], s[30:31], 24
	s_cmp_eq_u32 s0, 0
	s_wait_kmcnt 0x0
	v_mul_hi_u32 v3, s53, v1
	s_delay_alu instid0(VALU_DEP_1) | instskip(NEXT) | instid1(VALU_DEP_1)
	v_add_nc_u32_e32 v3, v1, v3
	v_lshrrev_b32_e32 v3, s54, v3
	s_delay_alu instid0(VALU_DEP_1) | instskip(SKIP_4) | instid1(VALU_DEP_1)
	v_mul_hi_u32 v5, s56, v3
	v_mul_lo_u32 v7, v3, s52
	s_load_b64 s[52:53], s[28:29], 0xfc
	s_wait_xcnt 0x0
	s_add_nc_u64 s[28:29], s[28:29], 32
	v_dual_add_nc_u32 v5, v3, v5 :: v_dual_sub_nc_u32 v7, v1, v7
	s_delay_alu instid0(VALU_DEP_1) | instskip(NEXT) | instid1(VALU_DEP_2)
	v_lshrrev_b32_e32 v1, s57, v5
	v_mad_u32 v2, v7, s47, v2
	v_mad_u32 v6, v7, s49, v6
	;; [unrolled: 1-line block ×3, first 2 shown]
	s_delay_alu instid0(VALU_DEP_4) | instskip(NEXT) | instid1(VALU_DEP_1)
	v_mul_lo_u32 v5, v1, s55
	v_sub_nc_u32_e32 v3, v3, v5
	s_delay_alu instid0(VALU_DEP_1)
	v_mad_u32 v2, v3, s50, v2
	s_wait_kmcnt 0x0
	v_mad_u32 v6, v3, s53, v6
	v_mad_u32 v4, v3, s52, v4
	s_cbranch_scc0 .LBB23_410
; %bb.411:
	s_bitcmp1_b32 s40, 0
	s_cselect_b32 s0, -1, 0
	s_delay_alu instid0(SALU_CYCLE_1)
	s_and_b32 vcc_lo, exec_lo, s0
	s_cbranch_vccnz .LBB23_415
; %bb.412:
	s_load_b96 s[48:50], s[30:31], 0x4
	s_load_b32 s0, s[28:29], 0xe4
	s_wait_xcnt 0x0
	s_load_b64 s[30:31], s[28:29], 0xec
	s_wait_kmcnt 0x0
	v_mul_hi_u32 v3, s49, v1
	s_delay_alu instid0(VALU_DEP_1) | instskip(NEXT) | instid1(VALU_DEP_1)
	v_add_nc_u32_e32 v3, v1, v3
	v_lshrrev_b32_e32 v3, s50, v3
	s_delay_alu instid0(VALU_DEP_1) | instskip(NEXT) | instid1(VALU_DEP_1)
	v_mul_lo_u32 v3, v3, s48
	v_sub_nc_u32_e32 v1, v1, v3
	s_delay_alu instid0(VALU_DEP_1)
	v_mad_u32 v2, v1, s0, v2
	v_mad_u32 v4, v1, s30, v4
	v_mad_u32 v6, v1, s31, v6
	s_branch .LBB23_415
.LBB23_413:
                                        ; implicit-def: $vgpr6
                                        ; implicit-def: $vgpr4
                                        ; implicit-def: $vgpr2
	s_branch .LBB23_416
.LBB23_414:
	s_wait_loadcnt 0x0
	v_dual_mov_b32 v6, 0 :: v_dual_mov_b32 v4, 0
	v_mov_b32_e32 v2, 0
.LBB23_415:
	s_cbranch_execnz .LBB23_418
.LBB23_416:
	v_mov_b32_e32 v1, 0
	s_and_not1_b32 vcc_lo, exec_lo, s39
	s_delay_alu instid0(VALU_DEP_1) | instskip(NEXT) | instid1(VALU_DEP_1)
	v_mul_u64_e32 v[2:3], s[22:23], v[0:1]
	v_add_nc_u32_e32 v2, v0, v3
	s_wait_loadcnt 0x0
	s_delay_alu instid0(VALU_DEP_1) | instskip(NEXT) | instid1(VALU_DEP_1)
	v_lshrrev_b32_e32 v8, s10, v2
	v_mul_lo_u32 v2, v8, s8
	s_delay_alu instid0(VALU_DEP_1) | instskip(NEXT) | instid1(VALU_DEP_1)
	v_sub_nc_u32_e32 v3, v0, v2
	v_mul_lo_u32 v2, v3, s38
	v_mul_lo_u32 v6, v3, s13
	;; [unrolled: 1-line block ×3, first 2 shown]
	s_cbranch_vccnz .LBB23_418
; %bb.417:
	v_mov_b32_e32 v9, v1
	s_delay_alu instid0(VALU_DEP_1) | instskip(NEXT) | instid1(VALU_DEP_1)
	v_mul_u64_e32 v[10:11], s[26:27], v[8:9]
	v_add_nc_u32_e32 v1, v8, v11
	s_delay_alu instid0(VALU_DEP_1) | instskip(NEXT) | instid1(VALU_DEP_1)
	v_lshrrev_b32_e32 v1, s1, v1
	v_mul_lo_u32 v1, v1, s11
	s_delay_alu instid0(VALU_DEP_1) | instskip(NEXT) | instid1(VALU_DEP_1)
	v_sub_nc_u32_e32 v1, v8, v1
	v_mad_u32 v2, v1, s14, v2
	v_mad_u32 v4, v1, s24, v4
	;; [unrolled: 1-line block ×3, first 2 shown]
.LBB23_418:
	s_and_b32 s28, s37, 0xff
	s_delay_alu instid0(SALU_CYCLE_1)
	s_cmp_lt_i32 s28, 23
	s_cbranch_scc1 .LBB23_422
; %bb.419:
	s_and_b32 s30, 0xffff, s28
	s_delay_alu instid0(SALU_CYCLE_1)
	s_cmp_gt_i32 s30, 43
	s_cbranch_scc0 .LBB23_423
; %bb.420:
	s_cmp_gt_i32 s30, 45
	s_cbranch_scc0 .LBB23_424
; %bb.421:
	s_cmp_eq_u32 s30, 46
	s_mov_b32 s31, 0
	s_cselect_b32 s0, -1, 0
	s_or_b32 s29, s45, exec_lo
	s_branch .LBB23_425
.LBB23_422:
	s_mov_b32 s0, 0
	s_mov_b32 s29, s45
	s_cbranch_execnz .LBB23_431
	s_branch .LBB23_435
.LBB23_423:
	s_mov_b32 s31, -1
	s_mov_b32 s0, 0
	s_mov_b32 s29, s45
	s_branch .LBB23_428
.LBB23_424:
	s_mov_b32 s31, -1
	s_mov_b32 s0, 0
	s_mov_b32 s29, s45
.LBB23_425:
	s_and_not1_b32 vcc_lo, exec_lo, s31
	s_cbranch_vccnz .LBB23_427
; %bb.426:
	s_cmp_eq_u32 s30, 44
	s_cselect_b32 s0, -1, 0
	s_cmp_lg_u32 s30, 44
	s_cselect_b32 s31, -1, 0
	s_and_not1_b32 s29, s29, exec_lo
	s_and_b32 s31, s31, exec_lo
	s_delay_alu instid0(SALU_CYCLE_1)
	s_or_b32 s29, s29, s31
.LBB23_427:
	s_mov_b32 s31, 0
.LBB23_428:
	s_delay_alu instid0(SALU_CYCLE_1)
	s_and_b32 vcc_lo, exec_lo, s31
	s_cbranch_vccz .LBB23_430
; %bb.429:
	s_cmp_lt_i32 s30, 30
	s_cselect_b32 s0, -1, 0
	s_cmp_gt_i32 s30, 29
	s_cselect_b32 s30, -1, 0
	s_and_not1_b32 s29, s29, exec_lo
	s_and_b32 s30, s30, exec_lo
	s_delay_alu instid0(SALU_CYCLE_1)
	s_or_b32 s29, s29, s30
.LBB23_430:
	s_branch .LBB23_435
.LBB23_431:
	s_and_b32 s28, 0xffff, s28
	s_mov_b32 s30, -1
	s_cmp_gt_i32 s28, 14
	s_cbranch_scc0 .LBB23_433
; %bb.432:
	s_cmp_eq_u32 s28, 15
	s_cselect_b32 s0, -1, 0
	s_cmp_lg_u32 s28, 15
	s_cselect_b32 s30, -1, 0
	s_and_not1_b32 s29, s29, exec_lo
	s_and_b32 s31, s30, exec_lo
	s_mov_b32 s30, 0
	s_or_b32 s29, s29, s31
.LBB23_433:
	s_and_not1_b32 vcc_lo, exec_lo, s30
	s_cbranch_vccnz .LBB23_435
; %bb.434:
	s_cmp_lt_i32 s28, 12
	s_cselect_b32 s0, -1, 0
	s_cmp_gt_i32 s28, 11
	s_cselect_b32 s28, -1, 0
	s_and_not1_b32 s29, s29, exec_lo
	s_and_b32 s28, s28, exec_lo
	s_delay_alu instid0(SALU_CYCLE_1)
	s_or_b32 s29, s29, s28
.LBB23_435:
	s_and_b32 vcc_lo, exec_lo, s0
	s_cbranch_vccz .LBB23_443
; %bb.436:
	s_wait_loadcnt 0x0
	v_mov_b32_e32 v5, 0
	s_and_b32 s0, s20, 0xff
	s_delay_alu instid0(SALU_CYCLE_1) | instskip(NEXT) | instid1(VALU_DEP_1)
	s_cmp_lt_i32 s0, 11
	v_add_nc_u64_e32 v[8:9], s[4:5], v[4:5]
	s_cbranch_scc1 .LBB23_445
; %bb.437:
	s_and_b32 s29, 0xffff, s0
	s_delay_alu instid0(SALU_CYCLE_1)
	s_cmp_gt_i32 s29, 25
	s_cbranch_scc0 .LBB23_446
; %bb.438:
	s_cmp_gt_i32 s29, 28
	s_cbranch_scc0 .LBB23_447
; %bb.439:
	;; [unrolled: 3-line block ×4, first 2 shown]
	s_cmp_eq_u32 s29, 46
	s_mov_b32 s31, 0
	s_cbranch_scc0 .LBB23_452
; %bb.442:
	global_load_b32 v1, v[8:9], off
	s_mov_b32 s30, -1
	s_mov_b32 s28, 0
	s_wait_loadcnt 0x0
	v_lshlrev_b32_e32 v1, 16, v1
	s_delay_alu instid0(VALU_DEP_1) | instskip(NEXT) | instid1(VALU_DEP_1)
	v_trunc_f32_e32 v1, v1
	v_mul_f32_e64 v3, 0x2f800000, |v1|
	s_delay_alu instid0(VALU_DEP_1) | instskip(NEXT) | instid1(VALU_DEP_1)
	v_floor_f32_e32 v3, v3
	v_fma_f32 v3, 0xcf800000, v3, |v1|
	v_ashrrev_i32_e32 v1, 31, v1
	s_delay_alu instid0(VALU_DEP_2) | instskip(NEXT) | instid1(VALU_DEP_1)
	v_cvt_u32_f32_e32 v3, v3
	v_xor_b32_e32 v3, v3, v1
	s_delay_alu instid0(VALU_DEP_1)
	v_sub_nc_u32_e32 v4, v3, v1
	s_branch .LBB23_454
.LBB23_443:
	s_mov_b32 s31, 0
	s_mov_b32 s0, s21
	;; [unrolled: 1-line block ×4, first 2 shown]
.LBB23_444:
                                        ; implicit-def: $vgpr0
	s_branch .LBB23_815
.LBB23_445:
	s_mov_b32 s29, -1
	s_mov_b32 s30, 0
	s_mov_b32 s28, s44
                                        ; implicit-def: $vgpr4
	s_branch .LBB23_515
.LBB23_446:
	s_mov_b32 s31, -1
	s_mov_b32 s30, 0
	s_mov_b32 s28, s44
                                        ; implicit-def: $vgpr4
	s_branch .LBB23_481
.LBB23_447:
	s_mov_b32 s31, -1
	s_mov_b32 s30, 0
	s_mov_b32 s28, s44
                                        ; implicit-def: $vgpr4
	s_branch .LBB23_464
.LBB23_448:
	s_mov_b32 s31, -1
	s_mov_b32 s30, 0
	s_mov_b32 s28, s44
                                        ; implicit-def: $vgpr4
	s_branch .LBB23_459
.LBB23_449:
	s_mov_b32 s31, -1
	s_mov_b32 s30, 0
	s_mov_b32 s28, s44
	s_branch .LBB23_453
.LBB23_450:
	s_and_not1_saveexec_b32 s45, s45
	s_cbranch_execz .LBB23_315
.LBB23_451:
	v_add_f32_e32 v4, 0x46000000, v5
	s_and_not1_b32 s44, s44, exec_lo
	s_delay_alu instid0(VALU_DEP_1) | instskip(NEXT) | instid1(VALU_DEP_1)
	v_and_b32_e32 v4, 0xff, v4
	v_cmp_ne_u32_e32 vcc_lo, 0, v4
	s_and_b32 s47, vcc_lo, exec_lo
	s_delay_alu instid0(SALU_CYCLE_1)
	s_or_b32 s44, s44, s47
	s_or_b32 exec_lo, exec_lo, s45
	v_mov_b32_e32 v6, 0
	s_and_saveexec_b32 s45, s44
	s_cbranch_execnz .LBB23_316
	s_branch .LBB23_317
.LBB23_452:
	s_mov_b32 s28, -1
	s_mov_b32 s30, 0
.LBB23_453:
                                        ; implicit-def: $vgpr4
.LBB23_454:
	s_and_b32 vcc_lo, exec_lo, s31
	s_cbranch_vccz .LBB23_458
; %bb.455:
	s_cmp_eq_u32 s29, 44
	s_cbranch_scc0 .LBB23_457
; %bb.456:
	global_load_u8 v1, v[8:9], off
	s_mov_b32 s28, 0
	s_mov_b32 s30, -1
	s_wait_loadcnt 0x0
	v_lshlrev_b32_e32 v3, 23, v1
	v_cmp_ne_u32_e32 vcc_lo, 0, v1
	s_delay_alu instid0(VALU_DEP_2) | instskip(NEXT) | instid1(VALU_DEP_1)
	v_trunc_f32_e32 v3, v3
	v_mul_f32_e64 v4, 0x2f800000, |v3|
	s_delay_alu instid0(VALU_DEP_1) | instskip(NEXT) | instid1(VALU_DEP_1)
	v_floor_f32_e32 v4, v4
	v_fma_f32 v4, 0xcf800000, v4, |v3|
	v_ashrrev_i32_e32 v3, 31, v3
	s_delay_alu instid0(VALU_DEP_2) | instskip(NEXT) | instid1(VALU_DEP_1)
	v_cvt_u32_f32_e32 v4, v4
	v_xor_b32_e32 v4, v4, v3
	s_delay_alu instid0(VALU_DEP_1) | instskip(NEXT) | instid1(VALU_DEP_1)
	v_sub_nc_u32_e32 v3, v4, v3
	v_cndmask_b32_e32 v4, 0, v3, vcc_lo
	s_branch .LBB23_458
.LBB23_457:
	s_mov_b32 s28, -1
                                        ; implicit-def: $vgpr4
.LBB23_458:
	s_mov_b32 s31, 0
.LBB23_459:
	s_delay_alu instid0(SALU_CYCLE_1)
	s_and_b32 vcc_lo, exec_lo, s31
	s_cbranch_vccz .LBB23_463
; %bb.460:
	s_cmp_eq_u32 s29, 29
	s_cbranch_scc0 .LBB23_462
; %bb.461:
	global_load_b64 v[4:5], v[8:9], off
	s_mov_b32 s30, -1
	s_mov_b32 s28, 0
	s_branch .LBB23_463
.LBB23_462:
	s_mov_b32 s28, -1
                                        ; implicit-def: $vgpr4
.LBB23_463:
	s_mov_b32 s31, 0
.LBB23_464:
	s_delay_alu instid0(SALU_CYCLE_1)
	s_and_b32 vcc_lo, exec_lo, s31
	s_cbranch_vccz .LBB23_480
; %bb.465:
	s_cmp_lt_i32 s29, 27
	s_cbranch_scc1 .LBB23_468
; %bb.466:
	s_cmp_gt_i32 s29, 27
	s_cbranch_scc0 .LBB23_469
; %bb.467:
	s_wait_loadcnt 0x0
	global_load_b32 v4, v[8:9], off
	s_mov_b32 s30, 0
	s_branch .LBB23_470
.LBB23_468:
	s_mov_b32 s30, -1
                                        ; implicit-def: $vgpr4
	s_branch .LBB23_473
.LBB23_469:
	s_mov_b32 s30, -1
                                        ; implicit-def: $vgpr4
.LBB23_470:
	s_delay_alu instid0(SALU_CYCLE_1)
	s_and_not1_b32 vcc_lo, exec_lo, s30
	s_cbranch_vccnz .LBB23_472
; %bb.471:
	s_wait_loadcnt 0x0
	global_load_u16 v4, v[8:9], off
.LBB23_472:
	s_mov_b32 s30, 0
.LBB23_473:
	s_delay_alu instid0(SALU_CYCLE_1)
	s_and_not1_b32 vcc_lo, exec_lo, s30
	s_cbranch_vccnz .LBB23_479
; %bb.474:
	global_load_u8 v1, v[8:9], off
	s_mov_b32 s31, 0
	s_mov_b32 s30, exec_lo
	s_wait_loadcnt 0x0
	v_cmpx_lt_i16_e32 0x7f, v1
	s_xor_b32 s30, exec_lo, s30
	s_cbranch_execz .LBB23_491
; %bb.475:
	v_cmp_ne_u16_e32 vcc_lo, 0x80, v1
	s_and_b32 s31, vcc_lo, exec_lo
	s_and_not1_saveexec_b32 s30, s30
	s_cbranch_execnz .LBB23_492
.LBB23_476:
	s_or_b32 exec_lo, exec_lo, s30
	v_mov_b32_e32 v4, 0
	s_and_saveexec_b32 s30, s31
	s_cbranch_execz .LBB23_478
.LBB23_477:
	v_and_b32_e32 v3, 0xffff, v1
	s_delay_alu instid0(VALU_DEP_1) | instskip(SKIP_1) | instid1(VALU_DEP_2)
	v_and_b32_e32 v4, 7, v3
	v_bfe_u32 v10, v3, 3, 4
	v_clz_i32_u32_e32 v5, v4
	s_delay_alu instid0(VALU_DEP_2) | instskip(NEXT) | instid1(VALU_DEP_2)
	v_cmp_eq_u32_e32 vcc_lo, 0, v10
	v_min_u32_e32 v5, 32, v5
	s_delay_alu instid0(VALU_DEP_1) | instskip(NEXT) | instid1(VALU_DEP_1)
	v_subrev_nc_u32_e32 v7, 28, v5
	v_dual_lshlrev_b32 v3, v7, v3 :: v_dual_sub_nc_u32 v5, 29, v5
	s_delay_alu instid0(VALU_DEP_1) | instskip(NEXT) | instid1(VALU_DEP_1)
	v_dual_lshlrev_b32 v1, 24, v1 :: v_dual_bitop2_b32 v3, 7, v3 bitop3:0x40
	v_dual_cndmask_b32 v3, v4, v3, vcc_lo :: v_dual_cndmask_b32 v5, v10, v5, vcc_lo
	s_delay_alu instid0(VALU_DEP_2) | instskip(NEXT) | instid1(VALU_DEP_2)
	v_and_b32_e32 v1, 0x80000000, v1
	v_lshlrev_b32_e32 v3, 20, v3
	s_delay_alu instid0(VALU_DEP_3) | instskip(NEXT) | instid1(VALU_DEP_1)
	v_lshl_add_u32 v4, v5, 23, 0x3b800000
	v_or3_b32 v1, v1, v4, v3
	s_delay_alu instid0(VALU_DEP_1) | instskip(NEXT) | instid1(VALU_DEP_1)
	v_trunc_f32_e32 v1, v1
	v_mul_f32_e64 v3, 0x2f800000, |v1|
	s_delay_alu instid0(VALU_DEP_1) | instskip(NEXT) | instid1(VALU_DEP_1)
	v_floor_f32_e32 v3, v3
	v_fma_f32 v3, 0xcf800000, v3, |v1|
	v_ashrrev_i32_e32 v1, 31, v1
	s_delay_alu instid0(VALU_DEP_2) | instskip(NEXT) | instid1(VALU_DEP_1)
	v_cvt_u32_f32_e32 v3, v3
	v_xor_b32_e32 v3, v3, v1
	s_delay_alu instid0(VALU_DEP_1)
	v_sub_nc_u32_e32 v4, v3, v1
.LBB23_478:
	s_or_b32 exec_lo, exec_lo, s30
.LBB23_479:
	s_mov_b32 s30, -1
.LBB23_480:
	s_mov_b32 s31, 0
.LBB23_481:
	s_delay_alu instid0(SALU_CYCLE_1)
	s_and_b32 vcc_lo, exec_lo, s31
	s_cbranch_vccz .LBB23_514
; %bb.482:
	s_cmp_gt_i32 s29, 22
	s_cbranch_scc0 .LBB23_490
; %bb.483:
	s_cmp_lt_i32 s29, 24
	s_cbranch_scc1 .LBB23_493
; %bb.484:
	s_cmp_gt_i32 s29, 24
	s_cbranch_scc0 .LBB23_494
; %bb.485:
	global_load_u8 v1, v[8:9], off
	s_mov_b32 s31, 0
	s_mov_b32 s30, exec_lo
	s_wait_loadcnt 0x0
	v_cmpx_lt_i16_e32 0x7f, v1
	s_xor_b32 s30, exec_lo, s30
	s_cbranch_execz .LBB23_506
; %bb.486:
	v_cmp_ne_u16_e32 vcc_lo, 0x80, v1
	s_and_b32 s31, vcc_lo, exec_lo
	s_and_not1_saveexec_b32 s30, s30
	s_cbranch_execnz .LBB23_507
.LBB23_487:
	s_or_b32 exec_lo, exec_lo, s30
	v_mov_b32_e32 v4, 0
	s_and_saveexec_b32 s30, s31
	s_cbranch_execz .LBB23_489
.LBB23_488:
	v_and_b32_e32 v3, 0xffff, v1
	s_delay_alu instid0(VALU_DEP_1) | instskip(SKIP_1) | instid1(VALU_DEP_2)
	v_and_b32_e32 v4, 3, v3
	v_bfe_u32 v10, v3, 2, 5
	v_clz_i32_u32_e32 v5, v4
	s_delay_alu instid0(VALU_DEP_2) | instskip(NEXT) | instid1(VALU_DEP_2)
	v_cmp_eq_u32_e32 vcc_lo, 0, v10
	v_min_u32_e32 v5, 32, v5
	s_delay_alu instid0(VALU_DEP_1) | instskip(NEXT) | instid1(VALU_DEP_1)
	v_subrev_nc_u32_e32 v7, 29, v5
	v_dual_lshlrev_b32 v3, v7, v3 :: v_dual_sub_nc_u32 v5, 30, v5
	s_delay_alu instid0(VALU_DEP_1) | instskip(NEXT) | instid1(VALU_DEP_1)
	v_dual_lshlrev_b32 v1, 24, v1 :: v_dual_bitop2_b32 v3, 3, v3 bitop3:0x40
	v_dual_cndmask_b32 v3, v4, v3, vcc_lo :: v_dual_cndmask_b32 v5, v10, v5, vcc_lo
	s_delay_alu instid0(VALU_DEP_2) | instskip(NEXT) | instid1(VALU_DEP_2)
	v_and_b32_e32 v1, 0x80000000, v1
	v_lshlrev_b32_e32 v3, 21, v3
	s_delay_alu instid0(VALU_DEP_3) | instskip(NEXT) | instid1(VALU_DEP_1)
	v_lshl_add_u32 v4, v5, 23, 0x37800000
	v_or3_b32 v1, v1, v4, v3
	s_delay_alu instid0(VALU_DEP_1) | instskip(NEXT) | instid1(VALU_DEP_1)
	v_trunc_f32_e32 v1, v1
	v_mul_f32_e64 v3, 0x2f800000, |v1|
	s_delay_alu instid0(VALU_DEP_1) | instskip(NEXT) | instid1(VALU_DEP_1)
	v_floor_f32_e32 v3, v3
	v_fma_f32 v3, 0xcf800000, v3, |v1|
	v_ashrrev_i32_e32 v1, 31, v1
	s_delay_alu instid0(VALU_DEP_2) | instskip(NEXT) | instid1(VALU_DEP_1)
	v_cvt_u32_f32_e32 v3, v3
	v_xor_b32_e32 v3, v3, v1
	s_delay_alu instid0(VALU_DEP_1)
	v_sub_nc_u32_e32 v4, v3, v1
.LBB23_489:
	s_or_b32 exec_lo, exec_lo, s30
	s_mov_b32 s30, 0
	s_branch .LBB23_495
.LBB23_490:
	s_mov_b32 s31, -1
                                        ; implicit-def: $vgpr4
	s_branch .LBB23_501
.LBB23_491:
	s_and_not1_saveexec_b32 s30, s30
	s_cbranch_execz .LBB23_476
.LBB23_492:
	v_cmp_ne_u16_e32 vcc_lo, 0, v1
	s_and_not1_b32 s31, s31, exec_lo
	s_and_b32 s47, vcc_lo, exec_lo
	s_delay_alu instid0(SALU_CYCLE_1)
	s_or_b32 s31, s31, s47
	s_or_b32 exec_lo, exec_lo, s30
	v_mov_b32_e32 v4, 0
	s_and_saveexec_b32 s30, s31
	s_cbranch_execnz .LBB23_477
	s_branch .LBB23_478
.LBB23_493:
	s_mov_b32 s30, -1
                                        ; implicit-def: $vgpr4
	s_branch .LBB23_498
.LBB23_494:
	s_mov_b32 s30, -1
                                        ; implicit-def: $vgpr4
.LBB23_495:
	s_delay_alu instid0(SALU_CYCLE_1)
	s_and_b32 vcc_lo, exec_lo, s30
	s_cbranch_vccz .LBB23_497
; %bb.496:
	global_load_u8 v1, v[8:9], off
	s_wait_loadcnt 0x0
	v_lshlrev_b32_e32 v1, 24, v1
	s_delay_alu instid0(VALU_DEP_1) | instskip(NEXT) | instid1(VALU_DEP_1)
	v_and_b32_e32 v3, 0x7f000000, v1
	v_clz_i32_u32_e32 v4, v3
	v_add_nc_u32_e32 v7, 0x1000000, v3
	v_cmp_ne_u32_e32 vcc_lo, 0, v3
	s_delay_alu instid0(VALU_DEP_3) | instskip(NEXT) | instid1(VALU_DEP_1)
	v_min_u32_e32 v4, 32, v4
	v_sub_nc_u32_e64 v4, v4, 4 clamp
	s_delay_alu instid0(VALU_DEP_1) | instskip(NEXT) | instid1(VALU_DEP_1)
	v_dual_lshlrev_b32 v5, v4, v3 :: v_dual_lshlrev_b32 v4, 23, v4
	v_lshrrev_b32_e32 v5, 4, v5
	s_delay_alu instid0(VALU_DEP_1) | instskip(NEXT) | instid1(VALU_DEP_1)
	v_dual_sub_nc_u32 v4, v5, v4 :: v_dual_ashrrev_i32 v5, 8, v7
	v_add_nc_u32_e32 v4, 0x3c000000, v4
	s_delay_alu instid0(VALU_DEP_1) | instskip(NEXT) | instid1(VALU_DEP_1)
	v_and_or_b32 v4, 0x7f800000, v5, v4
	v_cndmask_b32_e32 v3, 0, v4, vcc_lo
	s_delay_alu instid0(VALU_DEP_1) | instskip(NEXT) | instid1(VALU_DEP_1)
	v_and_or_b32 v1, 0x80000000, v1, v3
	v_trunc_f32_e32 v1, v1
	s_delay_alu instid0(VALU_DEP_1) | instskip(NEXT) | instid1(VALU_DEP_1)
	v_mul_f32_e64 v3, 0x2f800000, |v1|
	v_floor_f32_e32 v3, v3
	s_delay_alu instid0(VALU_DEP_1) | instskip(SKIP_1) | instid1(VALU_DEP_2)
	v_fma_f32 v3, 0xcf800000, v3, |v1|
	v_ashrrev_i32_e32 v1, 31, v1
	v_cvt_u32_f32_e32 v3, v3
	s_delay_alu instid0(VALU_DEP_1) | instskip(NEXT) | instid1(VALU_DEP_1)
	v_xor_b32_e32 v3, v3, v1
	v_sub_nc_u32_e32 v4, v3, v1
.LBB23_497:
	s_mov_b32 s30, 0
.LBB23_498:
	s_delay_alu instid0(SALU_CYCLE_1)
	s_and_not1_b32 vcc_lo, exec_lo, s30
	s_cbranch_vccnz .LBB23_500
; %bb.499:
	global_load_u8 v1, v[8:9], off
	s_wait_loadcnt 0x0
	v_lshlrev_b32_e32 v3, 25, v1
	v_lshlrev_b16 v1, 8, v1
	s_delay_alu instid0(VALU_DEP_1) | instskip(NEXT) | instid1(VALU_DEP_3)
	v_and_or_b32 v5, 0x7f00, v1, 0.5
	v_lshrrev_b32_e32 v4, 4, v3
	v_bfe_i32 v1, v1, 0, 16
	s_delay_alu instid0(VALU_DEP_3) | instskip(NEXT) | instid1(VALU_DEP_3)
	v_add_f32_e32 v5, -0.5, v5
	v_or_b32_e32 v4, 0x70000000, v4
	s_delay_alu instid0(VALU_DEP_1) | instskip(SKIP_1) | instid1(VALU_DEP_2)
	v_mul_f32_e32 v4, 0x7800000, v4
	v_cmp_gt_u32_e32 vcc_lo, 0x8000000, v3
	v_cndmask_b32_e32 v3, v4, v5, vcc_lo
	s_delay_alu instid0(VALU_DEP_1) | instskip(NEXT) | instid1(VALU_DEP_1)
	v_and_or_b32 v1, 0x80000000, v1, v3
	v_trunc_f32_e32 v1, v1
	s_delay_alu instid0(VALU_DEP_1) | instskip(NEXT) | instid1(VALU_DEP_1)
	v_mul_f32_e64 v3, 0x2f800000, |v1|
	v_floor_f32_e32 v3, v3
	s_delay_alu instid0(VALU_DEP_1) | instskip(SKIP_1) | instid1(VALU_DEP_2)
	v_fma_f32 v3, 0xcf800000, v3, |v1|
	v_ashrrev_i32_e32 v1, 31, v1
	v_cvt_u32_f32_e32 v3, v3
	s_delay_alu instid0(VALU_DEP_1) | instskip(NEXT) | instid1(VALU_DEP_1)
	v_xor_b32_e32 v3, v3, v1
	v_sub_nc_u32_e32 v4, v3, v1
.LBB23_500:
	s_mov_b32 s31, 0
	s_mov_b32 s30, -1
.LBB23_501:
	s_and_not1_b32 vcc_lo, exec_lo, s31
	s_cbranch_vccnz .LBB23_514
; %bb.502:
	s_cmp_gt_i32 s29, 14
	s_cbranch_scc0 .LBB23_505
; %bb.503:
	s_cmp_eq_u32 s29, 15
	s_cbranch_scc0 .LBB23_508
; %bb.504:
	global_load_u16 v1, v[8:9], off
	s_mov_b32 s30, -1
	s_mov_b32 s28, 0
	s_wait_loadcnt 0x0
	v_lshlrev_b32_e32 v1, 16, v1
	s_delay_alu instid0(VALU_DEP_1) | instskip(NEXT) | instid1(VALU_DEP_1)
	v_trunc_f32_e32 v1, v1
	v_mul_f32_e64 v3, 0x2f800000, |v1|
	s_delay_alu instid0(VALU_DEP_1) | instskip(NEXT) | instid1(VALU_DEP_1)
	v_floor_f32_e32 v3, v3
	v_fma_f32 v3, 0xcf800000, v3, |v1|
	v_ashrrev_i32_e32 v1, 31, v1
	s_delay_alu instid0(VALU_DEP_2) | instskip(NEXT) | instid1(VALU_DEP_1)
	v_cvt_u32_f32_e32 v3, v3
	v_xor_b32_e32 v3, v3, v1
	s_delay_alu instid0(VALU_DEP_1)
	v_sub_nc_u32_e32 v4, v3, v1
	s_branch .LBB23_509
.LBB23_505:
	s_mov_b32 s31, -1
                                        ; implicit-def: $vgpr4
	s_branch .LBB23_510
.LBB23_506:
	s_and_not1_saveexec_b32 s30, s30
	s_cbranch_execz .LBB23_487
.LBB23_507:
	v_cmp_ne_u16_e32 vcc_lo, 0, v1
	s_and_not1_b32 s31, s31, exec_lo
	s_and_b32 s47, vcc_lo, exec_lo
	s_delay_alu instid0(SALU_CYCLE_1)
	s_or_b32 s31, s31, s47
	s_or_b32 exec_lo, exec_lo, s30
	v_mov_b32_e32 v4, 0
	s_and_saveexec_b32 s30, s31
	s_cbranch_execnz .LBB23_488
	s_branch .LBB23_489
.LBB23_508:
	s_mov_b32 s28, -1
                                        ; implicit-def: $vgpr4
.LBB23_509:
	s_mov_b32 s31, 0
.LBB23_510:
	s_delay_alu instid0(SALU_CYCLE_1)
	s_and_b32 vcc_lo, exec_lo, s31
	s_cbranch_vccz .LBB23_514
; %bb.511:
	s_cmp_eq_u32 s29, 11
	s_cbranch_scc0 .LBB23_513
; %bb.512:
	global_load_u8 v1, v[8:9], off
	s_mov_b32 s28, 0
	s_mov_b32 s30, -1
	s_wait_loadcnt 0x0
	v_cmp_ne_u16_e32 vcc_lo, 0, v1
	v_cndmask_b32_e64 v4, 0, 1, vcc_lo
	s_branch .LBB23_514
.LBB23_513:
	s_mov_b32 s28, -1
                                        ; implicit-def: $vgpr4
.LBB23_514:
	s_mov_b32 s29, 0
.LBB23_515:
	s_delay_alu instid0(SALU_CYCLE_1)
	s_and_b32 vcc_lo, exec_lo, s29
	s_cbranch_vccz .LBB23_564
; %bb.516:
	s_and_b32 s0, 0xffff, s0
	s_delay_alu instid0(SALU_CYCLE_1)
	s_cmp_lt_i32 s0, 5
	s_cbranch_scc1 .LBB23_521
; %bb.517:
	s_cmp_lt_i32 s0, 8
	s_cbranch_scc1 .LBB23_522
; %bb.518:
	;; [unrolled: 3-line block ×3, first 2 shown]
	s_cmp_gt_i32 s0, 9
	s_cbranch_scc0 .LBB23_524
; %bb.520:
	s_wait_loadcnt 0x0
	global_load_b64 v[4:5], v[8:9], off
	s_mov_b32 s29, 0
	s_wait_loadcnt 0x0
	v_trunc_f64_e32 v[4:5], v[4:5]
	s_delay_alu instid0(VALU_DEP_1) | instskip(NEXT) | instid1(VALU_DEP_1)
	v_ldexp_f64 v[10:11], v[4:5], 0xffffffe0
	v_floor_f64_e32 v[10:11], v[10:11]
	s_delay_alu instid0(VALU_DEP_1) | instskip(NEXT) | instid1(VALU_DEP_1)
	v_fmamk_f64 v[4:5], v[10:11], 0xc1f00000, v[4:5]
	v_cvt_u32_f64_e32 v4, v[4:5]
	s_branch .LBB23_525
.LBB23_521:
	s_mov_b32 s29, -1
                                        ; implicit-def: $vgpr4
	s_branch .LBB23_543
.LBB23_522:
	s_mov_b32 s29, -1
                                        ; implicit-def: $vgpr4
	s_branch .LBB23_531
.LBB23_523:
	s_mov_b32 s29, -1
                                        ; implicit-def: $vgpr4
	s_branch .LBB23_528
.LBB23_524:
	s_mov_b32 s29, -1
                                        ; implicit-def: $vgpr4
.LBB23_525:
	s_delay_alu instid0(SALU_CYCLE_1)
	s_and_not1_b32 vcc_lo, exec_lo, s29
	s_cbranch_vccnz .LBB23_527
; %bb.526:
	global_load_b32 v1, v[8:9], off
	s_wait_loadcnt 0x0
	v_trunc_f32_e32 v1, v1
	s_delay_alu instid0(VALU_DEP_1) | instskip(NEXT) | instid1(VALU_DEP_1)
	v_mul_f32_e64 v3, 0x2f800000, |v1|
	v_floor_f32_e32 v3, v3
	s_delay_alu instid0(VALU_DEP_1) | instskip(SKIP_1) | instid1(VALU_DEP_2)
	v_fma_f32 v3, 0xcf800000, v3, |v1|
	v_ashrrev_i32_e32 v1, 31, v1
	v_cvt_u32_f32_e32 v3, v3
	s_delay_alu instid0(VALU_DEP_1) | instskip(NEXT) | instid1(VALU_DEP_1)
	v_xor_b32_e32 v3, v3, v1
	v_sub_nc_u32_e32 v4, v3, v1
.LBB23_527:
	s_mov_b32 s29, 0
.LBB23_528:
	s_delay_alu instid0(SALU_CYCLE_1)
	s_and_not1_b32 vcc_lo, exec_lo, s29
	s_cbranch_vccnz .LBB23_530
; %bb.529:
	global_load_b32 v1, v[8:9], off
	s_wait_loadcnt 0x0
	v_cvt_f32_f16_e32 v1, v1
	s_delay_alu instid0(VALU_DEP_1)
	v_cvt_i32_f32_e32 v4, v1
.LBB23_530:
	s_mov_b32 s29, 0
.LBB23_531:
	s_delay_alu instid0(SALU_CYCLE_1)
	s_and_not1_b32 vcc_lo, exec_lo, s29
	s_cbranch_vccnz .LBB23_542
; %bb.532:
	s_cmp_lt_i32 s0, 6
	s_cbranch_scc1 .LBB23_535
; %bb.533:
	s_cmp_gt_i32 s0, 6
	s_cbranch_scc0 .LBB23_536
; %bb.534:
	s_wait_loadcnt 0x0
	global_load_b64 v[4:5], v[8:9], off
	s_mov_b32 s29, 0
	s_wait_loadcnt 0x0
	v_trunc_f64_e32 v[4:5], v[4:5]
	s_delay_alu instid0(VALU_DEP_1) | instskip(NEXT) | instid1(VALU_DEP_1)
	v_ldexp_f64 v[10:11], v[4:5], 0xffffffe0
	v_floor_f64_e32 v[10:11], v[10:11]
	s_delay_alu instid0(VALU_DEP_1) | instskip(NEXT) | instid1(VALU_DEP_1)
	v_fmamk_f64 v[4:5], v[10:11], 0xc1f00000, v[4:5]
	v_cvt_u32_f64_e32 v4, v[4:5]
	s_branch .LBB23_537
.LBB23_535:
	s_mov_b32 s29, -1
                                        ; implicit-def: $vgpr4
	s_branch .LBB23_540
.LBB23_536:
	s_mov_b32 s29, -1
                                        ; implicit-def: $vgpr4
.LBB23_537:
	s_delay_alu instid0(SALU_CYCLE_1)
	s_and_not1_b32 vcc_lo, exec_lo, s29
	s_cbranch_vccnz .LBB23_539
; %bb.538:
	global_load_b32 v1, v[8:9], off
	s_wait_loadcnt 0x0
	v_trunc_f32_e32 v1, v1
	s_delay_alu instid0(VALU_DEP_1) | instskip(NEXT) | instid1(VALU_DEP_1)
	v_mul_f32_e64 v3, 0x2f800000, |v1|
	v_floor_f32_e32 v3, v3
	s_delay_alu instid0(VALU_DEP_1) | instskip(SKIP_1) | instid1(VALU_DEP_2)
	v_fma_f32 v3, 0xcf800000, v3, |v1|
	v_ashrrev_i32_e32 v1, 31, v1
	v_cvt_u32_f32_e32 v3, v3
	s_delay_alu instid0(VALU_DEP_1) | instskip(NEXT) | instid1(VALU_DEP_1)
	v_xor_b32_e32 v3, v3, v1
	v_sub_nc_u32_e32 v4, v3, v1
.LBB23_539:
	s_mov_b32 s29, 0
.LBB23_540:
	s_delay_alu instid0(SALU_CYCLE_1)
	s_and_not1_b32 vcc_lo, exec_lo, s29
	s_cbranch_vccnz .LBB23_542
; %bb.541:
	global_load_u16 v1, v[8:9], off
	s_wait_loadcnt 0x0
	v_cvt_f32_f16_e32 v1, v1
	s_delay_alu instid0(VALU_DEP_1)
	v_cvt_i32_f32_e32 v4, v1
.LBB23_542:
	s_mov_b32 s29, 0
.LBB23_543:
	s_delay_alu instid0(SALU_CYCLE_1)
	s_and_not1_b32 vcc_lo, exec_lo, s29
	s_cbranch_vccnz .LBB23_563
; %bb.544:
	s_cmp_lt_i32 s0, 2
	s_cbranch_scc1 .LBB23_548
; %bb.545:
	s_cmp_lt_i32 s0, 3
	s_cbranch_scc1 .LBB23_549
; %bb.546:
	s_cmp_gt_i32 s0, 3
	s_cbranch_scc0 .LBB23_550
; %bb.547:
	s_wait_loadcnt 0x0
	global_load_b64 v[4:5], v[8:9], off
	s_mov_b32 s29, 0
	s_branch .LBB23_551
.LBB23_548:
	s_mov_b32 s29, -1
                                        ; implicit-def: $vgpr4
	s_branch .LBB23_557
.LBB23_549:
	s_mov_b32 s29, -1
                                        ; implicit-def: $vgpr4
	s_branch .LBB23_554
.LBB23_550:
	s_mov_b32 s29, -1
                                        ; implicit-def: $vgpr4
.LBB23_551:
	s_delay_alu instid0(SALU_CYCLE_1)
	s_and_not1_b32 vcc_lo, exec_lo, s29
	s_cbranch_vccnz .LBB23_553
; %bb.552:
	s_wait_loadcnt 0x0
	global_load_b32 v4, v[8:9], off
.LBB23_553:
	s_mov_b32 s29, 0
.LBB23_554:
	s_delay_alu instid0(SALU_CYCLE_1)
	s_and_not1_b32 vcc_lo, exec_lo, s29
	s_cbranch_vccnz .LBB23_556
; %bb.555:
	s_wait_loadcnt 0x0
	global_load_u16 v4, v[8:9], off
.LBB23_556:
	s_mov_b32 s29, 0
.LBB23_557:
	s_delay_alu instid0(SALU_CYCLE_1)
	s_and_not1_b32 vcc_lo, exec_lo, s29
	s_cbranch_vccnz .LBB23_563
; %bb.558:
	s_cmp_gt_i32 s0, 0
	s_mov_b32 s0, 0
	s_cbranch_scc0 .LBB23_560
; %bb.559:
	s_wait_loadcnt 0x0
	global_load_u8 v4, v[8:9], off
	s_branch .LBB23_561
.LBB23_560:
	s_mov_b32 s0, -1
                                        ; implicit-def: $vgpr4
.LBB23_561:
	s_delay_alu instid0(SALU_CYCLE_1)
	s_and_not1_b32 vcc_lo, exec_lo, s0
	s_cbranch_vccnz .LBB23_563
; %bb.562:
	s_wait_loadcnt 0x0
	global_load_u8 v4, v[8:9], off
.LBB23_563:
	s_mov_b32 s30, -1
.LBB23_564:
	s_mov_b32 s29, 0
	s_mov_b32 s0, s21
	s_and_not1_b32 vcc_lo, exec_lo, s30
	s_mov_b32 s30, s43
	s_mov_b32 s31, 0
	s_cbranch_vccnz .LBB23_815
; %bb.565:
	v_mov_b32_e32 v7, 0
	s_and_b32 s0, s17, 0xff
	s_delay_alu instid0(SALU_CYCLE_1) | instskip(NEXT) | instid1(VALU_DEP_1)
	s_cmp_lt_i32 s0, 11
	v_add_nc_u64_e32 v[6:7], s[6:7], v[6:7]
	s_cbranch_scc1 .LBB23_572
; %bb.566:
	s_and_b32 s31, 0xffff, s0
	s_delay_alu instid0(SALU_CYCLE_1)
	s_cmp_gt_i32 s31, 25
	s_cbranch_scc0 .LBB23_573
; %bb.567:
	s_cmp_gt_i32 s31, 28
	s_cbranch_scc0 .LBB23_574
; %bb.568:
	;; [unrolled: 3-line block ×4, first 2 shown]
	s_cmp_eq_u32 s31, 46
	s_mov_b32 s48, 0
	s_cbranch_scc0 .LBB23_579
; %bb.571:
	global_load_b32 v1, v[6:7], off
	s_mov_b32 s47, -1
	s_mov_b32 s30, 0
	s_wait_loadcnt 0x0
	v_lshlrev_b32_e32 v1, 16, v1
	s_delay_alu instid0(VALU_DEP_1) | instskip(NEXT) | instid1(VALU_DEP_1)
	v_trunc_f32_e32 v1, v1
	v_mul_f32_e64 v3, 0x2f800000, |v1|
	s_delay_alu instid0(VALU_DEP_1) | instskip(NEXT) | instid1(VALU_DEP_1)
	v_floor_f32_e32 v3, v3
	v_fma_f32 v3, 0xcf800000, v3, |v1|
	v_ashrrev_i32_e32 v1, 31, v1
	s_delay_alu instid0(VALU_DEP_2) | instskip(NEXT) | instid1(VALU_DEP_1)
	v_cvt_u32_f32_e32 v3, v3
	v_xor_b32_e32 v3, v3, v1
	s_wait_xcnt 0x1
	s_delay_alu instid0(VALU_DEP_1)
	v_sub_nc_u32_e32 v8, v3, v1
	s_branch .LBB23_581
.LBB23_572:
	s_mov_b32 s31, -1
	s_mov_b32 s47, 0
	s_mov_b32 s30, s43
                                        ; implicit-def: $vgpr8
	s_branch .LBB23_642
.LBB23_573:
	s_mov_b32 s48, -1
	s_mov_b32 s47, 0
	s_mov_b32 s30, s43
                                        ; implicit-def: $vgpr8
	s_branch .LBB23_608
.LBB23_574:
	s_mov_b32 s48, -1
	s_mov_b32 s47, 0
	s_mov_b32 s30, s43
                                        ; implicit-def: $vgpr8
	s_branch .LBB23_591
.LBB23_575:
	s_mov_b32 s48, -1
	s_mov_b32 s47, 0
	s_mov_b32 s30, s43
                                        ; implicit-def: $vgpr8
	s_branch .LBB23_586
.LBB23_576:
	s_mov_b32 s48, -1
	s_mov_b32 s47, 0
	s_mov_b32 s30, s43
	s_branch .LBB23_580
.LBB23_577:
	s_and_not1_saveexec_b32 s45, s45
	s_cbranch_execz .LBB23_328
.LBB23_578:
	v_add_f32_e32 v4, 0x42800000, v5
	s_and_not1_b32 s44, s44, exec_lo
	s_delay_alu instid0(VALU_DEP_1) | instskip(NEXT) | instid1(VALU_DEP_1)
	v_and_b32_e32 v4, 0xff, v4
	v_cmp_ne_u32_e32 vcc_lo, 0, v4
	s_and_b32 s47, vcc_lo, exec_lo
	s_delay_alu instid0(SALU_CYCLE_1)
	s_or_b32 s44, s44, s47
	s_or_b32 exec_lo, exec_lo, s45
	v_mov_b32_e32 v6, 0
	s_and_saveexec_b32 s45, s44
	s_cbranch_execnz .LBB23_329
	s_branch .LBB23_330
.LBB23_579:
	s_mov_b32 s30, -1
	s_mov_b32 s47, 0
.LBB23_580:
                                        ; implicit-def: $vgpr8
.LBB23_581:
	s_and_b32 vcc_lo, exec_lo, s48
	s_cbranch_vccz .LBB23_585
; %bb.582:
	s_cmp_eq_u32 s31, 44
	s_cbranch_scc0 .LBB23_584
; %bb.583:
	global_load_u8 v1, v[6:7], off
	s_mov_b32 s30, 0
	s_mov_b32 s47, -1
	s_wait_loadcnt 0x0
	v_lshlrev_b32_e32 v3, 23, v1
	v_cmp_ne_u32_e32 vcc_lo, 0, v1
	s_delay_alu instid0(VALU_DEP_2) | instskip(NEXT) | instid1(VALU_DEP_1)
	v_trunc_f32_e32 v3, v3
	v_mul_f32_e64 v5, 0x2f800000, |v3|
	s_delay_alu instid0(VALU_DEP_1) | instskip(NEXT) | instid1(VALU_DEP_1)
	v_floor_f32_e32 v5, v5
	v_fma_f32 v5, 0xcf800000, v5, |v3|
	v_ashrrev_i32_e32 v3, 31, v3
	s_delay_alu instid0(VALU_DEP_2) | instskip(NEXT) | instid1(VALU_DEP_1)
	v_cvt_u32_f32_e32 v5, v5
	v_xor_b32_e32 v5, v5, v3
	s_delay_alu instid0(VALU_DEP_1) | instskip(SKIP_1) | instid1(VALU_DEP_1)
	v_sub_nc_u32_e32 v3, v5, v3
	s_wait_xcnt 0x1
	v_cndmask_b32_e32 v8, 0, v3, vcc_lo
	s_branch .LBB23_585
.LBB23_584:
	s_mov_b32 s30, -1
                                        ; implicit-def: $vgpr8
.LBB23_585:
	s_mov_b32 s48, 0
.LBB23_586:
	s_delay_alu instid0(SALU_CYCLE_1)
	s_and_b32 vcc_lo, exec_lo, s48
	s_cbranch_vccz .LBB23_590
; %bb.587:
	s_cmp_eq_u32 s31, 29
	s_cbranch_scc0 .LBB23_589
; %bb.588:
	global_load_b64 v[8:9], v[6:7], off
	s_mov_b32 s47, -1
	s_mov_b32 s30, 0
	s_branch .LBB23_590
.LBB23_589:
	s_mov_b32 s30, -1
                                        ; implicit-def: $vgpr8
.LBB23_590:
	s_mov_b32 s48, 0
.LBB23_591:
	s_delay_alu instid0(SALU_CYCLE_1)
	s_and_b32 vcc_lo, exec_lo, s48
	s_cbranch_vccz .LBB23_607
; %bb.592:
	s_cmp_lt_i32 s31, 27
	s_cbranch_scc1 .LBB23_595
; %bb.593:
	s_cmp_gt_i32 s31, 27
	s_cbranch_scc0 .LBB23_596
; %bb.594:
	s_wait_loadcnt 0x0
	global_load_b32 v8, v[6:7], off
	s_mov_b32 s47, 0
	s_branch .LBB23_597
.LBB23_595:
	s_mov_b32 s47, -1
                                        ; implicit-def: $vgpr8
	s_branch .LBB23_600
.LBB23_596:
	s_mov_b32 s47, -1
                                        ; implicit-def: $vgpr8
.LBB23_597:
	s_delay_alu instid0(SALU_CYCLE_1)
	s_and_not1_b32 vcc_lo, exec_lo, s47
	s_cbranch_vccnz .LBB23_599
; %bb.598:
	s_wait_loadcnt 0x0
	global_load_u16 v8, v[6:7], off
.LBB23_599:
	s_mov_b32 s47, 0
.LBB23_600:
	s_delay_alu instid0(SALU_CYCLE_1)
	s_and_not1_b32 vcc_lo, exec_lo, s47
	s_cbranch_vccnz .LBB23_606
; %bb.601:
	global_load_u8 v1, v[6:7], off
	s_mov_b32 s48, 0
	s_mov_b32 s47, exec_lo
	s_wait_loadcnt 0x0
	v_cmpx_lt_i16_e32 0x7f, v1
	s_xor_b32 s47, exec_lo, s47
	s_cbranch_execz .LBB23_618
; %bb.602:
	v_cmp_ne_u16_e32 vcc_lo, 0x80, v1
	s_and_b32 s48, vcc_lo, exec_lo
	s_and_not1_saveexec_b32 s47, s47
	s_cbranch_execnz .LBB23_619
.LBB23_603:
	s_or_b32 exec_lo, exec_lo, s47
	v_mov_b32_e32 v8, 0
	s_and_saveexec_b32 s47, s48
	s_cbranch_execz .LBB23_605
.LBB23_604:
	v_and_b32_e32 v3, 0xffff, v1
	s_delay_alu instid0(VALU_DEP_1) | instskip(SKIP_1) | instid1(VALU_DEP_2)
	v_and_b32_e32 v5, 7, v3
	v_bfe_u32 v10, v3, 3, 4
	v_clz_i32_u32_e32 v8, v5
	s_delay_alu instid0(VALU_DEP_2) | instskip(NEXT) | instid1(VALU_DEP_2)
	v_cmp_eq_u32_e32 vcc_lo, 0, v10
	v_min_u32_e32 v8, 32, v8
	s_delay_alu instid0(VALU_DEP_1) | instskip(NEXT) | instid1(VALU_DEP_1)
	v_subrev_nc_u32_e32 v9, 28, v8
	v_dual_lshlrev_b32 v3, v9, v3 :: v_dual_sub_nc_u32 v8, 29, v8
	s_delay_alu instid0(VALU_DEP_1) | instskip(NEXT) | instid1(VALU_DEP_1)
	v_dual_lshlrev_b32 v1, 24, v1 :: v_dual_bitop2_b32 v3, 7, v3 bitop3:0x40
	v_dual_cndmask_b32 v8, v10, v8 :: v_dual_cndmask_b32 v3, v5, v3
	s_delay_alu instid0(VALU_DEP_2) | instskip(NEXT) | instid1(VALU_DEP_2)
	v_and_b32_e32 v1, 0x80000000, v1
	v_lshl_add_u32 v5, v8, 23, 0x3b800000
	s_delay_alu instid0(VALU_DEP_3) | instskip(NEXT) | instid1(VALU_DEP_1)
	v_lshlrev_b32_e32 v3, 20, v3
	v_or3_b32 v1, v1, v5, v3
	s_delay_alu instid0(VALU_DEP_1) | instskip(NEXT) | instid1(VALU_DEP_1)
	v_trunc_f32_e32 v1, v1
	v_mul_f32_e64 v3, 0x2f800000, |v1|
	s_delay_alu instid0(VALU_DEP_1) | instskip(NEXT) | instid1(VALU_DEP_1)
	v_floor_f32_e32 v3, v3
	v_fma_f32 v3, 0xcf800000, v3, |v1|
	v_ashrrev_i32_e32 v1, 31, v1
	s_delay_alu instid0(VALU_DEP_2) | instskip(NEXT) | instid1(VALU_DEP_1)
	v_cvt_u32_f32_e32 v3, v3
	v_xor_b32_e32 v3, v3, v1
	s_delay_alu instid0(VALU_DEP_1)
	v_sub_nc_u32_e32 v8, v3, v1
.LBB23_605:
	s_or_b32 exec_lo, exec_lo, s47
.LBB23_606:
	s_mov_b32 s47, -1
.LBB23_607:
	s_mov_b32 s48, 0
.LBB23_608:
	s_delay_alu instid0(SALU_CYCLE_1)
	s_and_b32 vcc_lo, exec_lo, s48
	s_cbranch_vccz .LBB23_641
; %bb.609:
	s_cmp_gt_i32 s31, 22
	s_cbranch_scc0 .LBB23_617
; %bb.610:
	s_cmp_lt_i32 s31, 24
	s_cbranch_scc1 .LBB23_620
; %bb.611:
	s_cmp_gt_i32 s31, 24
	s_cbranch_scc0 .LBB23_621
; %bb.612:
	global_load_u8 v1, v[6:7], off
	s_mov_b32 s48, 0
	s_mov_b32 s47, exec_lo
	s_wait_loadcnt 0x0
	v_cmpx_lt_i16_e32 0x7f, v1
	s_xor_b32 s47, exec_lo, s47
	s_cbranch_execz .LBB23_633
; %bb.613:
	v_cmp_ne_u16_e32 vcc_lo, 0x80, v1
	s_and_b32 s48, vcc_lo, exec_lo
	s_and_not1_saveexec_b32 s47, s47
	s_cbranch_execnz .LBB23_634
.LBB23_614:
	s_or_b32 exec_lo, exec_lo, s47
	v_mov_b32_e32 v8, 0
	s_and_saveexec_b32 s47, s48
	s_cbranch_execz .LBB23_616
.LBB23_615:
	v_and_b32_e32 v3, 0xffff, v1
	s_delay_alu instid0(VALU_DEP_1) | instskip(SKIP_1) | instid1(VALU_DEP_2)
	v_and_b32_e32 v5, 3, v3
	v_bfe_u32 v10, v3, 2, 5
	v_clz_i32_u32_e32 v8, v5
	s_delay_alu instid0(VALU_DEP_2) | instskip(NEXT) | instid1(VALU_DEP_2)
	v_cmp_eq_u32_e32 vcc_lo, 0, v10
	v_min_u32_e32 v8, 32, v8
	s_delay_alu instid0(VALU_DEP_1) | instskip(NEXT) | instid1(VALU_DEP_1)
	v_subrev_nc_u32_e32 v9, 29, v8
	v_dual_lshlrev_b32 v3, v9, v3 :: v_dual_sub_nc_u32 v8, 30, v8
	s_delay_alu instid0(VALU_DEP_1) | instskip(NEXT) | instid1(VALU_DEP_1)
	v_dual_lshlrev_b32 v1, 24, v1 :: v_dual_bitop2_b32 v3, 3, v3 bitop3:0x40
	v_dual_cndmask_b32 v8, v10, v8 :: v_dual_cndmask_b32 v3, v5, v3
	s_delay_alu instid0(VALU_DEP_2) | instskip(NEXT) | instid1(VALU_DEP_2)
	v_and_b32_e32 v1, 0x80000000, v1
	v_lshl_add_u32 v5, v8, 23, 0x37800000
	s_delay_alu instid0(VALU_DEP_3) | instskip(NEXT) | instid1(VALU_DEP_1)
	v_lshlrev_b32_e32 v3, 21, v3
	v_or3_b32 v1, v1, v5, v3
	s_delay_alu instid0(VALU_DEP_1) | instskip(NEXT) | instid1(VALU_DEP_1)
	v_trunc_f32_e32 v1, v1
	v_mul_f32_e64 v3, 0x2f800000, |v1|
	s_delay_alu instid0(VALU_DEP_1) | instskip(NEXT) | instid1(VALU_DEP_1)
	v_floor_f32_e32 v3, v3
	v_fma_f32 v3, 0xcf800000, v3, |v1|
	v_ashrrev_i32_e32 v1, 31, v1
	s_delay_alu instid0(VALU_DEP_2) | instskip(NEXT) | instid1(VALU_DEP_1)
	v_cvt_u32_f32_e32 v3, v3
	v_xor_b32_e32 v3, v3, v1
	s_delay_alu instid0(VALU_DEP_1)
	v_sub_nc_u32_e32 v8, v3, v1
.LBB23_616:
	s_or_b32 exec_lo, exec_lo, s47
	s_mov_b32 s47, 0
	s_branch .LBB23_622
.LBB23_617:
	s_mov_b32 s48, -1
                                        ; implicit-def: $vgpr8
	s_branch .LBB23_628
.LBB23_618:
	s_and_not1_saveexec_b32 s47, s47
	s_cbranch_execz .LBB23_603
.LBB23_619:
	v_cmp_ne_u16_e32 vcc_lo, 0, v1
	s_and_not1_b32 s48, s48, exec_lo
	s_and_b32 s49, vcc_lo, exec_lo
	s_delay_alu instid0(SALU_CYCLE_1)
	s_or_b32 s48, s48, s49
	s_or_b32 exec_lo, exec_lo, s47
	v_mov_b32_e32 v8, 0
	s_and_saveexec_b32 s47, s48
	s_cbranch_execnz .LBB23_604
	s_branch .LBB23_605
.LBB23_620:
	s_mov_b32 s47, -1
                                        ; implicit-def: $vgpr8
	s_branch .LBB23_625
.LBB23_621:
	s_mov_b32 s47, -1
                                        ; implicit-def: $vgpr8
.LBB23_622:
	s_delay_alu instid0(SALU_CYCLE_1)
	s_and_b32 vcc_lo, exec_lo, s47
	s_cbranch_vccz .LBB23_624
; %bb.623:
	global_load_u8 v1, v[6:7], off
	s_wait_loadcnt 0x0
	v_lshlrev_b32_e32 v1, 24, v1
	s_delay_alu instid0(VALU_DEP_1) | instskip(NEXT) | instid1(VALU_DEP_1)
	v_and_b32_e32 v3, 0x7f000000, v1
	v_clz_i32_u32_e32 v5, v3
	s_wait_xcnt 0x1
	v_add_nc_u32_e32 v9, 0x1000000, v3
	v_cmp_ne_u32_e32 vcc_lo, 0, v3
	s_delay_alu instid0(VALU_DEP_3) | instskip(NEXT) | instid1(VALU_DEP_1)
	v_min_u32_e32 v5, 32, v5
	v_sub_nc_u32_e64 v5, v5, 4 clamp
	s_delay_alu instid0(VALU_DEP_1) | instskip(NEXT) | instid1(VALU_DEP_1)
	v_dual_lshlrev_b32 v8, v5, v3 :: v_dual_lshlrev_b32 v5, 23, v5
	v_lshrrev_b32_e32 v8, 4, v8
	s_delay_alu instid0(VALU_DEP_1) | instskip(SKIP_1) | instid1(VALU_DEP_2)
	v_sub_nc_u32_e32 v5, v8, v5
	v_ashrrev_i32_e32 v8, 8, v9
	v_add_nc_u32_e32 v5, 0x3c000000, v5
	s_delay_alu instid0(VALU_DEP_1) | instskip(NEXT) | instid1(VALU_DEP_1)
	v_and_or_b32 v5, 0x7f800000, v8, v5
	v_cndmask_b32_e32 v3, 0, v5, vcc_lo
	s_delay_alu instid0(VALU_DEP_1) | instskip(NEXT) | instid1(VALU_DEP_1)
	v_and_or_b32 v1, 0x80000000, v1, v3
	v_trunc_f32_e32 v1, v1
	s_delay_alu instid0(VALU_DEP_1) | instskip(NEXT) | instid1(VALU_DEP_1)
	v_mul_f32_e64 v3, 0x2f800000, |v1|
	v_floor_f32_e32 v3, v3
	s_delay_alu instid0(VALU_DEP_1) | instskip(SKIP_1) | instid1(VALU_DEP_2)
	v_fma_f32 v3, 0xcf800000, v3, |v1|
	v_ashrrev_i32_e32 v1, 31, v1
	v_cvt_u32_f32_e32 v3, v3
	s_delay_alu instid0(VALU_DEP_1) | instskip(NEXT) | instid1(VALU_DEP_1)
	v_xor_b32_e32 v3, v3, v1
	v_sub_nc_u32_e32 v8, v3, v1
.LBB23_624:
	s_mov_b32 s47, 0
.LBB23_625:
	s_delay_alu instid0(SALU_CYCLE_1)
	s_and_not1_b32 vcc_lo, exec_lo, s47
	s_cbranch_vccnz .LBB23_627
; %bb.626:
	global_load_u8 v1, v[6:7], off
	s_wait_loadcnt 0x0
	v_lshlrev_b32_e32 v3, 25, v1
	v_lshlrev_b16 v1, 8, v1
	s_wait_xcnt 0x1
	s_delay_alu instid0(VALU_DEP_1) | instskip(SKIP_1) | instid1(VALU_DEP_2)
	v_and_or_b32 v8, 0x7f00, v1, 0.5
	v_bfe_i32 v1, v1, 0, 16
	v_dual_add_f32 v8, -0.5, v8 :: v_dual_lshrrev_b32 v5, 4, v3
	v_cmp_gt_u32_e32 vcc_lo, 0x8000000, v3
	s_delay_alu instid0(VALU_DEP_2) | instskip(NEXT) | instid1(VALU_DEP_1)
	v_or_b32_e32 v5, 0x70000000, v5
	v_mul_f32_e32 v5, 0x7800000, v5
	s_delay_alu instid0(VALU_DEP_1) | instskip(NEXT) | instid1(VALU_DEP_1)
	v_cndmask_b32_e32 v3, v5, v8, vcc_lo
	v_and_or_b32 v1, 0x80000000, v1, v3
	s_delay_alu instid0(VALU_DEP_1) | instskip(NEXT) | instid1(VALU_DEP_1)
	v_trunc_f32_e32 v1, v1
	v_mul_f32_e64 v3, 0x2f800000, |v1|
	s_delay_alu instid0(VALU_DEP_1) | instskip(NEXT) | instid1(VALU_DEP_1)
	v_floor_f32_e32 v3, v3
	v_fma_f32 v3, 0xcf800000, v3, |v1|
	v_ashrrev_i32_e32 v1, 31, v1
	s_delay_alu instid0(VALU_DEP_2) | instskip(NEXT) | instid1(VALU_DEP_1)
	v_cvt_u32_f32_e32 v3, v3
	v_xor_b32_e32 v3, v3, v1
	s_delay_alu instid0(VALU_DEP_1)
	v_sub_nc_u32_e32 v8, v3, v1
.LBB23_627:
	s_mov_b32 s48, 0
	s_mov_b32 s47, -1
.LBB23_628:
	s_and_not1_b32 vcc_lo, exec_lo, s48
	s_cbranch_vccnz .LBB23_641
; %bb.629:
	s_cmp_gt_i32 s31, 14
	s_cbranch_scc0 .LBB23_632
; %bb.630:
	s_cmp_eq_u32 s31, 15
	s_cbranch_scc0 .LBB23_635
; %bb.631:
	global_load_u16 v1, v[6:7], off
	s_mov_b32 s47, -1
	s_mov_b32 s30, 0
	s_wait_loadcnt 0x0
	v_lshlrev_b32_e32 v1, 16, v1
	s_delay_alu instid0(VALU_DEP_1) | instskip(NEXT) | instid1(VALU_DEP_1)
	v_trunc_f32_e32 v1, v1
	v_mul_f32_e64 v3, 0x2f800000, |v1|
	s_delay_alu instid0(VALU_DEP_1) | instskip(NEXT) | instid1(VALU_DEP_1)
	v_floor_f32_e32 v3, v3
	v_fma_f32 v3, 0xcf800000, v3, |v1|
	v_ashrrev_i32_e32 v1, 31, v1
	s_delay_alu instid0(VALU_DEP_2) | instskip(NEXT) | instid1(VALU_DEP_1)
	v_cvt_u32_f32_e32 v3, v3
	v_xor_b32_e32 v3, v3, v1
	s_wait_xcnt 0x1
	s_delay_alu instid0(VALU_DEP_1)
	v_sub_nc_u32_e32 v8, v3, v1
	s_branch .LBB23_636
.LBB23_632:
	s_mov_b32 s48, -1
                                        ; implicit-def: $vgpr8
	s_branch .LBB23_637
.LBB23_633:
	s_and_not1_saveexec_b32 s47, s47
	s_cbranch_execz .LBB23_614
.LBB23_634:
	v_cmp_ne_u16_e32 vcc_lo, 0, v1
	s_and_not1_b32 s48, s48, exec_lo
	s_and_b32 s49, vcc_lo, exec_lo
	s_delay_alu instid0(SALU_CYCLE_1)
	s_or_b32 s48, s48, s49
	s_or_b32 exec_lo, exec_lo, s47
	v_mov_b32_e32 v8, 0
	s_and_saveexec_b32 s47, s48
	s_cbranch_execnz .LBB23_615
	s_branch .LBB23_616
.LBB23_635:
	s_mov_b32 s30, -1
                                        ; implicit-def: $vgpr8
.LBB23_636:
	s_mov_b32 s48, 0
.LBB23_637:
	s_delay_alu instid0(SALU_CYCLE_1)
	s_and_b32 vcc_lo, exec_lo, s48
	s_cbranch_vccz .LBB23_641
; %bb.638:
	s_cmp_eq_u32 s31, 11
	s_cbranch_scc0 .LBB23_640
; %bb.639:
	global_load_u8 v1, v[6:7], off
	s_mov_b32 s30, 0
	s_mov_b32 s47, -1
	s_wait_loadcnt 0x0
	v_cmp_ne_u16_e32 vcc_lo, 0, v1
	s_wait_xcnt 0x1
	v_cndmask_b32_e64 v8, 0, 1, vcc_lo
	s_branch .LBB23_641
.LBB23_640:
	s_mov_b32 s30, -1
                                        ; implicit-def: $vgpr8
.LBB23_641:
	s_mov_b32 s31, 0
.LBB23_642:
	s_delay_alu instid0(SALU_CYCLE_1)
	s_and_b32 vcc_lo, exec_lo, s31
	s_cbranch_vccz .LBB23_691
; %bb.643:
	s_and_b32 s0, 0xffff, s0
	s_delay_alu instid0(SALU_CYCLE_1)
	s_cmp_lt_i32 s0, 5
	s_cbranch_scc1 .LBB23_648
; %bb.644:
	s_cmp_lt_i32 s0, 8
	s_cbranch_scc1 .LBB23_649
; %bb.645:
	;; [unrolled: 3-line block ×3, first 2 shown]
	s_cmp_gt_i32 s0, 9
	s_cbranch_scc0 .LBB23_651
; %bb.647:
	s_wait_loadcnt 0x0
	global_load_b64 v[8:9], v[6:7], off
	s_mov_b32 s31, 0
	s_wait_loadcnt 0x0
	v_trunc_f64_e32 v[8:9], v[8:9]
	s_delay_alu instid0(VALU_DEP_1) | instskip(NEXT) | instid1(VALU_DEP_1)
	v_ldexp_f64 v[10:11], v[8:9], 0xffffffe0
	v_floor_f64_e32 v[10:11], v[10:11]
	s_delay_alu instid0(VALU_DEP_1) | instskip(NEXT) | instid1(VALU_DEP_1)
	v_fmamk_f64 v[8:9], v[10:11], 0xc1f00000, v[8:9]
	v_cvt_u32_f64_e32 v8, v[8:9]
	s_branch .LBB23_652
.LBB23_648:
	s_mov_b32 s31, -1
                                        ; implicit-def: $vgpr8
	s_branch .LBB23_670
.LBB23_649:
	s_mov_b32 s31, -1
                                        ; implicit-def: $vgpr8
	s_branch .LBB23_658
.LBB23_650:
	s_mov_b32 s31, -1
                                        ; implicit-def: $vgpr8
	s_branch .LBB23_655
.LBB23_651:
	s_mov_b32 s31, -1
                                        ; implicit-def: $vgpr8
.LBB23_652:
	s_delay_alu instid0(SALU_CYCLE_1)
	s_and_not1_b32 vcc_lo, exec_lo, s31
	s_cbranch_vccnz .LBB23_654
; %bb.653:
	global_load_b32 v1, v[6:7], off
	s_wait_loadcnt 0x0
	v_trunc_f32_e32 v1, v1
	s_delay_alu instid0(VALU_DEP_1) | instskip(NEXT) | instid1(VALU_DEP_1)
	v_mul_f32_e64 v3, 0x2f800000, |v1|
	v_floor_f32_e32 v3, v3
	s_delay_alu instid0(VALU_DEP_1) | instskip(SKIP_1) | instid1(VALU_DEP_2)
	v_fma_f32 v3, 0xcf800000, v3, |v1|
	v_ashrrev_i32_e32 v1, 31, v1
	v_cvt_u32_f32_e32 v3, v3
	s_delay_alu instid0(VALU_DEP_1) | instskip(SKIP_1) | instid1(VALU_DEP_1)
	v_xor_b32_e32 v3, v3, v1
	s_wait_xcnt 0x1
	v_sub_nc_u32_e32 v8, v3, v1
.LBB23_654:
	s_mov_b32 s31, 0
.LBB23_655:
	s_delay_alu instid0(SALU_CYCLE_1)
	s_and_not1_b32 vcc_lo, exec_lo, s31
	s_cbranch_vccnz .LBB23_657
; %bb.656:
	global_load_b32 v1, v[6:7], off
	s_wait_loadcnt 0x0
	v_cvt_f32_f16_e32 v1, v1
	s_wait_xcnt 0x1
	s_delay_alu instid0(VALU_DEP_1)
	v_cvt_i32_f32_e32 v8, v1
.LBB23_657:
	s_mov_b32 s31, 0
.LBB23_658:
	s_delay_alu instid0(SALU_CYCLE_1)
	s_and_not1_b32 vcc_lo, exec_lo, s31
	s_cbranch_vccnz .LBB23_669
; %bb.659:
	s_cmp_lt_i32 s0, 6
	s_cbranch_scc1 .LBB23_662
; %bb.660:
	s_cmp_gt_i32 s0, 6
	s_cbranch_scc0 .LBB23_663
; %bb.661:
	s_wait_loadcnt 0x0
	global_load_b64 v[8:9], v[6:7], off
	s_mov_b32 s31, 0
	s_wait_loadcnt 0x0
	v_trunc_f64_e32 v[8:9], v[8:9]
	s_delay_alu instid0(VALU_DEP_1) | instskip(NEXT) | instid1(VALU_DEP_1)
	v_ldexp_f64 v[10:11], v[8:9], 0xffffffe0
	v_floor_f64_e32 v[10:11], v[10:11]
	s_delay_alu instid0(VALU_DEP_1) | instskip(NEXT) | instid1(VALU_DEP_1)
	v_fmamk_f64 v[8:9], v[10:11], 0xc1f00000, v[8:9]
	v_cvt_u32_f64_e32 v8, v[8:9]
	s_branch .LBB23_664
.LBB23_662:
	s_mov_b32 s31, -1
                                        ; implicit-def: $vgpr8
	s_branch .LBB23_667
.LBB23_663:
	s_mov_b32 s31, -1
                                        ; implicit-def: $vgpr8
.LBB23_664:
	s_delay_alu instid0(SALU_CYCLE_1)
	s_and_not1_b32 vcc_lo, exec_lo, s31
	s_cbranch_vccnz .LBB23_666
; %bb.665:
	global_load_b32 v1, v[6:7], off
	s_wait_loadcnt 0x0
	v_trunc_f32_e32 v1, v1
	s_delay_alu instid0(VALU_DEP_1) | instskip(NEXT) | instid1(VALU_DEP_1)
	v_mul_f32_e64 v3, 0x2f800000, |v1|
	v_floor_f32_e32 v3, v3
	s_delay_alu instid0(VALU_DEP_1) | instskip(SKIP_1) | instid1(VALU_DEP_2)
	v_fma_f32 v3, 0xcf800000, v3, |v1|
	v_ashrrev_i32_e32 v1, 31, v1
	v_cvt_u32_f32_e32 v3, v3
	s_delay_alu instid0(VALU_DEP_1) | instskip(SKIP_1) | instid1(VALU_DEP_1)
	v_xor_b32_e32 v3, v3, v1
	s_wait_xcnt 0x1
	v_sub_nc_u32_e32 v8, v3, v1
.LBB23_666:
	s_mov_b32 s31, 0
.LBB23_667:
	s_delay_alu instid0(SALU_CYCLE_1)
	s_and_not1_b32 vcc_lo, exec_lo, s31
	s_cbranch_vccnz .LBB23_669
; %bb.668:
	global_load_u16 v1, v[6:7], off
	s_wait_loadcnt 0x0
	v_cvt_f32_f16_e32 v1, v1
	s_wait_xcnt 0x1
	s_delay_alu instid0(VALU_DEP_1)
	v_cvt_i32_f32_e32 v8, v1
.LBB23_669:
	s_mov_b32 s31, 0
.LBB23_670:
	s_delay_alu instid0(SALU_CYCLE_1)
	s_and_not1_b32 vcc_lo, exec_lo, s31
	s_cbranch_vccnz .LBB23_690
; %bb.671:
	s_cmp_lt_i32 s0, 2
	s_cbranch_scc1 .LBB23_675
; %bb.672:
	s_cmp_lt_i32 s0, 3
	s_cbranch_scc1 .LBB23_676
; %bb.673:
	s_cmp_gt_i32 s0, 3
	s_cbranch_scc0 .LBB23_677
; %bb.674:
	s_wait_loadcnt 0x0
	global_load_b64 v[8:9], v[6:7], off
	s_mov_b32 s31, 0
	s_branch .LBB23_678
.LBB23_675:
	s_mov_b32 s31, -1
                                        ; implicit-def: $vgpr8
	s_branch .LBB23_684
.LBB23_676:
	s_mov_b32 s31, -1
                                        ; implicit-def: $vgpr8
	s_branch .LBB23_681
.LBB23_677:
	s_mov_b32 s31, -1
                                        ; implicit-def: $vgpr8
.LBB23_678:
	s_delay_alu instid0(SALU_CYCLE_1)
	s_and_not1_b32 vcc_lo, exec_lo, s31
	s_cbranch_vccnz .LBB23_680
; %bb.679:
	s_wait_loadcnt 0x0
	global_load_b32 v8, v[6:7], off
.LBB23_680:
	s_mov_b32 s31, 0
.LBB23_681:
	s_delay_alu instid0(SALU_CYCLE_1)
	s_and_not1_b32 vcc_lo, exec_lo, s31
	s_cbranch_vccnz .LBB23_683
; %bb.682:
	s_wait_loadcnt 0x0
	global_load_u16 v8, v[6:7], off
.LBB23_683:
	s_mov_b32 s31, 0
.LBB23_684:
	s_delay_alu instid0(SALU_CYCLE_1)
	s_and_not1_b32 vcc_lo, exec_lo, s31
	s_cbranch_vccnz .LBB23_690
; %bb.685:
	s_cmp_gt_i32 s0, 0
	s_mov_b32 s0, 0
	s_cbranch_scc0 .LBB23_687
; %bb.686:
	s_wait_loadcnt 0x0
	global_load_u8 v8, v[6:7], off
	s_branch .LBB23_688
.LBB23_687:
	s_mov_b32 s0, -1
                                        ; implicit-def: $vgpr8
.LBB23_688:
	s_delay_alu instid0(SALU_CYCLE_1)
	s_and_not1_b32 vcc_lo, exec_lo, s0
	s_cbranch_vccnz .LBB23_690
; %bb.689:
	s_wait_loadcnt 0x0
	global_load_u8 v8, v[6:7], off
.LBB23_690:
	s_mov_b32 s47, -1
.LBB23_691:
	s_delay_alu instid0(SALU_CYCLE_1)
	s_and_not1_b32 vcc_lo, exec_lo, s47
	s_cbranch_vccnz .LBB23_699
; %bb.692:
	v_mov_b32_e32 v3, 0
	s_wait_loadcnt 0x0
	v_mul_lo_u16 v1, v4, s16
	s_and_b32 s31, s9, 0xff
	s_delay_alu instid0(SALU_CYCLE_1) | instskip(SKIP_1) | instid1(VALU_DEP_2)
	s_cmp_lt_i32 s31, 11
	v_add_nc_u64_e32 v[2:3], s[18:19], v[2:3]
	v_mul_lo_u16 v1, v1, v8
	s_cbranch_scc1 .LBB23_700
; %bb.693:
	s_and_b32 s47, 0xffff, s31
	s_delay_alu instid0(SALU_CYCLE_1)
	s_cmp_gt_i32 s47, 25
	s_cbranch_scc0 .LBB23_701
; %bb.694:
	s_cmp_gt_i32 s47, 28
	s_cbranch_scc0 .LBB23_702
; %bb.695:
	;; [unrolled: 3-line block ×4, first 2 shown]
	s_mov_b32 s49, 0
	s_mov_b32 s0, -1
	s_cmp_eq_u32 s47, 46
	s_mov_b32 s48, 0
	s_cbranch_scc0 .LBB23_705
; %bb.698:
	v_cvt_f32_ubyte0_e32 v4, v1
	s_mov_b32 s48, -1
	s_mov_b32 s0, 0
	s_delay_alu instid0(VALU_DEP_1) | instskip(NEXT) | instid1(VALU_DEP_1)
	v_bfe_u32 v5, v4, 16, 1
	v_add3_u32 v4, v4, v5, 0x7fff
	s_delay_alu instid0(VALU_DEP_1)
	v_lshrrev_b32_e32 v4, 16, v4
	global_store_b32 v[2:3], v4, off
	s_branch .LBB23_705
.LBB23_699:
	s_mov_b32 s31, 0
	s_mov_b32 s0, s21
	s_branch .LBB23_444
.LBB23_700:
	s_mov_b32 s47, -1
	s_mov_b32 s48, 0
	s_mov_b32 s0, s21
	s_branch .LBB23_774
.LBB23_701:
	s_mov_b32 s49, -1
	s_mov_b32 s48, 0
	s_mov_b32 s0, s21
	s_branch .LBB23_732
.LBB23_702:
	s_mov_b32 s49, -1
	s_mov_b32 s48, 0
	s_mov_b32 s0, s21
	s_branch .LBB23_715
.LBB23_703:
	s_mov_b32 s49, -1
	s_mov_b32 s48, 0
	s_mov_b32 s0, s21
	s_branch .LBB23_711
.LBB23_704:
	s_mov_b32 s49, -1
	s_mov_b32 s48, 0
	s_mov_b32 s0, s21
.LBB23_705:
	s_and_b32 vcc_lo, exec_lo, s49
	s_cbranch_vccz .LBB23_710
; %bb.706:
	s_cmp_eq_u32 s47, 44
	s_mov_b32 s0, -1
	s_cbranch_scc0 .LBB23_710
; %bb.707:
	s_wait_xcnt 0x0
	v_cvt_f32_ubyte0_e32 v6, v1
	s_mov_b32 s48, exec_lo
	s_delay_alu instid0(VALU_DEP_1) | instskip(NEXT) | instid1(VALU_DEP_1)
	v_dual_mov_b32 v5, 0xff :: v_dual_lshrrev_b32 v4, 23, v6
	v_cmpx_ne_u32_e32 0xff, v4
; %bb.708:
	v_and_b32_e32 v5, 0x400000, v6
	v_and_or_b32 v6, 0x3fffff, v6, v4
	s_delay_alu instid0(VALU_DEP_2) | instskip(NEXT) | instid1(VALU_DEP_2)
	v_cmp_ne_u32_e32 vcc_lo, 0, v5
	v_cmp_ne_u32_e64 s0, 0, v6
	s_and_b32 s0, vcc_lo, s0
	s_delay_alu instid0(SALU_CYCLE_1) | instskip(NEXT) | instid1(VALU_DEP_1)
	v_cndmask_b32_e64 v5, 0, 1, s0
	v_add_nc_u32_e32 v5, v4, v5
; %bb.709:
	s_or_b32 exec_lo, exec_lo, s48
	s_mov_b32 s48, -1
	s_mov_b32 s0, 0
	global_store_b8 v[2:3], v5, off
.LBB23_710:
	s_mov_b32 s49, 0
.LBB23_711:
	s_delay_alu instid0(SALU_CYCLE_1)
	s_and_b32 vcc_lo, exec_lo, s49
	s_cbranch_vccz .LBB23_714
; %bb.712:
	s_cmp_eq_u32 s47, 29
	s_mov_b32 s0, -1
	s_cbranch_scc0 .LBB23_714
; %bb.713:
	s_wait_xcnt 0x0
	v_and_b32_e32 v4, 0xff, v1
	v_mov_b32_e32 v5, 0
	s_mov_b32 s48, -1
	s_mov_b32 s0, 0
	s_mov_b32 s49, 0
	global_store_b64 v[2:3], v[4:5], off
	s_branch .LBB23_715
.LBB23_714:
	s_mov_b32 s49, 0
.LBB23_715:
	s_delay_alu instid0(SALU_CYCLE_1)
	s_and_b32 vcc_lo, exec_lo, s49
	s_cbranch_vccz .LBB23_731
; %bb.716:
	s_cmp_lt_i32 s47, 27
	s_mov_b32 s48, -1
	s_cbranch_scc1 .LBB23_722
; %bb.717:
	s_cmp_gt_i32 s47, 27
	s_cbranch_scc0 .LBB23_719
; %bb.718:
	s_wait_xcnt 0x0
	v_and_b32_e32 v4, 0xff, v1
	s_mov_b32 s48, 0
	global_store_b32 v[2:3], v4, off
.LBB23_719:
	s_and_not1_b32 vcc_lo, exec_lo, s48
	s_cbranch_vccnz .LBB23_721
; %bb.720:
	s_wait_xcnt 0x0
	v_and_b32_e32 v4, 0xff, v1
	global_store_b16 v[2:3], v4, off
.LBB23_721:
	s_mov_b32 s48, 0
.LBB23_722:
	s_delay_alu instid0(SALU_CYCLE_1)
	s_and_not1_b32 vcc_lo, exec_lo, s48
	s_cbranch_vccnz .LBB23_730
; %bb.723:
	s_wait_xcnt 0x0
	v_cvt_f32_ubyte0_e32 v5, v1
	v_mov_b32_e32 v6, 0x80
	s_mov_b32 s48, exec_lo
	s_delay_alu instid0(VALU_DEP_2)
	v_cmpx_gt_u32_e32 0x43800000, v5
	s_cbranch_execz .LBB23_729
; %bb.724:
	s_mov_b32 s49, 0
	s_mov_b32 s50, exec_lo
                                        ; implicit-def: $vgpr4
	v_cmpx_lt_u32_e32 0x3bffffff, v5
	s_xor_b32 s50, exec_lo, s50
	s_cbranch_execz .LBB23_864
; %bb.725:
	v_bfe_u32 v4, v5, 20, 1
	s_mov_b32 s49, exec_lo
	s_delay_alu instid0(VALU_DEP_1) | instskip(NEXT) | instid1(VALU_DEP_1)
	v_add3_u32 v4, v5, v4, 0x487ffff
                                        ; implicit-def: $vgpr5
	v_lshrrev_b32_e32 v4, 20, v4
	s_and_not1_saveexec_b32 s50, s50
	s_cbranch_execnz .LBB23_865
.LBB23_726:
	s_or_b32 exec_lo, exec_lo, s50
	v_mov_b32_e32 v6, 0
	s_and_saveexec_b32 s50, s49
.LBB23_727:
	v_mov_b32_e32 v6, v4
.LBB23_728:
	s_or_b32 exec_lo, exec_lo, s50
.LBB23_729:
	s_delay_alu instid0(SALU_CYCLE_1)
	s_or_b32 exec_lo, exec_lo, s48
	global_store_b8 v[2:3], v6, off
.LBB23_730:
	s_mov_b32 s48, -1
.LBB23_731:
	s_mov_b32 s49, 0
.LBB23_732:
	s_delay_alu instid0(SALU_CYCLE_1)
	s_and_b32 vcc_lo, exec_lo, s49
	s_cbranch_vccz .LBB23_773
; %bb.733:
	s_cmp_gt_i32 s47, 22
	s_mov_b32 s49, -1
	s_cbranch_scc0 .LBB23_765
; %bb.734:
	s_cmp_lt_i32 s47, 24
	s_mov_b32 s48, -1
	s_cbranch_scc1 .LBB23_754
; %bb.735:
	s_cmp_gt_i32 s47, 24
	s_cbranch_scc0 .LBB23_743
; %bb.736:
	s_wait_xcnt 0x0
	v_cvt_f32_ubyte0_e32 v5, v1
	v_mov_b32_e32 v6, 0x80
	s_mov_b32 s48, exec_lo
	s_delay_alu instid0(VALU_DEP_2)
	v_cmpx_gt_u32_e32 0x47800000, v5
	s_cbranch_execz .LBB23_742
; %bb.737:
	s_mov_b32 s49, 0
	s_mov_b32 s50, exec_lo
                                        ; implicit-def: $vgpr4
	v_cmpx_lt_u32_e32 0x37ffffff, v5
	s_xor_b32 s50, exec_lo, s50
	s_cbranch_execz .LBB23_991
; %bb.738:
	v_bfe_u32 v4, v5, 21, 1
	s_mov_b32 s49, exec_lo
	s_delay_alu instid0(VALU_DEP_1) | instskip(NEXT) | instid1(VALU_DEP_1)
	v_add3_u32 v4, v5, v4, 0x88fffff
                                        ; implicit-def: $vgpr5
	v_lshrrev_b32_e32 v4, 21, v4
	s_and_not1_saveexec_b32 s50, s50
	s_cbranch_execnz .LBB23_992
.LBB23_739:
	s_or_b32 exec_lo, exec_lo, s50
	v_mov_b32_e32 v6, 0
	s_and_saveexec_b32 s50, s49
.LBB23_740:
	v_mov_b32_e32 v6, v4
.LBB23_741:
	s_or_b32 exec_lo, exec_lo, s50
.LBB23_742:
	s_delay_alu instid0(SALU_CYCLE_1)
	s_or_b32 exec_lo, exec_lo, s48
	s_mov_b32 s48, 0
	global_store_b8 v[2:3], v6, off
.LBB23_743:
	s_and_b32 vcc_lo, exec_lo, s48
	s_cbranch_vccz .LBB23_753
; %bb.744:
	s_wait_xcnt 0x0
	v_cvt_f32_ubyte0_e32 v5, v1
	s_mov_b32 s48, exec_lo
                                        ; implicit-def: $vgpr4
	s_delay_alu instid0(VALU_DEP_1)
	v_cmpx_gt_u32_e32 0x43f00000, v5
	s_xor_b32 s48, exec_lo, s48
	s_cbranch_execz .LBB23_750
; %bb.745:
	s_mov_b32 s49, exec_lo
                                        ; implicit-def: $vgpr4
	v_cmpx_lt_u32_e32 0x3c7fffff, v5
	s_xor_b32 s49, exec_lo, s49
; %bb.746:
	v_bfe_u32 v4, v5, 20, 1
	s_delay_alu instid0(VALU_DEP_1) | instskip(NEXT) | instid1(VALU_DEP_1)
	v_add3_u32 v4, v5, v4, 0x407ffff
	v_and_b32_e32 v5, 0xff00000, v4
	v_lshrrev_b32_e32 v4, 20, v4
	s_delay_alu instid0(VALU_DEP_2) | instskip(NEXT) | instid1(VALU_DEP_2)
	v_cmp_ne_u32_e32 vcc_lo, 0x7f00000, v5
                                        ; implicit-def: $vgpr5
	v_cndmask_b32_e32 v4, 0x7e, v4, vcc_lo
; %bb.747:
	s_and_not1_saveexec_b32 s49, s49
; %bb.748:
	v_add_f32_e32 v4, 0x46800000, v5
; %bb.749:
	s_or_b32 exec_lo, exec_lo, s49
                                        ; implicit-def: $vgpr5
.LBB23_750:
	s_and_not1_saveexec_b32 s48, s48
; %bb.751:
	v_mov_b32_e32 v4, 0x7f
	v_cmp_lt_u32_e32 vcc_lo, 0x7f800000, v5
	s_delay_alu instid0(VALU_DEP_2)
	v_cndmask_b32_e32 v4, 0x7e, v4, vcc_lo
; %bb.752:
	s_or_b32 exec_lo, exec_lo, s48
	global_store_b8 v[2:3], v4, off
.LBB23_753:
	s_mov_b32 s48, 0
.LBB23_754:
	s_delay_alu instid0(SALU_CYCLE_1)
	s_and_not1_b32 vcc_lo, exec_lo, s48
	s_cbranch_vccnz .LBB23_764
; %bb.755:
	s_wait_xcnt 0x0
	v_cvt_f32_ubyte0_e32 v5, v1
	s_mov_b32 s48, exec_lo
                                        ; implicit-def: $vgpr4
	s_delay_alu instid0(VALU_DEP_1)
	v_cmpx_gt_u32_e32 0x47800000, v5
	s_xor_b32 s48, exec_lo, s48
	s_cbranch_execz .LBB23_761
; %bb.756:
	s_mov_b32 s49, exec_lo
                                        ; implicit-def: $vgpr4
	v_cmpx_lt_u32_e32 0x387fffff, v5
	s_xor_b32 s49, exec_lo, s49
; %bb.757:
	v_bfe_u32 v4, v5, 21, 1
	s_delay_alu instid0(VALU_DEP_1) | instskip(NEXT) | instid1(VALU_DEP_1)
	v_add3_u32 v4, v5, v4, 0x80fffff
                                        ; implicit-def: $vgpr5
	v_lshrrev_b32_e32 v4, 21, v4
; %bb.758:
	s_and_not1_saveexec_b32 s49, s49
; %bb.759:
	v_add_f32_e32 v4, 0x43000000, v5
; %bb.760:
	s_or_b32 exec_lo, exec_lo, s49
                                        ; implicit-def: $vgpr5
.LBB23_761:
	s_and_not1_saveexec_b32 s48, s48
; %bb.762:
	v_mov_b32_e32 v4, 0x7f
	v_cmp_lt_u32_e32 vcc_lo, 0x7f800000, v5
	s_delay_alu instid0(VALU_DEP_2)
	v_cndmask_b32_e32 v4, 0x7c, v4, vcc_lo
; %bb.763:
	s_or_b32 exec_lo, exec_lo, s48
	global_store_b8 v[2:3], v4, off
.LBB23_764:
	s_mov_b32 s49, 0
	s_mov_b32 s48, -1
.LBB23_765:
	s_and_not1_b32 vcc_lo, exec_lo, s49
	s_cbranch_vccnz .LBB23_773
; %bb.766:
	s_cmp_gt_i32 s47, 14
	s_mov_b32 s49, -1
	s_cbranch_scc0 .LBB23_770
; %bb.767:
	s_cmp_eq_u32 s47, 15
	s_mov_b32 s0, -1
	s_cbranch_scc0 .LBB23_769
; %bb.768:
	s_wait_xcnt 0x0
	v_cvt_f32_ubyte0_e32 v4, v1
	s_mov_b32 s48, -1
	s_mov_b32 s0, 0
	s_delay_alu instid0(VALU_DEP_1) | instskip(NEXT) | instid1(VALU_DEP_1)
	v_bfe_u32 v5, v4, 16, 1
	v_add3_u32 v4, v4, v5, 0x7fff
	global_store_d16_hi_b16 v[2:3], v4, off
.LBB23_769:
	s_mov_b32 s49, 0
.LBB23_770:
	s_delay_alu instid0(SALU_CYCLE_1)
	s_and_b32 vcc_lo, exec_lo, s49
	s_cbranch_vccz .LBB23_773
; %bb.771:
	s_cmp_eq_u32 s47, 11
	s_mov_b32 s0, -1
	s_cbranch_scc0 .LBB23_773
; %bb.772:
	s_wait_xcnt 0x0
	v_and_b32_e32 v4, 0xff, v1
	s_mov_b32 s0, 0
	s_mov_b32 s48, -1
	s_delay_alu instid0(VALU_DEP_1)
	v_cmp_ne_u16_e32 vcc_lo, 0, v4
	v_cndmask_b32_e64 v4, 0, 1, vcc_lo
	global_store_b8 v[2:3], v4, off
.LBB23_773:
	s_mov_b32 s47, 0
.LBB23_774:
	s_delay_alu instid0(SALU_CYCLE_1)
	s_and_b32 vcc_lo, exec_lo, s47
	s_cbranch_vccz .LBB23_813
; %bb.775:
	s_and_b32 s31, 0xffff, s31
	s_mov_b32 s47, -1
	s_cmp_lt_i32 s31, 5
	s_cbranch_scc1 .LBB23_796
; %bb.776:
	s_cmp_lt_i32 s31, 8
	s_cbranch_scc1 .LBB23_786
; %bb.777:
	s_cmp_lt_i32 s31, 9
	s_cbranch_scc1 .LBB23_783
; %bb.778:
	s_cmp_gt_i32 s31, 9
	s_cbranch_scc0 .LBB23_780
; %bb.779:
	s_wait_xcnt 0x0
	v_and_b32_e32 v4, 0xff, v1
	v_mov_b32_e32 v6, 0
	s_mov_b32 s47, 0
	s_delay_alu instid0(VALU_DEP_2) | instskip(NEXT) | instid1(VALU_DEP_2)
	v_and_b32_e32 v4, 0xffff, v4
	v_mov_b32_e32 v7, v6
	s_delay_alu instid0(VALU_DEP_2)
	v_cvt_f64_u32_e32 v[4:5], v4
	global_store_b128 v[2:3], v[4:7], off
.LBB23_780:
	s_and_not1_b32 vcc_lo, exec_lo, s47
	s_cbranch_vccnz .LBB23_782
; %bb.781:
	s_wait_xcnt 0x0
	v_cvt_f32_ubyte0_e32 v4, v1
	v_mov_b32_e32 v5, 0
	global_store_b64 v[2:3], v[4:5], off
.LBB23_782:
	s_mov_b32 s47, 0
.LBB23_783:
	s_delay_alu instid0(SALU_CYCLE_1)
	s_and_not1_b32 vcc_lo, exec_lo, s47
	s_cbranch_vccnz .LBB23_785
; %bb.784:
	s_wait_xcnt 0x0
	v_and_b32_e32 v4, 0xff, v1
	s_delay_alu instid0(VALU_DEP_1) | instskip(NEXT) | instid1(VALU_DEP_1)
	v_cvt_f16_u16_e32 v4, v4
	v_and_b32_e32 v4, 0xffff, v4
	global_store_b32 v[2:3], v4, off
.LBB23_785:
	s_mov_b32 s47, 0
.LBB23_786:
	s_delay_alu instid0(SALU_CYCLE_1)
	s_and_not1_b32 vcc_lo, exec_lo, s47
	s_cbranch_vccnz .LBB23_795
; %bb.787:
	s_cmp_lt_i32 s31, 6
	s_mov_b32 s47, -1
	s_cbranch_scc1 .LBB23_793
; %bb.788:
	s_cmp_gt_i32 s31, 6
	s_cbranch_scc0 .LBB23_790
; %bb.789:
	s_wait_xcnt 0x0
	v_and_b32_e32 v4, 0xff, v1
	s_mov_b32 s47, 0
	s_delay_alu instid0(VALU_DEP_1) | instskip(NEXT) | instid1(VALU_DEP_1)
	v_and_b32_e32 v4, 0xffff, v4
	v_cvt_f64_u32_e32 v[4:5], v4
	global_store_b64 v[2:3], v[4:5], off
.LBB23_790:
	s_and_not1_b32 vcc_lo, exec_lo, s47
	s_cbranch_vccnz .LBB23_792
; %bb.791:
	s_wait_xcnt 0x0
	v_cvt_f32_ubyte0_e32 v4, v1
	global_store_b32 v[2:3], v4, off
.LBB23_792:
	s_mov_b32 s47, 0
.LBB23_793:
	s_delay_alu instid0(SALU_CYCLE_1)
	s_and_not1_b32 vcc_lo, exec_lo, s47
	s_cbranch_vccnz .LBB23_795
; %bb.794:
	s_wait_xcnt 0x0
	v_and_b32_e32 v4, 0xff, v1
	s_delay_alu instid0(VALU_DEP_1)
	v_cvt_f16_u16_e32 v4, v4
	global_store_b16 v[2:3], v4, off
.LBB23_795:
	s_mov_b32 s47, 0
.LBB23_796:
	s_delay_alu instid0(SALU_CYCLE_1)
	s_and_not1_b32 vcc_lo, exec_lo, s47
	s_cbranch_vccnz .LBB23_812
; %bb.797:
	s_cmp_lt_i32 s31, 2
	s_mov_b32 s47, -1
	s_cbranch_scc1 .LBB23_807
; %bb.798:
	s_cmp_lt_i32 s31, 3
	s_cbranch_scc1 .LBB23_804
; %bb.799:
	s_cmp_gt_i32 s31, 3
	s_cbranch_scc0 .LBB23_801
; %bb.800:
	s_wait_xcnt 0x0
	v_and_b32_e32 v4, 0xff, v1
	v_mov_b32_e32 v5, 0
	s_mov_b32 s47, 0
	global_store_b64 v[2:3], v[4:5], off
.LBB23_801:
	s_and_not1_b32 vcc_lo, exec_lo, s47
	s_cbranch_vccnz .LBB23_803
; %bb.802:
	s_wait_xcnt 0x0
	v_and_b32_e32 v4, 0xff, v1
	global_store_b32 v[2:3], v4, off
.LBB23_803:
	s_mov_b32 s47, 0
.LBB23_804:
	s_delay_alu instid0(SALU_CYCLE_1)
	s_and_not1_b32 vcc_lo, exec_lo, s47
	s_cbranch_vccnz .LBB23_806
; %bb.805:
	s_wait_xcnt 0x0
	v_and_b32_e32 v4, 0xff, v1
	global_store_b16 v[2:3], v4, off
.LBB23_806:
	s_mov_b32 s47, 0
.LBB23_807:
	s_delay_alu instid0(SALU_CYCLE_1)
	s_and_not1_b32 vcc_lo, exec_lo, s47
	s_cbranch_vccnz .LBB23_812
; %bb.808:
	s_cmp_gt_i32 s31, 0
	s_mov_b32 s31, -1
	s_cbranch_scc0 .LBB23_810
; %bb.809:
	s_mov_b32 s31, 0
	global_store_b8 v[2:3], v1, off
.LBB23_810:
	s_and_not1_b32 vcc_lo, exec_lo, s31
	s_cbranch_vccnz .LBB23_812
; %bb.811:
	global_store_b8 v[2:3], v1, off
.LBB23_812:
	s_mov_b32 s48, -1
.LBB23_813:
	s_delay_alu instid0(SALU_CYCLE_1)
	s_and_not1_b32 vcc_lo, exec_lo, s48
	s_cbranch_vccnz .LBB23_836
; %bb.814:
	v_add_nc_u32_e32 v0, 0x80, v0
	s_mov_b32 s31, -1
.LBB23_815:
	s_and_not1_b32 s47, s21, exec_lo
	s_and_b32 s0, s0, exec_lo
	s_and_not1_b32 s49, s43, exec_lo
	s_and_b32 s30, s30, exec_lo
	s_or_b32 s48, s47, s0
	s_or_b32 s49, s49, s30
	s_and_not1_b32 s0, s44, exec_lo
	s_and_b32 s28, s28, exec_lo
	s_and_not1_b32 s30, s45, exec_lo
	s_and_b32 s29, s29, exec_lo
	s_or_b32 s50, s0, s28
	s_or_b32 s47, s30, s29
	s_or_not1_b32 s28, s31, exec_lo
.LBB23_816:
	s_wait_xcnt 0x0
	s_or_b32 exec_lo, exec_lo, s51
	s_mov_b32 s0, 0
                                        ; implicit-def: $vgpr4
                                        ; implicit-def: $vgpr8
                                        ; implicit-def: $vgpr2
	s_and_saveexec_b32 s51, s28
	s_cbranch_execz .LBB23_1266
; %bb.817:
	s_mov_b32 s29, -1
	s_mov_b32 s0, s47
	s_mov_b32 s54, s50
	;; [unrolled: 1-line block ×4, first 2 shown]
	s_mov_b32 s52, exec_lo
	v_cmpx_gt_i32_e64 s41, v0
	s_cbranch_execz .LBB23_1230
; %bb.818:
	s_and_not1_b32 vcc_lo, exec_lo, s35
	s_cbranch_vccnz .LBB23_824
; %bb.819:
	s_and_not1_b32 vcc_lo, exec_lo, s42
	s_cbranch_vccnz .LBB23_825
; %bb.820:
	v_dual_mov_b32 v2, 0 :: v_dual_mov_b32 v1, v0
	s_wait_loadcnt 0x0
	v_dual_mov_b32 v4, 0 :: v_dual_mov_b32 v6, 0
	s_add_co_i32 s0, s40, 1
	s_mov_b64 s[28:29], 0xffffffffffffffe0
	s_and_b32 s0, s0, 30
	s_add_nc_u64 s[28:29], s[2:3], s[28:29]
	s_mov_b64 s[30:31], s[2:3]
.LBB23_821:                             ; =>This Inner Loop Header: Depth=1
	s_clause 0x1
	s_load_b128 s[56:59], s[30:31], 0x4
	s_load_b64 s[54:55], s[30:31], 0x14
	s_load_b32 s53, s[28:29], 0xe4
	s_add_co_i32 s0, s0, -2
	s_wait_xcnt 0x0
	s_add_nc_u64 s[30:31], s[30:31], 24
	s_cmp_eq_u32 s0, 0
	s_wait_kmcnt 0x0
	v_mul_hi_u32 v3, s57, v1
	s_delay_alu instid0(VALU_DEP_1) | instskip(NEXT) | instid1(VALU_DEP_1)
	v_add_nc_u32_e32 v3, v1, v3
	v_lshrrev_b32_e32 v3, s58, v3
	s_delay_alu instid0(VALU_DEP_1) | instskip(SKIP_2) | instid1(VALU_DEP_1)
	v_mul_hi_u32 v5, s54, v3
	v_mul_lo_u32 v7, v3, s56
	s_load_b96 s[56:58], s[28:29], 0xec
	v_dual_add_nc_u32 v5, v3, v5 :: v_dual_sub_nc_u32 v7, v1, v7
	s_delay_alu instid0(VALU_DEP_1) | instskip(SKIP_1) | instid1(VALU_DEP_2)
	v_lshrrev_b32_e32 v1, s55, v5
	s_load_b64 s[54:55], s[28:29], 0xfc
	v_mad_u32 v2, v7, s53, v2
	s_wait_xcnt 0x0
	s_add_nc_u64 s[28:29], s[28:29], 32
	v_mul_lo_u32 v5, v1, s59
	s_wait_kmcnt 0x0
	v_mad_u32 v6, v7, s57, v6
	v_mad_u32 v4, v7, s56, v4
	s_delay_alu instid0(VALU_DEP_3) | instskip(NEXT) | instid1(VALU_DEP_1)
	v_sub_nc_u32_e32 v3, v3, v5
	v_mad_u32 v2, v3, s58, v2
	s_delay_alu instid0(VALU_DEP_4) | instskip(NEXT) | instid1(VALU_DEP_4)
	v_mad_u32 v6, v3, s55, v6
	v_mad_u32 v4, v3, s54, v4
	s_cbranch_scc0 .LBB23_821
; %bb.822:
	s_bitcmp1_b32 s40, 0
	s_cselect_b32 s0, -1, 0
	s_delay_alu instid0(SALU_CYCLE_1)
	s_and_b32 vcc_lo, exec_lo, s0
	s_cbranch_vccnz .LBB23_826
; %bb.823:
	s_load_b96 s[56:58], s[30:31], 0x4
	s_load_b32 s0, s[28:29], 0xe4
	s_wait_xcnt 0x0
	s_load_b64 s[30:31], s[28:29], 0xec
	s_wait_kmcnt 0x0
	v_mul_hi_u32 v3, s57, v1
	s_delay_alu instid0(VALU_DEP_1) | instskip(NEXT) | instid1(VALU_DEP_1)
	v_add_nc_u32_e32 v3, v1, v3
	v_lshrrev_b32_e32 v3, s58, v3
	s_delay_alu instid0(VALU_DEP_1) | instskip(NEXT) | instid1(VALU_DEP_1)
	v_mul_lo_u32 v3, v3, s56
	v_sub_nc_u32_e32 v1, v1, v3
	s_delay_alu instid0(VALU_DEP_1)
	v_mad_u32 v2, v1, s0, v2
	v_mad_u32 v4, v1, s30, v4
	;; [unrolled: 1-line block ×3, first 2 shown]
	s_branch .LBB23_826
.LBB23_824:
	s_mov_b32 s0, -1
                                        ; implicit-def: $vgpr6
                                        ; implicit-def: $vgpr4
                                        ; implicit-def: $vgpr2
	s_branch .LBB23_827
.LBB23_825:
	s_wait_loadcnt 0x0
	v_dual_mov_b32 v6, 0 :: v_dual_mov_b32 v4, 0
	v_mov_b32_e32 v2, 0
.LBB23_826:
	s_mov_b32 s0, 0
.LBB23_827:
	s_delay_alu instid0(SALU_CYCLE_1)
	s_and_not1_b32 vcc_lo, exec_lo, s0
	s_cbranch_vccnz .LBB23_830
; %bb.828:
	v_mov_b32_e32 v1, 0
	s_and_not1_b32 vcc_lo, exec_lo, s39
	s_delay_alu instid0(VALU_DEP_1) | instskip(NEXT) | instid1(VALU_DEP_1)
	v_mul_u64_e32 v[2:3], s[22:23], v[0:1]
	v_add_nc_u32_e32 v2, v0, v3
	s_wait_loadcnt 0x0
	s_delay_alu instid0(VALU_DEP_1) | instskip(NEXT) | instid1(VALU_DEP_1)
	v_lshrrev_b32_e32 v8, s10, v2
	v_mul_lo_u32 v2, v8, s8
	s_delay_alu instid0(VALU_DEP_1) | instskip(NEXT) | instid1(VALU_DEP_1)
	v_sub_nc_u32_e32 v3, v0, v2
	v_mul_lo_u32 v2, v3, s38
	v_mul_lo_u32 v6, v3, s13
	;; [unrolled: 1-line block ×3, first 2 shown]
	s_cbranch_vccnz .LBB23_830
; %bb.829:
	v_mov_b32_e32 v9, v1
	s_delay_alu instid0(VALU_DEP_1) | instskip(NEXT) | instid1(VALU_DEP_1)
	v_mul_u64_e32 v[10:11], s[26:27], v[8:9]
	v_add_nc_u32_e32 v1, v8, v11
	s_delay_alu instid0(VALU_DEP_1) | instskip(NEXT) | instid1(VALU_DEP_1)
	v_lshrrev_b32_e32 v1, s1, v1
	v_mul_lo_u32 v1, v1, s11
	s_delay_alu instid0(VALU_DEP_1) | instskip(NEXT) | instid1(VALU_DEP_1)
	v_sub_nc_u32_e32 v1, v8, v1
	v_mad_u32 v2, v1, s14, v2
	v_mad_u32 v4, v1, s24, v4
	;; [unrolled: 1-line block ×3, first 2 shown]
.LBB23_830:
	s_and_b32 s28, s37, 0xff
	s_delay_alu instid0(SALU_CYCLE_1)
	s_cmp_lt_i32 s28, 23
	s_cbranch_scc1 .LBB23_834
; %bb.831:
	s_and_b32 s30, 0xffff, s28
	s_delay_alu instid0(SALU_CYCLE_1)
	s_cmp_gt_i32 s30, 43
	s_cbranch_scc0 .LBB23_835
; %bb.832:
	s_cmp_gt_i32 s30, 45
	s_cbranch_scc0 .LBB23_837
; %bb.833:
	s_cmp_eq_u32 s30, 46
	s_mov_b32 s31, 0
	s_cselect_b32 s0, -1, 0
	s_or_b32 s29, s47, exec_lo
	s_branch .LBB23_838
.LBB23_834:
	s_mov_b32 s30, -1
	s_mov_b32 s0, 0
	s_mov_b32 s29, s47
	s_branch .LBB23_844
.LBB23_835:
	s_mov_b32 s31, -1
	s_mov_b32 s0, 0
	s_mov_b32 s29, s47
	s_branch .LBB23_841
.LBB23_836:
	s_mov_b32 s31, 0
	s_branch .LBB23_444
.LBB23_837:
	s_mov_b32 s31, -1
	s_mov_b32 s0, 0
	s_mov_b32 s29, s47
.LBB23_838:
	s_and_not1_b32 vcc_lo, exec_lo, s31
	s_cbranch_vccnz .LBB23_840
; %bb.839:
	s_cmp_eq_u32 s30, 44
	s_cselect_b32 s0, -1, 0
	s_cmp_lg_u32 s30, 44
	s_cselect_b32 s31, -1, 0
	s_and_not1_b32 s29, s29, exec_lo
	s_and_b32 s31, s31, exec_lo
	s_delay_alu instid0(SALU_CYCLE_1)
	s_or_b32 s29, s29, s31
.LBB23_840:
	s_mov_b32 s31, 0
.LBB23_841:
	s_delay_alu instid0(SALU_CYCLE_1)
	s_and_b32 vcc_lo, exec_lo, s31
	s_cbranch_vccz .LBB23_843
; %bb.842:
	s_cmp_lt_i32 s30, 30
	s_cselect_b32 s0, -1, 0
	s_cmp_gt_i32 s30, 29
	s_cselect_b32 s30, -1, 0
	s_and_not1_b32 s29, s29, exec_lo
	s_and_b32 s30, s30, exec_lo
	s_delay_alu instid0(SALU_CYCLE_1)
	s_or_b32 s29, s29, s30
.LBB23_843:
	s_mov_b32 s30, 0
.LBB23_844:
	s_delay_alu instid0(SALU_CYCLE_1)
	s_and_b32 vcc_lo, exec_lo, s30
	s_cbranch_vccz .LBB23_849
; %bb.845:
	s_and_b32 s28, 0xffff, s28
	s_mov_b32 s30, -1
	s_cmp_gt_i32 s28, 14
	s_cbranch_scc0 .LBB23_847
; %bb.846:
	s_cmp_eq_u32 s28, 15
	s_cselect_b32 s0, -1, 0
	s_cmp_lg_u32 s28, 15
	s_cselect_b32 s30, -1, 0
	s_and_not1_b32 s29, s29, exec_lo
	s_and_b32 s31, s30, exec_lo
	s_mov_b32 s30, 0
	s_or_b32 s29, s29, s31
.LBB23_847:
	s_and_not1_b32 vcc_lo, exec_lo, s30
	s_cbranch_vccnz .LBB23_849
; %bb.848:
	s_cmp_lt_i32 s28, 12
	s_cselect_b32 s0, -1, 0
	s_cmp_gt_i32 s28, 11
	s_cselect_b32 s28, -1, 0
	s_and_not1_b32 s29, s29, exec_lo
	s_and_b32 s28, s28, exec_lo
	s_delay_alu instid0(SALU_CYCLE_1)
	s_or_b32 s29, s29, s28
.LBB23_849:
	s_and_b32 vcc_lo, exec_lo, s0
	s_cbranch_vccz .LBB23_857
; %bb.850:
	s_wait_loadcnt 0x0
	v_mov_b32_e32 v5, 0
	s_and_b32 s0, s20, 0xff
	s_delay_alu instid0(SALU_CYCLE_1) | instskip(NEXT) | instid1(VALU_DEP_1)
	s_cmp_lt_i32 s0, 11
	v_add_nc_u64_e32 v[8:9], s[4:5], v[4:5]
	s_cbranch_scc1 .LBB23_859
; %bb.851:
	s_and_b32 s29, 0xffff, s0
	s_delay_alu instid0(SALU_CYCLE_1)
	s_cmp_gt_i32 s29, 25
	s_cbranch_scc0 .LBB23_860
; %bb.852:
	s_cmp_gt_i32 s29, 28
	s_cbranch_scc0 .LBB23_861
; %bb.853:
	;; [unrolled: 3-line block ×4, first 2 shown]
	s_cmp_eq_u32 s29, 46
	s_mov_b32 s31, 0
	s_cbranch_scc0 .LBB23_866
; %bb.856:
	global_load_b32 v1, v[8:9], off
	s_mov_b32 s30, -1
	s_mov_b32 s28, 0
	s_wait_loadcnt 0x0
	v_lshlrev_b32_e32 v1, 16, v1
	s_delay_alu instid0(VALU_DEP_1) | instskip(NEXT) | instid1(VALU_DEP_1)
	v_trunc_f32_e32 v1, v1
	v_mul_f32_e64 v3, 0x2f800000, |v1|
	s_delay_alu instid0(VALU_DEP_1) | instskip(NEXT) | instid1(VALU_DEP_1)
	v_floor_f32_e32 v3, v3
	v_fma_f32 v3, 0xcf800000, v3, |v1|
	v_ashrrev_i32_e32 v1, 31, v1
	s_delay_alu instid0(VALU_DEP_2) | instskip(NEXT) | instid1(VALU_DEP_1)
	v_cvt_u32_f32_e32 v3, v3
	v_xor_b32_e32 v3, v3, v1
	s_delay_alu instid0(VALU_DEP_1)
	v_sub_nc_u32_e32 v4, v3, v1
	s_branch .LBB23_868
.LBB23_857:
	s_mov_b32 s31, 0
	s_mov_b32 s0, s48
	;; [unrolled: 1-line block ×4, first 2 shown]
.LBB23_858:
                                        ; implicit-def: $vgpr0
	s_branch .LBB23_1229
.LBB23_859:
	s_mov_b32 s29, -1
	s_mov_b32 s30, 0
	s_mov_b32 s28, s50
                                        ; implicit-def: $vgpr4
	s_branch .LBB23_929
.LBB23_860:
	s_mov_b32 s31, -1
	s_mov_b32 s30, 0
	s_mov_b32 s28, s50
                                        ; implicit-def: $vgpr4
	s_branch .LBB23_895
.LBB23_861:
	s_mov_b32 s31, -1
	s_mov_b32 s30, 0
	s_mov_b32 s28, s50
                                        ; implicit-def: $vgpr4
	s_branch .LBB23_878
.LBB23_862:
	s_mov_b32 s31, -1
	s_mov_b32 s30, 0
	s_mov_b32 s28, s50
                                        ; implicit-def: $vgpr4
	s_branch .LBB23_873
.LBB23_863:
	s_mov_b32 s31, -1
	s_mov_b32 s30, 0
	s_mov_b32 s28, s50
	s_branch .LBB23_867
.LBB23_864:
	s_and_not1_saveexec_b32 s50, s50
	s_cbranch_execz .LBB23_726
.LBB23_865:
	v_add_f32_e32 v4, 0x46000000, v5
	s_and_not1_b32 s49, s49, exec_lo
	s_delay_alu instid0(VALU_DEP_1) | instskip(NEXT) | instid1(VALU_DEP_1)
	v_and_b32_e32 v4, 0xff, v4
	v_cmp_ne_u32_e32 vcc_lo, 0, v4
	s_and_b32 s52, vcc_lo, exec_lo
	s_delay_alu instid0(SALU_CYCLE_1)
	s_or_b32 s49, s49, s52
	s_or_b32 exec_lo, exec_lo, s50
	v_mov_b32_e32 v6, 0
	s_and_saveexec_b32 s50, s49
	s_cbranch_execnz .LBB23_727
	s_branch .LBB23_728
.LBB23_866:
	s_mov_b32 s28, -1
	s_mov_b32 s30, 0
.LBB23_867:
                                        ; implicit-def: $vgpr4
.LBB23_868:
	s_and_b32 vcc_lo, exec_lo, s31
	s_cbranch_vccz .LBB23_872
; %bb.869:
	s_cmp_eq_u32 s29, 44
	s_cbranch_scc0 .LBB23_871
; %bb.870:
	global_load_u8 v1, v[8:9], off
	s_mov_b32 s28, 0
	s_mov_b32 s30, -1
	s_wait_loadcnt 0x0
	v_lshlrev_b32_e32 v3, 23, v1
	v_cmp_ne_u32_e32 vcc_lo, 0, v1
	s_delay_alu instid0(VALU_DEP_2) | instskip(NEXT) | instid1(VALU_DEP_1)
	v_trunc_f32_e32 v3, v3
	v_mul_f32_e64 v4, 0x2f800000, |v3|
	s_delay_alu instid0(VALU_DEP_1) | instskip(NEXT) | instid1(VALU_DEP_1)
	v_floor_f32_e32 v4, v4
	v_fma_f32 v4, 0xcf800000, v4, |v3|
	v_ashrrev_i32_e32 v3, 31, v3
	s_delay_alu instid0(VALU_DEP_2) | instskip(NEXT) | instid1(VALU_DEP_1)
	v_cvt_u32_f32_e32 v4, v4
	v_xor_b32_e32 v4, v4, v3
	s_delay_alu instid0(VALU_DEP_1) | instskip(NEXT) | instid1(VALU_DEP_1)
	v_sub_nc_u32_e32 v3, v4, v3
	v_cndmask_b32_e32 v4, 0, v3, vcc_lo
	s_branch .LBB23_872
.LBB23_871:
	s_mov_b32 s28, -1
                                        ; implicit-def: $vgpr4
.LBB23_872:
	s_mov_b32 s31, 0
.LBB23_873:
	s_delay_alu instid0(SALU_CYCLE_1)
	s_and_b32 vcc_lo, exec_lo, s31
	s_cbranch_vccz .LBB23_877
; %bb.874:
	s_cmp_eq_u32 s29, 29
	s_cbranch_scc0 .LBB23_876
; %bb.875:
	global_load_b64 v[4:5], v[8:9], off
	s_mov_b32 s30, -1
	s_mov_b32 s28, 0
	s_branch .LBB23_877
.LBB23_876:
	s_mov_b32 s28, -1
                                        ; implicit-def: $vgpr4
.LBB23_877:
	s_mov_b32 s31, 0
.LBB23_878:
	s_delay_alu instid0(SALU_CYCLE_1)
	s_and_b32 vcc_lo, exec_lo, s31
	s_cbranch_vccz .LBB23_894
; %bb.879:
	s_cmp_lt_i32 s29, 27
	s_cbranch_scc1 .LBB23_882
; %bb.880:
	s_cmp_gt_i32 s29, 27
	s_cbranch_scc0 .LBB23_883
; %bb.881:
	s_wait_loadcnt 0x0
	global_load_b32 v4, v[8:9], off
	s_mov_b32 s30, 0
	s_branch .LBB23_884
.LBB23_882:
	s_mov_b32 s30, -1
                                        ; implicit-def: $vgpr4
	s_branch .LBB23_887
.LBB23_883:
	s_mov_b32 s30, -1
                                        ; implicit-def: $vgpr4
.LBB23_884:
	s_delay_alu instid0(SALU_CYCLE_1)
	s_and_not1_b32 vcc_lo, exec_lo, s30
	s_cbranch_vccnz .LBB23_886
; %bb.885:
	s_wait_loadcnt 0x0
	global_load_u16 v4, v[8:9], off
.LBB23_886:
	s_mov_b32 s30, 0
.LBB23_887:
	s_delay_alu instid0(SALU_CYCLE_1)
	s_and_not1_b32 vcc_lo, exec_lo, s30
	s_cbranch_vccnz .LBB23_893
; %bb.888:
	global_load_u8 v1, v[8:9], off
	s_mov_b32 s31, 0
	s_mov_b32 s30, exec_lo
	s_wait_loadcnt 0x0
	v_cmpx_lt_i16_e32 0x7f, v1
	s_xor_b32 s30, exec_lo, s30
	s_cbranch_execz .LBB23_905
; %bb.889:
	v_cmp_ne_u16_e32 vcc_lo, 0x80, v1
	s_and_b32 s31, vcc_lo, exec_lo
	s_and_not1_saveexec_b32 s30, s30
	s_cbranch_execnz .LBB23_906
.LBB23_890:
	s_or_b32 exec_lo, exec_lo, s30
	v_mov_b32_e32 v4, 0
	s_and_saveexec_b32 s30, s31
	s_cbranch_execz .LBB23_892
.LBB23_891:
	v_and_b32_e32 v3, 0xffff, v1
	s_delay_alu instid0(VALU_DEP_1) | instskip(SKIP_1) | instid1(VALU_DEP_2)
	v_and_b32_e32 v4, 7, v3
	v_bfe_u32 v10, v3, 3, 4
	v_clz_i32_u32_e32 v5, v4
	s_delay_alu instid0(VALU_DEP_2) | instskip(NEXT) | instid1(VALU_DEP_2)
	v_cmp_eq_u32_e32 vcc_lo, 0, v10
	v_min_u32_e32 v5, 32, v5
	s_delay_alu instid0(VALU_DEP_1) | instskip(NEXT) | instid1(VALU_DEP_1)
	v_subrev_nc_u32_e32 v7, 28, v5
	v_dual_lshlrev_b32 v3, v7, v3 :: v_dual_sub_nc_u32 v5, 29, v5
	s_delay_alu instid0(VALU_DEP_1) | instskip(NEXT) | instid1(VALU_DEP_1)
	v_dual_lshlrev_b32 v1, 24, v1 :: v_dual_bitop2_b32 v3, 7, v3 bitop3:0x40
	v_dual_cndmask_b32 v3, v4, v3, vcc_lo :: v_dual_cndmask_b32 v5, v10, v5, vcc_lo
	s_delay_alu instid0(VALU_DEP_2) | instskip(NEXT) | instid1(VALU_DEP_2)
	v_and_b32_e32 v1, 0x80000000, v1
	v_lshlrev_b32_e32 v3, 20, v3
	s_delay_alu instid0(VALU_DEP_3) | instskip(NEXT) | instid1(VALU_DEP_1)
	v_lshl_add_u32 v4, v5, 23, 0x3b800000
	v_or3_b32 v1, v1, v4, v3
	s_delay_alu instid0(VALU_DEP_1) | instskip(NEXT) | instid1(VALU_DEP_1)
	v_trunc_f32_e32 v1, v1
	v_mul_f32_e64 v3, 0x2f800000, |v1|
	s_delay_alu instid0(VALU_DEP_1) | instskip(NEXT) | instid1(VALU_DEP_1)
	v_floor_f32_e32 v3, v3
	v_fma_f32 v3, 0xcf800000, v3, |v1|
	v_ashrrev_i32_e32 v1, 31, v1
	s_delay_alu instid0(VALU_DEP_2) | instskip(NEXT) | instid1(VALU_DEP_1)
	v_cvt_u32_f32_e32 v3, v3
	v_xor_b32_e32 v3, v3, v1
	s_delay_alu instid0(VALU_DEP_1)
	v_sub_nc_u32_e32 v4, v3, v1
.LBB23_892:
	s_or_b32 exec_lo, exec_lo, s30
.LBB23_893:
	s_mov_b32 s30, -1
.LBB23_894:
	s_mov_b32 s31, 0
.LBB23_895:
	s_delay_alu instid0(SALU_CYCLE_1)
	s_and_b32 vcc_lo, exec_lo, s31
	s_cbranch_vccz .LBB23_928
; %bb.896:
	s_cmp_gt_i32 s29, 22
	s_cbranch_scc0 .LBB23_904
; %bb.897:
	s_cmp_lt_i32 s29, 24
	s_cbranch_scc1 .LBB23_907
; %bb.898:
	s_cmp_gt_i32 s29, 24
	s_cbranch_scc0 .LBB23_908
; %bb.899:
	global_load_u8 v1, v[8:9], off
	s_mov_b32 s31, 0
	s_mov_b32 s30, exec_lo
	s_wait_loadcnt 0x0
	v_cmpx_lt_i16_e32 0x7f, v1
	s_xor_b32 s30, exec_lo, s30
	s_cbranch_execz .LBB23_920
; %bb.900:
	v_cmp_ne_u16_e32 vcc_lo, 0x80, v1
	s_and_b32 s31, vcc_lo, exec_lo
	s_and_not1_saveexec_b32 s30, s30
	s_cbranch_execnz .LBB23_921
.LBB23_901:
	s_or_b32 exec_lo, exec_lo, s30
	v_mov_b32_e32 v4, 0
	s_and_saveexec_b32 s30, s31
	s_cbranch_execz .LBB23_903
.LBB23_902:
	v_and_b32_e32 v3, 0xffff, v1
	s_delay_alu instid0(VALU_DEP_1) | instskip(SKIP_1) | instid1(VALU_DEP_2)
	v_and_b32_e32 v4, 3, v3
	v_bfe_u32 v10, v3, 2, 5
	v_clz_i32_u32_e32 v5, v4
	s_delay_alu instid0(VALU_DEP_2) | instskip(NEXT) | instid1(VALU_DEP_2)
	v_cmp_eq_u32_e32 vcc_lo, 0, v10
	v_min_u32_e32 v5, 32, v5
	s_delay_alu instid0(VALU_DEP_1) | instskip(NEXT) | instid1(VALU_DEP_1)
	v_subrev_nc_u32_e32 v7, 29, v5
	v_dual_lshlrev_b32 v3, v7, v3 :: v_dual_sub_nc_u32 v5, 30, v5
	s_delay_alu instid0(VALU_DEP_1) | instskip(NEXT) | instid1(VALU_DEP_1)
	v_dual_lshlrev_b32 v1, 24, v1 :: v_dual_bitop2_b32 v3, 3, v3 bitop3:0x40
	v_dual_cndmask_b32 v3, v4, v3, vcc_lo :: v_dual_cndmask_b32 v5, v10, v5, vcc_lo
	s_delay_alu instid0(VALU_DEP_2) | instskip(NEXT) | instid1(VALU_DEP_2)
	v_and_b32_e32 v1, 0x80000000, v1
	v_lshlrev_b32_e32 v3, 21, v3
	s_delay_alu instid0(VALU_DEP_3) | instskip(NEXT) | instid1(VALU_DEP_1)
	v_lshl_add_u32 v4, v5, 23, 0x37800000
	v_or3_b32 v1, v1, v4, v3
	s_delay_alu instid0(VALU_DEP_1) | instskip(NEXT) | instid1(VALU_DEP_1)
	v_trunc_f32_e32 v1, v1
	v_mul_f32_e64 v3, 0x2f800000, |v1|
	s_delay_alu instid0(VALU_DEP_1) | instskip(NEXT) | instid1(VALU_DEP_1)
	v_floor_f32_e32 v3, v3
	v_fma_f32 v3, 0xcf800000, v3, |v1|
	v_ashrrev_i32_e32 v1, 31, v1
	s_delay_alu instid0(VALU_DEP_2) | instskip(NEXT) | instid1(VALU_DEP_1)
	v_cvt_u32_f32_e32 v3, v3
	v_xor_b32_e32 v3, v3, v1
	s_delay_alu instid0(VALU_DEP_1)
	v_sub_nc_u32_e32 v4, v3, v1
.LBB23_903:
	s_or_b32 exec_lo, exec_lo, s30
	s_mov_b32 s30, 0
	s_branch .LBB23_909
.LBB23_904:
	s_mov_b32 s31, -1
                                        ; implicit-def: $vgpr4
	s_branch .LBB23_915
.LBB23_905:
	s_and_not1_saveexec_b32 s30, s30
	s_cbranch_execz .LBB23_890
.LBB23_906:
	v_cmp_ne_u16_e32 vcc_lo, 0, v1
	s_and_not1_b32 s31, s31, exec_lo
	s_and_b32 s53, vcc_lo, exec_lo
	s_delay_alu instid0(SALU_CYCLE_1)
	s_or_b32 s31, s31, s53
	s_or_b32 exec_lo, exec_lo, s30
	v_mov_b32_e32 v4, 0
	s_and_saveexec_b32 s30, s31
	s_cbranch_execnz .LBB23_891
	s_branch .LBB23_892
.LBB23_907:
	s_mov_b32 s30, -1
                                        ; implicit-def: $vgpr4
	s_branch .LBB23_912
.LBB23_908:
	s_mov_b32 s30, -1
                                        ; implicit-def: $vgpr4
.LBB23_909:
	s_delay_alu instid0(SALU_CYCLE_1)
	s_and_b32 vcc_lo, exec_lo, s30
	s_cbranch_vccz .LBB23_911
; %bb.910:
	global_load_u8 v1, v[8:9], off
	s_wait_loadcnt 0x0
	v_lshlrev_b32_e32 v1, 24, v1
	s_delay_alu instid0(VALU_DEP_1) | instskip(NEXT) | instid1(VALU_DEP_1)
	v_and_b32_e32 v3, 0x7f000000, v1
	v_clz_i32_u32_e32 v4, v3
	v_add_nc_u32_e32 v7, 0x1000000, v3
	v_cmp_ne_u32_e32 vcc_lo, 0, v3
	s_delay_alu instid0(VALU_DEP_3) | instskip(NEXT) | instid1(VALU_DEP_1)
	v_min_u32_e32 v4, 32, v4
	v_sub_nc_u32_e64 v4, v4, 4 clamp
	s_delay_alu instid0(VALU_DEP_1) | instskip(NEXT) | instid1(VALU_DEP_1)
	v_dual_lshlrev_b32 v5, v4, v3 :: v_dual_lshlrev_b32 v4, 23, v4
	v_lshrrev_b32_e32 v5, 4, v5
	s_delay_alu instid0(VALU_DEP_1) | instskip(NEXT) | instid1(VALU_DEP_1)
	v_dual_sub_nc_u32 v4, v5, v4 :: v_dual_ashrrev_i32 v5, 8, v7
	v_add_nc_u32_e32 v4, 0x3c000000, v4
	s_delay_alu instid0(VALU_DEP_1) | instskip(NEXT) | instid1(VALU_DEP_1)
	v_and_or_b32 v4, 0x7f800000, v5, v4
	v_cndmask_b32_e32 v3, 0, v4, vcc_lo
	s_delay_alu instid0(VALU_DEP_1) | instskip(NEXT) | instid1(VALU_DEP_1)
	v_and_or_b32 v1, 0x80000000, v1, v3
	v_trunc_f32_e32 v1, v1
	s_delay_alu instid0(VALU_DEP_1) | instskip(NEXT) | instid1(VALU_DEP_1)
	v_mul_f32_e64 v3, 0x2f800000, |v1|
	v_floor_f32_e32 v3, v3
	s_delay_alu instid0(VALU_DEP_1) | instskip(SKIP_1) | instid1(VALU_DEP_2)
	v_fma_f32 v3, 0xcf800000, v3, |v1|
	v_ashrrev_i32_e32 v1, 31, v1
	v_cvt_u32_f32_e32 v3, v3
	s_delay_alu instid0(VALU_DEP_1) | instskip(NEXT) | instid1(VALU_DEP_1)
	v_xor_b32_e32 v3, v3, v1
	v_sub_nc_u32_e32 v4, v3, v1
.LBB23_911:
	s_mov_b32 s30, 0
.LBB23_912:
	s_delay_alu instid0(SALU_CYCLE_1)
	s_and_not1_b32 vcc_lo, exec_lo, s30
	s_cbranch_vccnz .LBB23_914
; %bb.913:
	global_load_u8 v1, v[8:9], off
	s_wait_loadcnt 0x0
	v_lshlrev_b32_e32 v3, 25, v1
	v_lshlrev_b16 v1, 8, v1
	s_delay_alu instid0(VALU_DEP_1) | instskip(NEXT) | instid1(VALU_DEP_3)
	v_and_or_b32 v5, 0x7f00, v1, 0.5
	v_lshrrev_b32_e32 v4, 4, v3
	v_bfe_i32 v1, v1, 0, 16
	s_delay_alu instid0(VALU_DEP_3) | instskip(NEXT) | instid1(VALU_DEP_3)
	v_add_f32_e32 v5, -0.5, v5
	v_or_b32_e32 v4, 0x70000000, v4
	s_delay_alu instid0(VALU_DEP_1) | instskip(SKIP_1) | instid1(VALU_DEP_2)
	v_mul_f32_e32 v4, 0x7800000, v4
	v_cmp_gt_u32_e32 vcc_lo, 0x8000000, v3
	v_cndmask_b32_e32 v3, v4, v5, vcc_lo
	s_delay_alu instid0(VALU_DEP_1) | instskip(NEXT) | instid1(VALU_DEP_1)
	v_and_or_b32 v1, 0x80000000, v1, v3
	v_trunc_f32_e32 v1, v1
	s_delay_alu instid0(VALU_DEP_1) | instskip(NEXT) | instid1(VALU_DEP_1)
	v_mul_f32_e64 v3, 0x2f800000, |v1|
	v_floor_f32_e32 v3, v3
	s_delay_alu instid0(VALU_DEP_1) | instskip(SKIP_1) | instid1(VALU_DEP_2)
	v_fma_f32 v3, 0xcf800000, v3, |v1|
	v_ashrrev_i32_e32 v1, 31, v1
	v_cvt_u32_f32_e32 v3, v3
	s_delay_alu instid0(VALU_DEP_1) | instskip(NEXT) | instid1(VALU_DEP_1)
	v_xor_b32_e32 v3, v3, v1
	v_sub_nc_u32_e32 v4, v3, v1
.LBB23_914:
	s_mov_b32 s31, 0
	s_mov_b32 s30, -1
.LBB23_915:
	s_and_not1_b32 vcc_lo, exec_lo, s31
	s_cbranch_vccnz .LBB23_928
; %bb.916:
	s_cmp_gt_i32 s29, 14
	s_cbranch_scc0 .LBB23_919
; %bb.917:
	s_cmp_eq_u32 s29, 15
	s_cbranch_scc0 .LBB23_922
; %bb.918:
	global_load_u16 v1, v[8:9], off
	s_mov_b32 s30, -1
	s_mov_b32 s28, 0
	s_wait_loadcnt 0x0
	v_lshlrev_b32_e32 v1, 16, v1
	s_delay_alu instid0(VALU_DEP_1) | instskip(NEXT) | instid1(VALU_DEP_1)
	v_trunc_f32_e32 v1, v1
	v_mul_f32_e64 v3, 0x2f800000, |v1|
	s_delay_alu instid0(VALU_DEP_1) | instskip(NEXT) | instid1(VALU_DEP_1)
	v_floor_f32_e32 v3, v3
	v_fma_f32 v3, 0xcf800000, v3, |v1|
	v_ashrrev_i32_e32 v1, 31, v1
	s_delay_alu instid0(VALU_DEP_2) | instskip(NEXT) | instid1(VALU_DEP_1)
	v_cvt_u32_f32_e32 v3, v3
	v_xor_b32_e32 v3, v3, v1
	s_delay_alu instid0(VALU_DEP_1)
	v_sub_nc_u32_e32 v4, v3, v1
	s_branch .LBB23_923
.LBB23_919:
	s_mov_b32 s31, -1
                                        ; implicit-def: $vgpr4
	s_branch .LBB23_924
.LBB23_920:
	s_and_not1_saveexec_b32 s30, s30
	s_cbranch_execz .LBB23_901
.LBB23_921:
	v_cmp_ne_u16_e32 vcc_lo, 0, v1
	s_and_not1_b32 s31, s31, exec_lo
	s_and_b32 s53, vcc_lo, exec_lo
	s_delay_alu instid0(SALU_CYCLE_1)
	s_or_b32 s31, s31, s53
	s_or_b32 exec_lo, exec_lo, s30
	v_mov_b32_e32 v4, 0
	s_and_saveexec_b32 s30, s31
	s_cbranch_execnz .LBB23_902
	s_branch .LBB23_903
.LBB23_922:
	s_mov_b32 s28, -1
                                        ; implicit-def: $vgpr4
.LBB23_923:
	s_mov_b32 s31, 0
.LBB23_924:
	s_delay_alu instid0(SALU_CYCLE_1)
	s_and_b32 vcc_lo, exec_lo, s31
	s_cbranch_vccz .LBB23_928
; %bb.925:
	s_cmp_eq_u32 s29, 11
	s_cbranch_scc0 .LBB23_927
; %bb.926:
	global_load_u8 v1, v[8:9], off
	s_mov_b32 s28, 0
	s_mov_b32 s30, -1
	s_wait_loadcnt 0x0
	v_cmp_ne_u16_e32 vcc_lo, 0, v1
	v_cndmask_b32_e64 v4, 0, 1, vcc_lo
	s_branch .LBB23_928
.LBB23_927:
	s_mov_b32 s28, -1
                                        ; implicit-def: $vgpr4
.LBB23_928:
	s_mov_b32 s29, 0
.LBB23_929:
	s_delay_alu instid0(SALU_CYCLE_1)
	s_and_b32 vcc_lo, exec_lo, s29
	s_cbranch_vccz .LBB23_978
; %bb.930:
	s_and_b32 s0, 0xffff, s0
	s_delay_alu instid0(SALU_CYCLE_1)
	s_cmp_lt_i32 s0, 5
	s_cbranch_scc1 .LBB23_935
; %bb.931:
	s_cmp_lt_i32 s0, 8
	s_cbranch_scc1 .LBB23_936
; %bb.932:
	;; [unrolled: 3-line block ×3, first 2 shown]
	s_cmp_gt_i32 s0, 9
	s_cbranch_scc0 .LBB23_938
; %bb.934:
	s_wait_loadcnt 0x0
	global_load_b64 v[4:5], v[8:9], off
	s_mov_b32 s29, 0
	s_wait_loadcnt 0x0
	v_trunc_f64_e32 v[4:5], v[4:5]
	s_delay_alu instid0(VALU_DEP_1) | instskip(NEXT) | instid1(VALU_DEP_1)
	v_ldexp_f64 v[10:11], v[4:5], 0xffffffe0
	v_floor_f64_e32 v[10:11], v[10:11]
	s_delay_alu instid0(VALU_DEP_1) | instskip(NEXT) | instid1(VALU_DEP_1)
	v_fmamk_f64 v[4:5], v[10:11], 0xc1f00000, v[4:5]
	v_cvt_u32_f64_e32 v4, v[4:5]
	s_branch .LBB23_939
.LBB23_935:
	s_mov_b32 s29, -1
                                        ; implicit-def: $vgpr4
	s_branch .LBB23_957
.LBB23_936:
	s_mov_b32 s29, -1
                                        ; implicit-def: $vgpr4
	s_branch .LBB23_945
.LBB23_937:
	s_mov_b32 s29, -1
                                        ; implicit-def: $vgpr4
	s_branch .LBB23_942
.LBB23_938:
	s_mov_b32 s29, -1
                                        ; implicit-def: $vgpr4
.LBB23_939:
	s_delay_alu instid0(SALU_CYCLE_1)
	s_and_not1_b32 vcc_lo, exec_lo, s29
	s_cbranch_vccnz .LBB23_941
; %bb.940:
	global_load_b32 v1, v[8:9], off
	s_wait_loadcnt 0x0
	v_trunc_f32_e32 v1, v1
	s_delay_alu instid0(VALU_DEP_1) | instskip(NEXT) | instid1(VALU_DEP_1)
	v_mul_f32_e64 v3, 0x2f800000, |v1|
	v_floor_f32_e32 v3, v3
	s_delay_alu instid0(VALU_DEP_1) | instskip(SKIP_1) | instid1(VALU_DEP_2)
	v_fma_f32 v3, 0xcf800000, v3, |v1|
	v_ashrrev_i32_e32 v1, 31, v1
	v_cvt_u32_f32_e32 v3, v3
	s_delay_alu instid0(VALU_DEP_1) | instskip(NEXT) | instid1(VALU_DEP_1)
	v_xor_b32_e32 v3, v3, v1
	v_sub_nc_u32_e32 v4, v3, v1
.LBB23_941:
	s_mov_b32 s29, 0
.LBB23_942:
	s_delay_alu instid0(SALU_CYCLE_1)
	s_and_not1_b32 vcc_lo, exec_lo, s29
	s_cbranch_vccnz .LBB23_944
; %bb.943:
	global_load_b32 v1, v[8:9], off
	s_wait_loadcnt 0x0
	v_cvt_f32_f16_e32 v1, v1
	s_delay_alu instid0(VALU_DEP_1)
	v_cvt_i32_f32_e32 v4, v1
.LBB23_944:
	s_mov_b32 s29, 0
.LBB23_945:
	s_delay_alu instid0(SALU_CYCLE_1)
	s_and_not1_b32 vcc_lo, exec_lo, s29
	s_cbranch_vccnz .LBB23_956
; %bb.946:
	s_cmp_lt_i32 s0, 6
	s_cbranch_scc1 .LBB23_949
; %bb.947:
	s_cmp_gt_i32 s0, 6
	s_cbranch_scc0 .LBB23_950
; %bb.948:
	s_wait_loadcnt 0x0
	global_load_b64 v[4:5], v[8:9], off
	s_mov_b32 s29, 0
	s_wait_loadcnt 0x0
	v_trunc_f64_e32 v[4:5], v[4:5]
	s_delay_alu instid0(VALU_DEP_1) | instskip(NEXT) | instid1(VALU_DEP_1)
	v_ldexp_f64 v[10:11], v[4:5], 0xffffffe0
	v_floor_f64_e32 v[10:11], v[10:11]
	s_delay_alu instid0(VALU_DEP_1) | instskip(NEXT) | instid1(VALU_DEP_1)
	v_fmamk_f64 v[4:5], v[10:11], 0xc1f00000, v[4:5]
	v_cvt_u32_f64_e32 v4, v[4:5]
	s_branch .LBB23_951
.LBB23_949:
	s_mov_b32 s29, -1
                                        ; implicit-def: $vgpr4
	s_branch .LBB23_954
.LBB23_950:
	s_mov_b32 s29, -1
                                        ; implicit-def: $vgpr4
.LBB23_951:
	s_delay_alu instid0(SALU_CYCLE_1)
	s_and_not1_b32 vcc_lo, exec_lo, s29
	s_cbranch_vccnz .LBB23_953
; %bb.952:
	global_load_b32 v1, v[8:9], off
	s_wait_loadcnt 0x0
	v_trunc_f32_e32 v1, v1
	s_delay_alu instid0(VALU_DEP_1) | instskip(NEXT) | instid1(VALU_DEP_1)
	v_mul_f32_e64 v3, 0x2f800000, |v1|
	v_floor_f32_e32 v3, v3
	s_delay_alu instid0(VALU_DEP_1) | instskip(SKIP_1) | instid1(VALU_DEP_2)
	v_fma_f32 v3, 0xcf800000, v3, |v1|
	v_ashrrev_i32_e32 v1, 31, v1
	v_cvt_u32_f32_e32 v3, v3
	s_delay_alu instid0(VALU_DEP_1) | instskip(NEXT) | instid1(VALU_DEP_1)
	v_xor_b32_e32 v3, v3, v1
	v_sub_nc_u32_e32 v4, v3, v1
.LBB23_953:
	s_mov_b32 s29, 0
.LBB23_954:
	s_delay_alu instid0(SALU_CYCLE_1)
	s_and_not1_b32 vcc_lo, exec_lo, s29
	s_cbranch_vccnz .LBB23_956
; %bb.955:
	global_load_u16 v1, v[8:9], off
	s_wait_loadcnt 0x0
	v_cvt_f32_f16_e32 v1, v1
	s_delay_alu instid0(VALU_DEP_1)
	v_cvt_i32_f32_e32 v4, v1
.LBB23_956:
	s_mov_b32 s29, 0
.LBB23_957:
	s_delay_alu instid0(SALU_CYCLE_1)
	s_and_not1_b32 vcc_lo, exec_lo, s29
	s_cbranch_vccnz .LBB23_977
; %bb.958:
	s_cmp_lt_i32 s0, 2
	s_cbranch_scc1 .LBB23_962
; %bb.959:
	s_cmp_lt_i32 s0, 3
	s_cbranch_scc1 .LBB23_963
; %bb.960:
	s_cmp_gt_i32 s0, 3
	s_cbranch_scc0 .LBB23_964
; %bb.961:
	s_wait_loadcnt 0x0
	global_load_b64 v[4:5], v[8:9], off
	s_mov_b32 s29, 0
	s_branch .LBB23_965
.LBB23_962:
	s_mov_b32 s29, -1
                                        ; implicit-def: $vgpr4
	s_branch .LBB23_971
.LBB23_963:
	s_mov_b32 s29, -1
                                        ; implicit-def: $vgpr4
	s_branch .LBB23_968
.LBB23_964:
	s_mov_b32 s29, -1
                                        ; implicit-def: $vgpr4
.LBB23_965:
	s_delay_alu instid0(SALU_CYCLE_1)
	s_and_not1_b32 vcc_lo, exec_lo, s29
	s_cbranch_vccnz .LBB23_967
; %bb.966:
	s_wait_loadcnt 0x0
	global_load_b32 v4, v[8:9], off
.LBB23_967:
	s_mov_b32 s29, 0
.LBB23_968:
	s_delay_alu instid0(SALU_CYCLE_1)
	s_and_not1_b32 vcc_lo, exec_lo, s29
	s_cbranch_vccnz .LBB23_970
; %bb.969:
	s_wait_loadcnt 0x0
	global_load_u16 v4, v[8:9], off
.LBB23_970:
	s_mov_b32 s29, 0
.LBB23_971:
	s_delay_alu instid0(SALU_CYCLE_1)
	s_and_not1_b32 vcc_lo, exec_lo, s29
	s_cbranch_vccnz .LBB23_977
; %bb.972:
	s_cmp_gt_i32 s0, 0
	s_mov_b32 s0, 0
	s_cbranch_scc0 .LBB23_974
; %bb.973:
	s_wait_loadcnt 0x0
	global_load_u8 v4, v[8:9], off
	s_branch .LBB23_975
.LBB23_974:
	s_mov_b32 s0, -1
                                        ; implicit-def: $vgpr4
.LBB23_975:
	s_delay_alu instid0(SALU_CYCLE_1)
	s_and_not1_b32 vcc_lo, exec_lo, s0
	s_cbranch_vccnz .LBB23_977
; %bb.976:
	s_wait_loadcnt 0x0
	global_load_u8 v4, v[8:9], off
.LBB23_977:
	s_mov_b32 s30, -1
.LBB23_978:
	s_mov_b32 s29, 0
	s_mov_b32 s0, s48
	s_and_not1_b32 vcc_lo, exec_lo, s30
	s_mov_b32 s30, s49
	s_mov_b32 s31, 0
	s_cbranch_vccnz .LBB23_1229
; %bb.979:
	v_mov_b32_e32 v7, 0
	s_and_b32 s0, s17, 0xff
	s_delay_alu instid0(SALU_CYCLE_1) | instskip(NEXT) | instid1(VALU_DEP_1)
	s_cmp_lt_i32 s0, 11
	v_add_nc_u64_e32 v[6:7], s[6:7], v[6:7]
	s_cbranch_scc1 .LBB23_986
; %bb.980:
	s_and_b32 s31, 0xffff, s0
	s_delay_alu instid0(SALU_CYCLE_1)
	s_cmp_gt_i32 s31, 25
	s_cbranch_scc0 .LBB23_987
; %bb.981:
	s_cmp_gt_i32 s31, 28
	s_cbranch_scc0 .LBB23_988
; %bb.982:
	;; [unrolled: 3-line block ×4, first 2 shown]
	s_cmp_eq_u32 s31, 46
	s_mov_b32 s54, 0
	s_cbranch_scc0 .LBB23_993
; %bb.985:
	global_load_b32 v1, v[6:7], off
	s_mov_b32 s53, -1
	s_mov_b32 s30, 0
	s_wait_loadcnt 0x0
	v_lshlrev_b32_e32 v1, 16, v1
	s_delay_alu instid0(VALU_DEP_1) | instskip(NEXT) | instid1(VALU_DEP_1)
	v_trunc_f32_e32 v1, v1
	v_mul_f32_e64 v3, 0x2f800000, |v1|
	s_delay_alu instid0(VALU_DEP_1) | instskip(NEXT) | instid1(VALU_DEP_1)
	v_floor_f32_e32 v3, v3
	v_fma_f32 v3, 0xcf800000, v3, |v1|
	v_ashrrev_i32_e32 v1, 31, v1
	s_delay_alu instid0(VALU_DEP_2) | instskip(NEXT) | instid1(VALU_DEP_1)
	v_cvt_u32_f32_e32 v3, v3
	v_xor_b32_e32 v3, v3, v1
	s_wait_xcnt 0x1
	s_delay_alu instid0(VALU_DEP_1)
	v_sub_nc_u32_e32 v8, v3, v1
	s_branch .LBB23_995
.LBB23_986:
	s_mov_b32 s31, -1
	s_mov_b32 s53, 0
	s_mov_b32 s30, s49
                                        ; implicit-def: $vgpr8
	s_branch .LBB23_1056
.LBB23_987:
	s_mov_b32 s54, -1
	s_mov_b32 s53, 0
	s_mov_b32 s30, s49
                                        ; implicit-def: $vgpr8
	s_branch .LBB23_1022
.LBB23_988:
	s_mov_b32 s54, -1
	s_mov_b32 s53, 0
	s_mov_b32 s30, s49
                                        ; implicit-def: $vgpr8
	s_branch .LBB23_1005
.LBB23_989:
	s_mov_b32 s54, -1
	s_mov_b32 s53, 0
	s_mov_b32 s30, s49
                                        ; implicit-def: $vgpr8
	s_branch .LBB23_1000
.LBB23_990:
	s_mov_b32 s54, -1
	s_mov_b32 s53, 0
	s_mov_b32 s30, s49
	s_branch .LBB23_994
.LBB23_991:
	s_and_not1_saveexec_b32 s50, s50
	s_cbranch_execz .LBB23_739
.LBB23_992:
	v_add_f32_e32 v4, 0x42800000, v5
	s_and_not1_b32 s49, s49, exec_lo
	s_delay_alu instid0(VALU_DEP_1) | instskip(NEXT) | instid1(VALU_DEP_1)
	v_and_b32_e32 v4, 0xff, v4
	v_cmp_ne_u32_e32 vcc_lo, 0, v4
	s_and_b32 s52, vcc_lo, exec_lo
	s_delay_alu instid0(SALU_CYCLE_1)
	s_or_b32 s49, s49, s52
	s_or_b32 exec_lo, exec_lo, s50
	v_mov_b32_e32 v6, 0
	s_and_saveexec_b32 s50, s49
	s_cbranch_execnz .LBB23_740
	s_branch .LBB23_741
.LBB23_993:
	s_mov_b32 s30, -1
	s_mov_b32 s53, 0
.LBB23_994:
                                        ; implicit-def: $vgpr8
.LBB23_995:
	s_and_b32 vcc_lo, exec_lo, s54
	s_cbranch_vccz .LBB23_999
; %bb.996:
	s_cmp_eq_u32 s31, 44
	s_cbranch_scc0 .LBB23_998
; %bb.997:
	global_load_u8 v1, v[6:7], off
	s_mov_b32 s30, 0
	s_mov_b32 s53, -1
	s_wait_loadcnt 0x0
	v_lshlrev_b32_e32 v3, 23, v1
	v_cmp_ne_u32_e32 vcc_lo, 0, v1
	s_delay_alu instid0(VALU_DEP_2) | instskip(NEXT) | instid1(VALU_DEP_1)
	v_trunc_f32_e32 v3, v3
	v_mul_f32_e64 v5, 0x2f800000, |v3|
	s_delay_alu instid0(VALU_DEP_1) | instskip(NEXT) | instid1(VALU_DEP_1)
	v_floor_f32_e32 v5, v5
	v_fma_f32 v5, 0xcf800000, v5, |v3|
	v_ashrrev_i32_e32 v3, 31, v3
	s_delay_alu instid0(VALU_DEP_2) | instskip(NEXT) | instid1(VALU_DEP_1)
	v_cvt_u32_f32_e32 v5, v5
	v_xor_b32_e32 v5, v5, v3
	s_delay_alu instid0(VALU_DEP_1) | instskip(SKIP_1) | instid1(VALU_DEP_1)
	v_sub_nc_u32_e32 v3, v5, v3
	s_wait_xcnt 0x1
	v_cndmask_b32_e32 v8, 0, v3, vcc_lo
	s_branch .LBB23_999
.LBB23_998:
	s_mov_b32 s30, -1
                                        ; implicit-def: $vgpr8
.LBB23_999:
	s_mov_b32 s54, 0
.LBB23_1000:
	s_delay_alu instid0(SALU_CYCLE_1)
	s_and_b32 vcc_lo, exec_lo, s54
	s_cbranch_vccz .LBB23_1004
; %bb.1001:
	s_cmp_eq_u32 s31, 29
	s_cbranch_scc0 .LBB23_1003
; %bb.1002:
	global_load_b64 v[8:9], v[6:7], off
	s_mov_b32 s53, -1
	s_mov_b32 s30, 0
	s_branch .LBB23_1004
.LBB23_1003:
	s_mov_b32 s30, -1
                                        ; implicit-def: $vgpr8
.LBB23_1004:
	s_mov_b32 s54, 0
.LBB23_1005:
	s_delay_alu instid0(SALU_CYCLE_1)
	s_and_b32 vcc_lo, exec_lo, s54
	s_cbranch_vccz .LBB23_1021
; %bb.1006:
	s_cmp_lt_i32 s31, 27
	s_cbranch_scc1 .LBB23_1009
; %bb.1007:
	s_cmp_gt_i32 s31, 27
	s_cbranch_scc0 .LBB23_1010
; %bb.1008:
	s_wait_loadcnt 0x0
	global_load_b32 v8, v[6:7], off
	s_mov_b32 s53, 0
	s_branch .LBB23_1011
.LBB23_1009:
	s_mov_b32 s53, -1
                                        ; implicit-def: $vgpr8
	s_branch .LBB23_1014
.LBB23_1010:
	s_mov_b32 s53, -1
                                        ; implicit-def: $vgpr8
.LBB23_1011:
	s_delay_alu instid0(SALU_CYCLE_1)
	s_and_not1_b32 vcc_lo, exec_lo, s53
	s_cbranch_vccnz .LBB23_1013
; %bb.1012:
	s_wait_loadcnt 0x0
	global_load_u16 v8, v[6:7], off
.LBB23_1013:
	s_mov_b32 s53, 0
.LBB23_1014:
	s_delay_alu instid0(SALU_CYCLE_1)
	s_and_not1_b32 vcc_lo, exec_lo, s53
	s_cbranch_vccnz .LBB23_1020
; %bb.1015:
	global_load_u8 v1, v[6:7], off
	s_mov_b32 s54, 0
	s_mov_b32 s53, exec_lo
	s_wait_loadcnt 0x0
	v_cmpx_lt_i16_e32 0x7f, v1
	s_xor_b32 s53, exec_lo, s53
	s_cbranch_execz .LBB23_1032
; %bb.1016:
	v_cmp_ne_u16_e32 vcc_lo, 0x80, v1
	s_and_b32 s54, vcc_lo, exec_lo
	s_and_not1_saveexec_b32 s53, s53
	s_cbranch_execnz .LBB23_1033
.LBB23_1017:
	s_or_b32 exec_lo, exec_lo, s53
	v_mov_b32_e32 v8, 0
	s_and_saveexec_b32 s53, s54
	s_cbranch_execz .LBB23_1019
.LBB23_1018:
	v_and_b32_e32 v3, 0xffff, v1
	s_delay_alu instid0(VALU_DEP_1) | instskip(SKIP_1) | instid1(VALU_DEP_2)
	v_and_b32_e32 v5, 7, v3
	v_bfe_u32 v10, v3, 3, 4
	v_clz_i32_u32_e32 v8, v5
	s_delay_alu instid0(VALU_DEP_2) | instskip(NEXT) | instid1(VALU_DEP_2)
	v_cmp_eq_u32_e32 vcc_lo, 0, v10
	v_min_u32_e32 v8, 32, v8
	s_delay_alu instid0(VALU_DEP_1) | instskip(NEXT) | instid1(VALU_DEP_1)
	v_subrev_nc_u32_e32 v9, 28, v8
	v_dual_lshlrev_b32 v3, v9, v3 :: v_dual_sub_nc_u32 v8, 29, v8
	s_delay_alu instid0(VALU_DEP_1) | instskip(NEXT) | instid1(VALU_DEP_1)
	v_dual_lshlrev_b32 v1, 24, v1 :: v_dual_bitop2_b32 v3, 7, v3 bitop3:0x40
	v_dual_cndmask_b32 v8, v10, v8 :: v_dual_cndmask_b32 v3, v5, v3
	s_delay_alu instid0(VALU_DEP_2) | instskip(NEXT) | instid1(VALU_DEP_2)
	v_and_b32_e32 v1, 0x80000000, v1
	v_lshl_add_u32 v5, v8, 23, 0x3b800000
	s_delay_alu instid0(VALU_DEP_3) | instskip(NEXT) | instid1(VALU_DEP_1)
	v_lshlrev_b32_e32 v3, 20, v3
	v_or3_b32 v1, v1, v5, v3
	s_delay_alu instid0(VALU_DEP_1) | instskip(NEXT) | instid1(VALU_DEP_1)
	v_trunc_f32_e32 v1, v1
	v_mul_f32_e64 v3, 0x2f800000, |v1|
	s_delay_alu instid0(VALU_DEP_1) | instskip(NEXT) | instid1(VALU_DEP_1)
	v_floor_f32_e32 v3, v3
	v_fma_f32 v3, 0xcf800000, v3, |v1|
	v_ashrrev_i32_e32 v1, 31, v1
	s_delay_alu instid0(VALU_DEP_2) | instskip(NEXT) | instid1(VALU_DEP_1)
	v_cvt_u32_f32_e32 v3, v3
	v_xor_b32_e32 v3, v3, v1
	s_delay_alu instid0(VALU_DEP_1)
	v_sub_nc_u32_e32 v8, v3, v1
.LBB23_1019:
	s_or_b32 exec_lo, exec_lo, s53
.LBB23_1020:
	s_mov_b32 s53, -1
.LBB23_1021:
	s_mov_b32 s54, 0
.LBB23_1022:
	s_delay_alu instid0(SALU_CYCLE_1)
	s_and_b32 vcc_lo, exec_lo, s54
	s_cbranch_vccz .LBB23_1055
; %bb.1023:
	s_cmp_gt_i32 s31, 22
	s_cbranch_scc0 .LBB23_1031
; %bb.1024:
	s_cmp_lt_i32 s31, 24
	s_cbranch_scc1 .LBB23_1034
; %bb.1025:
	s_cmp_gt_i32 s31, 24
	s_cbranch_scc0 .LBB23_1035
; %bb.1026:
	global_load_u8 v1, v[6:7], off
	s_mov_b32 s54, 0
	s_mov_b32 s53, exec_lo
	s_wait_loadcnt 0x0
	v_cmpx_lt_i16_e32 0x7f, v1
	s_xor_b32 s53, exec_lo, s53
	s_cbranch_execz .LBB23_1047
; %bb.1027:
	v_cmp_ne_u16_e32 vcc_lo, 0x80, v1
	s_and_b32 s54, vcc_lo, exec_lo
	s_and_not1_saveexec_b32 s53, s53
	s_cbranch_execnz .LBB23_1048
.LBB23_1028:
	s_or_b32 exec_lo, exec_lo, s53
	v_mov_b32_e32 v8, 0
	s_and_saveexec_b32 s53, s54
	s_cbranch_execz .LBB23_1030
.LBB23_1029:
	v_and_b32_e32 v3, 0xffff, v1
	s_delay_alu instid0(VALU_DEP_1) | instskip(SKIP_1) | instid1(VALU_DEP_2)
	v_and_b32_e32 v5, 3, v3
	v_bfe_u32 v10, v3, 2, 5
	v_clz_i32_u32_e32 v8, v5
	s_delay_alu instid0(VALU_DEP_2) | instskip(NEXT) | instid1(VALU_DEP_2)
	v_cmp_eq_u32_e32 vcc_lo, 0, v10
	v_min_u32_e32 v8, 32, v8
	s_delay_alu instid0(VALU_DEP_1) | instskip(NEXT) | instid1(VALU_DEP_1)
	v_subrev_nc_u32_e32 v9, 29, v8
	v_dual_lshlrev_b32 v3, v9, v3 :: v_dual_sub_nc_u32 v8, 30, v8
	s_delay_alu instid0(VALU_DEP_1) | instskip(NEXT) | instid1(VALU_DEP_1)
	v_dual_lshlrev_b32 v1, 24, v1 :: v_dual_bitop2_b32 v3, 3, v3 bitop3:0x40
	v_dual_cndmask_b32 v8, v10, v8 :: v_dual_cndmask_b32 v3, v5, v3
	s_delay_alu instid0(VALU_DEP_2) | instskip(NEXT) | instid1(VALU_DEP_2)
	v_and_b32_e32 v1, 0x80000000, v1
	v_lshl_add_u32 v5, v8, 23, 0x37800000
	s_delay_alu instid0(VALU_DEP_3) | instskip(NEXT) | instid1(VALU_DEP_1)
	v_lshlrev_b32_e32 v3, 21, v3
	v_or3_b32 v1, v1, v5, v3
	s_delay_alu instid0(VALU_DEP_1) | instskip(NEXT) | instid1(VALU_DEP_1)
	v_trunc_f32_e32 v1, v1
	v_mul_f32_e64 v3, 0x2f800000, |v1|
	s_delay_alu instid0(VALU_DEP_1) | instskip(NEXT) | instid1(VALU_DEP_1)
	v_floor_f32_e32 v3, v3
	v_fma_f32 v3, 0xcf800000, v3, |v1|
	v_ashrrev_i32_e32 v1, 31, v1
	s_delay_alu instid0(VALU_DEP_2) | instskip(NEXT) | instid1(VALU_DEP_1)
	v_cvt_u32_f32_e32 v3, v3
	v_xor_b32_e32 v3, v3, v1
	s_delay_alu instid0(VALU_DEP_1)
	v_sub_nc_u32_e32 v8, v3, v1
.LBB23_1030:
	s_or_b32 exec_lo, exec_lo, s53
	s_mov_b32 s53, 0
	s_branch .LBB23_1036
.LBB23_1031:
	s_mov_b32 s54, -1
                                        ; implicit-def: $vgpr8
	s_branch .LBB23_1042
.LBB23_1032:
	s_and_not1_saveexec_b32 s53, s53
	s_cbranch_execz .LBB23_1017
.LBB23_1033:
	v_cmp_ne_u16_e32 vcc_lo, 0, v1
	s_and_not1_b32 s54, s54, exec_lo
	s_and_b32 s55, vcc_lo, exec_lo
	s_delay_alu instid0(SALU_CYCLE_1)
	s_or_b32 s54, s54, s55
	s_or_b32 exec_lo, exec_lo, s53
	v_mov_b32_e32 v8, 0
	s_and_saveexec_b32 s53, s54
	s_cbranch_execnz .LBB23_1018
	s_branch .LBB23_1019
.LBB23_1034:
	s_mov_b32 s53, -1
                                        ; implicit-def: $vgpr8
	s_branch .LBB23_1039
.LBB23_1035:
	s_mov_b32 s53, -1
                                        ; implicit-def: $vgpr8
.LBB23_1036:
	s_delay_alu instid0(SALU_CYCLE_1)
	s_and_b32 vcc_lo, exec_lo, s53
	s_cbranch_vccz .LBB23_1038
; %bb.1037:
	global_load_u8 v1, v[6:7], off
	s_wait_loadcnt 0x0
	v_lshlrev_b32_e32 v1, 24, v1
	s_delay_alu instid0(VALU_DEP_1) | instskip(NEXT) | instid1(VALU_DEP_1)
	v_and_b32_e32 v3, 0x7f000000, v1
	v_clz_i32_u32_e32 v5, v3
	s_wait_xcnt 0x1
	v_add_nc_u32_e32 v9, 0x1000000, v3
	v_cmp_ne_u32_e32 vcc_lo, 0, v3
	s_delay_alu instid0(VALU_DEP_3) | instskip(NEXT) | instid1(VALU_DEP_1)
	v_min_u32_e32 v5, 32, v5
	v_sub_nc_u32_e64 v5, v5, 4 clamp
	s_delay_alu instid0(VALU_DEP_1) | instskip(NEXT) | instid1(VALU_DEP_1)
	v_dual_lshlrev_b32 v8, v5, v3 :: v_dual_lshlrev_b32 v5, 23, v5
	v_lshrrev_b32_e32 v8, 4, v8
	s_delay_alu instid0(VALU_DEP_1) | instskip(SKIP_1) | instid1(VALU_DEP_2)
	v_sub_nc_u32_e32 v5, v8, v5
	v_ashrrev_i32_e32 v8, 8, v9
	v_add_nc_u32_e32 v5, 0x3c000000, v5
	s_delay_alu instid0(VALU_DEP_1) | instskip(NEXT) | instid1(VALU_DEP_1)
	v_and_or_b32 v5, 0x7f800000, v8, v5
	v_cndmask_b32_e32 v3, 0, v5, vcc_lo
	s_delay_alu instid0(VALU_DEP_1) | instskip(NEXT) | instid1(VALU_DEP_1)
	v_and_or_b32 v1, 0x80000000, v1, v3
	v_trunc_f32_e32 v1, v1
	s_delay_alu instid0(VALU_DEP_1) | instskip(NEXT) | instid1(VALU_DEP_1)
	v_mul_f32_e64 v3, 0x2f800000, |v1|
	v_floor_f32_e32 v3, v3
	s_delay_alu instid0(VALU_DEP_1) | instskip(SKIP_1) | instid1(VALU_DEP_2)
	v_fma_f32 v3, 0xcf800000, v3, |v1|
	v_ashrrev_i32_e32 v1, 31, v1
	v_cvt_u32_f32_e32 v3, v3
	s_delay_alu instid0(VALU_DEP_1) | instskip(NEXT) | instid1(VALU_DEP_1)
	v_xor_b32_e32 v3, v3, v1
	v_sub_nc_u32_e32 v8, v3, v1
.LBB23_1038:
	s_mov_b32 s53, 0
.LBB23_1039:
	s_delay_alu instid0(SALU_CYCLE_1)
	s_and_not1_b32 vcc_lo, exec_lo, s53
	s_cbranch_vccnz .LBB23_1041
; %bb.1040:
	global_load_u8 v1, v[6:7], off
	s_wait_loadcnt 0x0
	v_lshlrev_b32_e32 v3, 25, v1
	v_lshlrev_b16 v1, 8, v1
	s_wait_xcnt 0x1
	s_delay_alu instid0(VALU_DEP_1) | instskip(SKIP_1) | instid1(VALU_DEP_2)
	v_and_or_b32 v8, 0x7f00, v1, 0.5
	v_bfe_i32 v1, v1, 0, 16
	v_dual_add_f32 v8, -0.5, v8 :: v_dual_lshrrev_b32 v5, 4, v3
	v_cmp_gt_u32_e32 vcc_lo, 0x8000000, v3
	s_delay_alu instid0(VALU_DEP_2) | instskip(NEXT) | instid1(VALU_DEP_1)
	v_or_b32_e32 v5, 0x70000000, v5
	v_mul_f32_e32 v5, 0x7800000, v5
	s_delay_alu instid0(VALU_DEP_1) | instskip(NEXT) | instid1(VALU_DEP_1)
	v_cndmask_b32_e32 v3, v5, v8, vcc_lo
	v_and_or_b32 v1, 0x80000000, v1, v3
	s_delay_alu instid0(VALU_DEP_1) | instskip(NEXT) | instid1(VALU_DEP_1)
	v_trunc_f32_e32 v1, v1
	v_mul_f32_e64 v3, 0x2f800000, |v1|
	s_delay_alu instid0(VALU_DEP_1) | instskip(NEXT) | instid1(VALU_DEP_1)
	v_floor_f32_e32 v3, v3
	v_fma_f32 v3, 0xcf800000, v3, |v1|
	v_ashrrev_i32_e32 v1, 31, v1
	s_delay_alu instid0(VALU_DEP_2) | instskip(NEXT) | instid1(VALU_DEP_1)
	v_cvt_u32_f32_e32 v3, v3
	v_xor_b32_e32 v3, v3, v1
	s_delay_alu instid0(VALU_DEP_1)
	v_sub_nc_u32_e32 v8, v3, v1
.LBB23_1041:
	s_mov_b32 s54, 0
	s_mov_b32 s53, -1
.LBB23_1042:
	s_and_not1_b32 vcc_lo, exec_lo, s54
	s_cbranch_vccnz .LBB23_1055
; %bb.1043:
	s_cmp_gt_i32 s31, 14
	s_cbranch_scc0 .LBB23_1046
; %bb.1044:
	s_cmp_eq_u32 s31, 15
	s_cbranch_scc0 .LBB23_1049
; %bb.1045:
	global_load_u16 v1, v[6:7], off
	s_mov_b32 s53, -1
	s_mov_b32 s30, 0
	s_wait_loadcnt 0x0
	v_lshlrev_b32_e32 v1, 16, v1
	s_delay_alu instid0(VALU_DEP_1) | instskip(NEXT) | instid1(VALU_DEP_1)
	v_trunc_f32_e32 v1, v1
	v_mul_f32_e64 v3, 0x2f800000, |v1|
	s_delay_alu instid0(VALU_DEP_1) | instskip(NEXT) | instid1(VALU_DEP_1)
	v_floor_f32_e32 v3, v3
	v_fma_f32 v3, 0xcf800000, v3, |v1|
	v_ashrrev_i32_e32 v1, 31, v1
	s_delay_alu instid0(VALU_DEP_2) | instskip(NEXT) | instid1(VALU_DEP_1)
	v_cvt_u32_f32_e32 v3, v3
	v_xor_b32_e32 v3, v3, v1
	s_wait_xcnt 0x1
	s_delay_alu instid0(VALU_DEP_1)
	v_sub_nc_u32_e32 v8, v3, v1
	s_branch .LBB23_1050
.LBB23_1046:
	s_mov_b32 s54, -1
                                        ; implicit-def: $vgpr8
	s_branch .LBB23_1051
.LBB23_1047:
	s_and_not1_saveexec_b32 s53, s53
	s_cbranch_execz .LBB23_1028
.LBB23_1048:
	v_cmp_ne_u16_e32 vcc_lo, 0, v1
	s_and_not1_b32 s54, s54, exec_lo
	s_and_b32 s55, vcc_lo, exec_lo
	s_delay_alu instid0(SALU_CYCLE_1)
	s_or_b32 s54, s54, s55
	s_or_b32 exec_lo, exec_lo, s53
	v_mov_b32_e32 v8, 0
	s_and_saveexec_b32 s53, s54
	s_cbranch_execnz .LBB23_1029
	s_branch .LBB23_1030
.LBB23_1049:
	s_mov_b32 s30, -1
                                        ; implicit-def: $vgpr8
.LBB23_1050:
	s_mov_b32 s54, 0
.LBB23_1051:
	s_delay_alu instid0(SALU_CYCLE_1)
	s_and_b32 vcc_lo, exec_lo, s54
	s_cbranch_vccz .LBB23_1055
; %bb.1052:
	s_cmp_eq_u32 s31, 11
	s_cbranch_scc0 .LBB23_1054
; %bb.1053:
	global_load_u8 v1, v[6:7], off
	s_mov_b32 s30, 0
	s_mov_b32 s53, -1
	s_wait_loadcnt 0x0
	v_cmp_ne_u16_e32 vcc_lo, 0, v1
	s_wait_xcnt 0x1
	v_cndmask_b32_e64 v8, 0, 1, vcc_lo
	s_branch .LBB23_1055
.LBB23_1054:
	s_mov_b32 s30, -1
                                        ; implicit-def: $vgpr8
.LBB23_1055:
	s_mov_b32 s31, 0
.LBB23_1056:
	s_delay_alu instid0(SALU_CYCLE_1)
	s_and_b32 vcc_lo, exec_lo, s31
	s_cbranch_vccz .LBB23_1105
; %bb.1057:
	s_and_b32 s0, 0xffff, s0
	s_delay_alu instid0(SALU_CYCLE_1)
	s_cmp_lt_i32 s0, 5
	s_cbranch_scc1 .LBB23_1062
; %bb.1058:
	s_cmp_lt_i32 s0, 8
	s_cbranch_scc1 .LBB23_1063
; %bb.1059:
	;; [unrolled: 3-line block ×3, first 2 shown]
	s_cmp_gt_i32 s0, 9
	s_cbranch_scc0 .LBB23_1065
; %bb.1061:
	s_wait_loadcnt 0x0
	global_load_b64 v[8:9], v[6:7], off
	s_mov_b32 s31, 0
	s_wait_loadcnt 0x0
	v_trunc_f64_e32 v[8:9], v[8:9]
	s_delay_alu instid0(VALU_DEP_1) | instskip(NEXT) | instid1(VALU_DEP_1)
	v_ldexp_f64 v[10:11], v[8:9], 0xffffffe0
	v_floor_f64_e32 v[10:11], v[10:11]
	s_delay_alu instid0(VALU_DEP_1) | instskip(NEXT) | instid1(VALU_DEP_1)
	v_fmamk_f64 v[8:9], v[10:11], 0xc1f00000, v[8:9]
	v_cvt_u32_f64_e32 v8, v[8:9]
	s_branch .LBB23_1066
.LBB23_1062:
	s_mov_b32 s31, -1
                                        ; implicit-def: $vgpr8
	s_branch .LBB23_1084
.LBB23_1063:
	s_mov_b32 s31, -1
                                        ; implicit-def: $vgpr8
	s_branch .LBB23_1072
.LBB23_1064:
	s_mov_b32 s31, -1
                                        ; implicit-def: $vgpr8
	s_branch .LBB23_1069
.LBB23_1065:
	s_mov_b32 s31, -1
                                        ; implicit-def: $vgpr8
.LBB23_1066:
	s_delay_alu instid0(SALU_CYCLE_1)
	s_and_not1_b32 vcc_lo, exec_lo, s31
	s_cbranch_vccnz .LBB23_1068
; %bb.1067:
	global_load_b32 v1, v[6:7], off
	s_wait_loadcnt 0x0
	v_trunc_f32_e32 v1, v1
	s_delay_alu instid0(VALU_DEP_1) | instskip(NEXT) | instid1(VALU_DEP_1)
	v_mul_f32_e64 v3, 0x2f800000, |v1|
	v_floor_f32_e32 v3, v3
	s_delay_alu instid0(VALU_DEP_1) | instskip(SKIP_1) | instid1(VALU_DEP_2)
	v_fma_f32 v3, 0xcf800000, v3, |v1|
	v_ashrrev_i32_e32 v1, 31, v1
	v_cvt_u32_f32_e32 v3, v3
	s_delay_alu instid0(VALU_DEP_1) | instskip(SKIP_1) | instid1(VALU_DEP_1)
	v_xor_b32_e32 v3, v3, v1
	s_wait_xcnt 0x1
	v_sub_nc_u32_e32 v8, v3, v1
.LBB23_1068:
	s_mov_b32 s31, 0
.LBB23_1069:
	s_delay_alu instid0(SALU_CYCLE_1)
	s_and_not1_b32 vcc_lo, exec_lo, s31
	s_cbranch_vccnz .LBB23_1071
; %bb.1070:
	global_load_b32 v1, v[6:7], off
	s_wait_loadcnt 0x0
	v_cvt_f32_f16_e32 v1, v1
	s_wait_xcnt 0x1
	s_delay_alu instid0(VALU_DEP_1)
	v_cvt_i32_f32_e32 v8, v1
.LBB23_1071:
	s_mov_b32 s31, 0
.LBB23_1072:
	s_delay_alu instid0(SALU_CYCLE_1)
	s_and_not1_b32 vcc_lo, exec_lo, s31
	s_cbranch_vccnz .LBB23_1083
; %bb.1073:
	s_cmp_lt_i32 s0, 6
	s_cbranch_scc1 .LBB23_1076
; %bb.1074:
	s_cmp_gt_i32 s0, 6
	s_cbranch_scc0 .LBB23_1077
; %bb.1075:
	s_wait_loadcnt 0x0
	global_load_b64 v[8:9], v[6:7], off
	s_mov_b32 s31, 0
	s_wait_loadcnt 0x0
	v_trunc_f64_e32 v[8:9], v[8:9]
	s_delay_alu instid0(VALU_DEP_1) | instskip(NEXT) | instid1(VALU_DEP_1)
	v_ldexp_f64 v[10:11], v[8:9], 0xffffffe0
	v_floor_f64_e32 v[10:11], v[10:11]
	s_delay_alu instid0(VALU_DEP_1) | instskip(NEXT) | instid1(VALU_DEP_1)
	v_fmamk_f64 v[8:9], v[10:11], 0xc1f00000, v[8:9]
	v_cvt_u32_f64_e32 v8, v[8:9]
	s_branch .LBB23_1078
.LBB23_1076:
	s_mov_b32 s31, -1
                                        ; implicit-def: $vgpr8
	s_branch .LBB23_1081
.LBB23_1077:
	s_mov_b32 s31, -1
                                        ; implicit-def: $vgpr8
.LBB23_1078:
	s_delay_alu instid0(SALU_CYCLE_1)
	s_and_not1_b32 vcc_lo, exec_lo, s31
	s_cbranch_vccnz .LBB23_1080
; %bb.1079:
	global_load_b32 v1, v[6:7], off
	s_wait_loadcnt 0x0
	v_trunc_f32_e32 v1, v1
	s_delay_alu instid0(VALU_DEP_1) | instskip(NEXT) | instid1(VALU_DEP_1)
	v_mul_f32_e64 v3, 0x2f800000, |v1|
	v_floor_f32_e32 v3, v3
	s_delay_alu instid0(VALU_DEP_1) | instskip(SKIP_1) | instid1(VALU_DEP_2)
	v_fma_f32 v3, 0xcf800000, v3, |v1|
	v_ashrrev_i32_e32 v1, 31, v1
	v_cvt_u32_f32_e32 v3, v3
	s_delay_alu instid0(VALU_DEP_1) | instskip(SKIP_1) | instid1(VALU_DEP_1)
	v_xor_b32_e32 v3, v3, v1
	s_wait_xcnt 0x1
	v_sub_nc_u32_e32 v8, v3, v1
.LBB23_1080:
	s_mov_b32 s31, 0
.LBB23_1081:
	s_delay_alu instid0(SALU_CYCLE_1)
	s_and_not1_b32 vcc_lo, exec_lo, s31
	s_cbranch_vccnz .LBB23_1083
; %bb.1082:
	global_load_u16 v1, v[6:7], off
	s_wait_loadcnt 0x0
	v_cvt_f32_f16_e32 v1, v1
	s_wait_xcnt 0x1
	s_delay_alu instid0(VALU_DEP_1)
	v_cvt_i32_f32_e32 v8, v1
.LBB23_1083:
	s_mov_b32 s31, 0
.LBB23_1084:
	s_delay_alu instid0(SALU_CYCLE_1)
	s_and_not1_b32 vcc_lo, exec_lo, s31
	s_cbranch_vccnz .LBB23_1104
; %bb.1085:
	s_cmp_lt_i32 s0, 2
	s_cbranch_scc1 .LBB23_1089
; %bb.1086:
	s_cmp_lt_i32 s0, 3
	s_cbranch_scc1 .LBB23_1090
; %bb.1087:
	s_cmp_gt_i32 s0, 3
	s_cbranch_scc0 .LBB23_1091
; %bb.1088:
	s_wait_loadcnt 0x0
	global_load_b64 v[8:9], v[6:7], off
	s_mov_b32 s31, 0
	s_branch .LBB23_1092
.LBB23_1089:
	s_mov_b32 s31, -1
                                        ; implicit-def: $vgpr8
	s_branch .LBB23_1098
.LBB23_1090:
	s_mov_b32 s31, -1
                                        ; implicit-def: $vgpr8
	s_branch .LBB23_1095
.LBB23_1091:
	s_mov_b32 s31, -1
                                        ; implicit-def: $vgpr8
.LBB23_1092:
	s_delay_alu instid0(SALU_CYCLE_1)
	s_and_not1_b32 vcc_lo, exec_lo, s31
	s_cbranch_vccnz .LBB23_1094
; %bb.1093:
	s_wait_loadcnt 0x0
	global_load_b32 v8, v[6:7], off
.LBB23_1094:
	s_mov_b32 s31, 0
.LBB23_1095:
	s_delay_alu instid0(SALU_CYCLE_1)
	s_and_not1_b32 vcc_lo, exec_lo, s31
	s_cbranch_vccnz .LBB23_1097
; %bb.1096:
	s_wait_loadcnt 0x0
	global_load_u16 v8, v[6:7], off
.LBB23_1097:
	s_mov_b32 s31, 0
.LBB23_1098:
	s_delay_alu instid0(SALU_CYCLE_1)
	s_and_not1_b32 vcc_lo, exec_lo, s31
	s_cbranch_vccnz .LBB23_1104
; %bb.1099:
	s_cmp_gt_i32 s0, 0
	s_mov_b32 s0, 0
	s_cbranch_scc0 .LBB23_1101
; %bb.1100:
	s_wait_loadcnt 0x0
	global_load_u8 v8, v[6:7], off
	s_branch .LBB23_1102
.LBB23_1101:
	s_mov_b32 s0, -1
                                        ; implicit-def: $vgpr8
.LBB23_1102:
	s_delay_alu instid0(SALU_CYCLE_1)
	s_and_not1_b32 vcc_lo, exec_lo, s0
	s_cbranch_vccnz .LBB23_1104
; %bb.1103:
	s_wait_loadcnt 0x0
	global_load_u8 v8, v[6:7], off
.LBB23_1104:
	s_mov_b32 s53, -1
.LBB23_1105:
	s_delay_alu instid0(SALU_CYCLE_1)
	s_and_not1_b32 vcc_lo, exec_lo, s53
	s_cbranch_vccnz .LBB23_1113
; %bb.1106:
	v_mov_b32_e32 v3, 0
	s_wait_loadcnt 0x0
	v_mul_lo_u16 v1, v4, s16
	s_and_b32 s31, s9, 0xff
	s_delay_alu instid0(SALU_CYCLE_1) | instskip(SKIP_1) | instid1(VALU_DEP_2)
	s_cmp_lt_i32 s31, 11
	v_add_nc_u64_e32 v[2:3], s[18:19], v[2:3]
	v_mul_lo_u16 v1, v1, v8
	s_cbranch_scc1 .LBB23_1114
; %bb.1107:
	s_and_b32 s53, 0xffff, s31
	s_delay_alu instid0(SALU_CYCLE_1)
	s_cmp_gt_i32 s53, 25
	s_cbranch_scc0 .LBB23_1115
; %bb.1108:
	s_cmp_gt_i32 s53, 28
	s_cbranch_scc0 .LBB23_1116
; %bb.1109:
	;; [unrolled: 3-line block ×4, first 2 shown]
	s_mov_b32 s55, 0
	s_mov_b32 s0, -1
	s_cmp_eq_u32 s53, 46
	s_mov_b32 s54, 0
	s_cbranch_scc0 .LBB23_1119
; %bb.1112:
	v_cvt_f32_ubyte0_e32 v4, v1
	s_mov_b32 s54, -1
	s_mov_b32 s0, 0
	s_delay_alu instid0(VALU_DEP_1) | instskip(NEXT) | instid1(VALU_DEP_1)
	v_bfe_u32 v5, v4, 16, 1
	v_add3_u32 v4, v4, v5, 0x7fff
	s_delay_alu instid0(VALU_DEP_1)
	v_lshrrev_b32_e32 v4, 16, v4
	global_store_b32 v[2:3], v4, off
	s_branch .LBB23_1119
.LBB23_1113:
	s_mov_b32 s31, 0
	s_mov_b32 s0, s48
	s_branch .LBB23_858
.LBB23_1114:
	s_mov_b32 s53, -1
	s_mov_b32 s54, 0
	s_mov_b32 s0, s48
	s_branch .LBB23_1188
.LBB23_1115:
	s_mov_b32 s55, -1
	s_mov_b32 s54, 0
	s_mov_b32 s0, s48
	s_branch .LBB23_1146
.LBB23_1116:
	s_mov_b32 s55, -1
	s_mov_b32 s54, 0
	s_mov_b32 s0, s48
	s_branch .LBB23_1129
.LBB23_1117:
	s_mov_b32 s55, -1
	s_mov_b32 s54, 0
	s_mov_b32 s0, s48
	s_branch .LBB23_1125
.LBB23_1118:
	s_mov_b32 s55, -1
	s_mov_b32 s54, 0
	s_mov_b32 s0, s48
.LBB23_1119:
	s_and_b32 vcc_lo, exec_lo, s55
	s_cbranch_vccz .LBB23_1124
; %bb.1120:
	s_cmp_eq_u32 s53, 44
	s_mov_b32 s0, -1
	s_cbranch_scc0 .LBB23_1124
; %bb.1121:
	s_wait_xcnt 0x0
	v_cvt_f32_ubyte0_e32 v6, v1
	s_mov_b32 s54, exec_lo
	s_delay_alu instid0(VALU_DEP_1) | instskip(NEXT) | instid1(VALU_DEP_1)
	v_dual_mov_b32 v5, 0xff :: v_dual_lshrrev_b32 v4, 23, v6
	v_cmpx_ne_u32_e32 0xff, v4
; %bb.1122:
	v_and_b32_e32 v5, 0x400000, v6
	v_and_or_b32 v6, 0x3fffff, v6, v4
	s_delay_alu instid0(VALU_DEP_2) | instskip(NEXT) | instid1(VALU_DEP_2)
	v_cmp_ne_u32_e32 vcc_lo, 0, v5
	v_cmp_ne_u32_e64 s0, 0, v6
	s_and_b32 s0, vcc_lo, s0
	s_delay_alu instid0(SALU_CYCLE_1) | instskip(NEXT) | instid1(VALU_DEP_1)
	v_cndmask_b32_e64 v5, 0, 1, s0
	v_add_nc_u32_e32 v5, v4, v5
; %bb.1123:
	s_or_b32 exec_lo, exec_lo, s54
	s_mov_b32 s54, -1
	s_mov_b32 s0, 0
	global_store_b8 v[2:3], v5, off
.LBB23_1124:
	s_mov_b32 s55, 0
.LBB23_1125:
	s_delay_alu instid0(SALU_CYCLE_1)
	s_and_b32 vcc_lo, exec_lo, s55
	s_cbranch_vccz .LBB23_1128
; %bb.1126:
	s_cmp_eq_u32 s53, 29
	s_mov_b32 s0, -1
	s_cbranch_scc0 .LBB23_1128
; %bb.1127:
	s_wait_xcnt 0x0
	v_and_b32_e32 v4, 0xff, v1
	v_mov_b32_e32 v5, 0
	s_mov_b32 s54, -1
	s_mov_b32 s0, 0
	s_mov_b32 s55, 0
	global_store_b64 v[2:3], v[4:5], off
	s_branch .LBB23_1129
.LBB23_1128:
	s_mov_b32 s55, 0
.LBB23_1129:
	s_delay_alu instid0(SALU_CYCLE_1)
	s_and_b32 vcc_lo, exec_lo, s55
	s_cbranch_vccz .LBB23_1145
; %bb.1130:
	s_cmp_lt_i32 s53, 27
	s_mov_b32 s54, -1
	s_cbranch_scc1 .LBB23_1136
; %bb.1131:
	s_cmp_gt_i32 s53, 27
	s_cbranch_scc0 .LBB23_1133
; %bb.1132:
	s_wait_xcnt 0x0
	v_and_b32_e32 v4, 0xff, v1
	s_mov_b32 s54, 0
	global_store_b32 v[2:3], v4, off
.LBB23_1133:
	s_and_not1_b32 vcc_lo, exec_lo, s54
	s_cbranch_vccnz .LBB23_1135
; %bb.1134:
	s_wait_xcnt 0x0
	v_and_b32_e32 v4, 0xff, v1
	global_store_b16 v[2:3], v4, off
.LBB23_1135:
	s_mov_b32 s54, 0
.LBB23_1136:
	s_delay_alu instid0(SALU_CYCLE_1)
	s_and_not1_b32 vcc_lo, exec_lo, s54
	s_cbranch_vccnz .LBB23_1144
; %bb.1137:
	s_wait_xcnt 0x0
	v_cvt_f32_ubyte0_e32 v5, v1
	v_mov_b32_e32 v6, 0x80
	s_mov_b32 s54, exec_lo
	s_delay_alu instid0(VALU_DEP_2)
	v_cmpx_gt_u32_e32 0x43800000, v5
	s_cbranch_execz .LBB23_1143
; %bb.1138:
	s_mov_b32 s55, 0
	s_mov_b32 s56, exec_lo
                                        ; implicit-def: $vgpr4
	v_cmpx_lt_u32_e32 0x3bffffff, v5
	s_xor_b32 s56, exec_lo, s56
	s_cbranch_execz .LBB23_2115
; %bb.1139:
	v_bfe_u32 v4, v5, 20, 1
	s_mov_b32 s55, exec_lo
	s_delay_alu instid0(VALU_DEP_1) | instskip(NEXT) | instid1(VALU_DEP_1)
	v_add3_u32 v4, v5, v4, 0x487ffff
                                        ; implicit-def: $vgpr5
	v_lshrrev_b32_e32 v4, 20, v4
	s_and_not1_saveexec_b32 s56, s56
	s_cbranch_execnz .LBB23_2116
.LBB23_1140:
	s_or_b32 exec_lo, exec_lo, s56
	v_mov_b32_e32 v6, 0
	s_and_saveexec_b32 s56, s55
.LBB23_1141:
	v_mov_b32_e32 v6, v4
.LBB23_1142:
	s_or_b32 exec_lo, exec_lo, s56
.LBB23_1143:
	s_delay_alu instid0(SALU_CYCLE_1)
	s_or_b32 exec_lo, exec_lo, s54
	global_store_b8 v[2:3], v6, off
.LBB23_1144:
	s_mov_b32 s54, -1
.LBB23_1145:
	s_mov_b32 s55, 0
.LBB23_1146:
	s_delay_alu instid0(SALU_CYCLE_1)
	s_and_b32 vcc_lo, exec_lo, s55
	s_cbranch_vccz .LBB23_1187
; %bb.1147:
	s_cmp_gt_i32 s53, 22
	s_mov_b32 s55, -1
	s_cbranch_scc0 .LBB23_1179
; %bb.1148:
	s_cmp_lt_i32 s53, 24
	s_mov_b32 s54, -1
	s_cbranch_scc1 .LBB23_1168
; %bb.1149:
	s_cmp_gt_i32 s53, 24
	s_cbranch_scc0 .LBB23_1157
; %bb.1150:
	s_wait_xcnt 0x0
	v_cvt_f32_ubyte0_e32 v5, v1
	v_mov_b32_e32 v6, 0x80
	s_mov_b32 s54, exec_lo
	s_delay_alu instid0(VALU_DEP_2)
	v_cmpx_gt_u32_e32 0x47800000, v5
	s_cbranch_execz .LBB23_1156
; %bb.1151:
	s_mov_b32 s55, 0
	s_mov_b32 s56, exec_lo
                                        ; implicit-def: $vgpr4
	v_cmpx_lt_u32_e32 0x37ffffff, v5
	s_xor_b32 s56, exec_lo, s56
	s_cbranch_execz .LBB23_2264
; %bb.1152:
	v_bfe_u32 v4, v5, 21, 1
	s_mov_b32 s55, exec_lo
	s_delay_alu instid0(VALU_DEP_1) | instskip(NEXT) | instid1(VALU_DEP_1)
	v_add3_u32 v4, v5, v4, 0x88fffff
                                        ; implicit-def: $vgpr5
	v_lshrrev_b32_e32 v4, 21, v4
	s_and_not1_saveexec_b32 s56, s56
	s_cbranch_execnz .LBB23_2265
.LBB23_1153:
	s_or_b32 exec_lo, exec_lo, s56
	v_mov_b32_e32 v6, 0
	s_and_saveexec_b32 s56, s55
.LBB23_1154:
	v_mov_b32_e32 v6, v4
.LBB23_1155:
	s_or_b32 exec_lo, exec_lo, s56
.LBB23_1156:
	s_delay_alu instid0(SALU_CYCLE_1)
	s_or_b32 exec_lo, exec_lo, s54
	s_mov_b32 s54, 0
	global_store_b8 v[2:3], v6, off
.LBB23_1157:
	s_and_b32 vcc_lo, exec_lo, s54
	s_cbranch_vccz .LBB23_1167
; %bb.1158:
	s_wait_xcnt 0x0
	v_cvt_f32_ubyte0_e32 v5, v1
	s_mov_b32 s54, exec_lo
                                        ; implicit-def: $vgpr4
	s_delay_alu instid0(VALU_DEP_1)
	v_cmpx_gt_u32_e32 0x43f00000, v5
	s_xor_b32 s54, exec_lo, s54
	s_cbranch_execz .LBB23_1164
; %bb.1159:
	s_mov_b32 s55, exec_lo
                                        ; implicit-def: $vgpr4
	v_cmpx_lt_u32_e32 0x3c7fffff, v5
	s_xor_b32 s55, exec_lo, s55
; %bb.1160:
	v_bfe_u32 v4, v5, 20, 1
	s_delay_alu instid0(VALU_DEP_1) | instskip(NEXT) | instid1(VALU_DEP_1)
	v_add3_u32 v4, v5, v4, 0x407ffff
	v_and_b32_e32 v5, 0xff00000, v4
	v_lshrrev_b32_e32 v4, 20, v4
	s_delay_alu instid0(VALU_DEP_2) | instskip(NEXT) | instid1(VALU_DEP_2)
	v_cmp_ne_u32_e32 vcc_lo, 0x7f00000, v5
                                        ; implicit-def: $vgpr5
	v_cndmask_b32_e32 v4, 0x7e, v4, vcc_lo
; %bb.1161:
	s_and_not1_saveexec_b32 s55, s55
; %bb.1162:
	v_add_f32_e32 v4, 0x46800000, v5
; %bb.1163:
	s_or_b32 exec_lo, exec_lo, s55
                                        ; implicit-def: $vgpr5
.LBB23_1164:
	s_and_not1_saveexec_b32 s54, s54
; %bb.1165:
	v_mov_b32_e32 v4, 0x7f
	v_cmp_lt_u32_e32 vcc_lo, 0x7f800000, v5
	s_delay_alu instid0(VALU_DEP_2)
	v_cndmask_b32_e32 v4, 0x7e, v4, vcc_lo
; %bb.1166:
	s_or_b32 exec_lo, exec_lo, s54
	global_store_b8 v[2:3], v4, off
.LBB23_1167:
	s_mov_b32 s54, 0
.LBB23_1168:
	s_delay_alu instid0(SALU_CYCLE_1)
	s_and_not1_b32 vcc_lo, exec_lo, s54
	s_cbranch_vccnz .LBB23_1178
; %bb.1169:
	s_wait_xcnt 0x0
	v_cvt_f32_ubyte0_e32 v5, v1
	s_mov_b32 s54, exec_lo
                                        ; implicit-def: $vgpr4
	s_delay_alu instid0(VALU_DEP_1)
	v_cmpx_gt_u32_e32 0x47800000, v5
	s_xor_b32 s54, exec_lo, s54
	s_cbranch_execz .LBB23_1175
; %bb.1170:
	s_mov_b32 s55, exec_lo
                                        ; implicit-def: $vgpr4
	v_cmpx_lt_u32_e32 0x387fffff, v5
	s_xor_b32 s55, exec_lo, s55
; %bb.1171:
	v_bfe_u32 v4, v5, 21, 1
	s_delay_alu instid0(VALU_DEP_1) | instskip(NEXT) | instid1(VALU_DEP_1)
	v_add3_u32 v4, v5, v4, 0x80fffff
                                        ; implicit-def: $vgpr5
	v_lshrrev_b32_e32 v4, 21, v4
; %bb.1172:
	s_and_not1_saveexec_b32 s55, s55
; %bb.1173:
	v_add_f32_e32 v4, 0x43000000, v5
; %bb.1174:
	s_or_b32 exec_lo, exec_lo, s55
                                        ; implicit-def: $vgpr5
.LBB23_1175:
	s_and_not1_saveexec_b32 s54, s54
; %bb.1176:
	v_mov_b32_e32 v4, 0x7f
	v_cmp_lt_u32_e32 vcc_lo, 0x7f800000, v5
	s_delay_alu instid0(VALU_DEP_2)
	v_cndmask_b32_e32 v4, 0x7c, v4, vcc_lo
; %bb.1177:
	s_or_b32 exec_lo, exec_lo, s54
	global_store_b8 v[2:3], v4, off
.LBB23_1178:
	s_mov_b32 s55, 0
	s_mov_b32 s54, -1
.LBB23_1179:
	s_and_not1_b32 vcc_lo, exec_lo, s55
	s_cbranch_vccnz .LBB23_1187
; %bb.1180:
	s_cmp_gt_i32 s53, 14
	s_mov_b32 s55, -1
	s_cbranch_scc0 .LBB23_1184
; %bb.1181:
	s_cmp_eq_u32 s53, 15
	s_mov_b32 s0, -1
	s_cbranch_scc0 .LBB23_1183
; %bb.1182:
	s_wait_xcnt 0x0
	v_cvt_f32_ubyte0_e32 v4, v1
	s_mov_b32 s54, -1
	s_mov_b32 s0, 0
	s_delay_alu instid0(VALU_DEP_1) | instskip(NEXT) | instid1(VALU_DEP_1)
	v_bfe_u32 v5, v4, 16, 1
	v_add3_u32 v4, v4, v5, 0x7fff
	global_store_d16_hi_b16 v[2:3], v4, off
.LBB23_1183:
	s_mov_b32 s55, 0
.LBB23_1184:
	s_delay_alu instid0(SALU_CYCLE_1)
	s_and_b32 vcc_lo, exec_lo, s55
	s_cbranch_vccz .LBB23_1187
; %bb.1185:
	s_cmp_eq_u32 s53, 11
	s_mov_b32 s0, -1
	s_cbranch_scc0 .LBB23_1187
; %bb.1186:
	s_wait_xcnt 0x0
	v_and_b32_e32 v4, 0xff, v1
	s_mov_b32 s0, 0
	s_mov_b32 s54, -1
	s_delay_alu instid0(VALU_DEP_1)
	v_cmp_ne_u16_e32 vcc_lo, 0, v4
	v_cndmask_b32_e64 v4, 0, 1, vcc_lo
	global_store_b8 v[2:3], v4, off
.LBB23_1187:
	s_mov_b32 s53, 0
.LBB23_1188:
	s_delay_alu instid0(SALU_CYCLE_1)
	s_and_b32 vcc_lo, exec_lo, s53
	s_cbranch_vccz .LBB23_1227
; %bb.1189:
	s_and_b32 s31, 0xffff, s31
	s_mov_b32 s53, -1
	s_cmp_lt_i32 s31, 5
	s_cbranch_scc1 .LBB23_1210
; %bb.1190:
	s_cmp_lt_i32 s31, 8
	s_cbranch_scc1 .LBB23_1200
; %bb.1191:
	s_cmp_lt_i32 s31, 9
	s_cbranch_scc1 .LBB23_1197
; %bb.1192:
	s_cmp_gt_i32 s31, 9
	s_cbranch_scc0 .LBB23_1194
; %bb.1193:
	s_wait_xcnt 0x0
	v_and_b32_e32 v4, 0xff, v1
	v_mov_b32_e32 v6, 0
	s_mov_b32 s53, 0
	s_delay_alu instid0(VALU_DEP_2) | instskip(NEXT) | instid1(VALU_DEP_2)
	v_and_b32_e32 v4, 0xffff, v4
	v_mov_b32_e32 v7, v6
	s_delay_alu instid0(VALU_DEP_2)
	v_cvt_f64_u32_e32 v[4:5], v4
	global_store_b128 v[2:3], v[4:7], off
.LBB23_1194:
	s_and_not1_b32 vcc_lo, exec_lo, s53
	s_cbranch_vccnz .LBB23_1196
; %bb.1195:
	s_wait_xcnt 0x0
	v_cvt_f32_ubyte0_e32 v4, v1
	v_mov_b32_e32 v5, 0
	global_store_b64 v[2:3], v[4:5], off
.LBB23_1196:
	s_mov_b32 s53, 0
.LBB23_1197:
	s_delay_alu instid0(SALU_CYCLE_1)
	s_and_not1_b32 vcc_lo, exec_lo, s53
	s_cbranch_vccnz .LBB23_1199
; %bb.1198:
	s_wait_xcnt 0x0
	v_and_b32_e32 v4, 0xff, v1
	s_delay_alu instid0(VALU_DEP_1) | instskip(NEXT) | instid1(VALU_DEP_1)
	v_cvt_f16_u16_e32 v4, v4
	v_and_b32_e32 v4, 0xffff, v4
	global_store_b32 v[2:3], v4, off
.LBB23_1199:
	s_mov_b32 s53, 0
.LBB23_1200:
	s_delay_alu instid0(SALU_CYCLE_1)
	s_and_not1_b32 vcc_lo, exec_lo, s53
	s_cbranch_vccnz .LBB23_1209
; %bb.1201:
	s_cmp_lt_i32 s31, 6
	s_mov_b32 s53, -1
	s_cbranch_scc1 .LBB23_1207
; %bb.1202:
	s_cmp_gt_i32 s31, 6
	s_cbranch_scc0 .LBB23_1204
; %bb.1203:
	s_wait_xcnt 0x0
	v_and_b32_e32 v4, 0xff, v1
	s_mov_b32 s53, 0
	s_delay_alu instid0(VALU_DEP_1) | instskip(NEXT) | instid1(VALU_DEP_1)
	v_and_b32_e32 v4, 0xffff, v4
	v_cvt_f64_u32_e32 v[4:5], v4
	global_store_b64 v[2:3], v[4:5], off
.LBB23_1204:
	s_and_not1_b32 vcc_lo, exec_lo, s53
	s_cbranch_vccnz .LBB23_1206
; %bb.1205:
	s_wait_xcnt 0x0
	v_cvt_f32_ubyte0_e32 v4, v1
	global_store_b32 v[2:3], v4, off
.LBB23_1206:
	s_mov_b32 s53, 0
.LBB23_1207:
	s_delay_alu instid0(SALU_CYCLE_1)
	s_and_not1_b32 vcc_lo, exec_lo, s53
	s_cbranch_vccnz .LBB23_1209
; %bb.1208:
	s_wait_xcnt 0x0
	v_and_b32_e32 v4, 0xff, v1
	s_delay_alu instid0(VALU_DEP_1)
	v_cvt_f16_u16_e32 v4, v4
	global_store_b16 v[2:3], v4, off
.LBB23_1209:
	s_mov_b32 s53, 0
.LBB23_1210:
	s_delay_alu instid0(SALU_CYCLE_1)
	s_and_not1_b32 vcc_lo, exec_lo, s53
	s_cbranch_vccnz .LBB23_1226
; %bb.1211:
	s_cmp_lt_i32 s31, 2
	s_mov_b32 s53, -1
	s_cbranch_scc1 .LBB23_1221
; %bb.1212:
	s_cmp_lt_i32 s31, 3
	s_cbranch_scc1 .LBB23_1218
; %bb.1213:
	s_cmp_gt_i32 s31, 3
	s_cbranch_scc0 .LBB23_1215
; %bb.1214:
	s_wait_xcnt 0x0
	v_and_b32_e32 v4, 0xff, v1
	v_mov_b32_e32 v5, 0
	s_mov_b32 s53, 0
	global_store_b64 v[2:3], v[4:5], off
.LBB23_1215:
	s_and_not1_b32 vcc_lo, exec_lo, s53
	s_cbranch_vccnz .LBB23_1217
; %bb.1216:
	s_wait_xcnt 0x0
	v_and_b32_e32 v4, 0xff, v1
	global_store_b32 v[2:3], v4, off
.LBB23_1217:
	s_mov_b32 s53, 0
.LBB23_1218:
	s_delay_alu instid0(SALU_CYCLE_1)
	s_and_not1_b32 vcc_lo, exec_lo, s53
	s_cbranch_vccnz .LBB23_1220
; %bb.1219:
	s_wait_xcnt 0x0
	v_and_b32_e32 v4, 0xff, v1
	global_store_b16 v[2:3], v4, off
.LBB23_1220:
	s_mov_b32 s53, 0
.LBB23_1221:
	s_delay_alu instid0(SALU_CYCLE_1)
	s_and_not1_b32 vcc_lo, exec_lo, s53
	s_cbranch_vccnz .LBB23_1226
; %bb.1222:
	s_cmp_gt_i32 s31, 0
	s_mov_b32 s31, -1
	s_cbranch_scc0 .LBB23_1224
; %bb.1223:
	s_mov_b32 s31, 0
	global_store_b8 v[2:3], v1, off
.LBB23_1224:
	s_and_not1_b32 vcc_lo, exec_lo, s31
	s_cbranch_vccnz .LBB23_1226
; %bb.1225:
	global_store_b8 v[2:3], v1, off
.LBB23_1226:
	s_mov_b32 s54, -1
.LBB23_1227:
	s_delay_alu instid0(SALU_CYCLE_1)
	s_and_not1_b32 vcc_lo, exec_lo, s54
	s_cbranch_vccnz .LBB23_1250
; %bb.1228:
	v_add_nc_u32_e32 v0, 0x80, v0
	s_mov_b32 s31, -1
.LBB23_1229:
	s_and_not1_b32 s53, s48, exec_lo
	s_and_b32 s0, s0, exec_lo
	s_and_not1_b32 s54, s49, exec_lo
	s_and_b32 s30, s30, exec_lo
	s_or_b32 s55, s53, s0
	s_or_b32 s53, s54, s30
	s_and_not1_b32 s0, s50, exec_lo
	s_and_b32 s28, s28, exec_lo
	s_and_not1_b32 s30, s47, exec_lo
	s_and_b32 s29, s29, exec_lo
	s_or_b32 s54, s0, s28
	s_or_b32 s0, s30, s29
	s_or_not1_b32 s29, s31, exec_lo
.LBB23_1230:
	s_wait_xcnt 0x0
	s_or_b32 exec_lo, exec_lo, s52
	s_mov_b32 s28, 0
                                        ; implicit-def: $vgpr4
                                        ; implicit-def: $vgpr8
                                        ; implicit-def: $vgpr2
	s_and_saveexec_b32 s52, s29
	s_cbranch_execz .LBB23_1265
; %bb.1231:
	v_cmp_gt_i32_e32 vcc_lo, s41, v0
	s_mov_b32 s29, s0
                                        ; implicit-def: $vgpr4
                                        ; implicit-def: $vgpr8
                                        ; implicit-def: $vgpr2
	s_and_saveexec_b32 s41, vcc_lo
	s_cbranch_execz .LBB23_1264
; %bb.1232:
	s_and_not1_b32 vcc_lo, exec_lo, s35
	s_cbranch_vccnz .LBB23_1238
; %bb.1233:
	s_and_not1_b32 vcc_lo, exec_lo, s42
	s_cbranch_vccnz .LBB23_1239
; %bb.1234:
	v_dual_mov_b32 v2, 0 :: v_dual_mov_b32 v1, v0
	s_wait_loadcnt 0x0
	v_dual_mov_b32 v8, 0 :: v_dual_mov_b32 v4, 0
	s_add_co_i32 s30, s40, 1
	s_mov_b64 s[28:29], 0xffffffffffffffe0
	s_and_b32 s42, s30, 30
	s_add_nc_u64 s[28:29], s[2:3], s[28:29]
	s_mov_b64 s[30:31], s[2:3]
.LBB23_1235:                            ; =>This Inner Loop Header: Depth=1
	s_clause 0x1
	s_load_b128 s[56:59], s[30:31], 0x4
	s_load_b64 s[60:61], s[30:31], 0x14
	s_load_b32 s62, s[28:29], 0xe4
	s_add_co_i32 s42, s42, -2
	s_wait_xcnt 0x0
	s_add_nc_u64 s[30:31], s[30:31], 24
	s_cmp_eq_u32 s42, 0
	s_wait_kmcnt 0x0
	v_mul_hi_u32 v3, s57, v1
	s_delay_alu instid0(VALU_DEP_1) | instskip(NEXT) | instid1(VALU_DEP_1)
	v_add_nc_u32_e32 v3, v1, v3
	v_lshrrev_b32_e32 v3, s58, v3
	s_delay_alu instid0(VALU_DEP_1) | instskip(SKIP_2) | instid1(VALU_DEP_1)
	v_mul_hi_u32 v5, s60, v3
	v_mul_lo_u32 v6, v3, s56
	s_load_b96 s[56:58], s[28:29], 0xec
	v_dual_add_nc_u32 v5, v3, v5 :: v_dual_sub_nc_u32 v6, v1, v6
	s_delay_alu instid0(VALU_DEP_1) | instskip(SKIP_1) | instid1(VALU_DEP_2)
	v_lshrrev_b32_e32 v1, s61, v5
	s_load_b64 s[60:61], s[28:29], 0xfc
	v_mad_u32 v2, v6, s62, v2
	s_wait_xcnt 0x0
	s_add_nc_u64 s[28:29], s[28:29], 32
	v_mul_lo_u32 v5, v1, s59
	s_wait_kmcnt 0x0
	v_mad_u32 v4, v6, s57, v4
	v_mad_u32 v6, v6, s56, v8
	s_delay_alu instid0(VALU_DEP_3) | instskip(NEXT) | instid1(VALU_DEP_1)
	v_sub_nc_u32_e32 v3, v3, v5
	v_mad_u32 v2, v3, s58, v2
	s_delay_alu instid0(VALU_DEP_4) | instskip(NEXT) | instid1(VALU_DEP_4)
	v_mad_u32 v4, v3, s61, v4
	v_mad_u32 v8, v3, s60, v6
	s_cbranch_scc0 .LBB23_1235
; %bb.1236:
	s_bitcmp1_b32 s40, 0
	s_cselect_b32 s40, -1, 0
	s_delay_alu instid0(SALU_CYCLE_1)
	s_and_b32 vcc_lo, exec_lo, s40
	s_cbranch_vccnz .LBB23_1240
; %bb.1237:
	s_load_b96 s[56:58], s[30:31], 0x4
	s_load_b32 s40, s[28:29], 0xe4
	s_wait_xcnt 0x0
	s_load_b64 s[30:31], s[28:29], 0xec
	s_wait_kmcnt 0x0
	v_mul_hi_u32 v3, s57, v1
	s_delay_alu instid0(VALU_DEP_1) | instskip(NEXT) | instid1(VALU_DEP_1)
	v_add_nc_u32_e32 v3, v1, v3
	v_lshrrev_b32_e32 v3, s58, v3
	s_delay_alu instid0(VALU_DEP_1) | instskip(NEXT) | instid1(VALU_DEP_1)
	v_mul_lo_u32 v3, v3, s56
	v_sub_nc_u32_e32 v1, v1, v3
	s_delay_alu instid0(VALU_DEP_1)
	v_mad_u32 v2, v1, s40, v2
	v_mad_u32 v8, v1, s30, v8
	;; [unrolled: 1-line block ×3, first 2 shown]
	s_branch .LBB23_1240
.LBB23_1238:
	s_mov_b32 s28, -1
                                        ; implicit-def: $vgpr4
                                        ; implicit-def: $vgpr8
                                        ; implicit-def: $vgpr2
	s_branch .LBB23_1241
.LBB23_1239:
	s_wait_loadcnt 0x0
	v_dual_mov_b32 v4, 0 :: v_dual_mov_b32 v8, 0
	v_mov_b32_e32 v2, 0
.LBB23_1240:
	s_mov_b32 s28, 0
.LBB23_1241:
	s_delay_alu instid0(SALU_CYCLE_1)
	s_and_not1_b32 vcc_lo, exec_lo, s28
	s_cbranch_vccnz .LBB23_1244
; %bb.1242:
	v_mov_b32_e32 v1, 0
	s_and_not1_b32 vcc_lo, exec_lo, s39
	s_delay_alu instid0(VALU_DEP_1) | instskip(NEXT) | instid1(VALU_DEP_1)
	v_mul_u64_e32 v[2:3], s[22:23], v[0:1]
	v_add_nc_u32_e32 v2, v0, v3
	s_delay_alu instid0(VALU_DEP_1) | instskip(NEXT) | instid1(VALU_DEP_1)
	v_lshrrev_b32_e32 v6, s10, v2
	v_mul_lo_u32 v2, v6, s8
	s_delay_alu instid0(VALU_DEP_1) | instskip(NEXT) | instid1(VALU_DEP_1)
	v_sub_nc_u32_e32 v0, v0, v2
	v_mul_lo_u32 v2, v0, s38
	s_wait_loadcnt 0x0
	v_mul_lo_u32 v4, v0, s13
	v_mul_lo_u32 v8, v0, s12
	s_cbranch_vccnz .LBB23_1244
; %bb.1243:
	v_mov_b32_e32 v7, v1
	s_delay_alu instid0(VALU_DEP_1) | instskip(NEXT) | instid1(VALU_DEP_1)
	v_mul_u64_e32 v[0:1], s[26:27], v[6:7]
	v_add_nc_u32_e32 v0, v6, v1
	s_delay_alu instid0(VALU_DEP_1) | instskip(NEXT) | instid1(VALU_DEP_1)
	v_lshrrev_b32_e32 v0, s1, v0
	v_mul_lo_u32 v0, v0, s11
	s_delay_alu instid0(VALU_DEP_1) | instskip(NEXT) | instid1(VALU_DEP_1)
	v_sub_nc_u32_e32 v0, v6, v0
	v_mad_u32 v2, v0, s14, v2
	v_mad_u32 v8, v0, s24, v8
	v_mad_u32 v4, v0, s25, v4
.LBB23_1244:
	s_and_b32 s10, s37, 0xff
	s_delay_alu instid0(SALU_CYCLE_1)
	s_cmp_lt_i32 s10, 23
	s_cbranch_scc1 .LBB23_1248
; %bb.1245:
	s_and_b32 s11, 0xffff, s10
	s_delay_alu instid0(SALU_CYCLE_1)
	s_cmp_gt_i32 s11, 43
	s_cbranch_scc0 .LBB23_1249
; %bb.1246:
	s_cmp_gt_i32 s11, 45
	s_cbranch_scc0 .LBB23_1251
; %bb.1247:
	s_cmp_lg_u32 s11, 46
	s_mov_b32 s12, 0
	s_cselect_b32 s1, -1, 0
	s_and_not1_b32 s8, s0, exec_lo
	s_and_b32 s13, s1, exec_lo
	s_mov_b32 s1, -1
	s_or_b32 s8, s8, s13
	s_branch .LBB23_1252
.LBB23_1248:
	s_mov_b32 s11, -1
	s_mov_b32 s1, 0
	s_mov_b32 s8, s0
	s_branch .LBB23_1258
.LBB23_1249:
	s_mov_b32 s12, -1
	s_mov_b32 s1, 0
	s_mov_b32 s8, s0
	s_branch .LBB23_1255
.LBB23_1250:
	s_mov_b32 s31, 0
	s_branch .LBB23_858
.LBB23_1251:
	s_mov_b32 s12, -1
	s_mov_b32 s1, 0
	s_mov_b32 s8, s0
.LBB23_1252:
	s_and_not1_b32 vcc_lo, exec_lo, s12
	s_cbranch_vccnz .LBB23_1254
; %bb.1253:
	s_cmp_eq_u32 s11, 44
	s_cselect_b32 s1, -1, 0
	s_cmp_lg_u32 s11, 44
	s_cselect_b32 s12, -1, 0
	s_and_not1_b32 s8, s8, exec_lo
	s_and_b32 s12, s12, exec_lo
	s_delay_alu instid0(SALU_CYCLE_1)
	s_or_b32 s8, s8, s12
.LBB23_1254:
	s_mov_b32 s12, 0
.LBB23_1255:
	s_delay_alu instid0(SALU_CYCLE_1)
	s_and_b32 vcc_lo, exec_lo, s12
	s_cbranch_vccz .LBB23_1257
; %bb.1256:
	s_cmp_lt_i32 s11, 30
	s_cselect_b32 s1, -1, 0
	s_cmp_gt_i32 s11, 29
	s_cselect_b32 s11, -1, 0
	s_and_not1_b32 s8, s8, exec_lo
	s_and_b32 s11, s11, exec_lo
	s_delay_alu instid0(SALU_CYCLE_1)
	s_or_b32 s8, s8, s11
.LBB23_1257:
	s_mov_b32 s11, 0
.LBB23_1258:
	s_delay_alu instid0(SALU_CYCLE_1)
	s_and_b32 vcc_lo, exec_lo, s11
	s_cbranch_vccz .LBB23_1263
; %bb.1259:
	s_and_b32 s10, 0xffff, s10
	s_mov_b32 s11, -1
	s_cmp_gt_i32 s10, 14
	s_cbranch_scc0 .LBB23_1261
; %bb.1260:
	s_cmp_eq_u32 s10, 15
	s_cselect_b32 s1, -1, 0
	s_cmp_lg_u32 s10, 15
	s_cselect_b32 s11, -1, 0
	s_and_not1_b32 s8, s8, exec_lo
	s_and_b32 s12, s11, exec_lo
	s_mov_b32 s11, 0
	s_or_b32 s8, s8, s12
.LBB23_1261:
	s_and_not1_b32 vcc_lo, exec_lo, s11
	s_cbranch_vccnz .LBB23_1263
; %bb.1262:
	s_cmp_lt_i32 s10, 12
	s_cselect_b32 s1, -1, 0
	s_cmp_gt_i32 s10, 11
	s_cselect_b32 s10, -1, 0
	s_and_not1_b32 s8, s8, exec_lo
	s_and_b32 s10, s10, exec_lo
	s_delay_alu instid0(SALU_CYCLE_1)
	s_or_b32 s8, s8, s10
.LBB23_1263:
	s_and_not1_b32 s10, s0, exec_lo
	s_and_b32 s8, s8, exec_lo
	s_and_b32 s28, s1, exec_lo
	s_or_b32 s29, s10, s8
.LBB23_1264:
	s_or_b32 exec_lo, exec_lo, s41
	s_delay_alu instid0(SALU_CYCLE_1)
	s_and_not1_b32 s0, s0, exec_lo
	s_and_b32 s1, s29, exec_lo
	s_and_b32 s28, s28, exec_lo
	s_or_b32 s0, s0, s1
.LBB23_1265:
	s_or_b32 exec_lo, exec_lo, s52
	s_delay_alu instid0(SALU_CYCLE_1)
	s_and_not1_b32 s1, s48, exec_lo
	s_and_b32 s8, s55, exec_lo
	s_and_not1_b32 s10, s50, exec_lo
	s_or_b32 s48, s1, s8
	s_and_not1_b32 s1, s49, exec_lo
	s_and_b32 s8, s53, exec_lo
	s_and_b32 s11, s54, exec_lo
	s_or_b32 s49, s1, s8
	s_and_not1_b32 s1, s47, exec_lo
	s_and_b32 s8, s0, exec_lo
	s_or_b32 s50, s10, s11
	s_and_b32 s0, s28, exec_lo
	s_or_b32 s47, s1, s8
.LBB23_1266:
	s_or_b32 exec_lo, exec_lo, s51
	s_delay_alu instid0(SALU_CYCLE_1)
	s_and_not1_b32 s1, s21, exec_lo
	s_and_b32 s8, s48, exec_lo
	s_and_not1_b32 s10, s44, exec_lo
	s_or_b32 s21, s1, s8
	s_and_not1_b32 s1, s43, exec_lo
	s_and_b32 s8, s49, exec_lo
	s_and_b32 s11, s50, exec_lo
	s_or_b32 s43, s1, s8
	s_and_not1_b32 s1, s45, exec_lo
	s_and_b32 s8, s47, exec_lo
	s_or_b32 s44, s10, s11
	s_and_b32 s23, s0, exec_lo
	s_or_b32 s45, s1, s8
.LBB23_1267:
	s_or_b32 exec_lo, exec_lo, s46
	s_mov_b32 s11, 0
	s_mov_b32 s1, 0
	s_and_saveexec_b32 s0, s45
	s_cbranch_execnz .LBB23_1282
.LBB23_1268:
	s_or_b32 exec_lo, exec_lo, s0
	s_mov_b32 s12, 0
	s_mov_b32 s10, 0
                                        ; implicit-def: $sgpr0
                                        ; implicit-def: $vgpr6_vgpr7
                                        ; implicit-def: $vgpr0
	s_and_saveexec_b32 s8, s23
	s_cbranch_execz .LBB23_1276
; %bb.1269:
	s_wait_loadcnt 0x0
	v_mov_b32_e32 v9, 0
	s_and_b32 s0, s20, 0xff
	s_delay_alu instid0(SALU_CYCLE_1) | instskip(NEXT) | instid1(VALU_DEP_1)
	s_cmp_lt_i32 s0, 11
	v_add_nc_u64_e32 v[6:7], s[4:5], v[8:9]
	s_cbranch_scc1 .LBB23_1279
; %bb.1270:
	s_and_b32 s4, 0xffff, s0
	s_delay_alu instid0(SALU_CYCLE_1)
	s_cmp_gt_i32 s4, 25
	s_cbranch_scc0 .LBB23_1280
; %bb.1271:
	s_cmp_gt_i32 s4, 28
	s_cbranch_scc0 .LBB23_1281
; %bb.1272:
	;; [unrolled: 3-line block ×4, first 2 shown]
	s_cmp_eq_u32 s4, 46
	s_cbranch_scc0 .LBB23_1285
; %bb.1275:
	global_load_b32 v0, v[6:7], off
	s_mov_b32 s5, 0
	s_mov_b32 s10, -1
	s_wait_loadcnt 0x0
	v_lshlrev_b32_e32 v0, 16, v0
	s_delay_alu instid0(VALU_DEP_1) | instskip(NEXT) | instid1(VALU_DEP_1)
	v_trunc_f32_e32 v0, v0
	v_mul_f32_e64 v1, 0x2f800000, |v0|
	s_delay_alu instid0(VALU_DEP_1) | instskip(NEXT) | instid1(VALU_DEP_1)
	v_floor_f32_e32 v1, v1
	v_fma_f32 v1, 0xcf800000, v1, |v0|
	v_ashrrev_i32_e32 v0, 31, v0
	s_delay_alu instid0(VALU_DEP_2) | instskip(NEXT) | instid1(VALU_DEP_1)
	v_cvt_u32_f32_e32 v1, v1
	v_xor_b32_e32 v1, v1, v0
	s_delay_alu instid0(VALU_DEP_1)
	v_sub_nc_u32_e32 v0, v1, v0
	s_branch .LBB23_1287
.LBB23_1276:
	s_or_b32 exec_lo, exec_lo, s8
	s_and_saveexec_b32 s4, s44
	s_cbranch_execnz .LBB23_1346
.LBB23_1277:
	s_or_b32 exec_lo, exec_lo, s4
	s_and_saveexec_b32 s4, s11
	s_delay_alu instid0(SALU_CYCLE_1)
	s_xor_b32 s4, exec_lo, s4
	s_cbranch_execz .LBB23_1347
.LBB23_1278:
	s_wait_loadcnt 0x0
	global_load_u8 v0, v[6:7], off
	s_or_b32 s10, s10, exec_lo
	s_wait_loadcnt 0x0
	v_cmp_ne_u16_e32 vcc_lo, 0, v0
	v_cndmask_b32_e64 v0, 0, 1, vcc_lo
	s_wait_xcnt 0x0
	s_or_b32 exec_lo, exec_lo, s4
	s_and_saveexec_b32 s4, s12
	s_cbranch_execz .LBB23_1393
	s_branch .LBB23_1348
.LBB23_1279:
	s_mov_b32 s4, -1
	s_mov_b32 s5, s44
                                        ; implicit-def: $vgpr0
	s_branch .LBB23_1345
.LBB23_1280:
	s_mov_b32 s5, s44
                                        ; implicit-def: $vgpr0
	s_cbranch_execnz .LBB23_1314
	s_branch .LBB23_1344
.LBB23_1281:
	s_mov_b32 s12, -1
	s_mov_b32 s5, s44
                                        ; implicit-def: $vgpr0
	s_branch .LBB23_1297
.LBB23_1282:
	s_mov_b32 s1, exec_lo
	s_and_not1_b32 s23, s23, exec_lo
	s_trap 2
	s_branch .LBB23_1268
.LBB23_1283:
	s_mov_b32 s12, -1
	s_mov_b32 s5, s44
                                        ; implicit-def: $vgpr0
	s_branch .LBB23_1292
.LBB23_1284:
	s_mov_b32 s12, -1
	s_mov_b32 s5, s44
	s_branch .LBB23_1286
.LBB23_1285:
	s_mov_b32 s5, -1
.LBB23_1286:
                                        ; implicit-def: $vgpr0
.LBB23_1287:
	s_and_b32 vcc_lo, exec_lo, s12
	s_cbranch_vccz .LBB23_1291
; %bb.1288:
	s_cmp_eq_u32 s4, 44
	s_cbranch_scc0 .LBB23_1290
; %bb.1289:
	global_load_u8 v0, v[6:7], off
	s_mov_b32 s5, 0
	s_mov_b32 s10, -1
	s_wait_loadcnt 0x0
	v_lshlrev_b32_e32 v1, 23, v0
	v_cmp_ne_u32_e32 vcc_lo, 0, v0
	s_delay_alu instid0(VALU_DEP_2) | instskip(NEXT) | instid1(VALU_DEP_1)
	v_trunc_f32_e32 v1, v1
	v_mul_f32_e64 v3, 0x2f800000, |v1|
	s_delay_alu instid0(VALU_DEP_1) | instskip(NEXT) | instid1(VALU_DEP_1)
	v_floor_f32_e32 v3, v3
	v_fma_f32 v3, 0xcf800000, v3, |v1|
	v_ashrrev_i32_e32 v1, 31, v1
	s_delay_alu instid0(VALU_DEP_2) | instskip(NEXT) | instid1(VALU_DEP_1)
	v_cvt_u32_f32_e32 v3, v3
	v_xor_b32_e32 v3, v3, v1
	s_delay_alu instid0(VALU_DEP_1) | instskip(NEXT) | instid1(VALU_DEP_1)
	v_sub_nc_u32_e32 v1, v3, v1
	v_cndmask_b32_e32 v0, 0, v1, vcc_lo
	s_branch .LBB23_1291
.LBB23_1290:
	s_mov_b32 s5, -1
                                        ; implicit-def: $vgpr0
.LBB23_1291:
	s_mov_b32 s12, 0
.LBB23_1292:
	s_delay_alu instid0(SALU_CYCLE_1)
	s_and_b32 vcc_lo, exec_lo, s12
	s_cbranch_vccz .LBB23_1296
; %bb.1293:
	s_cmp_eq_u32 s4, 29
	s_cbranch_scc0 .LBB23_1295
; %bb.1294:
	global_load_b64 v[0:1], v[6:7], off
	s_mov_b32 s5, 0
	s_mov_b32 s10, -1
	s_branch .LBB23_1296
.LBB23_1295:
	s_mov_b32 s5, -1
                                        ; implicit-def: $vgpr0
.LBB23_1296:
	s_mov_b32 s12, 0
.LBB23_1297:
	s_delay_alu instid0(SALU_CYCLE_1)
	s_and_b32 vcc_lo, exec_lo, s12
	s_cbranch_vccz .LBB23_1313
; %bb.1298:
	s_cmp_lt_i32 s4, 27
	s_cbranch_scc1 .LBB23_1301
; %bb.1299:
	s_cmp_gt_i32 s4, 27
	s_cbranch_scc0 .LBB23_1302
; %bb.1300:
	s_wait_loadcnt 0x0
	global_load_b32 v0, v[6:7], off
	s_mov_b32 s10, 0
	s_branch .LBB23_1303
.LBB23_1301:
	s_mov_b32 s10, -1
                                        ; implicit-def: $vgpr0
	s_branch .LBB23_1306
.LBB23_1302:
	s_mov_b32 s10, -1
                                        ; implicit-def: $vgpr0
.LBB23_1303:
	s_delay_alu instid0(SALU_CYCLE_1)
	s_and_not1_b32 vcc_lo, exec_lo, s10
	s_cbranch_vccnz .LBB23_1305
; %bb.1304:
	s_wait_loadcnt 0x0
	global_load_u16 v0, v[6:7], off
.LBB23_1305:
	s_mov_b32 s10, 0
.LBB23_1306:
	s_delay_alu instid0(SALU_CYCLE_1)
	s_and_not1_b32 vcc_lo, exec_lo, s10
	s_cbranch_vccnz .LBB23_1312
; %bb.1307:
	s_wait_loadcnt 0x0
	global_load_u8 v1, v[6:7], off
	s_mov_b32 s12, 0
	s_mov_b32 s10, exec_lo
	s_wait_loadcnt 0x0
	v_cmpx_lt_i16_e32 0x7f, v1
	s_xor_b32 s10, exec_lo, s10
	s_cbranch_execz .LBB23_1323
; %bb.1308:
	v_cmp_ne_u16_e32 vcc_lo, 0x80, v1
	s_and_b32 s12, vcc_lo, exec_lo
	s_and_not1_saveexec_b32 s10, s10
	s_cbranch_execnz .LBB23_1324
.LBB23_1309:
	s_or_b32 exec_lo, exec_lo, s10
	v_mov_b32_e32 v0, 0
	s_and_saveexec_b32 s10, s12
	s_cbranch_execz .LBB23_1311
.LBB23_1310:
	v_and_b32_e32 v0, 0xffff, v1
	s_delay_alu instid0(VALU_DEP_1) | instskip(SKIP_1) | instid1(VALU_DEP_2)
	v_and_b32_e32 v3, 7, v0
	v_bfe_u32 v9, v0, 3, 4
	v_clz_i32_u32_e32 v5, v3
	s_delay_alu instid0(VALU_DEP_2) | instskip(NEXT) | instid1(VALU_DEP_2)
	v_cmp_eq_u32_e32 vcc_lo, 0, v9
	v_min_u32_e32 v5, 32, v5
	s_delay_alu instid0(VALU_DEP_1) | instskip(NEXT) | instid1(VALU_DEP_1)
	v_subrev_nc_u32_e32 v8, 28, v5
	v_dual_lshlrev_b32 v0, v8, v0 :: v_dual_sub_nc_u32 v5, 29, v5
	s_delay_alu instid0(VALU_DEP_1) | instskip(NEXT) | instid1(VALU_DEP_1)
	v_dual_lshlrev_b32 v1, 24, v1 :: v_dual_bitop2_b32 v0, 7, v0 bitop3:0x40
	v_dual_cndmask_b32 v0, v3, v0 :: v_dual_cndmask_b32 v5, v9, v5
	s_delay_alu instid0(VALU_DEP_2) | instskip(NEXT) | instid1(VALU_DEP_2)
	v_and_b32_e32 v1, 0x80000000, v1
	v_lshlrev_b32_e32 v0, 20, v0
	s_delay_alu instid0(VALU_DEP_3) | instskip(NEXT) | instid1(VALU_DEP_1)
	v_lshl_add_u32 v3, v5, 23, 0x3b800000
	v_or3_b32 v0, v1, v3, v0
	s_delay_alu instid0(VALU_DEP_1) | instskip(NEXT) | instid1(VALU_DEP_1)
	v_trunc_f32_e32 v0, v0
	v_mul_f32_e64 v1, 0x2f800000, |v0|
	s_delay_alu instid0(VALU_DEP_1) | instskip(NEXT) | instid1(VALU_DEP_1)
	v_floor_f32_e32 v1, v1
	v_fma_f32 v1, 0xcf800000, v1, |v0|
	v_ashrrev_i32_e32 v0, 31, v0
	s_delay_alu instid0(VALU_DEP_2) | instskip(NEXT) | instid1(VALU_DEP_1)
	v_cvt_u32_f32_e32 v1, v1
	v_xor_b32_e32 v1, v1, v0
	s_delay_alu instid0(VALU_DEP_1)
	v_sub_nc_u32_e32 v0, v1, v0
.LBB23_1311:
	s_or_b32 exec_lo, exec_lo, s10
.LBB23_1312:
	s_mov_b32 s10, -1
.LBB23_1313:
	s_branch .LBB23_1344
.LBB23_1314:
	s_cmp_gt_i32 s4, 22
	s_cbranch_scc0 .LBB23_1322
; %bb.1315:
	s_cmp_lt_i32 s4, 24
	s_cbranch_scc1 .LBB23_1325
; %bb.1316:
	s_cmp_gt_i32 s4, 24
	s_cbranch_scc0 .LBB23_1326
; %bb.1317:
	s_wait_loadcnt 0x0
	global_load_u8 v1, v[6:7], off
	s_mov_b32 s10, exec_lo
	s_wait_loadcnt 0x0
	v_cmpx_lt_i16_e32 0x7f, v1
	s_xor_b32 s10, exec_lo, s10
	s_cbranch_execz .LBB23_1338
; %bb.1318:
	v_cmp_ne_u16_e32 vcc_lo, 0x80, v1
	s_and_b32 s11, vcc_lo, exec_lo
	s_and_not1_saveexec_b32 s10, s10
	s_cbranch_execnz .LBB23_1339
.LBB23_1319:
	s_or_b32 exec_lo, exec_lo, s10
	v_mov_b32_e32 v0, 0
	s_and_saveexec_b32 s10, s11
	s_cbranch_execz .LBB23_1321
.LBB23_1320:
	v_and_b32_e32 v0, 0xffff, v1
	s_delay_alu instid0(VALU_DEP_1) | instskip(SKIP_1) | instid1(VALU_DEP_2)
	v_and_b32_e32 v3, 3, v0
	v_bfe_u32 v9, v0, 2, 5
	v_clz_i32_u32_e32 v5, v3
	s_delay_alu instid0(VALU_DEP_2) | instskip(NEXT) | instid1(VALU_DEP_2)
	v_cmp_eq_u32_e32 vcc_lo, 0, v9
	v_min_u32_e32 v5, 32, v5
	s_delay_alu instid0(VALU_DEP_1) | instskip(NEXT) | instid1(VALU_DEP_1)
	v_subrev_nc_u32_e32 v8, 29, v5
	v_dual_lshlrev_b32 v0, v8, v0 :: v_dual_sub_nc_u32 v5, 30, v5
	s_delay_alu instid0(VALU_DEP_1) | instskip(NEXT) | instid1(VALU_DEP_1)
	v_dual_lshlrev_b32 v1, 24, v1 :: v_dual_bitop2_b32 v0, 3, v0 bitop3:0x40
	v_dual_cndmask_b32 v0, v3, v0 :: v_dual_cndmask_b32 v5, v9, v5
	s_delay_alu instid0(VALU_DEP_2) | instskip(NEXT) | instid1(VALU_DEP_2)
	v_and_b32_e32 v1, 0x80000000, v1
	v_lshlrev_b32_e32 v0, 21, v0
	s_delay_alu instid0(VALU_DEP_3) | instskip(NEXT) | instid1(VALU_DEP_1)
	v_lshl_add_u32 v3, v5, 23, 0x37800000
	v_or3_b32 v0, v1, v3, v0
	s_delay_alu instid0(VALU_DEP_1) | instskip(NEXT) | instid1(VALU_DEP_1)
	v_trunc_f32_e32 v0, v0
	v_mul_f32_e64 v1, 0x2f800000, |v0|
	s_delay_alu instid0(VALU_DEP_1) | instskip(NEXT) | instid1(VALU_DEP_1)
	v_floor_f32_e32 v1, v1
	v_fma_f32 v1, 0xcf800000, v1, |v0|
	v_ashrrev_i32_e32 v0, 31, v0
	s_delay_alu instid0(VALU_DEP_2) | instskip(NEXT) | instid1(VALU_DEP_1)
	v_cvt_u32_f32_e32 v1, v1
	v_xor_b32_e32 v1, v1, v0
	s_delay_alu instid0(VALU_DEP_1)
	v_sub_nc_u32_e32 v0, v1, v0
.LBB23_1321:
	s_or_b32 exec_lo, exec_lo, s10
	s_mov_b32 s10, 0
	s_branch .LBB23_1327
.LBB23_1322:
	s_mov_b32 s11, -1
                                        ; implicit-def: $vgpr0
	s_branch .LBB23_1333
.LBB23_1323:
	s_and_not1_saveexec_b32 s10, s10
	s_cbranch_execz .LBB23_1309
.LBB23_1324:
	v_cmp_ne_u16_e32 vcc_lo, 0, v1
	s_and_not1_b32 s12, s12, exec_lo
	s_and_b32 s13, vcc_lo, exec_lo
	s_delay_alu instid0(SALU_CYCLE_1)
	s_or_b32 s12, s12, s13
	s_or_b32 exec_lo, exec_lo, s10
	v_mov_b32_e32 v0, 0
	s_and_saveexec_b32 s10, s12
	s_cbranch_execnz .LBB23_1310
	s_branch .LBB23_1311
.LBB23_1325:
	s_mov_b32 s10, -1
                                        ; implicit-def: $vgpr0
	s_branch .LBB23_1330
.LBB23_1326:
	s_mov_b32 s10, -1
                                        ; implicit-def: $vgpr0
.LBB23_1327:
	s_delay_alu instid0(SALU_CYCLE_1)
	s_and_b32 vcc_lo, exec_lo, s10
	s_cbranch_vccz .LBB23_1329
; %bb.1328:
	s_wait_loadcnt 0x0
	global_load_u8 v0, v[6:7], off
	s_wait_loadcnt 0x0
	v_lshlrev_b32_e32 v0, 24, v0
	s_delay_alu instid0(VALU_DEP_1) | instskip(NEXT) | instid1(VALU_DEP_1)
	v_and_b32_e32 v1, 0x7f000000, v0
	v_clz_i32_u32_e32 v3, v1
	v_cmp_ne_u32_e32 vcc_lo, 0, v1
	v_add_nc_u32_e32 v8, 0x1000000, v1
	s_delay_alu instid0(VALU_DEP_3) | instskip(NEXT) | instid1(VALU_DEP_1)
	v_min_u32_e32 v3, 32, v3
	v_sub_nc_u32_e64 v3, v3, 4 clamp
	s_delay_alu instid0(VALU_DEP_1) | instskip(NEXT) | instid1(VALU_DEP_1)
	v_dual_lshlrev_b32 v5, v3, v1 :: v_dual_lshlrev_b32 v3, 23, v3
	v_lshrrev_b32_e32 v5, 4, v5
	s_delay_alu instid0(VALU_DEP_1) | instskip(NEXT) | instid1(VALU_DEP_1)
	v_dual_sub_nc_u32 v3, v5, v3 :: v_dual_ashrrev_i32 v5, 8, v8
	v_add_nc_u32_e32 v3, 0x3c000000, v3
	s_delay_alu instid0(VALU_DEP_1) | instskip(NEXT) | instid1(VALU_DEP_1)
	v_and_or_b32 v3, 0x7f800000, v5, v3
	v_cndmask_b32_e32 v1, 0, v3, vcc_lo
	s_delay_alu instid0(VALU_DEP_1) | instskip(NEXT) | instid1(VALU_DEP_1)
	v_and_or_b32 v0, 0x80000000, v0, v1
	v_trunc_f32_e32 v0, v0
	s_delay_alu instid0(VALU_DEP_1) | instskip(NEXT) | instid1(VALU_DEP_1)
	v_mul_f32_e64 v1, 0x2f800000, |v0|
	v_floor_f32_e32 v1, v1
	s_delay_alu instid0(VALU_DEP_1) | instskip(SKIP_1) | instid1(VALU_DEP_2)
	v_fma_f32 v1, 0xcf800000, v1, |v0|
	v_ashrrev_i32_e32 v0, 31, v0
	v_cvt_u32_f32_e32 v1, v1
	s_delay_alu instid0(VALU_DEP_1) | instskip(NEXT) | instid1(VALU_DEP_1)
	v_xor_b32_e32 v1, v1, v0
	v_sub_nc_u32_e32 v0, v1, v0
.LBB23_1329:
	s_mov_b32 s10, 0
.LBB23_1330:
	s_delay_alu instid0(SALU_CYCLE_1)
	s_and_not1_b32 vcc_lo, exec_lo, s10
	s_cbranch_vccnz .LBB23_1332
; %bb.1331:
	s_wait_loadcnt 0x0
	global_load_u8 v0, v[6:7], off
	s_wait_loadcnt 0x0
	v_lshlrev_b32_e32 v1, 25, v0
	v_lshlrev_b16 v0, 8, v0
	s_delay_alu instid0(VALU_DEP_1) | instskip(SKIP_1) | instid1(VALU_DEP_2)
	v_and_or_b32 v5, 0x7f00, v0, 0.5
	v_bfe_i32 v0, v0, 0, 16
	v_add_f32_e32 v5, -0.5, v5
	v_lshrrev_b32_e32 v3, 4, v1
	v_cmp_gt_u32_e32 vcc_lo, 0x8000000, v1
	s_delay_alu instid0(VALU_DEP_2) | instskip(NEXT) | instid1(VALU_DEP_1)
	v_or_b32_e32 v3, 0x70000000, v3
	v_mul_f32_e32 v3, 0x7800000, v3
	s_delay_alu instid0(VALU_DEP_1) | instskip(NEXT) | instid1(VALU_DEP_1)
	v_cndmask_b32_e32 v1, v3, v5, vcc_lo
	v_and_or_b32 v0, 0x80000000, v0, v1
	s_delay_alu instid0(VALU_DEP_1) | instskip(NEXT) | instid1(VALU_DEP_1)
	v_trunc_f32_e32 v0, v0
	v_mul_f32_e64 v1, 0x2f800000, |v0|
	s_delay_alu instid0(VALU_DEP_1) | instskip(NEXT) | instid1(VALU_DEP_1)
	v_floor_f32_e32 v1, v1
	v_fma_f32 v1, 0xcf800000, v1, |v0|
	v_ashrrev_i32_e32 v0, 31, v0
	s_delay_alu instid0(VALU_DEP_2) | instskip(NEXT) | instid1(VALU_DEP_1)
	v_cvt_u32_f32_e32 v1, v1
	v_xor_b32_e32 v1, v1, v0
	s_delay_alu instid0(VALU_DEP_1)
	v_sub_nc_u32_e32 v0, v1, v0
.LBB23_1332:
	s_mov_b32 s11, 0
	s_mov_b32 s10, -1
.LBB23_1333:
	s_and_not1_b32 vcc_lo, exec_lo, s11
	s_mov_b32 s11, 0
	s_cbranch_vccnz .LBB23_1344
; %bb.1334:
	s_cmp_gt_i32 s4, 14
	s_cbranch_scc0 .LBB23_1337
; %bb.1335:
	s_cmp_eq_u32 s4, 15
	s_cbranch_scc0 .LBB23_1340
; %bb.1336:
	s_wait_loadcnt 0x0
	global_load_u16 v0, v[6:7], off
	s_mov_b32 s5, 0
	s_mov_b32 s10, -1
	s_wait_loadcnt 0x0
	v_lshlrev_b32_e32 v0, 16, v0
	s_delay_alu instid0(VALU_DEP_1) | instskip(NEXT) | instid1(VALU_DEP_1)
	v_trunc_f32_e32 v0, v0
	v_mul_f32_e64 v1, 0x2f800000, |v0|
	s_delay_alu instid0(VALU_DEP_1) | instskip(NEXT) | instid1(VALU_DEP_1)
	v_floor_f32_e32 v1, v1
	v_fma_f32 v1, 0xcf800000, v1, |v0|
	v_ashrrev_i32_e32 v0, 31, v0
	s_delay_alu instid0(VALU_DEP_2) | instskip(NEXT) | instid1(VALU_DEP_1)
	v_cvt_u32_f32_e32 v1, v1
	v_xor_b32_e32 v1, v1, v0
	s_delay_alu instid0(VALU_DEP_1)
	v_sub_nc_u32_e32 v0, v1, v0
	s_branch .LBB23_1342
.LBB23_1337:
	s_mov_b32 s11, -1
	s_branch .LBB23_1341
.LBB23_1338:
	s_and_not1_saveexec_b32 s10, s10
	s_cbranch_execz .LBB23_1319
.LBB23_1339:
	v_cmp_ne_u16_e32 vcc_lo, 0, v1
	s_and_not1_b32 s11, s11, exec_lo
	s_and_b32 s12, vcc_lo, exec_lo
	s_delay_alu instid0(SALU_CYCLE_1)
	s_or_b32 s11, s11, s12
	s_or_b32 exec_lo, exec_lo, s10
	v_mov_b32_e32 v0, 0
	s_and_saveexec_b32 s10, s11
	s_cbranch_execnz .LBB23_1320
	s_branch .LBB23_1321
.LBB23_1340:
	s_mov_b32 s5, -1
.LBB23_1341:
                                        ; implicit-def: $vgpr0
.LBB23_1342:
	s_and_b32 vcc_lo, exec_lo, s11
	s_mov_b32 s11, 0
	s_cbranch_vccz .LBB23_1344
; %bb.1343:
	s_cmp_lg_u32 s4, 11
	s_mov_b32 s11, -1
	s_cselect_b32 s4, -1, 0
	s_and_not1_b32 s5, s5, exec_lo
	s_and_b32 s4, s4, exec_lo
	s_delay_alu instid0(SALU_CYCLE_1)
	s_or_b32 s5, s5, s4
.LBB23_1344:
	s_mov_b32 s4, 0
.LBB23_1345:
	s_delay_alu instid0(SALU_CYCLE_1)
	s_and_b32 s12, s4, exec_lo
	s_and_not1_b32 s4, s44, exec_lo
	s_and_b32 s5, s5, exec_lo
	s_and_b32 s10, s10, exec_lo
	;; [unrolled: 1-line block ×3, first 2 shown]
	s_or_b32 s44, s4, s5
	s_wait_xcnt 0x0
	s_or_b32 exec_lo, exec_lo, s8
	s_and_saveexec_b32 s4, s44
	s_cbranch_execz .LBB23_1277
.LBB23_1346:
	s_or_b32 s1, s1, exec_lo
	s_and_not1_b32 s11, s11, exec_lo
	s_trap 2
	s_or_b32 exec_lo, exec_lo, s4
	s_and_saveexec_b32 s4, s11
	s_delay_alu instid0(SALU_CYCLE_1)
	s_xor_b32 s4, exec_lo, s4
	s_cbranch_execnz .LBB23_1278
.LBB23_1347:
	s_or_b32 exec_lo, exec_lo, s4
	s_and_saveexec_b32 s4, s12
	s_cbranch_execz .LBB23_1393
.LBB23_1348:
	s_sext_i32_i16 s5, s0
	s_delay_alu instid0(SALU_CYCLE_1)
	s_cmp_lt_i32 s5, 5
	s_cbranch_scc1 .LBB23_1353
; %bb.1349:
	s_cmp_lt_i32 s5, 8
	s_cbranch_scc1 .LBB23_1354
; %bb.1350:
	;; [unrolled: 3-line block ×3, first 2 shown]
	s_cmp_gt_i32 s5, 9
	s_cbranch_scc0 .LBB23_1356
; %bb.1352:
	s_wait_loadcnt 0x0
	global_load_b64 v[0:1], v[6:7], off
	s_mov_b32 s5, 0
	s_wait_loadcnt 0x0
	v_trunc_f64_e32 v[0:1], v[0:1]
	s_delay_alu instid0(VALU_DEP_1) | instskip(NEXT) | instid1(VALU_DEP_1)
	v_ldexp_f64 v[8:9], v[0:1], 0xffffffe0
	v_floor_f64_e32 v[8:9], v[8:9]
	s_delay_alu instid0(VALU_DEP_1) | instskip(NEXT) | instid1(VALU_DEP_1)
	v_fmamk_f64 v[0:1], v[8:9], 0xc1f00000, v[0:1]
	v_cvt_u32_f64_e32 v0, v[0:1]
	s_branch .LBB23_1357
.LBB23_1353:
                                        ; implicit-def: $vgpr0
	s_branch .LBB23_1374
.LBB23_1354:
                                        ; implicit-def: $vgpr0
	s_branch .LBB23_1363
.LBB23_1355:
	s_mov_b32 s5, -1
                                        ; implicit-def: $vgpr0
	s_branch .LBB23_1360
.LBB23_1356:
	s_mov_b32 s5, -1
                                        ; implicit-def: $vgpr0
.LBB23_1357:
	s_delay_alu instid0(SALU_CYCLE_1)
	s_and_not1_b32 vcc_lo, exec_lo, s5
	s_cbranch_vccnz .LBB23_1359
; %bb.1358:
	s_wait_loadcnt 0x0
	global_load_b32 v0, v[6:7], off
	s_wait_loadcnt 0x0
	v_trunc_f32_e32 v0, v0
	s_delay_alu instid0(VALU_DEP_1) | instskip(NEXT) | instid1(VALU_DEP_1)
	v_mul_f32_e64 v1, 0x2f800000, |v0|
	v_floor_f32_e32 v1, v1
	s_delay_alu instid0(VALU_DEP_1) | instskip(SKIP_1) | instid1(VALU_DEP_2)
	v_fma_f32 v1, 0xcf800000, v1, |v0|
	v_ashrrev_i32_e32 v0, 31, v0
	v_cvt_u32_f32_e32 v1, v1
	s_delay_alu instid0(VALU_DEP_1) | instskip(NEXT) | instid1(VALU_DEP_1)
	v_xor_b32_e32 v1, v1, v0
	v_sub_nc_u32_e32 v0, v1, v0
.LBB23_1359:
	s_mov_b32 s5, 0
.LBB23_1360:
	s_delay_alu instid0(SALU_CYCLE_1)
	s_and_not1_b32 vcc_lo, exec_lo, s5
	s_cbranch_vccnz .LBB23_1362
; %bb.1361:
	s_wait_loadcnt 0x0
	global_load_b32 v0, v[6:7], off
	s_wait_loadcnt 0x0
	v_cvt_f32_f16_e32 v0, v0
	s_delay_alu instid0(VALU_DEP_1)
	v_cvt_i32_f32_e32 v0, v0
.LBB23_1362:
	s_cbranch_execnz .LBB23_1373
.LBB23_1363:
	s_sext_i32_i16 s5, s0
	s_delay_alu instid0(SALU_CYCLE_1)
	s_cmp_lt_i32 s5, 6
	s_cbranch_scc1 .LBB23_1366
; %bb.1364:
	s_cmp_gt_i32 s5, 6
	s_cbranch_scc0 .LBB23_1367
; %bb.1365:
	s_wait_loadcnt 0x0
	global_load_b64 v[0:1], v[6:7], off
	s_mov_b32 s5, 0
	s_wait_loadcnt 0x0
	v_trunc_f64_e32 v[0:1], v[0:1]
	s_delay_alu instid0(VALU_DEP_1) | instskip(NEXT) | instid1(VALU_DEP_1)
	v_ldexp_f64 v[8:9], v[0:1], 0xffffffe0
	v_floor_f64_e32 v[8:9], v[8:9]
	s_delay_alu instid0(VALU_DEP_1) | instskip(NEXT) | instid1(VALU_DEP_1)
	v_fmamk_f64 v[0:1], v[8:9], 0xc1f00000, v[0:1]
	v_cvt_u32_f64_e32 v0, v[0:1]
	s_branch .LBB23_1368
.LBB23_1366:
	s_mov_b32 s5, -1
                                        ; implicit-def: $vgpr0
	s_branch .LBB23_1371
.LBB23_1367:
	s_mov_b32 s5, -1
                                        ; implicit-def: $vgpr0
.LBB23_1368:
	s_delay_alu instid0(SALU_CYCLE_1)
	s_and_not1_b32 vcc_lo, exec_lo, s5
	s_cbranch_vccnz .LBB23_1370
; %bb.1369:
	s_wait_loadcnt 0x0
	global_load_b32 v0, v[6:7], off
	s_wait_loadcnt 0x0
	v_trunc_f32_e32 v0, v0
	s_delay_alu instid0(VALU_DEP_1) | instskip(NEXT) | instid1(VALU_DEP_1)
	v_mul_f32_e64 v1, 0x2f800000, |v0|
	v_floor_f32_e32 v1, v1
	s_delay_alu instid0(VALU_DEP_1) | instskip(SKIP_1) | instid1(VALU_DEP_2)
	v_fma_f32 v1, 0xcf800000, v1, |v0|
	v_ashrrev_i32_e32 v0, 31, v0
	v_cvt_u32_f32_e32 v1, v1
	s_delay_alu instid0(VALU_DEP_1) | instskip(NEXT) | instid1(VALU_DEP_1)
	v_xor_b32_e32 v1, v1, v0
	v_sub_nc_u32_e32 v0, v1, v0
.LBB23_1370:
	s_mov_b32 s5, 0
.LBB23_1371:
	s_delay_alu instid0(SALU_CYCLE_1)
	s_and_not1_b32 vcc_lo, exec_lo, s5
	s_cbranch_vccnz .LBB23_1373
; %bb.1372:
	s_wait_loadcnt 0x0
	global_load_u16 v0, v[6:7], off
	s_wait_loadcnt 0x0
	v_cvt_f32_f16_e32 v0, v0
	s_delay_alu instid0(VALU_DEP_1)
	v_cvt_i32_f32_e32 v0, v0
.LBB23_1373:
	s_cbranch_execnz .LBB23_1392
.LBB23_1374:
	s_sext_i32_i16 s5, s0
	s_delay_alu instid0(SALU_CYCLE_1)
	s_cmp_lt_i32 s5, 2
	s_cbranch_scc1 .LBB23_1378
; %bb.1375:
	s_cmp_lt_i32 s5, 3
	s_cbranch_scc1 .LBB23_1379
; %bb.1376:
	s_cmp_gt_i32 s5, 3
	s_cbranch_scc0 .LBB23_1380
; %bb.1377:
	s_wait_loadcnt 0x0
	global_load_b64 v[0:1], v[6:7], off
	s_mov_b32 s5, 0
	s_branch .LBB23_1381
.LBB23_1378:
                                        ; implicit-def: $vgpr0
	s_branch .LBB23_1387
.LBB23_1379:
	s_mov_b32 s5, -1
                                        ; implicit-def: $vgpr0
	s_branch .LBB23_1384
.LBB23_1380:
	s_mov_b32 s5, -1
                                        ; implicit-def: $vgpr0
.LBB23_1381:
	s_delay_alu instid0(SALU_CYCLE_1)
	s_and_not1_b32 vcc_lo, exec_lo, s5
	s_cbranch_vccnz .LBB23_1383
; %bb.1382:
	s_wait_loadcnt 0x0
	global_load_b32 v0, v[6:7], off
.LBB23_1383:
	s_mov_b32 s5, 0
.LBB23_1384:
	s_delay_alu instid0(SALU_CYCLE_1)
	s_and_not1_b32 vcc_lo, exec_lo, s5
	s_cbranch_vccnz .LBB23_1386
; %bb.1385:
	s_wait_loadcnt 0x0
	global_load_u16 v0, v[6:7], off
.LBB23_1386:
	s_cbranch_execnz .LBB23_1392
.LBB23_1387:
	s_sext_i32_i16 s0, s0
	s_delay_alu instid0(SALU_CYCLE_1)
	s_cmp_gt_i32 s0, 0
	s_mov_b32 s0, 0
	s_cbranch_scc0 .LBB23_1389
; %bb.1388:
	s_wait_loadcnt 0x0
	global_load_u8 v0, v[6:7], off
	s_branch .LBB23_1390
.LBB23_1389:
	s_mov_b32 s0, -1
                                        ; implicit-def: $vgpr0
.LBB23_1390:
	s_delay_alu instid0(SALU_CYCLE_1)
	s_and_not1_b32 vcc_lo, exec_lo, s0
	s_cbranch_vccnz .LBB23_1392
; %bb.1391:
	s_wait_loadcnt 0x0
	global_load_u8 v0, v[6:7], off
.LBB23_1392:
	s_or_b32 s10, s10, exec_lo
.LBB23_1393:
	s_wait_xcnt 0x0
	s_or_b32 exec_lo, exec_lo, s4
	s_mov_b32 s11, 0
	s_mov_b32 s5, 0
	;; [unrolled: 1-line block ×3, first 2 shown]
                                        ; implicit-def: $sgpr0
                                        ; implicit-def: $vgpr6_vgpr7
                                        ; implicit-def: $vgpr8
	s_and_saveexec_b32 s4, s10
	s_cbranch_execz .LBB23_1401
; %bb.1394:
	s_wait_loadcnt 0x0
	v_mov_b32_e32 v5, 0
	s_and_b32 s0, s17, 0xff
	s_delay_alu instid0(SALU_CYCLE_1) | instskip(NEXT) | instid1(VALU_DEP_1)
	s_cmp_lt_i32 s0, 11
	v_add_nc_u64_e32 v[6:7], s[6:7], v[4:5]
	s_cbranch_scc1 .LBB23_1404
; %bb.1395:
	s_and_b32 s5, 0xffff, s0
	s_mov_b32 s7, 0
	s_cmp_gt_i32 s5, 25
	s_cbranch_scc0 .LBB23_1405
; %bb.1396:
	s_cmp_gt_i32 s5, 28
	s_cbranch_scc0 .LBB23_1406
; %bb.1397:
	;; [unrolled: 3-line block ×4, first 2 shown]
	s_cmp_eq_u32 s5, 46
	s_mov_b32 s10, 0
	s_cbranch_scc0 .LBB23_1409
; %bb.1400:
	global_load_b32 v1, v[6:7], off
	s_mov_b32 s6, 0
	s_mov_b32 s8, -1
	s_wait_loadcnt 0x0
	v_lshlrev_b32_e32 v1, 16, v1
	s_delay_alu instid0(VALU_DEP_1) | instskip(NEXT) | instid1(VALU_DEP_1)
	v_trunc_f32_e32 v1, v1
	v_mul_f32_e64 v3, 0x2f800000, |v1|
	s_delay_alu instid0(VALU_DEP_1) | instskip(NEXT) | instid1(VALU_DEP_1)
	v_floor_f32_e32 v3, v3
	v_fma_f32 v3, 0xcf800000, v3, |v1|
	v_ashrrev_i32_e32 v1, 31, v1
	s_delay_alu instid0(VALU_DEP_2) | instskip(NEXT) | instid1(VALU_DEP_1)
	v_cvt_u32_f32_e32 v3, v3
	v_xor_b32_e32 v3, v3, v1
	s_delay_alu instid0(VALU_DEP_1)
	v_sub_nc_u32_e32 v8, v3, v1
	s_branch .LBB23_1411
.LBB23_1401:
	s_or_b32 exec_lo, exec_lo, s4
	s_and_saveexec_b32 s4, s43
	s_cbranch_execnz .LBB23_1470
.LBB23_1402:
	s_or_b32 exec_lo, exec_lo, s4
	s_and_saveexec_b32 s4, s11
	s_delay_alu instid0(SALU_CYCLE_1)
	s_xor_b32 s4, exec_lo, s4
	s_cbranch_execz .LBB23_1471
.LBB23_1403:
	s_wait_loadcnt 0x0
	global_load_u8 v1, v[6:7], off
	s_or_b32 s8, s8, exec_lo
	s_wait_loadcnt 0x0
	v_cmp_ne_u16_e32 vcc_lo, 0, v1
	v_cndmask_b32_e64 v8, 0, 1, vcc_lo
	s_wait_xcnt 0x0
	s_or_b32 exec_lo, exec_lo, s4
	s_and_saveexec_b32 s4, s5
	s_cbranch_execz .LBB23_1517
	s_branch .LBB23_1472
.LBB23_1404:
	s_mov_b32 s5, -1
	s_mov_b32 s7, 0
	s_mov_b32 s6, s43
                                        ; implicit-def: $vgpr8
	s_branch .LBB23_1469
.LBB23_1405:
	s_mov_b32 s6, s43
                                        ; implicit-def: $vgpr8
	s_cbranch_execnz .LBB23_1438
	s_branch .LBB23_1468
.LBB23_1406:
	s_mov_b32 s10, -1
	s_mov_b32 s6, s43
                                        ; implicit-def: $vgpr8
	s_branch .LBB23_1421
.LBB23_1407:
	s_mov_b32 s10, -1
	s_mov_b32 s6, s43
                                        ; implicit-def: $vgpr8
	s_branch .LBB23_1416
.LBB23_1408:
	s_mov_b32 s10, -1
	s_mov_b32 s6, s43
	s_branch .LBB23_1410
.LBB23_1409:
	s_mov_b32 s6, -1
.LBB23_1410:
                                        ; implicit-def: $vgpr8
.LBB23_1411:
	s_and_b32 vcc_lo, exec_lo, s10
	s_cbranch_vccz .LBB23_1415
; %bb.1412:
	s_cmp_eq_u32 s5, 44
	s_cbranch_scc0 .LBB23_1414
; %bb.1413:
	global_load_u8 v1, v[6:7], off
	s_mov_b32 s6, 0
	s_mov_b32 s8, -1
	s_wait_loadcnt 0x0
	v_lshlrev_b32_e32 v3, 23, v1
	v_cmp_ne_u32_e32 vcc_lo, 0, v1
	s_delay_alu instid0(VALU_DEP_2) | instskip(NEXT) | instid1(VALU_DEP_1)
	v_trunc_f32_e32 v3, v3
	v_mul_f32_e64 v4, 0x2f800000, |v3|
	s_delay_alu instid0(VALU_DEP_1) | instskip(NEXT) | instid1(VALU_DEP_1)
	v_floor_f32_e32 v4, v4
	v_fma_f32 v4, 0xcf800000, v4, |v3|
	v_ashrrev_i32_e32 v3, 31, v3
	s_delay_alu instid0(VALU_DEP_2) | instskip(NEXT) | instid1(VALU_DEP_1)
	v_cvt_u32_f32_e32 v4, v4
	v_xor_b32_e32 v4, v4, v3
	s_delay_alu instid0(VALU_DEP_1) | instskip(NEXT) | instid1(VALU_DEP_1)
	v_sub_nc_u32_e32 v3, v4, v3
	v_cndmask_b32_e32 v8, 0, v3, vcc_lo
	s_branch .LBB23_1415
.LBB23_1414:
	s_mov_b32 s6, -1
                                        ; implicit-def: $vgpr8
.LBB23_1415:
	s_mov_b32 s10, 0
.LBB23_1416:
	s_delay_alu instid0(SALU_CYCLE_1)
	s_and_b32 vcc_lo, exec_lo, s10
	s_cbranch_vccz .LBB23_1420
; %bb.1417:
	s_cmp_eq_u32 s5, 29
	s_cbranch_scc0 .LBB23_1419
; %bb.1418:
	global_load_b64 v[8:9], v[6:7], off
	s_mov_b32 s6, 0
	s_mov_b32 s8, -1
	s_branch .LBB23_1420
.LBB23_1419:
	s_mov_b32 s6, -1
                                        ; implicit-def: $vgpr8
.LBB23_1420:
	s_mov_b32 s10, 0
.LBB23_1421:
	s_delay_alu instid0(SALU_CYCLE_1)
	s_and_b32 vcc_lo, exec_lo, s10
	s_cbranch_vccz .LBB23_1437
; %bb.1422:
	s_cmp_lt_i32 s5, 27
	s_cbranch_scc1 .LBB23_1425
; %bb.1423:
	s_cmp_gt_i32 s5, 27
	s_cbranch_scc0 .LBB23_1426
; %bb.1424:
	s_wait_loadcnt 0x0
	global_load_b32 v8, v[6:7], off
	s_mov_b32 s8, 0
	s_branch .LBB23_1427
.LBB23_1425:
	s_mov_b32 s8, -1
                                        ; implicit-def: $vgpr8
	s_branch .LBB23_1430
.LBB23_1426:
	s_mov_b32 s8, -1
                                        ; implicit-def: $vgpr8
.LBB23_1427:
	s_delay_alu instid0(SALU_CYCLE_1)
	s_and_not1_b32 vcc_lo, exec_lo, s8
	s_cbranch_vccnz .LBB23_1429
; %bb.1428:
	s_wait_loadcnt 0x0
	global_load_u16 v8, v[6:7], off
.LBB23_1429:
	s_mov_b32 s8, 0
.LBB23_1430:
	s_delay_alu instid0(SALU_CYCLE_1)
	s_and_not1_b32 vcc_lo, exec_lo, s8
	s_cbranch_vccnz .LBB23_1436
; %bb.1431:
	global_load_u8 v1, v[6:7], off
	s_mov_b32 s10, 0
	s_mov_b32 s8, exec_lo
	s_wait_loadcnt 0x0
	v_cmpx_lt_i16_e32 0x7f, v1
	s_xor_b32 s8, exec_lo, s8
	s_cbranch_execz .LBB23_1447
; %bb.1432:
	v_cmp_ne_u16_e32 vcc_lo, 0x80, v1
	s_and_b32 s10, vcc_lo, exec_lo
	s_and_not1_saveexec_b32 s8, s8
	s_cbranch_execnz .LBB23_1448
.LBB23_1433:
	s_or_b32 exec_lo, exec_lo, s8
	v_mov_b32_e32 v8, 0
	s_and_saveexec_b32 s8, s10
	s_cbranch_execz .LBB23_1435
.LBB23_1434:
	v_and_b32_e32 v3, 0xffff, v1
	s_delay_alu instid0(VALU_DEP_1) | instskip(SKIP_1) | instid1(VALU_DEP_2)
	v_and_b32_e32 v4, 7, v3
	v_bfe_u32 v9, v3, 3, 4
	v_clz_i32_u32_e32 v5, v4
	s_delay_alu instid0(VALU_DEP_2) | instskip(NEXT) | instid1(VALU_DEP_2)
	v_cmp_eq_u32_e32 vcc_lo, 0, v9
	v_min_u32_e32 v5, 32, v5
	s_delay_alu instid0(VALU_DEP_1) | instskip(NEXT) | instid1(VALU_DEP_1)
	v_subrev_nc_u32_e32 v8, 28, v5
	v_dual_lshlrev_b32 v3, v8, v3 :: v_dual_sub_nc_u32 v5, 29, v5
	s_delay_alu instid0(VALU_DEP_1) | instskip(NEXT) | instid1(VALU_DEP_1)
	v_dual_lshlrev_b32 v1, 24, v1 :: v_dual_bitop2_b32 v3, 7, v3 bitop3:0x40
	v_dual_cndmask_b32 v3, v4, v3, vcc_lo :: v_dual_cndmask_b32 v5, v9, v5, vcc_lo
	s_delay_alu instid0(VALU_DEP_2) | instskip(NEXT) | instid1(VALU_DEP_2)
	v_and_b32_e32 v1, 0x80000000, v1
	v_lshlrev_b32_e32 v3, 20, v3
	s_delay_alu instid0(VALU_DEP_3) | instskip(NEXT) | instid1(VALU_DEP_1)
	v_lshl_add_u32 v4, v5, 23, 0x3b800000
	v_or3_b32 v1, v1, v4, v3
	s_delay_alu instid0(VALU_DEP_1) | instskip(NEXT) | instid1(VALU_DEP_1)
	v_trunc_f32_e32 v1, v1
	v_mul_f32_e64 v3, 0x2f800000, |v1|
	s_delay_alu instid0(VALU_DEP_1) | instskip(NEXT) | instid1(VALU_DEP_1)
	v_floor_f32_e32 v3, v3
	v_fma_f32 v3, 0xcf800000, v3, |v1|
	v_ashrrev_i32_e32 v1, 31, v1
	s_delay_alu instid0(VALU_DEP_2) | instskip(NEXT) | instid1(VALU_DEP_1)
	v_cvt_u32_f32_e32 v3, v3
	v_xor_b32_e32 v3, v3, v1
	s_delay_alu instid0(VALU_DEP_1)
	v_sub_nc_u32_e32 v8, v3, v1
.LBB23_1435:
	s_or_b32 exec_lo, exec_lo, s8
.LBB23_1436:
	s_mov_b32 s8, -1
.LBB23_1437:
	s_branch .LBB23_1468
.LBB23_1438:
	s_cmp_gt_i32 s5, 22
	s_cbranch_scc0 .LBB23_1446
; %bb.1439:
	s_cmp_lt_i32 s5, 24
	s_cbranch_scc1 .LBB23_1449
; %bb.1440:
	s_cmp_gt_i32 s5, 24
	s_cbranch_scc0 .LBB23_1450
; %bb.1441:
	global_load_u8 v1, v[6:7], off
	s_mov_b32 s8, 0
	s_mov_b32 s7, exec_lo
	s_wait_loadcnt 0x0
	v_cmpx_lt_i16_e32 0x7f, v1
	s_xor_b32 s7, exec_lo, s7
	s_cbranch_execz .LBB23_1462
; %bb.1442:
	v_cmp_ne_u16_e32 vcc_lo, 0x80, v1
	s_and_b32 s8, vcc_lo, exec_lo
	s_and_not1_saveexec_b32 s7, s7
	s_cbranch_execnz .LBB23_1463
.LBB23_1443:
	s_or_b32 exec_lo, exec_lo, s7
	v_mov_b32_e32 v8, 0
	s_and_saveexec_b32 s7, s8
	s_cbranch_execz .LBB23_1445
.LBB23_1444:
	v_and_b32_e32 v3, 0xffff, v1
	s_delay_alu instid0(VALU_DEP_1) | instskip(SKIP_1) | instid1(VALU_DEP_2)
	v_and_b32_e32 v4, 3, v3
	v_bfe_u32 v9, v3, 2, 5
	v_clz_i32_u32_e32 v5, v4
	s_delay_alu instid0(VALU_DEP_2) | instskip(NEXT) | instid1(VALU_DEP_2)
	v_cmp_eq_u32_e32 vcc_lo, 0, v9
	v_min_u32_e32 v5, 32, v5
	s_delay_alu instid0(VALU_DEP_1) | instskip(NEXT) | instid1(VALU_DEP_1)
	v_subrev_nc_u32_e32 v8, 29, v5
	v_dual_lshlrev_b32 v3, v8, v3 :: v_dual_sub_nc_u32 v5, 30, v5
	s_delay_alu instid0(VALU_DEP_1) | instskip(NEXT) | instid1(VALU_DEP_1)
	v_dual_lshlrev_b32 v1, 24, v1 :: v_dual_bitop2_b32 v3, 3, v3 bitop3:0x40
	v_dual_cndmask_b32 v3, v4, v3, vcc_lo :: v_dual_cndmask_b32 v5, v9, v5, vcc_lo
	s_delay_alu instid0(VALU_DEP_2) | instskip(NEXT) | instid1(VALU_DEP_2)
	v_and_b32_e32 v1, 0x80000000, v1
	v_lshlrev_b32_e32 v3, 21, v3
	s_delay_alu instid0(VALU_DEP_3) | instskip(NEXT) | instid1(VALU_DEP_1)
	v_lshl_add_u32 v4, v5, 23, 0x37800000
	v_or3_b32 v1, v1, v4, v3
	s_delay_alu instid0(VALU_DEP_1) | instskip(NEXT) | instid1(VALU_DEP_1)
	v_trunc_f32_e32 v1, v1
	v_mul_f32_e64 v3, 0x2f800000, |v1|
	s_delay_alu instid0(VALU_DEP_1) | instskip(NEXT) | instid1(VALU_DEP_1)
	v_floor_f32_e32 v3, v3
	v_fma_f32 v3, 0xcf800000, v3, |v1|
	v_ashrrev_i32_e32 v1, 31, v1
	s_delay_alu instid0(VALU_DEP_2) | instskip(NEXT) | instid1(VALU_DEP_1)
	v_cvt_u32_f32_e32 v3, v3
	v_xor_b32_e32 v3, v3, v1
	s_delay_alu instid0(VALU_DEP_1)
	v_sub_nc_u32_e32 v8, v3, v1
.LBB23_1445:
	s_or_b32 exec_lo, exec_lo, s7
	s_mov_b32 s7, 0
	s_branch .LBB23_1451
.LBB23_1446:
	s_mov_b32 s7, -1
                                        ; implicit-def: $vgpr8
	s_branch .LBB23_1457
.LBB23_1447:
	s_and_not1_saveexec_b32 s8, s8
	s_cbranch_execz .LBB23_1433
.LBB23_1448:
	v_cmp_ne_u16_e32 vcc_lo, 0, v1
	s_and_not1_b32 s10, s10, exec_lo
	s_and_b32 s11, vcc_lo, exec_lo
	s_delay_alu instid0(SALU_CYCLE_1)
	s_or_b32 s10, s10, s11
	s_or_b32 exec_lo, exec_lo, s8
	v_mov_b32_e32 v8, 0
	s_and_saveexec_b32 s8, s10
	s_cbranch_execnz .LBB23_1434
	s_branch .LBB23_1435
.LBB23_1449:
	s_mov_b32 s7, -1
                                        ; implicit-def: $vgpr8
	s_branch .LBB23_1454
.LBB23_1450:
	s_mov_b32 s7, -1
                                        ; implicit-def: $vgpr8
.LBB23_1451:
	s_delay_alu instid0(SALU_CYCLE_1)
	s_and_b32 vcc_lo, exec_lo, s7
	s_cbranch_vccz .LBB23_1453
; %bb.1452:
	global_load_u8 v1, v[6:7], off
	s_wait_loadcnt 0x0
	v_lshlrev_b32_e32 v1, 24, v1
	s_delay_alu instid0(VALU_DEP_1) | instskip(NEXT) | instid1(VALU_DEP_1)
	v_and_b32_e32 v3, 0x7f000000, v1
	v_clz_i32_u32_e32 v4, v3
	v_cmp_ne_u32_e32 vcc_lo, 0, v3
	v_add_nc_u32_e32 v8, 0x1000000, v3
	s_delay_alu instid0(VALU_DEP_3) | instskip(NEXT) | instid1(VALU_DEP_1)
	v_min_u32_e32 v4, 32, v4
	v_sub_nc_u32_e64 v4, v4, 4 clamp
	s_delay_alu instid0(VALU_DEP_1) | instskip(NEXT) | instid1(VALU_DEP_1)
	v_dual_lshlrev_b32 v5, v4, v3 :: v_dual_lshlrev_b32 v4, 23, v4
	v_lshrrev_b32_e32 v5, 4, v5
	s_delay_alu instid0(VALU_DEP_1) | instskip(SKIP_1) | instid1(VALU_DEP_2)
	v_sub_nc_u32_e32 v4, v5, v4
	v_ashrrev_i32_e32 v5, 8, v8
	v_add_nc_u32_e32 v4, 0x3c000000, v4
	s_delay_alu instid0(VALU_DEP_1) | instskip(NEXT) | instid1(VALU_DEP_1)
	v_and_or_b32 v4, 0x7f800000, v5, v4
	v_cndmask_b32_e32 v3, 0, v4, vcc_lo
	s_delay_alu instid0(VALU_DEP_1) | instskip(NEXT) | instid1(VALU_DEP_1)
	v_and_or_b32 v1, 0x80000000, v1, v3
	v_trunc_f32_e32 v1, v1
	s_delay_alu instid0(VALU_DEP_1) | instskip(NEXT) | instid1(VALU_DEP_1)
	v_mul_f32_e64 v3, 0x2f800000, |v1|
	v_floor_f32_e32 v3, v3
	s_delay_alu instid0(VALU_DEP_1) | instskip(SKIP_1) | instid1(VALU_DEP_2)
	v_fma_f32 v3, 0xcf800000, v3, |v1|
	v_ashrrev_i32_e32 v1, 31, v1
	v_cvt_u32_f32_e32 v3, v3
	s_delay_alu instid0(VALU_DEP_1) | instskip(NEXT) | instid1(VALU_DEP_1)
	v_xor_b32_e32 v3, v3, v1
	v_sub_nc_u32_e32 v8, v3, v1
.LBB23_1453:
	s_mov_b32 s7, 0
.LBB23_1454:
	s_delay_alu instid0(SALU_CYCLE_1)
	s_and_not1_b32 vcc_lo, exec_lo, s7
	s_cbranch_vccnz .LBB23_1456
; %bb.1455:
	global_load_u8 v1, v[6:7], off
	s_wait_loadcnt 0x0
	v_lshlrev_b32_e32 v3, 25, v1
	v_lshlrev_b16 v1, 8, v1
	s_delay_alu instid0(VALU_DEP_1) | instskip(NEXT) | instid1(VALU_DEP_3)
	v_and_or_b32 v5, 0x7f00, v1, 0.5
	v_lshrrev_b32_e32 v4, 4, v3
	v_bfe_i32 v1, v1, 0, 16
	s_delay_alu instid0(VALU_DEP_3) | instskip(NEXT) | instid1(VALU_DEP_3)
	v_add_f32_e32 v5, -0.5, v5
	v_or_b32_e32 v4, 0x70000000, v4
	s_delay_alu instid0(VALU_DEP_1) | instskip(SKIP_1) | instid1(VALU_DEP_2)
	v_mul_f32_e32 v4, 0x7800000, v4
	v_cmp_gt_u32_e32 vcc_lo, 0x8000000, v3
	v_cndmask_b32_e32 v3, v4, v5, vcc_lo
	s_delay_alu instid0(VALU_DEP_1) | instskip(NEXT) | instid1(VALU_DEP_1)
	v_and_or_b32 v1, 0x80000000, v1, v3
	v_trunc_f32_e32 v1, v1
	s_delay_alu instid0(VALU_DEP_1) | instskip(NEXT) | instid1(VALU_DEP_1)
	v_mul_f32_e64 v3, 0x2f800000, |v1|
	v_floor_f32_e32 v3, v3
	s_delay_alu instid0(VALU_DEP_1) | instskip(SKIP_1) | instid1(VALU_DEP_2)
	v_fma_f32 v3, 0xcf800000, v3, |v1|
	v_ashrrev_i32_e32 v1, 31, v1
	v_cvt_u32_f32_e32 v3, v3
	s_delay_alu instid0(VALU_DEP_1) | instskip(NEXT) | instid1(VALU_DEP_1)
	v_xor_b32_e32 v3, v3, v1
	v_sub_nc_u32_e32 v8, v3, v1
.LBB23_1456:
	s_mov_b32 s7, 0
	s_mov_b32 s8, -1
.LBB23_1457:
	s_and_not1_b32 vcc_lo, exec_lo, s7
	s_mov_b32 s7, 0
	s_cbranch_vccnz .LBB23_1468
; %bb.1458:
	s_cmp_gt_i32 s5, 14
	s_cbranch_scc0 .LBB23_1461
; %bb.1459:
	s_cmp_eq_u32 s5, 15
	s_cbranch_scc0 .LBB23_1464
; %bb.1460:
	global_load_u16 v1, v[6:7], off
	s_mov_b32 s6, 0
	s_mov_b32 s8, -1
	s_wait_loadcnt 0x0
	v_lshlrev_b32_e32 v1, 16, v1
	s_delay_alu instid0(VALU_DEP_1) | instskip(NEXT) | instid1(VALU_DEP_1)
	v_trunc_f32_e32 v1, v1
	v_mul_f32_e64 v3, 0x2f800000, |v1|
	s_delay_alu instid0(VALU_DEP_1) | instskip(NEXT) | instid1(VALU_DEP_1)
	v_floor_f32_e32 v3, v3
	v_fma_f32 v3, 0xcf800000, v3, |v1|
	v_ashrrev_i32_e32 v1, 31, v1
	s_delay_alu instid0(VALU_DEP_2) | instskip(NEXT) | instid1(VALU_DEP_1)
	v_cvt_u32_f32_e32 v3, v3
	v_xor_b32_e32 v3, v3, v1
	s_delay_alu instid0(VALU_DEP_1)
	v_sub_nc_u32_e32 v8, v3, v1
	s_branch .LBB23_1466
.LBB23_1461:
	s_mov_b32 s7, -1
	s_branch .LBB23_1465
.LBB23_1462:
	s_and_not1_saveexec_b32 s7, s7
	s_cbranch_execz .LBB23_1443
.LBB23_1463:
	v_cmp_ne_u16_e32 vcc_lo, 0, v1
	s_and_not1_b32 s8, s8, exec_lo
	s_and_b32 s10, vcc_lo, exec_lo
	s_delay_alu instid0(SALU_CYCLE_1)
	s_or_b32 s8, s8, s10
	s_or_b32 exec_lo, exec_lo, s7
	v_mov_b32_e32 v8, 0
	s_and_saveexec_b32 s7, s8
	s_cbranch_execnz .LBB23_1444
	s_branch .LBB23_1445
.LBB23_1464:
	s_mov_b32 s6, -1
.LBB23_1465:
                                        ; implicit-def: $vgpr8
.LBB23_1466:
	s_and_b32 vcc_lo, exec_lo, s7
	s_mov_b32 s7, 0
	s_cbranch_vccz .LBB23_1468
; %bb.1467:
	s_cmp_lg_u32 s5, 11
	s_mov_b32 s7, -1
	s_cselect_b32 s5, -1, 0
	s_and_not1_b32 s6, s6, exec_lo
	s_and_b32 s5, s5, exec_lo
	s_delay_alu instid0(SALU_CYCLE_1)
	s_or_b32 s6, s6, s5
.LBB23_1468:
	s_mov_b32 s5, 0
.LBB23_1469:
	s_and_not1_b32 s10, s43, exec_lo
	s_and_b32 s6, s6, exec_lo
	s_and_b32 s8, s8, exec_lo
	;; [unrolled: 1-line block ×4, first 2 shown]
	s_or_b32 s43, s10, s6
	s_wait_xcnt 0x0
	s_or_b32 exec_lo, exec_lo, s4
	s_and_saveexec_b32 s4, s43
	s_cbranch_execz .LBB23_1402
.LBB23_1470:
	s_or_b32 s1, s1, exec_lo
	s_and_not1_b32 s11, s11, exec_lo
	s_trap 2
	s_or_b32 exec_lo, exec_lo, s4
	s_and_saveexec_b32 s4, s11
	s_delay_alu instid0(SALU_CYCLE_1)
	s_xor_b32 s4, exec_lo, s4
	s_cbranch_execnz .LBB23_1403
.LBB23_1471:
	s_or_b32 exec_lo, exec_lo, s4
	s_and_saveexec_b32 s4, s5
	s_cbranch_execz .LBB23_1517
.LBB23_1472:
	s_sext_i32_i16 s5, s0
	s_delay_alu instid0(SALU_CYCLE_1)
	s_cmp_lt_i32 s5, 5
	s_cbranch_scc1 .LBB23_1477
; %bb.1473:
	s_cmp_lt_i32 s5, 8
	s_cbranch_scc1 .LBB23_1478
; %bb.1474:
	;; [unrolled: 3-line block ×3, first 2 shown]
	s_cmp_gt_i32 s5, 9
	s_cbranch_scc0 .LBB23_1480
; %bb.1476:
	s_wait_loadcnt 0x0
	global_load_b64 v[4:5], v[6:7], off
	s_mov_b32 s5, 0
	s_wait_loadcnt 0x0
	v_trunc_f64_e32 v[4:5], v[4:5]
	s_delay_alu instid0(VALU_DEP_1) | instskip(NEXT) | instid1(VALU_DEP_1)
	v_ldexp_f64 v[8:9], v[4:5], 0xffffffe0
	v_floor_f64_e32 v[8:9], v[8:9]
	s_delay_alu instid0(VALU_DEP_1) | instskip(NEXT) | instid1(VALU_DEP_1)
	v_fmamk_f64 v[4:5], v[8:9], 0xc1f00000, v[4:5]
	v_cvt_u32_f64_e32 v8, v[4:5]
	s_branch .LBB23_1481
.LBB23_1477:
                                        ; implicit-def: $vgpr8
	s_branch .LBB23_1498
.LBB23_1478:
                                        ; implicit-def: $vgpr8
	s_branch .LBB23_1487
.LBB23_1479:
	s_mov_b32 s5, -1
                                        ; implicit-def: $vgpr8
	s_branch .LBB23_1484
.LBB23_1480:
	s_mov_b32 s5, -1
                                        ; implicit-def: $vgpr8
.LBB23_1481:
	s_delay_alu instid0(SALU_CYCLE_1)
	s_and_not1_b32 vcc_lo, exec_lo, s5
	s_cbranch_vccnz .LBB23_1483
; %bb.1482:
	s_wait_loadcnt 0x0
	global_load_b32 v1, v[6:7], off
	s_wait_loadcnt 0x0
	v_trunc_f32_e32 v1, v1
	s_delay_alu instid0(VALU_DEP_1) | instskip(NEXT) | instid1(VALU_DEP_1)
	v_mul_f32_e64 v3, 0x2f800000, |v1|
	v_floor_f32_e32 v3, v3
	s_delay_alu instid0(VALU_DEP_1) | instskip(SKIP_1) | instid1(VALU_DEP_2)
	v_fma_f32 v3, 0xcf800000, v3, |v1|
	v_ashrrev_i32_e32 v1, 31, v1
	v_cvt_u32_f32_e32 v3, v3
	s_delay_alu instid0(VALU_DEP_1) | instskip(NEXT) | instid1(VALU_DEP_1)
	v_xor_b32_e32 v3, v3, v1
	v_sub_nc_u32_e32 v8, v3, v1
.LBB23_1483:
	s_mov_b32 s5, 0
.LBB23_1484:
	s_delay_alu instid0(SALU_CYCLE_1)
	s_and_not1_b32 vcc_lo, exec_lo, s5
	s_cbranch_vccnz .LBB23_1486
; %bb.1485:
	s_wait_loadcnt 0x0
	global_load_b32 v1, v[6:7], off
	s_wait_loadcnt 0x0
	v_cvt_f32_f16_e32 v1, v1
	s_delay_alu instid0(VALU_DEP_1)
	v_cvt_i32_f32_e32 v8, v1
.LBB23_1486:
	s_cbranch_execnz .LBB23_1497
.LBB23_1487:
	s_sext_i32_i16 s5, s0
	s_delay_alu instid0(SALU_CYCLE_1)
	s_cmp_lt_i32 s5, 6
	s_cbranch_scc1 .LBB23_1490
; %bb.1488:
	s_cmp_gt_i32 s5, 6
	s_cbranch_scc0 .LBB23_1491
; %bb.1489:
	s_wait_loadcnt 0x0
	global_load_b64 v[4:5], v[6:7], off
	s_mov_b32 s5, 0
	s_wait_loadcnt 0x0
	v_trunc_f64_e32 v[4:5], v[4:5]
	s_delay_alu instid0(VALU_DEP_1) | instskip(NEXT) | instid1(VALU_DEP_1)
	v_ldexp_f64 v[8:9], v[4:5], 0xffffffe0
	v_floor_f64_e32 v[8:9], v[8:9]
	s_delay_alu instid0(VALU_DEP_1) | instskip(NEXT) | instid1(VALU_DEP_1)
	v_fmamk_f64 v[4:5], v[8:9], 0xc1f00000, v[4:5]
	v_cvt_u32_f64_e32 v8, v[4:5]
	s_branch .LBB23_1492
.LBB23_1490:
	s_mov_b32 s5, -1
                                        ; implicit-def: $vgpr8
	s_branch .LBB23_1495
.LBB23_1491:
	s_mov_b32 s5, -1
                                        ; implicit-def: $vgpr8
.LBB23_1492:
	s_delay_alu instid0(SALU_CYCLE_1)
	s_and_not1_b32 vcc_lo, exec_lo, s5
	s_cbranch_vccnz .LBB23_1494
; %bb.1493:
	s_wait_loadcnt 0x0
	global_load_b32 v1, v[6:7], off
	s_wait_loadcnt 0x0
	v_trunc_f32_e32 v1, v1
	s_delay_alu instid0(VALU_DEP_1) | instskip(NEXT) | instid1(VALU_DEP_1)
	v_mul_f32_e64 v3, 0x2f800000, |v1|
	v_floor_f32_e32 v3, v3
	s_delay_alu instid0(VALU_DEP_1) | instskip(SKIP_1) | instid1(VALU_DEP_2)
	v_fma_f32 v3, 0xcf800000, v3, |v1|
	v_ashrrev_i32_e32 v1, 31, v1
	v_cvt_u32_f32_e32 v3, v3
	s_delay_alu instid0(VALU_DEP_1) | instskip(NEXT) | instid1(VALU_DEP_1)
	v_xor_b32_e32 v3, v3, v1
	v_sub_nc_u32_e32 v8, v3, v1
.LBB23_1494:
	s_mov_b32 s5, 0
.LBB23_1495:
	s_delay_alu instid0(SALU_CYCLE_1)
	s_and_not1_b32 vcc_lo, exec_lo, s5
	s_cbranch_vccnz .LBB23_1497
; %bb.1496:
	s_wait_loadcnt 0x0
	global_load_u16 v1, v[6:7], off
	s_wait_loadcnt 0x0
	v_cvt_f32_f16_e32 v1, v1
	s_delay_alu instid0(VALU_DEP_1)
	v_cvt_i32_f32_e32 v8, v1
.LBB23_1497:
	s_cbranch_execnz .LBB23_1516
.LBB23_1498:
	s_sext_i32_i16 s5, s0
	s_delay_alu instid0(SALU_CYCLE_1)
	s_cmp_lt_i32 s5, 2
	s_cbranch_scc1 .LBB23_1502
; %bb.1499:
	s_cmp_lt_i32 s5, 3
	s_cbranch_scc1 .LBB23_1503
; %bb.1500:
	s_cmp_gt_i32 s5, 3
	s_cbranch_scc0 .LBB23_1504
; %bb.1501:
	s_wait_loadcnt 0x0
	global_load_b64 v[8:9], v[6:7], off
	s_mov_b32 s5, 0
	s_branch .LBB23_1505
.LBB23_1502:
                                        ; implicit-def: $vgpr8
	s_branch .LBB23_1511
.LBB23_1503:
	s_mov_b32 s5, -1
                                        ; implicit-def: $vgpr8
	s_branch .LBB23_1508
.LBB23_1504:
	s_mov_b32 s5, -1
                                        ; implicit-def: $vgpr8
.LBB23_1505:
	s_delay_alu instid0(SALU_CYCLE_1)
	s_and_not1_b32 vcc_lo, exec_lo, s5
	s_cbranch_vccnz .LBB23_1507
; %bb.1506:
	s_wait_loadcnt 0x0
	global_load_b32 v8, v[6:7], off
.LBB23_1507:
	s_mov_b32 s5, 0
.LBB23_1508:
	s_delay_alu instid0(SALU_CYCLE_1)
	s_and_not1_b32 vcc_lo, exec_lo, s5
	s_cbranch_vccnz .LBB23_1510
; %bb.1509:
	s_wait_loadcnt 0x0
	global_load_u16 v8, v[6:7], off
.LBB23_1510:
	s_cbranch_execnz .LBB23_1516
.LBB23_1511:
	s_sext_i32_i16 s0, s0
	s_delay_alu instid0(SALU_CYCLE_1)
	s_cmp_gt_i32 s0, 0
	s_mov_b32 s0, 0
	s_cbranch_scc0 .LBB23_1513
; %bb.1512:
	s_wait_loadcnt 0x0
	global_load_u8 v8, v[6:7], off
	s_branch .LBB23_1514
.LBB23_1513:
	s_mov_b32 s0, -1
                                        ; implicit-def: $vgpr8
.LBB23_1514:
	s_delay_alu instid0(SALU_CYCLE_1)
	s_and_not1_b32 vcc_lo, exec_lo, s0
	s_cbranch_vccnz .LBB23_1516
; %bb.1515:
	s_wait_loadcnt 0x0
	global_load_u8 v8, v[6:7], off
.LBB23_1516:
	s_or_b32 s8, s8, exec_lo
.LBB23_1517:
	s_wait_xcnt 0x0
	s_or_b32 exec_lo, exec_lo, s4
	s_mov_b32 s0, 0
	s_mov_b32 s6, 0
                                        ; implicit-def: $sgpr4
                                        ; implicit-def: $vgpr4_vgpr5
                                        ; implicit-def: $vgpr1
	s_and_saveexec_b32 s5, s8
	s_cbranch_execz .LBB23_1525
; %bb.1518:
	v_mov_b32_e32 v3, 0
	s_wait_loadcnt 0x0
	v_mul_lo_u16 v0, v0, s16
	s_and_b32 s4, s9, 0xff
	s_delay_alu instid0(SALU_CYCLE_1) | instskip(SKIP_1) | instid1(VALU_DEP_2)
	s_cmp_lt_i32 s4, 11
	v_add_nc_u64_e32 v[4:5], s[18:19], v[2:3]
	v_mul_lo_u16 v1, v0, v8
	s_cbranch_scc1 .LBB23_1528
; %bb.1519:
	s_and_b32 s6, 0xffff, s4
	s_mov_b32 s7, -1
	s_cmp_gt_i32 s6, 25
	s_mov_b32 s0, s21
	s_cbranch_scc0 .LBB23_1556
; %bb.1520:
	s_cmp_gt_i32 s6, 28
	s_mov_b32 s0, s21
	s_cbranch_scc0 .LBB23_1540
; %bb.1521:
	;; [unrolled: 4-line block ×4, first 2 shown]
	s_cmp_eq_u32 s6, 46
	s_mov_b32 s0, -1
	s_cbranch_scc0 .LBB23_1529
; %bb.1524:
	v_cvt_f32_ubyte0_e32 v0, v1
	s_mov_b32 s0, 0
	s_mov_b32 s7, 0
	s_delay_alu instid0(VALU_DEP_1) | instskip(NEXT) | instid1(VALU_DEP_1)
	v_bfe_u32 v2, v0, 16, 1
	v_add3_u32 v0, v0, v2, 0x7fff
	s_delay_alu instid0(VALU_DEP_1)
	v_lshrrev_b32_e32 v0, 16, v0
	global_store_b32 v[4:5], v0, off
	s_branch .LBB23_1530
.LBB23_1525:
	s_or_b32 exec_lo, exec_lo, s5
	s_and_saveexec_b32 s5, s21
	s_cbranch_execnz .LBB23_1598
.LBB23_1526:
	s_or_b32 exec_lo, exec_lo, s5
	s_and_saveexec_b32 s5, s0
	s_delay_alu instid0(SALU_CYCLE_1)
	s_xor_b32 s0, exec_lo, s5
	s_cbranch_execz .LBB23_1599
.LBB23_1527:
	s_wait_loadcnt 0x0
	v_and_b32_e32 v0, 0xff, v1
	s_delay_alu instid0(VALU_DEP_1)
	v_cmp_ne_u16_e32 vcc_lo, 0, v0
	v_cndmask_b32_e64 v0, 0, 1, vcc_lo
	global_store_b8 v[4:5], v0, off
	s_wait_xcnt 0x0
	s_or_b32 exec_lo, exec_lo, s0
	s_and_saveexec_b32 s0, s6
	s_delay_alu instid0(SALU_CYCLE_1)
	s_xor_b32 s0, exec_lo, s0
	s_cbranch_execz .LBB23_1637
	s_branch .LBB23_1600
.LBB23_1528:
	s_mov_b32 s8, 0
	s_mov_b32 s7, -1
	s_mov_b32 s0, s21
	s_branch .LBB23_1597
.LBB23_1529:
	s_mov_b32 s7, 0
.LBB23_1530:
	s_delay_alu instid0(SALU_CYCLE_1)
	s_and_b32 vcc_lo, exec_lo, s7
	s_cbranch_vccz .LBB23_1535
; %bb.1531:
	s_cmp_eq_u32 s6, 44
	s_mov_b32 s0, -1
	s_cbranch_scc0 .LBB23_1535
; %bb.1532:
	v_cvt_f32_ubyte0_e32 v3, v1
	v_mov_b32_e32 v2, 0xff
	s_mov_b32 s7, exec_lo
	s_wait_xcnt 0x0
	s_delay_alu instid0(VALU_DEP_2) | instskip(NEXT) | instid1(VALU_DEP_1)
	v_lshrrev_b32_e32 v0, 23, v3
	v_cmpx_ne_u32_e32 0xff, v0
; %bb.1533:
	v_and_b32_e32 v2, 0x400000, v3
	v_and_or_b32 v3, 0x3fffff, v3, v0
	s_delay_alu instid0(VALU_DEP_2) | instskip(NEXT) | instid1(VALU_DEP_2)
	v_cmp_ne_u32_e32 vcc_lo, 0, v2
	v_cmp_ne_u32_e64 s0, 0, v3
	s_and_b32 s0, vcc_lo, s0
	s_delay_alu instid0(SALU_CYCLE_1) | instskip(NEXT) | instid1(VALU_DEP_1)
	v_cndmask_b32_e64 v2, 0, 1, s0
	v_add_nc_u32_e32 v2, v0, v2
; %bb.1534:
	s_or_b32 exec_lo, exec_lo, s7
	s_mov_b32 s0, 0
	global_store_b8 v[4:5], v2, off
.LBB23_1535:
	s_mov_b32 s7, 0
.LBB23_1536:
	s_delay_alu instid0(SALU_CYCLE_1)
	s_and_b32 vcc_lo, exec_lo, s7
	s_cbranch_vccz .LBB23_1539
; %bb.1537:
	s_cmp_eq_u32 s6, 29
	s_mov_b32 s0, -1
	s_cbranch_scc0 .LBB23_1539
; %bb.1538:
	s_wait_xcnt 0x0
	v_and_b32_e32 v2, 0xff, v1
	v_mov_b32_e32 v3, 0
	s_mov_b32 s0, 0
	s_mov_b32 s7, 0
	global_store_b64 v[4:5], v[2:3], off
	s_branch .LBB23_1540
.LBB23_1539:
	s_mov_b32 s7, 0
.LBB23_1540:
	s_delay_alu instid0(SALU_CYCLE_1)
	s_and_b32 vcc_lo, exec_lo, s7
	s_cbranch_vccz .LBB23_1555
; %bb.1541:
	s_cmp_lt_i32 s6, 27
	s_mov_b32 s7, -1
	s_cbranch_scc1 .LBB23_1547
; %bb.1542:
	s_cmp_gt_i32 s6, 27
	s_cbranch_scc0 .LBB23_1544
; %bb.1543:
	s_wait_xcnt 0x0
	v_and_b32_e32 v0, 0xff, v1
	s_mov_b32 s7, 0
	global_store_b32 v[4:5], v0, off
.LBB23_1544:
	s_and_not1_b32 vcc_lo, exec_lo, s7
	s_cbranch_vccnz .LBB23_1546
; %bb.1545:
	s_wait_xcnt 0x0
	v_and_b32_e32 v0, 0xff, v1
	global_store_b16 v[4:5], v0, off
.LBB23_1546:
	s_mov_b32 s7, 0
.LBB23_1547:
	s_delay_alu instid0(SALU_CYCLE_1)
	s_and_not1_b32 vcc_lo, exec_lo, s7
	s_cbranch_vccnz .LBB23_1555
; %bb.1548:
	s_wait_xcnt 0x0
	v_cvt_f32_ubyte0_e32 v2, v1
	v_mov_b32_e32 v3, 0x80
	s_mov_b32 s7, exec_lo
	s_delay_alu instid0(VALU_DEP_2)
	v_cmpx_gt_u32_e32 0x43800000, v2
	s_cbranch_execz .LBB23_1554
; %bb.1549:
	s_mov_b32 s8, 0
	s_mov_b32 s9, exec_lo
                                        ; implicit-def: $vgpr0
	v_cmpx_lt_u32_e32 0x3bffffff, v2
	s_xor_b32 s9, exec_lo, s9
	s_cbranch_execz .LBB23_1713
; %bb.1550:
	v_bfe_u32 v0, v2, 20, 1
	s_mov_b32 s8, exec_lo
	s_delay_alu instid0(VALU_DEP_1) | instskip(NEXT) | instid1(VALU_DEP_1)
	v_add3_u32 v0, v2, v0, 0x487ffff
                                        ; implicit-def: $vgpr2
	v_lshrrev_b32_e32 v0, 20, v0
	s_and_not1_saveexec_b32 s9, s9
	s_cbranch_execnz .LBB23_1714
.LBB23_1551:
	s_or_b32 exec_lo, exec_lo, s9
	v_mov_b32_e32 v3, 0
	s_and_saveexec_b32 s9, s8
.LBB23_1552:
	v_mov_b32_e32 v3, v0
.LBB23_1553:
	s_or_b32 exec_lo, exec_lo, s9
.LBB23_1554:
	s_delay_alu instid0(SALU_CYCLE_1)
	s_or_b32 exec_lo, exec_lo, s7
	global_store_b8 v[4:5], v3, off
.LBB23_1555:
	s_mov_b32 s7, 0
.LBB23_1556:
	s_delay_alu instid0(SALU_CYCLE_1)
	s_and_b32 vcc_lo, exec_lo, s7
	s_mov_b32 s7, 0
	s_cbranch_vccz .LBB23_1596
; %bb.1557:
	s_cmp_gt_i32 s6, 22
	s_mov_b32 s8, -1
	s_cbranch_scc0 .LBB23_1589
; %bb.1558:
	s_cmp_lt_i32 s6, 24
	s_cbranch_scc1 .LBB23_1578
; %bb.1559:
	s_cmp_gt_i32 s6, 24
	s_cbranch_scc0 .LBB23_1567
; %bb.1560:
	s_wait_xcnt 0x0
	v_cvt_f32_ubyte0_e32 v2, v1
	v_mov_b32_e32 v3, 0x80
	s_mov_b32 s8, exec_lo
	s_delay_alu instid0(VALU_DEP_2)
	v_cmpx_gt_u32_e32 0x47800000, v2
	s_cbranch_execz .LBB23_1566
; %bb.1561:
	s_mov_b32 s9, 0
	s_mov_b32 s10, exec_lo
                                        ; implicit-def: $vgpr0
	v_cmpx_lt_u32_e32 0x37ffffff, v2
	s_xor_b32 s10, exec_lo, s10
	s_cbranch_execz .LBB23_1716
; %bb.1562:
	v_bfe_u32 v0, v2, 21, 1
	s_mov_b32 s9, exec_lo
	s_delay_alu instid0(VALU_DEP_1) | instskip(NEXT) | instid1(VALU_DEP_1)
	v_add3_u32 v0, v2, v0, 0x88fffff
                                        ; implicit-def: $vgpr2
	v_lshrrev_b32_e32 v0, 21, v0
	s_and_not1_saveexec_b32 s10, s10
	s_cbranch_execnz .LBB23_1717
.LBB23_1563:
	s_or_b32 exec_lo, exec_lo, s10
	v_mov_b32_e32 v3, 0
	s_and_saveexec_b32 s10, s9
.LBB23_1564:
	v_mov_b32_e32 v3, v0
.LBB23_1565:
	s_or_b32 exec_lo, exec_lo, s10
.LBB23_1566:
	s_delay_alu instid0(SALU_CYCLE_1)
	s_or_b32 exec_lo, exec_lo, s8
	s_mov_b32 s8, 0
	global_store_b8 v[4:5], v3, off
.LBB23_1567:
	s_and_b32 vcc_lo, exec_lo, s8
	s_cbranch_vccz .LBB23_1577
; %bb.1568:
	s_wait_xcnt 0x0
	v_cvt_f32_ubyte0_e32 v2, v1
	s_mov_b32 s8, exec_lo
                                        ; implicit-def: $vgpr0
	s_delay_alu instid0(VALU_DEP_1)
	v_cmpx_gt_u32_e32 0x43f00000, v2
	s_xor_b32 s8, exec_lo, s8
	s_cbranch_execz .LBB23_1574
; %bb.1569:
	s_mov_b32 s9, exec_lo
                                        ; implicit-def: $vgpr0
	v_cmpx_lt_u32_e32 0x3c7fffff, v2
	s_xor_b32 s9, exec_lo, s9
; %bb.1570:
	v_bfe_u32 v0, v2, 20, 1
	s_delay_alu instid0(VALU_DEP_1) | instskip(NEXT) | instid1(VALU_DEP_1)
	v_add3_u32 v0, v2, v0, 0x407ffff
	v_and_b32_e32 v2, 0xff00000, v0
	v_lshrrev_b32_e32 v0, 20, v0
	s_delay_alu instid0(VALU_DEP_2) | instskip(NEXT) | instid1(VALU_DEP_2)
	v_cmp_ne_u32_e32 vcc_lo, 0x7f00000, v2
                                        ; implicit-def: $vgpr2
	v_cndmask_b32_e32 v0, 0x7e, v0, vcc_lo
; %bb.1571:
	s_and_not1_saveexec_b32 s9, s9
; %bb.1572:
	v_add_f32_e32 v0, 0x46800000, v2
; %bb.1573:
	s_or_b32 exec_lo, exec_lo, s9
                                        ; implicit-def: $vgpr2
.LBB23_1574:
	s_and_not1_saveexec_b32 s8, s8
; %bb.1575:
	v_mov_b32_e32 v0, 0x7f
	v_cmp_lt_u32_e32 vcc_lo, 0x7f800000, v2
	s_delay_alu instid0(VALU_DEP_2)
	v_cndmask_b32_e32 v0, 0x7e, v0, vcc_lo
; %bb.1576:
	s_or_b32 exec_lo, exec_lo, s8
	global_store_b8 v[4:5], v0, off
.LBB23_1577:
	s_mov_b32 s8, 0
.LBB23_1578:
	s_delay_alu instid0(SALU_CYCLE_1)
	s_and_not1_b32 vcc_lo, exec_lo, s8
	s_cbranch_vccnz .LBB23_1588
; %bb.1579:
	s_wait_xcnt 0x0
	v_cvt_f32_ubyte0_e32 v2, v1
	s_mov_b32 s8, exec_lo
                                        ; implicit-def: $vgpr0
	s_delay_alu instid0(VALU_DEP_1)
	v_cmpx_gt_u32_e32 0x47800000, v2
	s_xor_b32 s8, exec_lo, s8
	s_cbranch_execz .LBB23_1585
; %bb.1580:
	s_mov_b32 s9, exec_lo
                                        ; implicit-def: $vgpr0
	v_cmpx_lt_u32_e32 0x387fffff, v2
	s_xor_b32 s9, exec_lo, s9
; %bb.1581:
	v_bfe_u32 v0, v2, 21, 1
	s_delay_alu instid0(VALU_DEP_1) | instskip(NEXT) | instid1(VALU_DEP_1)
	v_add3_u32 v0, v2, v0, 0x80fffff
                                        ; implicit-def: $vgpr2
	v_lshrrev_b32_e32 v0, 21, v0
; %bb.1582:
	s_and_not1_saveexec_b32 s9, s9
; %bb.1583:
	v_add_f32_e32 v0, 0x43000000, v2
; %bb.1584:
	s_or_b32 exec_lo, exec_lo, s9
                                        ; implicit-def: $vgpr2
.LBB23_1585:
	s_and_not1_saveexec_b32 s8, s8
; %bb.1586:
	v_mov_b32_e32 v0, 0x7f
	v_cmp_lt_u32_e32 vcc_lo, 0x7f800000, v2
	s_delay_alu instid0(VALU_DEP_2)
	v_cndmask_b32_e32 v0, 0x7c, v0, vcc_lo
; %bb.1587:
	s_or_b32 exec_lo, exec_lo, s8
	global_store_b8 v[4:5], v0, off
.LBB23_1588:
	s_mov_b32 s8, 0
.LBB23_1589:
	s_delay_alu instid0(SALU_CYCLE_1)
	s_and_not1_b32 vcc_lo, exec_lo, s8
	s_mov_b32 s8, 0
	s_cbranch_vccnz .LBB23_1597
; %bb.1590:
	s_cmp_gt_i32 s6, 14
	s_mov_b32 s8, -1
	s_cbranch_scc0 .LBB23_1594
; %bb.1591:
	s_cmp_eq_u32 s6, 15
	s_mov_b32 s0, -1
	s_cbranch_scc0 .LBB23_1593
; %bb.1592:
	s_wait_xcnt 0x0
	v_cvt_f32_ubyte0_e32 v0, v1
	s_mov_b32 s0, 0
	s_delay_alu instid0(VALU_DEP_1) | instskip(NEXT) | instid1(VALU_DEP_1)
	v_bfe_u32 v2, v0, 16, 1
	v_add3_u32 v0, v0, v2, 0x7fff
	global_store_d16_hi_b16 v[4:5], v0, off
.LBB23_1593:
	s_mov_b32 s8, 0
.LBB23_1594:
	s_delay_alu instid0(SALU_CYCLE_1)
	s_and_b32 vcc_lo, exec_lo, s8
	s_mov_b32 s8, 0
	s_cbranch_vccz .LBB23_1597
; %bb.1595:
	s_cmp_lg_u32 s6, 11
	s_mov_b32 s8, -1
	s_cselect_b32 s6, -1, 0
	s_and_not1_b32 s0, s0, exec_lo
	s_and_b32 s6, s6, exec_lo
	s_delay_alu instid0(SALU_CYCLE_1)
	s_or_b32 s0, s0, s6
	s_branch .LBB23_1597
.LBB23_1596:
	s_mov_b32 s8, 0
.LBB23_1597:
	s_and_b32 s6, s7, exec_lo
	s_and_not1_b32 s7, s21, exec_lo
	s_and_b32 s9, s0, exec_lo
	s_and_b32 s0, s8, exec_lo
	s_or_b32 s21, s7, s9
	s_wait_xcnt 0x0
	s_or_b32 exec_lo, exec_lo, s5
	s_and_saveexec_b32 s5, s21
	s_cbranch_execz .LBB23_1526
.LBB23_1598:
	s_or_b32 s1, s1, exec_lo
	s_and_not1_b32 s0, s0, exec_lo
	s_trap 2
	s_or_b32 exec_lo, exec_lo, s5
	s_and_saveexec_b32 s5, s0
	s_delay_alu instid0(SALU_CYCLE_1)
	s_xor_b32 s0, exec_lo, s5
	s_cbranch_execnz .LBB23_1527
.LBB23_1599:
	s_or_b32 exec_lo, exec_lo, s0
	s_and_saveexec_b32 s0, s6
	s_delay_alu instid0(SALU_CYCLE_1)
	s_xor_b32 s0, exec_lo, s0
	s_cbranch_execz .LBB23_1637
.LBB23_1600:
	s_sext_i32_i16 s6, s4
	s_mov_b32 s5, -1
	s_cmp_lt_i32 s6, 5
	s_cbranch_scc1 .LBB23_1621
; %bb.1601:
	s_cmp_lt_i32 s6, 8
	s_cbranch_scc1 .LBB23_1611
; %bb.1602:
	;; [unrolled: 3-line block ×3, first 2 shown]
	s_cmp_gt_i32 s6, 9
	s_cbranch_scc0 .LBB23_1605
; %bb.1604:
	s_wait_loadcnt 0x0
	v_and_b32_e32 v0, 0xff, v1
	v_mov_b32_e32 v8, 0
	s_mov_b32 s5, 0
	s_delay_alu instid0(VALU_DEP_2) | instskip(NEXT) | instid1(VALU_DEP_2)
	v_and_b32_e32 v0, 0xffff, v0
	v_mov_b32_e32 v9, v8
	s_delay_alu instid0(VALU_DEP_2)
	v_cvt_f64_u32_e32 v[6:7], v0
	global_store_b128 v[4:5], v[6:9], off
.LBB23_1605:
	s_and_not1_b32 vcc_lo, exec_lo, s5
	s_cbranch_vccnz .LBB23_1607
; %bb.1606:
	s_wait_loadcnt 0x0
	v_cvt_f32_ubyte0_e32 v2, v1
	v_mov_b32_e32 v3, 0
	global_store_b64 v[4:5], v[2:3], off
.LBB23_1607:
	s_mov_b32 s5, 0
.LBB23_1608:
	s_delay_alu instid0(SALU_CYCLE_1)
	s_and_not1_b32 vcc_lo, exec_lo, s5
	s_cbranch_vccnz .LBB23_1610
; %bb.1609:
	s_wait_loadcnt 0x0
	v_and_b32_e32 v0, 0xff, v1
	s_delay_alu instid0(VALU_DEP_1) | instskip(NEXT) | instid1(VALU_DEP_1)
	v_cvt_f16_u16_e32 v0, v0
	v_and_b32_e32 v0, 0xffff, v0
	global_store_b32 v[4:5], v0, off
.LBB23_1610:
	s_mov_b32 s5, 0
.LBB23_1611:
	s_delay_alu instid0(SALU_CYCLE_1)
	s_and_not1_b32 vcc_lo, exec_lo, s5
	s_cbranch_vccnz .LBB23_1620
; %bb.1612:
	s_sext_i32_i16 s6, s4
	s_mov_b32 s5, -1
	s_cmp_lt_i32 s6, 6
	s_cbranch_scc1 .LBB23_1618
; %bb.1613:
	s_cmp_gt_i32 s6, 6
	s_cbranch_scc0 .LBB23_1615
; %bb.1614:
	s_wait_loadcnt 0x0
	v_and_b32_e32 v0, 0xff, v1
	s_mov_b32 s5, 0
	s_delay_alu instid0(VALU_DEP_1) | instskip(NEXT) | instid1(VALU_DEP_1)
	v_and_b32_e32 v0, 0xffff, v0
	v_cvt_f64_u32_e32 v[2:3], v0
	global_store_b64 v[4:5], v[2:3], off
.LBB23_1615:
	s_and_not1_b32 vcc_lo, exec_lo, s5
	s_cbranch_vccnz .LBB23_1617
; %bb.1616:
	s_wait_loadcnt 0x0
	v_cvt_f32_ubyte0_e32 v0, v1
	global_store_b32 v[4:5], v0, off
.LBB23_1617:
	s_mov_b32 s5, 0
.LBB23_1618:
	s_delay_alu instid0(SALU_CYCLE_1)
	s_and_not1_b32 vcc_lo, exec_lo, s5
	s_cbranch_vccnz .LBB23_1620
; %bb.1619:
	s_wait_loadcnt 0x0
	v_and_b32_e32 v0, 0xff, v1
	s_delay_alu instid0(VALU_DEP_1)
	v_cvt_f16_u16_e32 v0, v0
	global_store_b16 v[4:5], v0, off
.LBB23_1620:
	s_mov_b32 s5, 0
.LBB23_1621:
	s_delay_alu instid0(SALU_CYCLE_1)
	s_and_not1_b32 vcc_lo, exec_lo, s5
	s_cbranch_vccnz .LBB23_1637
; %bb.1622:
	s_sext_i32_i16 s6, s4
	s_mov_b32 s5, -1
	s_cmp_lt_i32 s6, 2
	s_cbranch_scc1 .LBB23_1632
; %bb.1623:
	s_cmp_lt_i32 s6, 3
	s_cbranch_scc1 .LBB23_1629
; %bb.1624:
	s_cmp_gt_i32 s6, 3
	s_cbranch_scc0 .LBB23_1626
; %bb.1625:
	s_wait_loadcnt 0x0
	v_and_b32_e32 v2, 0xff, v1
	v_mov_b32_e32 v3, 0
	s_mov_b32 s5, 0
	global_store_b64 v[4:5], v[2:3], off
.LBB23_1626:
	s_and_not1_b32 vcc_lo, exec_lo, s5
	s_cbranch_vccnz .LBB23_1628
; %bb.1627:
	s_wait_loadcnt 0x0
	v_and_b32_e32 v0, 0xff, v1
	global_store_b32 v[4:5], v0, off
.LBB23_1628:
	s_mov_b32 s5, 0
.LBB23_1629:
	s_delay_alu instid0(SALU_CYCLE_1)
	s_and_not1_b32 vcc_lo, exec_lo, s5
	s_cbranch_vccnz .LBB23_1631
; %bb.1630:
	s_wait_loadcnt 0x0
	v_and_b32_e32 v0, 0xff, v1
	global_store_b16 v[4:5], v0, off
.LBB23_1631:
	s_mov_b32 s5, 0
.LBB23_1632:
	s_delay_alu instid0(SALU_CYCLE_1)
	s_and_not1_b32 vcc_lo, exec_lo, s5
	s_cbranch_vccnz .LBB23_1637
; %bb.1633:
	s_sext_i32_i16 s4, s4
	s_delay_alu instid0(SALU_CYCLE_1)
	s_cmp_gt_i32 s4, 0
	s_mov_b32 s4, -1
	s_cbranch_scc0 .LBB23_1635
; %bb.1634:
	s_mov_b32 s4, 0
	s_wait_loadcnt 0x0
	global_store_b8 v[4:5], v1, off
.LBB23_1635:
	s_and_not1_b32 vcc_lo, exec_lo, s4
	s_cbranch_vccnz .LBB23_1637
; %bb.1636:
	s_wait_loadcnt 0x0
	global_store_b8 v[4:5], v1, off
.LBB23_1637:
	s_wait_xcnt 0x0
	s_or_b32 exec_lo, exec_lo, s0
	s_delay_alu instid0(SALU_CYCLE_1)
	s_and_b32 s6, s1, exec_lo
                                        ; implicit-def: $vgpr5
                                        ; implicit-def: $vgpr0
.LBB23_1638:
	s_or_saveexec_b32 s7, s36
	s_mov_b32 s0, 0
                                        ; implicit-def: $vgpr2_vgpr3
                                        ; implicit-def: $sgpr1
                                        ; implicit-def: $vgpr1
	s_xor_b32 exec_lo, exec_lo, s7
	s_cbranch_execz .LBB23_3218
; %bb.1639:
	s_wait_loadcnt 0x0
	v_cndmask_b32_e64 v1, 0, 1, s35
	s_and_not1_b32 vcc_lo, exec_lo, s35
	s_cbranch_vccnz .LBB23_1645
; %bb.1640:
	s_cmp_lg_u32 s15, 0
	s_mov_b32 s8, 0
	s_cbranch_scc0 .LBB23_1649
; %bb.1641:
	s_min_u32 s9, s33, 15
	v_dual_mov_b32 v6, 0 :: v_dual_mov_b32 v2, v0
	v_dual_mov_b32 v8, 0 :: v_dual_mov_b32 v12, 0
	s_add_co_i32 s4, s9, 1
	s_mov_b64 s[0:1], 0xffffffffffffffe0
	s_and_b32 s10, s4, 30
	s_add_nc_u64 s[0:1], s[2:3], s[0:1]
	s_mov_b64 s[4:5], s[2:3]
.LBB23_1642:                            ; =>This Inner Loop Header: Depth=1
	s_clause 0x1
	s_load_b128 s[16:19], s[4:5], 0x4
	s_load_b64 s[20:21], s[4:5], 0x14
	s_clause 0x1
	s_load_b32 s11, s[0:1], 0xe4
	s_load_b96 s[12:14], s[0:1], 0xec
	s_add_co_i32 s10, s10, -2
	s_wait_xcnt 0x0
	s_add_nc_u64 s[4:5], s[4:5], 24
	s_cmp_lg_u32 s10, 0
	s_wait_kmcnt 0x0
	v_mul_hi_u32 v3, s17, v2
	s_delay_alu instid0(VALU_DEP_1) | instskip(NEXT) | instid1(VALU_DEP_1)
	v_add_nc_u32_e32 v3, v2, v3
	v_lshrrev_b32_e32 v3, s18, v3
	s_delay_alu instid0(VALU_DEP_1) | instskip(SKIP_4) | instid1(VALU_DEP_1)
	v_mul_hi_u32 v4, s20, v3
	v_mul_lo_u32 v7, v3, s16
	s_load_b64 s[16:17], s[0:1], 0xfc
	s_wait_xcnt 0x0
	s_add_nc_u64 s[0:1], s[0:1], 32
	v_dual_add_nc_u32 v4, v3, v4 :: v_dual_sub_nc_u32 v7, v2, v7
	s_delay_alu instid0(VALU_DEP_1) | instskip(NEXT) | instid1(VALU_DEP_2)
	v_lshrrev_b32_e32 v2, s21, v4
	v_mad_u32 v6, v7, s11, v6
	v_mad_u32 v9, v7, s13, v12
	;; [unrolled: 1-line block ×3, first 2 shown]
	s_delay_alu instid0(VALU_DEP_4) | instskip(NEXT) | instid1(VALU_DEP_1)
	v_mul_lo_u32 v4, v2, s19
	v_sub_nc_u32_e32 v3, v3, v4
	s_delay_alu instid0(VALU_DEP_1)
	v_mad_u32 v6, v3, s14, v6
	s_wait_kmcnt 0x0
	v_mad_u32 v12, v3, s17, v9
	v_mad_u32 v8, v3, s16, v7
	s_cbranch_scc1 .LBB23_1642
; %bb.1643:
	s_bitcmp1_b32 s9, 0
	s_cselect_b32 s9, -1, 0
	s_delay_alu instid0(SALU_CYCLE_1)
	s_and_b32 vcc_lo, exec_lo, s9
	s_cbranch_vccnz .LBB23_1646
; %bb.1644:
	s_load_b96 s[12:14], s[4:5], 0x4
	s_load_b32 s9, s[0:1], 0xe4
	s_wait_xcnt 0x0
	s_load_b64 s[4:5], s[0:1], 0xec
	s_wait_kmcnt 0x0
	v_mul_hi_u32 v3, s13, v2
	s_delay_alu instid0(VALU_DEP_1) | instskip(NEXT) | instid1(VALU_DEP_1)
	v_add_nc_u32_e32 v3, v2, v3
	v_lshrrev_b32_e32 v3, s14, v3
	s_delay_alu instid0(VALU_DEP_1) | instskip(NEXT) | instid1(VALU_DEP_1)
	v_mul_lo_u32 v3, v3, s12
	v_sub_nc_u32_e32 v2, v2, v3
	s_delay_alu instid0(VALU_DEP_1)
	v_mad_u32 v6, v2, s9, v6
	v_mad_u32 v8, v2, s4, v8
	;; [unrolled: 1-line block ×3, first 2 shown]
	s_and_not1_b32 vcc_lo, exec_lo, s8
	s_cbranch_vccz .LBB23_1647
	s_branch .LBB23_1650
.LBB23_1645:
	s_mov_b32 s8, -1
                                        ; implicit-def: $vgpr12
                                        ; implicit-def: $vgpr8
                                        ; implicit-def: $vgpr6
.LBB23_1646:
	s_delay_alu instid0(SALU_CYCLE_1)
	s_and_not1_b32 vcc_lo, exec_lo, s8
	s_cbranch_vccnz .LBB23_1650
.LBB23_1647:
	s_clause 0x2
	s_load_b96 s[8:10], s[2:3], 0x4
	s_load_b32 s4, s[2:3], 0xc4
	s_load_b64 s[0:1], s[2:3], 0xcc
	s_cmp_lt_u32 s15, 2
	s_wait_kmcnt 0x0
	v_mul_hi_u32 v2, s9, v0
	s_delay_alu instid0(VALU_DEP_1) | instskip(NEXT) | instid1(VALU_DEP_1)
	v_add_nc_u32_e32 v2, v0, v2
	v_lshrrev_b32_e32 v2, s10, v2
	s_delay_alu instid0(VALU_DEP_1) | instskip(NEXT) | instid1(VALU_DEP_1)
	v_mul_lo_u32 v3, v2, s8
	v_sub_nc_u32_e32 v3, v0, v3
	s_delay_alu instid0(VALU_DEP_1)
	v_mul_lo_u32 v6, v3, s4
	v_mul_lo_u32 v12, v3, s1
	;; [unrolled: 1-line block ×3, first 2 shown]
	s_cbranch_scc1 .LBB23_1650
; %bb.1648:
	s_clause 0x2
	s_load_b96 s[8:10], s[2:3], 0x10
	s_load_b32 s4, s[2:3], 0xd4
	s_load_b64 s[0:1], s[2:3], 0xdc
	s_wait_kmcnt 0x0
	v_mul_hi_u32 v3, s9, v2
	s_delay_alu instid0(VALU_DEP_1) | instskip(NEXT) | instid1(VALU_DEP_1)
	v_add_nc_u32_e32 v3, v2, v3
	v_lshrrev_b32_e32 v3, s10, v3
	s_delay_alu instid0(VALU_DEP_1) | instskip(NEXT) | instid1(VALU_DEP_1)
	v_mul_lo_u32 v3, v3, s8
	v_sub_nc_u32_e32 v2, v2, v3
	s_delay_alu instid0(VALU_DEP_1)
	v_mad_u32 v6, v2, s4, v6
	v_mad_u32 v8, v2, s0, v8
	;; [unrolled: 1-line block ×3, first 2 shown]
	s_branch .LBB23_1650
.LBB23_1649:
	v_dual_mov_b32 v12, 0 :: v_dual_mov_b32 v8, 0
	v_mov_b32_e32 v6, 0
	s_and_not1_b32 vcc_lo, exec_lo, s8
	s_cbranch_vccz .LBB23_1647
.LBB23_1650:
	v_cmp_ne_u32_e32 vcc_lo, 1, v1
	v_add_nc_u32_e32 v2, 0x80, v0
	s_cbranch_vccnz .LBB23_1656
; %bb.1651:
	s_cmp_lg_u32 s15, 0
	s_mov_b32 s8, 0
	s_cbranch_scc0 .LBB23_1660
; %bb.1652:
	s_min_u32 s9, s33, 15
	v_dual_mov_b32 v4, 0 :: v_dual_mov_b32 v3, v2
	v_dual_mov_b32 v14, 0 :: v_dual_mov_b32 v18, 0
	s_add_co_i32 s4, s9, 1
	s_mov_b64 s[0:1], 0xffffffffffffffe0
	s_and_b32 s10, s4, 30
	s_add_nc_u64 s[0:1], s[2:3], s[0:1]
	s_mov_b64 s[4:5], s[2:3]
.LBB23_1653:                            ; =>This Inner Loop Header: Depth=1
	s_clause 0x1
	s_load_b128 s[16:19], s[4:5], 0x4
	s_load_b64 s[20:21], s[4:5], 0x14
	s_clause 0x1
	s_load_b32 s11, s[0:1], 0xe4
	s_load_b96 s[12:14], s[0:1], 0xec
	s_add_co_i32 s10, s10, -2
	s_wait_xcnt 0x0
	s_add_nc_u64 s[4:5], s[4:5], 24
	s_cmp_lg_u32 s10, 0
	s_wait_kmcnt 0x0
	v_mul_hi_u32 v7, s17, v3
	s_delay_alu instid0(VALU_DEP_1) | instskip(NEXT) | instid1(VALU_DEP_1)
	v_add_nc_u32_e32 v7, v3, v7
	v_lshrrev_b32_e32 v7, s18, v7
	s_delay_alu instid0(VALU_DEP_1) | instskip(SKIP_4) | instid1(VALU_DEP_2)
	v_mul_hi_u32 v9, s20, v7
	v_mul_lo_u32 v10, v7, s16
	s_load_b64 s[16:17], s[0:1], 0xfc
	s_wait_xcnt 0x0
	s_add_nc_u64 s[0:1], s[0:1], 32
	v_add_nc_u32_e32 v9, v7, v9
	s_delay_alu instid0(VALU_DEP_1) | instskip(NEXT) | instid1(VALU_DEP_1)
	v_dual_sub_nc_u32 v10, v3, v10 :: v_dual_lshrrev_b32 v3, s21, v9
	v_mad_u32 v4, v10, s11, v4
	v_mad_u32 v11, v10, s13, v18
	;; [unrolled: 1-line block ×3, first 2 shown]
	s_delay_alu instid0(VALU_DEP_4) | instskip(NEXT) | instid1(VALU_DEP_1)
	v_mul_lo_u32 v9, v3, s19
	v_sub_nc_u32_e32 v7, v7, v9
	s_delay_alu instid0(VALU_DEP_1)
	v_mad_u32 v4, v7, s14, v4
	s_wait_kmcnt 0x0
	v_mad_u32 v18, v7, s17, v11
	v_mad_u32 v14, v7, s16, v10
	s_cbranch_scc1 .LBB23_1653
; %bb.1654:
	s_bitcmp1_b32 s9, 0
	s_cselect_b32 s9, -1, 0
	s_delay_alu instid0(SALU_CYCLE_1)
	s_and_b32 vcc_lo, exec_lo, s9
	s_cbranch_vccnz .LBB23_1657
; %bb.1655:
	s_load_b96 s[12:14], s[4:5], 0x4
	s_load_b32 s9, s[0:1], 0xe4
	s_wait_xcnt 0x0
	s_load_b64 s[4:5], s[0:1], 0xec
	s_wait_kmcnt 0x0
	v_mul_hi_u32 v7, s13, v3
	s_delay_alu instid0(VALU_DEP_1) | instskip(NEXT) | instid1(VALU_DEP_1)
	v_add_nc_u32_e32 v7, v3, v7
	v_lshrrev_b32_e32 v7, s14, v7
	s_delay_alu instid0(VALU_DEP_1) | instskip(NEXT) | instid1(VALU_DEP_1)
	v_mul_lo_u32 v7, v7, s12
	v_sub_nc_u32_e32 v3, v3, v7
	s_delay_alu instid0(VALU_DEP_1)
	v_mad_u32 v4, v3, s9, v4
	v_mad_u32 v14, v3, s4, v14
	;; [unrolled: 1-line block ×3, first 2 shown]
	s_and_not1_b32 vcc_lo, exec_lo, s8
	s_cbranch_vccz .LBB23_1658
	s_branch .LBB23_1661
.LBB23_1656:
	s_mov_b32 s8, -1
                                        ; implicit-def: $vgpr18
                                        ; implicit-def: $vgpr14
                                        ; implicit-def: $vgpr4
.LBB23_1657:
	s_delay_alu instid0(SALU_CYCLE_1)
	s_and_not1_b32 vcc_lo, exec_lo, s8
	s_cbranch_vccnz .LBB23_1661
.LBB23_1658:
	s_clause 0x2
	s_load_b96 s[8:10], s[2:3], 0x4
	s_load_b32 s4, s[2:3], 0xc4
	s_load_b64 s[0:1], s[2:3], 0xcc
	s_cmp_lt_u32 s15, 2
	s_wait_kmcnt 0x0
	v_mul_hi_u32 v3, s9, v2
	s_delay_alu instid0(VALU_DEP_1) | instskip(NEXT) | instid1(VALU_DEP_1)
	v_add_nc_u32_e32 v3, v2, v3
	v_lshrrev_b32_e32 v3, s10, v3
	s_delay_alu instid0(VALU_DEP_1) | instskip(NEXT) | instid1(VALU_DEP_1)
	v_mul_lo_u32 v4, v3, s8
	v_sub_nc_u32_e32 v2, v2, v4
	s_delay_alu instid0(VALU_DEP_1)
	v_mul_lo_u32 v4, v2, s4
	v_mul_lo_u32 v18, v2, s1
	;; [unrolled: 1-line block ×3, first 2 shown]
	s_cbranch_scc1 .LBB23_1661
; %bb.1659:
	s_clause 0x2
	s_load_b96 s[8:10], s[2:3], 0x10
	s_load_b32 s4, s[2:3], 0xd4
	s_load_b64 s[0:1], s[2:3], 0xdc
	s_wait_kmcnt 0x0
	v_mul_hi_u32 v2, s9, v3
	s_delay_alu instid0(VALU_DEP_1) | instskip(NEXT) | instid1(VALU_DEP_1)
	v_add_nc_u32_e32 v2, v3, v2
	v_lshrrev_b32_e32 v2, s10, v2
	s_delay_alu instid0(VALU_DEP_1) | instskip(NEXT) | instid1(VALU_DEP_1)
	v_mul_lo_u32 v2, v2, s8
	v_sub_nc_u32_e32 v2, v3, v2
	s_delay_alu instid0(VALU_DEP_1)
	v_mad_u32 v4, v2, s4, v4
	v_mad_u32 v14, v2, s0, v14
	;; [unrolled: 1-line block ×3, first 2 shown]
	s_branch .LBB23_1661
.LBB23_1660:
	v_dual_mov_b32 v18, 0 :: v_dual_mov_b32 v14, 0
	v_mov_b32_e32 v4, 0
	s_and_not1_b32 vcc_lo, exec_lo, s8
	s_cbranch_vccz .LBB23_1658
.LBB23_1661:
	v_cmp_ne_u32_e32 vcc_lo, 1, v1
	v_add_nc_u32_e32 v0, 0x100, v0
	s_cbranch_vccnz .LBB23_1667
; %bb.1662:
	s_cmp_lg_u32 s15, 0
	s_mov_b32 s8, 0
	s_cbranch_scc0 .LBB23_1671
; %bb.1663:
	s_min_u32 s9, s33, 15
	v_dual_mov_b32 v2, 0 :: v_dual_mov_b32 v3, v0
	v_dual_mov_b32 v22, 0 :: v_dual_mov_b32 v20, 0
	s_add_co_i32 s4, s9, 1
	s_mov_b64 s[0:1], 0xffffffffffffffe0
	s_and_b32 s10, s4, 30
	s_add_nc_u64 s[0:1], s[2:3], s[0:1]
	s_mov_b64 s[4:5], s[2:3]
.LBB23_1664:                            ; =>This Inner Loop Header: Depth=1
	s_clause 0x1
	s_load_b128 s[16:19], s[4:5], 0x4
	s_load_b64 s[20:21], s[4:5], 0x14
	s_clause 0x1
	s_load_b32 s11, s[0:1], 0xe4
	s_load_b96 s[12:14], s[0:1], 0xec
	s_add_co_i32 s10, s10, -2
	s_wait_xcnt 0x0
	s_add_nc_u64 s[4:5], s[4:5], 24
	s_cmp_lg_u32 s10, 0
	s_wait_kmcnt 0x0
	v_mul_hi_u32 v7, s17, v3
	s_delay_alu instid0(VALU_DEP_1) | instskip(NEXT) | instid1(VALU_DEP_1)
	v_add_nc_u32_e32 v7, v3, v7
	v_lshrrev_b32_e32 v7, s18, v7
	s_delay_alu instid0(VALU_DEP_1) | instskip(SKIP_4) | instid1(VALU_DEP_2)
	v_mul_hi_u32 v9, s20, v7
	v_mul_lo_u32 v10, v7, s16
	s_load_b64 s[16:17], s[0:1], 0xfc
	s_wait_xcnt 0x0
	s_add_nc_u64 s[0:1], s[0:1], 32
	v_add_nc_u32_e32 v9, v7, v9
	s_delay_alu instid0(VALU_DEP_1) | instskip(NEXT) | instid1(VALU_DEP_1)
	v_dual_sub_nc_u32 v10, v3, v10 :: v_dual_lshrrev_b32 v3, s21, v9
	v_mad_u32 v2, v10, s11, v2
	v_mad_u32 v11, v10, s13, v20
	;; [unrolled: 1-line block ×3, first 2 shown]
	s_delay_alu instid0(VALU_DEP_4) | instskip(NEXT) | instid1(VALU_DEP_1)
	v_mul_lo_u32 v9, v3, s19
	v_sub_nc_u32_e32 v7, v7, v9
	s_delay_alu instid0(VALU_DEP_1)
	v_mad_u32 v2, v7, s14, v2
	s_wait_kmcnt 0x0
	v_mad_u32 v20, v7, s17, v11
	v_mad_u32 v22, v7, s16, v10
	s_cbranch_scc1 .LBB23_1664
; %bb.1665:
	s_bitcmp1_b32 s9, 0
	s_cselect_b32 s9, -1, 0
	s_delay_alu instid0(SALU_CYCLE_1)
	s_and_b32 vcc_lo, exec_lo, s9
	s_cbranch_vccnz .LBB23_1668
; %bb.1666:
	s_load_b96 s[12:14], s[4:5], 0x4
	s_load_b32 s9, s[0:1], 0xe4
	s_wait_xcnt 0x0
	s_load_b64 s[4:5], s[0:1], 0xec
	s_wait_kmcnt 0x0
	v_mul_hi_u32 v7, s13, v3
	s_delay_alu instid0(VALU_DEP_1) | instskip(NEXT) | instid1(VALU_DEP_1)
	v_add_nc_u32_e32 v7, v3, v7
	v_lshrrev_b32_e32 v7, s14, v7
	s_delay_alu instid0(VALU_DEP_1) | instskip(NEXT) | instid1(VALU_DEP_1)
	v_mul_lo_u32 v7, v7, s12
	v_sub_nc_u32_e32 v3, v3, v7
	s_delay_alu instid0(VALU_DEP_1)
	v_mad_u32 v2, v3, s9, v2
	v_mad_u32 v22, v3, s4, v22
	;; [unrolled: 1-line block ×3, first 2 shown]
	s_and_not1_b32 vcc_lo, exec_lo, s8
	s_cbranch_vccz .LBB23_1669
	s_branch .LBB23_1672
.LBB23_1667:
	s_mov_b32 s8, -1
                                        ; implicit-def: $vgpr20
                                        ; implicit-def: $vgpr22
                                        ; implicit-def: $vgpr2
.LBB23_1668:
	s_delay_alu instid0(SALU_CYCLE_1)
	s_and_not1_b32 vcc_lo, exec_lo, s8
	s_cbranch_vccnz .LBB23_1672
.LBB23_1669:
	s_clause 0x2
	s_load_b96 s[8:10], s[2:3], 0x4
	s_load_b32 s4, s[2:3], 0xc4
	s_load_b64 s[0:1], s[2:3], 0xcc
	s_cmp_lt_u32 s15, 2
	s_wait_kmcnt 0x0
	v_mul_hi_u32 v2, s9, v0
	s_delay_alu instid0(VALU_DEP_1) | instskip(NEXT) | instid1(VALU_DEP_1)
	v_add_nc_u32_e32 v2, v0, v2
	v_lshrrev_b32_e32 v3, s10, v2
	s_delay_alu instid0(VALU_DEP_1) | instskip(NEXT) | instid1(VALU_DEP_1)
	v_mul_lo_u32 v2, v3, s8
	v_sub_nc_u32_e32 v0, v0, v2
	s_delay_alu instid0(VALU_DEP_1)
	v_mul_lo_u32 v2, v0, s4
	v_mul_lo_u32 v20, v0, s1
	;; [unrolled: 1-line block ×3, first 2 shown]
	s_cbranch_scc1 .LBB23_1672
; %bb.1670:
	s_clause 0x2
	s_load_b96 s[8:10], s[2:3], 0x10
	s_load_b32 s4, s[2:3], 0xd4
	s_load_b64 s[0:1], s[2:3], 0xdc
	s_wait_kmcnt 0x0
	v_mul_hi_u32 v0, s9, v3
	s_delay_alu instid0(VALU_DEP_1) | instskip(NEXT) | instid1(VALU_DEP_1)
	v_add_nc_u32_e32 v0, v3, v0
	v_lshrrev_b32_e32 v0, s10, v0
	s_delay_alu instid0(VALU_DEP_1) | instskip(NEXT) | instid1(VALU_DEP_1)
	v_mul_lo_u32 v0, v0, s8
	v_sub_nc_u32_e32 v0, v3, v0
	s_delay_alu instid0(VALU_DEP_1)
	v_mad_u32 v2, v0, s4, v2
	v_mad_u32 v22, v0, s0, v22
	;; [unrolled: 1-line block ×3, first 2 shown]
	s_branch .LBB23_1672
.LBB23_1671:
	v_dual_mov_b32 v20, 0 :: v_dual_mov_b32 v22, 0
	v_mov_b32_e32 v2, 0
	s_and_not1_b32 vcc_lo, exec_lo, s8
	s_cbranch_vccz .LBB23_1669
.LBB23_1672:
	v_cmp_ne_u32_e32 vcc_lo, 1, v1
	s_cbranch_vccnz .LBB23_1678
; %bb.1673:
	s_cmp_lg_u32 s15, 0
	s_mov_b32 s8, 0
	s_cbranch_scc0 .LBB23_1682
; %bb.1674:
	s_min_u32 s9, s33, 15
	v_dual_mov_b32 v0, 0 :: v_dual_mov_b32 v1, v5
	v_dual_mov_b32 v16, 0 :: v_dual_mov_b32 v10, 0
	s_add_co_i32 s4, s9, 1
	s_mov_b64 s[0:1], 0xffffffffffffffe0
	s_and_b32 s10, s4, 30
	s_add_nc_u64 s[0:1], s[2:3], s[0:1]
	s_mov_b64 s[4:5], s[2:3]
.LBB23_1675:                            ; =>This Inner Loop Header: Depth=1
	s_clause 0x1
	s_load_b128 s[16:19], s[4:5], 0x4
	s_load_b64 s[20:21], s[4:5], 0x14
	s_clause 0x1
	s_load_b32 s11, s[0:1], 0xe4
	s_load_b96 s[12:14], s[0:1], 0xec
	s_add_co_i32 s10, s10, -2
	s_wait_xcnt 0x0
	s_add_nc_u64 s[4:5], s[4:5], 24
	s_cmp_lg_u32 s10, 0
	s_wait_kmcnt 0x0
	v_mul_hi_u32 v3, s17, v1
	s_delay_alu instid0(VALU_DEP_1) | instskip(NEXT) | instid1(VALU_DEP_1)
	v_add_nc_u32_e32 v3, v1, v3
	v_lshrrev_b32_e32 v3, s18, v3
	s_delay_alu instid0(VALU_DEP_1) | instskip(SKIP_4) | instid1(VALU_DEP_1)
	v_mul_hi_u32 v7, s20, v3
	v_mul_lo_u32 v9, v3, s16
	s_load_b64 s[16:17], s[0:1], 0xfc
	s_wait_xcnt 0x0
	s_add_nc_u64 s[0:1], s[0:1], 32
	v_dual_add_nc_u32 v7, v3, v7 :: v_dual_sub_nc_u32 v9, v1, v9
	s_delay_alu instid0(VALU_DEP_1) | instskip(NEXT) | instid1(VALU_DEP_2)
	v_lshrrev_b32_e32 v1, s21, v7
	v_mad_u32 v0, v9, s11, v0
	v_mad_u32 v10, v9, s13, v10
	;; [unrolled: 1-line block ×3, first 2 shown]
	s_delay_alu instid0(VALU_DEP_4) | instskip(NEXT) | instid1(VALU_DEP_1)
	v_mul_lo_u32 v7, v1, s19
	v_sub_nc_u32_e32 v3, v3, v7
	s_delay_alu instid0(VALU_DEP_1)
	v_mad_u32 v0, v3, s14, v0
	s_wait_kmcnt 0x0
	v_mad_u32 v10, v3, s17, v10
	v_mad_u32 v16, v3, s16, v9
	s_cbranch_scc1 .LBB23_1675
; %bb.1676:
	s_bitcmp1_b32 s9, 0
	s_cselect_b32 s9, -1, 0
	s_delay_alu instid0(SALU_CYCLE_1)
	s_and_b32 vcc_lo, exec_lo, s9
	s_cbranch_vccnz .LBB23_1679
; %bb.1677:
	s_load_b96 s[12:14], s[4:5], 0x4
	s_load_b32 s9, s[0:1], 0xe4
	s_wait_xcnt 0x0
	s_load_b64 s[4:5], s[0:1], 0xec
	s_wait_kmcnt 0x0
	v_mul_hi_u32 v3, s13, v1
	s_delay_alu instid0(VALU_DEP_1) | instskip(NEXT) | instid1(VALU_DEP_1)
	v_add_nc_u32_e32 v3, v1, v3
	v_lshrrev_b32_e32 v3, s14, v3
	s_delay_alu instid0(VALU_DEP_1) | instskip(NEXT) | instid1(VALU_DEP_1)
	v_mul_lo_u32 v3, v3, s12
	v_sub_nc_u32_e32 v1, v1, v3
	s_delay_alu instid0(VALU_DEP_1)
	v_mad_u32 v0, v1, s9, v0
	v_mad_u32 v16, v1, s4, v16
	;; [unrolled: 1-line block ×3, first 2 shown]
	s_and_not1_b32 vcc_lo, exec_lo, s8
	s_cbranch_vccz .LBB23_1680
	s_branch .LBB23_1683
.LBB23_1678:
	s_mov_b32 s8, -1
                                        ; implicit-def: $vgpr10
                                        ; implicit-def: $vgpr16
                                        ; implicit-def: $vgpr0
.LBB23_1679:
	s_delay_alu instid0(SALU_CYCLE_1)
	s_and_not1_b32 vcc_lo, exec_lo, s8
	s_cbranch_vccnz .LBB23_1683
.LBB23_1680:
	s_clause 0x2
	s_load_b96 s[8:10], s[2:3], 0x4
	s_load_b32 s4, s[2:3], 0xc4
	s_load_b64 s[0:1], s[2:3], 0xcc
	s_cmp_lt_u32 s15, 2
	s_wait_kmcnt 0x0
	v_mul_hi_u32 v0, s9, v5
	s_delay_alu instid0(VALU_DEP_1) | instskip(NEXT) | instid1(VALU_DEP_1)
	v_add_nc_u32_e32 v0, v5, v0
	v_lshrrev_b32_e32 v1, s10, v0
	s_delay_alu instid0(VALU_DEP_1) | instskip(NEXT) | instid1(VALU_DEP_1)
	v_mul_lo_u32 v0, v1, s8
	v_sub_nc_u32_e32 v3, v5, v0
	s_delay_alu instid0(VALU_DEP_1)
	v_mul_lo_u32 v0, v3, s4
	v_mul_lo_u32 v10, v3, s1
	;; [unrolled: 1-line block ×3, first 2 shown]
	s_cbranch_scc1 .LBB23_1683
; %bb.1681:
	s_clause 0x2
	s_load_b96 s[8:10], s[2:3], 0x10
	s_load_b32 s4, s[2:3], 0xd4
	s_load_b64 s[0:1], s[2:3], 0xdc
	s_wait_kmcnt 0x0
	v_mul_hi_u32 v3, s9, v1
	s_delay_alu instid0(VALU_DEP_1) | instskip(NEXT) | instid1(VALU_DEP_1)
	v_add_nc_u32_e32 v3, v1, v3
	v_lshrrev_b32_e32 v3, s10, v3
	s_delay_alu instid0(VALU_DEP_1) | instskip(NEXT) | instid1(VALU_DEP_1)
	v_mul_lo_u32 v3, v3, s8
	v_sub_nc_u32_e32 v1, v1, v3
	s_delay_alu instid0(VALU_DEP_1)
	v_mad_u32 v0, v1, s4, v0
	v_mad_u32 v16, v1, s0, v16
	;; [unrolled: 1-line block ×3, first 2 shown]
	s_branch .LBB23_1683
.LBB23_1682:
	v_dual_mov_b32 v10, 0 :: v_dual_mov_b32 v16, 0
	v_mov_b32_e32 v0, 0
	s_and_not1_b32 vcc_lo, exec_lo, s8
	s_cbranch_vccz .LBB23_1680
.LBB23_1683:
	v_mov_b32_e32 v1, 0
	global_load_u8 v1, v1, s[2:3] offset:490
	s_wait_loadcnt 0x0
	v_and_b32_e32 v3, 0xffff, v1
	v_readfirstlane_b32 s9, v1
	s_delay_alu instid0(VALU_DEP_2)
	v_cmp_gt_i32_e32 vcc_lo, 23, v3
	s_cbranch_vccnz .LBB23_1687
; %bb.1684:
	s_and_b32 s4, 0xffff, s9
	s_delay_alu instid0(SALU_CYCLE_1)
	s_cmp_gt_i32 s4, 43
	s_cbranch_scc0 .LBB23_1688
; %bb.1685:
	s_cmp_gt_i32 s4, 45
	s_cbranch_scc0 .LBB23_1689
; %bb.1686:
	s_cmp_lg_u32 s4, 46
	s_mov_b32 s0, -1
	s_cselect_b32 s1, -1, 0
	s_cbranch_execz .LBB23_1690
	s_branch .LBB23_1691
.LBB23_1687:
	s_mov_b32 s0, 0
	s_mov_b32 s1, 0
	s_cbranch_execnz .LBB23_1694
	s_branch .LBB23_1698
.LBB23_1688:
	s_mov_b32 s0, 0
	s_mov_b32 s1, 0
	s_cbranch_execnz .LBB23_1692
	s_branch .LBB23_1693
.LBB23_1689:
	s_mov_b32 s0, 0
	s_mov_b32 s1, 0
.LBB23_1690:
	s_cmp_eq_u32 s4, 44
	s_cselect_b32 s0, -1, 0
	s_cmp_lg_u32 s4, 44
	s_cselect_b32 s1, -1, 0
.LBB23_1691:
	s_branch .LBB23_1693
.LBB23_1692:
	s_cmp_lt_i32 s4, 30
	s_cselect_b32 s0, -1, 0
	s_cmp_gt_i32 s4, 29
	s_cselect_b32 s1, -1, 0
.LBB23_1693:
	s_branch .LBB23_1698
.LBB23_1694:
	s_and_b32 s4, 0xffff, s9
	s_mov_b32 s5, -1
	s_cmp_gt_i32 s4, 14
	s_cbranch_scc0 .LBB23_1696
; %bb.1695:
	s_cmp_eq_u32 s4, 15
	s_mov_b32 s5, 0
	s_cselect_b32 s0, -1, 0
	s_cmp_lg_u32 s4, 15
	s_cselect_b32 s1, -1, 0
.LBB23_1696:
	s_and_not1_b32 vcc_lo, exec_lo, s5
	s_cbranch_vccnz .LBB23_1698
; %bb.1697:
	s_cmp_lt_i32 s4, 12
	s_cselect_b32 s0, -1, 0
	s_cmp_gt_i32 s4, 11
	s_cselect_b32 s1, -1, 0
.LBB23_1698:
	s_delay_alu instid0(SALU_CYCLE_1)
	s_and_b32 vcc_lo, exec_lo, s1
	s_mov_b32 s8, s6
	s_cbranch_vccnz .LBB23_1711
; %bb.1699:
	s_and_not1_b32 vcc_lo, exec_lo, s0
	s_cbranch_vccnz .LBB23_3216
.LBB23_1700:
	v_mov_b32_e32 v9, 0
	s_load_b64 s[0:1], s[2:3], 0x1d8
	global_load_u8 v1, v9, s[2:3] offset:491
	s_wait_kmcnt 0x0
	v_add_nc_u64_e32 v[24:25], s[0:1], v[8:9]
	s_wait_loadcnt 0x0
	v_and_b32_e32 v3, 0xffff, v1
	v_readfirstlane_b32 s10, v1
	s_delay_alu instid0(VALU_DEP_2)
	v_cmp_gt_i32_e32 vcc_lo, 11, v3
	s_cbranch_vccnz .LBB23_1707
; %bb.1701:
	s_and_b32 s4, 0xffff, s10
	s_mov_b32 s11, 0
	s_cmp_gt_i32 s4, 25
	s_cbranch_scc0 .LBB23_1709
; %bb.1702:
	s_cmp_gt_i32 s4, 28
	s_cbranch_scc0 .LBB23_1710
; %bb.1703:
	;; [unrolled: 3-line block ×4, first 2 shown]
	s_cmp_eq_u32 s4, 46
	s_mov_b32 s13, 0
	s_cbranch_scc0 .LBB23_1718
; %bb.1706:
	global_load_b32 v1, v[24:25], off
	s_mov_b32 s5, 0
	s_mov_b32 s12, -1
	s_wait_loadcnt 0x0
	v_lshlrev_b32_e32 v1, 16, v1
	s_delay_alu instid0(VALU_DEP_1) | instskip(NEXT) | instid1(VALU_DEP_1)
	v_trunc_f32_e32 v1, v1
	v_mul_f32_e64 v3, 0x2f800000, |v1|
	s_delay_alu instid0(VALU_DEP_1) | instskip(NEXT) | instid1(VALU_DEP_1)
	v_floor_f32_e32 v3, v3
	v_fma_f32 v3, 0xcf800000, v3, |v1|
	v_ashrrev_i32_e32 v1, 31, v1
	s_delay_alu instid0(VALU_DEP_2) | instskip(NEXT) | instid1(VALU_DEP_1)
	v_cvt_u32_f32_e32 v3, v3
	v_xor_b32_e32 v3, v3, v1
	s_delay_alu instid0(VALU_DEP_1)
	v_sub_nc_u32_e32 v8, v3, v1
	s_branch .LBB23_1720
.LBB23_1707:
	s_mov_b32 s12, 0
                                        ; implicit-def: $vgpr8
	s_cbranch_execnz .LBB23_1781
.LBB23_1708:
	s_and_not1_b32 vcc_lo, exec_lo, s12
	s_cbranch_vccz .LBB23_1828
	s_branch .LBB23_3216
.LBB23_1709:
	s_mov_b32 s12, 0
	s_mov_b32 s5, 0
                                        ; implicit-def: $vgpr8
	s_cbranch_execnz .LBB23_1747
	s_branch .LBB23_1777
.LBB23_1710:
	s_mov_b32 s13, -1
	s_mov_b32 s12, 0
	s_mov_b32 s5, 0
                                        ; implicit-def: $vgpr8
	s_branch .LBB23_1730
.LBB23_1711:
	s_or_b32 s8, s6, exec_lo
	s_trap 2
	s_cbranch_execz .LBB23_1700
	s_branch .LBB23_3216
.LBB23_1712:
	s_mov_b32 s13, -1
	s_mov_b32 s12, 0
	s_mov_b32 s5, 0
                                        ; implicit-def: $vgpr8
	s_branch .LBB23_1725
.LBB23_1713:
	s_and_not1_saveexec_b32 s9, s9
	s_cbranch_execz .LBB23_1551
.LBB23_1714:
	v_add_f32_e32 v0, 0x46000000, v2
	s_and_not1_b32 s8, s8, exec_lo
	s_delay_alu instid0(VALU_DEP_1) | instskip(NEXT) | instid1(VALU_DEP_1)
	v_and_b32_e32 v0, 0xff, v0
	v_cmp_ne_u32_e32 vcc_lo, 0, v0
	s_and_b32 s10, vcc_lo, exec_lo
	s_delay_alu instid0(SALU_CYCLE_1)
	s_or_b32 s8, s8, s10
	s_or_b32 exec_lo, exec_lo, s9
	v_mov_b32_e32 v3, 0
	s_and_saveexec_b32 s9, s8
	s_cbranch_execnz .LBB23_1552
	s_branch .LBB23_1553
.LBB23_1715:
	s_mov_b32 s13, -1
	s_mov_b32 s12, 0
	s_mov_b32 s5, 0
	s_branch .LBB23_1719
.LBB23_1716:
	s_and_not1_saveexec_b32 s10, s10
	s_cbranch_execz .LBB23_1563
.LBB23_1717:
	v_add_f32_e32 v0, 0x42800000, v2
	s_and_not1_b32 s9, s9, exec_lo
	s_delay_alu instid0(VALU_DEP_1) | instskip(NEXT) | instid1(VALU_DEP_1)
	v_and_b32_e32 v0, 0xff, v0
	v_cmp_ne_u32_e32 vcc_lo, 0, v0
	s_and_b32 s11, vcc_lo, exec_lo
	s_delay_alu instid0(SALU_CYCLE_1)
	s_or_b32 s9, s9, s11
	s_or_b32 exec_lo, exec_lo, s10
	v_mov_b32_e32 v3, 0
	s_and_saveexec_b32 s10, s9
	s_cbranch_execnz .LBB23_1564
	s_branch .LBB23_1565
.LBB23_1718:
	s_mov_b32 s5, -1
	s_mov_b32 s12, 0
.LBB23_1719:
                                        ; implicit-def: $vgpr8
.LBB23_1720:
	s_and_b32 vcc_lo, exec_lo, s13
	s_cbranch_vccz .LBB23_1724
; %bb.1721:
	s_cmp_eq_u32 s4, 44
	s_cbranch_scc0 .LBB23_1723
; %bb.1722:
	global_load_u8 v1, v[24:25], off
	s_mov_b32 s5, 0
	s_mov_b32 s12, -1
	s_wait_loadcnt 0x0
	v_lshlrev_b32_e32 v3, 23, v1
	v_cmp_ne_u32_e32 vcc_lo, 0, v1
	s_delay_alu instid0(VALU_DEP_2) | instskip(NEXT) | instid1(VALU_DEP_1)
	v_trunc_f32_e32 v3, v3
	v_mul_f32_e64 v5, 0x2f800000, |v3|
	s_delay_alu instid0(VALU_DEP_1) | instskip(NEXT) | instid1(VALU_DEP_1)
	v_floor_f32_e32 v5, v5
	v_fma_f32 v5, 0xcf800000, v5, |v3|
	v_ashrrev_i32_e32 v3, 31, v3
	s_delay_alu instid0(VALU_DEP_2) | instskip(NEXT) | instid1(VALU_DEP_1)
	v_cvt_u32_f32_e32 v5, v5
	v_xor_b32_e32 v5, v5, v3
	s_delay_alu instid0(VALU_DEP_1) | instskip(NEXT) | instid1(VALU_DEP_1)
	v_sub_nc_u32_e32 v3, v5, v3
	v_cndmask_b32_e32 v8, 0, v3, vcc_lo
	s_branch .LBB23_1724
.LBB23_1723:
	s_mov_b32 s5, -1
                                        ; implicit-def: $vgpr8
.LBB23_1724:
	s_mov_b32 s13, 0
.LBB23_1725:
	s_delay_alu instid0(SALU_CYCLE_1)
	s_and_b32 vcc_lo, exec_lo, s13
	s_cbranch_vccz .LBB23_1729
; %bb.1726:
	s_cmp_eq_u32 s4, 29
	s_cbranch_scc0 .LBB23_1728
; %bb.1727:
	global_load_b64 v[8:9], v[24:25], off
	s_mov_b32 s5, 0
	s_mov_b32 s12, -1
	s_branch .LBB23_1729
.LBB23_1728:
	s_mov_b32 s5, -1
                                        ; implicit-def: $vgpr8
.LBB23_1729:
	s_mov_b32 s13, 0
.LBB23_1730:
	s_delay_alu instid0(SALU_CYCLE_1)
	s_and_b32 vcc_lo, exec_lo, s13
	s_cbranch_vccz .LBB23_1746
; %bb.1731:
	s_cmp_lt_i32 s4, 27
	s_cbranch_scc1 .LBB23_1734
; %bb.1732:
	s_cmp_gt_i32 s4, 27
	s_cbranch_scc0 .LBB23_1735
; %bb.1733:
	s_wait_loadcnt 0x0
	global_load_b32 v8, v[24:25], off
	s_mov_b32 s12, 0
	s_branch .LBB23_1736
.LBB23_1734:
	s_mov_b32 s12, -1
                                        ; implicit-def: $vgpr8
	s_branch .LBB23_1739
.LBB23_1735:
	s_mov_b32 s12, -1
                                        ; implicit-def: $vgpr8
.LBB23_1736:
	s_delay_alu instid0(SALU_CYCLE_1)
	s_and_not1_b32 vcc_lo, exec_lo, s12
	s_cbranch_vccnz .LBB23_1738
; %bb.1737:
	s_wait_loadcnt 0x0
	global_load_u16 v8, v[24:25], off
.LBB23_1738:
	s_mov_b32 s12, 0
.LBB23_1739:
	s_delay_alu instid0(SALU_CYCLE_1)
	s_and_not1_b32 vcc_lo, exec_lo, s12
	s_cbranch_vccnz .LBB23_1745
; %bb.1740:
	global_load_u8 v1, v[24:25], off
	s_mov_b32 s13, 0
	s_mov_b32 s12, exec_lo
	s_wait_loadcnt 0x0
	v_cmpx_lt_i16_e32 0x7f, v1
	s_xor_b32 s12, exec_lo, s12
	s_cbranch_execz .LBB23_1756
; %bb.1741:
	v_cmp_ne_u16_e32 vcc_lo, 0x80, v1
	s_and_b32 s13, vcc_lo, exec_lo
	s_and_not1_saveexec_b32 s12, s12
	s_cbranch_execnz .LBB23_1757
.LBB23_1742:
	s_or_b32 exec_lo, exec_lo, s12
	v_mov_b32_e32 v8, 0
	s_and_saveexec_b32 s12, s13
	s_cbranch_execz .LBB23_1744
.LBB23_1743:
	v_and_b32_e32 v3, 0xffff, v1
	s_delay_alu instid0(VALU_DEP_1) | instskip(SKIP_1) | instid1(VALU_DEP_2)
	v_dual_lshlrev_b32 v1, 24, v1 :: v_dual_bitop2_b32 v5, 7, v3 bitop3:0x40
	v_bfe_u32 v9, v3, 3, 4
	v_and_b32_e32 v1, 0x80000000, v1
	s_delay_alu instid0(VALU_DEP_3) | instskip(NEXT) | instid1(VALU_DEP_3)
	v_clz_i32_u32_e32 v7, v5
	v_cmp_eq_u32_e32 vcc_lo, 0, v9
	s_delay_alu instid0(VALU_DEP_2) | instskip(NEXT) | instid1(VALU_DEP_1)
	v_min_u32_e32 v7, 32, v7
	v_subrev_nc_u32_e32 v8, 28, v7
	v_sub_nc_u32_e32 v7, 29, v7
	s_delay_alu instid0(VALU_DEP_2) | instskip(NEXT) | instid1(VALU_DEP_2)
	v_lshlrev_b32_e32 v3, v8, v3
	v_cndmask_b32_e32 v7, v9, v7, vcc_lo
	s_delay_alu instid0(VALU_DEP_2) | instskip(NEXT) | instid1(VALU_DEP_1)
	v_and_b32_e32 v3, 7, v3
	v_cndmask_b32_e32 v3, v5, v3, vcc_lo
	s_delay_alu instid0(VALU_DEP_3) | instskip(NEXT) | instid1(VALU_DEP_2)
	v_lshl_add_u32 v5, v7, 23, 0x3b800000
	v_lshlrev_b32_e32 v3, 20, v3
	s_delay_alu instid0(VALU_DEP_1) | instskip(NEXT) | instid1(VALU_DEP_1)
	v_or3_b32 v1, v1, v5, v3
	v_trunc_f32_e32 v1, v1
	s_delay_alu instid0(VALU_DEP_1) | instskip(NEXT) | instid1(VALU_DEP_1)
	v_mul_f32_e64 v3, 0x2f800000, |v1|
	v_floor_f32_e32 v3, v3
	s_delay_alu instid0(VALU_DEP_1) | instskip(SKIP_1) | instid1(VALU_DEP_2)
	v_fma_f32 v3, 0xcf800000, v3, |v1|
	v_ashrrev_i32_e32 v1, 31, v1
	v_cvt_u32_f32_e32 v3, v3
	s_delay_alu instid0(VALU_DEP_1) | instskip(NEXT) | instid1(VALU_DEP_1)
	v_xor_b32_e32 v3, v3, v1
	v_sub_nc_u32_e32 v8, v3, v1
.LBB23_1744:
	s_or_b32 exec_lo, exec_lo, s12
.LBB23_1745:
	s_mov_b32 s12, -1
.LBB23_1746:
	s_branch .LBB23_1777
.LBB23_1747:
	s_cmp_gt_i32 s4, 22
	s_cbranch_scc0 .LBB23_1755
; %bb.1748:
	s_cmp_lt_i32 s4, 24
	s_cbranch_scc1 .LBB23_1758
; %bb.1749:
	s_cmp_gt_i32 s4, 24
	s_cbranch_scc0 .LBB23_1759
; %bb.1750:
	global_load_u8 v1, v[24:25], off
	s_mov_b32 s12, 0
	s_mov_b32 s11, exec_lo
	s_wait_loadcnt 0x0
	v_cmpx_lt_i16_e32 0x7f, v1
	s_xor_b32 s11, exec_lo, s11
	s_cbranch_execz .LBB23_1771
; %bb.1751:
	v_cmp_ne_u16_e32 vcc_lo, 0x80, v1
	s_and_b32 s12, vcc_lo, exec_lo
	s_and_not1_saveexec_b32 s11, s11
	s_cbranch_execnz .LBB23_1772
.LBB23_1752:
	s_or_b32 exec_lo, exec_lo, s11
	v_mov_b32_e32 v8, 0
	s_and_saveexec_b32 s11, s12
	s_cbranch_execz .LBB23_1754
.LBB23_1753:
	v_and_b32_e32 v3, 0xffff, v1
	s_delay_alu instid0(VALU_DEP_1) | instskip(SKIP_1) | instid1(VALU_DEP_2)
	v_dual_lshlrev_b32 v1, 24, v1 :: v_dual_bitop2_b32 v5, 3, v3 bitop3:0x40
	v_bfe_u32 v9, v3, 2, 5
	v_and_b32_e32 v1, 0x80000000, v1
	s_delay_alu instid0(VALU_DEP_3) | instskip(NEXT) | instid1(VALU_DEP_3)
	v_clz_i32_u32_e32 v7, v5
	v_cmp_eq_u32_e32 vcc_lo, 0, v9
	s_delay_alu instid0(VALU_DEP_2) | instskip(NEXT) | instid1(VALU_DEP_1)
	v_min_u32_e32 v7, 32, v7
	v_subrev_nc_u32_e32 v8, 29, v7
	v_sub_nc_u32_e32 v7, 30, v7
	s_delay_alu instid0(VALU_DEP_2) | instskip(NEXT) | instid1(VALU_DEP_2)
	v_lshlrev_b32_e32 v3, v8, v3
	v_cndmask_b32_e32 v7, v9, v7, vcc_lo
	s_delay_alu instid0(VALU_DEP_2) | instskip(NEXT) | instid1(VALU_DEP_1)
	v_and_b32_e32 v3, 3, v3
	v_cndmask_b32_e32 v3, v5, v3, vcc_lo
	s_delay_alu instid0(VALU_DEP_3) | instskip(NEXT) | instid1(VALU_DEP_2)
	v_lshl_add_u32 v5, v7, 23, 0x37800000
	v_lshlrev_b32_e32 v3, 21, v3
	s_delay_alu instid0(VALU_DEP_1) | instskip(NEXT) | instid1(VALU_DEP_1)
	v_or3_b32 v1, v1, v5, v3
	v_trunc_f32_e32 v1, v1
	s_delay_alu instid0(VALU_DEP_1) | instskip(NEXT) | instid1(VALU_DEP_1)
	v_mul_f32_e64 v3, 0x2f800000, |v1|
	v_floor_f32_e32 v3, v3
	s_delay_alu instid0(VALU_DEP_1) | instskip(SKIP_1) | instid1(VALU_DEP_2)
	v_fma_f32 v3, 0xcf800000, v3, |v1|
	v_ashrrev_i32_e32 v1, 31, v1
	v_cvt_u32_f32_e32 v3, v3
	s_delay_alu instid0(VALU_DEP_1) | instskip(NEXT) | instid1(VALU_DEP_1)
	v_xor_b32_e32 v3, v3, v1
	v_sub_nc_u32_e32 v8, v3, v1
.LBB23_1754:
	s_or_b32 exec_lo, exec_lo, s11
	s_mov_b32 s11, 0
	s_branch .LBB23_1760
.LBB23_1755:
	s_mov_b32 s11, -1
                                        ; implicit-def: $vgpr8
	s_branch .LBB23_1766
.LBB23_1756:
	s_and_not1_saveexec_b32 s12, s12
	s_cbranch_execz .LBB23_1742
.LBB23_1757:
	v_cmp_ne_u16_e32 vcc_lo, 0, v1
	s_and_not1_b32 s13, s13, exec_lo
	s_and_b32 s14, vcc_lo, exec_lo
	s_delay_alu instid0(SALU_CYCLE_1)
	s_or_b32 s13, s13, s14
	s_or_b32 exec_lo, exec_lo, s12
	v_mov_b32_e32 v8, 0
	s_and_saveexec_b32 s12, s13
	s_cbranch_execnz .LBB23_1743
	s_branch .LBB23_1744
.LBB23_1758:
	s_mov_b32 s11, -1
                                        ; implicit-def: $vgpr8
	s_branch .LBB23_1763
.LBB23_1759:
	s_mov_b32 s11, -1
                                        ; implicit-def: $vgpr8
.LBB23_1760:
	s_delay_alu instid0(SALU_CYCLE_1)
	s_and_b32 vcc_lo, exec_lo, s11
	s_cbranch_vccz .LBB23_1762
; %bb.1761:
	global_load_u8 v1, v[24:25], off
	s_wait_loadcnt 0x0
	v_lshlrev_b32_e32 v1, 24, v1
	s_delay_alu instid0(VALU_DEP_1) | instskip(NEXT) | instid1(VALU_DEP_1)
	v_and_b32_e32 v3, 0x7f000000, v1
	v_clz_i32_u32_e32 v5, v3
	v_cmp_ne_u32_e32 vcc_lo, 0, v3
	v_add_nc_u32_e32 v8, 0x1000000, v3
	s_delay_alu instid0(VALU_DEP_3) | instskip(NEXT) | instid1(VALU_DEP_1)
	v_min_u32_e32 v5, 32, v5
	v_sub_nc_u32_e64 v5, v5, 4 clamp
	s_delay_alu instid0(VALU_DEP_1) | instskip(NEXT) | instid1(VALU_DEP_1)
	v_dual_lshlrev_b32 v7, v5, v3 :: v_dual_lshlrev_b32 v5, 23, v5
	v_lshrrev_b32_e32 v7, 4, v7
	s_delay_alu instid0(VALU_DEP_1) | instskip(NEXT) | instid1(VALU_DEP_1)
	v_dual_sub_nc_u32 v5, v7, v5 :: v_dual_ashrrev_i32 v7, 8, v8
	v_add_nc_u32_e32 v5, 0x3c000000, v5
	s_delay_alu instid0(VALU_DEP_1) | instskip(NEXT) | instid1(VALU_DEP_1)
	v_and_or_b32 v5, 0x7f800000, v7, v5
	v_cndmask_b32_e32 v3, 0, v5, vcc_lo
	s_delay_alu instid0(VALU_DEP_1) | instskip(NEXT) | instid1(VALU_DEP_1)
	v_and_or_b32 v1, 0x80000000, v1, v3
	v_trunc_f32_e32 v1, v1
	s_delay_alu instid0(VALU_DEP_1) | instskip(NEXT) | instid1(VALU_DEP_1)
	v_mul_f32_e64 v3, 0x2f800000, |v1|
	v_floor_f32_e32 v3, v3
	s_delay_alu instid0(VALU_DEP_1) | instskip(SKIP_1) | instid1(VALU_DEP_2)
	v_fma_f32 v3, 0xcf800000, v3, |v1|
	v_ashrrev_i32_e32 v1, 31, v1
	v_cvt_u32_f32_e32 v3, v3
	s_delay_alu instid0(VALU_DEP_1) | instskip(NEXT) | instid1(VALU_DEP_1)
	v_xor_b32_e32 v3, v3, v1
	v_sub_nc_u32_e32 v8, v3, v1
.LBB23_1762:
	s_mov_b32 s11, 0
.LBB23_1763:
	s_delay_alu instid0(SALU_CYCLE_1)
	s_and_not1_b32 vcc_lo, exec_lo, s11
	s_cbranch_vccnz .LBB23_1765
; %bb.1764:
	global_load_u8 v1, v[24:25], off
	s_wait_loadcnt 0x0
	v_lshlrev_b32_e32 v3, 25, v1
	v_lshlrev_b16 v1, 8, v1
	s_delay_alu instid0(VALU_DEP_1) | instskip(SKIP_1) | instid1(VALU_DEP_2)
	v_and_or_b32 v7, 0x7f00, v1, 0.5
	v_bfe_i32 v1, v1, 0, 16
	v_add_f32_e32 v7, -0.5, v7
	v_lshrrev_b32_e32 v5, 4, v3
	v_cmp_gt_u32_e32 vcc_lo, 0x8000000, v3
	s_delay_alu instid0(VALU_DEP_2) | instskip(NEXT) | instid1(VALU_DEP_1)
	v_or_b32_e32 v5, 0x70000000, v5
	v_mul_f32_e32 v5, 0x7800000, v5
	s_delay_alu instid0(VALU_DEP_1) | instskip(NEXT) | instid1(VALU_DEP_1)
	v_cndmask_b32_e32 v3, v5, v7, vcc_lo
	v_and_or_b32 v1, 0x80000000, v1, v3
	s_delay_alu instid0(VALU_DEP_1) | instskip(NEXT) | instid1(VALU_DEP_1)
	v_trunc_f32_e32 v1, v1
	v_mul_f32_e64 v3, 0x2f800000, |v1|
	s_delay_alu instid0(VALU_DEP_1) | instskip(NEXT) | instid1(VALU_DEP_1)
	v_floor_f32_e32 v3, v3
	v_fma_f32 v3, 0xcf800000, v3, |v1|
	v_ashrrev_i32_e32 v1, 31, v1
	s_delay_alu instid0(VALU_DEP_2) | instskip(NEXT) | instid1(VALU_DEP_1)
	v_cvt_u32_f32_e32 v3, v3
	v_xor_b32_e32 v3, v3, v1
	s_delay_alu instid0(VALU_DEP_1)
	v_sub_nc_u32_e32 v8, v3, v1
.LBB23_1765:
	s_mov_b32 s11, 0
	s_mov_b32 s12, -1
.LBB23_1766:
	s_and_not1_b32 vcc_lo, exec_lo, s11
	s_mov_b32 s11, 0
	s_cbranch_vccnz .LBB23_1777
; %bb.1767:
	s_cmp_gt_i32 s4, 14
	s_cbranch_scc0 .LBB23_1770
; %bb.1768:
	s_cmp_eq_u32 s4, 15
	s_cbranch_scc0 .LBB23_1773
; %bb.1769:
	global_load_u16 v1, v[24:25], off
	s_mov_b32 s5, 0
	s_mov_b32 s12, -1
	s_wait_loadcnt 0x0
	v_lshlrev_b32_e32 v1, 16, v1
	s_delay_alu instid0(VALU_DEP_1) | instskip(NEXT) | instid1(VALU_DEP_1)
	v_trunc_f32_e32 v1, v1
	v_mul_f32_e64 v3, 0x2f800000, |v1|
	s_delay_alu instid0(VALU_DEP_1) | instskip(NEXT) | instid1(VALU_DEP_1)
	v_floor_f32_e32 v3, v3
	v_fma_f32 v3, 0xcf800000, v3, |v1|
	v_ashrrev_i32_e32 v1, 31, v1
	s_delay_alu instid0(VALU_DEP_2) | instskip(NEXT) | instid1(VALU_DEP_1)
	v_cvt_u32_f32_e32 v3, v3
	v_xor_b32_e32 v3, v3, v1
	s_delay_alu instid0(VALU_DEP_1)
	v_sub_nc_u32_e32 v8, v3, v1
	s_branch .LBB23_1775
.LBB23_1770:
	s_mov_b32 s11, -1
	s_branch .LBB23_1774
.LBB23_1771:
	s_and_not1_saveexec_b32 s11, s11
	s_cbranch_execz .LBB23_1752
.LBB23_1772:
	v_cmp_ne_u16_e32 vcc_lo, 0, v1
	s_and_not1_b32 s12, s12, exec_lo
	s_and_b32 s13, vcc_lo, exec_lo
	s_delay_alu instid0(SALU_CYCLE_1)
	s_or_b32 s12, s12, s13
	s_or_b32 exec_lo, exec_lo, s11
	v_mov_b32_e32 v8, 0
	s_and_saveexec_b32 s11, s12
	s_cbranch_execnz .LBB23_1753
	s_branch .LBB23_1754
.LBB23_1773:
	s_mov_b32 s5, -1
.LBB23_1774:
                                        ; implicit-def: $vgpr8
.LBB23_1775:
	s_and_b32 vcc_lo, exec_lo, s11
	s_mov_b32 s11, 0
	s_cbranch_vccz .LBB23_1777
; %bb.1776:
	s_cmp_lg_u32 s4, 11
	s_mov_b32 s11, -1
	s_cselect_b32 s5, -1, 0
.LBB23_1777:
	s_delay_alu instid0(SALU_CYCLE_1)
	s_and_b32 vcc_lo, exec_lo, s5
	s_cbranch_vccnz .LBB23_1840
; %bb.1778:
	s_and_not1_b32 vcc_lo, exec_lo, s11
	s_cbranch_vccnz .LBB23_1780
.LBB23_1779:
	global_load_u8 v1, v[24:25], off
	s_mov_b32 s12, -1
	s_wait_loadcnt 0x0
	v_cmp_ne_u16_e32 vcc_lo, 0, v1
	v_cndmask_b32_e64 v8, 0, 1, vcc_lo
.LBB23_1780:
	s_branch .LBB23_1708
.LBB23_1781:
	s_and_b32 s4, 0xffff, s10
	s_delay_alu instid0(SALU_CYCLE_1)
	s_cmp_lt_i32 s4, 5
	s_cbranch_scc1 .LBB23_1786
; %bb.1782:
	s_cmp_lt_i32 s4, 8
	s_cbranch_scc1 .LBB23_1787
; %bb.1783:
	s_cmp_lt_i32 s4, 9
	s_cbranch_scc1 .LBB23_1788
; %bb.1784:
	s_cmp_gt_i32 s4, 9
	s_cbranch_scc0 .LBB23_1789
; %bb.1785:
	s_wait_loadcnt 0x0
	global_load_b64 v[8:9], v[24:25], off
	s_mov_b32 s5, 0
	s_wait_loadcnt 0x0
	v_trunc_f64_e32 v[8:9], v[8:9]
	s_delay_alu instid0(VALU_DEP_1) | instskip(NEXT) | instid1(VALU_DEP_1)
	v_ldexp_f64 v[26:27], v[8:9], 0xffffffe0
	v_floor_f64_e32 v[26:27], v[26:27]
	s_delay_alu instid0(VALU_DEP_1) | instskip(NEXT) | instid1(VALU_DEP_1)
	v_fmamk_f64 v[8:9], v[26:27], 0xc1f00000, v[8:9]
	v_cvt_u32_f64_e32 v8, v[8:9]
	s_branch .LBB23_1790
.LBB23_1786:
                                        ; implicit-def: $vgpr8
	s_branch .LBB23_1808
.LBB23_1787:
	s_mov_b32 s5, -1
                                        ; implicit-def: $vgpr8
	s_branch .LBB23_1796
.LBB23_1788:
	s_mov_b32 s5, -1
                                        ; implicit-def: $vgpr8
	s_branch .LBB23_1793
.LBB23_1789:
	s_mov_b32 s5, -1
                                        ; implicit-def: $vgpr8
.LBB23_1790:
	s_delay_alu instid0(SALU_CYCLE_1)
	s_and_not1_b32 vcc_lo, exec_lo, s5
	s_cbranch_vccnz .LBB23_1792
; %bb.1791:
	global_load_b32 v1, v[24:25], off
	s_wait_loadcnt 0x0
	v_trunc_f32_e32 v1, v1
	s_delay_alu instid0(VALU_DEP_1) | instskip(NEXT) | instid1(VALU_DEP_1)
	v_mul_f32_e64 v3, 0x2f800000, |v1|
	v_floor_f32_e32 v3, v3
	s_delay_alu instid0(VALU_DEP_1) | instskip(SKIP_1) | instid1(VALU_DEP_2)
	v_fma_f32 v3, 0xcf800000, v3, |v1|
	v_ashrrev_i32_e32 v1, 31, v1
	v_cvt_u32_f32_e32 v3, v3
	s_delay_alu instid0(VALU_DEP_1) | instskip(NEXT) | instid1(VALU_DEP_1)
	v_xor_b32_e32 v3, v3, v1
	v_sub_nc_u32_e32 v8, v3, v1
.LBB23_1792:
	s_mov_b32 s5, 0
.LBB23_1793:
	s_delay_alu instid0(SALU_CYCLE_1)
	s_and_not1_b32 vcc_lo, exec_lo, s5
	s_cbranch_vccnz .LBB23_1795
; %bb.1794:
	global_load_b32 v1, v[24:25], off
	s_wait_loadcnt 0x0
	v_cvt_f32_f16_e32 v1, v1
	s_delay_alu instid0(VALU_DEP_1)
	v_cvt_i32_f32_e32 v8, v1
.LBB23_1795:
	s_mov_b32 s5, 0
.LBB23_1796:
	s_delay_alu instid0(SALU_CYCLE_1)
	s_and_not1_b32 vcc_lo, exec_lo, s5
	s_cbranch_vccnz .LBB23_1807
; %bb.1797:
	s_cmp_lt_i32 s4, 6
	s_cbranch_scc1 .LBB23_1800
; %bb.1798:
	s_cmp_gt_i32 s4, 6
	s_cbranch_scc0 .LBB23_1801
; %bb.1799:
	s_wait_loadcnt 0x0
	global_load_b64 v[8:9], v[24:25], off
	s_mov_b32 s5, 0
	s_wait_loadcnt 0x0
	v_trunc_f64_e32 v[8:9], v[8:9]
	s_delay_alu instid0(VALU_DEP_1) | instskip(NEXT) | instid1(VALU_DEP_1)
	v_ldexp_f64 v[26:27], v[8:9], 0xffffffe0
	v_floor_f64_e32 v[26:27], v[26:27]
	s_delay_alu instid0(VALU_DEP_1) | instskip(NEXT) | instid1(VALU_DEP_1)
	v_fmamk_f64 v[8:9], v[26:27], 0xc1f00000, v[8:9]
	v_cvt_u32_f64_e32 v8, v[8:9]
	s_branch .LBB23_1802
.LBB23_1800:
	s_mov_b32 s5, -1
                                        ; implicit-def: $vgpr8
	s_branch .LBB23_1805
.LBB23_1801:
	s_mov_b32 s5, -1
                                        ; implicit-def: $vgpr8
.LBB23_1802:
	s_delay_alu instid0(SALU_CYCLE_1)
	s_and_not1_b32 vcc_lo, exec_lo, s5
	s_cbranch_vccnz .LBB23_1804
; %bb.1803:
	global_load_b32 v1, v[24:25], off
	s_wait_loadcnt 0x0
	v_trunc_f32_e32 v1, v1
	s_delay_alu instid0(VALU_DEP_1) | instskip(NEXT) | instid1(VALU_DEP_1)
	v_mul_f32_e64 v3, 0x2f800000, |v1|
	v_floor_f32_e32 v3, v3
	s_delay_alu instid0(VALU_DEP_1) | instskip(SKIP_1) | instid1(VALU_DEP_2)
	v_fma_f32 v3, 0xcf800000, v3, |v1|
	v_ashrrev_i32_e32 v1, 31, v1
	v_cvt_u32_f32_e32 v3, v3
	s_delay_alu instid0(VALU_DEP_1) | instskip(NEXT) | instid1(VALU_DEP_1)
	v_xor_b32_e32 v3, v3, v1
	v_sub_nc_u32_e32 v8, v3, v1
.LBB23_1804:
	s_mov_b32 s5, 0
.LBB23_1805:
	s_delay_alu instid0(SALU_CYCLE_1)
	s_and_not1_b32 vcc_lo, exec_lo, s5
	s_cbranch_vccnz .LBB23_1807
; %bb.1806:
	global_load_u16 v1, v[24:25], off
	s_wait_loadcnt 0x0
	v_cvt_f32_f16_e32 v1, v1
	s_delay_alu instid0(VALU_DEP_1)
	v_cvt_i32_f32_e32 v8, v1
.LBB23_1807:
	s_cbranch_execnz .LBB23_1827
.LBB23_1808:
	s_cmp_lt_i32 s4, 2
	s_cbranch_scc1 .LBB23_1812
; %bb.1809:
	s_cmp_lt_i32 s4, 3
	s_cbranch_scc1 .LBB23_1813
; %bb.1810:
	s_cmp_gt_i32 s4, 3
	s_cbranch_scc0 .LBB23_1814
; %bb.1811:
	s_wait_loadcnt 0x0
	global_load_b64 v[8:9], v[24:25], off
	s_mov_b32 s5, 0
	s_branch .LBB23_1815
.LBB23_1812:
	s_mov_b32 s5, -1
                                        ; implicit-def: $vgpr8
	s_branch .LBB23_1821
.LBB23_1813:
	s_mov_b32 s5, -1
                                        ; implicit-def: $vgpr8
	s_branch .LBB23_1818
.LBB23_1814:
	s_mov_b32 s5, -1
                                        ; implicit-def: $vgpr8
.LBB23_1815:
	s_delay_alu instid0(SALU_CYCLE_1)
	s_and_not1_b32 vcc_lo, exec_lo, s5
	s_cbranch_vccnz .LBB23_1817
; %bb.1816:
	s_wait_loadcnt 0x0
	global_load_b32 v8, v[24:25], off
.LBB23_1817:
	s_mov_b32 s5, 0
.LBB23_1818:
	s_delay_alu instid0(SALU_CYCLE_1)
	s_and_not1_b32 vcc_lo, exec_lo, s5
	s_cbranch_vccnz .LBB23_1820
; %bb.1819:
	s_wait_loadcnt 0x0
	global_load_u16 v8, v[24:25], off
.LBB23_1820:
	s_mov_b32 s5, 0
.LBB23_1821:
	s_delay_alu instid0(SALU_CYCLE_1)
	s_and_not1_b32 vcc_lo, exec_lo, s5
	s_cbranch_vccnz .LBB23_1827
; %bb.1822:
	s_cmp_gt_i32 s4, 0
	s_mov_b32 s4, 0
	s_cbranch_scc0 .LBB23_1824
; %bb.1823:
	s_wait_loadcnt 0x0
	global_load_u8 v8, v[24:25], off
	s_branch .LBB23_1825
.LBB23_1824:
	s_mov_b32 s4, -1
                                        ; implicit-def: $vgpr8
.LBB23_1825:
	s_delay_alu instid0(SALU_CYCLE_1)
	s_and_not1_b32 vcc_lo, exec_lo, s4
	s_cbranch_vccnz .LBB23_1827
; %bb.1826:
	s_wait_loadcnt 0x0
	global_load_u8 v8, v[24:25], off
.LBB23_1827:
.LBB23_1828:
	s_clause 0x1
	s_load_b64 s[4:5], s[2:3], 0x1e0
	s_load_b32 s11, s[2:3], 0x1ec
	v_mov_b32_e32 v13, 0
	s_wait_kmcnt 0x0
	s_delay_alu instid0(VALU_DEP_1) | instskip(SKIP_1) | instid1(SALU_CYCLE_1)
	v_add_nc_u64_e32 v[24:25], s[4:5], v[12:13]
	s_and_b32 s12, s11, 0xff
	s_cmp_lt_i32 s12, 11
	s_cbranch_scc1 .LBB23_1835
; %bb.1829:
	s_and_b32 s11, 0xffff, s12
	s_mov_b32 s14, 0
	s_cmp_gt_i32 s11, 25
	s_cbranch_scc0 .LBB23_1837
; %bb.1830:
	s_cmp_gt_i32 s11, 28
	s_cbranch_scc0 .LBB23_1838
; %bb.1831:
	;; [unrolled: 3-line block ×4, first 2 shown]
	s_cmp_eq_u32 s11, 46
	s_mov_b32 s16, 0
	s_cbranch_scc0 .LBB23_1842
; %bb.1834:
	global_load_b32 v1, v[24:25], off
	s_mov_b32 s13, 0
	s_mov_b32 s15, -1
	s_wait_loadcnt 0x0
	v_lshlrev_b32_e32 v1, 16, v1
	s_delay_alu instid0(VALU_DEP_1) | instskip(NEXT) | instid1(VALU_DEP_1)
	v_trunc_f32_e32 v1, v1
	v_mul_f32_e64 v3, 0x2f800000, |v1|
	s_delay_alu instid0(VALU_DEP_1) | instskip(NEXT) | instid1(VALU_DEP_1)
	v_floor_f32_e32 v3, v3
	v_fma_f32 v3, 0xcf800000, v3, |v1|
	v_ashrrev_i32_e32 v1, 31, v1
	s_delay_alu instid0(VALU_DEP_2) | instskip(NEXT) | instid1(VALU_DEP_1)
	v_cvt_u32_f32_e32 v3, v3
	v_xor_b32_e32 v3, v3, v1
	s_delay_alu instid0(VALU_DEP_1)
	v_sub_nc_u32_e32 v12, v3, v1
	s_branch .LBB23_1844
.LBB23_1835:
	s_mov_b32 s15, 0
                                        ; implicit-def: $vgpr12
	s_cbranch_execnz .LBB23_1906
.LBB23_1836:
	s_and_not1_b32 vcc_lo, exec_lo, s15
	s_cbranch_vccz .LBB23_1954
	s_branch .LBB23_3216
.LBB23_1837:
	s_mov_b32 s16, -1
	s_mov_b32 s15, 0
	s_mov_b32 s13, 0
                                        ; implicit-def: $vgpr12
	s_branch .LBB23_1871
.LBB23_1838:
	s_mov_b32 s16, -1
	s_mov_b32 s15, 0
	s_mov_b32 s13, 0
                                        ; implicit-def: $vgpr12
	s_branch .LBB23_1854
.LBB23_1839:
	s_mov_b32 s16, -1
	s_mov_b32 s15, 0
	s_mov_b32 s13, 0
                                        ; implicit-def: $vgpr12
	s_branch .LBB23_1849
.LBB23_1840:
	s_or_b32 s8, s8, exec_lo
	s_trap 2
	s_cbranch_execz .LBB23_1779
	s_branch .LBB23_1780
.LBB23_1841:
	s_mov_b32 s16, -1
	s_mov_b32 s15, 0
	s_mov_b32 s13, 0
	s_branch .LBB23_1843
.LBB23_1842:
	s_mov_b32 s13, -1
	s_mov_b32 s15, 0
.LBB23_1843:
                                        ; implicit-def: $vgpr12
.LBB23_1844:
	s_and_b32 vcc_lo, exec_lo, s16
	s_cbranch_vccz .LBB23_1848
; %bb.1845:
	s_cmp_eq_u32 s11, 44
	s_cbranch_scc0 .LBB23_1847
; %bb.1846:
	global_load_u8 v1, v[24:25], off
	s_mov_b32 s13, 0
	s_mov_b32 s15, -1
	s_wait_loadcnt 0x0
	v_lshlrev_b32_e32 v3, 23, v1
	v_cmp_ne_u32_e32 vcc_lo, 0, v1
	s_delay_alu instid0(VALU_DEP_2) | instskip(NEXT) | instid1(VALU_DEP_1)
	v_trunc_f32_e32 v3, v3
	v_mul_f32_e64 v5, 0x2f800000, |v3|
	s_delay_alu instid0(VALU_DEP_1) | instskip(NEXT) | instid1(VALU_DEP_1)
	v_floor_f32_e32 v5, v5
	v_fma_f32 v5, 0xcf800000, v5, |v3|
	v_ashrrev_i32_e32 v3, 31, v3
	s_delay_alu instid0(VALU_DEP_2) | instskip(NEXT) | instid1(VALU_DEP_1)
	v_cvt_u32_f32_e32 v5, v5
	v_xor_b32_e32 v5, v5, v3
	s_delay_alu instid0(VALU_DEP_1) | instskip(NEXT) | instid1(VALU_DEP_1)
	v_sub_nc_u32_e32 v3, v5, v3
	v_cndmask_b32_e32 v12, 0, v3, vcc_lo
	s_branch .LBB23_1848
.LBB23_1847:
	s_mov_b32 s13, -1
                                        ; implicit-def: $vgpr12
.LBB23_1848:
	s_mov_b32 s16, 0
.LBB23_1849:
	s_delay_alu instid0(SALU_CYCLE_1)
	s_and_b32 vcc_lo, exec_lo, s16
	s_cbranch_vccz .LBB23_1853
; %bb.1850:
	s_cmp_eq_u32 s11, 29
	s_cbranch_scc0 .LBB23_1852
; %bb.1851:
	global_load_b64 v[12:13], v[24:25], off
	s_mov_b32 s13, 0
	s_mov_b32 s15, -1
	s_branch .LBB23_1853
.LBB23_1852:
	s_mov_b32 s13, -1
                                        ; implicit-def: $vgpr12
.LBB23_1853:
	s_mov_b32 s16, 0
.LBB23_1854:
	s_delay_alu instid0(SALU_CYCLE_1)
	s_and_b32 vcc_lo, exec_lo, s16
	s_cbranch_vccz .LBB23_1870
; %bb.1855:
	s_cmp_lt_i32 s11, 27
	s_cbranch_scc1 .LBB23_1858
; %bb.1856:
	s_cmp_gt_i32 s11, 27
	s_cbranch_scc0 .LBB23_1859
; %bb.1857:
	s_wait_loadcnt 0x0
	global_load_b32 v12, v[24:25], off
	s_mov_b32 s15, 0
	s_branch .LBB23_1860
.LBB23_1858:
	s_mov_b32 s15, -1
                                        ; implicit-def: $vgpr12
	s_branch .LBB23_1863
.LBB23_1859:
	s_mov_b32 s15, -1
                                        ; implicit-def: $vgpr12
.LBB23_1860:
	s_delay_alu instid0(SALU_CYCLE_1)
	s_and_not1_b32 vcc_lo, exec_lo, s15
	s_cbranch_vccnz .LBB23_1862
; %bb.1861:
	s_wait_loadcnt 0x0
	global_load_u16 v12, v[24:25], off
.LBB23_1862:
	s_mov_b32 s15, 0
.LBB23_1863:
	s_delay_alu instid0(SALU_CYCLE_1)
	s_and_not1_b32 vcc_lo, exec_lo, s15
	s_cbranch_vccnz .LBB23_1869
; %bb.1864:
	global_load_u8 v1, v[24:25], off
	s_mov_b32 s16, 0
	s_mov_b32 s15, exec_lo
	s_wait_loadcnt 0x0
	v_cmpx_lt_i16_e32 0x7f, v1
	s_xor_b32 s15, exec_lo, s15
	s_cbranch_execz .LBB23_1881
; %bb.1865:
	v_cmp_ne_u16_e32 vcc_lo, 0x80, v1
	s_and_b32 s16, vcc_lo, exec_lo
	s_and_not1_saveexec_b32 s15, s15
	s_cbranch_execnz .LBB23_1882
.LBB23_1866:
	s_or_b32 exec_lo, exec_lo, s15
	v_mov_b32_e32 v12, 0
	s_and_saveexec_b32 s15, s16
	s_cbranch_execz .LBB23_1868
.LBB23_1867:
	v_and_b32_e32 v3, 0xffff, v1
	s_delay_alu instid0(VALU_DEP_1) | instskip(SKIP_1) | instid1(VALU_DEP_2)
	v_dual_lshlrev_b32 v1, 24, v1 :: v_dual_bitop2_b32 v5, 7, v3 bitop3:0x40
	v_bfe_u32 v11, v3, 3, 4
	v_and_b32_e32 v1, 0x80000000, v1
	s_delay_alu instid0(VALU_DEP_3) | instskip(NEXT) | instid1(VALU_DEP_3)
	v_clz_i32_u32_e32 v7, v5
	v_cmp_eq_u32_e32 vcc_lo, 0, v11
	s_delay_alu instid0(VALU_DEP_2) | instskip(NEXT) | instid1(VALU_DEP_1)
	v_min_u32_e32 v7, 32, v7
	v_subrev_nc_u32_e32 v9, 28, v7
	v_sub_nc_u32_e32 v7, 29, v7
	s_delay_alu instid0(VALU_DEP_2) | instskip(NEXT) | instid1(VALU_DEP_2)
	v_lshlrev_b32_e32 v3, v9, v3
	v_cndmask_b32_e32 v7, v11, v7, vcc_lo
	s_delay_alu instid0(VALU_DEP_2) | instskip(NEXT) | instid1(VALU_DEP_1)
	v_and_b32_e32 v3, 7, v3
	v_cndmask_b32_e32 v3, v5, v3, vcc_lo
	s_delay_alu instid0(VALU_DEP_3) | instskip(NEXT) | instid1(VALU_DEP_2)
	v_lshl_add_u32 v5, v7, 23, 0x3b800000
	v_lshlrev_b32_e32 v3, 20, v3
	s_delay_alu instid0(VALU_DEP_1) | instskip(NEXT) | instid1(VALU_DEP_1)
	v_or3_b32 v1, v1, v5, v3
	v_trunc_f32_e32 v1, v1
	s_delay_alu instid0(VALU_DEP_1) | instskip(NEXT) | instid1(VALU_DEP_1)
	v_mul_f32_e64 v3, 0x2f800000, |v1|
	v_floor_f32_e32 v3, v3
	s_delay_alu instid0(VALU_DEP_1) | instskip(SKIP_1) | instid1(VALU_DEP_2)
	v_fma_f32 v3, 0xcf800000, v3, |v1|
	v_ashrrev_i32_e32 v1, 31, v1
	v_cvt_u32_f32_e32 v3, v3
	s_delay_alu instid0(VALU_DEP_1) | instskip(NEXT) | instid1(VALU_DEP_1)
	v_xor_b32_e32 v3, v3, v1
	v_sub_nc_u32_e32 v12, v3, v1
.LBB23_1868:
	s_or_b32 exec_lo, exec_lo, s15
.LBB23_1869:
	s_mov_b32 s15, -1
.LBB23_1870:
	s_mov_b32 s16, 0
.LBB23_1871:
	s_delay_alu instid0(SALU_CYCLE_1)
	s_and_b32 vcc_lo, exec_lo, s16
	s_cbranch_vccz .LBB23_1902
; %bb.1872:
	s_cmp_gt_i32 s11, 22
	s_cbranch_scc0 .LBB23_1880
; %bb.1873:
	s_cmp_lt_i32 s11, 24
	s_cbranch_scc1 .LBB23_1883
; %bb.1874:
	s_cmp_gt_i32 s11, 24
	s_cbranch_scc0 .LBB23_1884
; %bb.1875:
	global_load_u8 v1, v[24:25], off
	s_mov_b32 s15, 0
	s_mov_b32 s14, exec_lo
	s_wait_loadcnt 0x0
	v_cmpx_lt_i16_e32 0x7f, v1
	s_xor_b32 s14, exec_lo, s14
	s_cbranch_execz .LBB23_1896
; %bb.1876:
	v_cmp_ne_u16_e32 vcc_lo, 0x80, v1
	s_and_b32 s15, vcc_lo, exec_lo
	s_and_not1_saveexec_b32 s14, s14
	s_cbranch_execnz .LBB23_1897
.LBB23_1877:
	s_or_b32 exec_lo, exec_lo, s14
	v_mov_b32_e32 v12, 0
	s_and_saveexec_b32 s14, s15
	s_cbranch_execz .LBB23_1879
.LBB23_1878:
	v_and_b32_e32 v3, 0xffff, v1
	s_delay_alu instid0(VALU_DEP_1) | instskip(SKIP_1) | instid1(VALU_DEP_2)
	v_dual_lshlrev_b32 v1, 24, v1 :: v_dual_bitop2_b32 v5, 3, v3 bitop3:0x40
	v_bfe_u32 v11, v3, 2, 5
	v_and_b32_e32 v1, 0x80000000, v1
	s_delay_alu instid0(VALU_DEP_3) | instskip(NEXT) | instid1(VALU_DEP_3)
	v_clz_i32_u32_e32 v7, v5
	v_cmp_eq_u32_e32 vcc_lo, 0, v11
	s_delay_alu instid0(VALU_DEP_2) | instskip(NEXT) | instid1(VALU_DEP_1)
	v_min_u32_e32 v7, 32, v7
	v_subrev_nc_u32_e32 v9, 29, v7
	v_sub_nc_u32_e32 v7, 30, v7
	s_delay_alu instid0(VALU_DEP_2) | instskip(NEXT) | instid1(VALU_DEP_2)
	v_lshlrev_b32_e32 v3, v9, v3
	v_cndmask_b32_e32 v7, v11, v7, vcc_lo
	s_delay_alu instid0(VALU_DEP_2) | instskip(NEXT) | instid1(VALU_DEP_1)
	v_and_b32_e32 v3, 3, v3
	v_cndmask_b32_e32 v3, v5, v3, vcc_lo
	s_delay_alu instid0(VALU_DEP_3) | instskip(NEXT) | instid1(VALU_DEP_2)
	v_lshl_add_u32 v5, v7, 23, 0x37800000
	v_lshlrev_b32_e32 v3, 21, v3
	s_delay_alu instid0(VALU_DEP_1) | instskip(NEXT) | instid1(VALU_DEP_1)
	v_or3_b32 v1, v1, v5, v3
	v_trunc_f32_e32 v1, v1
	s_delay_alu instid0(VALU_DEP_1) | instskip(NEXT) | instid1(VALU_DEP_1)
	v_mul_f32_e64 v3, 0x2f800000, |v1|
	v_floor_f32_e32 v3, v3
	s_delay_alu instid0(VALU_DEP_1) | instskip(SKIP_1) | instid1(VALU_DEP_2)
	v_fma_f32 v3, 0xcf800000, v3, |v1|
	v_ashrrev_i32_e32 v1, 31, v1
	v_cvt_u32_f32_e32 v3, v3
	s_delay_alu instid0(VALU_DEP_1) | instskip(NEXT) | instid1(VALU_DEP_1)
	v_xor_b32_e32 v3, v3, v1
	v_sub_nc_u32_e32 v12, v3, v1
.LBB23_1879:
	s_or_b32 exec_lo, exec_lo, s14
	s_mov_b32 s14, 0
	s_branch .LBB23_1885
.LBB23_1880:
	s_mov_b32 s14, -1
                                        ; implicit-def: $vgpr12
	s_branch .LBB23_1891
.LBB23_1881:
	s_and_not1_saveexec_b32 s15, s15
	s_cbranch_execz .LBB23_1866
.LBB23_1882:
	v_cmp_ne_u16_e32 vcc_lo, 0, v1
	s_and_not1_b32 s16, s16, exec_lo
	s_and_b32 s17, vcc_lo, exec_lo
	s_delay_alu instid0(SALU_CYCLE_1)
	s_or_b32 s16, s16, s17
	s_or_b32 exec_lo, exec_lo, s15
	v_mov_b32_e32 v12, 0
	s_and_saveexec_b32 s15, s16
	s_cbranch_execnz .LBB23_1867
	s_branch .LBB23_1868
.LBB23_1883:
	s_mov_b32 s14, -1
                                        ; implicit-def: $vgpr12
	s_branch .LBB23_1888
.LBB23_1884:
	s_mov_b32 s14, -1
                                        ; implicit-def: $vgpr12
.LBB23_1885:
	s_delay_alu instid0(SALU_CYCLE_1)
	s_and_b32 vcc_lo, exec_lo, s14
	s_cbranch_vccz .LBB23_1887
; %bb.1886:
	global_load_u8 v1, v[24:25], off
	s_wait_loadcnt 0x0
	v_lshlrev_b32_e32 v1, 24, v1
	s_delay_alu instid0(VALU_DEP_1) | instskip(NEXT) | instid1(VALU_DEP_1)
	v_and_b32_e32 v3, 0x7f000000, v1
	v_clz_i32_u32_e32 v5, v3
	v_add_nc_u32_e32 v9, 0x1000000, v3
	v_cmp_ne_u32_e32 vcc_lo, 0, v3
	s_delay_alu instid0(VALU_DEP_3) | instskip(NEXT) | instid1(VALU_DEP_1)
	v_min_u32_e32 v5, 32, v5
	v_sub_nc_u32_e64 v5, v5, 4 clamp
	s_delay_alu instid0(VALU_DEP_1) | instskip(NEXT) | instid1(VALU_DEP_1)
	v_dual_lshlrev_b32 v7, v5, v3 :: v_dual_lshlrev_b32 v5, 23, v5
	v_lshrrev_b32_e32 v7, 4, v7
	s_delay_alu instid0(VALU_DEP_1) | instskip(SKIP_1) | instid1(VALU_DEP_2)
	v_sub_nc_u32_e32 v5, v7, v5
	v_ashrrev_i32_e32 v7, 8, v9
	v_add_nc_u32_e32 v5, 0x3c000000, v5
	s_delay_alu instid0(VALU_DEP_1) | instskip(NEXT) | instid1(VALU_DEP_1)
	v_and_or_b32 v5, 0x7f800000, v7, v5
	v_cndmask_b32_e32 v3, 0, v5, vcc_lo
	s_delay_alu instid0(VALU_DEP_1) | instskip(NEXT) | instid1(VALU_DEP_1)
	v_and_or_b32 v1, 0x80000000, v1, v3
	v_trunc_f32_e32 v1, v1
	s_delay_alu instid0(VALU_DEP_1) | instskip(NEXT) | instid1(VALU_DEP_1)
	v_mul_f32_e64 v3, 0x2f800000, |v1|
	v_floor_f32_e32 v3, v3
	s_delay_alu instid0(VALU_DEP_1) | instskip(SKIP_1) | instid1(VALU_DEP_2)
	v_fma_f32 v3, 0xcf800000, v3, |v1|
	v_ashrrev_i32_e32 v1, 31, v1
	v_cvt_u32_f32_e32 v3, v3
	s_delay_alu instid0(VALU_DEP_1) | instskip(NEXT) | instid1(VALU_DEP_1)
	v_xor_b32_e32 v3, v3, v1
	v_sub_nc_u32_e32 v12, v3, v1
.LBB23_1887:
	s_mov_b32 s14, 0
.LBB23_1888:
	s_delay_alu instid0(SALU_CYCLE_1)
	s_and_not1_b32 vcc_lo, exec_lo, s14
	s_cbranch_vccnz .LBB23_1890
; %bb.1889:
	global_load_u8 v1, v[24:25], off
	s_wait_loadcnt 0x0
	v_lshlrev_b32_e32 v3, 25, v1
	v_lshlrev_b16 v1, 8, v1
	s_delay_alu instid0(VALU_DEP_1) | instskip(SKIP_1) | instid1(VALU_DEP_2)
	v_and_or_b32 v7, 0x7f00, v1, 0.5
	v_bfe_i32 v1, v1, 0, 16
	v_add_f32_e32 v7, -0.5, v7
	v_lshrrev_b32_e32 v5, 4, v3
	v_cmp_gt_u32_e32 vcc_lo, 0x8000000, v3
	s_delay_alu instid0(VALU_DEP_2) | instskip(NEXT) | instid1(VALU_DEP_1)
	v_or_b32_e32 v5, 0x70000000, v5
	v_mul_f32_e32 v5, 0x7800000, v5
	s_delay_alu instid0(VALU_DEP_1) | instskip(NEXT) | instid1(VALU_DEP_1)
	v_cndmask_b32_e32 v3, v5, v7, vcc_lo
	v_and_or_b32 v1, 0x80000000, v1, v3
	s_delay_alu instid0(VALU_DEP_1) | instskip(NEXT) | instid1(VALU_DEP_1)
	v_trunc_f32_e32 v1, v1
	v_mul_f32_e64 v3, 0x2f800000, |v1|
	s_delay_alu instid0(VALU_DEP_1) | instskip(NEXT) | instid1(VALU_DEP_1)
	v_floor_f32_e32 v3, v3
	v_fma_f32 v3, 0xcf800000, v3, |v1|
	v_ashrrev_i32_e32 v1, 31, v1
	s_delay_alu instid0(VALU_DEP_2) | instskip(NEXT) | instid1(VALU_DEP_1)
	v_cvt_u32_f32_e32 v3, v3
	v_xor_b32_e32 v3, v3, v1
	s_delay_alu instid0(VALU_DEP_1)
	v_sub_nc_u32_e32 v12, v3, v1
.LBB23_1890:
	s_mov_b32 s14, 0
	s_mov_b32 s15, -1
.LBB23_1891:
	s_and_not1_b32 vcc_lo, exec_lo, s14
	s_mov_b32 s14, 0
	s_cbranch_vccnz .LBB23_1902
; %bb.1892:
	s_cmp_gt_i32 s11, 14
	s_cbranch_scc0 .LBB23_1895
; %bb.1893:
	s_cmp_eq_u32 s11, 15
	s_cbranch_scc0 .LBB23_1898
; %bb.1894:
	global_load_u16 v1, v[24:25], off
	s_mov_b32 s13, 0
	s_mov_b32 s15, -1
	s_wait_loadcnt 0x0
	v_lshlrev_b32_e32 v1, 16, v1
	s_delay_alu instid0(VALU_DEP_1) | instskip(NEXT) | instid1(VALU_DEP_1)
	v_trunc_f32_e32 v1, v1
	v_mul_f32_e64 v3, 0x2f800000, |v1|
	s_delay_alu instid0(VALU_DEP_1) | instskip(NEXT) | instid1(VALU_DEP_1)
	v_floor_f32_e32 v3, v3
	v_fma_f32 v3, 0xcf800000, v3, |v1|
	v_ashrrev_i32_e32 v1, 31, v1
	s_delay_alu instid0(VALU_DEP_2) | instskip(NEXT) | instid1(VALU_DEP_1)
	v_cvt_u32_f32_e32 v3, v3
	v_xor_b32_e32 v3, v3, v1
	s_delay_alu instid0(VALU_DEP_1)
	v_sub_nc_u32_e32 v12, v3, v1
	s_branch .LBB23_1900
.LBB23_1895:
	s_mov_b32 s14, -1
	s_branch .LBB23_1899
.LBB23_1896:
	s_and_not1_saveexec_b32 s14, s14
	s_cbranch_execz .LBB23_1877
.LBB23_1897:
	v_cmp_ne_u16_e32 vcc_lo, 0, v1
	s_and_not1_b32 s15, s15, exec_lo
	s_and_b32 s16, vcc_lo, exec_lo
	s_delay_alu instid0(SALU_CYCLE_1)
	s_or_b32 s15, s15, s16
	s_or_b32 exec_lo, exec_lo, s14
	v_mov_b32_e32 v12, 0
	s_and_saveexec_b32 s14, s15
	s_cbranch_execnz .LBB23_1878
	s_branch .LBB23_1879
.LBB23_1898:
	s_mov_b32 s13, -1
.LBB23_1899:
                                        ; implicit-def: $vgpr12
.LBB23_1900:
	s_and_b32 vcc_lo, exec_lo, s14
	s_mov_b32 s14, 0
	s_cbranch_vccz .LBB23_1902
; %bb.1901:
	s_cmp_lg_u32 s11, 11
	s_mov_b32 s14, -1
	s_cselect_b32 s13, -1, 0
.LBB23_1902:
	s_delay_alu instid0(SALU_CYCLE_1)
	s_and_b32 vcc_lo, exec_lo, s13
	s_cbranch_vccnz .LBB23_1984
; %bb.1903:
	s_and_not1_b32 vcc_lo, exec_lo, s14
	s_cbranch_vccnz .LBB23_1905
.LBB23_1904:
	global_load_u8 v1, v[24:25], off
	s_mov_b32 s15, -1
	s_wait_loadcnt 0x0
	v_cmp_ne_u16_e32 vcc_lo, 0, v1
	v_cndmask_b32_e64 v12, 0, 1, vcc_lo
.LBB23_1905:
	s_branch .LBB23_1836
.LBB23_1906:
	s_and_b32 s11, 0xffff, s12
	s_delay_alu instid0(SALU_CYCLE_1)
	s_cmp_lt_i32 s11, 5
	s_cbranch_scc1 .LBB23_1911
; %bb.1907:
	s_cmp_lt_i32 s11, 8
	s_cbranch_scc1 .LBB23_1912
; %bb.1908:
	;; [unrolled: 3-line block ×3, first 2 shown]
	s_cmp_gt_i32 s11, 9
	s_cbranch_scc0 .LBB23_1914
; %bb.1910:
	s_wait_loadcnt 0x0
	global_load_b64 v[12:13], v[24:25], off
	s_mov_b32 s13, 0
	s_wait_loadcnt 0x0
	v_trunc_f64_e32 v[12:13], v[12:13]
	s_delay_alu instid0(VALU_DEP_1) | instskip(NEXT) | instid1(VALU_DEP_1)
	v_ldexp_f64 v[26:27], v[12:13], 0xffffffe0
	v_floor_f64_e32 v[26:27], v[26:27]
	s_delay_alu instid0(VALU_DEP_1) | instskip(NEXT) | instid1(VALU_DEP_1)
	v_fmamk_f64 v[12:13], v[26:27], 0xc1f00000, v[12:13]
	v_cvt_u32_f64_e32 v12, v[12:13]
	s_branch .LBB23_1915
.LBB23_1911:
	s_mov_b32 s13, -1
                                        ; implicit-def: $vgpr12
	s_branch .LBB23_1933
.LBB23_1912:
	s_mov_b32 s13, -1
                                        ; implicit-def: $vgpr12
	s_branch .LBB23_1921
.LBB23_1913:
	s_mov_b32 s13, -1
                                        ; implicit-def: $vgpr12
	s_branch .LBB23_1918
.LBB23_1914:
	s_mov_b32 s13, -1
                                        ; implicit-def: $vgpr12
.LBB23_1915:
	s_delay_alu instid0(SALU_CYCLE_1)
	s_and_not1_b32 vcc_lo, exec_lo, s13
	s_cbranch_vccnz .LBB23_1917
; %bb.1916:
	global_load_b32 v1, v[24:25], off
	s_wait_loadcnt 0x0
	v_trunc_f32_e32 v1, v1
	s_delay_alu instid0(VALU_DEP_1) | instskip(NEXT) | instid1(VALU_DEP_1)
	v_mul_f32_e64 v3, 0x2f800000, |v1|
	v_floor_f32_e32 v3, v3
	s_delay_alu instid0(VALU_DEP_1) | instskip(SKIP_1) | instid1(VALU_DEP_2)
	v_fma_f32 v3, 0xcf800000, v3, |v1|
	v_ashrrev_i32_e32 v1, 31, v1
	v_cvt_u32_f32_e32 v3, v3
	s_delay_alu instid0(VALU_DEP_1) | instskip(NEXT) | instid1(VALU_DEP_1)
	v_xor_b32_e32 v3, v3, v1
	v_sub_nc_u32_e32 v12, v3, v1
.LBB23_1917:
	s_mov_b32 s13, 0
.LBB23_1918:
	s_delay_alu instid0(SALU_CYCLE_1)
	s_and_not1_b32 vcc_lo, exec_lo, s13
	s_cbranch_vccnz .LBB23_1920
; %bb.1919:
	global_load_b32 v1, v[24:25], off
	s_wait_loadcnt 0x0
	v_cvt_f32_f16_e32 v1, v1
	s_delay_alu instid0(VALU_DEP_1)
	v_cvt_i32_f32_e32 v12, v1
.LBB23_1920:
	s_mov_b32 s13, 0
.LBB23_1921:
	s_delay_alu instid0(SALU_CYCLE_1)
	s_and_not1_b32 vcc_lo, exec_lo, s13
	s_cbranch_vccnz .LBB23_1932
; %bb.1922:
	s_cmp_lt_i32 s11, 6
	s_cbranch_scc1 .LBB23_1925
; %bb.1923:
	s_cmp_gt_i32 s11, 6
	s_cbranch_scc0 .LBB23_1926
; %bb.1924:
	s_wait_loadcnt 0x0
	global_load_b64 v[12:13], v[24:25], off
	s_mov_b32 s13, 0
	s_wait_loadcnt 0x0
	v_trunc_f64_e32 v[12:13], v[12:13]
	s_delay_alu instid0(VALU_DEP_1) | instskip(NEXT) | instid1(VALU_DEP_1)
	v_ldexp_f64 v[26:27], v[12:13], 0xffffffe0
	v_floor_f64_e32 v[26:27], v[26:27]
	s_delay_alu instid0(VALU_DEP_1) | instskip(NEXT) | instid1(VALU_DEP_1)
	v_fmamk_f64 v[12:13], v[26:27], 0xc1f00000, v[12:13]
	v_cvt_u32_f64_e32 v12, v[12:13]
	s_branch .LBB23_1927
.LBB23_1925:
	s_mov_b32 s13, -1
                                        ; implicit-def: $vgpr12
	s_branch .LBB23_1930
.LBB23_1926:
	s_mov_b32 s13, -1
                                        ; implicit-def: $vgpr12
.LBB23_1927:
	s_delay_alu instid0(SALU_CYCLE_1)
	s_and_not1_b32 vcc_lo, exec_lo, s13
	s_cbranch_vccnz .LBB23_1929
; %bb.1928:
	global_load_b32 v1, v[24:25], off
	s_wait_loadcnt 0x0
	v_trunc_f32_e32 v1, v1
	s_delay_alu instid0(VALU_DEP_1) | instskip(NEXT) | instid1(VALU_DEP_1)
	v_mul_f32_e64 v3, 0x2f800000, |v1|
	v_floor_f32_e32 v3, v3
	s_delay_alu instid0(VALU_DEP_1) | instskip(SKIP_1) | instid1(VALU_DEP_2)
	v_fma_f32 v3, 0xcf800000, v3, |v1|
	v_ashrrev_i32_e32 v1, 31, v1
	v_cvt_u32_f32_e32 v3, v3
	s_delay_alu instid0(VALU_DEP_1) | instskip(NEXT) | instid1(VALU_DEP_1)
	v_xor_b32_e32 v3, v3, v1
	v_sub_nc_u32_e32 v12, v3, v1
.LBB23_1929:
	s_mov_b32 s13, 0
.LBB23_1930:
	s_delay_alu instid0(SALU_CYCLE_1)
	s_and_not1_b32 vcc_lo, exec_lo, s13
	s_cbranch_vccnz .LBB23_1932
; %bb.1931:
	global_load_u16 v1, v[24:25], off
	s_wait_loadcnt 0x0
	v_cvt_f32_f16_e32 v1, v1
	s_delay_alu instid0(VALU_DEP_1)
	v_cvt_i32_f32_e32 v12, v1
.LBB23_1932:
	s_mov_b32 s13, 0
.LBB23_1933:
	s_delay_alu instid0(SALU_CYCLE_1)
	s_and_not1_b32 vcc_lo, exec_lo, s13
	s_cbranch_vccnz .LBB23_1953
; %bb.1934:
	s_cmp_lt_i32 s11, 2
	s_cbranch_scc1 .LBB23_1938
; %bb.1935:
	s_cmp_lt_i32 s11, 3
	s_cbranch_scc1 .LBB23_1939
; %bb.1936:
	s_cmp_gt_i32 s11, 3
	s_cbranch_scc0 .LBB23_1940
; %bb.1937:
	s_wait_loadcnt 0x0
	global_load_b64 v[12:13], v[24:25], off
	s_mov_b32 s13, 0
	s_branch .LBB23_1941
.LBB23_1938:
	s_mov_b32 s13, -1
                                        ; implicit-def: $vgpr12
	s_branch .LBB23_1947
.LBB23_1939:
	s_mov_b32 s13, -1
                                        ; implicit-def: $vgpr12
	s_branch .LBB23_1944
.LBB23_1940:
	s_mov_b32 s13, -1
                                        ; implicit-def: $vgpr12
.LBB23_1941:
	s_delay_alu instid0(SALU_CYCLE_1)
	s_and_not1_b32 vcc_lo, exec_lo, s13
	s_cbranch_vccnz .LBB23_1943
; %bb.1942:
	s_wait_loadcnt 0x0
	global_load_b32 v12, v[24:25], off
.LBB23_1943:
	s_mov_b32 s13, 0
.LBB23_1944:
	s_delay_alu instid0(SALU_CYCLE_1)
	s_and_not1_b32 vcc_lo, exec_lo, s13
	s_cbranch_vccnz .LBB23_1946
; %bb.1945:
	s_wait_loadcnt 0x0
	global_load_u16 v12, v[24:25], off
.LBB23_1946:
	s_mov_b32 s13, 0
.LBB23_1947:
	s_delay_alu instid0(SALU_CYCLE_1)
	s_and_not1_b32 vcc_lo, exec_lo, s13
	s_cbranch_vccnz .LBB23_1953
; %bb.1948:
	s_cmp_gt_i32 s11, 0
	s_mov_b32 s11, 0
	s_cbranch_scc0 .LBB23_1950
; %bb.1949:
	s_wait_loadcnt 0x0
	global_load_u8 v12, v[24:25], off
	s_branch .LBB23_1951
.LBB23_1950:
	s_mov_b32 s11, -1
                                        ; implicit-def: $vgpr12
.LBB23_1951:
	s_delay_alu instid0(SALU_CYCLE_1)
	s_and_not1_b32 vcc_lo, exec_lo, s11
	s_cbranch_vccnz .LBB23_1953
; %bb.1952:
	s_wait_loadcnt 0x0
	global_load_u8 v12, v[24:25], off
.LBB23_1953:
.LBB23_1954:
	s_and_b32 s11, 0xffff, s9
	s_delay_alu instid0(SALU_CYCLE_1)
	s_cmp_lt_i32 s11, 23
	s_cbranch_scc1 .LBB23_1958
; %bb.1955:
	s_cmp_gt_i32 s11, 43
	s_cbranch_scc0 .LBB23_1959
; %bb.1956:
	s_cmp_gt_i32 s11, 45
	s_cbranch_scc0 .LBB23_1960
; %bb.1957:
	s_cmp_lg_u32 s11, 46
	s_mov_b32 s14, 0
	s_mov_b32 s9, -1
	s_cselect_b32 s13, -1, 0
	s_branch .LBB23_1961
.LBB23_1958:
	s_mov_b32 s14, -1
	s_mov_b32 s9, 0
	s_mov_b32 s13, 0
	s_branch .LBB23_1967
.LBB23_1959:
	s_mov_b32 s14, -1
	s_mov_b32 s9, 0
	s_mov_b32 s13, 0
	s_branch .LBB23_1964
.LBB23_1960:
	s_mov_b32 s14, -1
	s_mov_b32 s9, 0
	s_mov_b32 s13, 0
.LBB23_1961:
	s_and_not1_b32 vcc_lo, exec_lo, s14
	s_cbranch_vccnz .LBB23_1963
; %bb.1962:
	s_cmp_eq_u32 s11, 44
	s_cselect_b32 s9, -1, 0
	s_cmp_lg_u32 s11, 44
	s_cselect_b32 s13, -1, 0
.LBB23_1963:
	s_mov_b32 s14, 0
.LBB23_1964:
	s_delay_alu instid0(SALU_CYCLE_1)
	s_and_b32 vcc_lo, exec_lo, s14
	s_cbranch_vccz .LBB23_1966
; %bb.1965:
	s_cmp_lt_i32 s11, 30
	s_cselect_b32 s9, -1, 0
	s_cmp_gt_i32 s11, 29
	s_cselect_b32 s13, -1, 0
.LBB23_1966:
	s_mov_b32 s14, 0
.LBB23_1967:
	s_delay_alu instid0(SALU_CYCLE_1)
	s_and_b32 vcc_lo, exec_lo, s14
	s_cbranch_vccz .LBB23_1972
; %bb.1968:
	s_cmp_gt_i32 s11, 14
	s_mov_b32 s14, -1
	s_cbranch_scc0 .LBB23_1970
; %bb.1969:
	s_cmp_eq_u32 s11, 15
	s_mov_b32 s14, 0
	s_cselect_b32 s9, -1, 0
	s_cmp_lg_u32 s11, 15
	s_cselect_b32 s13, -1, 0
.LBB23_1970:
	s_and_not1_b32 vcc_lo, exec_lo, s14
	s_cbranch_vccnz .LBB23_1972
; %bb.1971:
	s_cmp_lt_i32 s11, 12
	s_cselect_b32 s9, -1, 0
	s_cmp_gt_i32 s11, 11
	s_cselect_b32 s13, -1, 0
.LBB23_1972:
	s_delay_alu instid0(SALU_CYCLE_1)
	s_and_b32 vcc_lo, exec_lo, s13
	s_cbranch_vccnz .LBB23_1985
; %bb.1973:
	s_and_not1_b32 vcc_lo, exec_lo, s9
	s_cbranch_vccnz .LBB23_3216
.LBB23_1974:
	v_mov_b32_e32 v15, 0
	s_and_b32 s9, 0xffff, s10
	s_delay_alu instid0(SALU_CYCLE_1) | instskip(SKIP_1) | instid1(VALU_DEP_1)
	s_cmp_lt_i32 s9, 11
	s_wait_xcnt 0x0
	v_add_nc_u64_e32 v[24:25], s[0:1], v[14:15]
	s_cbranch_scc1 .LBB23_1981
; %bb.1975:
	s_cmp_gt_i32 s9, 25
	s_mov_b32 s13, 0
	s_cbranch_scc0 .LBB23_1982
; %bb.1976:
	s_cmp_gt_i32 s9, 28
	s_cbranch_scc0 .LBB23_1983
; %bb.1977:
	s_cmp_gt_i32 s9, 43
	;; [unrolled: 3-line block ×3, first 2 shown]
	s_cbranch_scc0 .LBB23_1987
; %bb.1979:
	s_cmp_eq_u32 s9, 46
	s_mov_b32 s15, 0
	s_cbranch_scc0 .LBB23_1988
; %bb.1980:
	global_load_b32 v1, v[24:25], off
	s_mov_b32 s10, 0
	s_mov_b32 s14, -1
	s_wait_loadcnt 0x0
	v_lshlrev_b32_e32 v1, 16, v1
	s_delay_alu instid0(VALU_DEP_1) | instskip(NEXT) | instid1(VALU_DEP_1)
	v_trunc_f32_e32 v1, v1
	v_mul_f32_e64 v3, 0x2f800000, |v1|
	s_delay_alu instid0(VALU_DEP_1) | instskip(NEXT) | instid1(VALU_DEP_1)
	v_floor_f32_e32 v3, v3
	v_fma_f32 v3, 0xcf800000, v3, |v1|
	v_ashrrev_i32_e32 v1, 31, v1
	s_delay_alu instid0(VALU_DEP_2) | instskip(NEXT) | instid1(VALU_DEP_1)
	v_cvt_u32_f32_e32 v3, v3
	v_xor_b32_e32 v3, v3, v1
	s_delay_alu instid0(VALU_DEP_1)
	v_sub_nc_u32_e32 v14, v3, v1
	s_branch .LBB23_1990
.LBB23_1981:
	s_mov_b32 s10, -1
	s_mov_b32 s14, 0
                                        ; implicit-def: $vgpr14
	s_branch .LBB23_2052
.LBB23_1982:
	s_mov_b32 s15, -1
	s_mov_b32 s14, 0
	s_mov_b32 s10, 0
                                        ; implicit-def: $vgpr14
	s_branch .LBB23_2017
.LBB23_1983:
	s_mov_b32 s15, -1
	s_mov_b32 s14, 0
	s_mov_b32 s10, 0
                                        ; implicit-def: $vgpr14
	s_branch .LBB23_2000
.LBB23_1984:
	s_or_b32 s8, s8, exec_lo
	s_trap 2
	s_cbranch_execz .LBB23_1904
	s_branch .LBB23_1905
.LBB23_1985:
	s_or_b32 s8, s8, exec_lo
	s_trap 2
	s_cbranch_execz .LBB23_1974
	s_branch .LBB23_3216
.LBB23_1986:
	s_mov_b32 s15, -1
	s_mov_b32 s14, 0
	s_mov_b32 s10, 0
                                        ; implicit-def: $vgpr14
	s_branch .LBB23_1995
.LBB23_1987:
	s_mov_b32 s15, -1
	s_mov_b32 s14, 0
	s_mov_b32 s10, 0
	s_branch .LBB23_1989
.LBB23_1988:
	s_mov_b32 s10, -1
	s_mov_b32 s14, 0
.LBB23_1989:
                                        ; implicit-def: $vgpr14
.LBB23_1990:
	s_and_b32 vcc_lo, exec_lo, s15
	s_cbranch_vccz .LBB23_1994
; %bb.1991:
	s_cmp_eq_u32 s9, 44
	s_cbranch_scc0 .LBB23_1993
; %bb.1992:
	global_load_u8 v1, v[24:25], off
	s_mov_b32 s10, 0
	s_mov_b32 s14, -1
	s_wait_loadcnt 0x0
	v_lshlrev_b32_e32 v3, 23, v1
	v_cmp_ne_u32_e32 vcc_lo, 0, v1
	s_delay_alu instid0(VALU_DEP_2) | instskip(NEXT) | instid1(VALU_DEP_1)
	v_trunc_f32_e32 v3, v3
	v_mul_f32_e64 v5, 0x2f800000, |v3|
	s_delay_alu instid0(VALU_DEP_1) | instskip(NEXT) | instid1(VALU_DEP_1)
	v_floor_f32_e32 v5, v5
	v_fma_f32 v5, 0xcf800000, v5, |v3|
	v_ashrrev_i32_e32 v3, 31, v3
	s_delay_alu instid0(VALU_DEP_2) | instskip(NEXT) | instid1(VALU_DEP_1)
	v_cvt_u32_f32_e32 v5, v5
	v_xor_b32_e32 v5, v5, v3
	s_delay_alu instid0(VALU_DEP_1) | instskip(NEXT) | instid1(VALU_DEP_1)
	v_sub_nc_u32_e32 v3, v5, v3
	v_cndmask_b32_e32 v14, 0, v3, vcc_lo
	s_branch .LBB23_1994
.LBB23_1993:
	s_mov_b32 s10, -1
                                        ; implicit-def: $vgpr14
.LBB23_1994:
	s_mov_b32 s15, 0
.LBB23_1995:
	s_delay_alu instid0(SALU_CYCLE_1)
	s_and_b32 vcc_lo, exec_lo, s15
	s_cbranch_vccz .LBB23_1999
; %bb.1996:
	s_cmp_eq_u32 s9, 29
	s_cbranch_scc0 .LBB23_1998
; %bb.1997:
	global_load_b64 v[14:15], v[24:25], off
	s_mov_b32 s10, 0
	s_mov_b32 s14, -1
	s_branch .LBB23_1999
.LBB23_1998:
	s_mov_b32 s10, -1
                                        ; implicit-def: $vgpr14
.LBB23_1999:
	s_mov_b32 s15, 0
.LBB23_2000:
	s_delay_alu instid0(SALU_CYCLE_1)
	s_and_b32 vcc_lo, exec_lo, s15
	s_cbranch_vccz .LBB23_2016
; %bb.2001:
	s_cmp_lt_i32 s9, 27
	s_cbranch_scc1 .LBB23_2004
; %bb.2002:
	s_cmp_gt_i32 s9, 27
	s_cbranch_scc0 .LBB23_2005
; %bb.2003:
	s_wait_loadcnt 0x0
	global_load_b32 v14, v[24:25], off
	s_mov_b32 s14, 0
	s_branch .LBB23_2006
.LBB23_2004:
	s_mov_b32 s14, -1
                                        ; implicit-def: $vgpr14
	s_branch .LBB23_2009
.LBB23_2005:
	s_mov_b32 s14, -1
                                        ; implicit-def: $vgpr14
.LBB23_2006:
	s_delay_alu instid0(SALU_CYCLE_1)
	s_and_not1_b32 vcc_lo, exec_lo, s14
	s_cbranch_vccnz .LBB23_2008
; %bb.2007:
	s_wait_loadcnt 0x0
	global_load_u16 v14, v[24:25], off
.LBB23_2008:
	s_mov_b32 s14, 0
.LBB23_2009:
	s_delay_alu instid0(SALU_CYCLE_1)
	s_and_not1_b32 vcc_lo, exec_lo, s14
	s_cbranch_vccnz .LBB23_2015
; %bb.2010:
	global_load_u8 v1, v[24:25], off
	s_mov_b32 s15, 0
	s_mov_b32 s14, exec_lo
	s_wait_loadcnt 0x0
	v_cmpx_lt_i16_e32 0x7f, v1
	s_xor_b32 s14, exec_lo, s14
	s_cbranch_execz .LBB23_2027
; %bb.2011:
	v_cmp_ne_u16_e32 vcc_lo, 0x80, v1
	s_and_b32 s15, vcc_lo, exec_lo
	s_and_not1_saveexec_b32 s14, s14
	s_cbranch_execnz .LBB23_2028
.LBB23_2012:
	s_or_b32 exec_lo, exec_lo, s14
	v_mov_b32_e32 v14, 0
	s_and_saveexec_b32 s14, s15
	s_cbranch_execz .LBB23_2014
.LBB23_2013:
	v_and_b32_e32 v3, 0xffff, v1
	s_delay_alu instid0(VALU_DEP_1) | instskip(SKIP_1) | instid1(VALU_DEP_2)
	v_dual_lshlrev_b32 v1, 24, v1 :: v_dual_bitop2_b32 v5, 7, v3 bitop3:0x40
	v_bfe_u32 v11, v3, 3, 4
	v_and_b32_e32 v1, 0x80000000, v1
	s_delay_alu instid0(VALU_DEP_3) | instskip(NEXT) | instid1(VALU_DEP_3)
	v_clz_i32_u32_e32 v7, v5
	v_cmp_eq_u32_e32 vcc_lo, 0, v11
	s_delay_alu instid0(VALU_DEP_2) | instskip(NEXT) | instid1(VALU_DEP_1)
	v_min_u32_e32 v7, 32, v7
	v_subrev_nc_u32_e32 v9, 28, v7
	v_sub_nc_u32_e32 v7, 29, v7
	s_delay_alu instid0(VALU_DEP_2) | instskip(NEXT) | instid1(VALU_DEP_2)
	v_lshlrev_b32_e32 v3, v9, v3
	v_cndmask_b32_e32 v7, v11, v7, vcc_lo
	s_delay_alu instid0(VALU_DEP_2) | instskip(NEXT) | instid1(VALU_DEP_1)
	v_and_b32_e32 v3, 7, v3
	v_cndmask_b32_e32 v3, v5, v3, vcc_lo
	s_delay_alu instid0(VALU_DEP_3) | instskip(NEXT) | instid1(VALU_DEP_2)
	v_lshl_add_u32 v5, v7, 23, 0x3b800000
	v_lshlrev_b32_e32 v3, 20, v3
	s_delay_alu instid0(VALU_DEP_1) | instskip(NEXT) | instid1(VALU_DEP_1)
	v_or3_b32 v1, v1, v5, v3
	v_trunc_f32_e32 v1, v1
	s_delay_alu instid0(VALU_DEP_1) | instskip(NEXT) | instid1(VALU_DEP_1)
	v_mul_f32_e64 v3, 0x2f800000, |v1|
	v_floor_f32_e32 v3, v3
	s_delay_alu instid0(VALU_DEP_1) | instskip(SKIP_1) | instid1(VALU_DEP_2)
	v_fma_f32 v3, 0xcf800000, v3, |v1|
	v_ashrrev_i32_e32 v1, 31, v1
	v_cvt_u32_f32_e32 v3, v3
	s_delay_alu instid0(VALU_DEP_1) | instskip(NEXT) | instid1(VALU_DEP_1)
	v_xor_b32_e32 v3, v3, v1
	v_sub_nc_u32_e32 v14, v3, v1
.LBB23_2014:
	s_or_b32 exec_lo, exec_lo, s14
.LBB23_2015:
	s_mov_b32 s14, -1
.LBB23_2016:
	s_mov_b32 s15, 0
.LBB23_2017:
	s_delay_alu instid0(SALU_CYCLE_1)
	s_and_b32 vcc_lo, exec_lo, s15
	s_cbranch_vccz .LBB23_2048
; %bb.2018:
	s_cmp_gt_i32 s9, 22
	s_cbranch_scc0 .LBB23_2026
; %bb.2019:
	s_cmp_lt_i32 s9, 24
	s_cbranch_scc1 .LBB23_2029
; %bb.2020:
	s_cmp_gt_i32 s9, 24
	s_cbranch_scc0 .LBB23_2030
; %bb.2021:
	global_load_u8 v1, v[24:25], off
	s_mov_b32 s14, 0
	s_mov_b32 s13, exec_lo
	s_wait_loadcnt 0x0
	v_cmpx_lt_i16_e32 0x7f, v1
	s_xor_b32 s13, exec_lo, s13
	s_cbranch_execz .LBB23_2042
; %bb.2022:
	v_cmp_ne_u16_e32 vcc_lo, 0x80, v1
	s_and_b32 s14, vcc_lo, exec_lo
	s_and_not1_saveexec_b32 s13, s13
	s_cbranch_execnz .LBB23_2043
.LBB23_2023:
	s_or_b32 exec_lo, exec_lo, s13
	v_mov_b32_e32 v14, 0
	s_and_saveexec_b32 s13, s14
	s_cbranch_execz .LBB23_2025
.LBB23_2024:
	v_and_b32_e32 v3, 0xffff, v1
	s_delay_alu instid0(VALU_DEP_1) | instskip(SKIP_1) | instid1(VALU_DEP_2)
	v_dual_lshlrev_b32 v1, 24, v1 :: v_dual_bitop2_b32 v5, 3, v3 bitop3:0x40
	v_bfe_u32 v11, v3, 2, 5
	v_and_b32_e32 v1, 0x80000000, v1
	s_delay_alu instid0(VALU_DEP_3) | instskip(NEXT) | instid1(VALU_DEP_3)
	v_clz_i32_u32_e32 v7, v5
	v_cmp_eq_u32_e32 vcc_lo, 0, v11
	s_delay_alu instid0(VALU_DEP_2) | instskip(NEXT) | instid1(VALU_DEP_1)
	v_min_u32_e32 v7, 32, v7
	v_subrev_nc_u32_e32 v9, 29, v7
	v_sub_nc_u32_e32 v7, 30, v7
	s_delay_alu instid0(VALU_DEP_2) | instskip(NEXT) | instid1(VALU_DEP_2)
	v_lshlrev_b32_e32 v3, v9, v3
	v_cndmask_b32_e32 v7, v11, v7, vcc_lo
	s_delay_alu instid0(VALU_DEP_2) | instskip(NEXT) | instid1(VALU_DEP_1)
	v_and_b32_e32 v3, 3, v3
	v_cndmask_b32_e32 v3, v5, v3, vcc_lo
	s_delay_alu instid0(VALU_DEP_3) | instskip(NEXT) | instid1(VALU_DEP_2)
	v_lshl_add_u32 v5, v7, 23, 0x37800000
	v_lshlrev_b32_e32 v3, 21, v3
	s_delay_alu instid0(VALU_DEP_1) | instskip(NEXT) | instid1(VALU_DEP_1)
	v_or3_b32 v1, v1, v5, v3
	v_trunc_f32_e32 v1, v1
	s_delay_alu instid0(VALU_DEP_1) | instskip(NEXT) | instid1(VALU_DEP_1)
	v_mul_f32_e64 v3, 0x2f800000, |v1|
	v_floor_f32_e32 v3, v3
	s_delay_alu instid0(VALU_DEP_1) | instskip(SKIP_1) | instid1(VALU_DEP_2)
	v_fma_f32 v3, 0xcf800000, v3, |v1|
	v_ashrrev_i32_e32 v1, 31, v1
	v_cvt_u32_f32_e32 v3, v3
	s_delay_alu instid0(VALU_DEP_1) | instskip(NEXT) | instid1(VALU_DEP_1)
	v_xor_b32_e32 v3, v3, v1
	v_sub_nc_u32_e32 v14, v3, v1
.LBB23_2025:
	s_or_b32 exec_lo, exec_lo, s13
	s_mov_b32 s13, 0
	s_branch .LBB23_2031
.LBB23_2026:
	s_mov_b32 s13, -1
                                        ; implicit-def: $vgpr14
	s_branch .LBB23_2037
.LBB23_2027:
	s_and_not1_saveexec_b32 s14, s14
	s_cbranch_execz .LBB23_2012
.LBB23_2028:
	v_cmp_ne_u16_e32 vcc_lo, 0, v1
	s_and_not1_b32 s15, s15, exec_lo
	s_and_b32 s16, vcc_lo, exec_lo
	s_delay_alu instid0(SALU_CYCLE_1)
	s_or_b32 s15, s15, s16
	s_or_b32 exec_lo, exec_lo, s14
	v_mov_b32_e32 v14, 0
	s_and_saveexec_b32 s14, s15
	s_cbranch_execnz .LBB23_2013
	s_branch .LBB23_2014
.LBB23_2029:
	s_mov_b32 s13, -1
                                        ; implicit-def: $vgpr14
	s_branch .LBB23_2034
.LBB23_2030:
	s_mov_b32 s13, -1
                                        ; implicit-def: $vgpr14
.LBB23_2031:
	s_delay_alu instid0(SALU_CYCLE_1)
	s_and_b32 vcc_lo, exec_lo, s13
	s_cbranch_vccz .LBB23_2033
; %bb.2032:
	global_load_u8 v1, v[24:25], off
	s_wait_loadcnt 0x0
	v_lshlrev_b32_e32 v1, 24, v1
	s_delay_alu instid0(VALU_DEP_1) | instskip(NEXT) | instid1(VALU_DEP_1)
	v_and_b32_e32 v3, 0x7f000000, v1
	v_clz_i32_u32_e32 v5, v3
	v_add_nc_u32_e32 v9, 0x1000000, v3
	v_cmp_ne_u32_e32 vcc_lo, 0, v3
	s_delay_alu instid0(VALU_DEP_3) | instskip(NEXT) | instid1(VALU_DEP_1)
	v_min_u32_e32 v5, 32, v5
	v_sub_nc_u32_e64 v5, v5, 4 clamp
	s_delay_alu instid0(VALU_DEP_1) | instskip(NEXT) | instid1(VALU_DEP_1)
	v_dual_lshlrev_b32 v7, v5, v3 :: v_dual_lshlrev_b32 v5, 23, v5
	v_lshrrev_b32_e32 v7, 4, v7
	s_delay_alu instid0(VALU_DEP_1) | instskip(SKIP_1) | instid1(VALU_DEP_2)
	v_sub_nc_u32_e32 v5, v7, v5
	v_ashrrev_i32_e32 v7, 8, v9
	v_add_nc_u32_e32 v5, 0x3c000000, v5
	s_delay_alu instid0(VALU_DEP_1) | instskip(NEXT) | instid1(VALU_DEP_1)
	v_and_or_b32 v5, 0x7f800000, v7, v5
	v_cndmask_b32_e32 v3, 0, v5, vcc_lo
	s_delay_alu instid0(VALU_DEP_1) | instskip(NEXT) | instid1(VALU_DEP_1)
	v_and_or_b32 v1, 0x80000000, v1, v3
	v_trunc_f32_e32 v1, v1
	s_delay_alu instid0(VALU_DEP_1) | instskip(NEXT) | instid1(VALU_DEP_1)
	v_mul_f32_e64 v3, 0x2f800000, |v1|
	v_floor_f32_e32 v3, v3
	s_delay_alu instid0(VALU_DEP_1) | instskip(SKIP_1) | instid1(VALU_DEP_2)
	v_fma_f32 v3, 0xcf800000, v3, |v1|
	v_ashrrev_i32_e32 v1, 31, v1
	v_cvt_u32_f32_e32 v3, v3
	s_delay_alu instid0(VALU_DEP_1) | instskip(NEXT) | instid1(VALU_DEP_1)
	v_xor_b32_e32 v3, v3, v1
	v_sub_nc_u32_e32 v14, v3, v1
.LBB23_2033:
	s_mov_b32 s13, 0
.LBB23_2034:
	s_delay_alu instid0(SALU_CYCLE_1)
	s_and_not1_b32 vcc_lo, exec_lo, s13
	s_cbranch_vccnz .LBB23_2036
; %bb.2035:
	global_load_u8 v1, v[24:25], off
	s_wait_loadcnt 0x0
	v_lshlrev_b32_e32 v3, 25, v1
	v_lshlrev_b16 v1, 8, v1
	s_delay_alu instid0(VALU_DEP_1) | instskip(SKIP_1) | instid1(VALU_DEP_2)
	v_and_or_b32 v7, 0x7f00, v1, 0.5
	v_bfe_i32 v1, v1, 0, 16
	v_add_f32_e32 v7, -0.5, v7
	v_lshrrev_b32_e32 v5, 4, v3
	v_cmp_gt_u32_e32 vcc_lo, 0x8000000, v3
	s_delay_alu instid0(VALU_DEP_2) | instskip(NEXT) | instid1(VALU_DEP_1)
	v_or_b32_e32 v5, 0x70000000, v5
	v_mul_f32_e32 v5, 0x7800000, v5
	s_delay_alu instid0(VALU_DEP_1) | instskip(NEXT) | instid1(VALU_DEP_1)
	v_cndmask_b32_e32 v3, v5, v7, vcc_lo
	v_and_or_b32 v1, 0x80000000, v1, v3
	s_delay_alu instid0(VALU_DEP_1) | instskip(NEXT) | instid1(VALU_DEP_1)
	v_trunc_f32_e32 v1, v1
	v_mul_f32_e64 v3, 0x2f800000, |v1|
	s_delay_alu instid0(VALU_DEP_1) | instskip(NEXT) | instid1(VALU_DEP_1)
	v_floor_f32_e32 v3, v3
	v_fma_f32 v3, 0xcf800000, v3, |v1|
	v_ashrrev_i32_e32 v1, 31, v1
	s_delay_alu instid0(VALU_DEP_2) | instskip(NEXT) | instid1(VALU_DEP_1)
	v_cvt_u32_f32_e32 v3, v3
	v_xor_b32_e32 v3, v3, v1
	s_delay_alu instid0(VALU_DEP_1)
	v_sub_nc_u32_e32 v14, v3, v1
.LBB23_2036:
	s_mov_b32 s13, 0
	s_mov_b32 s14, -1
.LBB23_2037:
	s_and_not1_b32 vcc_lo, exec_lo, s13
	s_mov_b32 s13, 0
	s_cbranch_vccnz .LBB23_2048
; %bb.2038:
	s_cmp_gt_i32 s9, 14
	s_cbranch_scc0 .LBB23_2041
; %bb.2039:
	s_cmp_eq_u32 s9, 15
	s_cbranch_scc0 .LBB23_2044
; %bb.2040:
	global_load_u16 v1, v[24:25], off
	s_mov_b32 s10, 0
	s_mov_b32 s14, -1
	s_wait_loadcnt 0x0
	v_lshlrev_b32_e32 v1, 16, v1
	s_delay_alu instid0(VALU_DEP_1) | instskip(NEXT) | instid1(VALU_DEP_1)
	v_trunc_f32_e32 v1, v1
	v_mul_f32_e64 v3, 0x2f800000, |v1|
	s_delay_alu instid0(VALU_DEP_1) | instskip(NEXT) | instid1(VALU_DEP_1)
	v_floor_f32_e32 v3, v3
	v_fma_f32 v3, 0xcf800000, v3, |v1|
	v_ashrrev_i32_e32 v1, 31, v1
	s_delay_alu instid0(VALU_DEP_2) | instskip(NEXT) | instid1(VALU_DEP_1)
	v_cvt_u32_f32_e32 v3, v3
	v_xor_b32_e32 v3, v3, v1
	s_delay_alu instid0(VALU_DEP_1)
	v_sub_nc_u32_e32 v14, v3, v1
	s_branch .LBB23_2046
.LBB23_2041:
	s_mov_b32 s13, -1
	s_branch .LBB23_2045
.LBB23_2042:
	s_and_not1_saveexec_b32 s13, s13
	s_cbranch_execz .LBB23_2023
.LBB23_2043:
	v_cmp_ne_u16_e32 vcc_lo, 0, v1
	s_and_not1_b32 s14, s14, exec_lo
	s_and_b32 s15, vcc_lo, exec_lo
	s_delay_alu instid0(SALU_CYCLE_1)
	s_or_b32 s14, s14, s15
	s_or_b32 exec_lo, exec_lo, s13
	v_mov_b32_e32 v14, 0
	s_and_saveexec_b32 s13, s14
	s_cbranch_execnz .LBB23_2024
	s_branch .LBB23_2025
.LBB23_2044:
	s_mov_b32 s10, -1
.LBB23_2045:
                                        ; implicit-def: $vgpr14
.LBB23_2046:
	s_and_b32 vcc_lo, exec_lo, s13
	s_mov_b32 s13, 0
	s_cbranch_vccz .LBB23_2048
; %bb.2047:
	s_cmp_lg_u32 s9, 11
	s_mov_b32 s13, -1
	s_cselect_b32 s10, -1, 0
.LBB23_2048:
	s_delay_alu instid0(SALU_CYCLE_1)
	s_and_b32 vcc_lo, exec_lo, s10
	s_cbranch_vccnz .LBB23_2113
; %bb.2049:
	s_and_not1_b32 vcc_lo, exec_lo, s13
	s_cbranch_vccnz .LBB23_2051
.LBB23_2050:
	global_load_u8 v1, v[24:25], off
	s_mov_b32 s14, -1
	s_wait_loadcnt 0x0
	v_cmp_ne_u16_e32 vcc_lo, 0, v1
	v_cndmask_b32_e64 v14, 0, 1, vcc_lo
.LBB23_2051:
	s_mov_b32 s10, 0
.LBB23_2052:
	s_delay_alu instid0(SALU_CYCLE_1)
	s_and_b32 vcc_lo, exec_lo, s10
	s_cbranch_vccz .LBB23_2101
; %bb.2053:
	s_cmp_lt_i32 s9, 5
	s_cbranch_scc1 .LBB23_2058
; %bb.2054:
	s_cmp_lt_i32 s9, 8
	s_cbranch_scc1 .LBB23_2059
	;; [unrolled: 3-line block ×3, first 2 shown]
; %bb.2056:
	s_cmp_gt_i32 s9, 9
	s_cbranch_scc0 .LBB23_2061
; %bb.2057:
	s_wait_loadcnt 0x0
	global_load_b64 v[14:15], v[24:25], off
	s_mov_b32 s10, 0
	s_wait_loadcnt 0x0
	v_trunc_f64_e32 v[14:15], v[14:15]
	s_delay_alu instid0(VALU_DEP_1) | instskip(NEXT) | instid1(VALU_DEP_1)
	v_ldexp_f64 v[26:27], v[14:15], 0xffffffe0
	v_floor_f64_e32 v[26:27], v[26:27]
	s_delay_alu instid0(VALU_DEP_1) | instskip(NEXT) | instid1(VALU_DEP_1)
	v_fmamk_f64 v[14:15], v[26:27], 0xc1f00000, v[14:15]
	v_cvt_u32_f64_e32 v14, v[14:15]
	s_branch .LBB23_2062
.LBB23_2058:
	s_mov_b32 s10, -1
                                        ; implicit-def: $vgpr14
	s_branch .LBB23_2080
.LBB23_2059:
	s_mov_b32 s10, -1
                                        ; implicit-def: $vgpr14
	s_branch .LBB23_2068
.LBB23_2060:
	s_mov_b32 s10, -1
                                        ; implicit-def: $vgpr14
	s_branch .LBB23_2065
.LBB23_2061:
	s_mov_b32 s10, -1
                                        ; implicit-def: $vgpr14
.LBB23_2062:
	s_delay_alu instid0(SALU_CYCLE_1)
	s_and_not1_b32 vcc_lo, exec_lo, s10
	s_cbranch_vccnz .LBB23_2064
; %bb.2063:
	global_load_b32 v1, v[24:25], off
	s_wait_loadcnt 0x0
	v_trunc_f32_e32 v1, v1
	s_delay_alu instid0(VALU_DEP_1) | instskip(NEXT) | instid1(VALU_DEP_1)
	v_mul_f32_e64 v3, 0x2f800000, |v1|
	v_floor_f32_e32 v3, v3
	s_delay_alu instid0(VALU_DEP_1) | instskip(SKIP_1) | instid1(VALU_DEP_2)
	v_fma_f32 v3, 0xcf800000, v3, |v1|
	v_ashrrev_i32_e32 v1, 31, v1
	v_cvt_u32_f32_e32 v3, v3
	s_delay_alu instid0(VALU_DEP_1) | instskip(NEXT) | instid1(VALU_DEP_1)
	v_xor_b32_e32 v3, v3, v1
	v_sub_nc_u32_e32 v14, v3, v1
.LBB23_2064:
	s_mov_b32 s10, 0
.LBB23_2065:
	s_delay_alu instid0(SALU_CYCLE_1)
	s_and_not1_b32 vcc_lo, exec_lo, s10
	s_cbranch_vccnz .LBB23_2067
; %bb.2066:
	global_load_b32 v1, v[24:25], off
	s_wait_loadcnt 0x0
	v_cvt_f32_f16_e32 v1, v1
	s_delay_alu instid0(VALU_DEP_1)
	v_cvt_i32_f32_e32 v14, v1
.LBB23_2067:
	s_mov_b32 s10, 0
.LBB23_2068:
	s_delay_alu instid0(SALU_CYCLE_1)
	s_and_not1_b32 vcc_lo, exec_lo, s10
	s_cbranch_vccnz .LBB23_2079
; %bb.2069:
	s_cmp_lt_i32 s9, 6
	s_cbranch_scc1 .LBB23_2072
; %bb.2070:
	s_cmp_gt_i32 s9, 6
	s_cbranch_scc0 .LBB23_2073
; %bb.2071:
	s_wait_loadcnt 0x0
	global_load_b64 v[14:15], v[24:25], off
	s_mov_b32 s10, 0
	s_wait_loadcnt 0x0
	v_trunc_f64_e32 v[14:15], v[14:15]
	s_delay_alu instid0(VALU_DEP_1) | instskip(NEXT) | instid1(VALU_DEP_1)
	v_ldexp_f64 v[26:27], v[14:15], 0xffffffe0
	v_floor_f64_e32 v[26:27], v[26:27]
	s_delay_alu instid0(VALU_DEP_1) | instskip(NEXT) | instid1(VALU_DEP_1)
	v_fmamk_f64 v[14:15], v[26:27], 0xc1f00000, v[14:15]
	v_cvt_u32_f64_e32 v14, v[14:15]
	s_branch .LBB23_2074
.LBB23_2072:
	s_mov_b32 s10, -1
                                        ; implicit-def: $vgpr14
	s_branch .LBB23_2077
.LBB23_2073:
	s_mov_b32 s10, -1
                                        ; implicit-def: $vgpr14
.LBB23_2074:
	s_delay_alu instid0(SALU_CYCLE_1)
	s_and_not1_b32 vcc_lo, exec_lo, s10
	s_cbranch_vccnz .LBB23_2076
; %bb.2075:
	global_load_b32 v1, v[24:25], off
	s_wait_loadcnt 0x0
	v_trunc_f32_e32 v1, v1
	s_delay_alu instid0(VALU_DEP_1) | instskip(NEXT) | instid1(VALU_DEP_1)
	v_mul_f32_e64 v3, 0x2f800000, |v1|
	v_floor_f32_e32 v3, v3
	s_delay_alu instid0(VALU_DEP_1) | instskip(SKIP_1) | instid1(VALU_DEP_2)
	v_fma_f32 v3, 0xcf800000, v3, |v1|
	v_ashrrev_i32_e32 v1, 31, v1
	v_cvt_u32_f32_e32 v3, v3
	s_delay_alu instid0(VALU_DEP_1) | instskip(NEXT) | instid1(VALU_DEP_1)
	v_xor_b32_e32 v3, v3, v1
	v_sub_nc_u32_e32 v14, v3, v1
.LBB23_2076:
	s_mov_b32 s10, 0
.LBB23_2077:
	s_delay_alu instid0(SALU_CYCLE_1)
	s_and_not1_b32 vcc_lo, exec_lo, s10
	s_cbranch_vccnz .LBB23_2079
; %bb.2078:
	global_load_u16 v1, v[24:25], off
	s_wait_loadcnt 0x0
	v_cvt_f32_f16_e32 v1, v1
	s_delay_alu instid0(VALU_DEP_1)
	v_cvt_i32_f32_e32 v14, v1
.LBB23_2079:
	s_mov_b32 s10, 0
.LBB23_2080:
	s_delay_alu instid0(SALU_CYCLE_1)
	s_and_not1_b32 vcc_lo, exec_lo, s10
	s_cbranch_vccnz .LBB23_2100
; %bb.2081:
	s_cmp_lt_i32 s9, 2
	s_cbranch_scc1 .LBB23_2085
; %bb.2082:
	s_cmp_lt_i32 s9, 3
	s_cbranch_scc1 .LBB23_2086
; %bb.2083:
	s_cmp_gt_i32 s9, 3
	s_cbranch_scc0 .LBB23_2087
; %bb.2084:
	s_wait_loadcnt 0x0
	global_load_b64 v[14:15], v[24:25], off
	s_mov_b32 s10, 0
	s_branch .LBB23_2088
.LBB23_2085:
	s_mov_b32 s10, -1
                                        ; implicit-def: $vgpr14
	s_branch .LBB23_2094
.LBB23_2086:
	s_mov_b32 s10, -1
                                        ; implicit-def: $vgpr14
	s_branch .LBB23_2091
.LBB23_2087:
	s_mov_b32 s10, -1
                                        ; implicit-def: $vgpr14
.LBB23_2088:
	s_delay_alu instid0(SALU_CYCLE_1)
	s_and_not1_b32 vcc_lo, exec_lo, s10
	s_cbranch_vccnz .LBB23_2090
; %bb.2089:
	s_wait_loadcnt 0x0
	global_load_b32 v14, v[24:25], off
.LBB23_2090:
	s_mov_b32 s10, 0
.LBB23_2091:
	s_delay_alu instid0(SALU_CYCLE_1)
	s_and_not1_b32 vcc_lo, exec_lo, s10
	s_cbranch_vccnz .LBB23_2093
; %bb.2092:
	s_wait_loadcnt 0x0
	global_load_u16 v14, v[24:25], off
.LBB23_2093:
	s_mov_b32 s10, 0
.LBB23_2094:
	s_delay_alu instid0(SALU_CYCLE_1)
	s_and_not1_b32 vcc_lo, exec_lo, s10
	s_cbranch_vccnz .LBB23_2100
; %bb.2095:
	s_cmp_gt_i32 s9, 0
	s_mov_b32 s10, 0
	s_cbranch_scc0 .LBB23_2097
; %bb.2096:
	s_wait_loadcnt 0x0
	global_load_u8 v14, v[24:25], off
	s_branch .LBB23_2098
.LBB23_2097:
	s_mov_b32 s10, -1
                                        ; implicit-def: $vgpr14
.LBB23_2098:
	s_delay_alu instid0(SALU_CYCLE_1)
	s_and_not1_b32 vcc_lo, exec_lo, s10
	s_cbranch_vccnz .LBB23_2100
; %bb.2099:
	s_wait_loadcnt 0x0
	global_load_u8 v14, v[24:25], off
.LBB23_2100:
	s_mov_b32 s14, -1
.LBB23_2101:
	s_delay_alu instid0(SALU_CYCLE_1)
	s_and_not1_b32 vcc_lo, exec_lo, s14
	s_cbranch_vccnz .LBB23_3216
; %bb.2102:
	v_mov_b32_e32 v19, 0
	s_and_b32 s10, 0xffff, s12
	s_delay_alu instid0(SALU_CYCLE_1) | instskip(SKIP_1) | instid1(VALU_DEP_1)
	s_cmp_lt_i32 s10, 11
	s_wait_xcnt 0x0
	v_add_nc_u64_e32 v[24:25], s[4:5], v[18:19]
	s_cbranch_scc1 .LBB23_2109
; %bb.2103:
	s_cmp_gt_i32 s10, 25
	s_mov_b32 s13, 0
	s_cbranch_scc0 .LBB23_2110
; %bb.2104:
	s_cmp_gt_i32 s10, 28
	s_cbranch_scc0 .LBB23_2111
; %bb.2105:
	s_cmp_gt_i32 s10, 43
	;; [unrolled: 3-line block ×3, first 2 shown]
	s_cbranch_scc0 .LBB23_2114
; %bb.2107:
	s_cmp_eq_u32 s10, 46
	s_mov_b32 s15, 0
	s_cbranch_scc0 .LBB23_2117
; %bb.2108:
	global_load_b32 v1, v[24:25], off
	s_mov_b32 s12, 0
	s_mov_b32 s14, -1
	s_wait_loadcnt 0x0
	v_lshlrev_b32_e32 v1, 16, v1
	s_delay_alu instid0(VALU_DEP_1) | instskip(NEXT) | instid1(VALU_DEP_1)
	v_trunc_f32_e32 v1, v1
	v_mul_f32_e64 v3, 0x2f800000, |v1|
	s_delay_alu instid0(VALU_DEP_1) | instskip(NEXT) | instid1(VALU_DEP_1)
	v_floor_f32_e32 v3, v3
	v_fma_f32 v3, 0xcf800000, v3, |v1|
	v_ashrrev_i32_e32 v1, 31, v1
	s_delay_alu instid0(VALU_DEP_2) | instskip(NEXT) | instid1(VALU_DEP_1)
	v_cvt_u32_f32_e32 v3, v3
	v_xor_b32_e32 v3, v3, v1
	s_delay_alu instid0(VALU_DEP_1)
	v_sub_nc_u32_e32 v18, v3, v1
	s_branch .LBB23_2119
.LBB23_2109:
	s_mov_b32 s12, -1
	s_mov_b32 s14, 0
                                        ; implicit-def: $vgpr18
	s_branch .LBB23_2181
.LBB23_2110:
	s_mov_b32 s15, -1
	s_mov_b32 s14, 0
	s_mov_b32 s12, 0
                                        ; implicit-def: $vgpr18
	s_branch .LBB23_2146
.LBB23_2111:
	s_mov_b32 s15, -1
	s_mov_b32 s14, 0
	s_mov_b32 s12, 0
                                        ; implicit-def: $vgpr18
	s_branch .LBB23_2129
.LBB23_2112:
	s_mov_b32 s15, -1
	s_mov_b32 s14, 0
	s_mov_b32 s12, 0
                                        ; implicit-def: $vgpr18
	s_branch .LBB23_2124
.LBB23_2113:
	s_or_b32 s8, s8, exec_lo
	s_trap 2
	s_cbranch_execz .LBB23_2050
	s_branch .LBB23_2051
.LBB23_2114:
	s_mov_b32 s15, -1
	s_mov_b32 s14, 0
	s_mov_b32 s12, 0
	s_branch .LBB23_2118
.LBB23_2115:
	s_and_not1_saveexec_b32 s56, s56
	s_cbranch_execz .LBB23_1140
.LBB23_2116:
	v_add_f32_e32 v4, 0x46000000, v5
	s_and_not1_b32 s55, s55, exec_lo
	s_delay_alu instid0(VALU_DEP_1) | instskip(NEXT) | instid1(VALU_DEP_1)
	v_and_b32_e32 v4, 0xff, v4
	v_cmp_ne_u32_e32 vcc_lo, 0, v4
	s_and_b32 s57, vcc_lo, exec_lo
	s_delay_alu instid0(SALU_CYCLE_1)
	s_or_b32 s55, s55, s57
	s_or_b32 exec_lo, exec_lo, s56
	v_mov_b32_e32 v6, 0
	s_and_saveexec_b32 s56, s55
	s_cbranch_execnz .LBB23_1141
	s_branch .LBB23_1142
.LBB23_2117:
	s_mov_b32 s12, -1
	s_mov_b32 s14, 0
.LBB23_2118:
                                        ; implicit-def: $vgpr18
.LBB23_2119:
	s_and_b32 vcc_lo, exec_lo, s15
	s_cbranch_vccz .LBB23_2123
; %bb.2120:
	s_cmp_eq_u32 s10, 44
	s_cbranch_scc0 .LBB23_2122
; %bb.2121:
	global_load_u8 v1, v[24:25], off
	s_mov_b32 s12, 0
	s_mov_b32 s14, -1
	s_wait_loadcnt 0x0
	v_lshlrev_b32_e32 v3, 23, v1
	v_cmp_ne_u32_e32 vcc_lo, 0, v1
	s_delay_alu instid0(VALU_DEP_2) | instskip(NEXT) | instid1(VALU_DEP_1)
	v_trunc_f32_e32 v3, v3
	v_mul_f32_e64 v5, 0x2f800000, |v3|
	s_delay_alu instid0(VALU_DEP_1) | instskip(NEXT) | instid1(VALU_DEP_1)
	v_floor_f32_e32 v5, v5
	v_fma_f32 v5, 0xcf800000, v5, |v3|
	v_ashrrev_i32_e32 v3, 31, v3
	s_delay_alu instid0(VALU_DEP_2) | instskip(NEXT) | instid1(VALU_DEP_1)
	v_cvt_u32_f32_e32 v5, v5
	v_xor_b32_e32 v5, v5, v3
	s_delay_alu instid0(VALU_DEP_1) | instskip(NEXT) | instid1(VALU_DEP_1)
	v_sub_nc_u32_e32 v3, v5, v3
	v_cndmask_b32_e32 v18, 0, v3, vcc_lo
	s_branch .LBB23_2123
.LBB23_2122:
	s_mov_b32 s12, -1
                                        ; implicit-def: $vgpr18
.LBB23_2123:
	s_mov_b32 s15, 0
.LBB23_2124:
	s_delay_alu instid0(SALU_CYCLE_1)
	s_and_b32 vcc_lo, exec_lo, s15
	s_cbranch_vccz .LBB23_2128
; %bb.2125:
	s_cmp_eq_u32 s10, 29
	s_cbranch_scc0 .LBB23_2127
; %bb.2126:
	global_load_b64 v[18:19], v[24:25], off
	s_mov_b32 s12, 0
	s_mov_b32 s14, -1
	s_branch .LBB23_2128
.LBB23_2127:
	s_mov_b32 s12, -1
                                        ; implicit-def: $vgpr18
.LBB23_2128:
	s_mov_b32 s15, 0
.LBB23_2129:
	s_delay_alu instid0(SALU_CYCLE_1)
	s_and_b32 vcc_lo, exec_lo, s15
	s_cbranch_vccz .LBB23_2145
; %bb.2130:
	s_cmp_lt_i32 s10, 27
	s_cbranch_scc1 .LBB23_2133
; %bb.2131:
	s_cmp_gt_i32 s10, 27
	s_cbranch_scc0 .LBB23_2134
; %bb.2132:
	s_wait_loadcnt 0x0
	global_load_b32 v18, v[24:25], off
	s_mov_b32 s14, 0
	s_branch .LBB23_2135
.LBB23_2133:
	s_mov_b32 s14, -1
                                        ; implicit-def: $vgpr18
	s_branch .LBB23_2138
.LBB23_2134:
	s_mov_b32 s14, -1
                                        ; implicit-def: $vgpr18
.LBB23_2135:
	s_delay_alu instid0(SALU_CYCLE_1)
	s_and_not1_b32 vcc_lo, exec_lo, s14
	s_cbranch_vccnz .LBB23_2137
; %bb.2136:
	s_wait_loadcnt 0x0
	global_load_u16 v18, v[24:25], off
.LBB23_2137:
	s_mov_b32 s14, 0
.LBB23_2138:
	s_delay_alu instid0(SALU_CYCLE_1)
	s_and_not1_b32 vcc_lo, exec_lo, s14
	s_cbranch_vccnz .LBB23_2144
; %bb.2139:
	global_load_u8 v1, v[24:25], off
	s_mov_b32 s15, 0
	s_mov_b32 s14, exec_lo
	s_wait_loadcnt 0x0
	v_cmpx_lt_i16_e32 0x7f, v1
	s_xor_b32 s14, exec_lo, s14
	s_cbranch_execz .LBB23_2156
; %bb.2140:
	v_cmp_ne_u16_e32 vcc_lo, 0x80, v1
	s_and_b32 s15, vcc_lo, exec_lo
	s_and_not1_saveexec_b32 s14, s14
	s_cbranch_execnz .LBB23_2157
.LBB23_2141:
	s_or_b32 exec_lo, exec_lo, s14
	v_mov_b32_e32 v18, 0
	s_and_saveexec_b32 s14, s15
	s_cbranch_execz .LBB23_2143
.LBB23_2142:
	v_and_b32_e32 v3, 0xffff, v1
	s_delay_alu instid0(VALU_DEP_1) | instskip(SKIP_1) | instid1(VALU_DEP_2)
	v_dual_lshlrev_b32 v1, 24, v1 :: v_dual_bitop2_b32 v5, 7, v3 bitop3:0x40
	v_bfe_u32 v11, v3, 3, 4
	v_and_b32_e32 v1, 0x80000000, v1
	s_delay_alu instid0(VALU_DEP_3) | instskip(NEXT) | instid1(VALU_DEP_3)
	v_clz_i32_u32_e32 v7, v5
	v_cmp_eq_u32_e32 vcc_lo, 0, v11
	s_delay_alu instid0(VALU_DEP_2) | instskip(NEXT) | instid1(VALU_DEP_1)
	v_min_u32_e32 v7, 32, v7
	v_subrev_nc_u32_e32 v9, 28, v7
	v_sub_nc_u32_e32 v7, 29, v7
	s_delay_alu instid0(VALU_DEP_2) | instskip(NEXT) | instid1(VALU_DEP_2)
	v_lshlrev_b32_e32 v3, v9, v3
	v_cndmask_b32_e32 v7, v11, v7, vcc_lo
	s_delay_alu instid0(VALU_DEP_2) | instskip(NEXT) | instid1(VALU_DEP_1)
	v_and_b32_e32 v3, 7, v3
	v_cndmask_b32_e32 v3, v5, v3, vcc_lo
	s_delay_alu instid0(VALU_DEP_3) | instskip(NEXT) | instid1(VALU_DEP_2)
	v_lshl_add_u32 v5, v7, 23, 0x3b800000
	v_lshlrev_b32_e32 v3, 20, v3
	s_delay_alu instid0(VALU_DEP_1) | instskip(NEXT) | instid1(VALU_DEP_1)
	v_or3_b32 v1, v1, v5, v3
	v_trunc_f32_e32 v1, v1
	s_delay_alu instid0(VALU_DEP_1) | instskip(NEXT) | instid1(VALU_DEP_1)
	v_mul_f32_e64 v3, 0x2f800000, |v1|
	v_floor_f32_e32 v3, v3
	s_delay_alu instid0(VALU_DEP_1) | instskip(SKIP_1) | instid1(VALU_DEP_2)
	v_fma_f32 v3, 0xcf800000, v3, |v1|
	v_ashrrev_i32_e32 v1, 31, v1
	v_cvt_u32_f32_e32 v3, v3
	s_delay_alu instid0(VALU_DEP_1) | instskip(NEXT) | instid1(VALU_DEP_1)
	v_xor_b32_e32 v3, v3, v1
	v_sub_nc_u32_e32 v18, v3, v1
.LBB23_2143:
	s_or_b32 exec_lo, exec_lo, s14
.LBB23_2144:
	s_mov_b32 s14, -1
.LBB23_2145:
	s_mov_b32 s15, 0
.LBB23_2146:
	s_delay_alu instid0(SALU_CYCLE_1)
	s_and_b32 vcc_lo, exec_lo, s15
	s_cbranch_vccz .LBB23_2177
; %bb.2147:
	s_cmp_gt_i32 s10, 22
	s_cbranch_scc0 .LBB23_2155
; %bb.2148:
	s_cmp_lt_i32 s10, 24
	s_cbranch_scc1 .LBB23_2158
; %bb.2149:
	s_cmp_gt_i32 s10, 24
	s_cbranch_scc0 .LBB23_2159
; %bb.2150:
	global_load_u8 v1, v[24:25], off
	s_mov_b32 s14, 0
	s_mov_b32 s13, exec_lo
	s_wait_loadcnt 0x0
	v_cmpx_lt_i16_e32 0x7f, v1
	s_xor_b32 s13, exec_lo, s13
	s_cbranch_execz .LBB23_2171
; %bb.2151:
	v_cmp_ne_u16_e32 vcc_lo, 0x80, v1
	s_and_b32 s14, vcc_lo, exec_lo
	s_and_not1_saveexec_b32 s13, s13
	s_cbranch_execnz .LBB23_2172
.LBB23_2152:
	s_or_b32 exec_lo, exec_lo, s13
	v_mov_b32_e32 v18, 0
	s_and_saveexec_b32 s13, s14
	s_cbranch_execz .LBB23_2154
.LBB23_2153:
	v_and_b32_e32 v3, 0xffff, v1
	s_delay_alu instid0(VALU_DEP_1) | instskip(SKIP_1) | instid1(VALU_DEP_2)
	v_dual_lshlrev_b32 v1, 24, v1 :: v_dual_bitop2_b32 v5, 3, v3 bitop3:0x40
	v_bfe_u32 v11, v3, 2, 5
	v_and_b32_e32 v1, 0x80000000, v1
	s_delay_alu instid0(VALU_DEP_3) | instskip(NEXT) | instid1(VALU_DEP_3)
	v_clz_i32_u32_e32 v7, v5
	v_cmp_eq_u32_e32 vcc_lo, 0, v11
	s_delay_alu instid0(VALU_DEP_2) | instskip(NEXT) | instid1(VALU_DEP_1)
	v_min_u32_e32 v7, 32, v7
	v_subrev_nc_u32_e32 v9, 29, v7
	v_sub_nc_u32_e32 v7, 30, v7
	s_delay_alu instid0(VALU_DEP_2) | instskip(NEXT) | instid1(VALU_DEP_2)
	v_lshlrev_b32_e32 v3, v9, v3
	v_cndmask_b32_e32 v7, v11, v7, vcc_lo
	s_delay_alu instid0(VALU_DEP_2) | instskip(NEXT) | instid1(VALU_DEP_1)
	v_and_b32_e32 v3, 3, v3
	v_cndmask_b32_e32 v3, v5, v3, vcc_lo
	s_delay_alu instid0(VALU_DEP_3) | instskip(NEXT) | instid1(VALU_DEP_2)
	v_lshl_add_u32 v5, v7, 23, 0x37800000
	v_lshlrev_b32_e32 v3, 21, v3
	s_delay_alu instid0(VALU_DEP_1) | instskip(NEXT) | instid1(VALU_DEP_1)
	v_or3_b32 v1, v1, v5, v3
	v_trunc_f32_e32 v1, v1
	s_delay_alu instid0(VALU_DEP_1) | instskip(NEXT) | instid1(VALU_DEP_1)
	v_mul_f32_e64 v3, 0x2f800000, |v1|
	v_floor_f32_e32 v3, v3
	s_delay_alu instid0(VALU_DEP_1) | instskip(SKIP_1) | instid1(VALU_DEP_2)
	v_fma_f32 v3, 0xcf800000, v3, |v1|
	v_ashrrev_i32_e32 v1, 31, v1
	v_cvt_u32_f32_e32 v3, v3
	s_delay_alu instid0(VALU_DEP_1) | instskip(NEXT) | instid1(VALU_DEP_1)
	v_xor_b32_e32 v3, v3, v1
	v_sub_nc_u32_e32 v18, v3, v1
.LBB23_2154:
	s_or_b32 exec_lo, exec_lo, s13
	s_mov_b32 s13, 0
	s_branch .LBB23_2160
.LBB23_2155:
	s_mov_b32 s13, -1
                                        ; implicit-def: $vgpr18
	s_branch .LBB23_2166
.LBB23_2156:
	s_and_not1_saveexec_b32 s14, s14
	s_cbranch_execz .LBB23_2141
.LBB23_2157:
	v_cmp_ne_u16_e32 vcc_lo, 0, v1
	s_and_not1_b32 s15, s15, exec_lo
	s_and_b32 s16, vcc_lo, exec_lo
	s_delay_alu instid0(SALU_CYCLE_1)
	s_or_b32 s15, s15, s16
	s_or_b32 exec_lo, exec_lo, s14
	v_mov_b32_e32 v18, 0
	s_and_saveexec_b32 s14, s15
	s_cbranch_execnz .LBB23_2142
	s_branch .LBB23_2143
.LBB23_2158:
	s_mov_b32 s13, -1
                                        ; implicit-def: $vgpr18
	s_branch .LBB23_2163
.LBB23_2159:
	s_mov_b32 s13, -1
                                        ; implicit-def: $vgpr18
.LBB23_2160:
	s_delay_alu instid0(SALU_CYCLE_1)
	s_and_b32 vcc_lo, exec_lo, s13
	s_cbranch_vccz .LBB23_2162
; %bb.2161:
	global_load_u8 v1, v[24:25], off
	s_wait_loadcnt 0x0
	v_lshlrev_b32_e32 v1, 24, v1
	s_delay_alu instid0(VALU_DEP_1) | instskip(NEXT) | instid1(VALU_DEP_1)
	v_and_b32_e32 v3, 0x7f000000, v1
	v_clz_i32_u32_e32 v5, v3
	v_add_nc_u32_e32 v9, 0x1000000, v3
	v_cmp_ne_u32_e32 vcc_lo, 0, v3
	s_delay_alu instid0(VALU_DEP_3) | instskip(NEXT) | instid1(VALU_DEP_1)
	v_min_u32_e32 v5, 32, v5
	v_sub_nc_u32_e64 v5, v5, 4 clamp
	s_delay_alu instid0(VALU_DEP_1) | instskip(NEXT) | instid1(VALU_DEP_1)
	v_dual_lshlrev_b32 v7, v5, v3 :: v_dual_lshlrev_b32 v5, 23, v5
	v_lshrrev_b32_e32 v7, 4, v7
	s_delay_alu instid0(VALU_DEP_1) | instskip(SKIP_1) | instid1(VALU_DEP_2)
	v_sub_nc_u32_e32 v5, v7, v5
	v_ashrrev_i32_e32 v7, 8, v9
	v_add_nc_u32_e32 v5, 0x3c000000, v5
	s_delay_alu instid0(VALU_DEP_1) | instskip(NEXT) | instid1(VALU_DEP_1)
	v_and_or_b32 v5, 0x7f800000, v7, v5
	v_cndmask_b32_e32 v3, 0, v5, vcc_lo
	s_delay_alu instid0(VALU_DEP_1) | instskip(NEXT) | instid1(VALU_DEP_1)
	v_and_or_b32 v1, 0x80000000, v1, v3
	v_trunc_f32_e32 v1, v1
	s_delay_alu instid0(VALU_DEP_1) | instskip(NEXT) | instid1(VALU_DEP_1)
	v_mul_f32_e64 v3, 0x2f800000, |v1|
	v_floor_f32_e32 v3, v3
	s_delay_alu instid0(VALU_DEP_1) | instskip(SKIP_1) | instid1(VALU_DEP_2)
	v_fma_f32 v3, 0xcf800000, v3, |v1|
	v_ashrrev_i32_e32 v1, 31, v1
	v_cvt_u32_f32_e32 v3, v3
	s_delay_alu instid0(VALU_DEP_1) | instskip(NEXT) | instid1(VALU_DEP_1)
	v_xor_b32_e32 v3, v3, v1
	v_sub_nc_u32_e32 v18, v3, v1
.LBB23_2162:
	s_mov_b32 s13, 0
.LBB23_2163:
	s_delay_alu instid0(SALU_CYCLE_1)
	s_and_not1_b32 vcc_lo, exec_lo, s13
	s_cbranch_vccnz .LBB23_2165
; %bb.2164:
	global_load_u8 v1, v[24:25], off
	s_wait_loadcnt 0x0
	v_lshlrev_b32_e32 v3, 25, v1
	v_lshlrev_b16 v1, 8, v1
	s_delay_alu instid0(VALU_DEP_1) | instskip(SKIP_1) | instid1(VALU_DEP_2)
	v_and_or_b32 v7, 0x7f00, v1, 0.5
	v_bfe_i32 v1, v1, 0, 16
	v_add_f32_e32 v7, -0.5, v7
	v_lshrrev_b32_e32 v5, 4, v3
	v_cmp_gt_u32_e32 vcc_lo, 0x8000000, v3
	s_delay_alu instid0(VALU_DEP_2) | instskip(NEXT) | instid1(VALU_DEP_1)
	v_or_b32_e32 v5, 0x70000000, v5
	v_mul_f32_e32 v5, 0x7800000, v5
	s_delay_alu instid0(VALU_DEP_1) | instskip(NEXT) | instid1(VALU_DEP_1)
	v_cndmask_b32_e32 v3, v5, v7, vcc_lo
	v_and_or_b32 v1, 0x80000000, v1, v3
	s_delay_alu instid0(VALU_DEP_1) | instskip(NEXT) | instid1(VALU_DEP_1)
	v_trunc_f32_e32 v1, v1
	v_mul_f32_e64 v3, 0x2f800000, |v1|
	s_delay_alu instid0(VALU_DEP_1) | instskip(NEXT) | instid1(VALU_DEP_1)
	v_floor_f32_e32 v3, v3
	v_fma_f32 v3, 0xcf800000, v3, |v1|
	v_ashrrev_i32_e32 v1, 31, v1
	s_delay_alu instid0(VALU_DEP_2) | instskip(NEXT) | instid1(VALU_DEP_1)
	v_cvt_u32_f32_e32 v3, v3
	v_xor_b32_e32 v3, v3, v1
	s_delay_alu instid0(VALU_DEP_1)
	v_sub_nc_u32_e32 v18, v3, v1
.LBB23_2165:
	s_mov_b32 s13, 0
	s_mov_b32 s14, -1
.LBB23_2166:
	s_and_not1_b32 vcc_lo, exec_lo, s13
	s_mov_b32 s13, 0
	s_cbranch_vccnz .LBB23_2177
; %bb.2167:
	s_cmp_gt_i32 s10, 14
	s_cbranch_scc0 .LBB23_2170
; %bb.2168:
	s_cmp_eq_u32 s10, 15
	s_cbranch_scc0 .LBB23_2173
; %bb.2169:
	global_load_u16 v1, v[24:25], off
	s_mov_b32 s12, 0
	s_mov_b32 s14, -1
	s_wait_loadcnt 0x0
	v_lshlrev_b32_e32 v1, 16, v1
	s_delay_alu instid0(VALU_DEP_1) | instskip(NEXT) | instid1(VALU_DEP_1)
	v_trunc_f32_e32 v1, v1
	v_mul_f32_e64 v3, 0x2f800000, |v1|
	s_delay_alu instid0(VALU_DEP_1) | instskip(NEXT) | instid1(VALU_DEP_1)
	v_floor_f32_e32 v3, v3
	v_fma_f32 v3, 0xcf800000, v3, |v1|
	v_ashrrev_i32_e32 v1, 31, v1
	s_delay_alu instid0(VALU_DEP_2) | instskip(NEXT) | instid1(VALU_DEP_1)
	v_cvt_u32_f32_e32 v3, v3
	v_xor_b32_e32 v3, v3, v1
	s_delay_alu instid0(VALU_DEP_1)
	v_sub_nc_u32_e32 v18, v3, v1
	s_branch .LBB23_2175
.LBB23_2170:
	s_mov_b32 s13, -1
	s_branch .LBB23_2174
.LBB23_2171:
	s_and_not1_saveexec_b32 s13, s13
	s_cbranch_execz .LBB23_2152
.LBB23_2172:
	v_cmp_ne_u16_e32 vcc_lo, 0, v1
	s_and_not1_b32 s14, s14, exec_lo
	s_and_b32 s15, vcc_lo, exec_lo
	s_delay_alu instid0(SALU_CYCLE_1)
	s_or_b32 s14, s14, s15
	s_or_b32 exec_lo, exec_lo, s13
	v_mov_b32_e32 v18, 0
	s_and_saveexec_b32 s13, s14
	s_cbranch_execnz .LBB23_2153
	s_branch .LBB23_2154
.LBB23_2173:
	s_mov_b32 s12, -1
.LBB23_2174:
                                        ; implicit-def: $vgpr18
.LBB23_2175:
	s_and_b32 vcc_lo, exec_lo, s13
	s_mov_b32 s13, 0
	s_cbranch_vccz .LBB23_2177
; %bb.2176:
	s_cmp_lg_u32 s10, 11
	s_mov_b32 s13, -1
	s_cselect_b32 s12, -1, 0
.LBB23_2177:
	s_delay_alu instid0(SALU_CYCLE_1)
	s_and_b32 vcc_lo, exec_lo, s12
	s_cbranch_vccnz .LBB23_2261
; %bb.2178:
	s_and_not1_b32 vcc_lo, exec_lo, s13
	s_cbranch_vccnz .LBB23_2180
.LBB23_2179:
	global_load_u8 v1, v[24:25], off
	s_mov_b32 s14, -1
	s_wait_loadcnt 0x0
	v_cmp_ne_u16_e32 vcc_lo, 0, v1
	v_cndmask_b32_e64 v18, 0, 1, vcc_lo
.LBB23_2180:
	s_mov_b32 s12, 0
.LBB23_2181:
	s_delay_alu instid0(SALU_CYCLE_1)
	s_and_b32 vcc_lo, exec_lo, s12
	s_cbranch_vccz .LBB23_2230
; %bb.2182:
	s_cmp_lt_i32 s10, 5
	s_cbranch_scc1 .LBB23_2187
; %bb.2183:
	s_cmp_lt_i32 s10, 8
	s_cbranch_scc1 .LBB23_2188
	;; [unrolled: 3-line block ×3, first 2 shown]
; %bb.2185:
	s_cmp_gt_i32 s10, 9
	s_cbranch_scc0 .LBB23_2190
; %bb.2186:
	s_wait_loadcnt 0x0
	global_load_b64 v[18:19], v[24:25], off
	s_mov_b32 s12, 0
	s_wait_loadcnt 0x0
	v_trunc_f64_e32 v[18:19], v[18:19]
	s_delay_alu instid0(VALU_DEP_1) | instskip(NEXT) | instid1(VALU_DEP_1)
	v_ldexp_f64 v[26:27], v[18:19], 0xffffffe0
	v_floor_f64_e32 v[26:27], v[26:27]
	s_delay_alu instid0(VALU_DEP_1) | instskip(NEXT) | instid1(VALU_DEP_1)
	v_fmamk_f64 v[18:19], v[26:27], 0xc1f00000, v[18:19]
	v_cvt_u32_f64_e32 v18, v[18:19]
	s_branch .LBB23_2191
.LBB23_2187:
	s_mov_b32 s12, -1
                                        ; implicit-def: $vgpr18
	s_branch .LBB23_2209
.LBB23_2188:
	s_mov_b32 s12, -1
                                        ; implicit-def: $vgpr18
	s_branch .LBB23_2197
.LBB23_2189:
	s_mov_b32 s12, -1
                                        ; implicit-def: $vgpr18
	s_branch .LBB23_2194
.LBB23_2190:
	s_mov_b32 s12, -1
                                        ; implicit-def: $vgpr18
.LBB23_2191:
	s_delay_alu instid0(SALU_CYCLE_1)
	s_and_not1_b32 vcc_lo, exec_lo, s12
	s_cbranch_vccnz .LBB23_2193
; %bb.2192:
	global_load_b32 v1, v[24:25], off
	s_wait_loadcnt 0x0
	v_trunc_f32_e32 v1, v1
	s_delay_alu instid0(VALU_DEP_1) | instskip(NEXT) | instid1(VALU_DEP_1)
	v_mul_f32_e64 v3, 0x2f800000, |v1|
	v_floor_f32_e32 v3, v3
	s_delay_alu instid0(VALU_DEP_1) | instskip(SKIP_1) | instid1(VALU_DEP_2)
	v_fma_f32 v3, 0xcf800000, v3, |v1|
	v_ashrrev_i32_e32 v1, 31, v1
	v_cvt_u32_f32_e32 v3, v3
	s_delay_alu instid0(VALU_DEP_1) | instskip(NEXT) | instid1(VALU_DEP_1)
	v_xor_b32_e32 v3, v3, v1
	v_sub_nc_u32_e32 v18, v3, v1
.LBB23_2193:
	s_mov_b32 s12, 0
.LBB23_2194:
	s_delay_alu instid0(SALU_CYCLE_1)
	s_and_not1_b32 vcc_lo, exec_lo, s12
	s_cbranch_vccnz .LBB23_2196
; %bb.2195:
	global_load_b32 v1, v[24:25], off
	s_wait_loadcnt 0x0
	v_cvt_f32_f16_e32 v1, v1
	s_delay_alu instid0(VALU_DEP_1)
	v_cvt_i32_f32_e32 v18, v1
.LBB23_2196:
	s_mov_b32 s12, 0
.LBB23_2197:
	s_delay_alu instid0(SALU_CYCLE_1)
	s_and_not1_b32 vcc_lo, exec_lo, s12
	s_cbranch_vccnz .LBB23_2208
; %bb.2198:
	s_cmp_lt_i32 s10, 6
	s_cbranch_scc1 .LBB23_2201
; %bb.2199:
	s_cmp_gt_i32 s10, 6
	s_cbranch_scc0 .LBB23_2202
; %bb.2200:
	s_wait_loadcnt 0x0
	global_load_b64 v[18:19], v[24:25], off
	s_mov_b32 s12, 0
	s_wait_loadcnt 0x0
	v_trunc_f64_e32 v[18:19], v[18:19]
	s_delay_alu instid0(VALU_DEP_1) | instskip(NEXT) | instid1(VALU_DEP_1)
	v_ldexp_f64 v[26:27], v[18:19], 0xffffffe0
	v_floor_f64_e32 v[26:27], v[26:27]
	s_delay_alu instid0(VALU_DEP_1) | instskip(NEXT) | instid1(VALU_DEP_1)
	v_fmamk_f64 v[18:19], v[26:27], 0xc1f00000, v[18:19]
	v_cvt_u32_f64_e32 v18, v[18:19]
	s_branch .LBB23_2203
.LBB23_2201:
	s_mov_b32 s12, -1
                                        ; implicit-def: $vgpr18
	s_branch .LBB23_2206
.LBB23_2202:
	s_mov_b32 s12, -1
                                        ; implicit-def: $vgpr18
.LBB23_2203:
	s_delay_alu instid0(SALU_CYCLE_1)
	s_and_not1_b32 vcc_lo, exec_lo, s12
	s_cbranch_vccnz .LBB23_2205
; %bb.2204:
	global_load_b32 v1, v[24:25], off
	s_wait_loadcnt 0x0
	v_trunc_f32_e32 v1, v1
	s_delay_alu instid0(VALU_DEP_1) | instskip(NEXT) | instid1(VALU_DEP_1)
	v_mul_f32_e64 v3, 0x2f800000, |v1|
	v_floor_f32_e32 v3, v3
	s_delay_alu instid0(VALU_DEP_1) | instskip(SKIP_1) | instid1(VALU_DEP_2)
	v_fma_f32 v3, 0xcf800000, v3, |v1|
	v_ashrrev_i32_e32 v1, 31, v1
	v_cvt_u32_f32_e32 v3, v3
	s_delay_alu instid0(VALU_DEP_1) | instskip(NEXT) | instid1(VALU_DEP_1)
	v_xor_b32_e32 v3, v3, v1
	v_sub_nc_u32_e32 v18, v3, v1
.LBB23_2205:
	s_mov_b32 s12, 0
.LBB23_2206:
	s_delay_alu instid0(SALU_CYCLE_1)
	s_and_not1_b32 vcc_lo, exec_lo, s12
	s_cbranch_vccnz .LBB23_2208
; %bb.2207:
	global_load_u16 v1, v[24:25], off
	s_wait_loadcnt 0x0
	v_cvt_f32_f16_e32 v1, v1
	s_delay_alu instid0(VALU_DEP_1)
	v_cvt_i32_f32_e32 v18, v1
.LBB23_2208:
	s_mov_b32 s12, 0
.LBB23_2209:
	s_delay_alu instid0(SALU_CYCLE_1)
	s_and_not1_b32 vcc_lo, exec_lo, s12
	s_cbranch_vccnz .LBB23_2229
; %bb.2210:
	s_cmp_lt_i32 s10, 2
	s_cbranch_scc1 .LBB23_2214
; %bb.2211:
	s_cmp_lt_i32 s10, 3
	s_cbranch_scc1 .LBB23_2215
; %bb.2212:
	s_cmp_gt_i32 s10, 3
	s_cbranch_scc0 .LBB23_2216
; %bb.2213:
	s_wait_loadcnt 0x0
	global_load_b64 v[18:19], v[24:25], off
	s_mov_b32 s12, 0
	s_branch .LBB23_2217
.LBB23_2214:
	s_mov_b32 s12, -1
                                        ; implicit-def: $vgpr18
	s_branch .LBB23_2223
.LBB23_2215:
	s_mov_b32 s12, -1
                                        ; implicit-def: $vgpr18
	s_branch .LBB23_2220
.LBB23_2216:
	s_mov_b32 s12, -1
                                        ; implicit-def: $vgpr18
.LBB23_2217:
	s_delay_alu instid0(SALU_CYCLE_1)
	s_and_not1_b32 vcc_lo, exec_lo, s12
	s_cbranch_vccnz .LBB23_2219
; %bb.2218:
	s_wait_loadcnt 0x0
	global_load_b32 v18, v[24:25], off
.LBB23_2219:
	s_mov_b32 s12, 0
.LBB23_2220:
	s_delay_alu instid0(SALU_CYCLE_1)
	s_and_not1_b32 vcc_lo, exec_lo, s12
	s_cbranch_vccnz .LBB23_2222
; %bb.2221:
	s_wait_loadcnt 0x0
	global_load_u16 v18, v[24:25], off
.LBB23_2222:
	s_mov_b32 s12, 0
.LBB23_2223:
	s_delay_alu instid0(SALU_CYCLE_1)
	s_and_not1_b32 vcc_lo, exec_lo, s12
	s_cbranch_vccnz .LBB23_2229
; %bb.2224:
	s_cmp_gt_i32 s10, 0
	s_mov_b32 s12, 0
	s_cbranch_scc0 .LBB23_2226
; %bb.2225:
	s_wait_loadcnt 0x0
	global_load_u8 v18, v[24:25], off
	s_branch .LBB23_2227
.LBB23_2226:
	s_mov_b32 s12, -1
                                        ; implicit-def: $vgpr18
.LBB23_2227:
	s_delay_alu instid0(SALU_CYCLE_1)
	s_and_not1_b32 vcc_lo, exec_lo, s12
	s_cbranch_vccnz .LBB23_2229
; %bb.2228:
	s_wait_loadcnt 0x0
	global_load_u8 v18, v[24:25], off
.LBB23_2229:
	s_mov_b32 s14, -1
.LBB23_2230:
	s_delay_alu instid0(SALU_CYCLE_1)
	s_and_not1_b32 vcc_lo, exec_lo, s14
	s_cbranch_vccnz .LBB23_3216
; %bb.2231:
	s_cmp_lt_i32 s11, 23
	s_cbranch_scc1 .LBB23_2235
; %bb.2232:
	s_cmp_gt_i32 s11, 43
	s_cbranch_scc0 .LBB23_2236
; %bb.2233:
	s_cmp_gt_i32 s11, 45
	s_cbranch_scc0 .LBB23_2237
; %bb.2234:
	s_cmp_lg_u32 s11, 46
	s_mov_b32 s14, 0
	s_mov_b32 s12, -1
	s_cselect_b32 s13, -1, 0
	s_branch .LBB23_2238
.LBB23_2235:
	s_mov_b32 s14, -1
	s_mov_b32 s12, 0
	s_mov_b32 s13, 0
	s_branch .LBB23_2244
.LBB23_2236:
	s_mov_b32 s14, -1
	s_mov_b32 s12, 0
	s_mov_b32 s13, 0
	s_branch .LBB23_2241
.LBB23_2237:
	s_mov_b32 s14, -1
	s_mov_b32 s12, 0
	s_mov_b32 s13, 0
.LBB23_2238:
	s_and_not1_b32 vcc_lo, exec_lo, s14
	s_cbranch_vccnz .LBB23_2240
; %bb.2239:
	s_cmp_eq_u32 s11, 44
	s_cselect_b32 s12, -1, 0
	s_cmp_lg_u32 s11, 44
	s_cselect_b32 s13, -1, 0
.LBB23_2240:
	s_mov_b32 s14, 0
.LBB23_2241:
	s_delay_alu instid0(SALU_CYCLE_1)
	s_and_b32 vcc_lo, exec_lo, s14
	s_cbranch_vccz .LBB23_2243
; %bb.2242:
	s_cmp_lt_i32 s11, 30
	s_cselect_b32 s12, -1, 0
	s_cmp_gt_i32 s11, 29
	s_cselect_b32 s13, -1, 0
.LBB23_2243:
	s_mov_b32 s14, 0
.LBB23_2244:
	s_delay_alu instid0(SALU_CYCLE_1)
	s_and_b32 vcc_lo, exec_lo, s14
	s_cbranch_vccz .LBB23_2249
; %bb.2245:
	s_cmp_gt_i32 s11, 14
	s_mov_b32 s14, -1
	s_cbranch_scc0 .LBB23_2247
; %bb.2246:
	s_cmp_eq_u32 s11, 15
	s_mov_b32 s14, 0
	s_cselect_b32 s12, -1, 0
	s_cmp_lg_u32 s11, 15
	s_cselect_b32 s13, -1, 0
.LBB23_2247:
	s_and_not1_b32 vcc_lo, exec_lo, s14
	s_cbranch_vccnz .LBB23_2249
; %bb.2248:
	s_cmp_lt_i32 s11, 12
	s_cselect_b32 s12, -1, 0
	s_cmp_gt_i32 s11, 11
	s_cselect_b32 s13, -1, 0
.LBB23_2249:
	s_delay_alu instid0(SALU_CYCLE_1)
	s_and_b32 vcc_lo, exec_lo, s13
	s_cbranch_vccnz .LBB23_2262
; %bb.2250:
	s_and_not1_b32 vcc_lo, exec_lo, s12
	s_cbranch_vccnz .LBB23_3216
.LBB23_2251:
	v_mov_b32_e32 v23, 0
	s_cmp_lt_i32 s9, 11
	s_wait_xcnt 0x0
	s_delay_alu instid0(VALU_DEP_1)
	v_add_nc_u64_e32 v[24:25], s[0:1], v[22:23]
	s_cbranch_scc1 .LBB23_2258
; %bb.2252:
	s_cmp_gt_i32 s9, 25
	s_mov_b32 s13, 0
	s_cbranch_scc0 .LBB23_2259
; %bb.2253:
	s_cmp_gt_i32 s9, 28
	s_cbranch_scc0 .LBB23_2260
; %bb.2254:
	s_cmp_gt_i32 s9, 43
	;; [unrolled: 3-line block ×3, first 2 shown]
	s_cbranch_scc0 .LBB23_2266
; %bb.2256:
	s_cmp_eq_u32 s9, 46
	s_mov_b32 s15, 0
	s_cbranch_scc0 .LBB23_2267
; %bb.2257:
	global_load_b32 v1, v[24:25], off
	s_mov_b32 s12, 0
	s_mov_b32 s14, -1
	s_wait_loadcnt 0x0
	v_lshlrev_b32_e32 v1, 16, v1
	s_delay_alu instid0(VALU_DEP_1) | instskip(NEXT) | instid1(VALU_DEP_1)
	v_trunc_f32_e32 v1, v1
	v_mul_f32_e64 v3, 0x2f800000, |v1|
	s_delay_alu instid0(VALU_DEP_1) | instskip(NEXT) | instid1(VALU_DEP_1)
	v_floor_f32_e32 v3, v3
	v_fma_f32 v3, 0xcf800000, v3, |v1|
	v_ashrrev_i32_e32 v1, 31, v1
	s_delay_alu instid0(VALU_DEP_2) | instskip(NEXT) | instid1(VALU_DEP_1)
	v_cvt_u32_f32_e32 v3, v3
	v_xor_b32_e32 v3, v3, v1
	s_delay_alu instid0(VALU_DEP_1)
	v_sub_nc_u32_e32 v22, v3, v1
	s_branch .LBB23_2269
.LBB23_2258:
	s_mov_b32 s12, -1
	s_mov_b32 s14, 0
                                        ; implicit-def: $vgpr22
	s_branch .LBB23_2331
.LBB23_2259:
	s_mov_b32 s15, -1
	s_mov_b32 s14, 0
	s_mov_b32 s12, 0
                                        ; implicit-def: $vgpr22
	s_branch .LBB23_2296
.LBB23_2260:
	s_mov_b32 s15, -1
	s_mov_b32 s14, 0
	s_mov_b32 s12, 0
                                        ; implicit-def: $vgpr22
	s_branch .LBB23_2279
.LBB23_2261:
	s_or_b32 s8, s8, exec_lo
	s_trap 2
	s_cbranch_execz .LBB23_2179
	s_branch .LBB23_2180
.LBB23_2262:
	s_or_b32 s8, s8, exec_lo
	s_trap 2
	s_cbranch_execz .LBB23_2251
	s_branch .LBB23_3216
.LBB23_2263:
	s_mov_b32 s15, -1
	s_mov_b32 s14, 0
	s_mov_b32 s12, 0
                                        ; implicit-def: $vgpr22
	s_branch .LBB23_2274
.LBB23_2264:
	s_and_not1_saveexec_b32 s56, s56
	s_cbranch_execz .LBB23_1153
.LBB23_2265:
	v_add_f32_e32 v4, 0x42800000, v5
	s_and_not1_b32 s55, s55, exec_lo
	s_delay_alu instid0(VALU_DEP_1) | instskip(NEXT) | instid1(VALU_DEP_1)
	v_and_b32_e32 v4, 0xff, v4
	v_cmp_ne_u32_e32 vcc_lo, 0, v4
	s_and_b32 s57, vcc_lo, exec_lo
	s_delay_alu instid0(SALU_CYCLE_1)
	s_or_b32 s55, s55, s57
	s_or_b32 exec_lo, exec_lo, s56
	v_mov_b32_e32 v6, 0
	s_and_saveexec_b32 s56, s55
	s_cbranch_execnz .LBB23_1154
	s_branch .LBB23_1155
.LBB23_2266:
	s_mov_b32 s15, -1
	s_mov_b32 s14, 0
	s_mov_b32 s12, 0
	s_branch .LBB23_2268
.LBB23_2267:
	s_mov_b32 s12, -1
	s_mov_b32 s14, 0
.LBB23_2268:
                                        ; implicit-def: $vgpr22
.LBB23_2269:
	s_and_b32 vcc_lo, exec_lo, s15
	s_cbranch_vccz .LBB23_2273
; %bb.2270:
	s_cmp_eq_u32 s9, 44
	s_cbranch_scc0 .LBB23_2272
; %bb.2271:
	global_load_u8 v1, v[24:25], off
	s_mov_b32 s12, 0
	s_mov_b32 s14, -1
	s_wait_loadcnt 0x0
	v_lshlrev_b32_e32 v3, 23, v1
	v_cmp_ne_u32_e32 vcc_lo, 0, v1
	s_delay_alu instid0(VALU_DEP_2) | instskip(NEXT) | instid1(VALU_DEP_1)
	v_trunc_f32_e32 v3, v3
	v_mul_f32_e64 v5, 0x2f800000, |v3|
	s_delay_alu instid0(VALU_DEP_1) | instskip(NEXT) | instid1(VALU_DEP_1)
	v_floor_f32_e32 v5, v5
	v_fma_f32 v5, 0xcf800000, v5, |v3|
	v_ashrrev_i32_e32 v3, 31, v3
	s_delay_alu instid0(VALU_DEP_2) | instskip(NEXT) | instid1(VALU_DEP_1)
	v_cvt_u32_f32_e32 v5, v5
	v_xor_b32_e32 v5, v5, v3
	s_delay_alu instid0(VALU_DEP_1) | instskip(NEXT) | instid1(VALU_DEP_1)
	v_sub_nc_u32_e32 v3, v5, v3
	v_cndmask_b32_e32 v22, 0, v3, vcc_lo
	s_branch .LBB23_2273
.LBB23_2272:
	s_mov_b32 s12, -1
                                        ; implicit-def: $vgpr22
.LBB23_2273:
	s_mov_b32 s15, 0
.LBB23_2274:
	s_delay_alu instid0(SALU_CYCLE_1)
	s_and_b32 vcc_lo, exec_lo, s15
	s_cbranch_vccz .LBB23_2278
; %bb.2275:
	s_cmp_eq_u32 s9, 29
	s_cbranch_scc0 .LBB23_2277
; %bb.2276:
	global_load_b64 v[22:23], v[24:25], off
	s_mov_b32 s12, 0
	s_mov_b32 s14, -1
	s_branch .LBB23_2278
.LBB23_2277:
	s_mov_b32 s12, -1
                                        ; implicit-def: $vgpr22
.LBB23_2278:
	s_mov_b32 s15, 0
.LBB23_2279:
	s_delay_alu instid0(SALU_CYCLE_1)
	s_and_b32 vcc_lo, exec_lo, s15
	s_cbranch_vccz .LBB23_2295
; %bb.2280:
	s_cmp_lt_i32 s9, 27
	s_cbranch_scc1 .LBB23_2283
; %bb.2281:
	s_cmp_gt_i32 s9, 27
	s_cbranch_scc0 .LBB23_2284
; %bb.2282:
	s_wait_loadcnt 0x0
	global_load_b32 v22, v[24:25], off
	s_mov_b32 s14, 0
	s_branch .LBB23_2285
.LBB23_2283:
	s_mov_b32 s14, -1
                                        ; implicit-def: $vgpr22
	s_branch .LBB23_2288
.LBB23_2284:
	s_mov_b32 s14, -1
                                        ; implicit-def: $vgpr22
.LBB23_2285:
	s_delay_alu instid0(SALU_CYCLE_1)
	s_and_not1_b32 vcc_lo, exec_lo, s14
	s_cbranch_vccnz .LBB23_2287
; %bb.2286:
	s_wait_loadcnt 0x0
	global_load_u16 v22, v[24:25], off
.LBB23_2287:
	s_mov_b32 s14, 0
.LBB23_2288:
	s_delay_alu instid0(SALU_CYCLE_1)
	s_and_not1_b32 vcc_lo, exec_lo, s14
	s_cbranch_vccnz .LBB23_2294
; %bb.2289:
	global_load_u8 v1, v[24:25], off
	s_mov_b32 s15, 0
	s_mov_b32 s14, exec_lo
	s_wait_loadcnt 0x0
	v_cmpx_lt_i16_e32 0x7f, v1
	s_xor_b32 s14, exec_lo, s14
	s_cbranch_execz .LBB23_2306
; %bb.2290:
	v_cmp_ne_u16_e32 vcc_lo, 0x80, v1
	s_and_b32 s15, vcc_lo, exec_lo
	s_and_not1_saveexec_b32 s14, s14
	s_cbranch_execnz .LBB23_2307
.LBB23_2291:
	s_or_b32 exec_lo, exec_lo, s14
	v_mov_b32_e32 v22, 0
	s_and_saveexec_b32 s14, s15
	s_cbranch_execz .LBB23_2293
.LBB23_2292:
	v_and_b32_e32 v3, 0xffff, v1
	s_delay_alu instid0(VALU_DEP_1) | instskip(SKIP_1) | instid1(VALU_DEP_2)
	v_dual_lshlrev_b32 v1, 24, v1 :: v_dual_bitop2_b32 v5, 7, v3 bitop3:0x40
	v_bfe_u32 v11, v3, 3, 4
	v_and_b32_e32 v1, 0x80000000, v1
	s_delay_alu instid0(VALU_DEP_3) | instskip(NEXT) | instid1(VALU_DEP_3)
	v_clz_i32_u32_e32 v7, v5
	v_cmp_eq_u32_e32 vcc_lo, 0, v11
	s_delay_alu instid0(VALU_DEP_2) | instskip(NEXT) | instid1(VALU_DEP_1)
	v_min_u32_e32 v7, 32, v7
	v_subrev_nc_u32_e32 v9, 28, v7
	v_sub_nc_u32_e32 v7, 29, v7
	s_delay_alu instid0(VALU_DEP_2) | instskip(NEXT) | instid1(VALU_DEP_2)
	v_lshlrev_b32_e32 v3, v9, v3
	v_cndmask_b32_e32 v7, v11, v7, vcc_lo
	s_delay_alu instid0(VALU_DEP_2) | instskip(NEXT) | instid1(VALU_DEP_1)
	v_and_b32_e32 v3, 7, v3
	v_cndmask_b32_e32 v3, v5, v3, vcc_lo
	s_delay_alu instid0(VALU_DEP_3) | instskip(NEXT) | instid1(VALU_DEP_2)
	v_lshl_add_u32 v5, v7, 23, 0x3b800000
	v_lshlrev_b32_e32 v3, 20, v3
	s_delay_alu instid0(VALU_DEP_1) | instskip(NEXT) | instid1(VALU_DEP_1)
	v_or3_b32 v1, v1, v5, v3
	v_trunc_f32_e32 v1, v1
	s_delay_alu instid0(VALU_DEP_1) | instskip(NEXT) | instid1(VALU_DEP_1)
	v_mul_f32_e64 v3, 0x2f800000, |v1|
	v_floor_f32_e32 v3, v3
	s_delay_alu instid0(VALU_DEP_1) | instskip(SKIP_1) | instid1(VALU_DEP_2)
	v_fma_f32 v3, 0xcf800000, v3, |v1|
	v_ashrrev_i32_e32 v1, 31, v1
	v_cvt_u32_f32_e32 v3, v3
	s_delay_alu instid0(VALU_DEP_1) | instskip(NEXT) | instid1(VALU_DEP_1)
	v_xor_b32_e32 v3, v3, v1
	v_sub_nc_u32_e32 v22, v3, v1
.LBB23_2293:
	s_or_b32 exec_lo, exec_lo, s14
.LBB23_2294:
	s_mov_b32 s14, -1
.LBB23_2295:
	s_mov_b32 s15, 0
.LBB23_2296:
	s_delay_alu instid0(SALU_CYCLE_1)
	s_and_b32 vcc_lo, exec_lo, s15
	s_cbranch_vccz .LBB23_2327
; %bb.2297:
	s_cmp_gt_i32 s9, 22
	s_cbranch_scc0 .LBB23_2305
; %bb.2298:
	s_cmp_lt_i32 s9, 24
	s_cbranch_scc1 .LBB23_2308
; %bb.2299:
	s_cmp_gt_i32 s9, 24
	s_cbranch_scc0 .LBB23_2309
; %bb.2300:
	global_load_u8 v1, v[24:25], off
	s_mov_b32 s14, 0
	s_mov_b32 s13, exec_lo
	s_wait_loadcnt 0x0
	v_cmpx_lt_i16_e32 0x7f, v1
	s_xor_b32 s13, exec_lo, s13
	s_cbranch_execz .LBB23_2321
; %bb.2301:
	v_cmp_ne_u16_e32 vcc_lo, 0x80, v1
	s_and_b32 s14, vcc_lo, exec_lo
	s_and_not1_saveexec_b32 s13, s13
	s_cbranch_execnz .LBB23_2322
.LBB23_2302:
	s_or_b32 exec_lo, exec_lo, s13
	v_mov_b32_e32 v22, 0
	s_and_saveexec_b32 s13, s14
	s_cbranch_execz .LBB23_2304
.LBB23_2303:
	v_and_b32_e32 v3, 0xffff, v1
	s_delay_alu instid0(VALU_DEP_1) | instskip(SKIP_1) | instid1(VALU_DEP_2)
	v_dual_lshlrev_b32 v1, 24, v1 :: v_dual_bitop2_b32 v5, 3, v3 bitop3:0x40
	v_bfe_u32 v11, v3, 2, 5
	v_and_b32_e32 v1, 0x80000000, v1
	s_delay_alu instid0(VALU_DEP_3) | instskip(NEXT) | instid1(VALU_DEP_3)
	v_clz_i32_u32_e32 v7, v5
	v_cmp_eq_u32_e32 vcc_lo, 0, v11
	s_delay_alu instid0(VALU_DEP_2) | instskip(NEXT) | instid1(VALU_DEP_1)
	v_min_u32_e32 v7, 32, v7
	v_subrev_nc_u32_e32 v9, 29, v7
	v_sub_nc_u32_e32 v7, 30, v7
	s_delay_alu instid0(VALU_DEP_2) | instskip(NEXT) | instid1(VALU_DEP_2)
	v_lshlrev_b32_e32 v3, v9, v3
	v_cndmask_b32_e32 v7, v11, v7, vcc_lo
	s_delay_alu instid0(VALU_DEP_2) | instskip(NEXT) | instid1(VALU_DEP_1)
	v_and_b32_e32 v3, 3, v3
	v_cndmask_b32_e32 v3, v5, v3, vcc_lo
	s_delay_alu instid0(VALU_DEP_3) | instskip(NEXT) | instid1(VALU_DEP_2)
	v_lshl_add_u32 v5, v7, 23, 0x37800000
	v_lshlrev_b32_e32 v3, 21, v3
	s_delay_alu instid0(VALU_DEP_1) | instskip(NEXT) | instid1(VALU_DEP_1)
	v_or3_b32 v1, v1, v5, v3
	v_trunc_f32_e32 v1, v1
	s_delay_alu instid0(VALU_DEP_1) | instskip(NEXT) | instid1(VALU_DEP_1)
	v_mul_f32_e64 v3, 0x2f800000, |v1|
	v_floor_f32_e32 v3, v3
	s_delay_alu instid0(VALU_DEP_1) | instskip(SKIP_1) | instid1(VALU_DEP_2)
	v_fma_f32 v3, 0xcf800000, v3, |v1|
	v_ashrrev_i32_e32 v1, 31, v1
	v_cvt_u32_f32_e32 v3, v3
	s_delay_alu instid0(VALU_DEP_1) | instskip(NEXT) | instid1(VALU_DEP_1)
	v_xor_b32_e32 v3, v3, v1
	v_sub_nc_u32_e32 v22, v3, v1
.LBB23_2304:
	s_or_b32 exec_lo, exec_lo, s13
	s_mov_b32 s13, 0
	s_branch .LBB23_2310
.LBB23_2305:
	s_mov_b32 s13, -1
                                        ; implicit-def: $vgpr22
	s_branch .LBB23_2316
.LBB23_2306:
	s_and_not1_saveexec_b32 s14, s14
	s_cbranch_execz .LBB23_2291
.LBB23_2307:
	v_cmp_ne_u16_e32 vcc_lo, 0, v1
	s_and_not1_b32 s15, s15, exec_lo
	s_and_b32 s16, vcc_lo, exec_lo
	s_delay_alu instid0(SALU_CYCLE_1)
	s_or_b32 s15, s15, s16
	s_or_b32 exec_lo, exec_lo, s14
	v_mov_b32_e32 v22, 0
	s_and_saveexec_b32 s14, s15
	s_cbranch_execnz .LBB23_2292
	s_branch .LBB23_2293
.LBB23_2308:
	s_mov_b32 s13, -1
                                        ; implicit-def: $vgpr22
	s_branch .LBB23_2313
.LBB23_2309:
	s_mov_b32 s13, -1
                                        ; implicit-def: $vgpr22
.LBB23_2310:
	s_delay_alu instid0(SALU_CYCLE_1)
	s_and_b32 vcc_lo, exec_lo, s13
	s_cbranch_vccz .LBB23_2312
; %bb.2311:
	global_load_u8 v1, v[24:25], off
	s_wait_loadcnt 0x0
	v_lshlrev_b32_e32 v1, 24, v1
	s_delay_alu instid0(VALU_DEP_1) | instskip(NEXT) | instid1(VALU_DEP_1)
	v_and_b32_e32 v3, 0x7f000000, v1
	v_clz_i32_u32_e32 v5, v3
	v_add_nc_u32_e32 v9, 0x1000000, v3
	v_cmp_ne_u32_e32 vcc_lo, 0, v3
	s_delay_alu instid0(VALU_DEP_3) | instskip(NEXT) | instid1(VALU_DEP_1)
	v_min_u32_e32 v5, 32, v5
	v_sub_nc_u32_e64 v5, v5, 4 clamp
	s_delay_alu instid0(VALU_DEP_1) | instskip(NEXT) | instid1(VALU_DEP_1)
	v_dual_lshlrev_b32 v7, v5, v3 :: v_dual_lshlrev_b32 v5, 23, v5
	v_lshrrev_b32_e32 v7, 4, v7
	s_delay_alu instid0(VALU_DEP_1) | instskip(SKIP_1) | instid1(VALU_DEP_2)
	v_sub_nc_u32_e32 v5, v7, v5
	v_ashrrev_i32_e32 v7, 8, v9
	v_add_nc_u32_e32 v5, 0x3c000000, v5
	s_delay_alu instid0(VALU_DEP_1) | instskip(NEXT) | instid1(VALU_DEP_1)
	v_and_or_b32 v5, 0x7f800000, v7, v5
	v_cndmask_b32_e32 v3, 0, v5, vcc_lo
	s_delay_alu instid0(VALU_DEP_1) | instskip(NEXT) | instid1(VALU_DEP_1)
	v_and_or_b32 v1, 0x80000000, v1, v3
	v_trunc_f32_e32 v1, v1
	s_delay_alu instid0(VALU_DEP_1) | instskip(NEXT) | instid1(VALU_DEP_1)
	v_mul_f32_e64 v3, 0x2f800000, |v1|
	v_floor_f32_e32 v3, v3
	s_delay_alu instid0(VALU_DEP_1) | instskip(SKIP_1) | instid1(VALU_DEP_2)
	v_fma_f32 v3, 0xcf800000, v3, |v1|
	v_ashrrev_i32_e32 v1, 31, v1
	v_cvt_u32_f32_e32 v3, v3
	s_delay_alu instid0(VALU_DEP_1) | instskip(NEXT) | instid1(VALU_DEP_1)
	v_xor_b32_e32 v3, v3, v1
	v_sub_nc_u32_e32 v22, v3, v1
.LBB23_2312:
	s_mov_b32 s13, 0
.LBB23_2313:
	s_delay_alu instid0(SALU_CYCLE_1)
	s_and_not1_b32 vcc_lo, exec_lo, s13
	s_cbranch_vccnz .LBB23_2315
; %bb.2314:
	global_load_u8 v1, v[24:25], off
	s_wait_loadcnt 0x0
	v_lshlrev_b32_e32 v3, 25, v1
	v_lshlrev_b16 v1, 8, v1
	s_delay_alu instid0(VALU_DEP_1) | instskip(SKIP_1) | instid1(VALU_DEP_2)
	v_and_or_b32 v7, 0x7f00, v1, 0.5
	v_bfe_i32 v1, v1, 0, 16
	v_add_f32_e32 v7, -0.5, v7
	v_lshrrev_b32_e32 v5, 4, v3
	v_cmp_gt_u32_e32 vcc_lo, 0x8000000, v3
	s_delay_alu instid0(VALU_DEP_2) | instskip(NEXT) | instid1(VALU_DEP_1)
	v_or_b32_e32 v5, 0x70000000, v5
	v_mul_f32_e32 v5, 0x7800000, v5
	s_delay_alu instid0(VALU_DEP_1) | instskip(NEXT) | instid1(VALU_DEP_1)
	v_cndmask_b32_e32 v3, v5, v7, vcc_lo
	v_and_or_b32 v1, 0x80000000, v1, v3
	s_delay_alu instid0(VALU_DEP_1) | instskip(NEXT) | instid1(VALU_DEP_1)
	v_trunc_f32_e32 v1, v1
	v_mul_f32_e64 v3, 0x2f800000, |v1|
	s_delay_alu instid0(VALU_DEP_1) | instskip(NEXT) | instid1(VALU_DEP_1)
	v_floor_f32_e32 v3, v3
	v_fma_f32 v3, 0xcf800000, v3, |v1|
	v_ashrrev_i32_e32 v1, 31, v1
	s_delay_alu instid0(VALU_DEP_2) | instskip(NEXT) | instid1(VALU_DEP_1)
	v_cvt_u32_f32_e32 v3, v3
	v_xor_b32_e32 v3, v3, v1
	s_delay_alu instid0(VALU_DEP_1)
	v_sub_nc_u32_e32 v22, v3, v1
.LBB23_2315:
	s_mov_b32 s13, 0
	s_mov_b32 s14, -1
.LBB23_2316:
	s_and_not1_b32 vcc_lo, exec_lo, s13
	s_mov_b32 s13, 0
	s_cbranch_vccnz .LBB23_2327
; %bb.2317:
	s_cmp_gt_i32 s9, 14
	s_cbranch_scc0 .LBB23_2320
; %bb.2318:
	s_cmp_eq_u32 s9, 15
	s_cbranch_scc0 .LBB23_2323
; %bb.2319:
	global_load_u16 v1, v[24:25], off
	s_mov_b32 s12, 0
	s_mov_b32 s14, -1
	s_wait_loadcnt 0x0
	v_lshlrev_b32_e32 v1, 16, v1
	s_delay_alu instid0(VALU_DEP_1) | instskip(NEXT) | instid1(VALU_DEP_1)
	v_trunc_f32_e32 v1, v1
	v_mul_f32_e64 v3, 0x2f800000, |v1|
	s_delay_alu instid0(VALU_DEP_1) | instskip(NEXT) | instid1(VALU_DEP_1)
	v_floor_f32_e32 v3, v3
	v_fma_f32 v3, 0xcf800000, v3, |v1|
	v_ashrrev_i32_e32 v1, 31, v1
	s_delay_alu instid0(VALU_DEP_2) | instskip(NEXT) | instid1(VALU_DEP_1)
	v_cvt_u32_f32_e32 v3, v3
	v_xor_b32_e32 v3, v3, v1
	s_delay_alu instid0(VALU_DEP_1)
	v_sub_nc_u32_e32 v22, v3, v1
	s_branch .LBB23_2325
.LBB23_2320:
	s_mov_b32 s13, -1
	s_branch .LBB23_2324
.LBB23_2321:
	s_and_not1_saveexec_b32 s13, s13
	s_cbranch_execz .LBB23_2302
.LBB23_2322:
	v_cmp_ne_u16_e32 vcc_lo, 0, v1
	s_and_not1_b32 s14, s14, exec_lo
	s_and_b32 s15, vcc_lo, exec_lo
	s_delay_alu instid0(SALU_CYCLE_1)
	s_or_b32 s14, s14, s15
	s_or_b32 exec_lo, exec_lo, s13
	v_mov_b32_e32 v22, 0
	s_and_saveexec_b32 s13, s14
	s_cbranch_execnz .LBB23_2303
	s_branch .LBB23_2304
.LBB23_2323:
	s_mov_b32 s12, -1
.LBB23_2324:
                                        ; implicit-def: $vgpr22
.LBB23_2325:
	s_and_b32 vcc_lo, exec_lo, s13
	s_mov_b32 s13, 0
	s_cbranch_vccz .LBB23_2327
; %bb.2326:
	s_cmp_lg_u32 s9, 11
	s_mov_b32 s13, -1
	s_cselect_b32 s12, -1, 0
.LBB23_2327:
	s_delay_alu instid0(SALU_CYCLE_1)
	s_and_b32 vcc_lo, exec_lo, s12
	s_cbranch_vccnz .LBB23_2392
; %bb.2328:
	s_and_not1_b32 vcc_lo, exec_lo, s13
	s_cbranch_vccnz .LBB23_2330
.LBB23_2329:
	global_load_u8 v1, v[24:25], off
	s_mov_b32 s14, -1
	s_wait_loadcnt 0x0
	v_cmp_ne_u16_e32 vcc_lo, 0, v1
	v_cndmask_b32_e64 v22, 0, 1, vcc_lo
.LBB23_2330:
	s_mov_b32 s12, 0
.LBB23_2331:
	s_delay_alu instid0(SALU_CYCLE_1)
	s_and_b32 vcc_lo, exec_lo, s12
	s_cbranch_vccz .LBB23_2380
; %bb.2332:
	s_cmp_lt_i32 s9, 5
	s_cbranch_scc1 .LBB23_2337
; %bb.2333:
	s_cmp_lt_i32 s9, 8
	s_cbranch_scc1 .LBB23_2338
	;; [unrolled: 3-line block ×3, first 2 shown]
; %bb.2335:
	s_cmp_gt_i32 s9, 9
	s_cbranch_scc0 .LBB23_2340
; %bb.2336:
	s_wait_loadcnt 0x0
	global_load_b64 v[22:23], v[24:25], off
	s_mov_b32 s12, 0
	s_wait_loadcnt 0x0
	v_trunc_f64_e32 v[22:23], v[22:23]
	s_delay_alu instid0(VALU_DEP_1) | instskip(NEXT) | instid1(VALU_DEP_1)
	v_ldexp_f64 v[26:27], v[22:23], 0xffffffe0
	v_floor_f64_e32 v[26:27], v[26:27]
	s_delay_alu instid0(VALU_DEP_1) | instskip(NEXT) | instid1(VALU_DEP_1)
	v_fmamk_f64 v[22:23], v[26:27], 0xc1f00000, v[22:23]
	v_cvt_u32_f64_e32 v22, v[22:23]
	s_branch .LBB23_2341
.LBB23_2337:
	s_mov_b32 s12, -1
                                        ; implicit-def: $vgpr22
	s_branch .LBB23_2359
.LBB23_2338:
	s_mov_b32 s12, -1
                                        ; implicit-def: $vgpr22
	s_branch .LBB23_2347
.LBB23_2339:
	s_mov_b32 s12, -1
                                        ; implicit-def: $vgpr22
	s_branch .LBB23_2344
.LBB23_2340:
	s_mov_b32 s12, -1
                                        ; implicit-def: $vgpr22
.LBB23_2341:
	s_delay_alu instid0(SALU_CYCLE_1)
	s_and_not1_b32 vcc_lo, exec_lo, s12
	s_cbranch_vccnz .LBB23_2343
; %bb.2342:
	global_load_b32 v1, v[24:25], off
	s_wait_loadcnt 0x0
	v_trunc_f32_e32 v1, v1
	s_delay_alu instid0(VALU_DEP_1) | instskip(NEXT) | instid1(VALU_DEP_1)
	v_mul_f32_e64 v3, 0x2f800000, |v1|
	v_floor_f32_e32 v3, v3
	s_delay_alu instid0(VALU_DEP_1) | instskip(SKIP_1) | instid1(VALU_DEP_2)
	v_fma_f32 v3, 0xcf800000, v3, |v1|
	v_ashrrev_i32_e32 v1, 31, v1
	v_cvt_u32_f32_e32 v3, v3
	s_delay_alu instid0(VALU_DEP_1) | instskip(NEXT) | instid1(VALU_DEP_1)
	v_xor_b32_e32 v3, v3, v1
	v_sub_nc_u32_e32 v22, v3, v1
.LBB23_2343:
	s_mov_b32 s12, 0
.LBB23_2344:
	s_delay_alu instid0(SALU_CYCLE_1)
	s_and_not1_b32 vcc_lo, exec_lo, s12
	s_cbranch_vccnz .LBB23_2346
; %bb.2345:
	global_load_b32 v1, v[24:25], off
	s_wait_loadcnt 0x0
	v_cvt_f32_f16_e32 v1, v1
	s_delay_alu instid0(VALU_DEP_1)
	v_cvt_i32_f32_e32 v22, v1
.LBB23_2346:
	s_mov_b32 s12, 0
.LBB23_2347:
	s_delay_alu instid0(SALU_CYCLE_1)
	s_and_not1_b32 vcc_lo, exec_lo, s12
	s_cbranch_vccnz .LBB23_2358
; %bb.2348:
	s_cmp_lt_i32 s9, 6
	s_cbranch_scc1 .LBB23_2351
; %bb.2349:
	s_cmp_gt_i32 s9, 6
	s_cbranch_scc0 .LBB23_2352
; %bb.2350:
	s_wait_loadcnt 0x0
	global_load_b64 v[22:23], v[24:25], off
	s_mov_b32 s12, 0
	s_wait_loadcnt 0x0
	v_trunc_f64_e32 v[22:23], v[22:23]
	s_delay_alu instid0(VALU_DEP_1) | instskip(NEXT) | instid1(VALU_DEP_1)
	v_ldexp_f64 v[26:27], v[22:23], 0xffffffe0
	v_floor_f64_e32 v[26:27], v[26:27]
	s_delay_alu instid0(VALU_DEP_1) | instskip(NEXT) | instid1(VALU_DEP_1)
	v_fmamk_f64 v[22:23], v[26:27], 0xc1f00000, v[22:23]
	v_cvt_u32_f64_e32 v22, v[22:23]
	s_branch .LBB23_2353
.LBB23_2351:
	s_mov_b32 s12, -1
                                        ; implicit-def: $vgpr22
	s_branch .LBB23_2356
.LBB23_2352:
	s_mov_b32 s12, -1
                                        ; implicit-def: $vgpr22
.LBB23_2353:
	s_delay_alu instid0(SALU_CYCLE_1)
	s_and_not1_b32 vcc_lo, exec_lo, s12
	s_cbranch_vccnz .LBB23_2355
; %bb.2354:
	global_load_b32 v1, v[24:25], off
	s_wait_loadcnt 0x0
	v_trunc_f32_e32 v1, v1
	s_delay_alu instid0(VALU_DEP_1) | instskip(NEXT) | instid1(VALU_DEP_1)
	v_mul_f32_e64 v3, 0x2f800000, |v1|
	v_floor_f32_e32 v3, v3
	s_delay_alu instid0(VALU_DEP_1) | instskip(SKIP_1) | instid1(VALU_DEP_2)
	v_fma_f32 v3, 0xcf800000, v3, |v1|
	v_ashrrev_i32_e32 v1, 31, v1
	v_cvt_u32_f32_e32 v3, v3
	s_delay_alu instid0(VALU_DEP_1) | instskip(NEXT) | instid1(VALU_DEP_1)
	v_xor_b32_e32 v3, v3, v1
	v_sub_nc_u32_e32 v22, v3, v1
.LBB23_2355:
	s_mov_b32 s12, 0
.LBB23_2356:
	s_delay_alu instid0(SALU_CYCLE_1)
	s_and_not1_b32 vcc_lo, exec_lo, s12
	s_cbranch_vccnz .LBB23_2358
; %bb.2357:
	global_load_u16 v1, v[24:25], off
	s_wait_loadcnt 0x0
	v_cvt_f32_f16_e32 v1, v1
	s_delay_alu instid0(VALU_DEP_1)
	v_cvt_i32_f32_e32 v22, v1
.LBB23_2358:
	s_mov_b32 s12, 0
.LBB23_2359:
	s_delay_alu instid0(SALU_CYCLE_1)
	s_and_not1_b32 vcc_lo, exec_lo, s12
	s_cbranch_vccnz .LBB23_2379
; %bb.2360:
	s_cmp_lt_i32 s9, 2
	s_cbranch_scc1 .LBB23_2364
; %bb.2361:
	s_cmp_lt_i32 s9, 3
	s_cbranch_scc1 .LBB23_2365
; %bb.2362:
	s_cmp_gt_i32 s9, 3
	s_cbranch_scc0 .LBB23_2366
; %bb.2363:
	s_wait_loadcnt 0x0
	global_load_b64 v[22:23], v[24:25], off
	s_mov_b32 s12, 0
	s_branch .LBB23_2367
.LBB23_2364:
	s_mov_b32 s12, -1
                                        ; implicit-def: $vgpr22
	s_branch .LBB23_2373
.LBB23_2365:
	s_mov_b32 s12, -1
                                        ; implicit-def: $vgpr22
	s_branch .LBB23_2370
.LBB23_2366:
	s_mov_b32 s12, -1
                                        ; implicit-def: $vgpr22
.LBB23_2367:
	s_delay_alu instid0(SALU_CYCLE_1)
	s_and_not1_b32 vcc_lo, exec_lo, s12
	s_cbranch_vccnz .LBB23_2369
; %bb.2368:
	s_wait_loadcnt 0x0
	global_load_b32 v22, v[24:25], off
.LBB23_2369:
	s_mov_b32 s12, 0
.LBB23_2370:
	s_delay_alu instid0(SALU_CYCLE_1)
	s_and_not1_b32 vcc_lo, exec_lo, s12
	s_cbranch_vccnz .LBB23_2372
; %bb.2371:
	s_wait_loadcnt 0x0
	global_load_u16 v22, v[24:25], off
.LBB23_2372:
	s_mov_b32 s12, 0
.LBB23_2373:
	s_delay_alu instid0(SALU_CYCLE_1)
	s_and_not1_b32 vcc_lo, exec_lo, s12
	s_cbranch_vccnz .LBB23_2379
; %bb.2374:
	s_cmp_gt_i32 s9, 0
	s_mov_b32 s12, 0
	s_cbranch_scc0 .LBB23_2376
; %bb.2375:
	s_wait_loadcnt 0x0
	global_load_u8 v22, v[24:25], off
	s_branch .LBB23_2377
.LBB23_2376:
	s_mov_b32 s12, -1
                                        ; implicit-def: $vgpr22
.LBB23_2377:
	s_delay_alu instid0(SALU_CYCLE_1)
	s_and_not1_b32 vcc_lo, exec_lo, s12
	s_cbranch_vccnz .LBB23_2379
; %bb.2378:
	s_wait_loadcnt 0x0
	global_load_u8 v22, v[24:25], off
.LBB23_2379:
	s_mov_b32 s14, -1
.LBB23_2380:
	s_delay_alu instid0(SALU_CYCLE_1)
	s_and_not1_b32 vcc_lo, exec_lo, s14
	s_cbranch_vccnz .LBB23_3216
; %bb.2381:
	v_mov_b32_e32 v21, 0
	s_cmp_lt_i32 s10, 11
	s_wait_xcnt 0x0
	s_delay_alu instid0(VALU_DEP_1)
	v_add_nc_u64_e32 v[24:25], s[4:5], v[20:21]
	s_cbranch_scc1 .LBB23_2388
; %bb.2382:
	s_cmp_gt_i32 s10, 25
	s_mov_b32 s13, 0
	s_cbranch_scc0 .LBB23_2389
; %bb.2383:
	s_cmp_gt_i32 s10, 28
	s_cbranch_scc0 .LBB23_2390
; %bb.2384:
	s_cmp_gt_i32 s10, 43
	;; [unrolled: 3-line block ×3, first 2 shown]
	s_cbranch_scc0 .LBB23_2393
; %bb.2386:
	s_cmp_eq_u32 s10, 46
	s_mov_b32 s15, 0
	s_cbranch_scc0 .LBB23_2394
; %bb.2387:
	global_load_b32 v1, v[24:25], off
	s_mov_b32 s12, 0
	s_mov_b32 s14, -1
	s_wait_loadcnt 0x0
	v_lshlrev_b32_e32 v1, 16, v1
	s_delay_alu instid0(VALU_DEP_1) | instskip(NEXT) | instid1(VALU_DEP_1)
	v_trunc_f32_e32 v1, v1
	v_mul_f32_e64 v3, 0x2f800000, |v1|
	s_delay_alu instid0(VALU_DEP_1) | instskip(NEXT) | instid1(VALU_DEP_1)
	v_floor_f32_e32 v3, v3
	v_fma_f32 v3, 0xcf800000, v3, |v1|
	v_ashrrev_i32_e32 v1, 31, v1
	s_delay_alu instid0(VALU_DEP_2) | instskip(NEXT) | instid1(VALU_DEP_1)
	v_cvt_u32_f32_e32 v3, v3
	v_xor_b32_e32 v3, v3, v1
	s_delay_alu instid0(VALU_DEP_1)
	v_sub_nc_u32_e32 v20, v3, v1
	s_branch .LBB23_2396
.LBB23_2388:
	s_mov_b32 s12, -1
	s_mov_b32 s14, 0
                                        ; implicit-def: $vgpr20
	s_branch .LBB23_2458
.LBB23_2389:
	s_mov_b32 s15, -1
	s_mov_b32 s14, 0
	s_mov_b32 s12, 0
                                        ; implicit-def: $vgpr20
	s_branch .LBB23_2423
.LBB23_2390:
	s_mov_b32 s15, -1
	s_mov_b32 s14, 0
	s_mov_b32 s12, 0
                                        ; implicit-def: $vgpr20
	s_branch .LBB23_2406
.LBB23_2391:
	s_mov_b32 s15, -1
	s_mov_b32 s14, 0
	s_mov_b32 s12, 0
                                        ; implicit-def: $vgpr20
	s_branch .LBB23_2401
.LBB23_2392:
	s_or_b32 s8, s8, exec_lo
	s_trap 2
	s_cbranch_execz .LBB23_2329
	s_branch .LBB23_2330
.LBB23_2393:
	s_mov_b32 s15, -1
	s_mov_b32 s14, 0
	s_mov_b32 s12, 0
	s_branch .LBB23_2395
.LBB23_2394:
	s_mov_b32 s12, -1
	s_mov_b32 s14, 0
.LBB23_2395:
                                        ; implicit-def: $vgpr20
.LBB23_2396:
	s_and_b32 vcc_lo, exec_lo, s15
	s_cbranch_vccz .LBB23_2400
; %bb.2397:
	s_cmp_eq_u32 s10, 44
	s_cbranch_scc0 .LBB23_2399
; %bb.2398:
	global_load_u8 v1, v[24:25], off
	s_mov_b32 s12, 0
	s_mov_b32 s14, -1
	s_wait_loadcnt 0x0
	v_lshlrev_b32_e32 v3, 23, v1
	v_cmp_ne_u32_e32 vcc_lo, 0, v1
	s_delay_alu instid0(VALU_DEP_2) | instskip(NEXT) | instid1(VALU_DEP_1)
	v_trunc_f32_e32 v3, v3
	v_mul_f32_e64 v5, 0x2f800000, |v3|
	s_delay_alu instid0(VALU_DEP_1) | instskip(NEXT) | instid1(VALU_DEP_1)
	v_floor_f32_e32 v5, v5
	v_fma_f32 v5, 0xcf800000, v5, |v3|
	v_ashrrev_i32_e32 v3, 31, v3
	s_delay_alu instid0(VALU_DEP_2) | instskip(NEXT) | instid1(VALU_DEP_1)
	v_cvt_u32_f32_e32 v5, v5
	v_xor_b32_e32 v5, v5, v3
	s_delay_alu instid0(VALU_DEP_1) | instskip(NEXT) | instid1(VALU_DEP_1)
	v_sub_nc_u32_e32 v3, v5, v3
	v_cndmask_b32_e32 v20, 0, v3, vcc_lo
	s_branch .LBB23_2400
.LBB23_2399:
	s_mov_b32 s12, -1
                                        ; implicit-def: $vgpr20
.LBB23_2400:
	s_mov_b32 s15, 0
.LBB23_2401:
	s_delay_alu instid0(SALU_CYCLE_1)
	s_and_b32 vcc_lo, exec_lo, s15
	s_cbranch_vccz .LBB23_2405
; %bb.2402:
	s_cmp_eq_u32 s10, 29
	s_cbranch_scc0 .LBB23_2404
; %bb.2403:
	global_load_b64 v[20:21], v[24:25], off
	s_mov_b32 s12, 0
	s_mov_b32 s14, -1
	s_branch .LBB23_2405
.LBB23_2404:
	s_mov_b32 s12, -1
                                        ; implicit-def: $vgpr20
.LBB23_2405:
	s_mov_b32 s15, 0
.LBB23_2406:
	s_delay_alu instid0(SALU_CYCLE_1)
	s_and_b32 vcc_lo, exec_lo, s15
	s_cbranch_vccz .LBB23_2422
; %bb.2407:
	s_cmp_lt_i32 s10, 27
	s_cbranch_scc1 .LBB23_2410
; %bb.2408:
	s_cmp_gt_i32 s10, 27
	s_cbranch_scc0 .LBB23_2411
; %bb.2409:
	s_wait_loadcnt 0x0
	global_load_b32 v20, v[24:25], off
	s_mov_b32 s14, 0
	s_branch .LBB23_2412
.LBB23_2410:
	s_mov_b32 s14, -1
                                        ; implicit-def: $vgpr20
	s_branch .LBB23_2415
.LBB23_2411:
	s_mov_b32 s14, -1
                                        ; implicit-def: $vgpr20
.LBB23_2412:
	s_delay_alu instid0(SALU_CYCLE_1)
	s_and_not1_b32 vcc_lo, exec_lo, s14
	s_cbranch_vccnz .LBB23_2414
; %bb.2413:
	s_wait_loadcnt 0x0
	global_load_u16 v20, v[24:25], off
.LBB23_2414:
	s_mov_b32 s14, 0
.LBB23_2415:
	s_delay_alu instid0(SALU_CYCLE_1)
	s_and_not1_b32 vcc_lo, exec_lo, s14
	s_cbranch_vccnz .LBB23_2421
; %bb.2416:
	global_load_u8 v1, v[24:25], off
	s_mov_b32 s15, 0
	s_mov_b32 s14, exec_lo
	s_wait_loadcnt 0x0
	v_cmpx_lt_i16_e32 0x7f, v1
	s_xor_b32 s14, exec_lo, s14
	s_cbranch_execz .LBB23_2433
; %bb.2417:
	v_cmp_ne_u16_e32 vcc_lo, 0x80, v1
	s_and_b32 s15, vcc_lo, exec_lo
	s_and_not1_saveexec_b32 s14, s14
	s_cbranch_execnz .LBB23_2434
.LBB23_2418:
	s_or_b32 exec_lo, exec_lo, s14
	v_mov_b32_e32 v20, 0
	s_and_saveexec_b32 s14, s15
	s_cbranch_execz .LBB23_2420
.LBB23_2419:
	v_and_b32_e32 v3, 0xffff, v1
	s_delay_alu instid0(VALU_DEP_1) | instskip(SKIP_1) | instid1(VALU_DEP_2)
	v_dual_lshlrev_b32 v1, 24, v1 :: v_dual_bitop2_b32 v5, 7, v3 bitop3:0x40
	v_bfe_u32 v11, v3, 3, 4
	v_and_b32_e32 v1, 0x80000000, v1
	s_delay_alu instid0(VALU_DEP_3) | instskip(NEXT) | instid1(VALU_DEP_3)
	v_clz_i32_u32_e32 v7, v5
	v_cmp_eq_u32_e32 vcc_lo, 0, v11
	s_delay_alu instid0(VALU_DEP_2) | instskip(NEXT) | instid1(VALU_DEP_1)
	v_min_u32_e32 v7, 32, v7
	v_subrev_nc_u32_e32 v9, 28, v7
	v_sub_nc_u32_e32 v7, 29, v7
	s_delay_alu instid0(VALU_DEP_2) | instskip(NEXT) | instid1(VALU_DEP_2)
	v_lshlrev_b32_e32 v3, v9, v3
	v_cndmask_b32_e32 v7, v11, v7, vcc_lo
	s_delay_alu instid0(VALU_DEP_2) | instskip(NEXT) | instid1(VALU_DEP_1)
	v_and_b32_e32 v3, 7, v3
	v_cndmask_b32_e32 v3, v5, v3, vcc_lo
	s_delay_alu instid0(VALU_DEP_3) | instskip(NEXT) | instid1(VALU_DEP_2)
	v_lshl_add_u32 v5, v7, 23, 0x3b800000
	v_lshlrev_b32_e32 v3, 20, v3
	s_delay_alu instid0(VALU_DEP_1) | instskip(NEXT) | instid1(VALU_DEP_1)
	v_or3_b32 v1, v1, v5, v3
	v_trunc_f32_e32 v1, v1
	s_delay_alu instid0(VALU_DEP_1) | instskip(NEXT) | instid1(VALU_DEP_1)
	v_mul_f32_e64 v3, 0x2f800000, |v1|
	v_floor_f32_e32 v3, v3
	s_delay_alu instid0(VALU_DEP_1) | instskip(SKIP_1) | instid1(VALU_DEP_2)
	v_fma_f32 v3, 0xcf800000, v3, |v1|
	v_ashrrev_i32_e32 v1, 31, v1
	v_cvt_u32_f32_e32 v3, v3
	s_delay_alu instid0(VALU_DEP_1) | instskip(NEXT) | instid1(VALU_DEP_1)
	v_xor_b32_e32 v3, v3, v1
	v_sub_nc_u32_e32 v20, v3, v1
.LBB23_2420:
	s_or_b32 exec_lo, exec_lo, s14
.LBB23_2421:
	s_mov_b32 s14, -1
.LBB23_2422:
	s_mov_b32 s15, 0
.LBB23_2423:
	s_delay_alu instid0(SALU_CYCLE_1)
	s_and_b32 vcc_lo, exec_lo, s15
	s_cbranch_vccz .LBB23_2454
; %bb.2424:
	s_cmp_gt_i32 s10, 22
	s_cbranch_scc0 .LBB23_2432
; %bb.2425:
	s_cmp_lt_i32 s10, 24
	s_cbranch_scc1 .LBB23_2435
; %bb.2426:
	s_cmp_gt_i32 s10, 24
	s_cbranch_scc0 .LBB23_2436
; %bb.2427:
	global_load_u8 v1, v[24:25], off
	s_mov_b32 s14, 0
	s_mov_b32 s13, exec_lo
	s_wait_loadcnt 0x0
	v_cmpx_lt_i16_e32 0x7f, v1
	s_xor_b32 s13, exec_lo, s13
	s_cbranch_execz .LBB23_2448
; %bb.2428:
	v_cmp_ne_u16_e32 vcc_lo, 0x80, v1
	s_and_b32 s14, vcc_lo, exec_lo
	s_and_not1_saveexec_b32 s13, s13
	s_cbranch_execnz .LBB23_2449
.LBB23_2429:
	s_or_b32 exec_lo, exec_lo, s13
	v_mov_b32_e32 v20, 0
	s_and_saveexec_b32 s13, s14
	s_cbranch_execz .LBB23_2431
.LBB23_2430:
	v_and_b32_e32 v3, 0xffff, v1
	s_delay_alu instid0(VALU_DEP_1) | instskip(SKIP_1) | instid1(VALU_DEP_2)
	v_dual_lshlrev_b32 v1, 24, v1 :: v_dual_bitop2_b32 v5, 3, v3 bitop3:0x40
	v_bfe_u32 v11, v3, 2, 5
	v_and_b32_e32 v1, 0x80000000, v1
	s_delay_alu instid0(VALU_DEP_3) | instskip(NEXT) | instid1(VALU_DEP_3)
	v_clz_i32_u32_e32 v7, v5
	v_cmp_eq_u32_e32 vcc_lo, 0, v11
	s_delay_alu instid0(VALU_DEP_2) | instskip(NEXT) | instid1(VALU_DEP_1)
	v_min_u32_e32 v7, 32, v7
	v_subrev_nc_u32_e32 v9, 29, v7
	v_sub_nc_u32_e32 v7, 30, v7
	s_delay_alu instid0(VALU_DEP_2) | instskip(NEXT) | instid1(VALU_DEP_2)
	v_lshlrev_b32_e32 v3, v9, v3
	v_cndmask_b32_e32 v7, v11, v7, vcc_lo
	s_delay_alu instid0(VALU_DEP_2) | instskip(NEXT) | instid1(VALU_DEP_1)
	v_and_b32_e32 v3, 3, v3
	v_cndmask_b32_e32 v3, v5, v3, vcc_lo
	s_delay_alu instid0(VALU_DEP_3) | instskip(NEXT) | instid1(VALU_DEP_2)
	v_lshl_add_u32 v5, v7, 23, 0x37800000
	v_lshlrev_b32_e32 v3, 21, v3
	s_delay_alu instid0(VALU_DEP_1) | instskip(NEXT) | instid1(VALU_DEP_1)
	v_or3_b32 v1, v1, v5, v3
	v_trunc_f32_e32 v1, v1
	s_delay_alu instid0(VALU_DEP_1) | instskip(NEXT) | instid1(VALU_DEP_1)
	v_mul_f32_e64 v3, 0x2f800000, |v1|
	v_floor_f32_e32 v3, v3
	s_delay_alu instid0(VALU_DEP_1) | instskip(SKIP_1) | instid1(VALU_DEP_2)
	v_fma_f32 v3, 0xcf800000, v3, |v1|
	v_ashrrev_i32_e32 v1, 31, v1
	v_cvt_u32_f32_e32 v3, v3
	s_delay_alu instid0(VALU_DEP_1) | instskip(NEXT) | instid1(VALU_DEP_1)
	v_xor_b32_e32 v3, v3, v1
	v_sub_nc_u32_e32 v20, v3, v1
.LBB23_2431:
	s_or_b32 exec_lo, exec_lo, s13
	s_mov_b32 s13, 0
	s_branch .LBB23_2437
.LBB23_2432:
	s_mov_b32 s13, -1
                                        ; implicit-def: $vgpr20
	s_branch .LBB23_2443
.LBB23_2433:
	s_and_not1_saveexec_b32 s14, s14
	s_cbranch_execz .LBB23_2418
.LBB23_2434:
	v_cmp_ne_u16_e32 vcc_lo, 0, v1
	s_and_not1_b32 s15, s15, exec_lo
	s_and_b32 s16, vcc_lo, exec_lo
	s_delay_alu instid0(SALU_CYCLE_1)
	s_or_b32 s15, s15, s16
	s_or_b32 exec_lo, exec_lo, s14
	v_mov_b32_e32 v20, 0
	s_and_saveexec_b32 s14, s15
	s_cbranch_execnz .LBB23_2419
	s_branch .LBB23_2420
.LBB23_2435:
	s_mov_b32 s13, -1
                                        ; implicit-def: $vgpr20
	s_branch .LBB23_2440
.LBB23_2436:
	s_mov_b32 s13, -1
                                        ; implicit-def: $vgpr20
.LBB23_2437:
	s_delay_alu instid0(SALU_CYCLE_1)
	s_and_b32 vcc_lo, exec_lo, s13
	s_cbranch_vccz .LBB23_2439
; %bb.2438:
	global_load_u8 v1, v[24:25], off
	s_wait_loadcnt 0x0
	v_lshlrev_b32_e32 v1, 24, v1
	s_delay_alu instid0(VALU_DEP_1) | instskip(NEXT) | instid1(VALU_DEP_1)
	v_and_b32_e32 v3, 0x7f000000, v1
	v_clz_i32_u32_e32 v5, v3
	v_add_nc_u32_e32 v9, 0x1000000, v3
	v_cmp_ne_u32_e32 vcc_lo, 0, v3
	s_delay_alu instid0(VALU_DEP_3) | instskip(NEXT) | instid1(VALU_DEP_1)
	v_min_u32_e32 v5, 32, v5
	v_sub_nc_u32_e64 v5, v5, 4 clamp
	s_delay_alu instid0(VALU_DEP_1) | instskip(NEXT) | instid1(VALU_DEP_1)
	v_dual_lshlrev_b32 v7, v5, v3 :: v_dual_lshlrev_b32 v5, 23, v5
	v_lshrrev_b32_e32 v7, 4, v7
	s_delay_alu instid0(VALU_DEP_1) | instskip(SKIP_1) | instid1(VALU_DEP_2)
	v_sub_nc_u32_e32 v5, v7, v5
	v_ashrrev_i32_e32 v7, 8, v9
	v_add_nc_u32_e32 v5, 0x3c000000, v5
	s_delay_alu instid0(VALU_DEP_1) | instskip(NEXT) | instid1(VALU_DEP_1)
	v_and_or_b32 v5, 0x7f800000, v7, v5
	v_cndmask_b32_e32 v3, 0, v5, vcc_lo
	s_delay_alu instid0(VALU_DEP_1) | instskip(NEXT) | instid1(VALU_DEP_1)
	v_and_or_b32 v1, 0x80000000, v1, v3
	v_trunc_f32_e32 v1, v1
	s_delay_alu instid0(VALU_DEP_1) | instskip(NEXT) | instid1(VALU_DEP_1)
	v_mul_f32_e64 v3, 0x2f800000, |v1|
	v_floor_f32_e32 v3, v3
	s_delay_alu instid0(VALU_DEP_1) | instskip(SKIP_1) | instid1(VALU_DEP_2)
	v_fma_f32 v3, 0xcf800000, v3, |v1|
	v_ashrrev_i32_e32 v1, 31, v1
	v_cvt_u32_f32_e32 v3, v3
	s_delay_alu instid0(VALU_DEP_1) | instskip(NEXT) | instid1(VALU_DEP_1)
	v_xor_b32_e32 v3, v3, v1
	v_sub_nc_u32_e32 v20, v3, v1
.LBB23_2439:
	s_mov_b32 s13, 0
.LBB23_2440:
	s_delay_alu instid0(SALU_CYCLE_1)
	s_and_not1_b32 vcc_lo, exec_lo, s13
	s_cbranch_vccnz .LBB23_2442
; %bb.2441:
	global_load_u8 v1, v[24:25], off
	s_wait_loadcnt 0x0
	v_lshlrev_b32_e32 v3, 25, v1
	v_lshlrev_b16 v1, 8, v1
	s_delay_alu instid0(VALU_DEP_1) | instskip(SKIP_1) | instid1(VALU_DEP_2)
	v_and_or_b32 v7, 0x7f00, v1, 0.5
	v_bfe_i32 v1, v1, 0, 16
	v_add_f32_e32 v7, -0.5, v7
	v_lshrrev_b32_e32 v5, 4, v3
	v_cmp_gt_u32_e32 vcc_lo, 0x8000000, v3
	s_delay_alu instid0(VALU_DEP_2) | instskip(NEXT) | instid1(VALU_DEP_1)
	v_or_b32_e32 v5, 0x70000000, v5
	v_mul_f32_e32 v5, 0x7800000, v5
	s_delay_alu instid0(VALU_DEP_1) | instskip(NEXT) | instid1(VALU_DEP_1)
	v_cndmask_b32_e32 v3, v5, v7, vcc_lo
	v_and_or_b32 v1, 0x80000000, v1, v3
	s_delay_alu instid0(VALU_DEP_1) | instskip(NEXT) | instid1(VALU_DEP_1)
	v_trunc_f32_e32 v1, v1
	v_mul_f32_e64 v3, 0x2f800000, |v1|
	s_delay_alu instid0(VALU_DEP_1) | instskip(NEXT) | instid1(VALU_DEP_1)
	v_floor_f32_e32 v3, v3
	v_fma_f32 v3, 0xcf800000, v3, |v1|
	v_ashrrev_i32_e32 v1, 31, v1
	s_delay_alu instid0(VALU_DEP_2) | instskip(NEXT) | instid1(VALU_DEP_1)
	v_cvt_u32_f32_e32 v3, v3
	v_xor_b32_e32 v3, v3, v1
	s_delay_alu instid0(VALU_DEP_1)
	v_sub_nc_u32_e32 v20, v3, v1
.LBB23_2442:
	s_mov_b32 s13, 0
	s_mov_b32 s14, -1
.LBB23_2443:
	s_and_not1_b32 vcc_lo, exec_lo, s13
	s_mov_b32 s13, 0
	s_cbranch_vccnz .LBB23_2454
; %bb.2444:
	s_cmp_gt_i32 s10, 14
	s_cbranch_scc0 .LBB23_2447
; %bb.2445:
	s_cmp_eq_u32 s10, 15
	s_cbranch_scc0 .LBB23_2450
; %bb.2446:
	global_load_u16 v1, v[24:25], off
	s_mov_b32 s12, 0
	s_mov_b32 s14, -1
	s_wait_loadcnt 0x0
	v_lshlrev_b32_e32 v1, 16, v1
	s_delay_alu instid0(VALU_DEP_1) | instskip(NEXT) | instid1(VALU_DEP_1)
	v_trunc_f32_e32 v1, v1
	v_mul_f32_e64 v3, 0x2f800000, |v1|
	s_delay_alu instid0(VALU_DEP_1) | instskip(NEXT) | instid1(VALU_DEP_1)
	v_floor_f32_e32 v3, v3
	v_fma_f32 v3, 0xcf800000, v3, |v1|
	v_ashrrev_i32_e32 v1, 31, v1
	s_delay_alu instid0(VALU_DEP_2) | instskip(NEXT) | instid1(VALU_DEP_1)
	v_cvt_u32_f32_e32 v3, v3
	v_xor_b32_e32 v3, v3, v1
	s_delay_alu instid0(VALU_DEP_1)
	v_sub_nc_u32_e32 v20, v3, v1
	s_branch .LBB23_2452
.LBB23_2447:
	s_mov_b32 s13, -1
	s_branch .LBB23_2451
.LBB23_2448:
	s_and_not1_saveexec_b32 s13, s13
	s_cbranch_execz .LBB23_2429
.LBB23_2449:
	v_cmp_ne_u16_e32 vcc_lo, 0, v1
	s_and_not1_b32 s14, s14, exec_lo
	s_and_b32 s15, vcc_lo, exec_lo
	s_delay_alu instid0(SALU_CYCLE_1)
	s_or_b32 s14, s14, s15
	s_or_b32 exec_lo, exec_lo, s13
	v_mov_b32_e32 v20, 0
	s_and_saveexec_b32 s13, s14
	s_cbranch_execnz .LBB23_2430
	s_branch .LBB23_2431
.LBB23_2450:
	s_mov_b32 s12, -1
.LBB23_2451:
                                        ; implicit-def: $vgpr20
.LBB23_2452:
	s_and_b32 vcc_lo, exec_lo, s13
	s_mov_b32 s13, 0
	s_cbranch_vccz .LBB23_2454
; %bb.2453:
	s_cmp_lg_u32 s10, 11
	s_mov_b32 s13, -1
	s_cselect_b32 s12, -1, 0
.LBB23_2454:
	s_delay_alu instid0(SALU_CYCLE_1)
	s_and_b32 vcc_lo, exec_lo, s12
	s_cbranch_vccnz .LBB23_2538
; %bb.2455:
	s_and_not1_b32 vcc_lo, exec_lo, s13
	s_cbranch_vccnz .LBB23_2457
.LBB23_2456:
	global_load_u8 v1, v[24:25], off
	s_mov_b32 s14, -1
	s_wait_loadcnt 0x0
	v_cmp_ne_u16_e32 vcc_lo, 0, v1
	v_cndmask_b32_e64 v20, 0, 1, vcc_lo
.LBB23_2457:
	s_mov_b32 s12, 0
.LBB23_2458:
	s_delay_alu instid0(SALU_CYCLE_1)
	s_and_b32 vcc_lo, exec_lo, s12
	s_cbranch_vccz .LBB23_2507
; %bb.2459:
	s_cmp_lt_i32 s10, 5
	s_cbranch_scc1 .LBB23_2464
; %bb.2460:
	s_cmp_lt_i32 s10, 8
	s_cbranch_scc1 .LBB23_2465
	;; [unrolled: 3-line block ×3, first 2 shown]
; %bb.2462:
	s_cmp_gt_i32 s10, 9
	s_cbranch_scc0 .LBB23_2467
; %bb.2463:
	s_wait_loadcnt 0x0
	global_load_b64 v[20:21], v[24:25], off
	s_mov_b32 s12, 0
	s_wait_loadcnt 0x0
	v_trunc_f64_e32 v[20:21], v[20:21]
	s_delay_alu instid0(VALU_DEP_1) | instskip(NEXT) | instid1(VALU_DEP_1)
	v_ldexp_f64 v[26:27], v[20:21], 0xffffffe0
	v_floor_f64_e32 v[26:27], v[26:27]
	s_delay_alu instid0(VALU_DEP_1) | instskip(NEXT) | instid1(VALU_DEP_1)
	v_fmamk_f64 v[20:21], v[26:27], 0xc1f00000, v[20:21]
	v_cvt_u32_f64_e32 v20, v[20:21]
	s_branch .LBB23_2468
.LBB23_2464:
	s_mov_b32 s12, -1
                                        ; implicit-def: $vgpr20
	s_branch .LBB23_2486
.LBB23_2465:
	s_mov_b32 s12, -1
                                        ; implicit-def: $vgpr20
	s_branch .LBB23_2474
.LBB23_2466:
	s_mov_b32 s12, -1
                                        ; implicit-def: $vgpr20
	s_branch .LBB23_2471
.LBB23_2467:
	s_mov_b32 s12, -1
                                        ; implicit-def: $vgpr20
.LBB23_2468:
	s_delay_alu instid0(SALU_CYCLE_1)
	s_and_not1_b32 vcc_lo, exec_lo, s12
	s_cbranch_vccnz .LBB23_2470
; %bb.2469:
	global_load_b32 v1, v[24:25], off
	s_wait_loadcnt 0x0
	v_trunc_f32_e32 v1, v1
	s_delay_alu instid0(VALU_DEP_1) | instskip(NEXT) | instid1(VALU_DEP_1)
	v_mul_f32_e64 v3, 0x2f800000, |v1|
	v_floor_f32_e32 v3, v3
	s_delay_alu instid0(VALU_DEP_1) | instskip(SKIP_1) | instid1(VALU_DEP_2)
	v_fma_f32 v3, 0xcf800000, v3, |v1|
	v_ashrrev_i32_e32 v1, 31, v1
	v_cvt_u32_f32_e32 v3, v3
	s_delay_alu instid0(VALU_DEP_1) | instskip(NEXT) | instid1(VALU_DEP_1)
	v_xor_b32_e32 v3, v3, v1
	v_sub_nc_u32_e32 v20, v3, v1
.LBB23_2470:
	s_mov_b32 s12, 0
.LBB23_2471:
	s_delay_alu instid0(SALU_CYCLE_1)
	s_and_not1_b32 vcc_lo, exec_lo, s12
	s_cbranch_vccnz .LBB23_2473
; %bb.2472:
	global_load_b32 v1, v[24:25], off
	s_wait_loadcnt 0x0
	v_cvt_f32_f16_e32 v1, v1
	s_delay_alu instid0(VALU_DEP_1)
	v_cvt_i32_f32_e32 v20, v1
.LBB23_2473:
	s_mov_b32 s12, 0
.LBB23_2474:
	s_delay_alu instid0(SALU_CYCLE_1)
	s_and_not1_b32 vcc_lo, exec_lo, s12
	s_cbranch_vccnz .LBB23_2485
; %bb.2475:
	s_cmp_lt_i32 s10, 6
	s_cbranch_scc1 .LBB23_2478
; %bb.2476:
	s_cmp_gt_i32 s10, 6
	s_cbranch_scc0 .LBB23_2479
; %bb.2477:
	s_wait_loadcnt 0x0
	global_load_b64 v[20:21], v[24:25], off
	s_mov_b32 s12, 0
	s_wait_loadcnt 0x0
	v_trunc_f64_e32 v[20:21], v[20:21]
	s_delay_alu instid0(VALU_DEP_1) | instskip(NEXT) | instid1(VALU_DEP_1)
	v_ldexp_f64 v[26:27], v[20:21], 0xffffffe0
	v_floor_f64_e32 v[26:27], v[26:27]
	s_delay_alu instid0(VALU_DEP_1) | instskip(NEXT) | instid1(VALU_DEP_1)
	v_fmamk_f64 v[20:21], v[26:27], 0xc1f00000, v[20:21]
	v_cvt_u32_f64_e32 v20, v[20:21]
	s_branch .LBB23_2480
.LBB23_2478:
	s_mov_b32 s12, -1
                                        ; implicit-def: $vgpr20
	s_branch .LBB23_2483
.LBB23_2479:
	s_mov_b32 s12, -1
                                        ; implicit-def: $vgpr20
.LBB23_2480:
	s_delay_alu instid0(SALU_CYCLE_1)
	s_and_not1_b32 vcc_lo, exec_lo, s12
	s_cbranch_vccnz .LBB23_2482
; %bb.2481:
	global_load_b32 v1, v[24:25], off
	s_wait_loadcnt 0x0
	v_trunc_f32_e32 v1, v1
	s_delay_alu instid0(VALU_DEP_1) | instskip(NEXT) | instid1(VALU_DEP_1)
	v_mul_f32_e64 v3, 0x2f800000, |v1|
	v_floor_f32_e32 v3, v3
	s_delay_alu instid0(VALU_DEP_1) | instskip(SKIP_1) | instid1(VALU_DEP_2)
	v_fma_f32 v3, 0xcf800000, v3, |v1|
	v_ashrrev_i32_e32 v1, 31, v1
	v_cvt_u32_f32_e32 v3, v3
	s_delay_alu instid0(VALU_DEP_1) | instskip(NEXT) | instid1(VALU_DEP_1)
	v_xor_b32_e32 v3, v3, v1
	v_sub_nc_u32_e32 v20, v3, v1
.LBB23_2482:
	s_mov_b32 s12, 0
.LBB23_2483:
	s_delay_alu instid0(SALU_CYCLE_1)
	s_and_not1_b32 vcc_lo, exec_lo, s12
	s_cbranch_vccnz .LBB23_2485
; %bb.2484:
	global_load_u16 v1, v[24:25], off
	s_wait_loadcnt 0x0
	v_cvt_f32_f16_e32 v1, v1
	s_delay_alu instid0(VALU_DEP_1)
	v_cvt_i32_f32_e32 v20, v1
.LBB23_2485:
	s_mov_b32 s12, 0
.LBB23_2486:
	s_delay_alu instid0(SALU_CYCLE_1)
	s_and_not1_b32 vcc_lo, exec_lo, s12
	s_cbranch_vccnz .LBB23_2506
; %bb.2487:
	s_cmp_lt_i32 s10, 2
	s_cbranch_scc1 .LBB23_2491
; %bb.2488:
	s_cmp_lt_i32 s10, 3
	s_cbranch_scc1 .LBB23_2492
; %bb.2489:
	s_cmp_gt_i32 s10, 3
	s_cbranch_scc0 .LBB23_2493
; %bb.2490:
	s_wait_loadcnt 0x0
	global_load_b64 v[20:21], v[24:25], off
	s_mov_b32 s12, 0
	s_branch .LBB23_2494
.LBB23_2491:
	s_mov_b32 s12, -1
                                        ; implicit-def: $vgpr20
	s_branch .LBB23_2500
.LBB23_2492:
	s_mov_b32 s12, -1
                                        ; implicit-def: $vgpr20
	s_branch .LBB23_2497
.LBB23_2493:
	s_mov_b32 s12, -1
                                        ; implicit-def: $vgpr20
.LBB23_2494:
	s_delay_alu instid0(SALU_CYCLE_1)
	s_and_not1_b32 vcc_lo, exec_lo, s12
	s_cbranch_vccnz .LBB23_2496
; %bb.2495:
	s_wait_loadcnt 0x0
	global_load_b32 v20, v[24:25], off
.LBB23_2496:
	s_mov_b32 s12, 0
.LBB23_2497:
	s_delay_alu instid0(SALU_CYCLE_1)
	s_and_not1_b32 vcc_lo, exec_lo, s12
	s_cbranch_vccnz .LBB23_2499
; %bb.2498:
	s_wait_loadcnt 0x0
	global_load_u16 v20, v[24:25], off
.LBB23_2499:
	s_mov_b32 s12, 0
.LBB23_2500:
	s_delay_alu instid0(SALU_CYCLE_1)
	s_and_not1_b32 vcc_lo, exec_lo, s12
	s_cbranch_vccnz .LBB23_2506
; %bb.2501:
	s_cmp_gt_i32 s10, 0
	s_mov_b32 s12, 0
	s_cbranch_scc0 .LBB23_2503
; %bb.2502:
	s_wait_loadcnt 0x0
	global_load_u8 v20, v[24:25], off
	s_branch .LBB23_2504
.LBB23_2503:
	s_mov_b32 s12, -1
                                        ; implicit-def: $vgpr20
.LBB23_2504:
	s_delay_alu instid0(SALU_CYCLE_1)
	s_and_not1_b32 vcc_lo, exec_lo, s12
	s_cbranch_vccnz .LBB23_2506
; %bb.2505:
	s_wait_loadcnt 0x0
	global_load_u8 v20, v[24:25], off
.LBB23_2506:
	s_mov_b32 s14, -1
.LBB23_2507:
	s_delay_alu instid0(SALU_CYCLE_1)
	s_and_not1_b32 vcc_lo, exec_lo, s14
	s_cbranch_vccnz .LBB23_3216
; %bb.2508:
	s_cmp_lt_i32 s11, 23
	s_cbranch_scc1 .LBB23_2512
; %bb.2509:
	s_cmp_gt_i32 s11, 43
	s_cbranch_scc0 .LBB23_2513
; %bb.2510:
	s_cmp_gt_i32 s11, 45
	s_cbranch_scc0 .LBB23_2514
; %bb.2511:
	s_cmp_lg_u32 s11, 46
	s_mov_b32 s14, 0
	s_mov_b32 s12, -1
	s_cselect_b32 s13, -1, 0
	s_branch .LBB23_2515
.LBB23_2512:
	s_mov_b32 s14, -1
	s_mov_b32 s12, 0
	s_mov_b32 s13, 0
	s_branch .LBB23_2521
.LBB23_2513:
	s_mov_b32 s14, -1
	s_mov_b32 s12, 0
	s_mov_b32 s13, 0
	s_branch .LBB23_2518
.LBB23_2514:
	s_mov_b32 s14, -1
	s_mov_b32 s12, 0
	s_mov_b32 s13, 0
.LBB23_2515:
	s_and_not1_b32 vcc_lo, exec_lo, s14
	s_cbranch_vccnz .LBB23_2517
; %bb.2516:
	s_cmp_eq_u32 s11, 44
	s_cselect_b32 s12, -1, 0
	s_cmp_lg_u32 s11, 44
	s_cselect_b32 s13, -1, 0
.LBB23_2517:
	s_mov_b32 s14, 0
.LBB23_2518:
	s_delay_alu instid0(SALU_CYCLE_1)
	s_and_b32 vcc_lo, exec_lo, s14
	s_cbranch_vccz .LBB23_2520
; %bb.2519:
	s_cmp_lt_i32 s11, 30
	s_cselect_b32 s12, -1, 0
	s_cmp_gt_i32 s11, 29
	s_cselect_b32 s13, -1, 0
.LBB23_2520:
	s_mov_b32 s14, 0
.LBB23_2521:
	s_delay_alu instid0(SALU_CYCLE_1)
	s_and_b32 vcc_lo, exec_lo, s14
	s_cbranch_vccz .LBB23_2526
; %bb.2522:
	s_cmp_gt_i32 s11, 14
	s_mov_b32 s14, -1
	s_cbranch_scc0 .LBB23_2524
; %bb.2523:
	s_cmp_eq_u32 s11, 15
	s_mov_b32 s14, 0
	s_cselect_b32 s12, -1, 0
	s_cmp_lg_u32 s11, 15
	s_cselect_b32 s13, -1, 0
.LBB23_2524:
	s_and_not1_b32 vcc_lo, exec_lo, s14
	s_cbranch_vccnz .LBB23_2526
; %bb.2525:
	s_cmp_lt_i32 s11, 12
	s_cselect_b32 s12, -1, 0
	s_cmp_gt_i32 s11, 11
	s_cselect_b32 s13, -1, 0
.LBB23_2526:
	s_delay_alu instid0(SALU_CYCLE_1)
	s_and_b32 vcc_lo, exec_lo, s13
	s_cbranch_vccnz .LBB23_2539
; %bb.2527:
	s_and_not1_b32 vcc_lo, exec_lo, s12
	s_cbranch_vccnz .LBB23_3216
.LBB23_2528:
	v_mov_b32_e32 v17, 0
	s_cmp_lt_i32 s9, 11
	s_wait_xcnt 0x0
	s_delay_alu instid0(VALU_DEP_1)
	v_add_nc_u64_e32 v[24:25], s[0:1], v[16:17]
	s_cbranch_scc1 .LBB23_2535
; %bb.2529:
	s_cmp_gt_i32 s9, 25
	s_mov_b32 s1, 0
	s_cbranch_scc0 .LBB23_2536
; %bb.2530:
	s_cmp_gt_i32 s9, 28
	s_cbranch_scc0 .LBB23_2537
; %bb.2531:
	s_cmp_gt_i32 s9, 43
	;; [unrolled: 3-line block ×3, first 2 shown]
	s_cbranch_scc0 .LBB23_2541
; %bb.2533:
	s_cmp_eq_u32 s9, 46
	s_mov_b32 s12, 0
	s_cbranch_scc0 .LBB23_2542
; %bb.2534:
	global_load_b32 v1, v[24:25], off
	s_mov_b32 s0, 0
	s_mov_b32 s11, -1
	s_wait_loadcnt 0x0
	v_lshlrev_b32_e32 v1, 16, v1
	s_delay_alu instid0(VALU_DEP_1) | instskip(NEXT) | instid1(VALU_DEP_1)
	v_trunc_f32_e32 v1, v1
	v_mul_f32_e64 v3, 0x2f800000, |v1|
	s_delay_alu instid0(VALU_DEP_1) | instskip(NEXT) | instid1(VALU_DEP_1)
	v_floor_f32_e32 v3, v3
	v_fma_f32 v3, 0xcf800000, v3, |v1|
	v_ashrrev_i32_e32 v1, 31, v1
	s_delay_alu instid0(VALU_DEP_2) | instskip(NEXT) | instid1(VALU_DEP_1)
	v_cvt_u32_f32_e32 v3, v3
	v_xor_b32_e32 v3, v3, v1
	s_delay_alu instid0(VALU_DEP_1)
	v_sub_nc_u32_e32 v16, v3, v1
	s_branch .LBB23_2544
.LBB23_2535:
	s_mov_b32 s0, -1
	s_mov_b32 s11, 0
                                        ; implicit-def: $vgpr16
	s_branch .LBB23_2606
.LBB23_2536:
	s_mov_b32 s12, -1
	s_mov_b32 s11, 0
	s_mov_b32 s0, 0
                                        ; implicit-def: $vgpr16
	s_branch .LBB23_2571
.LBB23_2537:
	s_mov_b32 s12, -1
	s_mov_b32 s11, 0
	s_mov_b32 s0, 0
                                        ; implicit-def: $vgpr16
	s_branch .LBB23_2554
.LBB23_2538:
	s_or_b32 s8, s8, exec_lo
	s_trap 2
	s_cbranch_execz .LBB23_2456
	s_branch .LBB23_2457
.LBB23_2539:
	s_or_b32 s8, s8, exec_lo
	s_trap 2
	s_cbranch_execz .LBB23_2528
	s_branch .LBB23_3216
.LBB23_2540:
	s_mov_b32 s12, -1
	s_mov_b32 s11, 0
	s_mov_b32 s0, 0
                                        ; implicit-def: $vgpr16
	s_branch .LBB23_2549
.LBB23_2541:
	s_mov_b32 s12, -1
	s_mov_b32 s11, 0
	s_mov_b32 s0, 0
	s_branch .LBB23_2543
.LBB23_2542:
	s_mov_b32 s0, -1
	s_mov_b32 s11, 0
.LBB23_2543:
                                        ; implicit-def: $vgpr16
.LBB23_2544:
	s_and_b32 vcc_lo, exec_lo, s12
	s_cbranch_vccz .LBB23_2548
; %bb.2545:
	s_cmp_eq_u32 s9, 44
	s_cbranch_scc0 .LBB23_2547
; %bb.2546:
	global_load_u8 v1, v[24:25], off
	s_mov_b32 s0, 0
	s_mov_b32 s11, -1
	s_wait_loadcnt 0x0
	v_lshlrev_b32_e32 v3, 23, v1
	v_cmp_ne_u32_e32 vcc_lo, 0, v1
	s_delay_alu instid0(VALU_DEP_2) | instskip(NEXT) | instid1(VALU_DEP_1)
	v_trunc_f32_e32 v3, v3
	v_mul_f32_e64 v5, 0x2f800000, |v3|
	s_delay_alu instid0(VALU_DEP_1) | instskip(NEXT) | instid1(VALU_DEP_1)
	v_floor_f32_e32 v5, v5
	v_fma_f32 v5, 0xcf800000, v5, |v3|
	v_ashrrev_i32_e32 v3, 31, v3
	s_delay_alu instid0(VALU_DEP_2) | instskip(NEXT) | instid1(VALU_DEP_1)
	v_cvt_u32_f32_e32 v5, v5
	v_xor_b32_e32 v5, v5, v3
	s_delay_alu instid0(VALU_DEP_1) | instskip(NEXT) | instid1(VALU_DEP_1)
	v_sub_nc_u32_e32 v3, v5, v3
	v_cndmask_b32_e32 v16, 0, v3, vcc_lo
	s_branch .LBB23_2548
.LBB23_2547:
	s_mov_b32 s0, -1
                                        ; implicit-def: $vgpr16
.LBB23_2548:
	s_mov_b32 s12, 0
.LBB23_2549:
	s_delay_alu instid0(SALU_CYCLE_1)
	s_and_b32 vcc_lo, exec_lo, s12
	s_cbranch_vccz .LBB23_2553
; %bb.2550:
	s_cmp_eq_u32 s9, 29
	s_cbranch_scc0 .LBB23_2552
; %bb.2551:
	global_load_b64 v[16:17], v[24:25], off
	s_mov_b32 s0, 0
	s_mov_b32 s11, -1
	s_branch .LBB23_2553
.LBB23_2552:
	s_mov_b32 s0, -1
                                        ; implicit-def: $vgpr16
.LBB23_2553:
	s_mov_b32 s12, 0
.LBB23_2554:
	s_delay_alu instid0(SALU_CYCLE_1)
	s_and_b32 vcc_lo, exec_lo, s12
	s_cbranch_vccz .LBB23_2570
; %bb.2555:
	s_cmp_lt_i32 s9, 27
	s_cbranch_scc1 .LBB23_2558
; %bb.2556:
	s_cmp_gt_i32 s9, 27
	s_cbranch_scc0 .LBB23_2559
; %bb.2557:
	s_wait_loadcnt 0x0
	global_load_b32 v16, v[24:25], off
	s_mov_b32 s11, 0
	s_branch .LBB23_2560
.LBB23_2558:
	s_mov_b32 s11, -1
                                        ; implicit-def: $vgpr16
	s_branch .LBB23_2563
.LBB23_2559:
	s_mov_b32 s11, -1
                                        ; implicit-def: $vgpr16
.LBB23_2560:
	s_delay_alu instid0(SALU_CYCLE_1)
	s_and_not1_b32 vcc_lo, exec_lo, s11
	s_cbranch_vccnz .LBB23_2562
; %bb.2561:
	s_wait_loadcnt 0x0
	global_load_u16 v16, v[24:25], off
.LBB23_2562:
	s_mov_b32 s11, 0
.LBB23_2563:
	s_delay_alu instid0(SALU_CYCLE_1)
	s_and_not1_b32 vcc_lo, exec_lo, s11
	s_cbranch_vccnz .LBB23_2569
; %bb.2564:
	global_load_u8 v1, v[24:25], off
	s_mov_b32 s12, 0
	s_mov_b32 s11, exec_lo
	s_wait_loadcnt 0x0
	v_cmpx_lt_i16_e32 0x7f, v1
	s_xor_b32 s11, exec_lo, s11
	s_cbranch_execz .LBB23_2581
; %bb.2565:
	v_cmp_ne_u16_e32 vcc_lo, 0x80, v1
	s_and_b32 s12, vcc_lo, exec_lo
	s_and_not1_saveexec_b32 s11, s11
	s_cbranch_execnz .LBB23_2582
.LBB23_2566:
	s_or_b32 exec_lo, exec_lo, s11
	v_mov_b32_e32 v16, 0
	s_and_saveexec_b32 s11, s12
	s_cbranch_execz .LBB23_2568
.LBB23_2567:
	v_and_b32_e32 v3, 0xffff, v1
	s_delay_alu instid0(VALU_DEP_1) | instskip(SKIP_1) | instid1(VALU_DEP_2)
	v_dual_lshlrev_b32 v1, 24, v1 :: v_dual_bitop2_b32 v5, 7, v3 bitop3:0x40
	v_bfe_u32 v11, v3, 3, 4
	v_and_b32_e32 v1, 0x80000000, v1
	s_delay_alu instid0(VALU_DEP_3) | instskip(NEXT) | instid1(VALU_DEP_3)
	v_clz_i32_u32_e32 v7, v5
	v_cmp_eq_u32_e32 vcc_lo, 0, v11
	s_delay_alu instid0(VALU_DEP_2) | instskip(NEXT) | instid1(VALU_DEP_1)
	v_min_u32_e32 v7, 32, v7
	v_subrev_nc_u32_e32 v9, 28, v7
	v_sub_nc_u32_e32 v7, 29, v7
	s_delay_alu instid0(VALU_DEP_2) | instskip(NEXT) | instid1(VALU_DEP_2)
	v_lshlrev_b32_e32 v3, v9, v3
	v_cndmask_b32_e32 v7, v11, v7, vcc_lo
	s_delay_alu instid0(VALU_DEP_2) | instskip(NEXT) | instid1(VALU_DEP_1)
	v_and_b32_e32 v3, 7, v3
	v_cndmask_b32_e32 v3, v5, v3, vcc_lo
	s_delay_alu instid0(VALU_DEP_3) | instskip(NEXT) | instid1(VALU_DEP_2)
	v_lshl_add_u32 v5, v7, 23, 0x3b800000
	v_lshlrev_b32_e32 v3, 20, v3
	s_delay_alu instid0(VALU_DEP_1) | instskip(NEXT) | instid1(VALU_DEP_1)
	v_or3_b32 v1, v1, v5, v3
	v_trunc_f32_e32 v1, v1
	s_delay_alu instid0(VALU_DEP_1) | instskip(NEXT) | instid1(VALU_DEP_1)
	v_mul_f32_e64 v3, 0x2f800000, |v1|
	v_floor_f32_e32 v3, v3
	s_delay_alu instid0(VALU_DEP_1) | instskip(SKIP_1) | instid1(VALU_DEP_2)
	v_fma_f32 v3, 0xcf800000, v3, |v1|
	v_ashrrev_i32_e32 v1, 31, v1
	v_cvt_u32_f32_e32 v3, v3
	s_delay_alu instid0(VALU_DEP_1) | instskip(NEXT) | instid1(VALU_DEP_1)
	v_xor_b32_e32 v3, v3, v1
	v_sub_nc_u32_e32 v16, v3, v1
.LBB23_2568:
	s_or_b32 exec_lo, exec_lo, s11
.LBB23_2569:
	s_mov_b32 s11, -1
.LBB23_2570:
	s_mov_b32 s12, 0
.LBB23_2571:
	s_delay_alu instid0(SALU_CYCLE_1)
	s_and_b32 vcc_lo, exec_lo, s12
	s_cbranch_vccz .LBB23_2602
; %bb.2572:
	s_cmp_gt_i32 s9, 22
	s_cbranch_scc0 .LBB23_2580
; %bb.2573:
	s_cmp_lt_i32 s9, 24
	s_cbranch_scc1 .LBB23_2583
; %bb.2574:
	s_cmp_gt_i32 s9, 24
	s_cbranch_scc0 .LBB23_2584
; %bb.2575:
	global_load_u8 v1, v[24:25], off
	s_mov_b32 s11, 0
	s_mov_b32 s1, exec_lo
	s_wait_loadcnt 0x0
	v_cmpx_lt_i16_e32 0x7f, v1
	s_xor_b32 s1, exec_lo, s1
	s_cbranch_execz .LBB23_2596
; %bb.2576:
	v_cmp_ne_u16_e32 vcc_lo, 0x80, v1
	s_and_b32 s11, vcc_lo, exec_lo
	s_and_not1_saveexec_b32 s1, s1
	s_cbranch_execnz .LBB23_2597
.LBB23_2577:
	s_or_b32 exec_lo, exec_lo, s1
	v_mov_b32_e32 v16, 0
	s_and_saveexec_b32 s1, s11
	s_cbranch_execz .LBB23_2579
.LBB23_2578:
	v_and_b32_e32 v3, 0xffff, v1
	s_delay_alu instid0(VALU_DEP_1) | instskip(SKIP_1) | instid1(VALU_DEP_2)
	v_dual_lshlrev_b32 v1, 24, v1 :: v_dual_bitop2_b32 v5, 3, v3 bitop3:0x40
	v_bfe_u32 v11, v3, 2, 5
	v_and_b32_e32 v1, 0x80000000, v1
	s_delay_alu instid0(VALU_DEP_3) | instskip(NEXT) | instid1(VALU_DEP_3)
	v_clz_i32_u32_e32 v7, v5
	v_cmp_eq_u32_e32 vcc_lo, 0, v11
	s_delay_alu instid0(VALU_DEP_2) | instskip(NEXT) | instid1(VALU_DEP_1)
	v_min_u32_e32 v7, 32, v7
	v_subrev_nc_u32_e32 v9, 29, v7
	v_sub_nc_u32_e32 v7, 30, v7
	s_delay_alu instid0(VALU_DEP_2) | instskip(NEXT) | instid1(VALU_DEP_2)
	v_lshlrev_b32_e32 v3, v9, v3
	v_cndmask_b32_e32 v7, v11, v7, vcc_lo
	s_delay_alu instid0(VALU_DEP_2) | instskip(NEXT) | instid1(VALU_DEP_1)
	v_and_b32_e32 v3, 3, v3
	v_cndmask_b32_e32 v3, v5, v3, vcc_lo
	s_delay_alu instid0(VALU_DEP_3) | instskip(NEXT) | instid1(VALU_DEP_2)
	v_lshl_add_u32 v5, v7, 23, 0x37800000
	v_lshlrev_b32_e32 v3, 21, v3
	s_delay_alu instid0(VALU_DEP_1) | instskip(NEXT) | instid1(VALU_DEP_1)
	v_or3_b32 v1, v1, v5, v3
	v_trunc_f32_e32 v1, v1
	s_delay_alu instid0(VALU_DEP_1) | instskip(NEXT) | instid1(VALU_DEP_1)
	v_mul_f32_e64 v3, 0x2f800000, |v1|
	v_floor_f32_e32 v3, v3
	s_delay_alu instid0(VALU_DEP_1) | instskip(SKIP_1) | instid1(VALU_DEP_2)
	v_fma_f32 v3, 0xcf800000, v3, |v1|
	v_ashrrev_i32_e32 v1, 31, v1
	v_cvt_u32_f32_e32 v3, v3
	s_delay_alu instid0(VALU_DEP_1) | instskip(NEXT) | instid1(VALU_DEP_1)
	v_xor_b32_e32 v3, v3, v1
	v_sub_nc_u32_e32 v16, v3, v1
.LBB23_2579:
	s_or_b32 exec_lo, exec_lo, s1
	s_mov_b32 s1, 0
	s_branch .LBB23_2585
.LBB23_2580:
	s_mov_b32 s1, -1
                                        ; implicit-def: $vgpr16
	s_branch .LBB23_2591
.LBB23_2581:
	s_and_not1_saveexec_b32 s11, s11
	s_cbranch_execz .LBB23_2566
.LBB23_2582:
	v_cmp_ne_u16_e32 vcc_lo, 0, v1
	s_and_not1_b32 s12, s12, exec_lo
	s_and_b32 s13, vcc_lo, exec_lo
	s_delay_alu instid0(SALU_CYCLE_1)
	s_or_b32 s12, s12, s13
	s_or_b32 exec_lo, exec_lo, s11
	v_mov_b32_e32 v16, 0
	s_and_saveexec_b32 s11, s12
	s_cbranch_execnz .LBB23_2567
	s_branch .LBB23_2568
.LBB23_2583:
	s_mov_b32 s1, -1
                                        ; implicit-def: $vgpr16
	s_branch .LBB23_2588
.LBB23_2584:
	s_mov_b32 s1, -1
                                        ; implicit-def: $vgpr16
.LBB23_2585:
	s_delay_alu instid0(SALU_CYCLE_1)
	s_and_b32 vcc_lo, exec_lo, s1
	s_cbranch_vccz .LBB23_2587
; %bb.2586:
	global_load_u8 v1, v[24:25], off
	s_wait_loadcnt 0x0
	v_lshlrev_b32_e32 v1, 24, v1
	s_delay_alu instid0(VALU_DEP_1) | instskip(NEXT) | instid1(VALU_DEP_1)
	v_and_b32_e32 v3, 0x7f000000, v1
	v_clz_i32_u32_e32 v5, v3
	v_add_nc_u32_e32 v9, 0x1000000, v3
	v_cmp_ne_u32_e32 vcc_lo, 0, v3
	s_delay_alu instid0(VALU_DEP_3) | instskip(NEXT) | instid1(VALU_DEP_1)
	v_min_u32_e32 v5, 32, v5
	v_sub_nc_u32_e64 v5, v5, 4 clamp
	s_delay_alu instid0(VALU_DEP_1) | instskip(NEXT) | instid1(VALU_DEP_1)
	v_dual_lshlrev_b32 v7, v5, v3 :: v_dual_lshlrev_b32 v5, 23, v5
	v_lshrrev_b32_e32 v7, 4, v7
	s_delay_alu instid0(VALU_DEP_1) | instskip(SKIP_1) | instid1(VALU_DEP_2)
	v_sub_nc_u32_e32 v5, v7, v5
	v_ashrrev_i32_e32 v7, 8, v9
	v_add_nc_u32_e32 v5, 0x3c000000, v5
	s_delay_alu instid0(VALU_DEP_1) | instskip(NEXT) | instid1(VALU_DEP_1)
	v_and_or_b32 v5, 0x7f800000, v7, v5
	v_cndmask_b32_e32 v3, 0, v5, vcc_lo
	s_delay_alu instid0(VALU_DEP_1) | instskip(NEXT) | instid1(VALU_DEP_1)
	v_and_or_b32 v1, 0x80000000, v1, v3
	v_trunc_f32_e32 v1, v1
	s_delay_alu instid0(VALU_DEP_1) | instskip(NEXT) | instid1(VALU_DEP_1)
	v_mul_f32_e64 v3, 0x2f800000, |v1|
	v_floor_f32_e32 v3, v3
	s_delay_alu instid0(VALU_DEP_1) | instskip(SKIP_1) | instid1(VALU_DEP_2)
	v_fma_f32 v3, 0xcf800000, v3, |v1|
	v_ashrrev_i32_e32 v1, 31, v1
	v_cvt_u32_f32_e32 v3, v3
	s_delay_alu instid0(VALU_DEP_1) | instskip(NEXT) | instid1(VALU_DEP_1)
	v_xor_b32_e32 v3, v3, v1
	v_sub_nc_u32_e32 v16, v3, v1
.LBB23_2587:
	s_mov_b32 s1, 0
.LBB23_2588:
	s_delay_alu instid0(SALU_CYCLE_1)
	s_and_not1_b32 vcc_lo, exec_lo, s1
	s_cbranch_vccnz .LBB23_2590
; %bb.2589:
	global_load_u8 v1, v[24:25], off
	s_wait_loadcnt 0x0
	v_lshlrev_b32_e32 v3, 25, v1
	v_lshlrev_b16 v1, 8, v1
	s_delay_alu instid0(VALU_DEP_1) | instskip(SKIP_1) | instid1(VALU_DEP_2)
	v_and_or_b32 v7, 0x7f00, v1, 0.5
	v_bfe_i32 v1, v1, 0, 16
	v_add_f32_e32 v7, -0.5, v7
	v_lshrrev_b32_e32 v5, 4, v3
	v_cmp_gt_u32_e32 vcc_lo, 0x8000000, v3
	s_delay_alu instid0(VALU_DEP_2) | instskip(NEXT) | instid1(VALU_DEP_1)
	v_or_b32_e32 v5, 0x70000000, v5
	v_mul_f32_e32 v5, 0x7800000, v5
	s_delay_alu instid0(VALU_DEP_1) | instskip(NEXT) | instid1(VALU_DEP_1)
	v_cndmask_b32_e32 v3, v5, v7, vcc_lo
	v_and_or_b32 v1, 0x80000000, v1, v3
	s_delay_alu instid0(VALU_DEP_1) | instskip(NEXT) | instid1(VALU_DEP_1)
	v_trunc_f32_e32 v1, v1
	v_mul_f32_e64 v3, 0x2f800000, |v1|
	s_delay_alu instid0(VALU_DEP_1) | instskip(NEXT) | instid1(VALU_DEP_1)
	v_floor_f32_e32 v3, v3
	v_fma_f32 v3, 0xcf800000, v3, |v1|
	v_ashrrev_i32_e32 v1, 31, v1
	s_delay_alu instid0(VALU_DEP_2) | instskip(NEXT) | instid1(VALU_DEP_1)
	v_cvt_u32_f32_e32 v3, v3
	v_xor_b32_e32 v3, v3, v1
	s_delay_alu instid0(VALU_DEP_1)
	v_sub_nc_u32_e32 v16, v3, v1
.LBB23_2590:
	s_mov_b32 s1, 0
	s_mov_b32 s11, -1
.LBB23_2591:
	s_and_not1_b32 vcc_lo, exec_lo, s1
	s_mov_b32 s1, 0
	s_cbranch_vccnz .LBB23_2602
; %bb.2592:
	s_cmp_gt_i32 s9, 14
	s_cbranch_scc0 .LBB23_2595
; %bb.2593:
	s_cmp_eq_u32 s9, 15
	s_cbranch_scc0 .LBB23_2598
; %bb.2594:
	global_load_u16 v1, v[24:25], off
	s_mov_b32 s0, 0
	s_mov_b32 s11, -1
	s_wait_loadcnt 0x0
	v_lshlrev_b32_e32 v1, 16, v1
	s_delay_alu instid0(VALU_DEP_1) | instskip(NEXT) | instid1(VALU_DEP_1)
	v_trunc_f32_e32 v1, v1
	v_mul_f32_e64 v3, 0x2f800000, |v1|
	s_delay_alu instid0(VALU_DEP_1) | instskip(NEXT) | instid1(VALU_DEP_1)
	v_floor_f32_e32 v3, v3
	v_fma_f32 v3, 0xcf800000, v3, |v1|
	v_ashrrev_i32_e32 v1, 31, v1
	s_delay_alu instid0(VALU_DEP_2) | instskip(NEXT) | instid1(VALU_DEP_1)
	v_cvt_u32_f32_e32 v3, v3
	v_xor_b32_e32 v3, v3, v1
	s_delay_alu instid0(VALU_DEP_1)
	v_sub_nc_u32_e32 v16, v3, v1
	s_branch .LBB23_2600
.LBB23_2595:
	s_mov_b32 s1, -1
	s_branch .LBB23_2599
.LBB23_2596:
	s_and_not1_saveexec_b32 s1, s1
	s_cbranch_execz .LBB23_2577
.LBB23_2597:
	v_cmp_ne_u16_e32 vcc_lo, 0, v1
	s_and_not1_b32 s11, s11, exec_lo
	s_and_b32 s12, vcc_lo, exec_lo
	s_delay_alu instid0(SALU_CYCLE_1)
	s_or_b32 s11, s11, s12
	s_or_b32 exec_lo, exec_lo, s1
	v_mov_b32_e32 v16, 0
	s_and_saveexec_b32 s1, s11
	s_cbranch_execnz .LBB23_2578
	s_branch .LBB23_2579
.LBB23_2598:
	s_mov_b32 s0, -1
.LBB23_2599:
                                        ; implicit-def: $vgpr16
.LBB23_2600:
	s_and_b32 vcc_lo, exec_lo, s1
	s_mov_b32 s1, 0
	s_cbranch_vccz .LBB23_2602
; %bb.2601:
	s_cmp_lg_u32 s9, 11
	s_mov_b32 s1, -1
	s_cselect_b32 s0, -1, 0
.LBB23_2602:
	s_delay_alu instid0(SALU_CYCLE_1)
	s_and_b32 vcc_lo, exec_lo, s0
	s_cbranch_vccnz .LBB23_2667
; %bb.2603:
	s_and_not1_b32 vcc_lo, exec_lo, s1
	s_cbranch_vccnz .LBB23_2605
.LBB23_2604:
	global_load_u8 v1, v[24:25], off
	s_mov_b32 s11, -1
	s_wait_loadcnt 0x0
	v_cmp_ne_u16_e32 vcc_lo, 0, v1
	v_cndmask_b32_e64 v16, 0, 1, vcc_lo
.LBB23_2605:
	s_mov_b32 s0, 0
.LBB23_2606:
	s_delay_alu instid0(SALU_CYCLE_1)
	s_and_b32 vcc_lo, exec_lo, s0
	s_cbranch_vccz .LBB23_2655
; %bb.2607:
	s_cmp_lt_i32 s9, 5
	s_cbranch_scc1 .LBB23_2612
; %bb.2608:
	s_cmp_lt_i32 s9, 8
	s_cbranch_scc1 .LBB23_2613
	;; [unrolled: 3-line block ×3, first 2 shown]
; %bb.2610:
	s_cmp_gt_i32 s9, 9
	s_cbranch_scc0 .LBB23_2615
; %bb.2611:
	s_wait_loadcnt 0x0
	global_load_b64 v[16:17], v[24:25], off
	s_mov_b32 s0, 0
	s_wait_loadcnt 0x0
	v_trunc_f64_e32 v[16:17], v[16:17]
	s_delay_alu instid0(VALU_DEP_1) | instskip(NEXT) | instid1(VALU_DEP_1)
	v_ldexp_f64 v[26:27], v[16:17], 0xffffffe0
	v_floor_f64_e32 v[26:27], v[26:27]
	s_delay_alu instid0(VALU_DEP_1) | instskip(NEXT) | instid1(VALU_DEP_1)
	v_fmamk_f64 v[16:17], v[26:27], 0xc1f00000, v[16:17]
	v_cvt_u32_f64_e32 v16, v[16:17]
	s_branch .LBB23_2616
.LBB23_2612:
	s_mov_b32 s0, -1
                                        ; implicit-def: $vgpr16
	s_branch .LBB23_2634
.LBB23_2613:
	s_mov_b32 s0, -1
                                        ; implicit-def: $vgpr16
	s_branch .LBB23_2622
.LBB23_2614:
	s_mov_b32 s0, -1
                                        ; implicit-def: $vgpr16
	s_branch .LBB23_2619
.LBB23_2615:
	s_mov_b32 s0, -1
                                        ; implicit-def: $vgpr16
.LBB23_2616:
	s_delay_alu instid0(SALU_CYCLE_1)
	s_and_not1_b32 vcc_lo, exec_lo, s0
	s_cbranch_vccnz .LBB23_2618
; %bb.2617:
	global_load_b32 v1, v[24:25], off
	s_wait_loadcnt 0x0
	v_trunc_f32_e32 v1, v1
	s_delay_alu instid0(VALU_DEP_1) | instskip(NEXT) | instid1(VALU_DEP_1)
	v_mul_f32_e64 v3, 0x2f800000, |v1|
	v_floor_f32_e32 v3, v3
	s_delay_alu instid0(VALU_DEP_1) | instskip(SKIP_1) | instid1(VALU_DEP_2)
	v_fma_f32 v3, 0xcf800000, v3, |v1|
	v_ashrrev_i32_e32 v1, 31, v1
	v_cvt_u32_f32_e32 v3, v3
	s_delay_alu instid0(VALU_DEP_1) | instskip(NEXT) | instid1(VALU_DEP_1)
	v_xor_b32_e32 v3, v3, v1
	v_sub_nc_u32_e32 v16, v3, v1
.LBB23_2618:
	s_mov_b32 s0, 0
.LBB23_2619:
	s_delay_alu instid0(SALU_CYCLE_1)
	s_and_not1_b32 vcc_lo, exec_lo, s0
	s_cbranch_vccnz .LBB23_2621
; %bb.2620:
	global_load_b32 v1, v[24:25], off
	s_wait_loadcnt 0x0
	v_cvt_f32_f16_e32 v1, v1
	s_delay_alu instid0(VALU_DEP_1)
	v_cvt_i32_f32_e32 v16, v1
.LBB23_2621:
	s_mov_b32 s0, 0
.LBB23_2622:
	s_delay_alu instid0(SALU_CYCLE_1)
	s_and_not1_b32 vcc_lo, exec_lo, s0
	s_cbranch_vccnz .LBB23_2633
; %bb.2623:
	s_cmp_lt_i32 s9, 6
	s_cbranch_scc1 .LBB23_2626
; %bb.2624:
	s_cmp_gt_i32 s9, 6
	s_cbranch_scc0 .LBB23_2627
; %bb.2625:
	s_wait_loadcnt 0x0
	global_load_b64 v[16:17], v[24:25], off
	s_mov_b32 s0, 0
	s_wait_loadcnt 0x0
	v_trunc_f64_e32 v[16:17], v[16:17]
	s_delay_alu instid0(VALU_DEP_1) | instskip(NEXT) | instid1(VALU_DEP_1)
	v_ldexp_f64 v[26:27], v[16:17], 0xffffffe0
	v_floor_f64_e32 v[26:27], v[26:27]
	s_delay_alu instid0(VALU_DEP_1) | instskip(NEXT) | instid1(VALU_DEP_1)
	v_fmamk_f64 v[16:17], v[26:27], 0xc1f00000, v[16:17]
	v_cvt_u32_f64_e32 v16, v[16:17]
	s_branch .LBB23_2628
.LBB23_2626:
	s_mov_b32 s0, -1
                                        ; implicit-def: $vgpr16
	s_branch .LBB23_2631
.LBB23_2627:
	s_mov_b32 s0, -1
                                        ; implicit-def: $vgpr16
.LBB23_2628:
	s_delay_alu instid0(SALU_CYCLE_1)
	s_and_not1_b32 vcc_lo, exec_lo, s0
	s_cbranch_vccnz .LBB23_2630
; %bb.2629:
	global_load_b32 v1, v[24:25], off
	s_wait_loadcnt 0x0
	v_trunc_f32_e32 v1, v1
	s_delay_alu instid0(VALU_DEP_1) | instskip(NEXT) | instid1(VALU_DEP_1)
	v_mul_f32_e64 v3, 0x2f800000, |v1|
	v_floor_f32_e32 v3, v3
	s_delay_alu instid0(VALU_DEP_1) | instskip(SKIP_1) | instid1(VALU_DEP_2)
	v_fma_f32 v3, 0xcf800000, v3, |v1|
	v_ashrrev_i32_e32 v1, 31, v1
	v_cvt_u32_f32_e32 v3, v3
	s_delay_alu instid0(VALU_DEP_1) | instskip(NEXT) | instid1(VALU_DEP_1)
	v_xor_b32_e32 v3, v3, v1
	v_sub_nc_u32_e32 v16, v3, v1
.LBB23_2630:
	s_mov_b32 s0, 0
.LBB23_2631:
	s_delay_alu instid0(SALU_CYCLE_1)
	s_and_not1_b32 vcc_lo, exec_lo, s0
	s_cbranch_vccnz .LBB23_2633
; %bb.2632:
	global_load_u16 v1, v[24:25], off
	s_wait_loadcnt 0x0
	v_cvt_f32_f16_e32 v1, v1
	s_delay_alu instid0(VALU_DEP_1)
	v_cvt_i32_f32_e32 v16, v1
.LBB23_2633:
	s_mov_b32 s0, 0
.LBB23_2634:
	s_delay_alu instid0(SALU_CYCLE_1)
	s_and_not1_b32 vcc_lo, exec_lo, s0
	s_cbranch_vccnz .LBB23_2654
; %bb.2635:
	s_cmp_lt_i32 s9, 2
	s_cbranch_scc1 .LBB23_2639
; %bb.2636:
	s_cmp_lt_i32 s9, 3
	s_cbranch_scc1 .LBB23_2640
; %bb.2637:
	s_cmp_gt_i32 s9, 3
	s_cbranch_scc0 .LBB23_2641
; %bb.2638:
	s_wait_loadcnt 0x0
	global_load_b64 v[16:17], v[24:25], off
	s_mov_b32 s0, 0
	s_branch .LBB23_2642
.LBB23_2639:
	s_mov_b32 s0, -1
                                        ; implicit-def: $vgpr16
	s_branch .LBB23_2648
.LBB23_2640:
	s_mov_b32 s0, -1
                                        ; implicit-def: $vgpr16
	s_branch .LBB23_2645
.LBB23_2641:
	s_mov_b32 s0, -1
                                        ; implicit-def: $vgpr16
.LBB23_2642:
	s_delay_alu instid0(SALU_CYCLE_1)
	s_and_not1_b32 vcc_lo, exec_lo, s0
	s_cbranch_vccnz .LBB23_2644
; %bb.2643:
	s_wait_loadcnt 0x0
	global_load_b32 v16, v[24:25], off
.LBB23_2644:
	s_mov_b32 s0, 0
.LBB23_2645:
	s_delay_alu instid0(SALU_CYCLE_1)
	s_and_not1_b32 vcc_lo, exec_lo, s0
	s_cbranch_vccnz .LBB23_2647
; %bb.2646:
	s_wait_loadcnt 0x0
	global_load_u16 v16, v[24:25], off
.LBB23_2647:
	s_mov_b32 s0, 0
.LBB23_2648:
	s_delay_alu instid0(SALU_CYCLE_1)
	s_and_not1_b32 vcc_lo, exec_lo, s0
	s_cbranch_vccnz .LBB23_2654
; %bb.2649:
	s_cmp_gt_i32 s9, 0
	s_mov_b32 s0, 0
	s_cbranch_scc0 .LBB23_2651
; %bb.2650:
	s_wait_loadcnt 0x0
	global_load_u8 v16, v[24:25], off
	s_branch .LBB23_2652
.LBB23_2651:
	s_mov_b32 s0, -1
                                        ; implicit-def: $vgpr16
.LBB23_2652:
	s_delay_alu instid0(SALU_CYCLE_1)
	s_and_not1_b32 vcc_lo, exec_lo, s0
	s_cbranch_vccnz .LBB23_2654
; %bb.2653:
	s_wait_loadcnt 0x0
	global_load_u8 v16, v[24:25], off
.LBB23_2654:
	s_mov_b32 s11, -1
.LBB23_2655:
	s_delay_alu instid0(SALU_CYCLE_1)
	s_and_not1_b32 vcc_lo, exec_lo, s11
	s_cbranch_vccnz .LBB23_3216
; %bb.2656:
	v_mov_b32_e32 v11, 0
	s_cmp_lt_i32 s10, 11
	s_wait_xcnt 0x0
	s_delay_alu instid0(VALU_DEP_1)
	v_add_nc_u64_e32 v[24:25], s[4:5], v[10:11]
	s_cbranch_scc1 .LBB23_2663
; %bb.2657:
	s_cmp_gt_i32 s10, 25
	s_mov_b32 s1, 0
	s_cbranch_scc0 .LBB23_2664
; %bb.2658:
	s_cmp_gt_i32 s10, 28
	s_cbranch_scc0 .LBB23_2665
; %bb.2659:
	s_cmp_gt_i32 s10, 43
	;; [unrolled: 3-line block ×3, first 2 shown]
	s_cbranch_scc0 .LBB23_2668
; %bb.2661:
	s_cmp_eq_u32 s10, 46
	s_mov_b32 s5, 0
	s_cbranch_scc0 .LBB23_2669
; %bb.2662:
	global_load_b32 v1, v[24:25], off
	s_mov_b32 s0, 0
	s_mov_b32 s4, -1
	s_wait_loadcnt 0x0
	v_lshlrev_b32_e32 v1, 16, v1
	s_delay_alu instid0(VALU_DEP_1) | instskip(NEXT) | instid1(VALU_DEP_1)
	v_trunc_f32_e32 v1, v1
	v_mul_f32_e64 v3, 0x2f800000, |v1|
	s_delay_alu instid0(VALU_DEP_1) | instskip(NEXT) | instid1(VALU_DEP_1)
	v_floor_f32_e32 v3, v3
	v_fma_f32 v3, 0xcf800000, v3, |v1|
	v_ashrrev_i32_e32 v1, 31, v1
	s_delay_alu instid0(VALU_DEP_2) | instskip(NEXT) | instid1(VALU_DEP_1)
	v_cvt_u32_f32_e32 v3, v3
	v_xor_b32_e32 v3, v3, v1
	s_delay_alu instid0(VALU_DEP_1)
	v_sub_nc_u32_e32 v10, v3, v1
	s_branch .LBB23_2671
.LBB23_2663:
	s_mov_b32 s0, -1
	s_mov_b32 s4, 0
                                        ; implicit-def: $vgpr10
	s_branch .LBB23_2733
.LBB23_2664:
	s_mov_b32 s5, -1
	s_mov_b32 s4, 0
	s_mov_b32 s0, 0
                                        ; implicit-def: $vgpr10
	s_branch .LBB23_2698
.LBB23_2665:
	s_mov_b32 s5, -1
	s_mov_b32 s4, 0
	s_mov_b32 s0, 0
                                        ; implicit-def: $vgpr10
	s_branch .LBB23_2681
.LBB23_2666:
	s_mov_b32 s5, -1
	s_mov_b32 s4, 0
	s_mov_b32 s0, 0
                                        ; implicit-def: $vgpr10
	s_branch .LBB23_2676
.LBB23_2667:
	s_or_b32 s8, s8, exec_lo
	s_trap 2
	s_cbranch_execz .LBB23_2604
	s_branch .LBB23_2605
.LBB23_2668:
	s_mov_b32 s5, -1
	s_mov_b32 s4, 0
	s_mov_b32 s0, 0
	s_branch .LBB23_2670
.LBB23_2669:
	s_mov_b32 s0, -1
	s_mov_b32 s4, 0
.LBB23_2670:
                                        ; implicit-def: $vgpr10
.LBB23_2671:
	s_and_b32 vcc_lo, exec_lo, s5
	s_cbranch_vccz .LBB23_2675
; %bb.2672:
	s_cmp_eq_u32 s10, 44
	s_cbranch_scc0 .LBB23_2674
; %bb.2673:
	global_load_u8 v1, v[24:25], off
	s_mov_b32 s0, 0
	s_mov_b32 s4, -1
	s_wait_loadcnt 0x0
	v_lshlrev_b32_e32 v3, 23, v1
	v_cmp_ne_u32_e32 vcc_lo, 0, v1
	s_delay_alu instid0(VALU_DEP_2) | instskip(NEXT) | instid1(VALU_DEP_1)
	v_trunc_f32_e32 v3, v3
	v_mul_f32_e64 v5, 0x2f800000, |v3|
	s_delay_alu instid0(VALU_DEP_1) | instskip(NEXT) | instid1(VALU_DEP_1)
	v_floor_f32_e32 v5, v5
	v_fma_f32 v5, 0xcf800000, v5, |v3|
	v_ashrrev_i32_e32 v3, 31, v3
	s_delay_alu instid0(VALU_DEP_2) | instskip(NEXT) | instid1(VALU_DEP_1)
	v_cvt_u32_f32_e32 v5, v5
	v_xor_b32_e32 v5, v5, v3
	s_delay_alu instid0(VALU_DEP_1) | instskip(NEXT) | instid1(VALU_DEP_1)
	v_sub_nc_u32_e32 v3, v5, v3
	v_cndmask_b32_e32 v10, 0, v3, vcc_lo
	s_branch .LBB23_2675
.LBB23_2674:
	s_mov_b32 s0, -1
                                        ; implicit-def: $vgpr10
.LBB23_2675:
	s_mov_b32 s5, 0
.LBB23_2676:
	s_delay_alu instid0(SALU_CYCLE_1)
	s_and_b32 vcc_lo, exec_lo, s5
	s_cbranch_vccz .LBB23_2680
; %bb.2677:
	s_cmp_eq_u32 s10, 29
	s_cbranch_scc0 .LBB23_2679
; %bb.2678:
	global_load_b64 v[10:11], v[24:25], off
	s_mov_b32 s0, 0
	s_mov_b32 s4, -1
	s_branch .LBB23_2680
.LBB23_2679:
	s_mov_b32 s0, -1
                                        ; implicit-def: $vgpr10
.LBB23_2680:
	s_mov_b32 s5, 0
.LBB23_2681:
	s_delay_alu instid0(SALU_CYCLE_1)
	s_and_b32 vcc_lo, exec_lo, s5
	s_cbranch_vccz .LBB23_2697
; %bb.2682:
	s_cmp_lt_i32 s10, 27
	s_cbranch_scc1 .LBB23_2685
; %bb.2683:
	s_cmp_gt_i32 s10, 27
	s_cbranch_scc0 .LBB23_2686
; %bb.2684:
	s_wait_loadcnt 0x0
	global_load_b32 v10, v[24:25], off
	s_mov_b32 s4, 0
	s_branch .LBB23_2687
.LBB23_2685:
	s_mov_b32 s4, -1
                                        ; implicit-def: $vgpr10
	s_branch .LBB23_2690
.LBB23_2686:
	s_mov_b32 s4, -1
                                        ; implicit-def: $vgpr10
.LBB23_2687:
	s_delay_alu instid0(SALU_CYCLE_1)
	s_and_not1_b32 vcc_lo, exec_lo, s4
	s_cbranch_vccnz .LBB23_2689
; %bb.2688:
	s_wait_loadcnt 0x0
	global_load_u16 v10, v[24:25], off
.LBB23_2689:
	s_mov_b32 s4, 0
.LBB23_2690:
	s_delay_alu instid0(SALU_CYCLE_1)
	s_and_not1_b32 vcc_lo, exec_lo, s4
	s_cbranch_vccnz .LBB23_2696
; %bb.2691:
	global_load_u8 v1, v[24:25], off
	s_mov_b32 s5, 0
	s_mov_b32 s4, exec_lo
	s_wait_loadcnt 0x0
	v_cmpx_lt_i16_e32 0x7f, v1
	s_xor_b32 s4, exec_lo, s4
	s_cbranch_execz .LBB23_2708
; %bb.2692:
	v_cmp_ne_u16_e32 vcc_lo, 0x80, v1
	s_and_b32 s5, vcc_lo, exec_lo
	s_and_not1_saveexec_b32 s4, s4
	s_cbranch_execnz .LBB23_2709
.LBB23_2693:
	s_or_b32 exec_lo, exec_lo, s4
	v_mov_b32_e32 v10, 0
	s_and_saveexec_b32 s4, s5
	s_cbranch_execz .LBB23_2695
.LBB23_2694:
	v_and_b32_e32 v3, 0xffff, v1
	s_delay_alu instid0(VALU_DEP_1) | instskip(SKIP_1) | instid1(VALU_DEP_2)
	v_dual_lshlrev_b32 v1, 24, v1 :: v_dual_bitop2_b32 v5, 7, v3 bitop3:0x40
	v_bfe_u32 v10, v3, 3, 4
	v_and_b32_e32 v1, 0x80000000, v1
	s_delay_alu instid0(VALU_DEP_3) | instskip(NEXT) | instid1(VALU_DEP_3)
	v_clz_i32_u32_e32 v7, v5
	v_cmp_eq_u32_e32 vcc_lo, 0, v10
	s_delay_alu instid0(VALU_DEP_2) | instskip(NEXT) | instid1(VALU_DEP_1)
	v_min_u32_e32 v7, 32, v7
	v_subrev_nc_u32_e32 v9, 28, v7
	v_sub_nc_u32_e32 v7, 29, v7
	s_delay_alu instid0(VALU_DEP_2) | instskip(NEXT) | instid1(VALU_DEP_2)
	v_lshlrev_b32_e32 v3, v9, v3
	v_cndmask_b32_e32 v7, v10, v7, vcc_lo
	s_delay_alu instid0(VALU_DEP_2) | instskip(NEXT) | instid1(VALU_DEP_1)
	v_and_b32_e32 v3, 7, v3
	v_cndmask_b32_e32 v3, v5, v3, vcc_lo
	s_delay_alu instid0(VALU_DEP_3) | instskip(NEXT) | instid1(VALU_DEP_2)
	v_lshl_add_u32 v5, v7, 23, 0x3b800000
	v_lshlrev_b32_e32 v3, 20, v3
	s_delay_alu instid0(VALU_DEP_1) | instskip(NEXT) | instid1(VALU_DEP_1)
	v_or3_b32 v1, v1, v5, v3
	v_trunc_f32_e32 v1, v1
	s_delay_alu instid0(VALU_DEP_1) | instskip(NEXT) | instid1(VALU_DEP_1)
	v_mul_f32_e64 v3, 0x2f800000, |v1|
	v_floor_f32_e32 v3, v3
	s_delay_alu instid0(VALU_DEP_1) | instskip(SKIP_1) | instid1(VALU_DEP_2)
	v_fma_f32 v3, 0xcf800000, v3, |v1|
	v_ashrrev_i32_e32 v1, 31, v1
	v_cvt_u32_f32_e32 v3, v3
	s_delay_alu instid0(VALU_DEP_1) | instskip(NEXT) | instid1(VALU_DEP_1)
	v_xor_b32_e32 v3, v3, v1
	v_sub_nc_u32_e32 v10, v3, v1
.LBB23_2695:
	s_or_b32 exec_lo, exec_lo, s4
.LBB23_2696:
	s_mov_b32 s4, -1
.LBB23_2697:
	s_mov_b32 s5, 0
.LBB23_2698:
	s_delay_alu instid0(SALU_CYCLE_1)
	s_and_b32 vcc_lo, exec_lo, s5
	s_cbranch_vccz .LBB23_2729
; %bb.2699:
	s_cmp_gt_i32 s10, 22
	s_cbranch_scc0 .LBB23_2707
; %bb.2700:
	s_cmp_lt_i32 s10, 24
	s_cbranch_scc1 .LBB23_2710
; %bb.2701:
	s_cmp_gt_i32 s10, 24
	s_cbranch_scc0 .LBB23_2711
; %bb.2702:
	global_load_u8 v1, v[24:25], off
	s_mov_b32 s4, 0
	s_mov_b32 s1, exec_lo
	s_wait_loadcnt 0x0
	v_cmpx_lt_i16_e32 0x7f, v1
	s_xor_b32 s1, exec_lo, s1
	s_cbranch_execz .LBB23_2723
; %bb.2703:
	v_cmp_ne_u16_e32 vcc_lo, 0x80, v1
	s_and_b32 s4, vcc_lo, exec_lo
	s_and_not1_saveexec_b32 s1, s1
	s_cbranch_execnz .LBB23_2724
.LBB23_2704:
	s_or_b32 exec_lo, exec_lo, s1
	v_mov_b32_e32 v10, 0
	s_and_saveexec_b32 s1, s4
	s_cbranch_execz .LBB23_2706
.LBB23_2705:
	v_and_b32_e32 v3, 0xffff, v1
	s_delay_alu instid0(VALU_DEP_1) | instskip(SKIP_1) | instid1(VALU_DEP_2)
	v_dual_lshlrev_b32 v1, 24, v1 :: v_dual_bitop2_b32 v5, 3, v3 bitop3:0x40
	v_bfe_u32 v10, v3, 2, 5
	v_and_b32_e32 v1, 0x80000000, v1
	s_delay_alu instid0(VALU_DEP_3) | instskip(NEXT) | instid1(VALU_DEP_3)
	v_clz_i32_u32_e32 v7, v5
	v_cmp_eq_u32_e32 vcc_lo, 0, v10
	s_delay_alu instid0(VALU_DEP_2) | instskip(NEXT) | instid1(VALU_DEP_1)
	v_min_u32_e32 v7, 32, v7
	v_subrev_nc_u32_e32 v9, 29, v7
	v_sub_nc_u32_e32 v7, 30, v7
	s_delay_alu instid0(VALU_DEP_2) | instskip(NEXT) | instid1(VALU_DEP_2)
	v_lshlrev_b32_e32 v3, v9, v3
	v_cndmask_b32_e32 v7, v10, v7, vcc_lo
	s_delay_alu instid0(VALU_DEP_2) | instskip(NEXT) | instid1(VALU_DEP_1)
	v_and_b32_e32 v3, 3, v3
	v_cndmask_b32_e32 v3, v5, v3, vcc_lo
	s_delay_alu instid0(VALU_DEP_3) | instskip(NEXT) | instid1(VALU_DEP_2)
	v_lshl_add_u32 v5, v7, 23, 0x37800000
	v_lshlrev_b32_e32 v3, 21, v3
	s_delay_alu instid0(VALU_DEP_1) | instskip(NEXT) | instid1(VALU_DEP_1)
	v_or3_b32 v1, v1, v5, v3
	v_trunc_f32_e32 v1, v1
	s_delay_alu instid0(VALU_DEP_1) | instskip(NEXT) | instid1(VALU_DEP_1)
	v_mul_f32_e64 v3, 0x2f800000, |v1|
	v_floor_f32_e32 v3, v3
	s_delay_alu instid0(VALU_DEP_1) | instskip(SKIP_1) | instid1(VALU_DEP_2)
	v_fma_f32 v3, 0xcf800000, v3, |v1|
	v_ashrrev_i32_e32 v1, 31, v1
	v_cvt_u32_f32_e32 v3, v3
	s_delay_alu instid0(VALU_DEP_1) | instskip(NEXT) | instid1(VALU_DEP_1)
	v_xor_b32_e32 v3, v3, v1
	v_sub_nc_u32_e32 v10, v3, v1
.LBB23_2706:
	s_or_b32 exec_lo, exec_lo, s1
	s_mov_b32 s1, 0
	s_branch .LBB23_2712
.LBB23_2707:
	s_mov_b32 s1, -1
                                        ; implicit-def: $vgpr10
	s_branch .LBB23_2718
.LBB23_2708:
	s_and_not1_saveexec_b32 s4, s4
	s_cbranch_execz .LBB23_2693
.LBB23_2709:
	v_cmp_ne_u16_e32 vcc_lo, 0, v1
	s_and_not1_b32 s5, s5, exec_lo
	s_and_b32 s9, vcc_lo, exec_lo
	s_delay_alu instid0(SALU_CYCLE_1)
	s_or_b32 s5, s5, s9
	s_or_b32 exec_lo, exec_lo, s4
	v_mov_b32_e32 v10, 0
	s_and_saveexec_b32 s4, s5
	s_cbranch_execnz .LBB23_2694
	s_branch .LBB23_2695
.LBB23_2710:
	s_mov_b32 s1, -1
                                        ; implicit-def: $vgpr10
	s_branch .LBB23_2715
.LBB23_2711:
	s_mov_b32 s1, -1
                                        ; implicit-def: $vgpr10
.LBB23_2712:
	s_delay_alu instid0(SALU_CYCLE_1)
	s_and_b32 vcc_lo, exec_lo, s1
	s_cbranch_vccz .LBB23_2714
; %bb.2713:
	global_load_u8 v1, v[24:25], off
	s_wait_loadcnt 0x0
	v_lshlrev_b32_e32 v1, 24, v1
	s_delay_alu instid0(VALU_DEP_1) | instskip(NEXT) | instid1(VALU_DEP_1)
	v_and_b32_e32 v3, 0x7f000000, v1
	v_clz_i32_u32_e32 v5, v3
	v_add_nc_u32_e32 v9, 0x1000000, v3
	v_cmp_ne_u32_e32 vcc_lo, 0, v3
	s_delay_alu instid0(VALU_DEP_3) | instskip(NEXT) | instid1(VALU_DEP_1)
	v_min_u32_e32 v5, 32, v5
	v_sub_nc_u32_e64 v5, v5, 4 clamp
	s_delay_alu instid0(VALU_DEP_1) | instskip(NEXT) | instid1(VALU_DEP_1)
	v_dual_lshlrev_b32 v7, v5, v3 :: v_dual_lshlrev_b32 v5, 23, v5
	v_lshrrev_b32_e32 v7, 4, v7
	s_delay_alu instid0(VALU_DEP_1) | instskip(SKIP_1) | instid1(VALU_DEP_2)
	v_sub_nc_u32_e32 v5, v7, v5
	v_ashrrev_i32_e32 v7, 8, v9
	v_add_nc_u32_e32 v5, 0x3c000000, v5
	s_delay_alu instid0(VALU_DEP_1) | instskip(NEXT) | instid1(VALU_DEP_1)
	v_and_or_b32 v5, 0x7f800000, v7, v5
	v_cndmask_b32_e32 v3, 0, v5, vcc_lo
	s_delay_alu instid0(VALU_DEP_1) | instskip(NEXT) | instid1(VALU_DEP_1)
	v_and_or_b32 v1, 0x80000000, v1, v3
	v_trunc_f32_e32 v1, v1
	s_delay_alu instid0(VALU_DEP_1) | instskip(NEXT) | instid1(VALU_DEP_1)
	v_mul_f32_e64 v3, 0x2f800000, |v1|
	v_floor_f32_e32 v3, v3
	s_delay_alu instid0(VALU_DEP_1) | instskip(SKIP_1) | instid1(VALU_DEP_2)
	v_fma_f32 v3, 0xcf800000, v3, |v1|
	v_ashrrev_i32_e32 v1, 31, v1
	v_cvt_u32_f32_e32 v3, v3
	s_delay_alu instid0(VALU_DEP_1) | instskip(NEXT) | instid1(VALU_DEP_1)
	v_xor_b32_e32 v3, v3, v1
	v_sub_nc_u32_e32 v10, v3, v1
.LBB23_2714:
	s_mov_b32 s1, 0
.LBB23_2715:
	s_delay_alu instid0(SALU_CYCLE_1)
	s_and_not1_b32 vcc_lo, exec_lo, s1
	s_cbranch_vccnz .LBB23_2717
; %bb.2716:
	global_load_u8 v1, v[24:25], off
	s_wait_loadcnt 0x0
	v_lshlrev_b32_e32 v3, 25, v1
	v_lshlrev_b16 v1, 8, v1
	s_delay_alu instid0(VALU_DEP_1) | instskip(SKIP_1) | instid1(VALU_DEP_2)
	v_and_or_b32 v7, 0x7f00, v1, 0.5
	v_bfe_i32 v1, v1, 0, 16
	v_add_f32_e32 v7, -0.5, v7
	v_lshrrev_b32_e32 v5, 4, v3
	v_cmp_gt_u32_e32 vcc_lo, 0x8000000, v3
	s_delay_alu instid0(VALU_DEP_2) | instskip(NEXT) | instid1(VALU_DEP_1)
	v_or_b32_e32 v5, 0x70000000, v5
	v_mul_f32_e32 v5, 0x7800000, v5
	s_delay_alu instid0(VALU_DEP_1) | instskip(NEXT) | instid1(VALU_DEP_1)
	v_cndmask_b32_e32 v3, v5, v7, vcc_lo
	v_and_or_b32 v1, 0x80000000, v1, v3
	s_delay_alu instid0(VALU_DEP_1) | instskip(NEXT) | instid1(VALU_DEP_1)
	v_trunc_f32_e32 v1, v1
	v_mul_f32_e64 v3, 0x2f800000, |v1|
	s_delay_alu instid0(VALU_DEP_1) | instskip(NEXT) | instid1(VALU_DEP_1)
	v_floor_f32_e32 v3, v3
	v_fma_f32 v3, 0xcf800000, v3, |v1|
	v_ashrrev_i32_e32 v1, 31, v1
	s_delay_alu instid0(VALU_DEP_2) | instskip(NEXT) | instid1(VALU_DEP_1)
	v_cvt_u32_f32_e32 v3, v3
	v_xor_b32_e32 v3, v3, v1
	s_delay_alu instid0(VALU_DEP_1)
	v_sub_nc_u32_e32 v10, v3, v1
.LBB23_2717:
	s_mov_b32 s1, 0
	s_mov_b32 s4, -1
.LBB23_2718:
	s_and_not1_b32 vcc_lo, exec_lo, s1
	s_mov_b32 s1, 0
	s_cbranch_vccnz .LBB23_2729
; %bb.2719:
	s_cmp_gt_i32 s10, 14
	s_cbranch_scc0 .LBB23_2722
; %bb.2720:
	s_cmp_eq_u32 s10, 15
	s_cbranch_scc0 .LBB23_2725
; %bb.2721:
	global_load_u16 v1, v[24:25], off
	s_mov_b32 s0, 0
	s_mov_b32 s4, -1
	s_wait_loadcnt 0x0
	v_lshlrev_b32_e32 v1, 16, v1
	s_delay_alu instid0(VALU_DEP_1) | instskip(NEXT) | instid1(VALU_DEP_1)
	v_trunc_f32_e32 v1, v1
	v_mul_f32_e64 v3, 0x2f800000, |v1|
	s_delay_alu instid0(VALU_DEP_1) | instskip(NEXT) | instid1(VALU_DEP_1)
	v_floor_f32_e32 v3, v3
	v_fma_f32 v3, 0xcf800000, v3, |v1|
	v_ashrrev_i32_e32 v1, 31, v1
	s_delay_alu instid0(VALU_DEP_2) | instskip(NEXT) | instid1(VALU_DEP_1)
	v_cvt_u32_f32_e32 v3, v3
	v_xor_b32_e32 v3, v3, v1
	s_delay_alu instid0(VALU_DEP_1)
	v_sub_nc_u32_e32 v10, v3, v1
	s_branch .LBB23_2727
.LBB23_2722:
	s_mov_b32 s1, -1
	s_branch .LBB23_2726
.LBB23_2723:
	s_and_not1_saveexec_b32 s1, s1
	s_cbranch_execz .LBB23_2704
.LBB23_2724:
	v_cmp_ne_u16_e32 vcc_lo, 0, v1
	s_and_not1_b32 s4, s4, exec_lo
	s_and_b32 s5, vcc_lo, exec_lo
	s_delay_alu instid0(SALU_CYCLE_1)
	s_or_b32 s4, s4, s5
	s_or_b32 exec_lo, exec_lo, s1
	v_mov_b32_e32 v10, 0
	s_and_saveexec_b32 s1, s4
	s_cbranch_execnz .LBB23_2705
	s_branch .LBB23_2706
.LBB23_2725:
	s_mov_b32 s0, -1
.LBB23_2726:
                                        ; implicit-def: $vgpr10
.LBB23_2727:
	s_and_b32 vcc_lo, exec_lo, s1
	s_mov_b32 s1, 0
	s_cbranch_vccz .LBB23_2729
; %bb.2728:
	s_cmp_lg_u32 s10, 11
	s_mov_b32 s1, -1
	s_cselect_b32 s0, -1, 0
.LBB23_2729:
	s_delay_alu instid0(SALU_CYCLE_1)
	s_and_b32 vcc_lo, exec_lo, s0
	s_cbranch_vccnz .LBB23_3262
; %bb.2730:
	s_and_not1_b32 vcc_lo, exec_lo, s1
	s_cbranch_vccnz .LBB23_2732
.LBB23_2731:
	global_load_u8 v1, v[24:25], off
	s_mov_b32 s4, -1
	s_wait_loadcnt 0x0
	v_cmp_ne_u16_e32 vcc_lo, 0, v1
	v_cndmask_b32_e64 v10, 0, 1, vcc_lo
.LBB23_2732:
	s_mov_b32 s0, 0
.LBB23_2733:
	s_delay_alu instid0(SALU_CYCLE_1)
	s_and_b32 vcc_lo, exec_lo, s0
	s_cbranch_vccz .LBB23_2782
; %bb.2734:
	s_cmp_lt_i32 s10, 5
	s_cbranch_scc1 .LBB23_2739
; %bb.2735:
	s_cmp_lt_i32 s10, 8
	s_cbranch_scc1 .LBB23_2740
	;; [unrolled: 3-line block ×3, first 2 shown]
; %bb.2737:
	s_cmp_gt_i32 s10, 9
	s_cbranch_scc0 .LBB23_2742
; %bb.2738:
	s_wait_loadcnt 0x0
	global_load_b64 v[10:11], v[24:25], off
	s_mov_b32 s0, 0
	s_wait_loadcnt 0x0
	v_trunc_f64_e32 v[10:11], v[10:11]
	s_delay_alu instid0(VALU_DEP_1) | instskip(NEXT) | instid1(VALU_DEP_1)
	v_ldexp_f64 v[26:27], v[10:11], 0xffffffe0
	v_floor_f64_e32 v[26:27], v[26:27]
	s_delay_alu instid0(VALU_DEP_1) | instskip(NEXT) | instid1(VALU_DEP_1)
	v_fmamk_f64 v[10:11], v[26:27], 0xc1f00000, v[10:11]
	v_cvt_u32_f64_e32 v10, v[10:11]
	s_branch .LBB23_2743
.LBB23_2739:
	s_mov_b32 s0, -1
                                        ; implicit-def: $vgpr10
	s_branch .LBB23_2761
.LBB23_2740:
	s_mov_b32 s0, -1
                                        ; implicit-def: $vgpr10
	s_branch .LBB23_2749
.LBB23_2741:
	s_mov_b32 s0, -1
                                        ; implicit-def: $vgpr10
	s_branch .LBB23_2746
.LBB23_2742:
	s_mov_b32 s0, -1
                                        ; implicit-def: $vgpr10
.LBB23_2743:
	s_delay_alu instid0(SALU_CYCLE_1)
	s_and_not1_b32 vcc_lo, exec_lo, s0
	s_cbranch_vccnz .LBB23_2745
; %bb.2744:
	global_load_b32 v1, v[24:25], off
	s_wait_loadcnt 0x0
	v_trunc_f32_e32 v1, v1
	s_delay_alu instid0(VALU_DEP_1) | instskip(NEXT) | instid1(VALU_DEP_1)
	v_mul_f32_e64 v3, 0x2f800000, |v1|
	v_floor_f32_e32 v3, v3
	s_delay_alu instid0(VALU_DEP_1) | instskip(SKIP_1) | instid1(VALU_DEP_2)
	v_fma_f32 v3, 0xcf800000, v3, |v1|
	v_ashrrev_i32_e32 v1, 31, v1
	v_cvt_u32_f32_e32 v3, v3
	s_delay_alu instid0(VALU_DEP_1) | instskip(NEXT) | instid1(VALU_DEP_1)
	v_xor_b32_e32 v3, v3, v1
	v_sub_nc_u32_e32 v10, v3, v1
.LBB23_2745:
	s_mov_b32 s0, 0
.LBB23_2746:
	s_delay_alu instid0(SALU_CYCLE_1)
	s_and_not1_b32 vcc_lo, exec_lo, s0
	s_cbranch_vccnz .LBB23_2748
; %bb.2747:
	global_load_b32 v1, v[24:25], off
	s_wait_loadcnt 0x0
	v_cvt_f32_f16_e32 v1, v1
	s_delay_alu instid0(VALU_DEP_1)
	v_cvt_i32_f32_e32 v10, v1
.LBB23_2748:
	s_mov_b32 s0, 0
.LBB23_2749:
	s_delay_alu instid0(SALU_CYCLE_1)
	s_and_not1_b32 vcc_lo, exec_lo, s0
	s_cbranch_vccnz .LBB23_2760
; %bb.2750:
	s_cmp_lt_i32 s10, 6
	s_cbranch_scc1 .LBB23_2753
; %bb.2751:
	s_cmp_gt_i32 s10, 6
	s_cbranch_scc0 .LBB23_2754
; %bb.2752:
	s_wait_loadcnt 0x0
	global_load_b64 v[10:11], v[24:25], off
	s_mov_b32 s0, 0
	s_wait_loadcnt 0x0
	v_trunc_f64_e32 v[10:11], v[10:11]
	s_delay_alu instid0(VALU_DEP_1) | instskip(NEXT) | instid1(VALU_DEP_1)
	v_ldexp_f64 v[26:27], v[10:11], 0xffffffe0
	v_floor_f64_e32 v[26:27], v[26:27]
	s_delay_alu instid0(VALU_DEP_1) | instskip(NEXT) | instid1(VALU_DEP_1)
	v_fmamk_f64 v[10:11], v[26:27], 0xc1f00000, v[10:11]
	v_cvt_u32_f64_e32 v10, v[10:11]
	s_branch .LBB23_2755
.LBB23_2753:
	s_mov_b32 s0, -1
                                        ; implicit-def: $vgpr10
	s_branch .LBB23_2758
.LBB23_2754:
	s_mov_b32 s0, -1
                                        ; implicit-def: $vgpr10
.LBB23_2755:
	s_delay_alu instid0(SALU_CYCLE_1)
	s_and_not1_b32 vcc_lo, exec_lo, s0
	s_cbranch_vccnz .LBB23_2757
; %bb.2756:
	global_load_b32 v1, v[24:25], off
	s_wait_loadcnt 0x0
	v_trunc_f32_e32 v1, v1
	s_delay_alu instid0(VALU_DEP_1) | instskip(NEXT) | instid1(VALU_DEP_1)
	v_mul_f32_e64 v3, 0x2f800000, |v1|
	v_floor_f32_e32 v3, v3
	s_delay_alu instid0(VALU_DEP_1) | instskip(SKIP_1) | instid1(VALU_DEP_2)
	v_fma_f32 v3, 0xcf800000, v3, |v1|
	v_ashrrev_i32_e32 v1, 31, v1
	v_cvt_u32_f32_e32 v3, v3
	s_delay_alu instid0(VALU_DEP_1) | instskip(NEXT) | instid1(VALU_DEP_1)
	v_xor_b32_e32 v3, v3, v1
	v_sub_nc_u32_e32 v10, v3, v1
.LBB23_2757:
	s_mov_b32 s0, 0
.LBB23_2758:
	s_delay_alu instid0(SALU_CYCLE_1)
	s_and_not1_b32 vcc_lo, exec_lo, s0
	s_cbranch_vccnz .LBB23_2760
; %bb.2759:
	global_load_u16 v1, v[24:25], off
	s_wait_loadcnt 0x0
	v_cvt_f32_f16_e32 v1, v1
	s_delay_alu instid0(VALU_DEP_1)
	v_cvt_i32_f32_e32 v10, v1
.LBB23_2760:
	s_mov_b32 s0, 0
.LBB23_2761:
	s_delay_alu instid0(SALU_CYCLE_1)
	s_and_not1_b32 vcc_lo, exec_lo, s0
	s_cbranch_vccnz .LBB23_2781
; %bb.2762:
	s_cmp_lt_i32 s10, 2
	s_cbranch_scc1 .LBB23_2766
; %bb.2763:
	s_cmp_lt_i32 s10, 3
	s_cbranch_scc1 .LBB23_2767
; %bb.2764:
	s_cmp_gt_i32 s10, 3
	s_cbranch_scc0 .LBB23_2768
; %bb.2765:
	s_wait_loadcnt 0x0
	global_load_b64 v[10:11], v[24:25], off
	s_mov_b32 s0, 0
	s_branch .LBB23_2769
.LBB23_2766:
	s_mov_b32 s0, -1
                                        ; implicit-def: $vgpr10
	s_branch .LBB23_2775
.LBB23_2767:
	s_mov_b32 s0, -1
                                        ; implicit-def: $vgpr10
	s_branch .LBB23_2772
.LBB23_2768:
	s_mov_b32 s0, -1
                                        ; implicit-def: $vgpr10
.LBB23_2769:
	s_delay_alu instid0(SALU_CYCLE_1)
	s_and_not1_b32 vcc_lo, exec_lo, s0
	s_cbranch_vccnz .LBB23_2771
; %bb.2770:
	s_wait_loadcnt 0x0
	global_load_b32 v10, v[24:25], off
.LBB23_2771:
	s_mov_b32 s0, 0
.LBB23_2772:
	s_delay_alu instid0(SALU_CYCLE_1)
	s_and_not1_b32 vcc_lo, exec_lo, s0
	s_cbranch_vccnz .LBB23_2774
; %bb.2773:
	s_wait_loadcnt 0x0
	global_load_u16 v10, v[24:25], off
.LBB23_2774:
	s_mov_b32 s0, 0
.LBB23_2775:
	s_delay_alu instid0(SALU_CYCLE_1)
	s_and_not1_b32 vcc_lo, exec_lo, s0
	s_cbranch_vccnz .LBB23_2781
; %bb.2776:
	s_cmp_gt_i32 s10, 0
	s_mov_b32 s0, 0
	s_cbranch_scc0 .LBB23_2778
; %bb.2777:
	s_wait_loadcnt 0x0
	global_load_u8 v10, v[24:25], off
	s_branch .LBB23_2779
.LBB23_2778:
	s_mov_b32 s0, -1
                                        ; implicit-def: $vgpr10
.LBB23_2779:
	s_delay_alu instid0(SALU_CYCLE_1)
	s_and_not1_b32 vcc_lo, exec_lo, s0
	s_cbranch_vccnz .LBB23_2781
; %bb.2780:
	s_wait_loadcnt 0x0
	global_load_u8 v10, v[24:25], off
.LBB23_2781:
	s_mov_b32 s4, -1
.LBB23_2782:
	s_delay_alu instid0(SALU_CYCLE_1)
	s_and_not1_b32 vcc_lo, exec_lo, s4
	s_cbranch_vccnz .LBB23_3216
; %bb.2783:
	v_mov_b32_e32 v7, 0
	s_clause 0x1
	s_load_b32 s9, s[2:3], 0x1e8
	s_load_b64 s[4:5], s[2:3], 0x1c8
	global_load_u8 v1, v7, s[2:3] offset:489
	s_wait_loadcnt 0x1
	s_wait_kmcnt 0x0
	v_mul_lo_u16 v5, v8, s9
	s_wait_xcnt 0x0
	v_add_nc_u64_e32 v[6:7], s[4:5], v[6:7]
	s_wait_loadcnt 0x0
	v_and_b32_e32 v3, 0xffff, v1
	v_readfirstlane_b32 s1, v1
	v_mul_lo_u16 v1, v5, v12
	s_delay_alu instid0(VALU_DEP_3)
	v_cmp_gt_i32_e32 vcc_lo, 11, v3
	s_cbranch_vccnz .LBB23_2861
; %bb.2784:
	s_and_b32 s2, 0xffff, s1
	s_mov_b32 s11, -1
	s_mov_b32 s3, 0
	s_cmp_gt_i32 s2, 25
	s_mov_b32 s10, 0
	s_mov_b32 s0, 0
	s_cbranch_scc0 .LBB23_2817
; %bb.2785:
	s_cmp_gt_i32 s2, 28
	s_cbranch_scc0 .LBB23_2800
; %bb.2786:
	s_cmp_gt_i32 s2, 43
	;; [unrolled: 3-line block ×3, first 2 shown]
	s_cbranch_scc0 .LBB23_2790
; %bb.2788:
	s_mov_b32 s0, -1
	s_mov_b32 s11, 0
	s_cmp_eq_u32 s2, 46
	s_cbranch_scc0 .LBB23_2790
; %bb.2789:
	v_cvt_f32_ubyte0_e32 v3, v1
	s_mov_b32 s0, 0
	s_mov_b32 s10, -1
	s_delay_alu instid0(VALU_DEP_1) | instskip(NEXT) | instid1(VALU_DEP_1)
	v_bfe_u32 v5, v3, 16, 1
	v_add3_u32 v3, v3, v5, 0x7fff
	s_delay_alu instid0(VALU_DEP_1)
	v_lshrrev_b32_e32 v3, 16, v3
	global_store_b32 v[6:7], v3, off
.LBB23_2790:
	s_and_b32 vcc_lo, exec_lo, s11
	s_cbranch_vccz .LBB23_2795
; %bb.2791:
	s_cmp_eq_u32 s2, 44
	s_mov_b32 s0, -1
	s_cbranch_scc0 .LBB23_2795
; %bb.2792:
	v_cvt_f32_ubyte0_e32 v8, v1
	v_mov_b32_e32 v5, 0xff
	s_mov_b32 s10, exec_lo
	s_wait_xcnt 0x0
	s_delay_alu instid0(VALU_DEP_2) | instskip(NEXT) | instid1(VALU_DEP_1)
	v_lshrrev_b32_e32 v3, 23, v8
	v_cmpx_ne_u32_e32 0xff, v3
; %bb.2793:
	v_and_b32_e32 v5, 0x400000, v8
	v_and_or_b32 v8, 0x3fffff, v8, v3
	s_delay_alu instid0(VALU_DEP_2) | instskip(NEXT) | instid1(VALU_DEP_2)
	v_cmp_ne_u32_e32 vcc_lo, 0, v5
	v_cmp_ne_u32_e64 s0, 0, v8
	s_and_b32 s0, vcc_lo, s0
	s_delay_alu instid0(SALU_CYCLE_1) | instskip(NEXT) | instid1(VALU_DEP_1)
	v_cndmask_b32_e64 v5, 0, 1, s0
	v_add_nc_u32_e32 v5, v3, v5
; %bb.2794:
	s_or_b32 exec_lo, exec_lo, s10
	s_mov_b32 s0, 0
	s_mov_b32 s10, -1
	global_store_b8 v[6:7], v5, off
.LBB23_2795:
	s_mov_b32 s11, 0
.LBB23_2796:
	s_delay_alu instid0(SALU_CYCLE_1)
	s_and_b32 vcc_lo, exec_lo, s11
	s_cbranch_vccz .LBB23_2799
; %bb.2797:
	s_cmp_eq_u32 s2, 29
	s_mov_b32 s0, -1
	s_cbranch_scc0 .LBB23_2799
; %bb.2798:
	v_and_b32_e32 v8, 0xff, v1
	v_mov_b32_e32 v9, 0
	s_mov_b32 s0, 0
	s_mov_b32 s10, -1
	global_store_b64 v[6:7], v[8:9], off
.LBB23_2799:
	s_mov_b32 s11, 0
.LBB23_2800:
	s_delay_alu instid0(SALU_CYCLE_1)
	s_and_b32 vcc_lo, exec_lo, s11
	s_cbranch_vccz .LBB23_2816
; %bb.2801:
	s_cmp_lt_i32 s2, 27
	s_mov_b32 s10, -1
	s_cbranch_scc1 .LBB23_2807
; %bb.2802:
	s_cmp_gt_i32 s2, 27
	s_cbranch_scc0 .LBB23_2804
; %bb.2803:
	s_wait_xcnt 0x0
	v_and_b32_e32 v3, 0xff, v1
	s_mov_b32 s10, 0
	global_store_b32 v[6:7], v3, off
.LBB23_2804:
	s_and_not1_b32 vcc_lo, exec_lo, s10
	s_cbranch_vccnz .LBB23_2806
; %bb.2805:
	s_wait_xcnt 0x0
	v_and_b32_e32 v3, 0xff, v1
	global_store_b16 v[6:7], v3, off
.LBB23_2806:
	s_mov_b32 s10, 0
.LBB23_2807:
	s_delay_alu instid0(SALU_CYCLE_1)
	s_and_not1_b32 vcc_lo, exec_lo, s10
	s_cbranch_vccnz .LBB23_2815
; %bb.2808:
	s_wait_xcnt 0x0
	v_cvt_f32_ubyte0_e32 v5, v1
	v_mov_b32_e32 v8, 0x80
	s_mov_b32 s10, exec_lo
	s_delay_alu instid0(VALU_DEP_2)
	v_cmpx_gt_u32_e32 0x43800000, v5
	s_cbranch_execz .LBB23_2814
; %bb.2809:
	s_mov_b32 s11, 0
	s_mov_b32 s12, exec_lo
                                        ; implicit-def: $vgpr3
	v_cmpx_lt_u32_e32 0x3bffffff, v5
	s_xor_b32 s12, exec_lo, s12
	s_cbranch_execz .LBB23_3263
; %bb.2810:
	v_bfe_u32 v3, v5, 20, 1
	s_mov_b32 s11, exec_lo
	s_delay_alu instid0(VALU_DEP_1) | instskip(NEXT) | instid1(VALU_DEP_1)
	v_add3_u32 v3, v5, v3, 0x487ffff
                                        ; implicit-def: $vgpr5
	v_lshrrev_b32_e32 v3, 20, v3
	s_and_not1_saveexec_b32 s12, s12
	s_cbranch_execnz .LBB23_3264
.LBB23_2811:
	s_or_b32 exec_lo, exec_lo, s12
	v_mov_b32_e32 v8, 0
	s_and_saveexec_b32 s12, s11
.LBB23_2812:
	v_mov_b32_e32 v8, v3
.LBB23_2813:
	s_or_b32 exec_lo, exec_lo, s12
.LBB23_2814:
	s_delay_alu instid0(SALU_CYCLE_1)
	s_or_b32 exec_lo, exec_lo, s10
	global_store_b8 v[6:7], v8, off
.LBB23_2815:
	s_mov_b32 s10, -1
.LBB23_2816:
	s_mov_b32 s11, 0
.LBB23_2817:
	s_delay_alu instid0(SALU_CYCLE_1)
	s_and_b32 vcc_lo, exec_lo, s11
	s_cbranch_vccz .LBB23_2857
; %bb.2818:
	s_cmp_gt_i32 s2, 22
	s_mov_b32 s3, -1
	s_cbranch_scc0 .LBB23_2850
; %bb.2819:
	s_cmp_lt_i32 s2, 24
	s_cbranch_scc1 .LBB23_2839
; %bb.2820:
	s_cmp_gt_i32 s2, 24
	s_cbranch_scc0 .LBB23_2828
; %bb.2821:
	s_wait_xcnt 0x0
	v_cvt_f32_ubyte0_e32 v5, v1
	v_mov_b32_e32 v8, 0x80
	s_mov_b32 s3, exec_lo
	s_delay_alu instid0(VALU_DEP_2)
	v_cmpx_gt_u32_e32 0x47800000, v5
	s_cbranch_execz .LBB23_2827
; %bb.2822:
	s_mov_b32 s10, 0
	s_mov_b32 s11, exec_lo
                                        ; implicit-def: $vgpr3
	v_cmpx_lt_u32_e32 0x37ffffff, v5
	s_xor_b32 s11, exec_lo, s11
	s_cbranch_execz .LBB23_3266
; %bb.2823:
	v_bfe_u32 v3, v5, 21, 1
	s_mov_b32 s10, exec_lo
	s_delay_alu instid0(VALU_DEP_1) | instskip(NEXT) | instid1(VALU_DEP_1)
	v_add3_u32 v3, v5, v3, 0x88fffff
                                        ; implicit-def: $vgpr5
	v_lshrrev_b32_e32 v3, 21, v3
	s_and_not1_saveexec_b32 s11, s11
	s_cbranch_execnz .LBB23_3267
.LBB23_2824:
	s_or_b32 exec_lo, exec_lo, s11
	v_mov_b32_e32 v8, 0
	s_and_saveexec_b32 s11, s10
.LBB23_2825:
	v_mov_b32_e32 v8, v3
.LBB23_2826:
	s_or_b32 exec_lo, exec_lo, s11
.LBB23_2827:
	s_delay_alu instid0(SALU_CYCLE_1)
	s_or_b32 exec_lo, exec_lo, s3
	s_mov_b32 s3, 0
	global_store_b8 v[6:7], v8, off
.LBB23_2828:
	s_and_b32 vcc_lo, exec_lo, s3
	s_cbranch_vccz .LBB23_2838
; %bb.2829:
	s_wait_xcnt 0x0
	v_cvt_f32_ubyte0_e32 v5, v1
	s_mov_b32 s3, exec_lo
                                        ; implicit-def: $vgpr3
	s_delay_alu instid0(VALU_DEP_1)
	v_cmpx_gt_u32_e32 0x43f00000, v5
	s_xor_b32 s3, exec_lo, s3
	s_cbranch_execz .LBB23_2835
; %bb.2830:
	s_mov_b32 s10, exec_lo
                                        ; implicit-def: $vgpr3
	v_cmpx_lt_u32_e32 0x3c7fffff, v5
	s_xor_b32 s10, exec_lo, s10
; %bb.2831:
	v_bfe_u32 v3, v5, 20, 1
	s_delay_alu instid0(VALU_DEP_1) | instskip(NEXT) | instid1(VALU_DEP_1)
	v_add3_u32 v3, v5, v3, 0x407ffff
	v_and_b32_e32 v5, 0xff00000, v3
	v_lshrrev_b32_e32 v3, 20, v3
	s_delay_alu instid0(VALU_DEP_2) | instskip(NEXT) | instid1(VALU_DEP_2)
	v_cmp_ne_u32_e32 vcc_lo, 0x7f00000, v5
                                        ; implicit-def: $vgpr5
	v_cndmask_b32_e32 v3, 0x7e, v3, vcc_lo
; %bb.2832:
	s_and_not1_saveexec_b32 s10, s10
; %bb.2833:
	v_add_f32_e32 v3, 0x46800000, v5
; %bb.2834:
	s_or_b32 exec_lo, exec_lo, s10
                                        ; implicit-def: $vgpr5
.LBB23_2835:
	s_and_not1_saveexec_b32 s3, s3
; %bb.2836:
	v_mov_b32_e32 v3, 0x7f
	v_cmp_lt_u32_e32 vcc_lo, 0x7f800000, v5
	s_delay_alu instid0(VALU_DEP_2)
	v_cndmask_b32_e32 v3, 0x7e, v3, vcc_lo
; %bb.2837:
	s_or_b32 exec_lo, exec_lo, s3
	global_store_b8 v[6:7], v3, off
.LBB23_2838:
	s_mov_b32 s3, 0
.LBB23_2839:
	s_delay_alu instid0(SALU_CYCLE_1)
	s_and_not1_b32 vcc_lo, exec_lo, s3
	s_cbranch_vccnz .LBB23_2849
; %bb.2840:
	s_wait_xcnt 0x0
	v_cvt_f32_ubyte0_e32 v5, v1
	s_mov_b32 s3, exec_lo
                                        ; implicit-def: $vgpr3
	s_delay_alu instid0(VALU_DEP_1)
	v_cmpx_gt_u32_e32 0x47800000, v5
	s_xor_b32 s3, exec_lo, s3
	s_cbranch_execz .LBB23_2846
; %bb.2841:
	s_mov_b32 s10, exec_lo
                                        ; implicit-def: $vgpr3
	v_cmpx_lt_u32_e32 0x387fffff, v5
	s_xor_b32 s10, exec_lo, s10
; %bb.2842:
	v_bfe_u32 v3, v5, 21, 1
	s_delay_alu instid0(VALU_DEP_1) | instskip(NEXT) | instid1(VALU_DEP_1)
	v_add3_u32 v3, v5, v3, 0x80fffff
                                        ; implicit-def: $vgpr5
	v_lshrrev_b32_e32 v3, 21, v3
; %bb.2843:
	s_and_not1_saveexec_b32 s10, s10
; %bb.2844:
	v_add_f32_e32 v3, 0x43000000, v5
; %bb.2845:
	s_or_b32 exec_lo, exec_lo, s10
                                        ; implicit-def: $vgpr5
.LBB23_2846:
	s_and_not1_saveexec_b32 s3, s3
; %bb.2847:
	v_mov_b32_e32 v3, 0x7f
	v_cmp_lt_u32_e32 vcc_lo, 0x7f800000, v5
	s_delay_alu instid0(VALU_DEP_2)
	v_cndmask_b32_e32 v3, 0x7c, v3, vcc_lo
; %bb.2848:
	s_or_b32 exec_lo, exec_lo, s3
	global_store_b8 v[6:7], v3, off
.LBB23_2849:
	s_mov_b32 s3, 0
	s_mov_b32 s10, -1
.LBB23_2850:
	s_and_not1_b32 vcc_lo, exec_lo, s3
	s_mov_b32 s3, 0
	s_cbranch_vccnz .LBB23_2857
; %bb.2851:
	s_cmp_gt_i32 s2, 14
	s_mov_b32 s3, -1
	s_cbranch_scc0 .LBB23_2855
; %bb.2852:
	s_cmp_eq_u32 s2, 15
	s_mov_b32 s0, -1
	s_cbranch_scc0 .LBB23_2854
; %bb.2853:
	s_wait_xcnt 0x0
	v_cvt_f32_ubyte0_e32 v3, v1
	s_mov_b32 s0, 0
	s_mov_b32 s10, -1
	s_delay_alu instid0(VALU_DEP_1) | instskip(NEXT) | instid1(VALU_DEP_1)
	v_bfe_u32 v5, v3, 16, 1
	v_add3_u32 v3, v3, v5, 0x7fff
	global_store_d16_hi_b16 v[6:7], v3, off
.LBB23_2854:
	s_mov_b32 s3, 0
.LBB23_2855:
	s_delay_alu instid0(SALU_CYCLE_1)
	s_and_b32 vcc_lo, exec_lo, s3
	s_mov_b32 s3, 0
	s_cbranch_vccz .LBB23_2857
; %bb.2856:
	s_cmp_lg_u32 s2, 11
	s_mov_b32 s3, -1
	s_cselect_b32 s0, -1, 0
.LBB23_2857:
	s_delay_alu instid0(SALU_CYCLE_1)
	s_and_b32 vcc_lo, exec_lo, s0
	s_cbranch_vccnz .LBB23_3265
; %bb.2858:
	s_and_not1_b32 vcc_lo, exec_lo, s3
	s_cbranch_vccnz .LBB23_2860
.LBB23_2859:
	s_wait_xcnt 0x0
	v_and_b32_e32 v3, 0xff, v1
	s_mov_b32 s10, -1
	s_delay_alu instid0(VALU_DEP_1)
	v_cmp_ne_u16_e32 vcc_lo, 0, v3
	v_cndmask_b32_e64 v3, 0, 1, vcc_lo
	global_store_b8 v[6:7], v3, off
.LBB23_2860:
	s_mov_b32 s0, 0
	s_branch .LBB23_2862
.LBB23_2861:
	s_mov_b32 s0, -1
	s_mov_b32 s10, 0
.LBB23_2862:
	s_and_b32 vcc_lo, exec_lo, s0
	s_cbranch_vccz .LBB23_2901
; %bb.2863:
	s_and_b32 s0, 0xffff, s1
	s_mov_b32 s2, -1
	s_cmp_lt_i32 s0, 5
	s_cbranch_scc1 .LBB23_2884
; %bb.2864:
	s_cmp_lt_i32 s0, 8
	s_cbranch_scc1 .LBB23_2874
; %bb.2865:
	s_cmp_lt_i32 s0, 9
	s_cbranch_scc1 .LBB23_2871
; %bb.2866:
	s_cmp_gt_i32 s0, 9
	s_cbranch_scc0 .LBB23_2868
; %bb.2867:
	s_wait_xcnt 0x0
	v_and_b32_e32 v3, 0xff, v1
	v_mov_b32_e32 v26, 0
	s_mov_b32 s2, 0
	s_delay_alu instid0(VALU_DEP_2) | instskip(NEXT) | instid1(VALU_DEP_2)
	v_and_b32_e32 v3, 0xffff, v3
	v_mov_b32_e32 v27, v26
	s_delay_alu instid0(VALU_DEP_2)
	v_cvt_f64_u32_e32 v[24:25], v3
	global_store_b128 v[6:7], v[24:27], off
.LBB23_2868:
	s_and_not1_b32 vcc_lo, exec_lo, s2
	s_cbranch_vccnz .LBB23_2870
; %bb.2869:
	s_wait_xcnt 0x0
	v_cvt_f32_ubyte0_e32 v8, v1
	v_mov_b32_e32 v9, 0
	global_store_b64 v[6:7], v[8:9], off
.LBB23_2870:
	s_mov_b32 s2, 0
.LBB23_2871:
	s_delay_alu instid0(SALU_CYCLE_1)
	s_and_not1_b32 vcc_lo, exec_lo, s2
	s_cbranch_vccnz .LBB23_2873
; %bb.2872:
	s_wait_xcnt 0x0
	v_and_b32_e32 v3, 0xff, v1
	s_delay_alu instid0(VALU_DEP_1) | instskip(NEXT) | instid1(VALU_DEP_1)
	v_cvt_f16_u16_e32 v3, v3
	v_and_b32_e32 v3, 0xffff, v3
	global_store_b32 v[6:7], v3, off
.LBB23_2873:
	s_mov_b32 s2, 0
.LBB23_2874:
	s_delay_alu instid0(SALU_CYCLE_1)
	s_and_not1_b32 vcc_lo, exec_lo, s2
	s_cbranch_vccnz .LBB23_2883
; %bb.2875:
	s_cmp_lt_i32 s0, 6
	s_mov_b32 s2, -1
	s_cbranch_scc1 .LBB23_2881
; %bb.2876:
	s_cmp_gt_i32 s0, 6
	s_cbranch_scc0 .LBB23_2878
; %bb.2877:
	s_wait_xcnt 0x0
	v_and_b32_e32 v3, 0xff, v1
	s_mov_b32 s2, 0
	s_delay_alu instid0(VALU_DEP_1) | instskip(NEXT) | instid1(VALU_DEP_1)
	v_and_b32_e32 v3, 0xffff, v3
	v_cvt_f64_u32_e32 v[8:9], v3
	global_store_b64 v[6:7], v[8:9], off
.LBB23_2878:
	s_and_not1_b32 vcc_lo, exec_lo, s2
	s_cbranch_vccnz .LBB23_2880
; %bb.2879:
	s_wait_xcnt 0x0
	v_cvt_f32_ubyte0_e32 v3, v1
	global_store_b32 v[6:7], v3, off
.LBB23_2880:
	s_mov_b32 s2, 0
.LBB23_2881:
	s_delay_alu instid0(SALU_CYCLE_1)
	s_and_not1_b32 vcc_lo, exec_lo, s2
	s_cbranch_vccnz .LBB23_2883
; %bb.2882:
	s_wait_xcnt 0x0
	v_and_b32_e32 v3, 0xff, v1
	s_delay_alu instid0(VALU_DEP_1)
	v_cvt_f16_u16_e32 v3, v3
	global_store_b16 v[6:7], v3, off
.LBB23_2883:
	s_mov_b32 s2, 0
.LBB23_2884:
	s_delay_alu instid0(SALU_CYCLE_1)
	s_and_not1_b32 vcc_lo, exec_lo, s2
	s_cbranch_vccnz .LBB23_2900
; %bb.2885:
	s_cmp_lt_i32 s0, 2
	s_mov_b32 s2, -1
	s_cbranch_scc1 .LBB23_2895
; %bb.2886:
	s_cmp_lt_i32 s0, 3
	s_cbranch_scc1 .LBB23_2892
; %bb.2887:
	s_cmp_gt_i32 s0, 3
	s_cbranch_scc0 .LBB23_2889
; %bb.2888:
	s_wait_xcnt 0x0
	v_and_b32_e32 v8, 0xff, v1
	v_mov_b32_e32 v9, 0
	s_mov_b32 s2, 0
	global_store_b64 v[6:7], v[8:9], off
.LBB23_2889:
	s_and_not1_b32 vcc_lo, exec_lo, s2
	s_cbranch_vccnz .LBB23_2891
; %bb.2890:
	s_wait_xcnt 0x0
	v_and_b32_e32 v3, 0xff, v1
	global_store_b32 v[6:7], v3, off
.LBB23_2891:
	s_mov_b32 s2, 0
.LBB23_2892:
	s_delay_alu instid0(SALU_CYCLE_1)
	s_and_not1_b32 vcc_lo, exec_lo, s2
	s_cbranch_vccnz .LBB23_2894
; %bb.2893:
	s_wait_xcnt 0x0
	v_and_b32_e32 v3, 0xff, v1
	global_store_b16 v[6:7], v3, off
.LBB23_2894:
	s_mov_b32 s2, 0
.LBB23_2895:
	s_delay_alu instid0(SALU_CYCLE_1)
	s_and_not1_b32 vcc_lo, exec_lo, s2
	s_cbranch_vccnz .LBB23_2900
; %bb.2896:
	s_cmp_gt_i32 s0, 0
	s_mov_b32 s0, -1
	s_cbranch_scc0 .LBB23_2898
; %bb.2897:
	s_mov_b32 s0, 0
	global_store_b8 v[6:7], v1, off
.LBB23_2898:
	s_and_not1_b32 vcc_lo, exec_lo, s0
	s_cbranch_vccnz .LBB23_2900
; %bb.2899:
	global_store_b8 v[6:7], v1, off
.LBB23_2900:
	s_mov_b32 s10, -1
.LBB23_2901:
	s_delay_alu instid0(SALU_CYCLE_1)
	s_and_not1_b32 vcc_lo, exec_lo, s10
	s_cbranch_vccnz .LBB23_3216
; %bb.2902:
	s_wait_xcnt 0x0
	v_mov_b32_e32 v5, 0
	v_mul_lo_u16 v1, v14, s9
	s_and_b32 s2, 0xffff, s1
	s_delay_alu instid0(SALU_CYCLE_1) | instskip(NEXT) | instid1(VALU_DEP_2)
	s_cmp_lt_i32 s2, 11
	v_add_nc_u64_e32 v[4:5], s[4:5], v[4:5]
	s_delay_alu instid0(VALU_DEP_2)
	v_mul_lo_u16 v1, v1, v18
	s_cbranch_scc1 .LBB23_2980
; %bb.2903:
	s_mov_b32 s11, -1
	s_mov_b32 s3, 0
	s_cmp_gt_i32 s2, 25
	s_mov_b32 s10, 0
	s_mov_b32 s0, 0
	s_cbranch_scc0 .LBB23_2936
; %bb.2904:
	s_cmp_gt_i32 s2, 28
	s_cbranch_scc0 .LBB23_2919
; %bb.2905:
	s_cmp_gt_i32 s2, 43
	;; [unrolled: 3-line block ×3, first 2 shown]
	s_cbranch_scc0 .LBB23_2909
; %bb.2907:
	s_mov_b32 s0, -1
	s_mov_b32 s11, 0
	s_cmp_eq_u32 s2, 46
	s_cbranch_scc0 .LBB23_2909
; %bb.2908:
	v_cvt_f32_ubyte0_e32 v3, v1
	s_mov_b32 s0, 0
	s_mov_b32 s10, -1
	s_delay_alu instid0(VALU_DEP_1) | instskip(NEXT) | instid1(VALU_DEP_1)
	v_bfe_u32 v6, v3, 16, 1
	v_add3_u32 v3, v3, v6, 0x7fff
	s_delay_alu instid0(VALU_DEP_1)
	v_lshrrev_b32_e32 v3, 16, v3
	global_store_b32 v[4:5], v3, off
.LBB23_2909:
	s_and_b32 vcc_lo, exec_lo, s11
	s_cbranch_vccz .LBB23_2914
; %bb.2910:
	s_cmp_eq_u32 s2, 44
	s_mov_b32 s0, -1
	s_cbranch_scc0 .LBB23_2914
; %bb.2911:
	v_cvt_f32_ubyte0_e32 v7, v1
	s_mov_b32 s10, exec_lo
	s_wait_xcnt 0x0
	s_delay_alu instid0(VALU_DEP_1) | instskip(NEXT) | instid1(VALU_DEP_1)
	v_dual_mov_b32 v6, 0xff :: v_dual_lshrrev_b32 v3, 23, v7
	v_cmpx_ne_u32_e32 0xff, v3
; %bb.2912:
	v_and_b32_e32 v6, 0x400000, v7
	v_and_or_b32 v7, 0x3fffff, v7, v3
	s_delay_alu instid0(VALU_DEP_2) | instskip(NEXT) | instid1(VALU_DEP_2)
	v_cmp_ne_u32_e32 vcc_lo, 0, v6
	v_cmp_ne_u32_e64 s0, 0, v7
	s_and_b32 s0, vcc_lo, s0
	s_delay_alu instid0(SALU_CYCLE_1) | instskip(NEXT) | instid1(VALU_DEP_1)
	v_cndmask_b32_e64 v6, 0, 1, s0
	v_add_nc_u32_e32 v6, v3, v6
; %bb.2913:
	s_or_b32 exec_lo, exec_lo, s10
	s_mov_b32 s0, 0
	s_mov_b32 s10, -1
	global_store_b8 v[4:5], v6, off
.LBB23_2914:
	s_mov_b32 s11, 0
.LBB23_2915:
	s_delay_alu instid0(SALU_CYCLE_1)
	s_and_b32 vcc_lo, exec_lo, s11
	s_cbranch_vccz .LBB23_2918
; %bb.2916:
	s_cmp_eq_u32 s2, 29
	s_mov_b32 s0, -1
	s_cbranch_scc0 .LBB23_2918
; %bb.2917:
	s_wait_xcnt 0x0
	v_and_b32_e32 v6, 0xff, v1
	v_mov_b32_e32 v7, 0
	s_mov_b32 s0, 0
	s_mov_b32 s10, -1
	global_store_b64 v[4:5], v[6:7], off
.LBB23_2918:
	s_mov_b32 s11, 0
.LBB23_2919:
	s_delay_alu instid0(SALU_CYCLE_1)
	s_and_b32 vcc_lo, exec_lo, s11
	s_cbranch_vccz .LBB23_2935
; %bb.2920:
	s_cmp_lt_i32 s2, 27
	s_mov_b32 s10, -1
	s_cbranch_scc1 .LBB23_2926
; %bb.2921:
	s_cmp_gt_i32 s2, 27
	s_cbranch_scc0 .LBB23_2923
; %bb.2922:
	s_wait_xcnt 0x0
	v_and_b32_e32 v3, 0xff, v1
	s_mov_b32 s10, 0
	global_store_b32 v[4:5], v3, off
.LBB23_2923:
	s_and_not1_b32 vcc_lo, exec_lo, s10
	s_cbranch_vccnz .LBB23_2925
; %bb.2924:
	s_wait_xcnt 0x0
	v_and_b32_e32 v3, 0xff, v1
	global_store_b16 v[4:5], v3, off
.LBB23_2925:
	s_mov_b32 s10, 0
.LBB23_2926:
	s_delay_alu instid0(SALU_CYCLE_1)
	s_and_not1_b32 vcc_lo, exec_lo, s10
	s_cbranch_vccnz .LBB23_2934
; %bb.2927:
	s_wait_xcnt 0x0
	v_cvt_f32_ubyte0_e32 v6, v1
	v_mov_b32_e32 v7, 0x80
	s_mov_b32 s10, exec_lo
	s_delay_alu instid0(VALU_DEP_2)
	v_cmpx_gt_u32_e32 0x43800000, v6
	s_cbranch_execz .LBB23_2933
; %bb.2928:
	s_mov_b32 s11, 0
	s_mov_b32 s12, exec_lo
                                        ; implicit-def: $vgpr3
	v_cmpx_lt_u32_e32 0x3bffffff, v6
	s_xor_b32 s12, exec_lo, s12
	s_cbranch_execz .LBB23_3268
; %bb.2929:
	v_bfe_u32 v3, v6, 20, 1
	s_mov_b32 s11, exec_lo
	s_delay_alu instid0(VALU_DEP_1) | instskip(NEXT) | instid1(VALU_DEP_1)
	v_add3_u32 v3, v6, v3, 0x487ffff
                                        ; implicit-def: $vgpr6
	v_lshrrev_b32_e32 v3, 20, v3
	s_and_not1_saveexec_b32 s12, s12
	s_cbranch_execnz .LBB23_3269
.LBB23_2930:
	s_or_b32 exec_lo, exec_lo, s12
	v_mov_b32_e32 v7, 0
	s_and_saveexec_b32 s12, s11
.LBB23_2931:
	v_mov_b32_e32 v7, v3
.LBB23_2932:
	s_or_b32 exec_lo, exec_lo, s12
.LBB23_2933:
	s_delay_alu instid0(SALU_CYCLE_1)
	s_or_b32 exec_lo, exec_lo, s10
	global_store_b8 v[4:5], v7, off
.LBB23_2934:
	s_mov_b32 s10, -1
.LBB23_2935:
	s_mov_b32 s11, 0
.LBB23_2936:
	s_delay_alu instid0(SALU_CYCLE_1)
	s_and_b32 vcc_lo, exec_lo, s11
	s_cbranch_vccz .LBB23_2976
; %bb.2937:
	s_cmp_gt_i32 s2, 22
	s_mov_b32 s3, -1
	s_cbranch_scc0 .LBB23_2969
; %bb.2938:
	s_cmp_lt_i32 s2, 24
	s_cbranch_scc1 .LBB23_2958
; %bb.2939:
	s_cmp_gt_i32 s2, 24
	s_cbranch_scc0 .LBB23_2947
; %bb.2940:
	s_wait_xcnt 0x0
	v_cvt_f32_ubyte0_e32 v6, v1
	v_mov_b32_e32 v7, 0x80
	s_mov_b32 s3, exec_lo
	s_delay_alu instid0(VALU_DEP_2)
	v_cmpx_gt_u32_e32 0x47800000, v6
	s_cbranch_execz .LBB23_2946
; %bb.2941:
	s_mov_b32 s10, 0
	s_mov_b32 s11, exec_lo
                                        ; implicit-def: $vgpr3
	v_cmpx_lt_u32_e32 0x37ffffff, v6
	s_xor_b32 s11, exec_lo, s11
	s_cbranch_execz .LBB23_3271
; %bb.2942:
	v_bfe_u32 v3, v6, 21, 1
	s_mov_b32 s10, exec_lo
	s_delay_alu instid0(VALU_DEP_1) | instskip(NEXT) | instid1(VALU_DEP_1)
	v_add3_u32 v3, v6, v3, 0x88fffff
                                        ; implicit-def: $vgpr6
	v_lshrrev_b32_e32 v3, 21, v3
	s_and_not1_saveexec_b32 s11, s11
	s_cbranch_execnz .LBB23_3272
.LBB23_2943:
	s_or_b32 exec_lo, exec_lo, s11
	v_mov_b32_e32 v7, 0
	s_and_saveexec_b32 s11, s10
.LBB23_2944:
	v_mov_b32_e32 v7, v3
.LBB23_2945:
	s_or_b32 exec_lo, exec_lo, s11
.LBB23_2946:
	s_delay_alu instid0(SALU_CYCLE_1)
	s_or_b32 exec_lo, exec_lo, s3
	s_mov_b32 s3, 0
	global_store_b8 v[4:5], v7, off
.LBB23_2947:
	s_and_b32 vcc_lo, exec_lo, s3
	s_cbranch_vccz .LBB23_2957
; %bb.2948:
	s_wait_xcnt 0x0
	v_cvt_f32_ubyte0_e32 v6, v1
	s_mov_b32 s3, exec_lo
                                        ; implicit-def: $vgpr3
	s_delay_alu instid0(VALU_DEP_1)
	v_cmpx_gt_u32_e32 0x43f00000, v6
	s_xor_b32 s3, exec_lo, s3
	s_cbranch_execz .LBB23_2954
; %bb.2949:
	s_mov_b32 s10, exec_lo
                                        ; implicit-def: $vgpr3
	v_cmpx_lt_u32_e32 0x3c7fffff, v6
	s_xor_b32 s10, exec_lo, s10
; %bb.2950:
	v_bfe_u32 v3, v6, 20, 1
	s_delay_alu instid0(VALU_DEP_1) | instskip(NEXT) | instid1(VALU_DEP_1)
	v_add3_u32 v3, v6, v3, 0x407ffff
	v_and_b32_e32 v6, 0xff00000, v3
	v_lshrrev_b32_e32 v3, 20, v3
	s_delay_alu instid0(VALU_DEP_2) | instskip(NEXT) | instid1(VALU_DEP_2)
	v_cmp_ne_u32_e32 vcc_lo, 0x7f00000, v6
                                        ; implicit-def: $vgpr6
	v_cndmask_b32_e32 v3, 0x7e, v3, vcc_lo
; %bb.2951:
	s_and_not1_saveexec_b32 s10, s10
; %bb.2952:
	v_add_f32_e32 v3, 0x46800000, v6
; %bb.2953:
	s_or_b32 exec_lo, exec_lo, s10
                                        ; implicit-def: $vgpr6
.LBB23_2954:
	s_and_not1_saveexec_b32 s3, s3
; %bb.2955:
	v_mov_b32_e32 v3, 0x7f
	v_cmp_lt_u32_e32 vcc_lo, 0x7f800000, v6
	s_delay_alu instid0(VALU_DEP_2)
	v_cndmask_b32_e32 v3, 0x7e, v3, vcc_lo
; %bb.2956:
	s_or_b32 exec_lo, exec_lo, s3
	global_store_b8 v[4:5], v3, off
.LBB23_2957:
	s_mov_b32 s3, 0
.LBB23_2958:
	s_delay_alu instid0(SALU_CYCLE_1)
	s_and_not1_b32 vcc_lo, exec_lo, s3
	s_cbranch_vccnz .LBB23_2968
; %bb.2959:
	s_wait_xcnt 0x0
	v_cvt_f32_ubyte0_e32 v6, v1
	s_mov_b32 s3, exec_lo
                                        ; implicit-def: $vgpr3
	s_delay_alu instid0(VALU_DEP_1)
	v_cmpx_gt_u32_e32 0x47800000, v6
	s_xor_b32 s3, exec_lo, s3
	s_cbranch_execz .LBB23_2965
; %bb.2960:
	s_mov_b32 s10, exec_lo
                                        ; implicit-def: $vgpr3
	v_cmpx_lt_u32_e32 0x387fffff, v6
	s_xor_b32 s10, exec_lo, s10
; %bb.2961:
	v_bfe_u32 v3, v6, 21, 1
	s_delay_alu instid0(VALU_DEP_1) | instskip(NEXT) | instid1(VALU_DEP_1)
	v_add3_u32 v3, v6, v3, 0x80fffff
                                        ; implicit-def: $vgpr6
	v_lshrrev_b32_e32 v3, 21, v3
; %bb.2962:
	s_and_not1_saveexec_b32 s10, s10
; %bb.2963:
	v_add_f32_e32 v3, 0x43000000, v6
; %bb.2964:
	s_or_b32 exec_lo, exec_lo, s10
                                        ; implicit-def: $vgpr6
.LBB23_2965:
	s_and_not1_saveexec_b32 s3, s3
; %bb.2966:
	v_mov_b32_e32 v3, 0x7f
	v_cmp_lt_u32_e32 vcc_lo, 0x7f800000, v6
	s_delay_alu instid0(VALU_DEP_2)
	v_cndmask_b32_e32 v3, 0x7c, v3, vcc_lo
; %bb.2967:
	s_or_b32 exec_lo, exec_lo, s3
	global_store_b8 v[4:5], v3, off
.LBB23_2968:
	s_mov_b32 s3, 0
	s_mov_b32 s10, -1
.LBB23_2969:
	s_and_not1_b32 vcc_lo, exec_lo, s3
	s_mov_b32 s3, 0
	s_cbranch_vccnz .LBB23_2976
; %bb.2970:
	s_cmp_gt_i32 s2, 14
	s_mov_b32 s3, -1
	s_cbranch_scc0 .LBB23_2974
; %bb.2971:
	s_cmp_eq_u32 s2, 15
	s_mov_b32 s0, -1
	s_cbranch_scc0 .LBB23_2973
; %bb.2972:
	s_wait_xcnt 0x0
	v_cvt_f32_ubyte0_e32 v3, v1
	s_mov_b32 s0, 0
	s_mov_b32 s10, -1
	s_delay_alu instid0(VALU_DEP_1) | instskip(NEXT) | instid1(VALU_DEP_1)
	v_bfe_u32 v6, v3, 16, 1
	v_add3_u32 v3, v3, v6, 0x7fff
	global_store_d16_hi_b16 v[4:5], v3, off
.LBB23_2973:
	s_mov_b32 s3, 0
.LBB23_2974:
	s_delay_alu instid0(SALU_CYCLE_1)
	s_and_b32 vcc_lo, exec_lo, s3
	s_mov_b32 s3, 0
	s_cbranch_vccz .LBB23_2976
; %bb.2975:
	s_cmp_lg_u32 s2, 11
	s_mov_b32 s3, -1
	s_cselect_b32 s0, -1, 0
.LBB23_2976:
	s_delay_alu instid0(SALU_CYCLE_1)
	s_and_b32 vcc_lo, exec_lo, s0
	s_cbranch_vccnz .LBB23_3270
; %bb.2977:
	s_and_not1_b32 vcc_lo, exec_lo, s3
	s_cbranch_vccnz .LBB23_2979
.LBB23_2978:
	s_wait_xcnt 0x0
	v_and_b32_e32 v3, 0xff, v1
	s_mov_b32 s10, -1
	s_delay_alu instid0(VALU_DEP_1)
	v_cmp_ne_u16_e32 vcc_lo, 0, v3
	v_cndmask_b32_e64 v3, 0, 1, vcc_lo
	global_store_b8 v[4:5], v3, off
.LBB23_2979:
	s_mov_b32 s0, 0
	s_branch .LBB23_2981
.LBB23_2980:
	s_mov_b32 s0, -1
	s_mov_b32 s10, 0
.LBB23_2981:
	s_and_b32 vcc_lo, exec_lo, s0
	s_cbranch_vccz .LBB23_3020
; %bb.2982:
	s_cmp_lt_i32 s2, 5
	s_mov_b32 s0, -1
	s_cbranch_scc1 .LBB23_3003
; %bb.2983:
	s_cmp_lt_i32 s2, 8
	s_cbranch_scc1 .LBB23_2993
; %bb.2984:
	s_cmp_lt_i32 s2, 9
	s_cbranch_scc1 .LBB23_2990
; %bb.2985:
	s_cmp_gt_i32 s2, 9
	s_cbranch_scc0 .LBB23_2987
; %bb.2986:
	s_wait_xcnt 0x0
	v_and_b32_e32 v3, 0xff, v1
	v_mov_b32_e32 v8, 0
	s_mov_b32 s0, 0
	s_delay_alu instid0(VALU_DEP_2) | instskip(NEXT) | instid1(VALU_DEP_2)
	v_and_b32_e32 v3, 0xffff, v3
	v_mov_b32_e32 v9, v8
	s_delay_alu instid0(VALU_DEP_2)
	v_cvt_f64_u32_e32 v[6:7], v3
	global_store_b128 v[4:5], v[6:9], off
.LBB23_2987:
	s_and_not1_b32 vcc_lo, exec_lo, s0
	s_cbranch_vccnz .LBB23_2989
; %bb.2988:
	s_wait_xcnt 0x0
	v_cvt_f32_ubyte0_e32 v6, v1
	v_mov_b32_e32 v7, 0
	global_store_b64 v[4:5], v[6:7], off
.LBB23_2989:
	s_mov_b32 s0, 0
.LBB23_2990:
	s_delay_alu instid0(SALU_CYCLE_1)
	s_and_not1_b32 vcc_lo, exec_lo, s0
	s_cbranch_vccnz .LBB23_2992
; %bb.2991:
	s_wait_xcnt 0x0
	v_and_b32_e32 v3, 0xff, v1
	s_delay_alu instid0(VALU_DEP_1) | instskip(NEXT) | instid1(VALU_DEP_1)
	v_cvt_f16_u16_e32 v3, v3
	v_and_b32_e32 v3, 0xffff, v3
	global_store_b32 v[4:5], v3, off
.LBB23_2992:
	s_mov_b32 s0, 0
.LBB23_2993:
	s_delay_alu instid0(SALU_CYCLE_1)
	s_and_not1_b32 vcc_lo, exec_lo, s0
	s_cbranch_vccnz .LBB23_3002
; %bb.2994:
	s_cmp_lt_i32 s2, 6
	s_mov_b32 s0, -1
	s_cbranch_scc1 .LBB23_3000
; %bb.2995:
	s_cmp_gt_i32 s2, 6
	s_cbranch_scc0 .LBB23_2997
; %bb.2996:
	s_wait_xcnt 0x0
	v_and_b32_e32 v3, 0xff, v1
	s_mov_b32 s0, 0
	s_delay_alu instid0(VALU_DEP_1) | instskip(NEXT) | instid1(VALU_DEP_1)
	v_and_b32_e32 v3, 0xffff, v3
	v_cvt_f64_u32_e32 v[6:7], v3
	global_store_b64 v[4:5], v[6:7], off
.LBB23_2997:
	s_and_not1_b32 vcc_lo, exec_lo, s0
	s_cbranch_vccnz .LBB23_2999
; %bb.2998:
	s_wait_xcnt 0x0
	v_cvt_f32_ubyte0_e32 v3, v1
	global_store_b32 v[4:5], v3, off
.LBB23_2999:
	s_mov_b32 s0, 0
.LBB23_3000:
	s_delay_alu instid0(SALU_CYCLE_1)
	s_and_not1_b32 vcc_lo, exec_lo, s0
	s_cbranch_vccnz .LBB23_3002
; %bb.3001:
	s_wait_xcnt 0x0
	v_and_b32_e32 v3, 0xff, v1
	s_delay_alu instid0(VALU_DEP_1)
	v_cvt_f16_u16_e32 v3, v3
	global_store_b16 v[4:5], v3, off
.LBB23_3002:
	s_mov_b32 s0, 0
.LBB23_3003:
	s_delay_alu instid0(SALU_CYCLE_1)
	s_and_not1_b32 vcc_lo, exec_lo, s0
	s_cbranch_vccnz .LBB23_3019
; %bb.3004:
	s_cmp_lt_i32 s2, 2
	s_mov_b32 s0, -1
	s_cbranch_scc1 .LBB23_3014
; %bb.3005:
	s_cmp_lt_i32 s2, 3
	s_cbranch_scc1 .LBB23_3011
; %bb.3006:
	s_cmp_gt_i32 s2, 3
	s_cbranch_scc0 .LBB23_3008
; %bb.3007:
	s_wait_xcnt 0x0
	v_and_b32_e32 v6, 0xff, v1
	v_mov_b32_e32 v7, 0
	s_mov_b32 s0, 0
	global_store_b64 v[4:5], v[6:7], off
.LBB23_3008:
	s_and_not1_b32 vcc_lo, exec_lo, s0
	s_cbranch_vccnz .LBB23_3010
; %bb.3009:
	s_wait_xcnt 0x0
	v_and_b32_e32 v3, 0xff, v1
	global_store_b32 v[4:5], v3, off
.LBB23_3010:
	s_mov_b32 s0, 0
.LBB23_3011:
	s_delay_alu instid0(SALU_CYCLE_1)
	s_and_not1_b32 vcc_lo, exec_lo, s0
	s_cbranch_vccnz .LBB23_3013
; %bb.3012:
	s_wait_xcnt 0x0
	v_and_b32_e32 v3, 0xff, v1
	global_store_b16 v[4:5], v3, off
.LBB23_3013:
	s_mov_b32 s0, 0
.LBB23_3014:
	s_delay_alu instid0(SALU_CYCLE_1)
	s_and_not1_b32 vcc_lo, exec_lo, s0
	s_cbranch_vccnz .LBB23_3019
; %bb.3015:
	s_cmp_gt_i32 s2, 0
	s_mov_b32 s0, -1
	s_cbranch_scc0 .LBB23_3017
; %bb.3016:
	s_mov_b32 s0, 0
	global_store_b8 v[4:5], v1, off
.LBB23_3017:
	s_and_not1_b32 vcc_lo, exec_lo, s0
	s_cbranch_vccnz .LBB23_3019
; %bb.3018:
	global_store_b8 v[4:5], v1, off
.LBB23_3019:
	s_mov_b32 s10, -1
.LBB23_3020:
	s_delay_alu instid0(SALU_CYCLE_1)
	s_and_not1_b32 vcc_lo, exec_lo, s10
	s_cbranch_vccnz .LBB23_3216
; %bb.3021:
	s_wait_xcnt 0x0
	v_mov_b32_e32 v3, 0
	v_mul_lo_u16 v1, v22, s9
	s_cmp_lt_i32 s2, 11
	s_delay_alu instid0(VALU_DEP_2) | instskip(NEXT) | instid1(VALU_DEP_2)
	v_add_nc_u64_e32 v[2:3], s[4:5], v[2:3]
	v_mul_lo_u16 v1, v1, v20
	s_cbranch_scc1 .LBB23_3099
; %bb.3022:
	s_mov_b32 s11, -1
	s_mov_b32 s3, 0
	s_cmp_gt_i32 s2, 25
	s_mov_b32 s10, 0
	s_mov_b32 s0, 0
	s_cbranch_scc0 .LBB23_3055
; %bb.3023:
	s_cmp_gt_i32 s2, 28
	s_cbranch_scc0 .LBB23_3038
; %bb.3024:
	s_cmp_gt_i32 s2, 43
	s_cbranch_scc0 .LBB23_3034
; %bb.3025:
	s_cmp_gt_i32 s2, 45
	s_cbranch_scc0 .LBB23_3028
; %bb.3026:
	s_mov_b32 s0, -1
	s_mov_b32 s11, 0
	s_cmp_eq_u32 s2, 46
	s_cbranch_scc0 .LBB23_3028
; %bb.3027:
	v_cvt_f32_ubyte0_e32 v4, v1
	s_mov_b32 s0, 0
	s_mov_b32 s10, -1
	s_delay_alu instid0(VALU_DEP_1) | instskip(NEXT) | instid1(VALU_DEP_1)
	v_bfe_u32 v5, v4, 16, 1
	v_add3_u32 v4, v4, v5, 0x7fff
	s_delay_alu instid0(VALU_DEP_1)
	v_lshrrev_b32_e32 v4, 16, v4
	global_store_b32 v[2:3], v4, off
.LBB23_3028:
	s_and_b32 vcc_lo, exec_lo, s11
	s_cbranch_vccz .LBB23_3033
; %bb.3029:
	s_cmp_eq_u32 s2, 44
	s_mov_b32 s0, -1
	s_cbranch_scc0 .LBB23_3033
; %bb.3030:
	v_cvt_f32_ubyte0_e32 v6, v1
	s_mov_b32 s10, exec_lo
	s_wait_xcnt 0x0
	s_delay_alu instid0(VALU_DEP_1) | instskip(NEXT) | instid1(VALU_DEP_1)
	v_dual_mov_b32 v5, 0xff :: v_dual_lshrrev_b32 v4, 23, v6
	v_cmpx_ne_u32_e32 0xff, v4
; %bb.3031:
	v_and_b32_e32 v5, 0x400000, v6
	v_and_or_b32 v6, 0x3fffff, v6, v4
	s_delay_alu instid0(VALU_DEP_2) | instskip(NEXT) | instid1(VALU_DEP_2)
	v_cmp_ne_u32_e32 vcc_lo, 0, v5
	v_cmp_ne_u32_e64 s0, 0, v6
	s_and_b32 s0, vcc_lo, s0
	s_delay_alu instid0(SALU_CYCLE_1) | instskip(NEXT) | instid1(VALU_DEP_1)
	v_cndmask_b32_e64 v5, 0, 1, s0
	v_add_nc_u32_e32 v5, v4, v5
; %bb.3032:
	s_or_b32 exec_lo, exec_lo, s10
	s_mov_b32 s0, 0
	s_mov_b32 s10, -1
	global_store_b8 v[2:3], v5, off
.LBB23_3033:
	s_mov_b32 s11, 0
.LBB23_3034:
	s_delay_alu instid0(SALU_CYCLE_1)
	s_and_b32 vcc_lo, exec_lo, s11
	s_cbranch_vccz .LBB23_3037
; %bb.3035:
	s_cmp_eq_u32 s2, 29
	s_mov_b32 s0, -1
	s_cbranch_scc0 .LBB23_3037
; %bb.3036:
	s_wait_xcnt 0x0
	v_and_b32_e32 v4, 0xff, v1
	v_mov_b32_e32 v5, 0
	s_mov_b32 s0, 0
	s_mov_b32 s10, -1
	global_store_b64 v[2:3], v[4:5], off
.LBB23_3037:
	s_mov_b32 s11, 0
.LBB23_3038:
	s_delay_alu instid0(SALU_CYCLE_1)
	s_and_b32 vcc_lo, exec_lo, s11
	s_cbranch_vccz .LBB23_3054
; %bb.3039:
	s_cmp_lt_i32 s2, 27
	s_mov_b32 s10, -1
	s_cbranch_scc1 .LBB23_3045
; %bb.3040:
	s_cmp_gt_i32 s2, 27
	s_cbranch_scc0 .LBB23_3042
; %bb.3041:
	s_wait_xcnt 0x0
	v_and_b32_e32 v4, 0xff, v1
	s_mov_b32 s10, 0
	global_store_b32 v[2:3], v4, off
.LBB23_3042:
	s_and_not1_b32 vcc_lo, exec_lo, s10
	s_cbranch_vccnz .LBB23_3044
; %bb.3043:
	s_wait_xcnt 0x0
	v_and_b32_e32 v4, 0xff, v1
	global_store_b16 v[2:3], v4, off
.LBB23_3044:
	s_mov_b32 s10, 0
.LBB23_3045:
	s_delay_alu instid0(SALU_CYCLE_1)
	s_and_not1_b32 vcc_lo, exec_lo, s10
	s_cbranch_vccnz .LBB23_3053
; %bb.3046:
	s_wait_xcnt 0x0
	v_cvt_f32_ubyte0_e32 v5, v1
	v_mov_b32_e32 v6, 0x80
	s_mov_b32 s10, exec_lo
	s_delay_alu instid0(VALU_DEP_2)
	v_cmpx_gt_u32_e32 0x43800000, v5
	s_cbranch_execz .LBB23_3052
; %bb.3047:
	s_mov_b32 s11, 0
	s_mov_b32 s12, exec_lo
                                        ; implicit-def: $vgpr4
	v_cmpx_lt_u32_e32 0x3bffffff, v5
	s_xor_b32 s12, exec_lo, s12
	s_cbranch_execz .LBB23_3273
; %bb.3048:
	v_bfe_u32 v4, v5, 20, 1
	s_mov_b32 s11, exec_lo
	s_delay_alu instid0(VALU_DEP_1) | instskip(NEXT) | instid1(VALU_DEP_1)
	v_add3_u32 v4, v5, v4, 0x487ffff
                                        ; implicit-def: $vgpr5
	v_lshrrev_b32_e32 v4, 20, v4
	s_and_not1_saveexec_b32 s12, s12
	s_cbranch_execnz .LBB23_3274
.LBB23_3049:
	s_or_b32 exec_lo, exec_lo, s12
	v_mov_b32_e32 v6, 0
	s_and_saveexec_b32 s12, s11
.LBB23_3050:
	v_mov_b32_e32 v6, v4
.LBB23_3051:
	s_or_b32 exec_lo, exec_lo, s12
.LBB23_3052:
	s_delay_alu instid0(SALU_CYCLE_1)
	s_or_b32 exec_lo, exec_lo, s10
	global_store_b8 v[2:3], v6, off
.LBB23_3053:
	s_mov_b32 s10, -1
.LBB23_3054:
	s_mov_b32 s11, 0
.LBB23_3055:
	s_delay_alu instid0(SALU_CYCLE_1)
	s_and_b32 vcc_lo, exec_lo, s11
	s_cbranch_vccz .LBB23_3095
; %bb.3056:
	s_cmp_gt_i32 s2, 22
	s_mov_b32 s3, -1
	s_cbranch_scc0 .LBB23_3088
; %bb.3057:
	s_cmp_lt_i32 s2, 24
	s_cbranch_scc1 .LBB23_3077
; %bb.3058:
	s_cmp_gt_i32 s2, 24
	s_cbranch_scc0 .LBB23_3066
; %bb.3059:
	s_wait_xcnt 0x0
	v_cvt_f32_ubyte0_e32 v5, v1
	v_mov_b32_e32 v6, 0x80
	s_mov_b32 s3, exec_lo
	s_delay_alu instid0(VALU_DEP_2)
	v_cmpx_gt_u32_e32 0x47800000, v5
	s_cbranch_execz .LBB23_3065
; %bb.3060:
	s_mov_b32 s10, 0
	s_mov_b32 s11, exec_lo
                                        ; implicit-def: $vgpr4
	v_cmpx_lt_u32_e32 0x37ffffff, v5
	s_xor_b32 s11, exec_lo, s11
	s_cbranch_execz .LBB23_3276
; %bb.3061:
	v_bfe_u32 v4, v5, 21, 1
	s_mov_b32 s10, exec_lo
	s_delay_alu instid0(VALU_DEP_1) | instskip(NEXT) | instid1(VALU_DEP_1)
	v_add3_u32 v4, v5, v4, 0x88fffff
                                        ; implicit-def: $vgpr5
	v_lshrrev_b32_e32 v4, 21, v4
	s_and_not1_saveexec_b32 s11, s11
	s_cbranch_execnz .LBB23_3277
.LBB23_3062:
	s_or_b32 exec_lo, exec_lo, s11
	v_mov_b32_e32 v6, 0
	s_and_saveexec_b32 s11, s10
.LBB23_3063:
	v_mov_b32_e32 v6, v4
.LBB23_3064:
	s_or_b32 exec_lo, exec_lo, s11
.LBB23_3065:
	s_delay_alu instid0(SALU_CYCLE_1)
	s_or_b32 exec_lo, exec_lo, s3
	s_mov_b32 s3, 0
	global_store_b8 v[2:3], v6, off
.LBB23_3066:
	s_and_b32 vcc_lo, exec_lo, s3
	s_cbranch_vccz .LBB23_3076
; %bb.3067:
	s_wait_xcnt 0x0
	v_cvt_f32_ubyte0_e32 v5, v1
	s_mov_b32 s3, exec_lo
                                        ; implicit-def: $vgpr4
	s_delay_alu instid0(VALU_DEP_1)
	v_cmpx_gt_u32_e32 0x43f00000, v5
	s_xor_b32 s3, exec_lo, s3
	s_cbranch_execz .LBB23_3073
; %bb.3068:
	s_mov_b32 s10, exec_lo
                                        ; implicit-def: $vgpr4
	v_cmpx_lt_u32_e32 0x3c7fffff, v5
	s_xor_b32 s10, exec_lo, s10
; %bb.3069:
	v_bfe_u32 v4, v5, 20, 1
	s_delay_alu instid0(VALU_DEP_1) | instskip(NEXT) | instid1(VALU_DEP_1)
	v_add3_u32 v4, v5, v4, 0x407ffff
	v_and_b32_e32 v5, 0xff00000, v4
	v_lshrrev_b32_e32 v4, 20, v4
	s_delay_alu instid0(VALU_DEP_2) | instskip(NEXT) | instid1(VALU_DEP_2)
	v_cmp_ne_u32_e32 vcc_lo, 0x7f00000, v5
                                        ; implicit-def: $vgpr5
	v_cndmask_b32_e32 v4, 0x7e, v4, vcc_lo
; %bb.3070:
	s_and_not1_saveexec_b32 s10, s10
; %bb.3071:
	v_add_f32_e32 v4, 0x46800000, v5
; %bb.3072:
	s_or_b32 exec_lo, exec_lo, s10
                                        ; implicit-def: $vgpr5
.LBB23_3073:
	s_and_not1_saveexec_b32 s3, s3
; %bb.3074:
	v_mov_b32_e32 v4, 0x7f
	v_cmp_lt_u32_e32 vcc_lo, 0x7f800000, v5
	s_delay_alu instid0(VALU_DEP_2)
	v_cndmask_b32_e32 v4, 0x7e, v4, vcc_lo
; %bb.3075:
	s_or_b32 exec_lo, exec_lo, s3
	global_store_b8 v[2:3], v4, off
.LBB23_3076:
	s_mov_b32 s3, 0
.LBB23_3077:
	s_delay_alu instid0(SALU_CYCLE_1)
	s_and_not1_b32 vcc_lo, exec_lo, s3
	s_cbranch_vccnz .LBB23_3087
; %bb.3078:
	s_wait_xcnt 0x0
	v_cvt_f32_ubyte0_e32 v5, v1
	s_mov_b32 s3, exec_lo
                                        ; implicit-def: $vgpr4
	s_delay_alu instid0(VALU_DEP_1)
	v_cmpx_gt_u32_e32 0x47800000, v5
	s_xor_b32 s3, exec_lo, s3
	s_cbranch_execz .LBB23_3084
; %bb.3079:
	s_mov_b32 s10, exec_lo
                                        ; implicit-def: $vgpr4
	v_cmpx_lt_u32_e32 0x387fffff, v5
	s_xor_b32 s10, exec_lo, s10
; %bb.3080:
	v_bfe_u32 v4, v5, 21, 1
	s_delay_alu instid0(VALU_DEP_1) | instskip(NEXT) | instid1(VALU_DEP_1)
	v_add3_u32 v4, v5, v4, 0x80fffff
                                        ; implicit-def: $vgpr5
	v_lshrrev_b32_e32 v4, 21, v4
; %bb.3081:
	s_and_not1_saveexec_b32 s10, s10
; %bb.3082:
	v_add_f32_e32 v4, 0x43000000, v5
; %bb.3083:
	s_or_b32 exec_lo, exec_lo, s10
                                        ; implicit-def: $vgpr5
.LBB23_3084:
	s_and_not1_saveexec_b32 s3, s3
; %bb.3085:
	v_mov_b32_e32 v4, 0x7f
	v_cmp_lt_u32_e32 vcc_lo, 0x7f800000, v5
	s_delay_alu instid0(VALU_DEP_2)
	v_cndmask_b32_e32 v4, 0x7c, v4, vcc_lo
; %bb.3086:
	s_or_b32 exec_lo, exec_lo, s3
	global_store_b8 v[2:3], v4, off
.LBB23_3087:
	s_mov_b32 s3, 0
	s_mov_b32 s10, -1
.LBB23_3088:
	s_and_not1_b32 vcc_lo, exec_lo, s3
	s_mov_b32 s3, 0
	s_cbranch_vccnz .LBB23_3095
; %bb.3089:
	s_cmp_gt_i32 s2, 14
	s_mov_b32 s3, -1
	s_cbranch_scc0 .LBB23_3093
; %bb.3090:
	s_cmp_eq_u32 s2, 15
	s_mov_b32 s0, -1
	s_cbranch_scc0 .LBB23_3092
; %bb.3091:
	s_wait_xcnt 0x0
	v_cvt_f32_ubyte0_e32 v4, v1
	s_mov_b32 s0, 0
	s_mov_b32 s10, -1
	s_delay_alu instid0(VALU_DEP_1) | instskip(NEXT) | instid1(VALU_DEP_1)
	v_bfe_u32 v5, v4, 16, 1
	v_add3_u32 v4, v4, v5, 0x7fff
	global_store_d16_hi_b16 v[2:3], v4, off
.LBB23_3092:
	s_mov_b32 s3, 0
.LBB23_3093:
	s_delay_alu instid0(SALU_CYCLE_1)
	s_and_b32 vcc_lo, exec_lo, s3
	s_mov_b32 s3, 0
	s_cbranch_vccz .LBB23_3095
; %bb.3094:
	s_cmp_lg_u32 s2, 11
	s_mov_b32 s3, -1
	s_cselect_b32 s0, -1, 0
.LBB23_3095:
	s_delay_alu instid0(SALU_CYCLE_1)
	s_and_b32 vcc_lo, exec_lo, s0
	s_cbranch_vccnz .LBB23_3275
; %bb.3096:
	s_and_not1_b32 vcc_lo, exec_lo, s3
	s_cbranch_vccnz .LBB23_3098
.LBB23_3097:
	s_wait_xcnt 0x0
	v_and_b32_e32 v4, 0xff, v1
	s_mov_b32 s10, -1
	s_delay_alu instid0(VALU_DEP_1)
	v_cmp_ne_u16_e32 vcc_lo, 0, v4
	v_cndmask_b32_e64 v4, 0, 1, vcc_lo
	global_store_b8 v[2:3], v4, off
.LBB23_3098:
	s_mov_b32 s0, 0
	s_branch .LBB23_3100
.LBB23_3099:
	s_mov_b32 s0, -1
	s_mov_b32 s10, 0
.LBB23_3100:
	s_and_b32 vcc_lo, exec_lo, s0
	s_cbranch_vccz .LBB23_3139
; %bb.3101:
	s_cmp_lt_i32 s2, 5
	s_mov_b32 s0, -1
	s_cbranch_scc1 .LBB23_3122
; %bb.3102:
	s_cmp_lt_i32 s2, 8
	s_cbranch_scc1 .LBB23_3112
; %bb.3103:
	s_cmp_lt_i32 s2, 9
	s_cbranch_scc1 .LBB23_3109
; %bb.3104:
	s_cmp_gt_i32 s2, 9
	s_cbranch_scc0 .LBB23_3106
; %bb.3105:
	s_wait_xcnt 0x0
	v_and_b32_e32 v4, 0xff, v1
	v_mov_b32_e32 v6, 0
	s_mov_b32 s0, 0
	s_delay_alu instid0(VALU_DEP_2) | instskip(NEXT) | instid1(VALU_DEP_2)
	v_and_b32_e32 v4, 0xffff, v4
	v_mov_b32_e32 v7, v6
	s_delay_alu instid0(VALU_DEP_2)
	v_cvt_f64_u32_e32 v[4:5], v4
	global_store_b128 v[2:3], v[4:7], off
.LBB23_3106:
	s_and_not1_b32 vcc_lo, exec_lo, s0
	s_cbranch_vccnz .LBB23_3108
; %bb.3107:
	s_wait_xcnt 0x0
	v_cvt_f32_ubyte0_e32 v4, v1
	v_mov_b32_e32 v5, 0
	global_store_b64 v[2:3], v[4:5], off
.LBB23_3108:
	s_mov_b32 s0, 0
.LBB23_3109:
	s_delay_alu instid0(SALU_CYCLE_1)
	s_and_not1_b32 vcc_lo, exec_lo, s0
	s_cbranch_vccnz .LBB23_3111
; %bb.3110:
	s_wait_xcnt 0x0
	v_and_b32_e32 v4, 0xff, v1
	s_delay_alu instid0(VALU_DEP_1) | instskip(NEXT) | instid1(VALU_DEP_1)
	v_cvt_f16_u16_e32 v4, v4
	v_and_b32_e32 v4, 0xffff, v4
	global_store_b32 v[2:3], v4, off
.LBB23_3111:
	s_mov_b32 s0, 0
.LBB23_3112:
	s_delay_alu instid0(SALU_CYCLE_1)
	s_and_not1_b32 vcc_lo, exec_lo, s0
	s_cbranch_vccnz .LBB23_3121
; %bb.3113:
	s_cmp_lt_i32 s2, 6
	s_mov_b32 s0, -1
	s_cbranch_scc1 .LBB23_3119
; %bb.3114:
	s_cmp_gt_i32 s2, 6
	s_cbranch_scc0 .LBB23_3116
; %bb.3115:
	s_wait_xcnt 0x0
	v_and_b32_e32 v4, 0xff, v1
	s_mov_b32 s0, 0
	s_delay_alu instid0(VALU_DEP_1) | instskip(NEXT) | instid1(VALU_DEP_1)
	v_and_b32_e32 v4, 0xffff, v4
	v_cvt_f64_u32_e32 v[4:5], v4
	global_store_b64 v[2:3], v[4:5], off
.LBB23_3116:
	s_and_not1_b32 vcc_lo, exec_lo, s0
	s_cbranch_vccnz .LBB23_3118
; %bb.3117:
	s_wait_xcnt 0x0
	v_cvt_f32_ubyte0_e32 v4, v1
	global_store_b32 v[2:3], v4, off
.LBB23_3118:
	s_mov_b32 s0, 0
.LBB23_3119:
	s_delay_alu instid0(SALU_CYCLE_1)
	s_and_not1_b32 vcc_lo, exec_lo, s0
	s_cbranch_vccnz .LBB23_3121
; %bb.3120:
	s_wait_xcnt 0x0
	v_and_b32_e32 v4, 0xff, v1
	s_delay_alu instid0(VALU_DEP_1)
	v_cvt_f16_u16_e32 v4, v4
	global_store_b16 v[2:3], v4, off
.LBB23_3121:
	s_mov_b32 s0, 0
.LBB23_3122:
	s_delay_alu instid0(SALU_CYCLE_1)
	s_and_not1_b32 vcc_lo, exec_lo, s0
	s_cbranch_vccnz .LBB23_3138
; %bb.3123:
	s_cmp_lt_i32 s2, 2
	s_mov_b32 s0, -1
	s_cbranch_scc1 .LBB23_3133
; %bb.3124:
	s_cmp_lt_i32 s2, 3
	s_cbranch_scc1 .LBB23_3130
; %bb.3125:
	s_cmp_gt_i32 s2, 3
	s_cbranch_scc0 .LBB23_3127
; %bb.3126:
	s_wait_xcnt 0x0
	v_and_b32_e32 v4, 0xff, v1
	v_mov_b32_e32 v5, 0
	s_mov_b32 s0, 0
	global_store_b64 v[2:3], v[4:5], off
.LBB23_3127:
	s_and_not1_b32 vcc_lo, exec_lo, s0
	s_cbranch_vccnz .LBB23_3129
; %bb.3128:
	s_wait_xcnt 0x0
	v_and_b32_e32 v4, 0xff, v1
	global_store_b32 v[2:3], v4, off
.LBB23_3129:
	s_mov_b32 s0, 0
.LBB23_3130:
	s_delay_alu instid0(SALU_CYCLE_1)
	s_and_not1_b32 vcc_lo, exec_lo, s0
	s_cbranch_vccnz .LBB23_3132
; %bb.3131:
	s_wait_xcnt 0x0
	v_and_b32_e32 v4, 0xff, v1
	global_store_b16 v[2:3], v4, off
.LBB23_3132:
	s_mov_b32 s0, 0
.LBB23_3133:
	s_delay_alu instid0(SALU_CYCLE_1)
	s_and_not1_b32 vcc_lo, exec_lo, s0
	s_cbranch_vccnz .LBB23_3138
; %bb.3134:
	s_cmp_gt_i32 s2, 0
	s_mov_b32 s0, -1
	s_cbranch_scc0 .LBB23_3136
; %bb.3135:
	s_mov_b32 s0, 0
	global_store_b8 v[2:3], v1, off
.LBB23_3136:
	s_and_not1_b32 vcc_lo, exec_lo, s0
	s_cbranch_vccnz .LBB23_3138
; %bb.3137:
	global_store_b8 v[2:3], v1, off
.LBB23_3138:
	s_mov_b32 s10, -1
.LBB23_3139:
	s_delay_alu instid0(SALU_CYCLE_1)
	s_and_not1_b32 vcc_lo, exec_lo, s10
	s_cbranch_vccnz .LBB23_3216
; %bb.3140:
	s_wait_xcnt 0x0
	v_mov_b32_e32 v1, 0
	v_mul_lo_u16 v4, v16, s9
	s_cmp_lt_i32 s2, 11
	s_delay_alu instid0(VALU_DEP_2) | instskip(NEXT) | instid1(VALU_DEP_2)
	v_add_nc_u64_e32 v[2:3], s[4:5], v[0:1]
	v_mul_lo_u16 v1, v4, v10
	s_cbranch_scc1 .LBB23_3261
; %bb.3141:
	s_mov_b32 s4, -1
	s_mov_b32 s3, 0
	s_cmp_gt_i32 s2, 25
	s_mov_b32 s0, 0
	s_cbranch_scc0 .LBB23_3174
; %bb.3142:
	s_cmp_gt_i32 s2, 28
	s_cbranch_scc0 .LBB23_3158
; %bb.3143:
	s_cmp_gt_i32 s2, 43
	;; [unrolled: 3-line block ×3, first 2 shown]
	s_cbranch_scc0 .LBB23_3148
; %bb.3145:
	s_cmp_eq_u32 s2, 46
	s_mov_b32 s0, -1
	s_cbranch_scc0 .LBB23_3147
; %bb.3146:
	v_cvt_f32_ubyte0_e32 v0, v1
	s_mov_b32 s0, 0
	s_delay_alu instid0(VALU_DEP_1) | instskip(NEXT) | instid1(VALU_DEP_1)
	v_bfe_u32 v4, v0, 16, 1
	v_add3_u32 v0, v0, v4, 0x7fff
	s_delay_alu instid0(VALU_DEP_1)
	v_lshrrev_b32_e32 v0, 16, v0
	global_store_b32 v[2:3], v0, off
.LBB23_3147:
	s_mov_b32 s4, 0
.LBB23_3148:
	s_delay_alu instid0(SALU_CYCLE_1)
	s_and_b32 vcc_lo, exec_lo, s4
	s_cbranch_vccz .LBB23_3153
; %bb.3149:
	s_cmp_eq_u32 s2, 44
	s_mov_b32 s0, -1
	s_cbranch_scc0 .LBB23_3153
; %bb.3150:
	v_cvt_f32_ubyte0_e32 v5, v1
	v_mov_b32_e32 v4, 0xff
	s_mov_b32 s4, exec_lo
	s_wait_xcnt 0x0
	s_delay_alu instid0(VALU_DEP_2) | instskip(NEXT) | instid1(VALU_DEP_1)
	v_lshrrev_b32_e32 v0, 23, v5
	v_cmpx_ne_u32_e32 0xff, v0
; %bb.3151:
	v_and_b32_e32 v4, 0x400000, v5
	v_and_or_b32 v5, 0x3fffff, v5, v0
	s_delay_alu instid0(VALU_DEP_2) | instskip(NEXT) | instid1(VALU_DEP_2)
	v_cmp_ne_u32_e32 vcc_lo, 0, v4
	v_cmp_ne_u32_e64 s0, 0, v5
	s_and_b32 s0, vcc_lo, s0
	s_delay_alu instid0(SALU_CYCLE_1) | instskip(NEXT) | instid1(VALU_DEP_1)
	v_cndmask_b32_e64 v4, 0, 1, s0
	v_add_nc_u32_e32 v4, v0, v4
; %bb.3152:
	s_or_b32 exec_lo, exec_lo, s4
	s_mov_b32 s0, 0
	global_store_b8 v[2:3], v4, off
.LBB23_3153:
	s_mov_b32 s4, 0
.LBB23_3154:
	s_delay_alu instid0(SALU_CYCLE_1)
	s_and_b32 vcc_lo, exec_lo, s4
	s_cbranch_vccz .LBB23_3157
; %bb.3155:
	s_cmp_eq_u32 s2, 29
	s_mov_b32 s0, -1
	s_cbranch_scc0 .LBB23_3157
; %bb.3156:
	s_wait_xcnt 0x0
	v_and_b32_e32 v4, 0xff, v1
	v_mov_b32_e32 v5, 0
	s_mov_b32 s0, 0
	global_store_b64 v[2:3], v[4:5], off
.LBB23_3157:
	s_mov_b32 s4, 0
.LBB23_3158:
	s_delay_alu instid0(SALU_CYCLE_1)
	s_and_b32 vcc_lo, exec_lo, s4
	s_cbranch_vccz .LBB23_3173
; %bb.3159:
	s_cmp_lt_i32 s2, 27
	s_mov_b32 s4, -1
	s_cbranch_scc1 .LBB23_3165
; %bb.3160:
	s_wait_xcnt 0x0
	v_and_b32_e32 v0, 0xff, v1
	s_cmp_gt_i32 s2, 27
	s_cbranch_scc0 .LBB23_3162
; %bb.3161:
	s_mov_b32 s4, 0
	global_store_b32 v[2:3], v0, off
.LBB23_3162:
	s_and_not1_b32 vcc_lo, exec_lo, s4
	s_cbranch_vccnz .LBB23_3164
; %bb.3163:
	global_store_b16 v[2:3], v0, off
.LBB23_3164:
	s_mov_b32 s4, 0
.LBB23_3165:
	s_delay_alu instid0(SALU_CYCLE_1)
	s_and_not1_b32 vcc_lo, exec_lo, s4
	s_cbranch_vccnz .LBB23_3173
; %bb.3166:
	s_wait_xcnt 0x0
	v_cvt_f32_ubyte0_e32 v4, v1
	v_mov_b32_e32 v5, 0x80
	s_mov_b32 s4, exec_lo
	s_delay_alu instid0(VALU_DEP_2)
	v_cmpx_gt_u32_e32 0x43800000, v4
	s_cbranch_execz .LBB23_3172
; %bb.3167:
	s_mov_b32 s5, 0
	s_mov_b32 s9, exec_lo
                                        ; implicit-def: $vgpr0
	v_cmpx_lt_u32_e32 0x3bffffff, v4
	s_xor_b32 s9, exec_lo, s9
	s_cbranch_execz .LBB23_3278
; %bb.3168:
	v_bfe_u32 v0, v4, 20, 1
	s_mov_b32 s5, exec_lo
	s_delay_alu instid0(VALU_DEP_1) | instskip(NEXT) | instid1(VALU_DEP_1)
	v_add3_u32 v0, v4, v0, 0x487ffff
                                        ; implicit-def: $vgpr4
	v_lshrrev_b32_e32 v0, 20, v0
	s_and_not1_saveexec_b32 s9, s9
	s_cbranch_execnz .LBB23_3279
.LBB23_3169:
	s_or_b32 exec_lo, exec_lo, s9
	v_mov_b32_e32 v5, 0
	s_and_saveexec_b32 s9, s5
.LBB23_3170:
	v_mov_b32_e32 v5, v0
.LBB23_3171:
	s_or_b32 exec_lo, exec_lo, s9
.LBB23_3172:
	s_delay_alu instid0(SALU_CYCLE_1)
	s_or_b32 exec_lo, exec_lo, s4
	global_store_b8 v[2:3], v5, off
.LBB23_3173:
	s_mov_b32 s4, 0
.LBB23_3174:
	s_delay_alu instid0(SALU_CYCLE_1)
	s_and_b32 vcc_lo, exec_lo, s4
	s_cbranch_vccz .LBB23_3214
; %bb.3175:
	s_cmp_gt_i32 s2, 22
	s_mov_b32 s3, -1
	s_cbranch_scc0 .LBB23_3207
; %bb.3176:
	s_cmp_lt_i32 s2, 24
	s_cbranch_scc1 .LBB23_3196
; %bb.3177:
	s_cmp_gt_i32 s2, 24
	s_cbranch_scc0 .LBB23_3185
; %bb.3178:
	s_wait_xcnt 0x0
	v_cvt_f32_ubyte0_e32 v4, v1
	v_mov_b32_e32 v5, 0x80
	s_mov_b32 s3, exec_lo
	s_delay_alu instid0(VALU_DEP_2)
	v_cmpx_gt_u32_e32 0x47800000, v4
	s_cbranch_execz .LBB23_3184
; %bb.3179:
	s_mov_b32 s4, 0
	s_mov_b32 s5, exec_lo
                                        ; implicit-def: $vgpr0
	v_cmpx_lt_u32_e32 0x37ffffff, v4
	s_xor_b32 s5, exec_lo, s5
	s_cbranch_execz .LBB23_3281
; %bb.3180:
	v_bfe_u32 v0, v4, 21, 1
	s_mov_b32 s4, exec_lo
	s_delay_alu instid0(VALU_DEP_1) | instskip(NEXT) | instid1(VALU_DEP_1)
	v_add3_u32 v0, v4, v0, 0x88fffff
                                        ; implicit-def: $vgpr4
	v_lshrrev_b32_e32 v0, 21, v0
	s_and_not1_saveexec_b32 s5, s5
	s_cbranch_execnz .LBB23_3282
.LBB23_3181:
	s_or_b32 exec_lo, exec_lo, s5
	v_mov_b32_e32 v5, 0
	s_and_saveexec_b32 s5, s4
.LBB23_3182:
	v_mov_b32_e32 v5, v0
.LBB23_3183:
	s_or_b32 exec_lo, exec_lo, s5
.LBB23_3184:
	s_delay_alu instid0(SALU_CYCLE_1)
	s_or_b32 exec_lo, exec_lo, s3
	s_mov_b32 s3, 0
	global_store_b8 v[2:3], v5, off
.LBB23_3185:
	s_and_b32 vcc_lo, exec_lo, s3
	s_cbranch_vccz .LBB23_3195
; %bb.3186:
	s_wait_xcnt 0x0
	v_cvt_f32_ubyte0_e32 v4, v1
	s_mov_b32 s3, exec_lo
                                        ; implicit-def: $vgpr0
	s_delay_alu instid0(VALU_DEP_1)
	v_cmpx_gt_u32_e32 0x43f00000, v4
	s_xor_b32 s3, exec_lo, s3
	s_cbranch_execz .LBB23_3192
; %bb.3187:
	s_mov_b32 s4, exec_lo
                                        ; implicit-def: $vgpr0
	v_cmpx_lt_u32_e32 0x3c7fffff, v4
	s_xor_b32 s4, exec_lo, s4
; %bb.3188:
	v_bfe_u32 v0, v4, 20, 1
	s_delay_alu instid0(VALU_DEP_1) | instskip(NEXT) | instid1(VALU_DEP_1)
	v_add3_u32 v0, v4, v0, 0x407ffff
	v_and_b32_e32 v4, 0xff00000, v0
	v_lshrrev_b32_e32 v0, 20, v0
	s_delay_alu instid0(VALU_DEP_2) | instskip(NEXT) | instid1(VALU_DEP_2)
	v_cmp_ne_u32_e32 vcc_lo, 0x7f00000, v4
                                        ; implicit-def: $vgpr4
	v_cndmask_b32_e32 v0, 0x7e, v0, vcc_lo
; %bb.3189:
	s_and_not1_saveexec_b32 s4, s4
; %bb.3190:
	v_add_f32_e32 v0, 0x46800000, v4
; %bb.3191:
	s_or_b32 exec_lo, exec_lo, s4
                                        ; implicit-def: $vgpr4
.LBB23_3192:
	s_and_not1_saveexec_b32 s3, s3
; %bb.3193:
	v_mov_b32_e32 v0, 0x7f
	v_cmp_lt_u32_e32 vcc_lo, 0x7f800000, v4
	s_delay_alu instid0(VALU_DEP_2)
	v_cndmask_b32_e32 v0, 0x7e, v0, vcc_lo
; %bb.3194:
	s_or_b32 exec_lo, exec_lo, s3
	global_store_b8 v[2:3], v0, off
.LBB23_3195:
	s_mov_b32 s3, 0
.LBB23_3196:
	s_delay_alu instid0(SALU_CYCLE_1)
	s_and_not1_b32 vcc_lo, exec_lo, s3
	s_cbranch_vccnz .LBB23_3206
; %bb.3197:
	s_wait_xcnt 0x0
	v_cvt_f32_ubyte0_e32 v4, v1
	s_mov_b32 s3, exec_lo
                                        ; implicit-def: $vgpr0
	s_delay_alu instid0(VALU_DEP_1)
	v_cmpx_gt_u32_e32 0x47800000, v4
	s_xor_b32 s3, exec_lo, s3
	s_cbranch_execz .LBB23_3203
; %bb.3198:
	s_mov_b32 s4, exec_lo
                                        ; implicit-def: $vgpr0
	v_cmpx_lt_u32_e32 0x387fffff, v4
	s_xor_b32 s4, exec_lo, s4
; %bb.3199:
	v_bfe_u32 v0, v4, 21, 1
	s_delay_alu instid0(VALU_DEP_1) | instskip(NEXT) | instid1(VALU_DEP_1)
	v_add3_u32 v0, v4, v0, 0x80fffff
                                        ; implicit-def: $vgpr4
	v_lshrrev_b32_e32 v0, 21, v0
; %bb.3200:
	s_and_not1_saveexec_b32 s4, s4
; %bb.3201:
	v_add_f32_e32 v0, 0x43000000, v4
; %bb.3202:
	s_or_b32 exec_lo, exec_lo, s4
                                        ; implicit-def: $vgpr4
.LBB23_3203:
	s_and_not1_saveexec_b32 s3, s3
; %bb.3204:
	v_mov_b32_e32 v0, 0x7f
	v_cmp_lt_u32_e32 vcc_lo, 0x7f800000, v4
	s_delay_alu instid0(VALU_DEP_2)
	v_cndmask_b32_e32 v0, 0x7c, v0, vcc_lo
; %bb.3205:
	s_or_b32 exec_lo, exec_lo, s3
	global_store_b8 v[2:3], v0, off
.LBB23_3206:
	s_mov_b32 s3, 0
.LBB23_3207:
	s_delay_alu instid0(SALU_CYCLE_1)
	s_and_not1_b32 vcc_lo, exec_lo, s3
	s_mov_b32 s3, 0
	s_cbranch_vccnz .LBB23_3214
; %bb.3208:
	s_cmp_gt_i32 s2, 14
	s_mov_b32 s3, -1
	s_cbranch_scc0 .LBB23_3212
; %bb.3209:
	s_cmp_eq_u32 s2, 15
	s_mov_b32 s0, -1
	s_cbranch_scc0 .LBB23_3211
; %bb.3210:
	s_wait_xcnt 0x0
	v_cvt_f32_ubyte0_e32 v0, v1
	s_mov_b32 s0, 0
	s_delay_alu instid0(VALU_DEP_1) | instskip(NEXT) | instid1(VALU_DEP_1)
	v_bfe_u32 v4, v0, 16, 1
	v_add3_u32 v0, v0, v4, 0x7fff
	global_store_d16_hi_b16 v[2:3], v0, off
.LBB23_3211:
	s_mov_b32 s3, 0
.LBB23_3212:
	s_delay_alu instid0(SALU_CYCLE_1)
	s_and_b32 vcc_lo, exec_lo, s3
	s_mov_b32 s3, 0
	s_cbranch_vccz .LBB23_3214
; %bb.3213:
	s_cmp_lg_u32 s2, 11
	s_mov_b32 s3, -1
	s_cselect_b32 s0, -1, 0
.LBB23_3214:
	s_delay_alu instid0(SALU_CYCLE_1)
	s_and_b32 vcc_lo, exec_lo, s0
	s_cbranch_vccnz .LBB23_3280
.LBB23_3215:
	s_mov_b32 s0, 0
	s_branch .LBB23_3217
.LBB23_3216:
	s_mov_b32 s0, 0
	s_wait_xcnt 0x0
	s_mov_b32 s3, 0
                                        ; implicit-def: $vgpr2_vgpr3
                                        ; implicit-def: $sgpr1
                                        ; implicit-def: $vgpr1
.LBB23_3217:
	s_and_not1_b32 s2, s6, exec_lo
	s_and_b32 s4, s8, exec_lo
	s_and_b32 s0, s0, exec_lo
	;; [unrolled: 1-line block ×3, first 2 shown]
	s_or_b32 s6, s2, s4
.LBB23_3218:
	s_wait_xcnt 0x0
	s_or_b32 exec_lo, exec_lo, s7
	s_and_saveexec_b32 s2, s6
	s_cbranch_execz .LBB23_3221
; %bb.3219:
	; divergent unreachable
	s_or_b32 exec_lo, exec_lo, s2
	s_and_saveexec_b32 s2, s34
	s_delay_alu instid0(SALU_CYCLE_1)
	s_xor_b32 s2, exec_lo, s2
	s_cbranch_execnz .LBB23_3222
.LBB23_3220:
	s_or_b32 exec_lo, exec_lo, s2
	s_and_saveexec_b32 s2, s0
	s_cbranch_execnz .LBB23_3223
	s_branch .LBB23_3260
.LBB23_3221:
	s_or_b32 exec_lo, exec_lo, s2
	s_and_saveexec_b32 s2, s34
	s_delay_alu instid0(SALU_CYCLE_1)
	s_xor_b32 s2, exec_lo, s2
	s_cbranch_execz .LBB23_3220
.LBB23_3222:
	s_wait_loadcnt 0x0
	v_and_b32_e32 v0, 0xff, v1
	s_delay_alu instid0(VALU_DEP_1)
	v_cmp_ne_u16_e32 vcc_lo, 0, v0
	v_cndmask_b32_e64 v0, 0, 1, vcc_lo
	global_store_b8 v[2:3], v0, off
	s_wait_xcnt 0x0
	s_or_b32 exec_lo, exec_lo, s2
	s_and_saveexec_b32 s2, s0
	s_cbranch_execz .LBB23_3260
.LBB23_3223:
	s_sext_i32_i16 s2, s1
	s_mov_b32 s0, -1
	s_cmp_lt_i32 s2, 5
	s_cbranch_scc1 .LBB23_3244
; %bb.3224:
	s_cmp_lt_i32 s2, 8
	s_cbranch_scc1 .LBB23_3234
; %bb.3225:
	;; [unrolled: 3-line block ×3, first 2 shown]
	s_cmp_gt_i32 s2, 9
	s_cbranch_scc0 .LBB23_3228
; %bb.3227:
	s_wait_loadcnt 0x0
	v_and_b32_e32 v0, 0xff, v1
	v_mov_b32_e32 v6, 0
	s_mov_b32 s0, 0
	s_delay_alu instid0(VALU_DEP_2) | instskip(NEXT) | instid1(VALU_DEP_2)
	v_and_b32_e32 v0, 0xffff, v0
	v_mov_b32_e32 v7, v6
	s_delay_alu instid0(VALU_DEP_2)
	v_cvt_f64_u32_e32 v[4:5], v0
	global_store_b128 v[2:3], v[4:7], off
.LBB23_3228:
	s_and_not1_b32 vcc_lo, exec_lo, s0
	s_cbranch_vccnz .LBB23_3230
; %bb.3229:
	s_wait_loadcnt 0x0
	v_cvt_f32_ubyte0_e32 v4, v1
	v_mov_b32_e32 v5, 0
	global_store_b64 v[2:3], v[4:5], off
.LBB23_3230:
	s_mov_b32 s0, 0
.LBB23_3231:
	s_delay_alu instid0(SALU_CYCLE_1)
	s_and_not1_b32 vcc_lo, exec_lo, s0
	s_cbranch_vccnz .LBB23_3233
; %bb.3232:
	s_wait_loadcnt 0x0
	v_and_b32_e32 v0, 0xff, v1
	s_delay_alu instid0(VALU_DEP_1) | instskip(NEXT) | instid1(VALU_DEP_1)
	v_cvt_f16_u16_e32 v0, v0
	v_and_b32_e32 v0, 0xffff, v0
	global_store_b32 v[2:3], v0, off
.LBB23_3233:
	s_mov_b32 s0, 0
.LBB23_3234:
	s_delay_alu instid0(SALU_CYCLE_1)
	s_and_not1_b32 vcc_lo, exec_lo, s0
	s_cbranch_vccnz .LBB23_3243
; %bb.3235:
	s_sext_i32_i16 s2, s1
	s_mov_b32 s0, -1
	s_cmp_lt_i32 s2, 6
	s_cbranch_scc1 .LBB23_3241
; %bb.3236:
	s_cmp_gt_i32 s2, 6
	s_cbranch_scc0 .LBB23_3238
; %bb.3237:
	s_wait_loadcnt 0x0
	v_and_b32_e32 v0, 0xff, v1
	s_mov_b32 s0, 0
	s_delay_alu instid0(VALU_DEP_1) | instskip(NEXT) | instid1(VALU_DEP_1)
	v_and_b32_e32 v0, 0xffff, v0
	v_cvt_f64_u32_e32 v[4:5], v0
	global_store_b64 v[2:3], v[4:5], off
.LBB23_3238:
	s_and_not1_b32 vcc_lo, exec_lo, s0
	s_cbranch_vccnz .LBB23_3240
; %bb.3239:
	s_wait_loadcnt 0x0
	v_cvt_f32_ubyte0_e32 v0, v1
	global_store_b32 v[2:3], v0, off
.LBB23_3240:
	s_mov_b32 s0, 0
.LBB23_3241:
	s_delay_alu instid0(SALU_CYCLE_1)
	s_and_not1_b32 vcc_lo, exec_lo, s0
	s_cbranch_vccnz .LBB23_3243
; %bb.3242:
	s_wait_loadcnt 0x0
	v_and_b32_e32 v0, 0xff, v1
	s_delay_alu instid0(VALU_DEP_1)
	v_cvt_f16_u16_e32 v0, v0
	global_store_b16 v[2:3], v0, off
.LBB23_3243:
	s_mov_b32 s0, 0
.LBB23_3244:
	s_delay_alu instid0(SALU_CYCLE_1)
	s_and_not1_b32 vcc_lo, exec_lo, s0
	s_cbranch_vccnz .LBB23_3260
; %bb.3245:
	s_sext_i32_i16 s2, s1
	s_mov_b32 s0, -1
	s_cmp_lt_i32 s2, 2
	s_cbranch_scc1 .LBB23_3255
; %bb.3246:
	s_cmp_lt_i32 s2, 3
	s_cbranch_scc1 .LBB23_3252
; %bb.3247:
	s_cmp_gt_i32 s2, 3
	s_cbranch_scc0 .LBB23_3249
; %bb.3248:
	s_wait_loadcnt 0x0
	v_and_b32_e32 v4, 0xff, v1
	v_mov_b32_e32 v5, 0
	s_mov_b32 s0, 0
	global_store_b64 v[2:3], v[4:5], off
.LBB23_3249:
	s_and_not1_b32 vcc_lo, exec_lo, s0
	s_cbranch_vccnz .LBB23_3251
; %bb.3250:
	s_wait_loadcnt 0x0
	v_and_b32_e32 v0, 0xff, v1
	global_store_b32 v[2:3], v0, off
.LBB23_3251:
	s_mov_b32 s0, 0
.LBB23_3252:
	s_delay_alu instid0(SALU_CYCLE_1)
	s_and_not1_b32 vcc_lo, exec_lo, s0
	s_cbranch_vccnz .LBB23_3254
; %bb.3253:
	s_wait_loadcnt 0x0
	v_and_b32_e32 v0, 0xff, v1
	global_store_b16 v[2:3], v0, off
.LBB23_3254:
	s_mov_b32 s0, 0
.LBB23_3255:
	s_delay_alu instid0(SALU_CYCLE_1)
	s_and_not1_b32 vcc_lo, exec_lo, s0
	s_cbranch_vccnz .LBB23_3260
; %bb.3256:
	s_sext_i32_i16 s0, s1
	s_delay_alu instid0(SALU_CYCLE_1)
	s_cmp_gt_i32 s0, 0
	s_mov_b32 s0, -1
	s_cbranch_scc0 .LBB23_3258
; %bb.3257:
	s_mov_b32 s0, 0
	s_wait_loadcnt 0x0
	global_store_b8 v[2:3], v1, off
.LBB23_3258:
	s_and_not1_b32 vcc_lo, exec_lo, s0
	s_cbranch_vccnz .LBB23_3260
; %bb.3259:
	s_wait_loadcnt 0x0
	global_store_b8 v[2:3], v1, off
	s_endpgm
.LBB23_3260:
	s_endpgm
.LBB23_3261:
	s_mov_b32 s3, 0
	s_mov_b32 s0, -1
	s_branch .LBB23_3217
.LBB23_3262:
	s_or_b32 s8, s8, exec_lo
	s_trap 2
	s_cbranch_execz .LBB23_2731
	s_branch .LBB23_2732
.LBB23_3263:
	s_and_not1_saveexec_b32 s12, s12
	s_cbranch_execz .LBB23_2811
.LBB23_3264:
	v_add_f32_e32 v3, 0x46000000, v5
	s_and_not1_b32 s11, s11, exec_lo
	s_delay_alu instid0(VALU_DEP_1) | instskip(NEXT) | instid1(VALU_DEP_1)
	v_and_b32_e32 v3, 0xff, v3
	v_cmp_ne_u32_e32 vcc_lo, 0, v3
	s_and_b32 s13, vcc_lo, exec_lo
	s_delay_alu instid0(SALU_CYCLE_1)
	s_or_b32 s11, s11, s13
	s_or_b32 exec_lo, exec_lo, s12
	v_mov_b32_e32 v8, 0
	s_and_saveexec_b32 s12, s11
	s_cbranch_execnz .LBB23_2812
	s_branch .LBB23_2813
.LBB23_3265:
	s_or_b32 s8, s8, exec_lo
	s_trap 2
	s_cbranch_execz .LBB23_2859
	s_branch .LBB23_2860
.LBB23_3266:
	s_and_not1_saveexec_b32 s11, s11
	s_cbranch_execz .LBB23_2824
.LBB23_3267:
	v_add_f32_e32 v3, 0x42800000, v5
	s_and_not1_b32 s10, s10, exec_lo
	s_delay_alu instid0(VALU_DEP_1) | instskip(NEXT) | instid1(VALU_DEP_1)
	v_and_b32_e32 v3, 0xff, v3
	v_cmp_ne_u32_e32 vcc_lo, 0, v3
	s_and_b32 s12, vcc_lo, exec_lo
	s_delay_alu instid0(SALU_CYCLE_1)
	s_or_b32 s10, s10, s12
	s_or_b32 exec_lo, exec_lo, s11
	v_mov_b32_e32 v8, 0
	s_and_saveexec_b32 s11, s10
	s_cbranch_execnz .LBB23_2825
	s_branch .LBB23_2826
.LBB23_3268:
	s_and_not1_saveexec_b32 s12, s12
	s_cbranch_execz .LBB23_2930
.LBB23_3269:
	v_add_f32_e32 v3, 0x46000000, v6
	s_and_not1_b32 s11, s11, exec_lo
	s_delay_alu instid0(VALU_DEP_1) | instskip(NEXT) | instid1(VALU_DEP_1)
	v_and_b32_e32 v3, 0xff, v3
	v_cmp_ne_u32_e32 vcc_lo, 0, v3
	s_and_b32 s13, vcc_lo, exec_lo
	s_delay_alu instid0(SALU_CYCLE_1)
	s_or_b32 s11, s11, s13
	s_or_b32 exec_lo, exec_lo, s12
	v_mov_b32_e32 v7, 0
	s_and_saveexec_b32 s12, s11
	s_cbranch_execnz .LBB23_2931
	s_branch .LBB23_2932
.LBB23_3270:
	s_or_b32 s8, s8, exec_lo
	s_trap 2
	s_cbranch_execz .LBB23_2978
	s_branch .LBB23_2979
.LBB23_3271:
	s_and_not1_saveexec_b32 s11, s11
	s_cbranch_execz .LBB23_2943
.LBB23_3272:
	v_add_f32_e32 v3, 0x42800000, v6
	s_and_not1_b32 s10, s10, exec_lo
	s_delay_alu instid0(VALU_DEP_1) | instskip(NEXT) | instid1(VALU_DEP_1)
	v_and_b32_e32 v3, 0xff, v3
	v_cmp_ne_u32_e32 vcc_lo, 0, v3
	s_and_b32 s12, vcc_lo, exec_lo
	s_delay_alu instid0(SALU_CYCLE_1)
	s_or_b32 s10, s10, s12
	s_or_b32 exec_lo, exec_lo, s11
	v_mov_b32_e32 v7, 0
	s_and_saveexec_b32 s11, s10
	s_cbranch_execnz .LBB23_2944
	s_branch .LBB23_2945
.LBB23_3273:
	s_and_not1_saveexec_b32 s12, s12
	s_cbranch_execz .LBB23_3049
.LBB23_3274:
	v_add_f32_e32 v4, 0x46000000, v5
	s_and_not1_b32 s11, s11, exec_lo
	s_delay_alu instid0(VALU_DEP_1) | instskip(NEXT) | instid1(VALU_DEP_1)
	v_and_b32_e32 v4, 0xff, v4
	v_cmp_ne_u32_e32 vcc_lo, 0, v4
	s_and_b32 s13, vcc_lo, exec_lo
	s_delay_alu instid0(SALU_CYCLE_1)
	s_or_b32 s11, s11, s13
	s_or_b32 exec_lo, exec_lo, s12
	v_mov_b32_e32 v6, 0
	s_and_saveexec_b32 s12, s11
	s_cbranch_execnz .LBB23_3050
	s_branch .LBB23_3051
.LBB23_3275:
	s_or_b32 s8, s8, exec_lo
	s_trap 2
	s_cbranch_execz .LBB23_3097
	s_branch .LBB23_3098
.LBB23_3276:
	s_and_not1_saveexec_b32 s11, s11
	s_cbranch_execz .LBB23_3062
.LBB23_3277:
	v_add_f32_e32 v4, 0x42800000, v5
	s_and_not1_b32 s10, s10, exec_lo
	s_delay_alu instid0(VALU_DEP_1) | instskip(NEXT) | instid1(VALU_DEP_1)
	v_and_b32_e32 v4, 0xff, v4
	v_cmp_ne_u32_e32 vcc_lo, 0, v4
	s_and_b32 s12, vcc_lo, exec_lo
	s_delay_alu instid0(SALU_CYCLE_1)
	s_or_b32 s10, s10, s12
	s_or_b32 exec_lo, exec_lo, s11
	v_mov_b32_e32 v6, 0
	s_and_saveexec_b32 s11, s10
	s_cbranch_execnz .LBB23_3063
	s_branch .LBB23_3064
.LBB23_3278:
	s_and_not1_saveexec_b32 s9, s9
	s_cbranch_execz .LBB23_3169
.LBB23_3279:
	v_add_f32_e32 v0, 0x46000000, v4
	s_and_not1_b32 s5, s5, exec_lo
	s_delay_alu instid0(VALU_DEP_1) | instskip(NEXT) | instid1(VALU_DEP_1)
	v_and_b32_e32 v0, 0xff, v0
	v_cmp_ne_u32_e32 vcc_lo, 0, v0
	s_and_b32 s10, vcc_lo, exec_lo
	s_delay_alu instid0(SALU_CYCLE_1)
	s_or_b32 s5, s5, s10
	s_or_b32 exec_lo, exec_lo, s9
	v_mov_b32_e32 v5, 0
	s_and_saveexec_b32 s9, s5
	s_cbranch_execnz .LBB23_3170
	s_branch .LBB23_3171
.LBB23_3280:
	s_mov_b32 s3, 0
	s_or_b32 s8, s8, exec_lo
	s_trap 2
	s_branch .LBB23_3215
.LBB23_3281:
	s_and_not1_saveexec_b32 s5, s5
	s_cbranch_execz .LBB23_3181
.LBB23_3282:
	v_add_f32_e32 v0, 0x42800000, v4
	s_and_not1_b32 s4, s4, exec_lo
	s_delay_alu instid0(VALU_DEP_1) | instskip(NEXT) | instid1(VALU_DEP_1)
	v_and_b32_e32 v0, 0xff, v0
	v_cmp_ne_u32_e32 vcc_lo, 0, v0
	s_and_b32 s9, vcc_lo, exec_lo
	s_delay_alu instid0(SALU_CYCLE_1)
	s_or_b32 s4, s4, s9
	s_or_b32 exec_lo, exec_lo, s5
	v_mov_b32_e32 v5, 0
	s_and_saveexec_b32 s5, s4
	s_cbranch_execnz .LBB23_3182
	s_branch .LBB23_3183
	.section	.rodata,"a",@progbits
	.p2align	6, 0x0
	.amdhsa_kernel _ZN2at6native32elementwise_kernel_manual_unrollILi128ELi4EZNS0_15gpu_kernel_implIZZZNS0_12_GLOBAL__N_116addr_kernel_cudaERNS_14TensorIteratorERKN3c106ScalarES9_ENKUlvE_clEvENKUlvE_clEvEUlhhhE_EEvRNS_18TensorIteratorBaseERKT_EUlibE0_EEviT1_
		.amdhsa_group_segment_fixed_size 0
		.amdhsa_private_segment_fixed_size 0
		.amdhsa_kernarg_size 504
		.amdhsa_user_sgpr_count 2
		.amdhsa_user_sgpr_dispatch_ptr 0
		.amdhsa_user_sgpr_queue_ptr 0
		.amdhsa_user_sgpr_kernarg_segment_ptr 1
		.amdhsa_user_sgpr_dispatch_id 0
		.amdhsa_user_sgpr_kernarg_preload_length 0
		.amdhsa_user_sgpr_kernarg_preload_offset 0
		.amdhsa_user_sgpr_private_segment_size 0
		.amdhsa_wavefront_size32 1
		.amdhsa_uses_dynamic_stack 0
		.amdhsa_enable_private_segment 0
		.amdhsa_system_sgpr_workgroup_id_x 1
		.amdhsa_system_sgpr_workgroup_id_y 0
		.amdhsa_system_sgpr_workgroup_id_z 0
		.amdhsa_system_sgpr_workgroup_info 0
		.amdhsa_system_vgpr_workitem_id 0
		.amdhsa_next_free_vgpr 28
		.amdhsa_next_free_sgpr 63
		.amdhsa_named_barrier_count 0
		.amdhsa_reserve_vcc 1
		.amdhsa_float_round_mode_32 0
		.amdhsa_float_round_mode_16_64 0
		.amdhsa_float_denorm_mode_32 3
		.amdhsa_float_denorm_mode_16_64 3
		.amdhsa_fp16_overflow 0
		.amdhsa_memory_ordered 1
		.amdhsa_forward_progress 1
		.amdhsa_inst_pref_size 255
		.amdhsa_round_robin_scheduling 0
		.amdhsa_exception_fp_ieee_invalid_op 0
		.amdhsa_exception_fp_denorm_src 0
		.amdhsa_exception_fp_ieee_div_zero 0
		.amdhsa_exception_fp_ieee_overflow 0
		.amdhsa_exception_fp_ieee_underflow 0
		.amdhsa_exception_fp_ieee_inexact 0
		.amdhsa_exception_int_div_zero 0
	.end_amdhsa_kernel
	.section	.text._ZN2at6native32elementwise_kernel_manual_unrollILi128ELi4EZNS0_15gpu_kernel_implIZZZNS0_12_GLOBAL__N_116addr_kernel_cudaERNS_14TensorIteratorERKN3c106ScalarES9_ENKUlvE_clEvENKUlvE_clEvEUlhhhE_EEvRNS_18TensorIteratorBaseERKT_EUlibE0_EEviT1_,"axG",@progbits,_ZN2at6native32elementwise_kernel_manual_unrollILi128ELi4EZNS0_15gpu_kernel_implIZZZNS0_12_GLOBAL__N_116addr_kernel_cudaERNS_14TensorIteratorERKN3c106ScalarES9_ENKUlvE_clEvENKUlvE_clEvEUlhhhE_EEvRNS_18TensorIteratorBaseERKT_EUlibE0_EEviT1_,comdat
.Lfunc_end23:
	.size	_ZN2at6native32elementwise_kernel_manual_unrollILi128ELi4EZNS0_15gpu_kernel_implIZZZNS0_12_GLOBAL__N_116addr_kernel_cudaERNS_14TensorIteratorERKN3c106ScalarES9_ENKUlvE_clEvENKUlvE_clEvEUlhhhE_EEvRNS_18TensorIteratorBaseERKT_EUlibE0_EEviT1_, .Lfunc_end23-_ZN2at6native32elementwise_kernel_manual_unrollILi128ELi4EZNS0_15gpu_kernel_implIZZZNS0_12_GLOBAL__N_116addr_kernel_cudaERNS_14TensorIteratorERKN3c106ScalarES9_ENKUlvE_clEvENKUlvE_clEvEUlhhhE_EEvRNS_18TensorIteratorBaseERKT_EUlibE0_EEviT1_
                                        ; -- End function
	.set _ZN2at6native32elementwise_kernel_manual_unrollILi128ELi4EZNS0_15gpu_kernel_implIZZZNS0_12_GLOBAL__N_116addr_kernel_cudaERNS_14TensorIteratorERKN3c106ScalarES9_ENKUlvE_clEvENKUlvE_clEvEUlhhhE_EEvRNS_18TensorIteratorBaseERKT_EUlibE0_EEviT1_.num_vgpr, 28
	.set _ZN2at6native32elementwise_kernel_manual_unrollILi128ELi4EZNS0_15gpu_kernel_implIZZZNS0_12_GLOBAL__N_116addr_kernel_cudaERNS_14TensorIteratorERKN3c106ScalarES9_ENKUlvE_clEvENKUlvE_clEvEUlhhhE_EEvRNS_18TensorIteratorBaseERKT_EUlibE0_EEviT1_.num_agpr, 0
	.set _ZN2at6native32elementwise_kernel_manual_unrollILi128ELi4EZNS0_15gpu_kernel_implIZZZNS0_12_GLOBAL__N_116addr_kernel_cudaERNS_14TensorIteratorERKN3c106ScalarES9_ENKUlvE_clEvENKUlvE_clEvEUlhhhE_EEvRNS_18TensorIteratorBaseERKT_EUlibE0_EEviT1_.numbered_sgpr, 63
	.set _ZN2at6native32elementwise_kernel_manual_unrollILi128ELi4EZNS0_15gpu_kernel_implIZZZNS0_12_GLOBAL__N_116addr_kernel_cudaERNS_14TensorIteratorERKN3c106ScalarES9_ENKUlvE_clEvENKUlvE_clEvEUlhhhE_EEvRNS_18TensorIteratorBaseERKT_EUlibE0_EEviT1_.num_named_barrier, 0
	.set _ZN2at6native32elementwise_kernel_manual_unrollILi128ELi4EZNS0_15gpu_kernel_implIZZZNS0_12_GLOBAL__N_116addr_kernel_cudaERNS_14TensorIteratorERKN3c106ScalarES9_ENKUlvE_clEvENKUlvE_clEvEUlhhhE_EEvRNS_18TensorIteratorBaseERKT_EUlibE0_EEviT1_.private_seg_size, 0
	.set _ZN2at6native32elementwise_kernel_manual_unrollILi128ELi4EZNS0_15gpu_kernel_implIZZZNS0_12_GLOBAL__N_116addr_kernel_cudaERNS_14TensorIteratorERKN3c106ScalarES9_ENKUlvE_clEvENKUlvE_clEvEUlhhhE_EEvRNS_18TensorIteratorBaseERKT_EUlibE0_EEviT1_.uses_vcc, 1
	.set _ZN2at6native32elementwise_kernel_manual_unrollILi128ELi4EZNS0_15gpu_kernel_implIZZZNS0_12_GLOBAL__N_116addr_kernel_cudaERNS_14TensorIteratorERKN3c106ScalarES9_ENKUlvE_clEvENKUlvE_clEvEUlhhhE_EEvRNS_18TensorIteratorBaseERKT_EUlibE0_EEviT1_.uses_flat_scratch, 0
	.set _ZN2at6native32elementwise_kernel_manual_unrollILi128ELi4EZNS0_15gpu_kernel_implIZZZNS0_12_GLOBAL__N_116addr_kernel_cudaERNS_14TensorIteratorERKN3c106ScalarES9_ENKUlvE_clEvENKUlvE_clEvEUlhhhE_EEvRNS_18TensorIteratorBaseERKT_EUlibE0_EEviT1_.has_dyn_sized_stack, 0
	.set _ZN2at6native32elementwise_kernel_manual_unrollILi128ELi4EZNS0_15gpu_kernel_implIZZZNS0_12_GLOBAL__N_116addr_kernel_cudaERNS_14TensorIteratorERKN3c106ScalarES9_ENKUlvE_clEvENKUlvE_clEvEUlhhhE_EEvRNS_18TensorIteratorBaseERKT_EUlibE0_EEviT1_.has_recursion, 0
	.set _ZN2at6native32elementwise_kernel_manual_unrollILi128ELi4EZNS0_15gpu_kernel_implIZZZNS0_12_GLOBAL__N_116addr_kernel_cudaERNS_14TensorIteratorERKN3c106ScalarES9_ENKUlvE_clEvENKUlvE_clEvEUlhhhE_EEvRNS_18TensorIteratorBaseERKT_EUlibE0_EEviT1_.has_indirect_call, 0
	.section	.AMDGPU.csdata,"",@progbits
; Kernel info:
; codeLenInByte = 67828
; TotalNumSgprs: 65
; NumVgprs: 28
; ScratchSize: 0
; MemoryBound: 1
; FloatMode: 240
; IeeeMode: 1
; LDSByteSize: 0 bytes/workgroup (compile time only)
; SGPRBlocks: 0
; VGPRBlocks: 1
; NumSGPRsForWavesPerEU: 65
; NumVGPRsForWavesPerEU: 28
; NamedBarCnt: 0
; Occupancy: 16
; WaveLimiterHint : 1
; COMPUTE_PGM_RSRC2:SCRATCH_EN: 0
; COMPUTE_PGM_RSRC2:USER_SGPR: 2
; COMPUTE_PGM_RSRC2:TRAP_HANDLER: 0
; COMPUTE_PGM_RSRC2:TGID_X_EN: 1
; COMPUTE_PGM_RSRC2:TGID_Y_EN: 0
; COMPUTE_PGM_RSRC2:TGID_Z_EN: 0
; COMPUTE_PGM_RSRC2:TIDIG_COMP_CNT: 0
	.section	.text._ZN2at6native29vectorized_elementwise_kernelILi16EZZZNS0_12_GLOBAL__N_116addr_kernel_cudaERNS_14TensorIteratorERKN3c106ScalarES8_ENKUlvE_clEvENKUlvE_clEvEUlhhhE0_St5arrayIPcLm4EEEEviT0_T1_,"axG",@progbits,_ZN2at6native29vectorized_elementwise_kernelILi16EZZZNS0_12_GLOBAL__N_116addr_kernel_cudaERNS_14TensorIteratorERKN3c106ScalarES8_ENKUlvE_clEvENKUlvE_clEvEUlhhhE0_St5arrayIPcLm4EEEEviT0_T1_,comdat
	.globl	_ZN2at6native29vectorized_elementwise_kernelILi16EZZZNS0_12_GLOBAL__N_116addr_kernel_cudaERNS_14TensorIteratorERKN3c106ScalarES8_ENKUlvE_clEvENKUlvE_clEvEUlhhhE0_St5arrayIPcLm4EEEEviT0_T1_ ; -- Begin function _ZN2at6native29vectorized_elementwise_kernelILi16EZZZNS0_12_GLOBAL__N_116addr_kernel_cudaERNS_14TensorIteratorERKN3c106ScalarES8_ENKUlvE_clEvENKUlvE_clEvEUlhhhE0_St5arrayIPcLm4EEEEviT0_T1_
	.p2align	8
	.type	_ZN2at6native29vectorized_elementwise_kernelILi16EZZZNS0_12_GLOBAL__N_116addr_kernel_cudaERNS_14TensorIteratorERKN3c106ScalarES8_ENKUlvE_clEvENKUlvE_clEvEUlhhhE0_St5arrayIPcLm4EEEEviT0_T1_,@function
_ZN2at6native29vectorized_elementwise_kernelILi16EZZZNS0_12_GLOBAL__N_116addr_kernel_cudaERNS_14TensorIteratorERKN3c106ScalarES8_ENKUlvE_clEvENKUlvE_clEvEUlhhhE0_St5arrayIPcLm4EEEEviT0_T1_: ; @_ZN2at6native29vectorized_elementwise_kernelILi16EZZZNS0_12_GLOBAL__N_116addr_kernel_cudaERNS_14TensorIteratorERKN3c106ScalarES8_ENKUlvE_clEvENKUlvE_clEvEUlhhhE0_St5arrayIPcLm4EEEEviT0_T1_
; %bb.0:
	v_mov_b32_e32 v1, 0
	s_clause 0x1
	s_load_b32 s3, s[0:1], 0x0
	s_load_b256 s[4:11], s[0:1], 0x8
	s_getreg_b32 s2, hwreg(HW_REG_IB_STS2, 6, 4)
	global_load_u16 v1, v1, s[0:1] offset:4
	s_wait_xcnt 0x0
	s_bfe_u32 s0, ttmp6, 0x4000c
	s_and_b32 s1, ttmp6, 15
	s_add_co_i32 s0, s0, 1
	s_delay_alu instid0(SALU_CYCLE_1) | instskip(NEXT) | instid1(SALU_CYCLE_1)
	s_mul_i32 s0, ttmp9, s0
	s_add_co_i32 s1, s1, s0
	s_cmp_eq_u32 s2, 0
	s_cselect_b32 s0, ttmp9, s1
	s_delay_alu instid0(SALU_CYCLE_1) | instskip(SKIP_3) | instid1(SALU_CYCLE_1)
	s_lshl_b32 s2, s0, 12
	s_mov_b32 s0, -1
	s_wait_kmcnt 0x0
	s_sub_co_i32 s1, s3, s2
	s_cmp_gt_i32 s1, 0xfff
	s_wait_loadcnt 0x0
	v_readfirstlane_b32 s12, v1
	s_cbranch_scc0 .LBB24_2
; %bb.1:
	s_ashr_i32 s3, s2, 31
	s_and_b32 s0, 0xffff, s12
	s_add_nc_u64 s[14:15], s[6:7], s[2:3]
	s_lshr_b32 s0, s0, 8
	global_load_b128 v[2:5], v0, s[14:15] scale_offset
	s_wait_xcnt 0x0
	s_add_nc_u64 s[14:15], s[8:9], s[2:3]
	global_load_b128 v[6:9], v0, s[14:15] scale_offset
	s_wait_xcnt 0x0
	s_add_nc_u64 s[14:15], s[10:11], s[2:3]
	;; [unrolled: 3-line block ×3, first 2 shown]
	s_wait_loadcnt 0x2
	v_lshrrev_b16 v1, 8, v3
	v_dual_lshrrev_b32 v14, 16, v3 :: v_dual_lshrrev_b32 v15, 24, v3
	v_lshrrev_b16 v16, 8, v2
	v_dual_lshrrev_b32 v17, 16, v2 :: v_dual_lshrrev_b32 v18, 24, v2
	;; [unrolled: 2-line block ×4, first 2 shown]
	s_wait_loadcnt 0x1
	v_lshrrev_b16 v25, 8, v7
	v_dual_lshrrev_b32 v26, 16, v7 :: v_dual_lshrrev_b32 v27, 24, v7
	v_lshrrev_b16 v28, 8, v6
	v_dual_lshrrev_b32 v29, 16, v6 :: v_dual_lshrrev_b32 v30, 24, v6
	v_lshrrev_b16 v31, 8, v9
	v_dual_lshrrev_b32 v32, 16, v9 :: v_dual_lshrrev_b32 v33, 24, v9
	v_lshrrev_b16 v34, 8, v8
	v_dual_lshrrev_b32 v35, 16, v8 :: v_dual_lshrrev_b32 v36, 24, v8
	v_mul_lo_u16 v2, v2, s12
	v_mul_lo_u16 v3, v3, s12
	;; [unrolled: 1-line block ×4, first 2 shown]
	s_wait_loadcnt 0x0
	v_dual_lshrrev_b32 v37, 24, v10 :: v_dual_lshrrev_b32 v38, 16, v10
	v_lshrrev_b16 v39, 8, v10
	v_dual_lshrrev_b32 v40, 24, v11 :: v_dual_lshrrev_b32 v41, 16, v11
	v_lshrrev_b16 v42, 8, v11
	;; [unrolled: 2-line block ×4, first 2 shown]
	v_mul_lo_u16 v4, v4, s12
	v_mul_lo_u16 v5, v5, s12
	;; [unrolled: 1-line block ×14, first 2 shown]
	v_mad_u16 v3, v7, v11, v3
	v_mad_u16 v2, v6, v10, v2
	v_mul_lo_u16 v6, v24, s12
	v_mul_lo_u16 v7, v23, s12
	;; [unrolled: 1-line block ×14, first 2 shown]
	v_mad_u16 v5, v9, v13, v5
	v_mad_u16 v4, v8, v12, v4
	;; [unrolled: 1-line block ×14, first 2 shown]
	v_lshlrev_b16 v1, 8, v1
	v_lshlrev_b16 v9, 8, v9
	;; [unrolled: 1-line block ×8, first 2 shown]
	v_bitop3_b16 v1, v3, v1, 0xff bitop3:0xec
	v_bitop3_b16 v3, v8, v9, 0xff bitop3:0xec
	;; [unrolled: 1-line block ×8, first 2 shown]
	v_and_b32_e32 v1, 0xffff, v1
	v_dual_lshlrev_b32 v3, 16, v3 :: v_dual_lshlrev_b32 v7, 16, v8
	v_and_b32_e32 v2, 0xffff, v2
	v_and_b32_e32 v5, 0xffff, v5
	v_dual_lshlrev_b32 v8, 16, v9 :: v_dual_lshlrev_b32 v6, 16, v6
	v_and_b32_e32 v4, 0xffff, v4
	v_or_b32_e32 v3, v1, v3
	v_or_b32_e32 v2, v2, v7
	s_delay_alu instid0(VALU_DEP_4)
	v_or_b32_e32 v5, v5, v8
	s_mov_b32 s0, 0
	v_or_b32_e32 v4, v4, v6
	global_store_b128 v0, v[2:5], s[14:15] scale_offset
.LBB24_2:
	s_and_not1_b32 vcc_lo, exec_lo, s0
	s_cbranch_vccnz .LBB24_83
; %bb.3:
	v_cmp_gt_i32_e32 vcc_lo, s1, v0
	v_dual_mov_b32 v56, 0 :: v_dual_bitop2_b32 v1, s2, v0 bitop3:0x54
	v_or_b32_e32 v10, 0x100, v0
	v_dual_mov_b32 v55, 0 :: v_dual_mov_b32 v54, 0
	v_dual_mov_b32 v53, 0 :: v_dual_mov_b32 v52, 0
	;; [unrolled: 1-line block ×18, first 2 shown]
	s_wait_xcnt 0x0
	v_dual_mov_b32 v20, 0 :: v_dual_mov_b32 v4, 0
	v_dual_mov_b32 v27, 0 :: v_dual_mov_b32 v25, 0
	;; [unrolled: 1-line block ×5, first 2 shown]
	v_mov_b32_e32 v37, 0
	s_and_saveexec_b32 s3, vcc_lo
	s_cbranch_execz .LBB24_35
; %bb.4:
	s_clause 0x2
	global_load_u8 v34, v1, s[6:7]
	global_load_u8 v36, v1, s[8:9]
	;; [unrolled: 1-line block ×3, first 2 shown]
	v_or_b32_e32 v2, 0x100, v0
	v_dual_mov_b32 v29, 0 :: v_dual_mov_b32 v32, 0
	v_dual_mov_b32 v31, 0 :: v_dual_mov_b32 v3, 0
	s_delay_alu instid0(VALU_DEP_3)
	v_cmp_gt_u32_e64 s0, s1, v2
	v_dual_mov_b32 v25, 0 :: v_dual_mov_b32 v27, 0
	v_dual_mov_b32 v4, 0 :: v_dual_mov_b32 v20, 0
	;; [unrolled: 1-line block ×20, first 2 shown]
	v_mov_b32_e32 v56, 0
	s_wait_xcnt 0x0
	s_and_saveexec_b32 s13, s0
	s_cbranch_execz .LBB24_34
; %bb.5:
	v_dual_mov_b32 v3, 0 :: v_dual_add_nc_u32 v2, s2, v0
	v_or_b32_e32 v4, 0x200, v0
	v_dual_mov_b32 v25, 0 :: v_dual_mov_b32 v27, 0
	s_clause 0x2
	global_load_u8 v31, v2, s[6:7] offset:256
	global_load_u8 v32, v2, s[8:9] offset:256
	;; [unrolled: 1-line block ×3, first 2 shown]
	v_mov_b32_e32 v20, 0
	v_cmp_gt_u32_e64 s0, s1, v4
	v_dual_mov_b32 v4, 0 :: v_dual_mov_b32 v21, 0
	v_dual_mov_b32 v13, 0 :: v_dual_mov_b32 v16, 0
	;; [unrolled: 1-line block ×19, first 2 shown]
	s_wait_xcnt 0x0
	s_and_saveexec_b32 s14, s0
	s_cbranch_execz .LBB24_33
; %bb.6:
	v_add_nc_u64_e32 v[4:5], s[6:7], v[2:3]
	v_add_nc_u64_e32 v[6:7], s[8:9], v[2:3]
	;; [unrolled: 1-line block ×3, first 2 shown]
	v_or_b32_e32 v11, 0x300, v0
	v_dual_mov_b32 v20, 0 :: v_dual_mov_b32 v21, 0
	v_dual_mov_b32 v13, 0 :: v_dual_mov_b32 v16, 0
	global_load_u8 v27, v[4:5], off offset:512
	global_load_u8 v25, v[6:7], off offset:512
	global_load_u8 v2, v[8:9], off offset:512
	v_cmp_gt_u32_e64 s0, s1, v11
	v_dual_mov_b32 v18, 0 :: v_dual_mov_b32 v11, 0
	v_dual_mov_b32 v14, 0 :: v_dual_mov_b32 v19, 0
	;; [unrolled: 1-line block ×17, first 2 shown]
	s_wait_xcnt 0x0
	s_and_saveexec_b32 s6, s0
	s_cbranch_execz .LBB24_32
; %bb.7:
	global_load_u8 v21, v[4:5], off offset:768
	global_load_u8 v20, v[6:7], off offset:768
	;; [unrolled: 1-line block ×3, first 2 shown]
	v_or_b32_e32 v11, 0x400, v0
	v_dual_mov_b32 v13, 0 :: v_dual_mov_b32 v16, 0
	v_dual_mov_b32 v18, 0 :: v_dual_mov_b32 v14, 0
	v_mov_b32_e32 v19, 0
	s_delay_alu instid0(VALU_DEP_4)
	v_cmp_gt_u32_e64 s0, s1, v11
	v_dual_mov_b32 v11, 0 :: v_dual_mov_b32 v12, 0
	v_dual_mov_b32 v17, 0 :: v_dual_mov_b32 v22, 0
	;; [unrolled: 1-line block ×15, first 2 shown]
	v_mov_b32_e32 v56, 0
	s_wait_xcnt 0x0
	s_and_saveexec_b32 s7, s0
	s_cbranch_execz .LBB24_31
; %bb.8:
	global_load_u8 v18, v[4:5], off offset:1024
	global_load_u8 v16, v[6:7], off offset:1024
	;; [unrolled: 1-line block ×3, first 2 shown]
	v_or_b32_e32 v11, 0x500, v0
	v_dual_mov_b32 v19, 0 :: v_dual_mov_b32 v12, 0
	v_dual_mov_b32 v17, 0 :: v_dual_mov_b32 v22, 0
	s_delay_alu instid0(VALU_DEP_3)
	v_cmp_gt_u32_e64 s0, s1, v11
	v_dual_mov_b32 v11, 0 :: v_dual_mov_b32 v14, 0
	v_dual_mov_b32 v15, 0 :: v_dual_mov_b32 v23, 0
	;; [unrolled: 1-line block ×14, first 2 shown]
	v_mov_b32_e32 v56, 0
	s_wait_xcnt 0x0
	s_and_saveexec_b32 s8, s0
	s_cbranch_execz .LBB24_30
; %bb.9:
	global_load_u8 v19, v[4:5], off offset:1280
	global_load_u8 v14, v[6:7], off offset:1280
	;; [unrolled: 1-line block ×3, first 2 shown]
	v_or_b32_e32 v12, 0x600, v0
	v_dual_mov_b32 v22, 0 :: v_dual_mov_b32 v15, 0
	v_dual_mov_b32 v23, 0 :: v_dual_mov_b32 v26, 0
	s_delay_alu instid0(VALU_DEP_3)
	v_cmp_gt_u32_e64 s0, s1, v12
	v_dual_mov_b32 v12, 0 :: v_dual_mov_b32 v17, 0
	v_dual_mov_b32 v24, 0 :: v_dual_mov_b32 v28, 0
	;; [unrolled: 1-line block ×13, first 2 shown]
	s_wait_xcnt 0x0
	s_and_saveexec_b32 s9, s0
	s_cbranch_execz .LBB24_29
; %bb.10:
	global_load_u8 v22, v[4:5], off offset:1536
	global_load_u8 v17, v[6:7], off offset:1536
	;; [unrolled: 1-line block ×3, first 2 shown]
	v_or_b32_e32 v15, 0x700, v0
	v_dual_mov_b32 v26, 0 :: v_dual_mov_b32 v24, 0
	v_dual_mov_b32 v28, 0 :: v_dual_mov_b32 v33, 0
	s_delay_alu instid0(VALU_DEP_3)
	v_cmp_gt_u32_e64 s0, s1, v15
	v_dual_mov_b32 v15, 0 :: v_dual_mov_b32 v23, 0
	v_dual_mov_b32 v30, 0 :: v_dual_mov_b32 v35, 0
	;; [unrolled: 1-line block ×11, first 2 shown]
	v_mov_b32_e32 v56, 0
	s_wait_xcnt 0x0
	s_and_saveexec_b32 s10, s0
	s_cbranch_execz .LBB24_28
; %bb.11:
	global_load_u8 v26, v[4:5], off offset:1792
	global_load_u8 v23, v[6:7], off offset:1792
	;; [unrolled: 1-line block ×3, first 2 shown]
	v_or_b32_e32 v24, 0x800, v0
	v_dual_mov_b32 v33, 0 :: v_dual_mov_b32 v30, 0
	v_dual_mov_b32 v35, 0 :: v_dual_mov_b32 v39, 0
	s_delay_alu instid0(VALU_DEP_3)
	v_cmp_gt_u32_e64 s0, s1, v24
	v_dual_mov_b32 v24, 0 :: v_dual_mov_b32 v28, 0
	v_dual_mov_b32 v38, 0 :: v_dual_mov_b32 v40, 0
	;; [unrolled: 1-line block ×10, first 2 shown]
	s_wait_xcnt 0x0
	s_and_saveexec_b32 s11, s0
	s_cbranch_execz .LBB24_27
; %bb.12:
	global_load_u8 v33, v[4:5], off offset:2048
	global_load_u8 v28, v[6:7], off offset:2048
	;; [unrolled: 1-line block ×3, first 2 shown]
	v_or_b32_e32 v30, 0x900, v0
	v_dual_mov_b32 v39, 0 :: v_dual_mov_b32 v38, 0
	v_dual_mov_b32 v40, 0 :: v_dual_mov_b32 v42, 0
	s_delay_alu instid0(VALU_DEP_3)
	v_cmp_gt_u32_e64 s0, s1, v30
	v_dual_mov_b32 v30, 0 :: v_dual_mov_b32 v35, 0
	v_dual_mov_b32 v41, 0 :: v_dual_mov_b32 v43, 0
	;; [unrolled: 1-line block ×8, first 2 shown]
	v_mov_b32_e32 v56, 0
	s_wait_xcnt 0x0
	s_and_saveexec_b32 s15, s0
	s_cbranch_execz .LBB24_26
; %bb.13:
	global_load_u8 v39, v[4:5], off offset:2304
	global_load_u8 v35, v[6:7], off offset:2304
	;; [unrolled: 1-line block ×3, first 2 shown]
	v_or_b32_e32 v38, 0xa00, v0
	v_dual_mov_b32 v42, 0 :: v_dual_mov_b32 v41, 0
	v_dual_mov_b32 v43, 0 :: v_dual_mov_b32 v45, 0
	s_delay_alu instid0(VALU_DEP_3)
	v_cmp_gt_u32_e64 s0, s1, v38
	v_dual_mov_b32 v38, 0 :: v_dual_mov_b32 v40, 0
	v_dual_mov_b32 v44, 0 :: v_dual_mov_b32 v46, 0
	;; [unrolled: 1-line block ×7, first 2 shown]
	s_wait_xcnt 0x0
	s_and_saveexec_b32 s16, s0
	s_cbranch_execz .LBB24_25
; %bb.14:
	global_load_u8 v42, v[4:5], off offset:2560
	global_load_u8 v40, v[6:7], off offset:2560
	;; [unrolled: 1-line block ×3, first 2 shown]
	v_or_b32_e32 v41, 0xb00, v0
	v_dual_mov_b32 v45, 0 :: v_dual_mov_b32 v44, 0
	v_dual_mov_b32 v46, 0 :: v_dual_mov_b32 v48, 0
	s_delay_alu instid0(VALU_DEP_3)
	v_cmp_gt_u32_e64 s0, s1, v41
	v_dual_mov_b32 v41, 0 :: v_dual_mov_b32 v43, 0
	v_dual_mov_b32 v47, 0 :: v_dual_mov_b32 v49, 0
	;; [unrolled: 1-line block ×5, first 2 shown]
	v_mov_b32_e32 v56, 0
	s_wait_xcnt 0x0
	s_and_saveexec_b32 s17, s0
	s_cbranch_execz .LBB24_24
; %bb.15:
	global_load_u8 v45, v[4:5], off offset:2816
	global_load_u8 v43, v[6:7], off offset:2816
	;; [unrolled: 1-line block ×3, first 2 shown]
	v_or_b32_e32 v44, 0xc00, v0
	v_dual_mov_b32 v48, 0 :: v_dual_mov_b32 v47, 0
	v_dual_mov_b32 v49, 0 :: v_dual_mov_b32 v50, 0
	s_delay_alu instid0(VALU_DEP_3)
	v_cmp_gt_u32_e64 s0, s1, v44
	v_dual_mov_b32 v44, 0 :: v_dual_mov_b32 v46, 0
	v_dual_mov_b32 v51, 0 :: v_dual_mov_b32 v52, 0
	;; [unrolled: 1-line block ×4, first 2 shown]
	s_wait_xcnt 0x0
	s_and_saveexec_b32 s18, s0
	s_cbranch_execz .LBB24_23
; %bb.16:
	global_load_u8 v48, v[4:5], off offset:3072
	global_load_u8 v46, v[6:7], off offset:3072
	;; [unrolled: 1-line block ×3, first 2 shown]
	v_or_b32_e32 v47, 0xd00, v0
	v_dual_mov_b32 v50, 0 :: v_dual_mov_b32 v51, 0
	v_dual_mov_b32 v52, 0 :: v_dual_mov_b32 v53, 0
	s_delay_alu instid0(VALU_DEP_3)
	v_cmp_gt_u32_e64 s0, s1, v47
	v_dual_mov_b32 v47, 0 :: v_dual_mov_b32 v49, 0
	v_dual_mov_b32 v54, 0 :: v_dual_mov_b32 v55, 0
	v_mov_b32_e32 v56, 0
	s_wait_xcnt 0x0
	s_and_saveexec_b32 s19, s0
	s_cbranch_execz .LBB24_22
; %bb.17:
	global_load_u8 v50, v[4:5], off offset:3328
	global_load_u8 v49, v[6:7], off offset:3328
	global_load_u8 v47, v[8:9], off offset:3328
	v_or_b32_e32 v51, 0xe00, v0
	v_dual_mov_b32 v53, 0 :: v_dual_mov_b32 v54, 0
	v_dual_mov_b32 v55, 0 :: v_dual_mov_b32 v56, 0
	s_delay_alu instid0(VALU_DEP_3)
	v_cmp_gt_u32_e64 s0, s1, v51
	v_dual_mov_b32 v51, 0 :: v_dual_mov_b32 v52, 0
	s_wait_xcnt 0x0
	s_and_saveexec_b32 s20, s0
	s_cbranch_execz .LBB24_21
; %bb.18:
	global_load_u8 v53, v[4:5], off offset:3584
	global_load_u8 v52, v[6:7], off offset:3584
	;; [unrolled: 1-line block ×3, first 2 shown]
	v_or_b32_e32 v54, 0xf00, v0
	v_dual_mov_b32 v56, 0 :: v_dual_mov_b32 v55, 0
	s_delay_alu instid0(VALU_DEP_2)
	v_cmp_gt_u32_e64 s0, s1, v54
	v_mov_b32_e32 v54, 0
	s_wait_xcnt 0x0
	s_and_saveexec_b32 s21, s0
	s_cbranch_execz .LBB24_20
; %bb.19:
	global_load_u8 v56, v[4:5], off offset:3840
	global_load_u8 v55, v[6:7], off offset:3840
	;; [unrolled: 1-line block ×3, first 2 shown]
.LBB24_20:
	s_wait_xcnt 0x0
	s_or_b32 exec_lo, exec_lo, s21
.LBB24_21:
	s_delay_alu instid0(SALU_CYCLE_1)
	s_or_b32 exec_lo, exec_lo, s20
.LBB24_22:
	s_delay_alu instid0(SALU_CYCLE_1)
	s_or_b32 exec_lo, exec_lo, s19
.LBB24_23:
	s_delay_alu instid0(SALU_CYCLE_1)
	s_or_b32 exec_lo, exec_lo, s18
.LBB24_24:
	s_delay_alu instid0(SALU_CYCLE_1)
	s_or_b32 exec_lo, exec_lo, s17
.LBB24_25:
	s_delay_alu instid0(SALU_CYCLE_1)
	s_or_b32 exec_lo, exec_lo, s16
.LBB24_26:
	s_delay_alu instid0(SALU_CYCLE_1)
	s_or_b32 exec_lo, exec_lo, s15
.LBB24_27:
	s_delay_alu instid0(SALU_CYCLE_1)
	s_or_b32 exec_lo, exec_lo, s11
.LBB24_28:
	s_delay_alu instid0(SALU_CYCLE_1)
	s_or_b32 exec_lo, exec_lo, s10
.LBB24_29:
	s_delay_alu instid0(SALU_CYCLE_1)
	s_or_b32 exec_lo, exec_lo, s9
.LBB24_30:
	s_delay_alu instid0(SALU_CYCLE_1)
	s_or_b32 exec_lo, exec_lo, s8
.LBB24_31:
	s_delay_alu instid0(SALU_CYCLE_1)
	s_or_b32 exec_lo, exec_lo, s7
.LBB24_32:
	s_delay_alu instid0(SALU_CYCLE_1)
	s_or_b32 exec_lo, exec_lo, s6
	s_wait_loadcnt 0x0
	v_dual_mov_b32 v4, v3 :: v_dual_mov_b32 v3, v2
.LBB24_33:
	s_or_b32 exec_lo, exec_lo, s14
.LBB24_34:
	s_delay_alu instid0(SALU_CYCLE_1) | instskip(NEXT) | instid1(SALU_CYCLE_1)
	s_or_b32 exec_lo, exec_lo, s13
	s_or_b32 exec_lo, exec_lo, s3
                                        ; implicit-def: $vgpr2
	s_and_saveexec_b32 s0, vcc_lo
	s_cbranch_execz .LBB24_37
	s_branch .LBB24_36
.LBB24_35:
	s_or_b32 exec_lo, exec_lo, s3
                                        ; implicit-def: $vgpr2
	s_and_saveexec_b32 s0, vcc_lo
	s_cbranch_execz .LBB24_37
.LBB24_36:
	s_and_b32 s3, 0xffff, s12
	s_wait_loadcnt 0x2
	v_mul_lo_u16 v2, v34, s12
	s_lshr_b32 s3, s3, 8
	s_wait_loadcnt 0x1
	v_mul_lo_u16 v5, v36, s3
	s_wait_loadcnt 0x0
	s_delay_alu instid0(VALU_DEP_1)
	v_mad_u16 v2, v5, v37, v2
.LBB24_37:
	s_or_b32 exec_lo, exec_lo, s0
	s_delay_alu instid0(SALU_CYCLE_1)
	s_mov_b32 s3, exec_lo
                                        ; implicit-def: $vgpr5
	v_cmpx_gt_i32_e64 s1, v10
	s_cbranch_execz .LBB24_39
; %bb.38:
	s_and_b32 s0, 0xffff, s12
	s_wait_loadcnt 0x2
	v_mul_lo_u16 v5, v31, s12
	s_lshr_b32 s0, s0, 8
	s_wait_loadcnt 0x1
	v_mul_lo_u16 v6, v32, s0
	s_wait_loadcnt 0x0
	s_delay_alu instid0(VALU_DEP_1)
	v_mad_u16 v5, v6, v29, v5
.LBB24_39:
	s_or_b32 exec_lo, exec_lo, s3
	v_or_b32_e32 v6, 0x200, v0
	s_delay_alu instid0(VALU_DEP_1)
	v_cmp_gt_i32_e64 s0, s1, v6
                                        ; implicit-def: $vgpr6
	s_and_saveexec_b32 s3, s0
; %bb.40:
	s_and_b32 s0, 0xffff, s12
	v_mul_lo_u16 v6, v27, s12
	s_lshr_b32 s0, s0, 8
	s_delay_alu instid0(SALU_CYCLE_1) | instskip(NEXT) | instid1(VALU_DEP_1)
	v_mul_lo_u16 v7, v25, s0
	v_mad_u16 v6, v7, v3, v6
; %bb.41:
	s_or_b32 exec_lo, exec_lo, s3
	v_or_b32_e32 v3, 0x300, v0
	s_delay_alu instid0(VALU_DEP_1)
	v_cmp_gt_i32_e64 s0, s1, v3
                                        ; implicit-def: $vgpr3
	s_and_saveexec_b32 s3, s0
; %bb.42:
	s_and_b32 s0, 0xffff, s12
	v_mul_lo_u16 v3, v21, s12
	s_lshr_b32 s0, s0, 8
	s_delay_alu instid0(SALU_CYCLE_1) | instskip(NEXT) | instid1(VALU_DEP_1)
	v_mul_lo_u16 v7, v20, s0
	v_mad_u16 v3, v7, v4, v3
; %bb.43:
	s_or_b32 exec_lo, exec_lo, s3
	v_or_b32_e32 v4, 0x400, v0
	s_delay_alu instid0(VALU_DEP_1)
	v_cmp_gt_i32_e64 s0, s1, v4
                                        ; implicit-def: $vgpr4
	s_and_saveexec_b32 s3, s0
; %bb.44:
	s_and_b32 s0, 0xffff, s12
	v_mul_lo_u16 v4, v18, s12
	s_lshr_b32 s0, s0, 8
	s_delay_alu instid0(SALU_CYCLE_1) | instskip(NEXT) | instid1(VALU_DEP_1)
	v_mul_lo_u16 v7, v16, s0
	v_mad_u16 v4, v7, v13, v4
; %bb.45:
	s_or_b32 exec_lo, exec_lo, s3
	v_or_b32_e32 v7, 0x500, v0
	s_delay_alu instid0(VALU_DEP_1)
	v_cmp_gt_i32_e64 s0, s1, v7
                                        ; implicit-def: $vgpr7
	s_and_saveexec_b32 s3, s0
; %bb.46:
	s_and_b32 s0, 0xffff, s12
	v_mul_lo_u16 v7, v19, s12
	s_lshr_b32 s0, s0, 8
	s_delay_alu instid0(SALU_CYCLE_1) | instskip(NEXT) | instid1(VALU_DEP_1)
	v_mul_lo_u16 v8, v14, s0
	v_mad_u16 v7, v8, v11, v7
; %bb.47:
	s_or_b32 exec_lo, exec_lo, s3
	v_or_b32_e32 v8, 0x600, v0
	s_delay_alu instid0(VALU_DEP_1)
	v_cmp_gt_i32_e64 s0, s1, v8
                                        ; implicit-def: $vgpr8
	s_and_saveexec_b32 s3, s0
; %bb.48:
	s_and_b32 s0, 0xffff, s12
	v_mul_lo_u16 v8, v22, s12
	s_lshr_b32 s0, s0, 8
	s_delay_alu instid0(SALU_CYCLE_1) | instskip(NEXT) | instid1(VALU_DEP_1)
	v_mul_lo_u16 v9, v17, s0
	v_mad_u16 v8, v9, v12, v8
; %bb.49:
	s_or_b32 exec_lo, exec_lo, s3
	v_or_b32_e32 v9, 0x700, v0
	s_delay_alu instid0(VALU_DEP_1)
	v_cmp_gt_i32_e64 s0, s1, v9
                                        ; implicit-def: $vgpr9
	s_and_saveexec_b32 s3, s0
; %bb.50:
	s_and_b32 s0, 0xffff, s12
	v_mul_lo_u16 v9, v26, s12
	s_lshr_b32 s0, s0, 8
	s_delay_alu instid0(SALU_CYCLE_1) | instskip(NEXT) | instid1(VALU_DEP_1)
	v_mul_lo_u16 v11, v23, s0
	v_mad_u16 v9, v11, v15, v9
; %bb.51:
	s_or_b32 exec_lo, exec_lo, s3
	v_or_b32_e32 v11, 0x800, v0
	s_delay_alu instid0(VALU_DEP_1)
	v_cmp_gt_i32_e64 s0, s1, v11
                                        ; implicit-def: $vgpr11
	s_and_saveexec_b32 s3, s0
; %bb.52:
	s_and_b32 s0, 0xffff, s12
	v_mul_lo_u16 v11, v33, s12
	s_lshr_b32 s0, s0, 8
	s_delay_alu instid0(SALU_CYCLE_1) | instskip(NEXT) | instid1(VALU_DEP_1)
	v_mul_lo_u16 v12, v28, s0
	v_mad_u16 v11, v12, v24, v11
; %bb.53:
	s_or_b32 exec_lo, exec_lo, s3
	v_or_b32_e32 v12, 0x900, v0
	s_delay_alu instid0(VALU_DEP_1)
	v_cmp_gt_i32_e64 s0, s1, v12
                                        ; implicit-def: $vgpr12
	s_and_saveexec_b32 s3, s0
; %bb.54:
	s_and_b32 s0, 0xffff, s12
	v_mul_lo_u16 v12, v39, s12
	s_lshr_b32 s0, s0, 8
	s_delay_alu instid0(SALU_CYCLE_1) | instskip(NEXT) | instid1(VALU_DEP_1)
	v_mul_lo_u16 v13, v35, s0
	v_mad_u16 v12, v13, v30, v12
; %bb.55:
	s_or_b32 exec_lo, exec_lo, s3
	v_or_b32_e32 v13, 0xa00, v0
	s_delay_alu instid0(VALU_DEP_1)
	v_cmp_gt_i32_e64 s0, s1, v13
                                        ; implicit-def: $vgpr13
	s_and_saveexec_b32 s3, s0
; %bb.56:
	s_and_b32 s0, 0xffff, s12
	v_mul_lo_u16 v13, v42, s12
	s_lshr_b32 s0, s0, 8
	s_delay_alu instid0(SALU_CYCLE_1) | instskip(NEXT) | instid1(VALU_DEP_1)
	v_mul_lo_u16 v14, v40, s0
	v_mad_u16 v13, v14, v38, v13
; %bb.57:
	s_or_b32 exec_lo, exec_lo, s3
	v_or_b32_e32 v14, 0xb00, v0
	s_delay_alu instid0(VALU_DEP_1)
	v_cmp_gt_i32_e64 s0, s1, v14
                                        ; implicit-def: $vgpr14
	s_and_saveexec_b32 s3, s0
; %bb.58:
	s_and_b32 s0, 0xffff, s12
	v_mul_lo_u16 v14, v45, s12
	s_lshr_b32 s0, s0, 8
	s_delay_alu instid0(SALU_CYCLE_1) | instskip(NEXT) | instid1(VALU_DEP_1)
	v_mul_lo_u16 v15, v43, s0
	v_mad_u16 v14, v15, v41, v14
; %bb.59:
	s_or_b32 exec_lo, exec_lo, s3
	v_or_b32_e32 v15, 0xc00, v0
	s_delay_alu instid0(VALU_DEP_1)
	v_cmp_gt_i32_e64 s0, s1, v15
                                        ; implicit-def: $vgpr15
	s_and_saveexec_b32 s3, s0
; %bb.60:
	s_and_b32 s0, 0xffff, s12
	v_mul_lo_u16 v15, v48, s12
	s_lshr_b32 s0, s0, 8
	s_delay_alu instid0(SALU_CYCLE_1) | instskip(NEXT) | instid1(VALU_DEP_1)
	v_mul_lo_u16 v16, v46, s0
	v_mad_u16 v15, v16, v44, v15
; %bb.61:
	s_or_b32 exec_lo, exec_lo, s3
	v_or_b32_e32 v16, 0xd00, v0
	s_delay_alu instid0(VALU_DEP_1)
	v_cmp_gt_i32_e64 s0, s1, v16
                                        ; implicit-def: $vgpr16
	s_and_saveexec_b32 s3, s0
; %bb.62:
	s_and_b32 s0, 0xffff, s12
	v_mul_lo_u16 v16, v50, s12
	s_lshr_b32 s0, s0, 8
	s_delay_alu instid0(SALU_CYCLE_1) | instskip(NEXT) | instid1(VALU_DEP_1)
	v_mul_lo_u16 v17, v49, s0
	v_mad_u16 v16, v17, v47, v16
; %bb.63:
	s_or_b32 exec_lo, exec_lo, s3
	v_or_b32_e32 v17, 0xe00, v0
	s_delay_alu instid0(VALU_DEP_1)
	v_cmp_gt_i32_e64 s0, s1, v17
                                        ; implicit-def: $vgpr17
	s_and_saveexec_b32 s3, s0
; %bb.64:
	s_and_b32 s0, 0xffff, s12
	v_mul_lo_u16 v17, v53, s12
	s_lshr_b32 s0, s0, 8
	s_delay_alu instid0(SALU_CYCLE_1) | instskip(NEXT) | instid1(VALU_DEP_1)
	v_mul_lo_u16 v18, v52, s0
	v_mad_u16 v17, v18, v51, v17
; %bb.65:
	s_or_b32 exec_lo, exec_lo, s3
	v_or_b32_e32 v18, 0xf00, v0
	s_delay_alu instid0(VALU_DEP_1)
	v_cmp_gt_i32_e64 s0, s1, v18
                                        ; implicit-def: $vgpr18
	s_and_saveexec_b32 s3, s0
	s_cbranch_execz .LBB24_84
; %bb.66:
	s_and_b32 s0, 0xffff, s12
	v_mul_lo_u16 v18, v56, s12
	s_lshr_b32 s0, s0, 8
	s_delay_alu instid0(SALU_CYCLE_1) | instskip(NEXT) | instid1(VALU_DEP_1)
	v_mul_lo_u16 v19, v55, s0
	v_mad_u16 v18, v19, v54, v18
	s_or_b32 exec_lo, exec_lo, s3
	s_and_saveexec_b32 s0, vcc_lo
	s_delay_alu instid0(SALU_CYCLE_1)
	s_xor_b32 s0, exec_lo, s0
	s_cbranch_execnz .LBB24_85
.LBB24_67:
	s_or_b32 exec_lo, exec_lo, s0
	s_delay_alu instid0(SALU_CYCLE_1)
	s_mov_b32 s0, exec_lo
	v_cmpx_gt_i32_e64 s1, v0
	s_cbranch_execz .LBB24_86
.LBB24_68:
	v_add_nc_u32_e32 v1, s2, v0
	v_add_nc_u32_e32 v0, 0x100, v0
	global_store_b8 v1, v5, s[4:5]
	s_wait_xcnt 0x0
	s_or_b32 exec_lo, exec_lo, s0
	s_delay_alu instid0(SALU_CYCLE_1)
	s_mov_b32 s0, exec_lo
	v_cmpx_gt_i32_e64 s1, v0
	s_cbranch_execnz .LBB24_87
.LBB24_69:
	s_or_b32 exec_lo, exec_lo, s0
	s_delay_alu instid0(SALU_CYCLE_1)
	s_mov_b32 s0, exec_lo
	v_cmpx_gt_i32_e64 s1, v0
	s_cbranch_execz .LBB24_88
.LBB24_70:
	v_add_nc_u32_e32 v1, s2, v0
	v_add_nc_u32_e32 v0, 0x100, v0
	global_store_b8 v1, v3, s[4:5]
	s_wait_xcnt 0x0
	s_or_b32 exec_lo, exec_lo, s0
	s_delay_alu instid0(SALU_CYCLE_1)
	s_mov_b32 s0, exec_lo
	v_cmpx_gt_i32_e64 s1, v0
	s_cbranch_execnz .LBB24_89
.LBB24_71:
	s_or_b32 exec_lo, exec_lo, s0
	s_delay_alu instid0(SALU_CYCLE_1)
	s_mov_b32 s0, exec_lo
	v_cmpx_gt_i32_e64 s1, v0
	s_cbranch_execz .LBB24_90
.LBB24_72:
	v_add_nc_u32_e32 v1, s2, v0
	v_add_nc_u32_e32 v0, 0x100, v0
	global_store_b8 v1, v7, s[4:5]
	s_wait_xcnt 0x0
	s_or_b32 exec_lo, exec_lo, s0
	s_delay_alu instid0(SALU_CYCLE_1)
	s_mov_b32 s0, exec_lo
	v_cmpx_gt_i32_e64 s1, v0
	s_cbranch_execnz .LBB24_91
.LBB24_73:
	s_or_b32 exec_lo, exec_lo, s0
	s_delay_alu instid0(SALU_CYCLE_1)
	s_mov_b32 s0, exec_lo
	v_cmpx_gt_i32_e64 s1, v0
	s_cbranch_execz .LBB24_92
.LBB24_74:
	v_add_nc_u32_e32 v1, s2, v0
	v_add_nc_u32_e32 v0, 0x100, v0
	global_store_b8 v1, v9, s[4:5]
	s_wait_xcnt 0x0
	s_or_b32 exec_lo, exec_lo, s0
	s_delay_alu instid0(SALU_CYCLE_1)
	s_mov_b32 s0, exec_lo
	v_cmpx_gt_i32_e64 s1, v0
	s_cbranch_execnz .LBB24_93
.LBB24_75:
	s_or_b32 exec_lo, exec_lo, s0
	s_delay_alu instid0(SALU_CYCLE_1)
	s_mov_b32 s0, exec_lo
	v_cmpx_gt_i32_e64 s1, v0
	s_cbranch_execz .LBB24_94
.LBB24_76:
	v_add_nc_u32_e32 v1, s2, v0
	v_add_nc_u32_e32 v0, 0x100, v0
	global_store_b8 v1, v12, s[4:5]
	s_wait_xcnt 0x0
	s_or_b32 exec_lo, exec_lo, s0
	s_delay_alu instid0(SALU_CYCLE_1)
	s_mov_b32 s0, exec_lo
	v_cmpx_gt_i32_e64 s1, v0
	s_cbranch_execnz .LBB24_95
.LBB24_77:
	s_or_b32 exec_lo, exec_lo, s0
	s_delay_alu instid0(SALU_CYCLE_1)
	s_mov_b32 s0, exec_lo
	v_cmpx_gt_i32_e64 s1, v0
	s_cbranch_execz .LBB24_96
.LBB24_78:
	v_add_nc_u32_e32 v1, s2, v0
	v_add_nc_u32_e32 v0, 0x100, v0
	global_store_b8 v1, v14, s[4:5]
	s_wait_xcnt 0x0
	s_or_b32 exec_lo, exec_lo, s0
	s_delay_alu instid0(SALU_CYCLE_1)
	s_mov_b32 s0, exec_lo
	v_cmpx_gt_i32_e64 s1, v0
	s_cbranch_execnz .LBB24_97
.LBB24_79:
	s_or_b32 exec_lo, exec_lo, s0
	s_delay_alu instid0(SALU_CYCLE_1)
	s_mov_b32 s0, exec_lo
	v_cmpx_gt_i32_e64 s1, v0
	s_cbranch_execz .LBB24_98
.LBB24_80:
	v_add_nc_u32_e32 v1, s2, v0
	v_add_nc_u32_e32 v0, 0x100, v0
	global_store_b8 v1, v16, s[4:5]
	s_wait_xcnt 0x0
	s_or_b32 exec_lo, exec_lo, s0
	s_delay_alu instid0(SALU_CYCLE_1)
	s_mov_b32 s0, exec_lo
	v_cmpx_gt_i32_e64 s1, v0
	s_cbranch_execnz .LBB24_99
.LBB24_81:
	s_or_b32 exec_lo, exec_lo, s0
	s_delay_alu instid0(SALU_CYCLE_1)
	s_mov_b32 s0, exec_lo
	v_cmpx_gt_i32_e64 s1, v0
	s_cbranch_execz .LBB24_83
.LBB24_82:
	v_add_nc_u32_e32 v0, s2, v0
	global_store_b8 v0, v18, s[4:5]
.LBB24_83:
	s_endpgm
.LBB24_84:
	s_or_b32 exec_lo, exec_lo, s3
	s_and_saveexec_b32 s0, vcc_lo
	s_delay_alu instid0(SALU_CYCLE_1)
	s_xor_b32 s0, exec_lo, s0
	s_cbranch_execz .LBB24_67
.LBB24_85:
	v_mov_b32_e32 v0, v10
	global_store_b8 v1, v2, s[4:5]
	s_wait_xcnt 0x0
	s_or_b32 exec_lo, exec_lo, s0
	s_delay_alu instid0(SALU_CYCLE_1)
	s_mov_b32 s0, exec_lo
	v_cmpx_gt_i32_e64 s1, v0
	s_cbranch_execnz .LBB24_68
.LBB24_86:
	s_or_b32 exec_lo, exec_lo, s0
	s_delay_alu instid0(SALU_CYCLE_1)
	s_mov_b32 s0, exec_lo
	v_cmpx_gt_i32_e64 s1, v0
	s_cbranch_execz .LBB24_69
.LBB24_87:
	v_add_nc_u32_e32 v1, s2, v0
	v_add_nc_u32_e32 v0, 0x100, v0
	global_store_b8 v1, v6, s[4:5]
	s_wait_xcnt 0x0
	s_or_b32 exec_lo, exec_lo, s0
	s_delay_alu instid0(SALU_CYCLE_1)
	s_mov_b32 s0, exec_lo
	v_cmpx_gt_i32_e64 s1, v0
	s_cbranch_execnz .LBB24_70
.LBB24_88:
	s_or_b32 exec_lo, exec_lo, s0
	s_delay_alu instid0(SALU_CYCLE_1)
	s_mov_b32 s0, exec_lo
	v_cmpx_gt_i32_e64 s1, v0
	s_cbranch_execz .LBB24_71
.LBB24_89:
	v_add_nc_u32_e32 v1, s2, v0
	v_add_nc_u32_e32 v0, 0x100, v0
	global_store_b8 v1, v4, s[4:5]
	s_wait_xcnt 0x0
	s_or_b32 exec_lo, exec_lo, s0
	s_delay_alu instid0(SALU_CYCLE_1)
	s_mov_b32 s0, exec_lo
	v_cmpx_gt_i32_e64 s1, v0
	s_cbranch_execnz .LBB24_72
.LBB24_90:
	s_or_b32 exec_lo, exec_lo, s0
	s_delay_alu instid0(SALU_CYCLE_1)
	s_mov_b32 s0, exec_lo
	v_cmpx_gt_i32_e64 s1, v0
	s_cbranch_execz .LBB24_73
.LBB24_91:
	v_add_nc_u32_e32 v1, s2, v0
	v_add_nc_u32_e32 v0, 0x100, v0
	global_store_b8 v1, v8, s[4:5]
	s_wait_xcnt 0x0
	s_or_b32 exec_lo, exec_lo, s0
	s_delay_alu instid0(SALU_CYCLE_1)
	s_mov_b32 s0, exec_lo
	v_cmpx_gt_i32_e64 s1, v0
	s_cbranch_execnz .LBB24_74
.LBB24_92:
	s_or_b32 exec_lo, exec_lo, s0
	s_delay_alu instid0(SALU_CYCLE_1)
	s_mov_b32 s0, exec_lo
	v_cmpx_gt_i32_e64 s1, v0
	s_cbranch_execz .LBB24_75
.LBB24_93:
	v_add_nc_u32_e32 v1, s2, v0
	v_add_nc_u32_e32 v0, 0x100, v0
	global_store_b8 v1, v11, s[4:5]
	s_wait_xcnt 0x0
	s_or_b32 exec_lo, exec_lo, s0
	s_delay_alu instid0(SALU_CYCLE_1)
	s_mov_b32 s0, exec_lo
	v_cmpx_gt_i32_e64 s1, v0
	s_cbranch_execnz .LBB24_76
.LBB24_94:
	s_or_b32 exec_lo, exec_lo, s0
	s_delay_alu instid0(SALU_CYCLE_1)
	s_mov_b32 s0, exec_lo
	v_cmpx_gt_i32_e64 s1, v0
	s_cbranch_execz .LBB24_77
.LBB24_95:
	v_add_nc_u32_e32 v1, s2, v0
	v_add_nc_u32_e32 v0, 0x100, v0
	global_store_b8 v1, v13, s[4:5]
	s_wait_xcnt 0x0
	s_or_b32 exec_lo, exec_lo, s0
	s_delay_alu instid0(SALU_CYCLE_1)
	s_mov_b32 s0, exec_lo
	v_cmpx_gt_i32_e64 s1, v0
	s_cbranch_execnz .LBB24_78
.LBB24_96:
	s_or_b32 exec_lo, exec_lo, s0
	s_delay_alu instid0(SALU_CYCLE_1)
	s_mov_b32 s0, exec_lo
	v_cmpx_gt_i32_e64 s1, v0
	s_cbranch_execz .LBB24_79
.LBB24_97:
	v_add_nc_u32_e32 v1, s2, v0
	v_add_nc_u32_e32 v0, 0x100, v0
	global_store_b8 v1, v15, s[4:5]
	s_wait_xcnt 0x0
	s_or_b32 exec_lo, exec_lo, s0
	s_delay_alu instid0(SALU_CYCLE_1)
	s_mov_b32 s0, exec_lo
	v_cmpx_gt_i32_e64 s1, v0
	s_cbranch_execnz .LBB24_80
.LBB24_98:
	s_or_b32 exec_lo, exec_lo, s0
	s_delay_alu instid0(SALU_CYCLE_1)
	s_mov_b32 s0, exec_lo
	v_cmpx_gt_i32_e64 s1, v0
	s_cbranch_execz .LBB24_81
.LBB24_99:
	v_add_nc_u32_e32 v1, s2, v0
	v_add_nc_u32_e32 v0, 0x100, v0
	global_store_b8 v1, v17, s[4:5]
	s_wait_xcnt 0x0
	s_or_b32 exec_lo, exec_lo, s0
	s_delay_alu instid0(SALU_CYCLE_1)
	s_mov_b32 s0, exec_lo
	v_cmpx_gt_i32_e64 s1, v0
	s_cbranch_execnz .LBB24_82
	s_branch .LBB24_83
	.section	.rodata,"a",@progbits
	.p2align	6, 0x0
	.amdhsa_kernel _ZN2at6native29vectorized_elementwise_kernelILi16EZZZNS0_12_GLOBAL__N_116addr_kernel_cudaERNS_14TensorIteratorERKN3c106ScalarES8_ENKUlvE_clEvENKUlvE_clEvEUlhhhE0_St5arrayIPcLm4EEEEviT0_T1_
		.amdhsa_group_segment_fixed_size 0
		.amdhsa_private_segment_fixed_size 0
		.amdhsa_kernarg_size 40
		.amdhsa_user_sgpr_count 2
		.amdhsa_user_sgpr_dispatch_ptr 0
		.amdhsa_user_sgpr_queue_ptr 0
		.amdhsa_user_sgpr_kernarg_segment_ptr 1
		.amdhsa_user_sgpr_dispatch_id 0
		.amdhsa_user_sgpr_kernarg_preload_length 0
		.amdhsa_user_sgpr_kernarg_preload_offset 0
		.amdhsa_user_sgpr_private_segment_size 0
		.amdhsa_wavefront_size32 1
		.amdhsa_uses_dynamic_stack 0
		.amdhsa_enable_private_segment 0
		.amdhsa_system_sgpr_workgroup_id_x 1
		.amdhsa_system_sgpr_workgroup_id_y 0
		.amdhsa_system_sgpr_workgroup_id_z 0
		.amdhsa_system_sgpr_workgroup_info 0
		.amdhsa_system_vgpr_workitem_id 0
		.amdhsa_next_free_vgpr 57
		.amdhsa_next_free_sgpr 22
		.amdhsa_named_barrier_count 0
		.amdhsa_reserve_vcc 1
		.amdhsa_float_round_mode_32 0
		.amdhsa_float_round_mode_16_64 0
		.amdhsa_float_denorm_mode_32 3
		.amdhsa_float_denorm_mode_16_64 3
		.amdhsa_fp16_overflow 0
		.amdhsa_memory_ordered 1
		.amdhsa_forward_progress 1
		.amdhsa_inst_pref_size 52
		.amdhsa_round_robin_scheduling 0
		.amdhsa_exception_fp_ieee_invalid_op 0
		.amdhsa_exception_fp_denorm_src 0
		.amdhsa_exception_fp_ieee_div_zero 0
		.amdhsa_exception_fp_ieee_overflow 0
		.amdhsa_exception_fp_ieee_underflow 0
		.amdhsa_exception_fp_ieee_inexact 0
		.amdhsa_exception_int_div_zero 0
	.end_amdhsa_kernel
	.section	.text._ZN2at6native29vectorized_elementwise_kernelILi16EZZZNS0_12_GLOBAL__N_116addr_kernel_cudaERNS_14TensorIteratorERKN3c106ScalarES8_ENKUlvE_clEvENKUlvE_clEvEUlhhhE0_St5arrayIPcLm4EEEEviT0_T1_,"axG",@progbits,_ZN2at6native29vectorized_elementwise_kernelILi16EZZZNS0_12_GLOBAL__N_116addr_kernel_cudaERNS_14TensorIteratorERKN3c106ScalarES8_ENKUlvE_clEvENKUlvE_clEvEUlhhhE0_St5arrayIPcLm4EEEEviT0_T1_,comdat
.Lfunc_end24:
	.size	_ZN2at6native29vectorized_elementwise_kernelILi16EZZZNS0_12_GLOBAL__N_116addr_kernel_cudaERNS_14TensorIteratorERKN3c106ScalarES8_ENKUlvE_clEvENKUlvE_clEvEUlhhhE0_St5arrayIPcLm4EEEEviT0_T1_, .Lfunc_end24-_ZN2at6native29vectorized_elementwise_kernelILi16EZZZNS0_12_GLOBAL__N_116addr_kernel_cudaERNS_14TensorIteratorERKN3c106ScalarES8_ENKUlvE_clEvENKUlvE_clEvEUlhhhE0_St5arrayIPcLm4EEEEviT0_T1_
                                        ; -- End function
	.set _ZN2at6native29vectorized_elementwise_kernelILi16EZZZNS0_12_GLOBAL__N_116addr_kernel_cudaERNS_14TensorIteratorERKN3c106ScalarES8_ENKUlvE_clEvENKUlvE_clEvEUlhhhE0_St5arrayIPcLm4EEEEviT0_T1_.num_vgpr, 57
	.set _ZN2at6native29vectorized_elementwise_kernelILi16EZZZNS0_12_GLOBAL__N_116addr_kernel_cudaERNS_14TensorIteratorERKN3c106ScalarES8_ENKUlvE_clEvENKUlvE_clEvEUlhhhE0_St5arrayIPcLm4EEEEviT0_T1_.num_agpr, 0
	.set _ZN2at6native29vectorized_elementwise_kernelILi16EZZZNS0_12_GLOBAL__N_116addr_kernel_cudaERNS_14TensorIteratorERKN3c106ScalarES8_ENKUlvE_clEvENKUlvE_clEvEUlhhhE0_St5arrayIPcLm4EEEEviT0_T1_.numbered_sgpr, 22
	.set _ZN2at6native29vectorized_elementwise_kernelILi16EZZZNS0_12_GLOBAL__N_116addr_kernel_cudaERNS_14TensorIteratorERKN3c106ScalarES8_ENKUlvE_clEvENKUlvE_clEvEUlhhhE0_St5arrayIPcLm4EEEEviT0_T1_.num_named_barrier, 0
	.set _ZN2at6native29vectorized_elementwise_kernelILi16EZZZNS0_12_GLOBAL__N_116addr_kernel_cudaERNS_14TensorIteratorERKN3c106ScalarES8_ENKUlvE_clEvENKUlvE_clEvEUlhhhE0_St5arrayIPcLm4EEEEviT0_T1_.private_seg_size, 0
	.set _ZN2at6native29vectorized_elementwise_kernelILi16EZZZNS0_12_GLOBAL__N_116addr_kernel_cudaERNS_14TensorIteratorERKN3c106ScalarES8_ENKUlvE_clEvENKUlvE_clEvEUlhhhE0_St5arrayIPcLm4EEEEviT0_T1_.uses_vcc, 1
	.set _ZN2at6native29vectorized_elementwise_kernelILi16EZZZNS0_12_GLOBAL__N_116addr_kernel_cudaERNS_14TensorIteratorERKN3c106ScalarES8_ENKUlvE_clEvENKUlvE_clEvEUlhhhE0_St5arrayIPcLm4EEEEviT0_T1_.uses_flat_scratch, 0
	.set _ZN2at6native29vectorized_elementwise_kernelILi16EZZZNS0_12_GLOBAL__N_116addr_kernel_cudaERNS_14TensorIteratorERKN3c106ScalarES8_ENKUlvE_clEvENKUlvE_clEvEUlhhhE0_St5arrayIPcLm4EEEEviT0_T1_.has_dyn_sized_stack, 0
	.set _ZN2at6native29vectorized_elementwise_kernelILi16EZZZNS0_12_GLOBAL__N_116addr_kernel_cudaERNS_14TensorIteratorERKN3c106ScalarES8_ENKUlvE_clEvENKUlvE_clEvEUlhhhE0_St5arrayIPcLm4EEEEviT0_T1_.has_recursion, 0
	.set _ZN2at6native29vectorized_elementwise_kernelILi16EZZZNS0_12_GLOBAL__N_116addr_kernel_cudaERNS_14TensorIteratorERKN3c106ScalarES8_ENKUlvE_clEvENKUlvE_clEvEUlhhhE0_St5arrayIPcLm4EEEEviT0_T1_.has_indirect_call, 0
	.section	.AMDGPU.csdata,"",@progbits
; Kernel info:
; codeLenInByte = 6564
; TotalNumSgprs: 24
; NumVgprs: 57
; ScratchSize: 0
; MemoryBound: 0
; FloatMode: 240
; IeeeMode: 1
; LDSByteSize: 0 bytes/workgroup (compile time only)
; SGPRBlocks: 0
; VGPRBlocks: 3
; NumSGPRsForWavesPerEU: 24
; NumVGPRsForWavesPerEU: 57
; NamedBarCnt: 0
; Occupancy: 16
; WaveLimiterHint : 0
; COMPUTE_PGM_RSRC2:SCRATCH_EN: 0
; COMPUTE_PGM_RSRC2:USER_SGPR: 2
; COMPUTE_PGM_RSRC2:TRAP_HANDLER: 0
; COMPUTE_PGM_RSRC2:TGID_X_EN: 1
; COMPUTE_PGM_RSRC2:TGID_Y_EN: 0
; COMPUTE_PGM_RSRC2:TGID_Z_EN: 0
; COMPUTE_PGM_RSRC2:TIDIG_COMP_CNT: 0
	.section	.text._ZN2at6native29vectorized_elementwise_kernelILi8EZZZNS0_12_GLOBAL__N_116addr_kernel_cudaERNS_14TensorIteratorERKN3c106ScalarES8_ENKUlvE_clEvENKUlvE_clEvEUlhhhE0_St5arrayIPcLm4EEEEviT0_T1_,"axG",@progbits,_ZN2at6native29vectorized_elementwise_kernelILi8EZZZNS0_12_GLOBAL__N_116addr_kernel_cudaERNS_14TensorIteratorERKN3c106ScalarES8_ENKUlvE_clEvENKUlvE_clEvEUlhhhE0_St5arrayIPcLm4EEEEviT0_T1_,comdat
	.globl	_ZN2at6native29vectorized_elementwise_kernelILi8EZZZNS0_12_GLOBAL__N_116addr_kernel_cudaERNS_14TensorIteratorERKN3c106ScalarES8_ENKUlvE_clEvENKUlvE_clEvEUlhhhE0_St5arrayIPcLm4EEEEviT0_T1_ ; -- Begin function _ZN2at6native29vectorized_elementwise_kernelILi8EZZZNS0_12_GLOBAL__N_116addr_kernel_cudaERNS_14TensorIteratorERKN3c106ScalarES8_ENKUlvE_clEvENKUlvE_clEvEUlhhhE0_St5arrayIPcLm4EEEEviT0_T1_
	.p2align	8
	.type	_ZN2at6native29vectorized_elementwise_kernelILi8EZZZNS0_12_GLOBAL__N_116addr_kernel_cudaERNS_14TensorIteratorERKN3c106ScalarES8_ENKUlvE_clEvENKUlvE_clEvEUlhhhE0_St5arrayIPcLm4EEEEviT0_T1_,@function
_ZN2at6native29vectorized_elementwise_kernelILi8EZZZNS0_12_GLOBAL__N_116addr_kernel_cudaERNS_14TensorIteratorERKN3c106ScalarES8_ENKUlvE_clEvENKUlvE_clEvEUlhhhE0_St5arrayIPcLm4EEEEviT0_T1_: ; @_ZN2at6native29vectorized_elementwise_kernelILi8EZZZNS0_12_GLOBAL__N_116addr_kernel_cudaERNS_14TensorIteratorERKN3c106ScalarES8_ENKUlvE_clEvENKUlvE_clEvEUlhhhE0_St5arrayIPcLm4EEEEviT0_T1_
; %bb.0:
	v_mov_b32_e32 v1, 0
	s_clause 0x1
	s_load_b32 s3, s[0:1], 0x0
	s_load_b256 s[4:11], s[0:1], 0x8
	s_getreg_b32 s2, hwreg(HW_REG_IB_STS2, 6, 4)
	global_load_u16 v1, v1, s[0:1] offset:4
	s_wait_xcnt 0x0
	s_bfe_u32 s0, ttmp6, 0x4000c
	s_and_b32 s1, ttmp6, 15
	s_add_co_i32 s0, s0, 1
	s_delay_alu instid0(SALU_CYCLE_1) | instskip(NEXT) | instid1(SALU_CYCLE_1)
	s_mul_i32 s0, ttmp9, s0
	s_add_co_i32 s1, s1, s0
	s_cmp_eq_u32 s2, 0
	s_cselect_b32 s0, ttmp9, s1
	s_delay_alu instid0(SALU_CYCLE_1) | instskip(SKIP_3) | instid1(SALU_CYCLE_1)
	s_lshl_b32 s2, s0, 12
	s_mov_b32 s0, -1
	s_wait_kmcnt 0x0
	s_sub_co_i32 s1, s3, s2
	s_cmp_gt_i32 s1, 0xfff
	s_wait_loadcnt 0x0
	v_readfirstlane_b32 s12, v1
	s_cbranch_scc0 .LBB25_2
; %bb.1:
	s_ashr_i32 s3, s2, 31
	s_and_b32 s0, 0xffff, s12
	s_add_nc_u64 s[14:15], s[6:7], s[2:3]
	s_lshr_b32 s0, s0, 8
	s_clause 0x1
	global_load_b64 v[2:3], v0, s[14:15] scale_offset
	global_load_b64 v[4:5], v0, s[14:15] offset:2048 scale_offset
	s_wait_xcnt 0x0
	s_add_nc_u64 s[14:15], s[8:9], s[2:3]
	s_clause 0x1
	global_load_b64 v[6:7], v0, s[14:15] scale_offset
	global_load_b64 v[8:9], v0, s[14:15] offset:2048 scale_offset
	s_wait_xcnt 0x0
	s_add_nc_u64 s[14:15], s[10:11], s[2:3]
	;; [unrolled: 5-line block ×3, first 2 shown]
	s_wait_loadcnt 0x5
	v_dual_lshrrev_b32 v1, 8, v2 :: v_dual_lshrrev_b32 v14, 16, v2
	v_dual_lshrrev_b32 v15, 24, v2 :: v_dual_lshrrev_b32 v16, 8, v3
	;; [unrolled: 1-line block ×3, first 2 shown]
	s_wait_loadcnt 0x3
	v_dual_lshrrev_b32 v25, 8, v6 :: v_dual_lshrrev_b32 v26, 16, v6
	v_dual_lshrrev_b32 v27, 24, v6 :: v_dual_lshrrev_b32 v28, 8, v7
	v_dual_lshrrev_b32 v29, 16, v7 :: v_dual_lshrrev_b32 v30, 24, v7
	v_mul_lo_u16 v2, v2, s12
	v_mul_lo_u16 v6, v6, s0
	;; [unrolled: 1-line block ×4, first 2 shown]
	v_dual_lshrrev_b32 v19, 8, v4 :: v_dual_lshrrev_b32 v20, 16, v4
	v_dual_lshrrev_b32 v21, 24, v4 :: v_dual_lshrrev_b32 v22, 8, v5
	;; [unrolled: 1-line block ×3, first 2 shown]
	s_wait_loadcnt 0x2
	v_dual_lshrrev_b32 v31, 8, v8 :: v_dual_lshrrev_b32 v32, 16, v8
	v_dual_lshrrev_b32 v33, 24, v8 :: v_dual_lshrrev_b32 v34, 8, v9
	;; [unrolled: 1-line block ×3, first 2 shown]
	v_mul_lo_u16 v4, v4, s12
	v_mul_lo_u16 v8, v8, s0
	;; [unrolled: 1-line block ×4, first 2 shown]
	s_wait_loadcnt 0x1
	v_dual_lshrrev_b32 v37, 8, v10 :: v_dual_lshrrev_b32 v38, 16, v10
	v_dual_lshrrev_b32 v39, 24, v10 :: v_dual_lshrrev_b32 v40, 8, v11
	;; [unrolled: 1-line block ×3, first 2 shown]
	v_mad_u16 v2, v6, v10, v2
	v_mul_lo_u16 v1, v1, s12
	v_mul_lo_u16 v6, v25, s0
	;; [unrolled: 1-line block ×4, first 2 shown]
	v_mad_u16 v3, v7, v11, v3
	v_mul_lo_u16 v7, v16, s12
	v_mul_lo_u16 v11, v28, s0
	v_mul_lo_u16 v16, v17, s12
	v_mul_lo_u16 v17, v29, s0
	s_wait_loadcnt 0x0
	v_dual_lshrrev_b32 v43, 8, v12 :: v_dual_lshrrev_b32 v44, 16, v12
	v_dual_lshrrev_b32 v45, 24, v12 :: v_dual_lshrrev_b32 v46, 8, v13
	;; [unrolled: 1-line block ×3, first 2 shown]
	v_mad_u16 v4, v8, v12, v4
	v_mul_lo_u16 v8, v19, s12
	v_mul_lo_u16 v12, v31, s0
	;; [unrolled: 1-line block ×4, first 2 shown]
	v_mad_u16 v5, v9, v13, v5
	v_mul_lo_u16 v9, v22, s12
	v_mul_lo_u16 v13, v34, s0
	;; [unrolled: 1-line block ×8, first 2 shown]
	v_mad_u16 v1, v6, v37, v1
	v_mad_u16 v6, v14, v38, v10
	;; [unrolled: 1-line block ×4, first 2 shown]
	v_mul_lo_u16 v21, v21, s12
	v_mul_lo_u16 v27, v33, s0
	;; [unrolled: 1-line block ×4, first 2 shown]
	v_mad_u16 v8, v12, v43, v8
	v_mad_u16 v12, v20, v44, v19
	;; [unrolled: 1-line block ×6, first 2 shown]
	v_and_b32_e32 v1, 0xff, v1
	v_and_b32_e32 v6, 0xff, v6
	;; [unrolled: 1-line block ×4, first 2 shown]
	v_mad_u16 v15, v27, v45, v21
	v_mad_u16 v16, v28, v48, v24
	v_and_b32_e32 v8, 0xff, v8
	v_and_b32_e32 v12, 0xff, v12
	;; [unrolled: 1-line block ×3, first 2 shown]
	v_dual_lshlrev_b32 v10, 24, v10 :: v_dual_lshlrev_b32 v15, 24, v15
	v_dual_lshlrev_b32 v14, 24, v14 :: v_dual_lshlrev_b32 v16, 24, v16
	v_perm_b32 v1, v1, v2, 0x6050400
	v_dual_lshlrev_b32 v2, 16, v6 :: v_dual_lshlrev_b32 v6, 8, v7
	v_lshlrev_b32_e32 v7, 16, v11
	v_and_b32_e32 v9, 0xff, v9
	v_perm_b32 v4, v8, v4, 0x6050400
	v_dual_lshlrev_b32 v8, 16, v13 :: v_dual_lshlrev_b32 v11, 16, v12
	v_and_b32_e32 v3, 0xff, v3
	v_or_b32_e32 v7, v14, v7
	v_or3_b32 v1, v1, v2, v10
	v_and_b32_e32 v5, 0xff, v5
	v_dual_lshlrev_b32 v9, 8, v9 :: v_dual_bitop2_b32 v8, v16, v8 bitop3:0x54
	v_or3_b32 v4, v4, v11, v15
	v_or3_b32 v3, v3, v6, v7
	;; [unrolled: 1-line block ×3, first 2 shown]
	s_mov_b32 s0, 0
	v_or3_b32 v5, v5, v9, v8
	v_or3_b32 v4, v4, 0, 0
	s_clause 0x1
	global_store_b64 v0, v[2:3], s[14:15] scale_offset
	global_store_b64 v0, v[4:5], s[14:15] offset:2048 scale_offset
.LBB25_2:
	s_and_not1_b32 vcc_lo, exec_lo, s0
	s_cbranch_vccnz .LBB25_83
; %bb.3:
	v_cmp_gt_i32_e32 vcc_lo, s1, v0
	v_dual_mov_b32 v56, 0 :: v_dual_bitop2_b32 v1, s2, v0 bitop3:0x54
	v_or_b32_e32 v10, 0x100, v0
	v_dual_mov_b32 v55, 0 :: v_dual_mov_b32 v54, 0
	v_dual_mov_b32 v53, 0 :: v_dual_mov_b32 v52, 0
	;; [unrolled: 1-line block ×18, first 2 shown]
	s_wait_xcnt 0x0
	v_dual_mov_b32 v20, 0 :: v_dual_mov_b32 v4, 0
	v_dual_mov_b32 v27, 0 :: v_dual_mov_b32 v25, 0
	;; [unrolled: 1-line block ×5, first 2 shown]
	v_mov_b32_e32 v37, 0
	s_and_saveexec_b32 s3, vcc_lo
	s_cbranch_execz .LBB25_35
; %bb.4:
	s_clause 0x2
	global_load_u8 v34, v1, s[6:7]
	global_load_u8 v36, v1, s[8:9]
	;; [unrolled: 1-line block ×3, first 2 shown]
	v_or_b32_e32 v2, 0x100, v0
	v_dual_mov_b32 v29, 0 :: v_dual_mov_b32 v32, 0
	v_dual_mov_b32 v31, 0 :: v_dual_mov_b32 v3, 0
	s_delay_alu instid0(VALU_DEP_3)
	v_cmp_gt_u32_e64 s0, s1, v2
	v_dual_mov_b32 v25, 0 :: v_dual_mov_b32 v27, 0
	v_dual_mov_b32 v4, 0 :: v_dual_mov_b32 v20, 0
	v_dual_mov_b32 v21, 0 :: v_dual_mov_b32 v13, 0
	v_dual_mov_b32 v16, 0 :: v_dual_mov_b32 v18, 0
	v_dual_mov_b32 v11, 0 :: v_dual_mov_b32 v14, 0
	v_dual_mov_b32 v19, 0 :: v_dual_mov_b32 v12, 0
	v_dual_mov_b32 v17, 0 :: v_dual_mov_b32 v22, 0
	v_dual_mov_b32 v15, 0 :: v_dual_mov_b32 v23, 0
	v_dual_mov_b32 v26, 0 :: v_dual_mov_b32 v24, 0
	v_dual_mov_b32 v28, 0 :: v_dual_mov_b32 v33, 0
	v_dual_mov_b32 v30, 0 :: v_dual_mov_b32 v35, 0
	v_dual_mov_b32 v39, 0 :: v_dual_mov_b32 v38, 0
	v_dual_mov_b32 v40, 0 :: v_dual_mov_b32 v42, 0
	v_dual_mov_b32 v41, 0 :: v_dual_mov_b32 v43, 0
	v_dual_mov_b32 v45, 0 :: v_dual_mov_b32 v44, 0
	v_dual_mov_b32 v46, 0 :: v_dual_mov_b32 v48, 0
	v_dual_mov_b32 v47, 0 :: v_dual_mov_b32 v49, 0
	v_dual_mov_b32 v50, 0 :: v_dual_mov_b32 v51, 0
	v_dual_mov_b32 v52, 0 :: v_dual_mov_b32 v53, 0
	v_dual_mov_b32 v54, 0 :: v_dual_mov_b32 v55, 0
	v_mov_b32_e32 v56, 0
	s_wait_xcnt 0x0
	s_and_saveexec_b32 s13, s0
	s_cbranch_execz .LBB25_34
; %bb.5:
	v_dual_mov_b32 v3, 0 :: v_dual_add_nc_u32 v2, s2, v0
	v_or_b32_e32 v4, 0x200, v0
	v_dual_mov_b32 v25, 0 :: v_dual_mov_b32 v27, 0
	s_clause 0x2
	global_load_u8 v31, v2, s[6:7] offset:256
	global_load_u8 v32, v2, s[8:9] offset:256
	;; [unrolled: 1-line block ×3, first 2 shown]
	v_mov_b32_e32 v20, 0
	v_cmp_gt_u32_e64 s0, s1, v4
	v_dual_mov_b32 v4, 0 :: v_dual_mov_b32 v21, 0
	v_dual_mov_b32 v13, 0 :: v_dual_mov_b32 v16, 0
	v_dual_mov_b32 v18, 0 :: v_dual_mov_b32 v11, 0
	v_dual_mov_b32 v14, 0 :: v_dual_mov_b32 v19, 0
	v_dual_mov_b32 v12, 0 :: v_dual_mov_b32 v17, 0
	v_dual_mov_b32 v22, 0 :: v_dual_mov_b32 v15, 0
	v_dual_mov_b32 v23, 0 :: v_dual_mov_b32 v26, 0
	v_dual_mov_b32 v24, 0 :: v_dual_mov_b32 v28, 0
	v_dual_mov_b32 v33, 0 :: v_dual_mov_b32 v30, 0
	v_dual_mov_b32 v35, 0 :: v_dual_mov_b32 v39, 0
	v_dual_mov_b32 v38, 0 :: v_dual_mov_b32 v40, 0
	v_dual_mov_b32 v42, 0 :: v_dual_mov_b32 v41, 0
	v_dual_mov_b32 v43, 0 :: v_dual_mov_b32 v45, 0
	v_dual_mov_b32 v44, 0 :: v_dual_mov_b32 v46, 0
	v_dual_mov_b32 v48, 0 :: v_dual_mov_b32 v47, 0
	v_dual_mov_b32 v49, 0 :: v_dual_mov_b32 v50, 0
	v_dual_mov_b32 v51, 0 :: v_dual_mov_b32 v52, 0
	v_dual_mov_b32 v53, 0 :: v_dual_mov_b32 v54, 0
	v_dual_mov_b32 v55, 0 :: v_dual_mov_b32 v56, 0
	s_wait_xcnt 0x0
	s_and_saveexec_b32 s14, s0
	s_cbranch_execz .LBB25_33
; %bb.6:
	v_add_nc_u64_e32 v[4:5], s[6:7], v[2:3]
	v_add_nc_u64_e32 v[6:7], s[8:9], v[2:3]
	;; [unrolled: 1-line block ×3, first 2 shown]
	v_or_b32_e32 v11, 0x300, v0
	v_dual_mov_b32 v20, 0 :: v_dual_mov_b32 v21, 0
	v_dual_mov_b32 v13, 0 :: v_dual_mov_b32 v16, 0
	global_load_u8 v27, v[4:5], off offset:512
	global_load_u8 v25, v[6:7], off offset:512
	;; [unrolled: 1-line block ×3, first 2 shown]
	v_cmp_gt_u32_e64 s0, s1, v11
	v_dual_mov_b32 v18, 0 :: v_dual_mov_b32 v11, 0
	v_dual_mov_b32 v14, 0 :: v_dual_mov_b32 v19, 0
	v_dual_mov_b32 v12, 0 :: v_dual_mov_b32 v17, 0
	v_dual_mov_b32 v22, 0 :: v_dual_mov_b32 v15, 0
	v_dual_mov_b32 v23, 0 :: v_dual_mov_b32 v26, 0
	v_dual_mov_b32 v24, 0 :: v_dual_mov_b32 v28, 0
	v_dual_mov_b32 v33, 0 :: v_dual_mov_b32 v30, 0
	v_dual_mov_b32 v35, 0 :: v_dual_mov_b32 v39, 0
	v_dual_mov_b32 v38, 0 :: v_dual_mov_b32 v40, 0
	v_dual_mov_b32 v42, 0 :: v_dual_mov_b32 v41, 0
	v_dual_mov_b32 v43, 0 :: v_dual_mov_b32 v45, 0
	v_dual_mov_b32 v44, 0 :: v_dual_mov_b32 v46, 0
	v_dual_mov_b32 v48, 0 :: v_dual_mov_b32 v47, 0
	v_dual_mov_b32 v49, 0 :: v_dual_mov_b32 v50, 0
	v_dual_mov_b32 v51, 0 :: v_dual_mov_b32 v52, 0
	v_dual_mov_b32 v53, 0 :: v_dual_mov_b32 v54, 0
	v_dual_mov_b32 v55, 0 :: v_dual_mov_b32 v56, 0
	s_wait_xcnt 0x0
	s_and_saveexec_b32 s6, s0
	s_cbranch_execz .LBB25_32
; %bb.7:
	global_load_u8 v21, v[4:5], off offset:768
	global_load_u8 v20, v[6:7], off offset:768
	;; [unrolled: 1-line block ×3, first 2 shown]
	v_or_b32_e32 v11, 0x400, v0
	v_dual_mov_b32 v13, 0 :: v_dual_mov_b32 v16, 0
	v_dual_mov_b32 v18, 0 :: v_dual_mov_b32 v14, 0
	v_mov_b32_e32 v19, 0
	s_delay_alu instid0(VALU_DEP_4)
	v_cmp_gt_u32_e64 s0, s1, v11
	v_dual_mov_b32 v11, 0 :: v_dual_mov_b32 v12, 0
	v_dual_mov_b32 v17, 0 :: v_dual_mov_b32 v22, 0
	v_dual_mov_b32 v15, 0 :: v_dual_mov_b32 v23, 0
	v_dual_mov_b32 v26, 0 :: v_dual_mov_b32 v24, 0
	v_dual_mov_b32 v28, 0 :: v_dual_mov_b32 v33, 0
	v_dual_mov_b32 v30, 0 :: v_dual_mov_b32 v35, 0
	v_dual_mov_b32 v39, 0 :: v_dual_mov_b32 v38, 0
	v_dual_mov_b32 v40, 0 :: v_dual_mov_b32 v42, 0
	v_dual_mov_b32 v41, 0 :: v_dual_mov_b32 v43, 0
	v_dual_mov_b32 v45, 0 :: v_dual_mov_b32 v44, 0
	v_dual_mov_b32 v46, 0 :: v_dual_mov_b32 v48, 0
	v_dual_mov_b32 v47, 0 :: v_dual_mov_b32 v49, 0
	v_dual_mov_b32 v50, 0 :: v_dual_mov_b32 v51, 0
	v_dual_mov_b32 v52, 0 :: v_dual_mov_b32 v53, 0
	v_dual_mov_b32 v54, 0 :: v_dual_mov_b32 v55, 0
	v_mov_b32_e32 v56, 0
	s_wait_xcnt 0x0
	s_and_saveexec_b32 s7, s0
	s_cbranch_execz .LBB25_31
; %bb.8:
	global_load_u8 v18, v[4:5], off offset:1024
	global_load_u8 v16, v[6:7], off offset:1024
	;; [unrolled: 1-line block ×3, first 2 shown]
	v_or_b32_e32 v11, 0x500, v0
	v_dual_mov_b32 v19, 0 :: v_dual_mov_b32 v12, 0
	v_dual_mov_b32 v17, 0 :: v_dual_mov_b32 v22, 0
	s_delay_alu instid0(VALU_DEP_3)
	v_cmp_gt_u32_e64 s0, s1, v11
	v_dual_mov_b32 v11, 0 :: v_dual_mov_b32 v14, 0
	v_dual_mov_b32 v15, 0 :: v_dual_mov_b32 v23, 0
	v_dual_mov_b32 v26, 0 :: v_dual_mov_b32 v24, 0
	v_dual_mov_b32 v28, 0 :: v_dual_mov_b32 v33, 0
	v_dual_mov_b32 v30, 0 :: v_dual_mov_b32 v35, 0
	v_dual_mov_b32 v39, 0 :: v_dual_mov_b32 v38, 0
	v_dual_mov_b32 v40, 0 :: v_dual_mov_b32 v42, 0
	v_dual_mov_b32 v41, 0 :: v_dual_mov_b32 v43, 0
	v_dual_mov_b32 v45, 0 :: v_dual_mov_b32 v44, 0
	v_dual_mov_b32 v46, 0 :: v_dual_mov_b32 v48, 0
	v_dual_mov_b32 v47, 0 :: v_dual_mov_b32 v49, 0
	v_dual_mov_b32 v50, 0 :: v_dual_mov_b32 v51, 0
	v_dual_mov_b32 v52, 0 :: v_dual_mov_b32 v53, 0
	v_dual_mov_b32 v54, 0 :: v_dual_mov_b32 v55, 0
	v_mov_b32_e32 v56, 0
	s_wait_xcnt 0x0
	s_and_saveexec_b32 s8, s0
	s_cbranch_execz .LBB25_30
; %bb.9:
	global_load_u8 v19, v[4:5], off offset:1280
	global_load_u8 v14, v[6:7], off offset:1280
	;; [unrolled: 1-line block ×3, first 2 shown]
	v_or_b32_e32 v12, 0x600, v0
	v_dual_mov_b32 v22, 0 :: v_dual_mov_b32 v15, 0
	v_dual_mov_b32 v23, 0 :: v_dual_mov_b32 v26, 0
	s_delay_alu instid0(VALU_DEP_3)
	v_cmp_gt_u32_e64 s0, s1, v12
	v_dual_mov_b32 v12, 0 :: v_dual_mov_b32 v17, 0
	v_dual_mov_b32 v24, 0 :: v_dual_mov_b32 v28, 0
	;; [unrolled: 1-line block ×13, first 2 shown]
	s_wait_xcnt 0x0
	s_and_saveexec_b32 s9, s0
	s_cbranch_execz .LBB25_29
; %bb.10:
	global_load_u8 v22, v[4:5], off offset:1536
	global_load_u8 v17, v[6:7], off offset:1536
	;; [unrolled: 1-line block ×3, first 2 shown]
	v_or_b32_e32 v15, 0x700, v0
	v_dual_mov_b32 v26, 0 :: v_dual_mov_b32 v24, 0
	v_dual_mov_b32 v28, 0 :: v_dual_mov_b32 v33, 0
	s_delay_alu instid0(VALU_DEP_3)
	v_cmp_gt_u32_e64 s0, s1, v15
	v_dual_mov_b32 v15, 0 :: v_dual_mov_b32 v23, 0
	v_dual_mov_b32 v30, 0 :: v_dual_mov_b32 v35, 0
	;; [unrolled: 1-line block ×11, first 2 shown]
	v_mov_b32_e32 v56, 0
	s_wait_xcnt 0x0
	s_and_saveexec_b32 s10, s0
	s_cbranch_execz .LBB25_28
; %bb.11:
	global_load_u8 v26, v[4:5], off offset:1792
	global_load_u8 v23, v[6:7], off offset:1792
	;; [unrolled: 1-line block ×3, first 2 shown]
	v_or_b32_e32 v24, 0x800, v0
	v_dual_mov_b32 v33, 0 :: v_dual_mov_b32 v30, 0
	v_dual_mov_b32 v35, 0 :: v_dual_mov_b32 v39, 0
	s_delay_alu instid0(VALU_DEP_3)
	v_cmp_gt_u32_e64 s0, s1, v24
	v_dual_mov_b32 v24, 0 :: v_dual_mov_b32 v28, 0
	v_dual_mov_b32 v38, 0 :: v_dual_mov_b32 v40, 0
	v_dual_mov_b32 v42, 0 :: v_dual_mov_b32 v41, 0
	v_dual_mov_b32 v43, 0 :: v_dual_mov_b32 v45, 0
	v_dual_mov_b32 v44, 0 :: v_dual_mov_b32 v46, 0
	v_dual_mov_b32 v48, 0 :: v_dual_mov_b32 v47, 0
	v_dual_mov_b32 v49, 0 :: v_dual_mov_b32 v50, 0
	v_dual_mov_b32 v51, 0 :: v_dual_mov_b32 v52, 0
	v_dual_mov_b32 v53, 0 :: v_dual_mov_b32 v54, 0
	v_dual_mov_b32 v55, 0 :: v_dual_mov_b32 v56, 0
	s_wait_xcnt 0x0
	s_and_saveexec_b32 s11, s0
	s_cbranch_execz .LBB25_27
; %bb.12:
	global_load_u8 v33, v[4:5], off offset:2048
	global_load_u8 v28, v[6:7], off offset:2048
	;; [unrolled: 1-line block ×3, first 2 shown]
	v_or_b32_e32 v30, 0x900, v0
	v_dual_mov_b32 v39, 0 :: v_dual_mov_b32 v38, 0
	v_dual_mov_b32 v40, 0 :: v_dual_mov_b32 v42, 0
	s_delay_alu instid0(VALU_DEP_3)
	v_cmp_gt_u32_e64 s0, s1, v30
	v_dual_mov_b32 v30, 0 :: v_dual_mov_b32 v35, 0
	v_dual_mov_b32 v41, 0 :: v_dual_mov_b32 v43, 0
	;; [unrolled: 1-line block ×8, first 2 shown]
	v_mov_b32_e32 v56, 0
	s_wait_xcnt 0x0
	s_and_saveexec_b32 s15, s0
	s_cbranch_execz .LBB25_26
; %bb.13:
	global_load_u8 v39, v[4:5], off offset:2304
	global_load_u8 v35, v[6:7], off offset:2304
	;; [unrolled: 1-line block ×3, first 2 shown]
	v_or_b32_e32 v38, 0xa00, v0
	v_dual_mov_b32 v42, 0 :: v_dual_mov_b32 v41, 0
	v_dual_mov_b32 v43, 0 :: v_dual_mov_b32 v45, 0
	s_delay_alu instid0(VALU_DEP_3)
	v_cmp_gt_u32_e64 s0, s1, v38
	v_dual_mov_b32 v38, 0 :: v_dual_mov_b32 v40, 0
	v_dual_mov_b32 v44, 0 :: v_dual_mov_b32 v46, 0
	;; [unrolled: 1-line block ×7, first 2 shown]
	s_wait_xcnt 0x0
	s_and_saveexec_b32 s16, s0
	s_cbranch_execz .LBB25_25
; %bb.14:
	global_load_u8 v42, v[4:5], off offset:2560
	global_load_u8 v40, v[6:7], off offset:2560
	;; [unrolled: 1-line block ×3, first 2 shown]
	v_or_b32_e32 v41, 0xb00, v0
	v_dual_mov_b32 v45, 0 :: v_dual_mov_b32 v44, 0
	v_dual_mov_b32 v46, 0 :: v_dual_mov_b32 v48, 0
	s_delay_alu instid0(VALU_DEP_3)
	v_cmp_gt_u32_e64 s0, s1, v41
	v_dual_mov_b32 v41, 0 :: v_dual_mov_b32 v43, 0
	v_dual_mov_b32 v47, 0 :: v_dual_mov_b32 v49, 0
	;; [unrolled: 1-line block ×5, first 2 shown]
	v_mov_b32_e32 v56, 0
	s_wait_xcnt 0x0
	s_and_saveexec_b32 s17, s0
	s_cbranch_execz .LBB25_24
; %bb.15:
	global_load_u8 v45, v[4:5], off offset:2816
	global_load_u8 v43, v[6:7], off offset:2816
	;; [unrolled: 1-line block ×3, first 2 shown]
	v_or_b32_e32 v44, 0xc00, v0
	v_dual_mov_b32 v48, 0 :: v_dual_mov_b32 v47, 0
	v_dual_mov_b32 v49, 0 :: v_dual_mov_b32 v50, 0
	s_delay_alu instid0(VALU_DEP_3)
	v_cmp_gt_u32_e64 s0, s1, v44
	v_dual_mov_b32 v44, 0 :: v_dual_mov_b32 v46, 0
	v_dual_mov_b32 v51, 0 :: v_dual_mov_b32 v52, 0
	;; [unrolled: 1-line block ×4, first 2 shown]
	s_wait_xcnt 0x0
	s_and_saveexec_b32 s18, s0
	s_cbranch_execz .LBB25_23
; %bb.16:
	global_load_u8 v48, v[4:5], off offset:3072
	global_load_u8 v46, v[6:7], off offset:3072
	;; [unrolled: 1-line block ×3, first 2 shown]
	v_or_b32_e32 v47, 0xd00, v0
	v_dual_mov_b32 v50, 0 :: v_dual_mov_b32 v51, 0
	v_dual_mov_b32 v52, 0 :: v_dual_mov_b32 v53, 0
	s_delay_alu instid0(VALU_DEP_3)
	v_cmp_gt_u32_e64 s0, s1, v47
	v_dual_mov_b32 v47, 0 :: v_dual_mov_b32 v49, 0
	v_dual_mov_b32 v54, 0 :: v_dual_mov_b32 v55, 0
	v_mov_b32_e32 v56, 0
	s_wait_xcnt 0x0
	s_and_saveexec_b32 s19, s0
	s_cbranch_execz .LBB25_22
; %bb.17:
	global_load_u8 v50, v[4:5], off offset:3328
	global_load_u8 v49, v[6:7], off offset:3328
	;; [unrolled: 1-line block ×3, first 2 shown]
	v_or_b32_e32 v51, 0xe00, v0
	v_dual_mov_b32 v53, 0 :: v_dual_mov_b32 v54, 0
	v_dual_mov_b32 v55, 0 :: v_dual_mov_b32 v56, 0
	s_delay_alu instid0(VALU_DEP_3)
	v_cmp_gt_u32_e64 s0, s1, v51
	v_dual_mov_b32 v51, 0 :: v_dual_mov_b32 v52, 0
	s_wait_xcnt 0x0
	s_and_saveexec_b32 s20, s0
	s_cbranch_execz .LBB25_21
; %bb.18:
	global_load_u8 v53, v[4:5], off offset:3584
	global_load_u8 v52, v[6:7], off offset:3584
	;; [unrolled: 1-line block ×3, first 2 shown]
	v_or_b32_e32 v54, 0xf00, v0
	v_dual_mov_b32 v56, 0 :: v_dual_mov_b32 v55, 0
	s_delay_alu instid0(VALU_DEP_2)
	v_cmp_gt_u32_e64 s0, s1, v54
	v_mov_b32_e32 v54, 0
	s_wait_xcnt 0x0
	s_and_saveexec_b32 s21, s0
	s_cbranch_execz .LBB25_20
; %bb.19:
	global_load_u8 v56, v[4:5], off offset:3840
	global_load_u8 v55, v[6:7], off offset:3840
	global_load_u8 v54, v[8:9], off offset:3840
.LBB25_20:
	s_wait_xcnt 0x0
	s_or_b32 exec_lo, exec_lo, s21
.LBB25_21:
	s_delay_alu instid0(SALU_CYCLE_1)
	s_or_b32 exec_lo, exec_lo, s20
.LBB25_22:
	s_delay_alu instid0(SALU_CYCLE_1)
	s_or_b32 exec_lo, exec_lo, s19
.LBB25_23:
	s_delay_alu instid0(SALU_CYCLE_1)
	s_or_b32 exec_lo, exec_lo, s18
.LBB25_24:
	s_delay_alu instid0(SALU_CYCLE_1)
	s_or_b32 exec_lo, exec_lo, s17
.LBB25_25:
	s_delay_alu instid0(SALU_CYCLE_1)
	s_or_b32 exec_lo, exec_lo, s16
.LBB25_26:
	s_delay_alu instid0(SALU_CYCLE_1)
	s_or_b32 exec_lo, exec_lo, s15
.LBB25_27:
	s_delay_alu instid0(SALU_CYCLE_1)
	s_or_b32 exec_lo, exec_lo, s11
.LBB25_28:
	s_delay_alu instid0(SALU_CYCLE_1)
	s_or_b32 exec_lo, exec_lo, s10
.LBB25_29:
	s_delay_alu instid0(SALU_CYCLE_1)
	s_or_b32 exec_lo, exec_lo, s9
.LBB25_30:
	s_delay_alu instid0(SALU_CYCLE_1)
	s_or_b32 exec_lo, exec_lo, s8
.LBB25_31:
	s_delay_alu instid0(SALU_CYCLE_1)
	s_or_b32 exec_lo, exec_lo, s7
.LBB25_32:
	s_delay_alu instid0(SALU_CYCLE_1)
	s_or_b32 exec_lo, exec_lo, s6
	s_wait_loadcnt 0x0
	v_dual_mov_b32 v4, v3 :: v_dual_mov_b32 v3, v2
.LBB25_33:
	s_or_b32 exec_lo, exec_lo, s14
.LBB25_34:
	s_delay_alu instid0(SALU_CYCLE_1) | instskip(NEXT) | instid1(SALU_CYCLE_1)
	s_or_b32 exec_lo, exec_lo, s13
	s_or_b32 exec_lo, exec_lo, s3
                                        ; implicit-def: $vgpr2
	s_and_saveexec_b32 s0, vcc_lo
	s_cbranch_execz .LBB25_37
	s_branch .LBB25_36
.LBB25_35:
	s_or_b32 exec_lo, exec_lo, s3
                                        ; implicit-def: $vgpr2
	s_and_saveexec_b32 s0, vcc_lo
	s_cbranch_execz .LBB25_37
.LBB25_36:
	s_and_b32 s3, 0xffff, s12
	s_wait_loadcnt 0x2
	v_mul_lo_u16 v2, v34, s12
	s_lshr_b32 s3, s3, 8
	s_wait_loadcnt 0x1
	v_mul_lo_u16 v5, v36, s3
	s_wait_loadcnt 0x0
	s_delay_alu instid0(VALU_DEP_1)
	v_mad_u16 v2, v5, v37, v2
.LBB25_37:
	s_or_b32 exec_lo, exec_lo, s0
	s_delay_alu instid0(SALU_CYCLE_1)
	s_mov_b32 s3, exec_lo
                                        ; implicit-def: $vgpr5
	v_cmpx_gt_i32_e64 s1, v10
	s_cbranch_execz .LBB25_39
; %bb.38:
	s_and_b32 s0, 0xffff, s12
	s_wait_loadcnt 0x2
	v_mul_lo_u16 v5, v31, s12
	s_lshr_b32 s0, s0, 8
	s_wait_loadcnt 0x1
	v_mul_lo_u16 v6, v32, s0
	s_wait_loadcnt 0x0
	s_delay_alu instid0(VALU_DEP_1)
	v_mad_u16 v5, v6, v29, v5
.LBB25_39:
	s_or_b32 exec_lo, exec_lo, s3
	v_or_b32_e32 v6, 0x200, v0
	s_delay_alu instid0(VALU_DEP_1)
	v_cmp_gt_i32_e64 s0, s1, v6
                                        ; implicit-def: $vgpr6
	s_and_saveexec_b32 s3, s0
; %bb.40:
	s_and_b32 s0, 0xffff, s12
	v_mul_lo_u16 v6, v27, s12
	s_lshr_b32 s0, s0, 8
	s_delay_alu instid0(SALU_CYCLE_1) | instskip(NEXT) | instid1(VALU_DEP_1)
	v_mul_lo_u16 v7, v25, s0
	v_mad_u16 v6, v7, v3, v6
; %bb.41:
	s_or_b32 exec_lo, exec_lo, s3
	v_or_b32_e32 v3, 0x300, v0
	s_delay_alu instid0(VALU_DEP_1)
	v_cmp_gt_i32_e64 s0, s1, v3
                                        ; implicit-def: $vgpr3
	s_and_saveexec_b32 s3, s0
; %bb.42:
	s_and_b32 s0, 0xffff, s12
	v_mul_lo_u16 v3, v21, s12
	s_lshr_b32 s0, s0, 8
	s_delay_alu instid0(SALU_CYCLE_1) | instskip(NEXT) | instid1(VALU_DEP_1)
	v_mul_lo_u16 v7, v20, s0
	v_mad_u16 v3, v7, v4, v3
; %bb.43:
	s_or_b32 exec_lo, exec_lo, s3
	v_or_b32_e32 v4, 0x400, v0
	s_delay_alu instid0(VALU_DEP_1)
	v_cmp_gt_i32_e64 s0, s1, v4
                                        ; implicit-def: $vgpr4
	s_and_saveexec_b32 s3, s0
; %bb.44:
	s_and_b32 s0, 0xffff, s12
	v_mul_lo_u16 v4, v18, s12
	s_lshr_b32 s0, s0, 8
	s_delay_alu instid0(SALU_CYCLE_1) | instskip(NEXT) | instid1(VALU_DEP_1)
	v_mul_lo_u16 v7, v16, s0
	v_mad_u16 v4, v7, v13, v4
; %bb.45:
	s_or_b32 exec_lo, exec_lo, s3
	v_or_b32_e32 v7, 0x500, v0
	s_delay_alu instid0(VALU_DEP_1)
	v_cmp_gt_i32_e64 s0, s1, v7
                                        ; implicit-def: $vgpr7
	s_and_saveexec_b32 s3, s0
; %bb.46:
	s_and_b32 s0, 0xffff, s12
	v_mul_lo_u16 v7, v19, s12
	s_lshr_b32 s0, s0, 8
	s_delay_alu instid0(SALU_CYCLE_1) | instskip(NEXT) | instid1(VALU_DEP_1)
	v_mul_lo_u16 v8, v14, s0
	v_mad_u16 v7, v8, v11, v7
; %bb.47:
	s_or_b32 exec_lo, exec_lo, s3
	v_or_b32_e32 v8, 0x600, v0
	s_delay_alu instid0(VALU_DEP_1)
	v_cmp_gt_i32_e64 s0, s1, v8
                                        ; implicit-def: $vgpr8
	s_and_saveexec_b32 s3, s0
; %bb.48:
	s_and_b32 s0, 0xffff, s12
	v_mul_lo_u16 v8, v22, s12
	s_lshr_b32 s0, s0, 8
	s_delay_alu instid0(SALU_CYCLE_1) | instskip(NEXT) | instid1(VALU_DEP_1)
	v_mul_lo_u16 v9, v17, s0
	v_mad_u16 v8, v9, v12, v8
; %bb.49:
	s_or_b32 exec_lo, exec_lo, s3
	v_or_b32_e32 v9, 0x700, v0
	s_delay_alu instid0(VALU_DEP_1)
	v_cmp_gt_i32_e64 s0, s1, v9
                                        ; implicit-def: $vgpr9
	s_and_saveexec_b32 s3, s0
; %bb.50:
	s_and_b32 s0, 0xffff, s12
	v_mul_lo_u16 v9, v26, s12
	s_lshr_b32 s0, s0, 8
	s_delay_alu instid0(SALU_CYCLE_1) | instskip(NEXT) | instid1(VALU_DEP_1)
	v_mul_lo_u16 v11, v23, s0
	v_mad_u16 v9, v11, v15, v9
; %bb.51:
	s_or_b32 exec_lo, exec_lo, s3
	v_or_b32_e32 v11, 0x800, v0
	s_delay_alu instid0(VALU_DEP_1)
	v_cmp_gt_i32_e64 s0, s1, v11
                                        ; implicit-def: $vgpr11
	s_and_saveexec_b32 s3, s0
; %bb.52:
	s_and_b32 s0, 0xffff, s12
	v_mul_lo_u16 v11, v33, s12
	s_lshr_b32 s0, s0, 8
	s_delay_alu instid0(SALU_CYCLE_1) | instskip(NEXT) | instid1(VALU_DEP_1)
	v_mul_lo_u16 v12, v28, s0
	v_mad_u16 v11, v12, v24, v11
; %bb.53:
	s_or_b32 exec_lo, exec_lo, s3
	v_or_b32_e32 v12, 0x900, v0
	s_delay_alu instid0(VALU_DEP_1)
	v_cmp_gt_i32_e64 s0, s1, v12
                                        ; implicit-def: $vgpr12
	s_and_saveexec_b32 s3, s0
; %bb.54:
	s_and_b32 s0, 0xffff, s12
	v_mul_lo_u16 v12, v39, s12
	s_lshr_b32 s0, s0, 8
	s_delay_alu instid0(SALU_CYCLE_1) | instskip(NEXT) | instid1(VALU_DEP_1)
	v_mul_lo_u16 v13, v35, s0
	v_mad_u16 v12, v13, v30, v12
; %bb.55:
	s_or_b32 exec_lo, exec_lo, s3
	v_or_b32_e32 v13, 0xa00, v0
	s_delay_alu instid0(VALU_DEP_1)
	v_cmp_gt_i32_e64 s0, s1, v13
                                        ; implicit-def: $vgpr13
	s_and_saveexec_b32 s3, s0
; %bb.56:
	s_and_b32 s0, 0xffff, s12
	v_mul_lo_u16 v13, v42, s12
	s_lshr_b32 s0, s0, 8
	s_delay_alu instid0(SALU_CYCLE_1) | instskip(NEXT) | instid1(VALU_DEP_1)
	v_mul_lo_u16 v14, v40, s0
	v_mad_u16 v13, v14, v38, v13
; %bb.57:
	s_or_b32 exec_lo, exec_lo, s3
	v_or_b32_e32 v14, 0xb00, v0
	s_delay_alu instid0(VALU_DEP_1)
	v_cmp_gt_i32_e64 s0, s1, v14
                                        ; implicit-def: $vgpr14
	s_and_saveexec_b32 s3, s0
; %bb.58:
	s_and_b32 s0, 0xffff, s12
	v_mul_lo_u16 v14, v45, s12
	s_lshr_b32 s0, s0, 8
	s_delay_alu instid0(SALU_CYCLE_1) | instskip(NEXT) | instid1(VALU_DEP_1)
	v_mul_lo_u16 v15, v43, s0
	v_mad_u16 v14, v15, v41, v14
; %bb.59:
	s_or_b32 exec_lo, exec_lo, s3
	v_or_b32_e32 v15, 0xc00, v0
	s_delay_alu instid0(VALU_DEP_1)
	v_cmp_gt_i32_e64 s0, s1, v15
                                        ; implicit-def: $vgpr15
	s_and_saveexec_b32 s3, s0
; %bb.60:
	s_and_b32 s0, 0xffff, s12
	v_mul_lo_u16 v15, v48, s12
	s_lshr_b32 s0, s0, 8
	s_delay_alu instid0(SALU_CYCLE_1) | instskip(NEXT) | instid1(VALU_DEP_1)
	v_mul_lo_u16 v16, v46, s0
	v_mad_u16 v15, v16, v44, v15
; %bb.61:
	s_or_b32 exec_lo, exec_lo, s3
	v_or_b32_e32 v16, 0xd00, v0
	s_delay_alu instid0(VALU_DEP_1)
	v_cmp_gt_i32_e64 s0, s1, v16
                                        ; implicit-def: $vgpr16
	s_and_saveexec_b32 s3, s0
; %bb.62:
	s_and_b32 s0, 0xffff, s12
	v_mul_lo_u16 v16, v50, s12
	s_lshr_b32 s0, s0, 8
	s_delay_alu instid0(SALU_CYCLE_1) | instskip(NEXT) | instid1(VALU_DEP_1)
	v_mul_lo_u16 v17, v49, s0
	v_mad_u16 v16, v17, v47, v16
; %bb.63:
	s_or_b32 exec_lo, exec_lo, s3
	v_or_b32_e32 v17, 0xe00, v0
	s_delay_alu instid0(VALU_DEP_1)
	v_cmp_gt_i32_e64 s0, s1, v17
                                        ; implicit-def: $vgpr17
	s_and_saveexec_b32 s3, s0
; %bb.64:
	s_and_b32 s0, 0xffff, s12
	v_mul_lo_u16 v17, v53, s12
	s_lshr_b32 s0, s0, 8
	s_delay_alu instid0(SALU_CYCLE_1) | instskip(NEXT) | instid1(VALU_DEP_1)
	v_mul_lo_u16 v18, v52, s0
	v_mad_u16 v17, v18, v51, v17
; %bb.65:
	s_or_b32 exec_lo, exec_lo, s3
	v_or_b32_e32 v18, 0xf00, v0
	s_delay_alu instid0(VALU_DEP_1)
	v_cmp_gt_i32_e64 s0, s1, v18
                                        ; implicit-def: $vgpr18
	s_and_saveexec_b32 s3, s0
	s_cbranch_execz .LBB25_84
; %bb.66:
	s_and_b32 s0, 0xffff, s12
	v_mul_lo_u16 v18, v56, s12
	s_lshr_b32 s0, s0, 8
	s_delay_alu instid0(SALU_CYCLE_1) | instskip(NEXT) | instid1(VALU_DEP_1)
	v_mul_lo_u16 v19, v55, s0
	v_mad_u16 v18, v19, v54, v18
	s_or_b32 exec_lo, exec_lo, s3
	s_and_saveexec_b32 s0, vcc_lo
	s_delay_alu instid0(SALU_CYCLE_1)
	s_xor_b32 s0, exec_lo, s0
	s_cbranch_execnz .LBB25_85
.LBB25_67:
	s_or_b32 exec_lo, exec_lo, s0
	s_delay_alu instid0(SALU_CYCLE_1)
	s_mov_b32 s0, exec_lo
	v_cmpx_gt_i32_e64 s1, v0
	s_cbranch_execz .LBB25_86
.LBB25_68:
	v_add_nc_u32_e32 v1, s2, v0
	v_add_nc_u32_e32 v0, 0x100, v0
	global_store_b8 v1, v5, s[4:5]
	s_wait_xcnt 0x0
	s_or_b32 exec_lo, exec_lo, s0
	s_delay_alu instid0(SALU_CYCLE_1)
	s_mov_b32 s0, exec_lo
	v_cmpx_gt_i32_e64 s1, v0
	s_cbranch_execnz .LBB25_87
.LBB25_69:
	s_or_b32 exec_lo, exec_lo, s0
	s_delay_alu instid0(SALU_CYCLE_1)
	s_mov_b32 s0, exec_lo
	v_cmpx_gt_i32_e64 s1, v0
	s_cbranch_execz .LBB25_88
.LBB25_70:
	v_add_nc_u32_e32 v1, s2, v0
	v_add_nc_u32_e32 v0, 0x100, v0
	global_store_b8 v1, v3, s[4:5]
	s_wait_xcnt 0x0
	s_or_b32 exec_lo, exec_lo, s0
	s_delay_alu instid0(SALU_CYCLE_1)
	s_mov_b32 s0, exec_lo
	v_cmpx_gt_i32_e64 s1, v0
	s_cbranch_execnz .LBB25_89
.LBB25_71:
	s_or_b32 exec_lo, exec_lo, s0
	s_delay_alu instid0(SALU_CYCLE_1)
	s_mov_b32 s0, exec_lo
	v_cmpx_gt_i32_e64 s1, v0
	s_cbranch_execz .LBB25_90
.LBB25_72:
	v_add_nc_u32_e32 v1, s2, v0
	v_add_nc_u32_e32 v0, 0x100, v0
	global_store_b8 v1, v7, s[4:5]
	s_wait_xcnt 0x0
	s_or_b32 exec_lo, exec_lo, s0
	s_delay_alu instid0(SALU_CYCLE_1)
	s_mov_b32 s0, exec_lo
	v_cmpx_gt_i32_e64 s1, v0
	s_cbranch_execnz .LBB25_91
.LBB25_73:
	s_or_b32 exec_lo, exec_lo, s0
	s_delay_alu instid0(SALU_CYCLE_1)
	s_mov_b32 s0, exec_lo
	v_cmpx_gt_i32_e64 s1, v0
	s_cbranch_execz .LBB25_92
.LBB25_74:
	v_add_nc_u32_e32 v1, s2, v0
	v_add_nc_u32_e32 v0, 0x100, v0
	global_store_b8 v1, v9, s[4:5]
	s_wait_xcnt 0x0
	s_or_b32 exec_lo, exec_lo, s0
	s_delay_alu instid0(SALU_CYCLE_1)
	s_mov_b32 s0, exec_lo
	v_cmpx_gt_i32_e64 s1, v0
	s_cbranch_execnz .LBB25_93
.LBB25_75:
	s_or_b32 exec_lo, exec_lo, s0
	s_delay_alu instid0(SALU_CYCLE_1)
	s_mov_b32 s0, exec_lo
	v_cmpx_gt_i32_e64 s1, v0
	s_cbranch_execz .LBB25_94
.LBB25_76:
	v_add_nc_u32_e32 v1, s2, v0
	v_add_nc_u32_e32 v0, 0x100, v0
	global_store_b8 v1, v12, s[4:5]
	s_wait_xcnt 0x0
	s_or_b32 exec_lo, exec_lo, s0
	s_delay_alu instid0(SALU_CYCLE_1)
	s_mov_b32 s0, exec_lo
	v_cmpx_gt_i32_e64 s1, v0
	s_cbranch_execnz .LBB25_95
.LBB25_77:
	s_or_b32 exec_lo, exec_lo, s0
	s_delay_alu instid0(SALU_CYCLE_1)
	s_mov_b32 s0, exec_lo
	v_cmpx_gt_i32_e64 s1, v0
	s_cbranch_execz .LBB25_96
.LBB25_78:
	v_add_nc_u32_e32 v1, s2, v0
	v_add_nc_u32_e32 v0, 0x100, v0
	global_store_b8 v1, v14, s[4:5]
	s_wait_xcnt 0x0
	s_or_b32 exec_lo, exec_lo, s0
	s_delay_alu instid0(SALU_CYCLE_1)
	s_mov_b32 s0, exec_lo
	v_cmpx_gt_i32_e64 s1, v0
	s_cbranch_execnz .LBB25_97
.LBB25_79:
	s_or_b32 exec_lo, exec_lo, s0
	s_delay_alu instid0(SALU_CYCLE_1)
	s_mov_b32 s0, exec_lo
	v_cmpx_gt_i32_e64 s1, v0
	s_cbranch_execz .LBB25_98
.LBB25_80:
	v_add_nc_u32_e32 v1, s2, v0
	v_add_nc_u32_e32 v0, 0x100, v0
	global_store_b8 v1, v16, s[4:5]
	s_wait_xcnt 0x0
	s_or_b32 exec_lo, exec_lo, s0
	s_delay_alu instid0(SALU_CYCLE_1)
	s_mov_b32 s0, exec_lo
	v_cmpx_gt_i32_e64 s1, v0
	s_cbranch_execnz .LBB25_99
.LBB25_81:
	s_or_b32 exec_lo, exec_lo, s0
	s_delay_alu instid0(SALU_CYCLE_1)
	s_mov_b32 s0, exec_lo
	v_cmpx_gt_i32_e64 s1, v0
	s_cbranch_execz .LBB25_83
.LBB25_82:
	v_add_nc_u32_e32 v0, s2, v0
	global_store_b8 v0, v18, s[4:5]
.LBB25_83:
	s_endpgm
.LBB25_84:
	s_or_b32 exec_lo, exec_lo, s3
	s_and_saveexec_b32 s0, vcc_lo
	s_delay_alu instid0(SALU_CYCLE_1)
	s_xor_b32 s0, exec_lo, s0
	s_cbranch_execz .LBB25_67
.LBB25_85:
	v_mov_b32_e32 v0, v10
	global_store_b8 v1, v2, s[4:5]
	s_wait_xcnt 0x0
	s_or_b32 exec_lo, exec_lo, s0
	s_delay_alu instid0(SALU_CYCLE_1)
	s_mov_b32 s0, exec_lo
	v_cmpx_gt_i32_e64 s1, v0
	s_cbranch_execnz .LBB25_68
.LBB25_86:
	s_or_b32 exec_lo, exec_lo, s0
	s_delay_alu instid0(SALU_CYCLE_1)
	s_mov_b32 s0, exec_lo
	v_cmpx_gt_i32_e64 s1, v0
	s_cbranch_execz .LBB25_69
.LBB25_87:
	v_add_nc_u32_e32 v1, s2, v0
	v_add_nc_u32_e32 v0, 0x100, v0
	global_store_b8 v1, v6, s[4:5]
	s_wait_xcnt 0x0
	s_or_b32 exec_lo, exec_lo, s0
	s_delay_alu instid0(SALU_CYCLE_1)
	s_mov_b32 s0, exec_lo
	v_cmpx_gt_i32_e64 s1, v0
	s_cbranch_execnz .LBB25_70
.LBB25_88:
	s_or_b32 exec_lo, exec_lo, s0
	s_delay_alu instid0(SALU_CYCLE_1)
	s_mov_b32 s0, exec_lo
	v_cmpx_gt_i32_e64 s1, v0
	s_cbranch_execz .LBB25_71
.LBB25_89:
	v_add_nc_u32_e32 v1, s2, v0
	v_add_nc_u32_e32 v0, 0x100, v0
	global_store_b8 v1, v4, s[4:5]
	s_wait_xcnt 0x0
	s_or_b32 exec_lo, exec_lo, s0
	s_delay_alu instid0(SALU_CYCLE_1)
	s_mov_b32 s0, exec_lo
	v_cmpx_gt_i32_e64 s1, v0
	s_cbranch_execnz .LBB25_72
.LBB25_90:
	s_or_b32 exec_lo, exec_lo, s0
	s_delay_alu instid0(SALU_CYCLE_1)
	s_mov_b32 s0, exec_lo
	v_cmpx_gt_i32_e64 s1, v0
	s_cbranch_execz .LBB25_73
.LBB25_91:
	v_add_nc_u32_e32 v1, s2, v0
	v_add_nc_u32_e32 v0, 0x100, v0
	global_store_b8 v1, v8, s[4:5]
	s_wait_xcnt 0x0
	s_or_b32 exec_lo, exec_lo, s0
	s_delay_alu instid0(SALU_CYCLE_1)
	s_mov_b32 s0, exec_lo
	v_cmpx_gt_i32_e64 s1, v0
	s_cbranch_execnz .LBB25_74
.LBB25_92:
	s_or_b32 exec_lo, exec_lo, s0
	s_delay_alu instid0(SALU_CYCLE_1)
	s_mov_b32 s0, exec_lo
	v_cmpx_gt_i32_e64 s1, v0
	s_cbranch_execz .LBB25_75
.LBB25_93:
	v_add_nc_u32_e32 v1, s2, v0
	v_add_nc_u32_e32 v0, 0x100, v0
	global_store_b8 v1, v11, s[4:5]
	s_wait_xcnt 0x0
	s_or_b32 exec_lo, exec_lo, s0
	s_delay_alu instid0(SALU_CYCLE_1)
	s_mov_b32 s0, exec_lo
	v_cmpx_gt_i32_e64 s1, v0
	s_cbranch_execnz .LBB25_76
.LBB25_94:
	s_or_b32 exec_lo, exec_lo, s0
	s_delay_alu instid0(SALU_CYCLE_1)
	s_mov_b32 s0, exec_lo
	v_cmpx_gt_i32_e64 s1, v0
	s_cbranch_execz .LBB25_77
.LBB25_95:
	v_add_nc_u32_e32 v1, s2, v0
	v_add_nc_u32_e32 v0, 0x100, v0
	global_store_b8 v1, v13, s[4:5]
	s_wait_xcnt 0x0
	s_or_b32 exec_lo, exec_lo, s0
	s_delay_alu instid0(SALU_CYCLE_1)
	s_mov_b32 s0, exec_lo
	v_cmpx_gt_i32_e64 s1, v0
	s_cbranch_execnz .LBB25_78
.LBB25_96:
	s_or_b32 exec_lo, exec_lo, s0
	s_delay_alu instid0(SALU_CYCLE_1)
	s_mov_b32 s0, exec_lo
	v_cmpx_gt_i32_e64 s1, v0
	s_cbranch_execz .LBB25_79
.LBB25_97:
	v_add_nc_u32_e32 v1, s2, v0
	v_add_nc_u32_e32 v0, 0x100, v0
	global_store_b8 v1, v15, s[4:5]
	s_wait_xcnt 0x0
	s_or_b32 exec_lo, exec_lo, s0
	s_delay_alu instid0(SALU_CYCLE_1)
	s_mov_b32 s0, exec_lo
	v_cmpx_gt_i32_e64 s1, v0
	s_cbranch_execnz .LBB25_80
.LBB25_98:
	s_or_b32 exec_lo, exec_lo, s0
	s_delay_alu instid0(SALU_CYCLE_1)
	s_mov_b32 s0, exec_lo
	v_cmpx_gt_i32_e64 s1, v0
	s_cbranch_execz .LBB25_81
.LBB25_99:
	v_add_nc_u32_e32 v1, s2, v0
	v_add_nc_u32_e32 v0, 0x100, v0
	global_store_b8 v1, v17, s[4:5]
	s_wait_xcnt 0x0
	s_or_b32 exec_lo, exec_lo, s0
	s_delay_alu instid0(SALU_CYCLE_1)
	s_mov_b32 s0, exec_lo
	v_cmpx_gt_i32_e64 s1, v0
	s_cbranch_execnz .LBB25_82
	s_branch .LBB25_83
	.section	.rodata,"a",@progbits
	.p2align	6, 0x0
	.amdhsa_kernel _ZN2at6native29vectorized_elementwise_kernelILi8EZZZNS0_12_GLOBAL__N_116addr_kernel_cudaERNS_14TensorIteratorERKN3c106ScalarES8_ENKUlvE_clEvENKUlvE_clEvEUlhhhE0_St5arrayIPcLm4EEEEviT0_T1_
		.amdhsa_group_segment_fixed_size 0
		.amdhsa_private_segment_fixed_size 0
		.amdhsa_kernarg_size 40
		.amdhsa_user_sgpr_count 2
		.amdhsa_user_sgpr_dispatch_ptr 0
		.amdhsa_user_sgpr_queue_ptr 0
		.amdhsa_user_sgpr_kernarg_segment_ptr 1
		.amdhsa_user_sgpr_dispatch_id 0
		.amdhsa_user_sgpr_kernarg_preload_length 0
		.amdhsa_user_sgpr_kernarg_preload_offset 0
		.amdhsa_user_sgpr_private_segment_size 0
		.amdhsa_wavefront_size32 1
		.amdhsa_uses_dynamic_stack 0
		.amdhsa_enable_private_segment 0
		.amdhsa_system_sgpr_workgroup_id_x 1
		.amdhsa_system_sgpr_workgroup_id_y 0
		.amdhsa_system_sgpr_workgroup_id_z 0
		.amdhsa_system_sgpr_workgroup_info 0
		.amdhsa_system_vgpr_workitem_id 0
		.amdhsa_next_free_vgpr 57
		.amdhsa_next_free_sgpr 22
		.amdhsa_named_barrier_count 0
		.amdhsa_reserve_vcc 1
		.amdhsa_float_round_mode_32 0
		.amdhsa_float_round_mode_16_64 0
		.amdhsa_float_denorm_mode_32 3
		.amdhsa_float_denorm_mode_16_64 3
		.amdhsa_fp16_overflow 0
		.amdhsa_memory_ordered 1
		.amdhsa_forward_progress 1
		.amdhsa_inst_pref_size 52
		.amdhsa_round_robin_scheduling 0
		.amdhsa_exception_fp_ieee_invalid_op 0
		.amdhsa_exception_fp_denorm_src 0
		.amdhsa_exception_fp_ieee_div_zero 0
		.amdhsa_exception_fp_ieee_overflow 0
		.amdhsa_exception_fp_ieee_underflow 0
		.amdhsa_exception_fp_ieee_inexact 0
		.amdhsa_exception_int_div_zero 0
	.end_amdhsa_kernel
	.section	.text._ZN2at6native29vectorized_elementwise_kernelILi8EZZZNS0_12_GLOBAL__N_116addr_kernel_cudaERNS_14TensorIteratorERKN3c106ScalarES8_ENKUlvE_clEvENKUlvE_clEvEUlhhhE0_St5arrayIPcLm4EEEEviT0_T1_,"axG",@progbits,_ZN2at6native29vectorized_elementwise_kernelILi8EZZZNS0_12_GLOBAL__N_116addr_kernel_cudaERNS_14TensorIteratorERKN3c106ScalarES8_ENKUlvE_clEvENKUlvE_clEvEUlhhhE0_St5arrayIPcLm4EEEEviT0_T1_,comdat
.Lfunc_end25:
	.size	_ZN2at6native29vectorized_elementwise_kernelILi8EZZZNS0_12_GLOBAL__N_116addr_kernel_cudaERNS_14TensorIteratorERKN3c106ScalarES8_ENKUlvE_clEvENKUlvE_clEvEUlhhhE0_St5arrayIPcLm4EEEEviT0_T1_, .Lfunc_end25-_ZN2at6native29vectorized_elementwise_kernelILi8EZZZNS0_12_GLOBAL__N_116addr_kernel_cudaERNS_14TensorIteratorERKN3c106ScalarES8_ENKUlvE_clEvENKUlvE_clEvEUlhhhE0_St5arrayIPcLm4EEEEviT0_T1_
                                        ; -- End function
	.set _ZN2at6native29vectorized_elementwise_kernelILi8EZZZNS0_12_GLOBAL__N_116addr_kernel_cudaERNS_14TensorIteratorERKN3c106ScalarES8_ENKUlvE_clEvENKUlvE_clEvEUlhhhE0_St5arrayIPcLm4EEEEviT0_T1_.num_vgpr, 57
	.set _ZN2at6native29vectorized_elementwise_kernelILi8EZZZNS0_12_GLOBAL__N_116addr_kernel_cudaERNS_14TensorIteratorERKN3c106ScalarES8_ENKUlvE_clEvENKUlvE_clEvEUlhhhE0_St5arrayIPcLm4EEEEviT0_T1_.num_agpr, 0
	.set _ZN2at6native29vectorized_elementwise_kernelILi8EZZZNS0_12_GLOBAL__N_116addr_kernel_cudaERNS_14TensorIteratorERKN3c106ScalarES8_ENKUlvE_clEvENKUlvE_clEvEUlhhhE0_St5arrayIPcLm4EEEEviT0_T1_.numbered_sgpr, 22
	.set _ZN2at6native29vectorized_elementwise_kernelILi8EZZZNS0_12_GLOBAL__N_116addr_kernel_cudaERNS_14TensorIteratorERKN3c106ScalarES8_ENKUlvE_clEvENKUlvE_clEvEUlhhhE0_St5arrayIPcLm4EEEEviT0_T1_.num_named_barrier, 0
	.set _ZN2at6native29vectorized_elementwise_kernelILi8EZZZNS0_12_GLOBAL__N_116addr_kernel_cudaERNS_14TensorIteratorERKN3c106ScalarES8_ENKUlvE_clEvENKUlvE_clEvEUlhhhE0_St5arrayIPcLm4EEEEviT0_T1_.private_seg_size, 0
	.set _ZN2at6native29vectorized_elementwise_kernelILi8EZZZNS0_12_GLOBAL__N_116addr_kernel_cudaERNS_14TensorIteratorERKN3c106ScalarES8_ENKUlvE_clEvENKUlvE_clEvEUlhhhE0_St5arrayIPcLm4EEEEviT0_T1_.uses_vcc, 1
	.set _ZN2at6native29vectorized_elementwise_kernelILi8EZZZNS0_12_GLOBAL__N_116addr_kernel_cudaERNS_14TensorIteratorERKN3c106ScalarES8_ENKUlvE_clEvENKUlvE_clEvEUlhhhE0_St5arrayIPcLm4EEEEviT0_T1_.uses_flat_scratch, 0
	.set _ZN2at6native29vectorized_elementwise_kernelILi8EZZZNS0_12_GLOBAL__N_116addr_kernel_cudaERNS_14TensorIteratorERKN3c106ScalarES8_ENKUlvE_clEvENKUlvE_clEvEUlhhhE0_St5arrayIPcLm4EEEEviT0_T1_.has_dyn_sized_stack, 0
	.set _ZN2at6native29vectorized_elementwise_kernelILi8EZZZNS0_12_GLOBAL__N_116addr_kernel_cudaERNS_14TensorIteratorERKN3c106ScalarES8_ENKUlvE_clEvENKUlvE_clEvEUlhhhE0_St5arrayIPcLm4EEEEviT0_T1_.has_recursion, 0
	.set _ZN2at6native29vectorized_elementwise_kernelILi8EZZZNS0_12_GLOBAL__N_116addr_kernel_cudaERNS_14TensorIteratorERKN3c106ScalarES8_ENKUlvE_clEvENKUlvE_clEvEUlhhhE0_St5arrayIPcLm4EEEEviT0_T1_.has_indirect_call, 0
	.section	.AMDGPU.csdata,"",@progbits
; Kernel info:
; codeLenInByte = 6596
; TotalNumSgprs: 24
; NumVgprs: 57
; ScratchSize: 0
; MemoryBound: 0
; FloatMode: 240
; IeeeMode: 1
; LDSByteSize: 0 bytes/workgroup (compile time only)
; SGPRBlocks: 0
; VGPRBlocks: 3
; NumSGPRsForWavesPerEU: 24
; NumVGPRsForWavesPerEU: 57
; NamedBarCnt: 0
; Occupancy: 16
; WaveLimiterHint : 1
; COMPUTE_PGM_RSRC2:SCRATCH_EN: 0
; COMPUTE_PGM_RSRC2:USER_SGPR: 2
; COMPUTE_PGM_RSRC2:TRAP_HANDLER: 0
; COMPUTE_PGM_RSRC2:TGID_X_EN: 1
; COMPUTE_PGM_RSRC2:TGID_Y_EN: 0
; COMPUTE_PGM_RSRC2:TGID_Z_EN: 0
; COMPUTE_PGM_RSRC2:TIDIG_COMP_CNT: 0
	.section	.text._ZN2at6native29vectorized_elementwise_kernelILi4EZZZNS0_12_GLOBAL__N_116addr_kernel_cudaERNS_14TensorIteratorERKN3c106ScalarES8_ENKUlvE_clEvENKUlvE_clEvEUlhhhE0_St5arrayIPcLm4EEEEviT0_T1_,"axG",@progbits,_ZN2at6native29vectorized_elementwise_kernelILi4EZZZNS0_12_GLOBAL__N_116addr_kernel_cudaERNS_14TensorIteratorERKN3c106ScalarES8_ENKUlvE_clEvENKUlvE_clEvEUlhhhE0_St5arrayIPcLm4EEEEviT0_T1_,comdat
	.globl	_ZN2at6native29vectorized_elementwise_kernelILi4EZZZNS0_12_GLOBAL__N_116addr_kernel_cudaERNS_14TensorIteratorERKN3c106ScalarES8_ENKUlvE_clEvENKUlvE_clEvEUlhhhE0_St5arrayIPcLm4EEEEviT0_T1_ ; -- Begin function _ZN2at6native29vectorized_elementwise_kernelILi4EZZZNS0_12_GLOBAL__N_116addr_kernel_cudaERNS_14TensorIteratorERKN3c106ScalarES8_ENKUlvE_clEvENKUlvE_clEvEUlhhhE0_St5arrayIPcLm4EEEEviT0_T1_
	.p2align	8
	.type	_ZN2at6native29vectorized_elementwise_kernelILi4EZZZNS0_12_GLOBAL__N_116addr_kernel_cudaERNS_14TensorIteratorERKN3c106ScalarES8_ENKUlvE_clEvENKUlvE_clEvEUlhhhE0_St5arrayIPcLm4EEEEviT0_T1_,@function
_ZN2at6native29vectorized_elementwise_kernelILi4EZZZNS0_12_GLOBAL__N_116addr_kernel_cudaERNS_14TensorIteratorERKN3c106ScalarES8_ENKUlvE_clEvENKUlvE_clEvEUlhhhE0_St5arrayIPcLm4EEEEviT0_T1_: ; @_ZN2at6native29vectorized_elementwise_kernelILi4EZZZNS0_12_GLOBAL__N_116addr_kernel_cudaERNS_14TensorIteratorERKN3c106ScalarES8_ENKUlvE_clEvENKUlvE_clEvEUlhhhE0_St5arrayIPcLm4EEEEviT0_T1_
; %bb.0:
	v_mov_b32_e32 v1, 0
	s_clause 0x1
	s_load_b32 s3, s[0:1], 0x0
	s_load_b256 s[4:11], s[0:1], 0x8
	s_getreg_b32 s2, hwreg(HW_REG_IB_STS2, 6, 4)
	global_load_u16 v1, v1, s[0:1] offset:4
	s_wait_xcnt 0x0
	s_bfe_u32 s0, ttmp6, 0x4000c
	s_and_b32 s1, ttmp6, 15
	s_add_co_i32 s0, s0, 1
	s_delay_alu instid0(SALU_CYCLE_1) | instskip(NEXT) | instid1(SALU_CYCLE_1)
	s_mul_i32 s0, ttmp9, s0
	s_add_co_i32 s1, s1, s0
	s_cmp_eq_u32 s2, 0
	s_cselect_b32 s0, ttmp9, s1
	s_delay_alu instid0(SALU_CYCLE_1) | instskip(SKIP_3) | instid1(SALU_CYCLE_1)
	s_lshl_b32 s2, s0, 12
	s_mov_b32 s0, -1
	s_wait_kmcnt 0x0
	s_sub_co_i32 s1, s3, s2
	s_cmp_gt_i32 s1, 0xfff
	s_wait_loadcnt 0x0
	v_readfirstlane_b32 s12, v1
	s_cbranch_scc0 .LBB26_2
; %bb.1:
	s_ashr_i32 s3, s2, 31
	s_and_b32 s0, 0xffff, s12
	s_add_nc_u64 s[14:15], s[6:7], s[2:3]
	s_lshr_b32 s0, s0, 8
	s_clause 0x3
	global_load_b32 v1, v0, s[14:15] scale_offset
	global_load_b32 v2, v0, s[14:15] offset:1024 scale_offset
	global_load_b32 v3, v0, s[14:15] offset:2048 scale_offset
	global_load_b32 v4, v0, s[14:15] offset:3072 scale_offset
	s_wait_xcnt 0x0
	s_add_nc_u64 s[14:15], s[8:9], s[2:3]
	s_clause 0x3
	global_load_b32 v5, v0, s[14:15] scale_offset
	global_load_b32 v6, v0, s[14:15] offset:1024 scale_offset
	global_load_b32 v7, v0, s[14:15] offset:2048 scale_offset
	global_load_b32 v8, v0, s[14:15] offset:3072 scale_offset
	s_wait_xcnt 0x0
	s_add_nc_u64 s[14:15], s[10:11], s[2:3]
	;; [unrolled: 7-line block ×3, first 2 shown]
	s_wait_loadcnt 0xb
	v_dual_lshrrev_b32 v13, 8, v1 :: v_dual_lshrrev_b32 v14, 16, v1
	s_wait_loadcnt 0xa
	v_dual_lshrrev_b32 v15, 24, v1 :: v_dual_lshrrev_b32 v16, 8, v2
	;; [unrolled: 2-line block ×4, first 2 shown]
	v_mul_lo_u16 v1, v1, s12
	v_mul_lo_u16 v5, v5, s0
	v_dual_lshrrev_b32 v17, 16, v2 :: v_dual_lshrrev_b32 v18, 24, v2
	v_dual_lshrrev_b32 v29, 16, v6 :: v_dual_lshrrev_b32 v30, 24, v6
	v_mul_lo_u16 v2, v2, s12
	v_mul_lo_u16 v6, v6, s0
	v_dual_lshrrev_b32 v19, 8, v3 :: v_dual_lshrrev_b32 v20, 16, v3
	v_dual_lshrrev_b32 v21, 24, v3 :: v_dual_lshrrev_b32 v22, 8, v4
	s_wait_loadcnt 0x5
	v_dual_lshrrev_b32 v31, 8, v7 :: v_dual_lshrrev_b32 v32, 16, v7
	s_wait_loadcnt 0x4
	v_dual_lshrrev_b32 v33, 24, v7 :: v_dual_lshrrev_b32 v34, 8, v8
	v_mul_lo_u16 v3, v3, s12
	v_mul_lo_u16 v7, v7, s0
	v_dual_lshrrev_b32 v23, 16, v4 :: v_dual_lshrrev_b32 v24, 24, v4
	v_dual_lshrrev_b32 v35, 16, v8 :: v_dual_lshrrev_b32 v36, 24, v8
	v_mul_lo_u16 v4, v4, s12
	v_mul_lo_u16 v8, v8, s0
	s_wait_loadcnt 0x3
	v_dual_lshrrev_b32 v37, 8, v9 :: v_dual_lshrrev_b32 v38, 16, v9
	s_wait_loadcnt 0x2
	v_dual_lshrrev_b32 v39, 24, v9 :: v_dual_lshrrev_b32 v40, 8, v10
	v_mad_u16 v1, v5, v9, v1
	v_mul_lo_u16 v5, v13, s12
	v_mul_lo_u16 v9, v25, s0
	;; [unrolled: 1-line block ×4, first 2 shown]
	v_dual_lshrrev_b32 v41, 16, v10 :: v_dual_lshrrev_b32 v42, 24, v10
	v_mad_u16 v2, v6, v10, v2
	v_mul_lo_u16 v6, v16, s12
	v_mul_lo_u16 v10, v28, s0
	v_mul_lo_u16 v16, v17, s12
	v_mul_lo_u16 v17, v29, s0
	s_wait_loadcnt 0x1
	v_dual_lshrrev_b32 v43, 8, v11 :: v_dual_lshrrev_b32 v44, 16, v11
	s_wait_loadcnt 0x0
	v_dual_lshrrev_b32 v45, 24, v11 :: v_dual_lshrrev_b32 v46, 8, v12
	v_mad_u16 v3, v7, v11, v3
	v_mul_lo_u16 v7, v19, s12
	v_mul_lo_u16 v11, v31, s0
	;; [unrolled: 1-line block ×4, first 2 shown]
	v_dual_lshrrev_b32 v47, 16, v12 :: v_dual_lshrrev_b32 v48, 24, v12
	v_mad_u16 v4, v8, v12, v4
	v_mul_lo_u16 v8, v22, s12
	v_mul_lo_u16 v12, v34, s0
	;; [unrolled: 1-line block ×6, first 2 shown]
	v_mad_u16 v5, v9, v37, v5
	v_mad_u16 v9, v14, v38, v13
	v_mul_lo_u16 v18, v18, s12
	v_mul_lo_u16 v26, v30, s0
	v_mad_u16 v6, v10, v40, v6
	v_mad_u16 v10, v17, v41, v16
	v_mul_lo_u16 v21, v21, s12
	v_mul_lo_u16 v27, v33, s0
	;; [unrolled: 4-line block ×3, first 2 shown]
	v_mad_u16 v8, v12, v46, v8
	v_mad_u16 v12, v23, v47, v22
	v_mad_u16 v13, v25, v39, v15
	v_and_b32_e32 v5, 0xff, v5
	v_and_b32_e32 v9, 0xff, v9
	v_mad_u16 v14, v26, v42, v18
	v_and_b32_e32 v6, 0xff, v6
	v_and_b32_e32 v10, 0xff, v10
	v_mad_u16 v15, v27, v45, v21
	;; [unrolled: 3-line block ×3, first 2 shown]
	v_and_b32_e32 v8, 0xff, v8
	v_and_b32_e32 v12, 0xff, v12
	v_dual_lshlrev_b32 v13, 24, v13 :: v_dual_lshlrev_b32 v14, 24, v14
	v_perm_b32 v1, v5, v1, 0x6050400
	v_lshlrev_b32_e32 v5, 16, v9
	v_perm_b32 v2, v6, v2, 0x6050400
	v_dual_lshlrev_b32 v6, 16, v10 :: v_dual_lshlrev_b32 v15, 24, v15
	v_lshlrev_b32_e32 v16, 24, v16
	v_perm_b32 v3, v7, v3, 0x6050400
	v_lshlrev_b32_e32 v7, 16, v11
	v_perm_b32 v4, v8, v4, 0x6050400
	v_lshlrev_b32_e32 v8, 16, v12
	v_or3_b32 v1, v1, v5, v13
	v_or3_b32 v2, v2, v6, v14
	;; [unrolled: 1-line block ×3, first 2 shown]
	s_mov_b32 s0, 0
	v_or3_b32 v4, v4, v8, v16
	s_clause 0x3
	global_store_b32 v0, v1, s[14:15] scale_offset
	global_store_b32 v0, v2, s[14:15] offset:1024 scale_offset
	global_store_b32 v0, v3, s[14:15] offset:2048 scale_offset
	;; [unrolled: 1-line block ×3, first 2 shown]
.LBB26_2:
	s_and_not1_b32 vcc_lo, exec_lo, s0
	s_cbranch_vccnz .LBB26_83
; %bb.3:
	v_cmp_gt_i32_e32 vcc_lo, s1, v0
	s_wait_xcnt 0x3
	v_dual_mov_b32 v56, 0 :: v_dual_bitop2_b32 v1, s2, v0 bitop3:0x54
	v_or_b32_e32 v10, 0x100, v0
	v_dual_mov_b32 v55, 0 :: v_dual_mov_b32 v54, 0
	v_dual_mov_b32 v53, 0 :: v_dual_mov_b32 v52, 0
	;; [unrolled: 1-line block ×18, first 2 shown]
	s_wait_xcnt 0x0
	v_dual_mov_b32 v20, 0 :: v_dual_mov_b32 v4, 0
	v_dual_mov_b32 v27, 0 :: v_dual_mov_b32 v25, 0
	v_dual_mov_b32 v3, 0 :: v_dual_mov_b32 v31, 0
	v_dual_mov_b32 v32, 0 :: v_dual_mov_b32 v29, 0
	v_dual_mov_b32 v34, 0 :: v_dual_mov_b32 v36, 0
	v_mov_b32_e32 v37, 0
	s_and_saveexec_b32 s3, vcc_lo
	s_cbranch_execz .LBB26_35
; %bb.4:
	s_clause 0x2
	global_load_u8 v34, v1, s[6:7]
	global_load_u8 v36, v1, s[8:9]
	;; [unrolled: 1-line block ×3, first 2 shown]
	v_or_b32_e32 v2, 0x100, v0
	v_dual_mov_b32 v29, 0 :: v_dual_mov_b32 v32, 0
	v_dual_mov_b32 v31, 0 :: v_dual_mov_b32 v3, 0
	s_delay_alu instid0(VALU_DEP_3)
	v_cmp_gt_u32_e64 s0, s1, v2
	v_dual_mov_b32 v25, 0 :: v_dual_mov_b32 v27, 0
	v_dual_mov_b32 v4, 0 :: v_dual_mov_b32 v20, 0
	v_dual_mov_b32 v21, 0 :: v_dual_mov_b32 v13, 0
	v_dual_mov_b32 v16, 0 :: v_dual_mov_b32 v18, 0
	v_dual_mov_b32 v11, 0 :: v_dual_mov_b32 v14, 0
	v_dual_mov_b32 v19, 0 :: v_dual_mov_b32 v12, 0
	v_dual_mov_b32 v17, 0 :: v_dual_mov_b32 v22, 0
	v_dual_mov_b32 v15, 0 :: v_dual_mov_b32 v23, 0
	v_dual_mov_b32 v26, 0 :: v_dual_mov_b32 v24, 0
	v_dual_mov_b32 v28, 0 :: v_dual_mov_b32 v33, 0
	v_dual_mov_b32 v30, 0 :: v_dual_mov_b32 v35, 0
	v_dual_mov_b32 v39, 0 :: v_dual_mov_b32 v38, 0
	v_dual_mov_b32 v40, 0 :: v_dual_mov_b32 v42, 0
	v_dual_mov_b32 v41, 0 :: v_dual_mov_b32 v43, 0
	v_dual_mov_b32 v45, 0 :: v_dual_mov_b32 v44, 0
	v_dual_mov_b32 v46, 0 :: v_dual_mov_b32 v48, 0
	v_dual_mov_b32 v47, 0 :: v_dual_mov_b32 v49, 0
	v_dual_mov_b32 v50, 0 :: v_dual_mov_b32 v51, 0
	v_dual_mov_b32 v52, 0 :: v_dual_mov_b32 v53, 0
	v_dual_mov_b32 v54, 0 :: v_dual_mov_b32 v55, 0
	v_mov_b32_e32 v56, 0
	s_wait_xcnt 0x0
	s_and_saveexec_b32 s13, s0
	s_cbranch_execz .LBB26_34
; %bb.5:
	v_dual_mov_b32 v3, 0 :: v_dual_add_nc_u32 v2, s2, v0
	v_or_b32_e32 v4, 0x200, v0
	v_dual_mov_b32 v25, 0 :: v_dual_mov_b32 v27, 0
	s_clause 0x2
	global_load_u8 v31, v2, s[6:7] offset:256
	global_load_u8 v32, v2, s[8:9] offset:256
	;; [unrolled: 1-line block ×3, first 2 shown]
	v_mov_b32_e32 v20, 0
	v_cmp_gt_u32_e64 s0, s1, v4
	v_dual_mov_b32 v4, 0 :: v_dual_mov_b32 v21, 0
	v_dual_mov_b32 v13, 0 :: v_dual_mov_b32 v16, 0
	;; [unrolled: 1-line block ×19, first 2 shown]
	s_wait_xcnt 0x0
	s_and_saveexec_b32 s14, s0
	s_cbranch_execz .LBB26_33
; %bb.6:
	v_add_nc_u64_e32 v[4:5], s[6:7], v[2:3]
	v_add_nc_u64_e32 v[6:7], s[8:9], v[2:3]
	v_add_nc_u64_e32 v[8:9], s[10:11], v[2:3]
	v_or_b32_e32 v11, 0x300, v0
	v_dual_mov_b32 v20, 0 :: v_dual_mov_b32 v21, 0
	v_dual_mov_b32 v13, 0 :: v_dual_mov_b32 v16, 0
	global_load_u8 v27, v[4:5], off offset:512
	global_load_u8 v25, v[6:7], off offset:512
	;; [unrolled: 1-line block ×3, first 2 shown]
	v_cmp_gt_u32_e64 s0, s1, v11
	v_dual_mov_b32 v18, 0 :: v_dual_mov_b32 v11, 0
	v_dual_mov_b32 v14, 0 :: v_dual_mov_b32 v19, 0
	v_dual_mov_b32 v12, 0 :: v_dual_mov_b32 v17, 0
	v_dual_mov_b32 v22, 0 :: v_dual_mov_b32 v15, 0
	v_dual_mov_b32 v23, 0 :: v_dual_mov_b32 v26, 0
	v_dual_mov_b32 v24, 0 :: v_dual_mov_b32 v28, 0
	v_dual_mov_b32 v33, 0 :: v_dual_mov_b32 v30, 0
	v_dual_mov_b32 v35, 0 :: v_dual_mov_b32 v39, 0
	v_dual_mov_b32 v38, 0 :: v_dual_mov_b32 v40, 0
	v_dual_mov_b32 v42, 0 :: v_dual_mov_b32 v41, 0
	v_dual_mov_b32 v43, 0 :: v_dual_mov_b32 v45, 0
	v_dual_mov_b32 v44, 0 :: v_dual_mov_b32 v46, 0
	v_dual_mov_b32 v48, 0 :: v_dual_mov_b32 v47, 0
	v_dual_mov_b32 v49, 0 :: v_dual_mov_b32 v50, 0
	v_dual_mov_b32 v51, 0 :: v_dual_mov_b32 v52, 0
	v_dual_mov_b32 v53, 0 :: v_dual_mov_b32 v54, 0
	v_dual_mov_b32 v55, 0 :: v_dual_mov_b32 v56, 0
	s_wait_xcnt 0x0
	s_and_saveexec_b32 s6, s0
	s_cbranch_execz .LBB26_32
; %bb.7:
	global_load_u8 v21, v[4:5], off offset:768
	global_load_u8 v20, v[6:7], off offset:768
	;; [unrolled: 1-line block ×3, first 2 shown]
	v_or_b32_e32 v11, 0x400, v0
	v_dual_mov_b32 v13, 0 :: v_dual_mov_b32 v16, 0
	v_dual_mov_b32 v18, 0 :: v_dual_mov_b32 v14, 0
	v_mov_b32_e32 v19, 0
	s_delay_alu instid0(VALU_DEP_4)
	v_cmp_gt_u32_e64 s0, s1, v11
	v_dual_mov_b32 v11, 0 :: v_dual_mov_b32 v12, 0
	v_dual_mov_b32 v17, 0 :: v_dual_mov_b32 v22, 0
	v_dual_mov_b32 v15, 0 :: v_dual_mov_b32 v23, 0
	v_dual_mov_b32 v26, 0 :: v_dual_mov_b32 v24, 0
	v_dual_mov_b32 v28, 0 :: v_dual_mov_b32 v33, 0
	v_dual_mov_b32 v30, 0 :: v_dual_mov_b32 v35, 0
	v_dual_mov_b32 v39, 0 :: v_dual_mov_b32 v38, 0
	v_dual_mov_b32 v40, 0 :: v_dual_mov_b32 v42, 0
	v_dual_mov_b32 v41, 0 :: v_dual_mov_b32 v43, 0
	v_dual_mov_b32 v45, 0 :: v_dual_mov_b32 v44, 0
	v_dual_mov_b32 v46, 0 :: v_dual_mov_b32 v48, 0
	v_dual_mov_b32 v47, 0 :: v_dual_mov_b32 v49, 0
	v_dual_mov_b32 v50, 0 :: v_dual_mov_b32 v51, 0
	v_dual_mov_b32 v52, 0 :: v_dual_mov_b32 v53, 0
	v_dual_mov_b32 v54, 0 :: v_dual_mov_b32 v55, 0
	v_mov_b32_e32 v56, 0
	s_wait_xcnt 0x0
	s_and_saveexec_b32 s7, s0
	s_cbranch_execz .LBB26_31
; %bb.8:
	global_load_u8 v18, v[4:5], off offset:1024
	global_load_u8 v16, v[6:7], off offset:1024
	;; [unrolled: 1-line block ×3, first 2 shown]
	v_or_b32_e32 v11, 0x500, v0
	v_dual_mov_b32 v19, 0 :: v_dual_mov_b32 v12, 0
	v_dual_mov_b32 v17, 0 :: v_dual_mov_b32 v22, 0
	s_delay_alu instid0(VALU_DEP_3)
	v_cmp_gt_u32_e64 s0, s1, v11
	v_dual_mov_b32 v11, 0 :: v_dual_mov_b32 v14, 0
	v_dual_mov_b32 v15, 0 :: v_dual_mov_b32 v23, 0
	v_dual_mov_b32 v26, 0 :: v_dual_mov_b32 v24, 0
	v_dual_mov_b32 v28, 0 :: v_dual_mov_b32 v33, 0
	v_dual_mov_b32 v30, 0 :: v_dual_mov_b32 v35, 0
	v_dual_mov_b32 v39, 0 :: v_dual_mov_b32 v38, 0
	v_dual_mov_b32 v40, 0 :: v_dual_mov_b32 v42, 0
	v_dual_mov_b32 v41, 0 :: v_dual_mov_b32 v43, 0
	v_dual_mov_b32 v45, 0 :: v_dual_mov_b32 v44, 0
	v_dual_mov_b32 v46, 0 :: v_dual_mov_b32 v48, 0
	v_dual_mov_b32 v47, 0 :: v_dual_mov_b32 v49, 0
	v_dual_mov_b32 v50, 0 :: v_dual_mov_b32 v51, 0
	v_dual_mov_b32 v52, 0 :: v_dual_mov_b32 v53, 0
	v_dual_mov_b32 v54, 0 :: v_dual_mov_b32 v55, 0
	v_mov_b32_e32 v56, 0
	s_wait_xcnt 0x0
	s_and_saveexec_b32 s8, s0
	s_cbranch_execz .LBB26_30
; %bb.9:
	global_load_u8 v19, v[4:5], off offset:1280
	global_load_u8 v14, v[6:7], off offset:1280
	;; [unrolled: 1-line block ×3, first 2 shown]
	v_or_b32_e32 v12, 0x600, v0
	v_dual_mov_b32 v22, 0 :: v_dual_mov_b32 v15, 0
	v_dual_mov_b32 v23, 0 :: v_dual_mov_b32 v26, 0
	s_delay_alu instid0(VALU_DEP_3)
	v_cmp_gt_u32_e64 s0, s1, v12
	v_dual_mov_b32 v12, 0 :: v_dual_mov_b32 v17, 0
	v_dual_mov_b32 v24, 0 :: v_dual_mov_b32 v28, 0
	;; [unrolled: 1-line block ×13, first 2 shown]
	s_wait_xcnt 0x0
	s_and_saveexec_b32 s9, s0
	s_cbranch_execz .LBB26_29
; %bb.10:
	global_load_u8 v22, v[4:5], off offset:1536
	global_load_u8 v17, v[6:7], off offset:1536
	;; [unrolled: 1-line block ×3, first 2 shown]
	v_or_b32_e32 v15, 0x700, v0
	v_dual_mov_b32 v26, 0 :: v_dual_mov_b32 v24, 0
	v_dual_mov_b32 v28, 0 :: v_dual_mov_b32 v33, 0
	s_delay_alu instid0(VALU_DEP_3)
	v_cmp_gt_u32_e64 s0, s1, v15
	v_dual_mov_b32 v15, 0 :: v_dual_mov_b32 v23, 0
	v_dual_mov_b32 v30, 0 :: v_dual_mov_b32 v35, 0
	;; [unrolled: 1-line block ×11, first 2 shown]
	v_mov_b32_e32 v56, 0
	s_wait_xcnt 0x0
	s_and_saveexec_b32 s10, s0
	s_cbranch_execz .LBB26_28
; %bb.11:
	global_load_u8 v26, v[4:5], off offset:1792
	global_load_u8 v23, v[6:7], off offset:1792
	global_load_u8 v15, v[8:9], off offset:1792
	v_or_b32_e32 v24, 0x800, v0
	v_dual_mov_b32 v33, 0 :: v_dual_mov_b32 v30, 0
	v_dual_mov_b32 v35, 0 :: v_dual_mov_b32 v39, 0
	s_delay_alu instid0(VALU_DEP_3)
	v_cmp_gt_u32_e64 s0, s1, v24
	v_dual_mov_b32 v24, 0 :: v_dual_mov_b32 v28, 0
	v_dual_mov_b32 v38, 0 :: v_dual_mov_b32 v40, 0
	;; [unrolled: 1-line block ×10, first 2 shown]
	s_wait_xcnt 0x0
	s_and_saveexec_b32 s11, s0
	s_cbranch_execz .LBB26_27
; %bb.12:
	global_load_u8 v33, v[4:5], off offset:2048
	global_load_u8 v28, v[6:7], off offset:2048
	global_load_u8 v24, v[8:9], off offset:2048
	v_or_b32_e32 v30, 0x900, v0
	v_dual_mov_b32 v39, 0 :: v_dual_mov_b32 v38, 0
	v_dual_mov_b32 v40, 0 :: v_dual_mov_b32 v42, 0
	s_delay_alu instid0(VALU_DEP_3)
	v_cmp_gt_u32_e64 s0, s1, v30
	v_dual_mov_b32 v30, 0 :: v_dual_mov_b32 v35, 0
	v_dual_mov_b32 v41, 0 :: v_dual_mov_b32 v43, 0
	;; [unrolled: 1-line block ×8, first 2 shown]
	v_mov_b32_e32 v56, 0
	s_wait_xcnt 0x0
	s_and_saveexec_b32 s15, s0
	s_cbranch_execz .LBB26_26
; %bb.13:
	global_load_u8 v39, v[4:5], off offset:2304
	global_load_u8 v35, v[6:7], off offset:2304
	;; [unrolled: 1-line block ×3, first 2 shown]
	v_or_b32_e32 v38, 0xa00, v0
	v_dual_mov_b32 v42, 0 :: v_dual_mov_b32 v41, 0
	v_dual_mov_b32 v43, 0 :: v_dual_mov_b32 v45, 0
	s_delay_alu instid0(VALU_DEP_3)
	v_cmp_gt_u32_e64 s0, s1, v38
	v_dual_mov_b32 v38, 0 :: v_dual_mov_b32 v40, 0
	v_dual_mov_b32 v44, 0 :: v_dual_mov_b32 v46, 0
	;; [unrolled: 1-line block ×7, first 2 shown]
	s_wait_xcnt 0x0
	s_and_saveexec_b32 s16, s0
	s_cbranch_execz .LBB26_25
; %bb.14:
	global_load_u8 v42, v[4:5], off offset:2560
	global_load_u8 v40, v[6:7], off offset:2560
	;; [unrolled: 1-line block ×3, first 2 shown]
	v_or_b32_e32 v41, 0xb00, v0
	v_dual_mov_b32 v45, 0 :: v_dual_mov_b32 v44, 0
	v_dual_mov_b32 v46, 0 :: v_dual_mov_b32 v48, 0
	s_delay_alu instid0(VALU_DEP_3)
	v_cmp_gt_u32_e64 s0, s1, v41
	v_dual_mov_b32 v41, 0 :: v_dual_mov_b32 v43, 0
	v_dual_mov_b32 v47, 0 :: v_dual_mov_b32 v49, 0
	;; [unrolled: 1-line block ×5, first 2 shown]
	v_mov_b32_e32 v56, 0
	s_wait_xcnt 0x0
	s_and_saveexec_b32 s17, s0
	s_cbranch_execz .LBB26_24
; %bb.15:
	global_load_u8 v45, v[4:5], off offset:2816
	global_load_u8 v43, v[6:7], off offset:2816
	;; [unrolled: 1-line block ×3, first 2 shown]
	v_or_b32_e32 v44, 0xc00, v0
	v_dual_mov_b32 v48, 0 :: v_dual_mov_b32 v47, 0
	v_dual_mov_b32 v49, 0 :: v_dual_mov_b32 v50, 0
	s_delay_alu instid0(VALU_DEP_3)
	v_cmp_gt_u32_e64 s0, s1, v44
	v_dual_mov_b32 v44, 0 :: v_dual_mov_b32 v46, 0
	v_dual_mov_b32 v51, 0 :: v_dual_mov_b32 v52, 0
	;; [unrolled: 1-line block ×4, first 2 shown]
	s_wait_xcnt 0x0
	s_and_saveexec_b32 s18, s0
	s_cbranch_execz .LBB26_23
; %bb.16:
	global_load_u8 v48, v[4:5], off offset:3072
	global_load_u8 v46, v[6:7], off offset:3072
	;; [unrolled: 1-line block ×3, first 2 shown]
	v_or_b32_e32 v47, 0xd00, v0
	v_dual_mov_b32 v50, 0 :: v_dual_mov_b32 v51, 0
	v_dual_mov_b32 v52, 0 :: v_dual_mov_b32 v53, 0
	s_delay_alu instid0(VALU_DEP_3)
	v_cmp_gt_u32_e64 s0, s1, v47
	v_dual_mov_b32 v47, 0 :: v_dual_mov_b32 v49, 0
	v_dual_mov_b32 v54, 0 :: v_dual_mov_b32 v55, 0
	v_mov_b32_e32 v56, 0
	s_wait_xcnt 0x0
	s_and_saveexec_b32 s19, s0
	s_cbranch_execz .LBB26_22
; %bb.17:
	global_load_u8 v50, v[4:5], off offset:3328
	global_load_u8 v49, v[6:7], off offset:3328
	;; [unrolled: 1-line block ×3, first 2 shown]
	v_or_b32_e32 v51, 0xe00, v0
	v_dual_mov_b32 v53, 0 :: v_dual_mov_b32 v54, 0
	v_dual_mov_b32 v55, 0 :: v_dual_mov_b32 v56, 0
	s_delay_alu instid0(VALU_DEP_3)
	v_cmp_gt_u32_e64 s0, s1, v51
	v_dual_mov_b32 v51, 0 :: v_dual_mov_b32 v52, 0
	s_wait_xcnt 0x0
	s_and_saveexec_b32 s20, s0
	s_cbranch_execz .LBB26_21
; %bb.18:
	global_load_u8 v53, v[4:5], off offset:3584
	global_load_u8 v52, v[6:7], off offset:3584
	;; [unrolled: 1-line block ×3, first 2 shown]
	v_or_b32_e32 v54, 0xf00, v0
	v_dual_mov_b32 v56, 0 :: v_dual_mov_b32 v55, 0
	s_delay_alu instid0(VALU_DEP_2)
	v_cmp_gt_u32_e64 s0, s1, v54
	v_mov_b32_e32 v54, 0
	s_wait_xcnt 0x0
	s_and_saveexec_b32 s21, s0
	s_cbranch_execz .LBB26_20
; %bb.19:
	global_load_u8 v56, v[4:5], off offset:3840
	global_load_u8 v55, v[6:7], off offset:3840
	;; [unrolled: 1-line block ×3, first 2 shown]
.LBB26_20:
	s_wait_xcnt 0x0
	s_or_b32 exec_lo, exec_lo, s21
.LBB26_21:
	s_delay_alu instid0(SALU_CYCLE_1)
	s_or_b32 exec_lo, exec_lo, s20
.LBB26_22:
	s_delay_alu instid0(SALU_CYCLE_1)
	s_or_b32 exec_lo, exec_lo, s19
.LBB26_23:
	s_delay_alu instid0(SALU_CYCLE_1)
	s_or_b32 exec_lo, exec_lo, s18
.LBB26_24:
	s_delay_alu instid0(SALU_CYCLE_1)
	s_or_b32 exec_lo, exec_lo, s17
.LBB26_25:
	s_delay_alu instid0(SALU_CYCLE_1)
	s_or_b32 exec_lo, exec_lo, s16
.LBB26_26:
	s_delay_alu instid0(SALU_CYCLE_1)
	s_or_b32 exec_lo, exec_lo, s15
.LBB26_27:
	s_delay_alu instid0(SALU_CYCLE_1)
	s_or_b32 exec_lo, exec_lo, s11
.LBB26_28:
	s_delay_alu instid0(SALU_CYCLE_1)
	s_or_b32 exec_lo, exec_lo, s10
.LBB26_29:
	s_delay_alu instid0(SALU_CYCLE_1)
	s_or_b32 exec_lo, exec_lo, s9
.LBB26_30:
	s_delay_alu instid0(SALU_CYCLE_1)
	s_or_b32 exec_lo, exec_lo, s8
.LBB26_31:
	s_delay_alu instid0(SALU_CYCLE_1)
	s_or_b32 exec_lo, exec_lo, s7
.LBB26_32:
	s_delay_alu instid0(SALU_CYCLE_1)
	s_or_b32 exec_lo, exec_lo, s6
	s_wait_loadcnt 0x0
	v_dual_mov_b32 v4, v3 :: v_dual_mov_b32 v3, v2
.LBB26_33:
	s_or_b32 exec_lo, exec_lo, s14
.LBB26_34:
	s_delay_alu instid0(SALU_CYCLE_1) | instskip(NEXT) | instid1(SALU_CYCLE_1)
	s_or_b32 exec_lo, exec_lo, s13
	s_or_b32 exec_lo, exec_lo, s3
                                        ; implicit-def: $vgpr2
	s_and_saveexec_b32 s0, vcc_lo
	s_cbranch_execz .LBB26_37
	s_branch .LBB26_36
.LBB26_35:
	s_or_b32 exec_lo, exec_lo, s3
                                        ; implicit-def: $vgpr2
	s_and_saveexec_b32 s0, vcc_lo
	s_cbranch_execz .LBB26_37
.LBB26_36:
	s_and_b32 s3, 0xffff, s12
	s_wait_loadcnt 0x2
	v_mul_lo_u16 v2, v34, s12
	s_lshr_b32 s3, s3, 8
	s_wait_loadcnt 0x1
	v_mul_lo_u16 v5, v36, s3
	s_wait_loadcnt 0x0
	s_delay_alu instid0(VALU_DEP_1)
	v_mad_u16 v2, v5, v37, v2
.LBB26_37:
	s_or_b32 exec_lo, exec_lo, s0
	s_delay_alu instid0(SALU_CYCLE_1)
	s_mov_b32 s3, exec_lo
                                        ; implicit-def: $vgpr5
	v_cmpx_gt_i32_e64 s1, v10
	s_cbranch_execz .LBB26_39
; %bb.38:
	s_and_b32 s0, 0xffff, s12
	s_wait_loadcnt 0x2
	v_mul_lo_u16 v5, v31, s12
	s_lshr_b32 s0, s0, 8
	s_wait_loadcnt 0x1
	v_mul_lo_u16 v6, v32, s0
	s_wait_loadcnt 0x0
	s_delay_alu instid0(VALU_DEP_1)
	v_mad_u16 v5, v6, v29, v5
.LBB26_39:
	s_or_b32 exec_lo, exec_lo, s3
	v_or_b32_e32 v6, 0x200, v0
	s_delay_alu instid0(VALU_DEP_1)
	v_cmp_gt_i32_e64 s0, s1, v6
                                        ; implicit-def: $vgpr6
	s_and_saveexec_b32 s3, s0
; %bb.40:
	s_and_b32 s0, 0xffff, s12
	v_mul_lo_u16 v6, v27, s12
	s_lshr_b32 s0, s0, 8
	s_delay_alu instid0(SALU_CYCLE_1) | instskip(NEXT) | instid1(VALU_DEP_1)
	v_mul_lo_u16 v7, v25, s0
	v_mad_u16 v6, v7, v3, v6
; %bb.41:
	s_or_b32 exec_lo, exec_lo, s3
	v_or_b32_e32 v3, 0x300, v0
	s_delay_alu instid0(VALU_DEP_1)
	v_cmp_gt_i32_e64 s0, s1, v3
                                        ; implicit-def: $vgpr3
	s_and_saveexec_b32 s3, s0
; %bb.42:
	s_and_b32 s0, 0xffff, s12
	v_mul_lo_u16 v3, v21, s12
	s_lshr_b32 s0, s0, 8
	s_delay_alu instid0(SALU_CYCLE_1) | instskip(NEXT) | instid1(VALU_DEP_1)
	v_mul_lo_u16 v7, v20, s0
	v_mad_u16 v3, v7, v4, v3
; %bb.43:
	s_or_b32 exec_lo, exec_lo, s3
	v_or_b32_e32 v4, 0x400, v0
	s_delay_alu instid0(VALU_DEP_1)
	v_cmp_gt_i32_e64 s0, s1, v4
                                        ; implicit-def: $vgpr4
	s_and_saveexec_b32 s3, s0
; %bb.44:
	s_and_b32 s0, 0xffff, s12
	v_mul_lo_u16 v4, v18, s12
	s_lshr_b32 s0, s0, 8
	s_delay_alu instid0(SALU_CYCLE_1) | instskip(NEXT) | instid1(VALU_DEP_1)
	v_mul_lo_u16 v7, v16, s0
	v_mad_u16 v4, v7, v13, v4
; %bb.45:
	s_or_b32 exec_lo, exec_lo, s3
	v_or_b32_e32 v7, 0x500, v0
	s_delay_alu instid0(VALU_DEP_1)
	v_cmp_gt_i32_e64 s0, s1, v7
                                        ; implicit-def: $vgpr7
	s_and_saveexec_b32 s3, s0
; %bb.46:
	s_and_b32 s0, 0xffff, s12
	v_mul_lo_u16 v7, v19, s12
	s_lshr_b32 s0, s0, 8
	s_delay_alu instid0(SALU_CYCLE_1) | instskip(NEXT) | instid1(VALU_DEP_1)
	v_mul_lo_u16 v8, v14, s0
	v_mad_u16 v7, v8, v11, v7
; %bb.47:
	s_or_b32 exec_lo, exec_lo, s3
	v_or_b32_e32 v8, 0x600, v0
	s_delay_alu instid0(VALU_DEP_1)
	v_cmp_gt_i32_e64 s0, s1, v8
                                        ; implicit-def: $vgpr8
	s_and_saveexec_b32 s3, s0
; %bb.48:
	s_and_b32 s0, 0xffff, s12
	v_mul_lo_u16 v8, v22, s12
	s_lshr_b32 s0, s0, 8
	s_delay_alu instid0(SALU_CYCLE_1) | instskip(NEXT) | instid1(VALU_DEP_1)
	v_mul_lo_u16 v9, v17, s0
	v_mad_u16 v8, v9, v12, v8
; %bb.49:
	s_or_b32 exec_lo, exec_lo, s3
	v_or_b32_e32 v9, 0x700, v0
	s_delay_alu instid0(VALU_DEP_1)
	v_cmp_gt_i32_e64 s0, s1, v9
                                        ; implicit-def: $vgpr9
	s_and_saveexec_b32 s3, s0
; %bb.50:
	s_and_b32 s0, 0xffff, s12
	v_mul_lo_u16 v9, v26, s12
	s_lshr_b32 s0, s0, 8
	s_delay_alu instid0(SALU_CYCLE_1) | instskip(NEXT) | instid1(VALU_DEP_1)
	v_mul_lo_u16 v11, v23, s0
	v_mad_u16 v9, v11, v15, v9
; %bb.51:
	s_or_b32 exec_lo, exec_lo, s3
	v_or_b32_e32 v11, 0x800, v0
	s_delay_alu instid0(VALU_DEP_1)
	v_cmp_gt_i32_e64 s0, s1, v11
                                        ; implicit-def: $vgpr11
	s_and_saveexec_b32 s3, s0
; %bb.52:
	s_and_b32 s0, 0xffff, s12
	v_mul_lo_u16 v11, v33, s12
	s_lshr_b32 s0, s0, 8
	s_delay_alu instid0(SALU_CYCLE_1) | instskip(NEXT) | instid1(VALU_DEP_1)
	v_mul_lo_u16 v12, v28, s0
	v_mad_u16 v11, v12, v24, v11
; %bb.53:
	s_or_b32 exec_lo, exec_lo, s3
	v_or_b32_e32 v12, 0x900, v0
	s_delay_alu instid0(VALU_DEP_1)
	v_cmp_gt_i32_e64 s0, s1, v12
                                        ; implicit-def: $vgpr12
	s_and_saveexec_b32 s3, s0
; %bb.54:
	s_and_b32 s0, 0xffff, s12
	v_mul_lo_u16 v12, v39, s12
	s_lshr_b32 s0, s0, 8
	s_delay_alu instid0(SALU_CYCLE_1) | instskip(NEXT) | instid1(VALU_DEP_1)
	v_mul_lo_u16 v13, v35, s0
	v_mad_u16 v12, v13, v30, v12
; %bb.55:
	s_or_b32 exec_lo, exec_lo, s3
	v_or_b32_e32 v13, 0xa00, v0
	s_delay_alu instid0(VALU_DEP_1)
	v_cmp_gt_i32_e64 s0, s1, v13
                                        ; implicit-def: $vgpr13
	s_and_saveexec_b32 s3, s0
; %bb.56:
	s_and_b32 s0, 0xffff, s12
	v_mul_lo_u16 v13, v42, s12
	s_lshr_b32 s0, s0, 8
	s_delay_alu instid0(SALU_CYCLE_1) | instskip(NEXT) | instid1(VALU_DEP_1)
	v_mul_lo_u16 v14, v40, s0
	v_mad_u16 v13, v14, v38, v13
; %bb.57:
	s_or_b32 exec_lo, exec_lo, s3
	v_or_b32_e32 v14, 0xb00, v0
	s_delay_alu instid0(VALU_DEP_1)
	v_cmp_gt_i32_e64 s0, s1, v14
                                        ; implicit-def: $vgpr14
	s_and_saveexec_b32 s3, s0
; %bb.58:
	s_and_b32 s0, 0xffff, s12
	v_mul_lo_u16 v14, v45, s12
	s_lshr_b32 s0, s0, 8
	s_delay_alu instid0(SALU_CYCLE_1) | instskip(NEXT) | instid1(VALU_DEP_1)
	v_mul_lo_u16 v15, v43, s0
	v_mad_u16 v14, v15, v41, v14
; %bb.59:
	s_or_b32 exec_lo, exec_lo, s3
	v_or_b32_e32 v15, 0xc00, v0
	s_delay_alu instid0(VALU_DEP_1)
	v_cmp_gt_i32_e64 s0, s1, v15
                                        ; implicit-def: $vgpr15
	s_and_saveexec_b32 s3, s0
; %bb.60:
	s_and_b32 s0, 0xffff, s12
	v_mul_lo_u16 v15, v48, s12
	s_lshr_b32 s0, s0, 8
	s_delay_alu instid0(SALU_CYCLE_1) | instskip(NEXT) | instid1(VALU_DEP_1)
	v_mul_lo_u16 v16, v46, s0
	v_mad_u16 v15, v16, v44, v15
; %bb.61:
	s_or_b32 exec_lo, exec_lo, s3
	v_or_b32_e32 v16, 0xd00, v0
	s_delay_alu instid0(VALU_DEP_1)
	v_cmp_gt_i32_e64 s0, s1, v16
                                        ; implicit-def: $vgpr16
	s_and_saveexec_b32 s3, s0
; %bb.62:
	s_and_b32 s0, 0xffff, s12
	v_mul_lo_u16 v16, v50, s12
	s_lshr_b32 s0, s0, 8
	s_delay_alu instid0(SALU_CYCLE_1) | instskip(NEXT) | instid1(VALU_DEP_1)
	v_mul_lo_u16 v17, v49, s0
	v_mad_u16 v16, v17, v47, v16
; %bb.63:
	s_or_b32 exec_lo, exec_lo, s3
	v_or_b32_e32 v17, 0xe00, v0
	s_delay_alu instid0(VALU_DEP_1)
	v_cmp_gt_i32_e64 s0, s1, v17
                                        ; implicit-def: $vgpr17
	s_and_saveexec_b32 s3, s0
; %bb.64:
	s_and_b32 s0, 0xffff, s12
	v_mul_lo_u16 v17, v53, s12
	s_lshr_b32 s0, s0, 8
	s_delay_alu instid0(SALU_CYCLE_1) | instskip(NEXT) | instid1(VALU_DEP_1)
	v_mul_lo_u16 v18, v52, s0
	v_mad_u16 v17, v18, v51, v17
; %bb.65:
	s_or_b32 exec_lo, exec_lo, s3
	v_or_b32_e32 v18, 0xf00, v0
	s_delay_alu instid0(VALU_DEP_1)
	v_cmp_gt_i32_e64 s0, s1, v18
                                        ; implicit-def: $vgpr18
	s_and_saveexec_b32 s3, s0
	s_cbranch_execz .LBB26_84
; %bb.66:
	s_and_b32 s0, 0xffff, s12
	v_mul_lo_u16 v18, v56, s12
	s_lshr_b32 s0, s0, 8
	s_delay_alu instid0(SALU_CYCLE_1) | instskip(NEXT) | instid1(VALU_DEP_1)
	v_mul_lo_u16 v19, v55, s0
	v_mad_u16 v18, v19, v54, v18
	s_or_b32 exec_lo, exec_lo, s3
	s_and_saveexec_b32 s0, vcc_lo
	s_delay_alu instid0(SALU_CYCLE_1)
	s_xor_b32 s0, exec_lo, s0
	s_cbranch_execnz .LBB26_85
.LBB26_67:
	s_or_b32 exec_lo, exec_lo, s0
	s_delay_alu instid0(SALU_CYCLE_1)
	s_mov_b32 s0, exec_lo
	v_cmpx_gt_i32_e64 s1, v0
	s_cbranch_execz .LBB26_86
.LBB26_68:
	v_add_nc_u32_e32 v1, s2, v0
	v_add_nc_u32_e32 v0, 0x100, v0
	global_store_b8 v1, v5, s[4:5]
	s_wait_xcnt 0x0
	s_or_b32 exec_lo, exec_lo, s0
	s_delay_alu instid0(SALU_CYCLE_1)
	s_mov_b32 s0, exec_lo
	v_cmpx_gt_i32_e64 s1, v0
	s_cbranch_execnz .LBB26_87
.LBB26_69:
	s_or_b32 exec_lo, exec_lo, s0
	s_delay_alu instid0(SALU_CYCLE_1)
	s_mov_b32 s0, exec_lo
	v_cmpx_gt_i32_e64 s1, v0
	s_cbranch_execz .LBB26_88
.LBB26_70:
	v_add_nc_u32_e32 v1, s2, v0
	v_add_nc_u32_e32 v0, 0x100, v0
	global_store_b8 v1, v3, s[4:5]
	s_wait_xcnt 0x0
	s_or_b32 exec_lo, exec_lo, s0
	s_delay_alu instid0(SALU_CYCLE_1)
	s_mov_b32 s0, exec_lo
	v_cmpx_gt_i32_e64 s1, v0
	s_cbranch_execnz .LBB26_89
.LBB26_71:
	s_or_b32 exec_lo, exec_lo, s0
	s_delay_alu instid0(SALU_CYCLE_1)
	s_mov_b32 s0, exec_lo
	v_cmpx_gt_i32_e64 s1, v0
	s_cbranch_execz .LBB26_90
.LBB26_72:
	v_add_nc_u32_e32 v1, s2, v0
	v_add_nc_u32_e32 v0, 0x100, v0
	global_store_b8 v1, v7, s[4:5]
	s_wait_xcnt 0x0
	s_or_b32 exec_lo, exec_lo, s0
	s_delay_alu instid0(SALU_CYCLE_1)
	s_mov_b32 s0, exec_lo
	v_cmpx_gt_i32_e64 s1, v0
	s_cbranch_execnz .LBB26_91
.LBB26_73:
	s_or_b32 exec_lo, exec_lo, s0
	s_delay_alu instid0(SALU_CYCLE_1)
	s_mov_b32 s0, exec_lo
	v_cmpx_gt_i32_e64 s1, v0
	s_cbranch_execz .LBB26_92
.LBB26_74:
	v_add_nc_u32_e32 v1, s2, v0
	v_add_nc_u32_e32 v0, 0x100, v0
	global_store_b8 v1, v9, s[4:5]
	s_wait_xcnt 0x0
	s_or_b32 exec_lo, exec_lo, s0
	s_delay_alu instid0(SALU_CYCLE_1)
	s_mov_b32 s0, exec_lo
	v_cmpx_gt_i32_e64 s1, v0
	s_cbranch_execnz .LBB26_93
.LBB26_75:
	s_or_b32 exec_lo, exec_lo, s0
	s_delay_alu instid0(SALU_CYCLE_1)
	s_mov_b32 s0, exec_lo
	v_cmpx_gt_i32_e64 s1, v0
	s_cbranch_execz .LBB26_94
.LBB26_76:
	v_add_nc_u32_e32 v1, s2, v0
	v_add_nc_u32_e32 v0, 0x100, v0
	global_store_b8 v1, v12, s[4:5]
	s_wait_xcnt 0x0
	s_or_b32 exec_lo, exec_lo, s0
	s_delay_alu instid0(SALU_CYCLE_1)
	s_mov_b32 s0, exec_lo
	v_cmpx_gt_i32_e64 s1, v0
	s_cbranch_execnz .LBB26_95
.LBB26_77:
	s_or_b32 exec_lo, exec_lo, s0
	s_delay_alu instid0(SALU_CYCLE_1)
	s_mov_b32 s0, exec_lo
	v_cmpx_gt_i32_e64 s1, v0
	s_cbranch_execz .LBB26_96
.LBB26_78:
	v_add_nc_u32_e32 v1, s2, v0
	v_add_nc_u32_e32 v0, 0x100, v0
	global_store_b8 v1, v14, s[4:5]
	s_wait_xcnt 0x0
	s_or_b32 exec_lo, exec_lo, s0
	s_delay_alu instid0(SALU_CYCLE_1)
	s_mov_b32 s0, exec_lo
	v_cmpx_gt_i32_e64 s1, v0
	s_cbranch_execnz .LBB26_97
.LBB26_79:
	s_or_b32 exec_lo, exec_lo, s0
	s_delay_alu instid0(SALU_CYCLE_1)
	s_mov_b32 s0, exec_lo
	v_cmpx_gt_i32_e64 s1, v0
	s_cbranch_execz .LBB26_98
.LBB26_80:
	v_add_nc_u32_e32 v1, s2, v0
	v_add_nc_u32_e32 v0, 0x100, v0
	global_store_b8 v1, v16, s[4:5]
	s_wait_xcnt 0x0
	s_or_b32 exec_lo, exec_lo, s0
	s_delay_alu instid0(SALU_CYCLE_1)
	s_mov_b32 s0, exec_lo
	v_cmpx_gt_i32_e64 s1, v0
	s_cbranch_execnz .LBB26_99
.LBB26_81:
	s_or_b32 exec_lo, exec_lo, s0
	s_delay_alu instid0(SALU_CYCLE_1)
	s_mov_b32 s0, exec_lo
	v_cmpx_gt_i32_e64 s1, v0
	s_cbranch_execz .LBB26_83
.LBB26_82:
	v_add_nc_u32_e32 v0, s2, v0
	global_store_b8 v0, v18, s[4:5]
.LBB26_83:
	s_endpgm
.LBB26_84:
	s_or_b32 exec_lo, exec_lo, s3
	s_and_saveexec_b32 s0, vcc_lo
	s_delay_alu instid0(SALU_CYCLE_1)
	s_xor_b32 s0, exec_lo, s0
	s_cbranch_execz .LBB26_67
.LBB26_85:
	v_mov_b32_e32 v0, v10
	global_store_b8 v1, v2, s[4:5]
	s_wait_xcnt 0x0
	s_or_b32 exec_lo, exec_lo, s0
	s_delay_alu instid0(SALU_CYCLE_1)
	s_mov_b32 s0, exec_lo
	v_cmpx_gt_i32_e64 s1, v0
	s_cbranch_execnz .LBB26_68
.LBB26_86:
	s_or_b32 exec_lo, exec_lo, s0
	s_delay_alu instid0(SALU_CYCLE_1)
	s_mov_b32 s0, exec_lo
	v_cmpx_gt_i32_e64 s1, v0
	s_cbranch_execz .LBB26_69
.LBB26_87:
	v_add_nc_u32_e32 v1, s2, v0
	v_add_nc_u32_e32 v0, 0x100, v0
	global_store_b8 v1, v6, s[4:5]
	s_wait_xcnt 0x0
	s_or_b32 exec_lo, exec_lo, s0
	s_delay_alu instid0(SALU_CYCLE_1)
	s_mov_b32 s0, exec_lo
	v_cmpx_gt_i32_e64 s1, v0
	s_cbranch_execnz .LBB26_70
.LBB26_88:
	s_or_b32 exec_lo, exec_lo, s0
	s_delay_alu instid0(SALU_CYCLE_1)
	s_mov_b32 s0, exec_lo
	v_cmpx_gt_i32_e64 s1, v0
	s_cbranch_execz .LBB26_71
.LBB26_89:
	v_add_nc_u32_e32 v1, s2, v0
	v_add_nc_u32_e32 v0, 0x100, v0
	global_store_b8 v1, v4, s[4:5]
	s_wait_xcnt 0x0
	s_or_b32 exec_lo, exec_lo, s0
	s_delay_alu instid0(SALU_CYCLE_1)
	s_mov_b32 s0, exec_lo
	v_cmpx_gt_i32_e64 s1, v0
	s_cbranch_execnz .LBB26_72
.LBB26_90:
	s_or_b32 exec_lo, exec_lo, s0
	s_delay_alu instid0(SALU_CYCLE_1)
	s_mov_b32 s0, exec_lo
	v_cmpx_gt_i32_e64 s1, v0
	s_cbranch_execz .LBB26_73
.LBB26_91:
	v_add_nc_u32_e32 v1, s2, v0
	v_add_nc_u32_e32 v0, 0x100, v0
	global_store_b8 v1, v8, s[4:5]
	s_wait_xcnt 0x0
	s_or_b32 exec_lo, exec_lo, s0
	s_delay_alu instid0(SALU_CYCLE_1)
	s_mov_b32 s0, exec_lo
	v_cmpx_gt_i32_e64 s1, v0
	s_cbranch_execnz .LBB26_74
.LBB26_92:
	s_or_b32 exec_lo, exec_lo, s0
	s_delay_alu instid0(SALU_CYCLE_1)
	s_mov_b32 s0, exec_lo
	v_cmpx_gt_i32_e64 s1, v0
	s_cbranch_execz .LBB26_75
.LBB26_93:
	v_add_nc_u32_e32 v1, s2, v0
	v_add_nc_u32_e32 v0, 0x100, v0
	global_store_b8 v1, v11, s[4:5]
	s_wait_xcnt 0x0
	s_or_b32 exec_lo, exec_lo, s0
	s_delay_alu instid0(SALU_CYCLE_1)
	s_mov_b32 s0, exec_lo
	v_cmpx_gt_i32_e64 s1, v0
	s_cbranch_execnz .LBB26_76
.LBB26_94:
	s_or_b32 exec_lo, exec_lo, s0
	s_delay_alu instid0(SALU_CYCLE_1)
	s_mov_b32 s0, exec_lo
	v_cmpx_gt_i32_e64 s1, v0
	s_cbranch_execz .LBB26_77
.LBB26_95:
	v_add_nc_u32_e32 v1, s2, v0
	v_add_nc_u32_e32 v0, 0x100, v0
	global_store_b8 v1, v13, s[4:5]
	s_wait_xcnt 0x0
	s_or_b32 exec_lo, exec_lo, s0
	s_delay_alu instid0(SALU_CYCLE_1)
	s_mov_b32 s0, exec_lo
	v_cmpx_gt_i32_e64 s1, v0
	s_cbranch_execnz .LBB26_78
.LBB26_96:
	s_or_b32 exec_lo, exec_lo, s0
	s_delay_alu instid0(SALU_CYCLE_1)
	s_mov_b32 s0, exec_lo
	v_cmpx_gt_i32_e64 s1, v0
	s_cbranch_execz .LBB26_79
.LBB26_97:
	v_add_nc_u32_e32 v1, s2, v0
	v_add_nc_u32_e32 v0, 0x100, v0
	global_store_b8 v1, v15, s[4:5]
	s_wait_xcnt 0x0
	s_or_b32 exec_lo, exec_lo, s0
	s_delay_alu instid0(SALU_CYCLE_1)
	s_mov_b32 s0, exec_lo
	v_cmpx_gt_i32_e64 s1, v0
	s_cbranch_execnz .LBB26_80
.LBB26_98:
	s_or_b32 exec_lo, exec_lo, s0
	s_delay_alu instid0(SALU_CYCLE_1)
	s_mov_b32 s0, exec_lo
	v_cmpx_gt_i32_e64 s1, v0
	s_cbranch_execz .LBB26_81
.LBB26_99:
	v_add_nc_u32_e32 v1, s2, v0
	v_add_nc_u32_e32 v0, 0x100, v0
	global_store_b8 v1, v17, s[4:5]
	s_wait_xcnt 0x0
	s_or_b32 exec_lo, exec_lo, s0
	s_delay_alu instid0(SALU_CYCLE_1)
	s_mov_b32 s0, exec_lo
	v_cmpx_gt_i32_e64 s1, v0
	s_cbranch_execnz .LBB26_82
	s_branch .LBB26_83
	.section	.rodata,"a",@progbits
	.p2align	6, 0x0
	.amdhsa_kernel _ZN2at6native29vectorized_elementwise_kernelILi4EZZZNS0_12_GLOBAL__N_116addr_kernel_cudaERNS_14TensorIteratorERKN3c106ScalarES8_ENKUlvE_clEvENKUlvE_clEvEUlhhhE0_St5arrayIPcLm4EEEEviT0_T1_
		.amdhsa_group_segment_fixed_size 0
		.amdhsa_private_segment_fixed_size 0
		.amdhsa_kernarg_size 40
		.amdhsa_user_sgpr_count 2
		.amdhsa_user_sgpr_dispatch_ptr 0
		.amdhsa_user_sgpr_queue_ptr 0
		.amdhsa_user_sgpr_kernarg_segment_ptr 1
		.amdhsa_user_sgpr_dispatch_id 0
		.amdhsa_user_sgpr_kernarg_preload_length 0
		.amdhsa_user_sgpr_kernarg_preload_offset 0
		.amdhsa_user_sgpr_private_segment_size 0
		.amdhsa_wavefront_size32 1
		.amdhsa_uses_dynamic_stack 0
		.amdhsa_enable_private_segment 0
		.amdhsa_system_sgpr_workgroup_id_x 1
		.amdhsa_system_sgpr_workgroup_id_y 0
		.amdhsa_system_sgpr_workgroup_id_z 0
		.amdhsa_system_sgpr_workgroup_info 0
		.amdhsa_system_vgpr_workitem_id 0
		.amdhsa_next_free_vgpr 57
		.amdhsa_next_free_sgpr 22
		.amdhsa_named_barrier_count 0
		.amdhsa_reserve_vcc 1
		.amdhsa_float_round_mode_32 0
		.amdhsa_float_round_mode_16_64 0
		.amdhsa_float_denorm_mode_32 3
		.amdhsa_float_denorm_mode_16_64 3
		.amdhsa_fp16_overflow 0
		.amdhsa_memory_ordered 1
		.amdhsa_forward_progress 1
		.amdhsa_inst_pref_size 53
		.amdhsa_round_robin_scheduling 0
		.amdhsa_exception_fp_ieee_invalid_op 0
		.amdhsa_exception_fp_denorm_src 0
		.amdhsa_exception_fp_ieee_div_zero 0
		.amdhsa_exception_fp_ieee_overflow 0
		.amdhsa_exception_fp_ieee_underflow 0
		.amdhsa_exception_fp_ieee_inexact 0
		.amdhsa_exception_int_div_zero 0
	.end_amdhsa_kernel
	.section	.text._ZN2at6native29vectorized_elementwise_kernelILi4EZZZNS0_12_GLOBAL__N_116addr_kernel_cudaERNS_14TensorIteratorERKN3c106ScalarES8_ENKUlvE_clEvENKUlvE_clEvEUlhhhE0_St5arrayIPcLm4EEEEviT0_T1_,"axG",@progbits,_ZN2at6native29vectorized_elementwise_kernelILi4EZZZNS0_12_GLOBAL__N_116addr_kernel_cudaERNS_14TensorIteratorERKN3c106ScalarES8_ENKUlvE_clEvENKUlvE_clEvEUlhhhE0_St5arrayIPcLm4EEEEviT0_T1_,comdat
.Lfunc_end26:
	.size	_ZN2at6native29vectorized_elementwise_kernelILi4EZZZNS0_12_GLOBAL__N_116addr_kernel_cudaERNS_14TensorIteratorERKN3c106ScalarES8_ENKUlvE_clEvENKUlvE_clEvEUlhhhE0_St5arrayIPcLm4EEEEviT0_T1_, .Lfunc_end26-_ZN2at6native29vectorized_elementwise_kernelILi4EZZZNS0_12_GLOBAL__N_116addr_kernel_cudaERNS_14TensorIteratorERKN3c106ScalarES8_ENKUlvE_clEvENKUlvE_clEvEUlhhhE0_St5arrayIPcLm4EEEEviT0_T1_
                                        ; -- End function
	.set _ZN2at6native29vectorized_elementwise_kernelILi4EZZZNS0_12_GLOBAL__N_116addr_kernel_cudaERNS_14TensorIteratorERKN3c106ScalarES8_ENKUlvE_clEvENKUlvE_clEvEUlhhhE0_St5arrayIPcLm4EEEEviT0_T1_.num_vgpr, 57
	.set _ZN2at6native29vectorized_elementwise_kernelILi4EZZZNS0_12_GLOBAL__N_116addr_kernel_cudaERNS_14TensorIteratorERKN3c106ScalarES8_ENKUlvE_clEvENKUlvE_clEvEUlhhhE0_St5arrayIPcLm4EEEEviT0_T1_.num_agpr, 0
	.set _ZN2at6native29vectorized_elementwise_kernelILi4EZZZNS0_12_GLOBAL__N_116addr_kernel_cudaERNS_14TensorIteratorERKN3c106ScalarES8_ENKUlvE_clEvENKUlvE_clEvEUlhhhE0_St5arrayIPcLm4EEEEviT0_T1_.numbered_sgpr, 22
	.set _ZN2at6native29vectorized_elementwise_kernelILi4EZZZNS0_12_GLOBAL__N_116addr_kernel_cudaERNS_14TensorIteratorERKN3c106ScalarES8_ENKUlvE_clEvENKUlvE_clEvEUlhhhE0_St5arrayIPcLm4EEEEviT0_T1_.num_named_barrier, 0
	.set _ZN2at6native29vectorized_elementwise_kernelILi4EZZZNS0_12_GLOBAL__N_116addr_kernel_cudaERNS_14TensorIteratorERKN3c106ScalarES8_ENKUlvE_clEvENKUlvE_clEvEUlhhhE0_St5arrayIPcLm4EEEEviT0_T1_.private_seg_size, 0
	.set _ZN2at6native29vectorized_elementwise_kernelILi4EZZZNS0_12_GLOBAL__N_116addr_kernel_cudaERNS_14TensorIteratorERKN3c106ScalarES8_ENKUlvE_clEvENKUlvE_clEvEUlhhhE0_St5arrayIPcLm4EEEEviT0_T1_.uses_vcc, 1
	.set _ZN2at6native29vectorized_elementwise_kernelILi4EZZZNS0_12_GLOBAL__N_116addr_kernel_cudaERNS_14TensorIteratorERKN3c106ScalarES8_ENKUlvE_clEvENKUlvE_clEvEUlhhhE0_St5arrayIPcLm4EEEEviT0_T1_.uses_flat_scratch, 0
	.set _ZN2at6native29vectorized_elementwise_kernelILi4EZZZNS0_12_GLOBAL__N_116addr_kernel_cudaERNS_14TensorIteratorERKN3c106ScalarES8_ENKUlvE_clEvENKUlvE_clEvEUlhhhE0_St5arrayIPcLm4EEEEviT0_T1_.has_dyn_sized_stack, 0
	.set _ZN2at6native29vectorized_elementwise_kernelILi4EZZZNS0_12_GLOBAL__N_116addr_kernel_cudaERNS_14TensorIteratorERKN3c106ScalarES8_ENKUlvE_clEvENKUlvE_clEvEUlhhhE0_St5arrayIPcLm4EEEEviT0_T1_.has_recursion, 0
	.set _ZN2at6native29vectorized_elementwise_kernelILi4EZZZNS0_12_GLOBAL__N_116addr_kernel_cudaERNS_14TensorIteratorERKN3c106ScalarES8_ENKUlvE_clEvENKUlvE_clEvEUlhhhE0_St5arrayIPcLm4EEEEviT0_T1_.has_indirect_call, 0
	.section	.AMDGPU.csdata,"",@progbits
; Kernel info:
; codeLenInByte = 6680
; TotalNumSgprs: 24
; NumVgprs: 57
; ScratchSize: 0
; MemoryBound: 0
; FloatMode: 240
; IeeeMode: 1
; LDSByteSize: 0 bytes/workgroup (compile time only)
; SGPRBlocks: 0
; VGPRBlocks: 3
; NumSGPRsForWavesPerEU: 24
; NumVGPRsForWavesPerEU: 57
; NamedBarCnt: 0
; Occupancy: 16
; WaveLimiterHint : 1
; COMPUTE_PGM_RSRC2:SCRATCH_EN: 0
; COMPUTE_PGM_RSRC2:USER_SGPR: 2
; COMPUTE_PGM_RSRC2:TRAP_HANDLER: 0
; COMPUTE_PGM_RSRC2:TGID_X_EN: 1
; COMPUTE_PGM_RSRC2:TGID_Y_EN: 0
; COMPUTE_PGM_RSRC2:TGID_Z_EN: 0
; COMPUTE_PGM_RSRC2:TIDIG_COMP_CNT: 0
	.section	.text._ZN2at6native29vectorized_elementwise_kernelILi2EZZZNS0_12_GLOBAL__N_116addr_kernel_cudaERNS_14TensorIteratorERKN3c106ScalarES8_ENKUlvE_clEvENKUlvE_clEvEUlhhhE0_St5arrayIPcLm4EEEEviT0_T1_,"axG",@progbits,_ZN2at6native29vectorized_elementwise_kernelILi2EZZZNS0_12_GLOBAL__N_116addr_kernel_cudaERNS_14TensorIteratorERKN3c106ScalarES8_ENKUlvE_clEvENKUlvE_clEvEUlhhhE0_St5arrayIPcLm4EEEEviT0_T1_,comdat
	.globl	_ZN2at6native29vectorized_elementwise_kernelILi2EZZZNS0_12_GLOBAL__N_116addr_kernel_cudaERNS_14TensorIteratorERKN3c106ScalarES8_ENKUlvE_clEvENKUlvE_clEvEUlhhhE0_St5arrayIPcLm4EEEEviT0_T1_ ; -- Begin function _ZN2at6native29vectorized_elementwise_kernelILi2EZZZNS0_12_GLOBAL__N_116addr_kernel_cudaERNS_14TensorIteratorERKN3c106ScalarES8_ENKUlvE_clEvENKUlvE_clEvEUlhhhE0_St5arrayIPcLm4EEEEviT0_T1_
	.p2align	8
	.type	_ZN2at6native29vectorized_elementwise_kernelILi2EZZZNS0_12_GLOBAL__N_116addr_kernel_cudaERNS_14TensorIteratorERKN3c106ScalarES8_ENKUlvE_clEvENKUlvE_clEvEUlhhhE0_St5arrayIPcLm4EEEEviT0_T1_,@function
_ZN2at6native29vectorized_elementwise_kernelILi2EZZZNS0_12_GLOBAL__N_116addr_kernel_cudaERNS_14TensorIteratorERKN3c106ScalarES8_ENKUlvE_clEvENKUlvE_clEvEUlhhhE0_St5arrayIPcLm4EEEEviT0_T1_: ; @_ZN2at6native29vectorized_elementwise_kernelILi2EZZZNS0_12_GLOBAL__N_116addr_kernel_cudaERNS_14TensorIteratorERKN3c106ScalarES8_ENKUlvE_clEvENKUlvE_clEvEUlhhhE0_St5arrayIPcLm4EEEEviT0_T1_
; %bb.0:
	v_mov_b32_e32 v1, 0
	s_clause 0x1
	s_load_b32 s3, s[0:1], 0x0
	s_load_b256 s[4:11], s[0:1], 0x8
	s_getreg_b32 s2, hwreg(HW_REG_IB_STS2, 6, 4)
	global_load_u16 v1, v1, s[0:1] offset:4
	s_wait_xcnt 0x0
	s_bfe_u32 s0, ttmp6, 0x4000c
	s_and_b32 s1, ttmp6, 15
	s_add_co_i32 s0, s0, 1
	s_delay_alu instid0(SALU_CYCLE_1) | instskip(NEXT) | instid1(SALU_CYCLE_1)
	s_mul_i32 s0, ttmp9, s0
	s_add_co_i32 s1, s1, s0
	s_cmp_eq_u32 s2, 0
	s_cselect_b32 s0, ttmp9, s1
	s_delay_alu instid0(SALU_CYCLE_1) | instskip(SKIP_3) | instid1(SALU_CYCLE_1)
	s_lshl_b32 s2, s0, 12
	s_mov_b32 s0, -1
	s_wait_kmcnt 0x0
	s_sub_co_i32 s1, s3, s2
	s_cmp_gt_i32 s1, 0xfff
	s_wait_loadcnt 0x0
	v_readfirstlane_b32 s12, v1
	s_cbranch_scc0 .LBB27_2
; %bb.1:
	s_ashr_i32 s3, s2, 31
	s_and_b32 s13, 0xffff, s12
	s_add_nc_u64 s[14:15], s[6:7], s[2:3]
	s_add_nc_u64 s[16:17], s[8:9], s[2:3]
	;; [unrolled: 1-line block ×3, first 2 shown]
	s_clause 0x17
	global_load_u16 v1, v0, s[14:15] scale_offset
	global_load_u16 v2, v0, s[14:15] offset:512 scale_offset
	global_load_u16 v3, v0, s[14:15] offset:1024 scale_offset
	;; [unrolled: 1-line block ×7, first 2 shown]
	global_load_u16 v9, v0, s[16:17] scale_offset
	global_load_u16 v10, v0, s[16:17] offset:512 scale_offset
	global_load_u16 v11, v0, s[16:17] offset:1024 scale_offset
	;; [unrolled: 1-line block ×6, first 2 shown]
	; meta instruction
	global_load_u16 v16, v0, s[16:17] offset:3584 scale_offset
	global_load_u16 v17, v0, s[18:19] scale_offset
	global_load_u16 v18, v0, s[18:19] offset:512 scale_offset
	global_load_u16 v19, v0, s[18:19] offset:1024 scale_offset
	;; [unrolled: 1-line block ×7, first 2 shown]
	s_lshr_b32 s13, s13, 8
	s_wait_xcnt 0x10
	s_add_nc_u64 s[14:15], s[4:5], s[2:3]
	s_mov_b32 s0, 0
	s_wait_loadcnt 0x17
	v_lshrrev_b16 v25, 8, v1
	v_mul_lo_u16 v1, v1, s12
	s_wait_loadcnt 0x16
	v_lshrrev_b16 v26, 8, v2
	v_mul_lo_u16 v2, v2, s12
	;; [unrolled: 3-line block ×8, first 2 shown]
	v_lshrrev_b16 v29, 8, v5
	s_wait_loadcnt 0xb
	v_lshrrev_b16 v37, 8, v13
	v_mul_lo_u16 v5, v5, s12
	v_mul_lo_u16 v13, v13, s13
	v_lshrrev_b16 v30, 8, v6
	v_lshrrev_b16 v31, 8, v7
	;; [unrolled: 1-line block ×3, first 2 shown]
	s_wait_loadcnt 0xa
	v_lshrrev_b16 v38, 8, v14
	s_wait_loadcnt 0x9
	v_lshrrev_b16 v39, 8, v15
	;; [unrolled: 2-line block ×4, first 2 shown]
	v_mul_lo_u16 v6, v6, s12
	v_mul_lo_u16 v14, v14, s13
	;; [unrolled: 1-line block ×6, first 2 shown]
	v_mad_u16 v1, v9, v17, v1
	v_mul_lo_u16 v9, v25, s12
	v_mul_lo_u16 v17, v33, s13
	s_wait_loadcnt 0x6
	v_lshrrev_b16 v42, 8, v18
	v_mad_u16 v2, v10, v18, v2
	v_mul_lo_u16 v10, v26, s12
	v_mul_lo_u16 v18, v34, s13
	s_wait_loadcnt 0x5
	v_lshrrev_b16 v43, 8, v19
	;; [unrolled: 5-line block ×5, first 2 shown]
	s_wait_loadcnt 0x1
	v_lshrrev_b16 v47, 8, v23
	s_wait_loadcnt 0x0
	v_lshrrev_b16 v48, 8, v24
	v_mad_u16 v6, v14, v22, v6
	v_mul_lo_u16 v14, v30, s12
	v_mul_lo_u16 v22, v38, s13
	v_mad_u16 v7, v15, v23, v7
	v_mul_lo_u16 v15, v31, s12
	v_mul_lo_u16 v23, v39, s13
	;; [unrolled: 3-line block ×3, first 2 shown]
	v_mad_u16 v9, v17, v41, v9
	v_mad_u16 v10, v18, v42, v10
	;; [unrolled: 1-line block ×8, first 2 shown]
	v_lshlrev_b16 v9, 8, v9
	v_lshlrev_b16 v10, 8, v10
	;; [unrolled: 1-line block ×8, first 2 shown]
	v_bitop3_b16 v1, v9, v1, 0xff bitop3:0xf8
	v_bitop3_b16 v2, v10, v2, 0xff bitop3:0xf8
	;; [unrolled: 1-line block ×8, first 2 shown]
	s_clause 0x7
	global_store_b16 v0, v1, s[14:15] scale_offset
	global_store_b16 v0, v2, s[14:15] offset:512 scale_offset
	global_store_b16 v0, v3, s[14:15] offset:1024 scale_offset
	;; [unrolled: 1-line block ×7, first 2 shown]
.LBB27_2:
	s_and_not1_b32 vcc_lo, exec_lo, s0
	s_cbranch_vccnz .LBB27_83
; %bb.3:
	v_cmp_gt_i32_e32 vcc_lo, s1, v0
	s_wait_xcnt 0x7
	v_dual_mov_b32 v56, 0 :: v_dual_bitop2_b32 v1, s2, v0 bitop3:0x54
	v_or_b32_e32 v10, 0x100, v0
	v_dual_mov_b32 v55, 0 :: v_dual_mov_b32 v54, 0
	v_dual_mov_b32 v53, 0 :: v_dual_mov_b32 v52, 0
	;; [unrolled: 1-line block ×18, first 2 shown]
	s_wait_xcnt 0x4
	v_dual_mov_b32 v20, 0 :: v_dual_mov_b32 v4, 0
	v_dual_mov_b32 v27, 0 :: v_dual_mov_b32 v25, 0
	;; [unrolled: 1-line block ×5, first 2 shown]
	v_mov_b32_e32 v37, 0
	s_wait_xcnt 0x0
	s_and_saveexec_b32 s3, vcc_lo
	s_cbranch_execz .LBB27_35
; %bb.4:
	s_clause 0x2
	global_load_u8 v34, v1, s[6:7]
	global_load_u8 v36, v1, s[8:9]
	;; [unrolled: 1-line block ×3, first 2 shown]
	v_or_b32_e32 v2, 0x100, v0
	v_dual_mov_b32 v29, 0 :: v_dual_mov_b32 v32, 0
	v_dual_mov_b32 v31, 0 :: v_dual_mov_b32 v3, 0
	s_delay_alu instid0(VALU_DEP_3)
	v_cmp_gt_u32_e64 s0, s1, v2
	v_dual_mov_b32 v25, 0 :: v_dual_mov_b32 v27, 0
	v_dual_mov_b32 v4, 0 :: v_dual_mov_b32 v20, 0
	;; [unrolled: 1-line block ×20, first 2 shown]
	v_mov_b32_e32 v56, 0
	s_wait_xcnt 0x0
	s_and_saveexec_b32 s13, s0
	s_cbranch_execz .LBB27_34
; %bb.5:
	v_dual_mov_b32 v3, 0 :: v_dual_add_nc_u32 v2, s2, v0
	v_or_b32_e32 v4, 0x200, v0
	v_dual_mov_b32 v25, 0 :: v_dual_mov_b32 v27, 0
	s_clause 0x2
	global_load_u8 v31, v2, s[6:7] offset:256
	global_load_u8 v32, v2, s[8:9] offset:256
	;; [unrolled: 1-line block ×3, first 2 shown]
	v_mov_b32_e32 v20, 0
	v_cmp_gt_u32_e64 s0, s1, v4
	v_dual_mov_b32 v4, 0 :: v_dual_mov_b32 v21, 0
	v_dual_mov_b32 v13, 0 :: v_dual_mov_b32 v16, 0
	v_dual_mov_b32 v18, 0 :: v_dual_mov_b32 v11, 0
	v_dual_mov_b32 v14, 0 :: v_dual_mov_b32 v19, 0
	v_dual_mov_b32 v12, 0 :: v_dual_mov_b32 v17, 0
	v_dual_mov_b32 v22, 0 :: v_dual_mov_b32 v15, 0
	v_dual_mov_b32 v23, 0 :: v_dual_mov_b32 v26, 0
	v_dual_mov_b32 v24, 0 :: v_dual_mov_b32 v28, 0
	v_dual_mov_b32 v33, 0 :: v_dual_mov_b32 v30, 0
	v_dual_mov_b32 v35, 0 :: v_dual_mov_b32 v39, 0
	v_dual_mov_b32 v38, 0 :: v_dual_mov_b32 v40, 0
	v_dual_mov_b32 v42, 0 :: v_dual_mov_b32 v41, 0
	v_dual_mov_b32 v43, 0 :: v_dual_mov_b32 v45, 0
	v_dual_mov_b32 v44, 0 :: v_dual_mov_b32 v46, 0
	v_dual_mov_b32 v48, 0 :: v_dual_mov_b32 v47, 0
	v_dual_mov_b32 v49, 0 :: v_dual_mov_b32 v50, 0
	v_dual_mov_b32 v51, 0 :: v_dual_mov_b32 v52, 0
	v_dual_mov_b32 v53, 0 :: v_dual_mov_b32 v54, 0
	v_dual_mov_b32 v55, 0 :: v_dual_mov_b32 v56, 0
	s_wait_xcnt 0x0
	s_and_saveexec_b32 s14, s0
	s_cbranch_execz .LBB27_33
; %bb.6:
	v_add_nc_u64_e32 v[4:5], s[6:7], v[2:3]
	v_add_nc_u64_e32 v[6:7], s[8:9], v[2:3]
	;; [unrolled: 1-line block ×3, first 2 shown]
	v_or_b32_e32 v11, 0x300, v0
	v_dual_mov_b32 v20, 0 :: v_dual_mov_b32 v21, 0
	v_dual_mov_b32 v13, 0 :: v_dual_mov_b32 v16, 0
	global_load_u8 v27, v[4:5], off offset:512
	global_load_u8 v25, v[6:7], off offset:512
	;; [unrolled: 1-line block ×3, first 2 shown]
	v_cmp_gt_u32_e64 s0, s1, v11
	v_dual_mov_b32 v18, 0 :: v_dual_mov_b32 v11, 0
	v_dual_mov_b32 v14, 0 :: v_dual_mov_b32 v19, 0
	v_dual_mov_b32 v12, 0 :: v_dual_mov_b32 v17, 0
	v_dual_mov_b32 v22, 0 :: v_dual_mov_b32 v15, 0
	v_dual_mov_b32 v23, 0 :: v_dual_mov_b32 v26, 0
	v_dual_mov_b32 v24, 0 :: v_dual_mov_b32 v28, 0
	v_dual_mov_b32 v33, 0 :: v_dual_mov_b32 v30, 0
	v_dual_mov_b32 v35, 0 :: v_dual_mov_b32 v39, 0
	v_dual_mov_b32 v38, 0 :: v_dual_mov_b32 v40, 0
	v_dual_mov_b32 v42, 0 :: v_dual_mov_b32 v41, 0
	v_dual_mov_b32 v43, 0 :: v_dual_mov_b32 v45, 0
	v_dual_mov_b32 v44, 0 :: v_dual_mov_b32 v46, 0
	v_dual_mov_b32 v48, 0 :: v_dual_mov_b32 v47, 0
	v_dual_mov_b32 v49, 0 :: v_dual_mov_b32 v50, 0
	v_dual_mov_b32 v51, 0 :: v_dual_mov_b32 v52, 0
	v_dual_mov_b32 v53, 0 :: v_dual_mov_b32 v54, 0
	v_dual_mov_b32 v55, 0 :: v_dual_mov_b32 v56, 0
	s_wait_xcnt 0x0
	s_and_saveexec_b32 s6, s0
	s_cbranch_execz .LBB27_32
; %bb.7:
	global_load_u8 v21, v[4:5], off offset:768
	global_load_u8 v20, v[6:7], off offset:768
	;; [unrolled: 1-line block ×3, first 2 shown]
	v_or_b32_e32 v11, 0x400, v0
	v_dual_mov_b32 v13, 0 :: v_dual_mov_b32 v16, 0
	v_dual_mov_b32 v18, 0 :: v_dual_mov_b32 v14, 0
	v_mov_b32_e32 v19, 0
	s_delay_alu instid0(VALU_DEP_4)
	v_cmp_gt_u32_e64 s0, s1, v11
	v_dual_mov_b32 v11, 0 :: v_dual_mov_b32 v12, 0
	v_dual_mov_b32 v17, 0 :: v_dual_mov_b32 v22, 0
	;; [unrolled: 1-line block ×15, first 2 shown]
	v_mov_b32_e32 v56, 0
	s_wait_xcnt 0x0
	s_and_saveexec_b32 s7, s0
	s_cbranch_execz .LBB27_31
; %bb.8:
	global_load_u8 v18, v[4:5], off offset:1024
	global_load_u8 v16, v[6:7], off offset:1024
	global_load_u8 v13, v[8:9], off offset:1024
	v_or_b32_e32 v11, 0x500, v0
	v_dual_mov_b32 v19, 0 :: v_dual_mov_b32 v12, 0
	v_dual_mov_b32 v17, 0 :: v_dual_mov_b32 v22, 0
	s_delay_alu instid0(VALU_DEP_3)
	v_cmp_gt_u32_e64 s0, s1, v11
	v_dual_mov_b32 v11, 0 :: v_dual_mov_b32 v14, 0
	v_dual_mov_b32 v15, 0 :: v_dual_mov_b32 v23, 0
	;; [unrolled: 1-line block ×14, first 2 shown]
	v_mov_b32_e32 v56, 0
	s_wait_xcnt 0x0
	s_and_saveexec_b32 s8, s0
	s_cbranch_execz .LBB27_30
; %bb.9:
	global_load_u8 v19, v[4:5], off offset:1280
	global_load_u8 v14, v[6:7], off offset:1280
	;; [unrolled: 1-line block ×3, first 2 shown]
	v_or_b32_e32 v12, 0x600, v0
	v_dual_mov_b32 v22, 0 :: v_dual_mov_b32 v15, 0
	v_dual_mov_b32 v23, 0 :: v_dual_mov_b32 v26, 0
	s_delay_alu instid0(VALU_DEP_3)
	v_cmp_gt_u32_e64 s0, s1, v12
	v_dual_mov_b32 v12, 0 :: v_dual_mov_b32 v17, 0
	v_dual_mov_b32 v24, 0 :: v_dual_mov_b32 v28, 0
	;; [unrolled: 1-line block ×13, first 2 shown]
	s_wait_xcnt 0x0
	s_and_saveexec_b32 s9, s0
	s_cbranch_execz .LBB27_29
; %bb.10:
	global_load_u8 v22, v[4:5], off offset:1536
	global_load_u8 v17, v[6:7], off offset:1536
	;; [unrolled: 1-line block ×3, first 2 shown]
	v_or_b32_e32 v15, 0x700, v0
	v_dual_mov_b32 v26, 0 :: v_dual_mov_b32 v24, 0
	v_dual_mov_b32 v28, 0 :: v_dual_mov_b32 v33, 0
	s_delay_alu instid0(VALU_DEP_3)
	v_cmp_gt_u32_e64 s0, s1, v15
	v_dual_mov_b32 v15, 0 :: v_dual_mov_b32 v23, 0
	v_dual_mov_b32 v30, 0 :: v_dual_mov_b32 v35, 0
	;; [unrolled: 1-line block ×11, first 2 shown]
	v_mov_b32_e32 v56, 0
	s_wait_xcnt 0x0
	s_and_saveexec_b32 s10, s0
	s_cbranch_execz .LBB27_28
; %bb.11:
	global_load_u8 v26, v[4:5], off offset:1792
	global_load_u8 v23, v[6:7], off offset:1792
	;; [unrolled: 1-line block ×3, first 2 shown]
	v_or_b32_e32 v24, 0x800, v0
	v_dual_mov_b32 v33, 0 :: v_dual_mov_b32 v30, 0
	v_dual_mov_b32 v35, 0 :: v_dual_mov_b32 v39, 0
	s_delay_alu instid0(VALU_DEP_3)
	v_cmp_gt_u32_e64 s0, s1, v24
	v_dual_mov_b32 v24, 0 :: v_dual_mov_b32 v28, 0
	v_dual_mov_b32 v38, 0 :: v_dual_mov_b32 v40, 0
	;; [unrolled: 1-line block ×10, first 2 shown]
	s_wait_xcnt 0x0
	s_and_saveexec_b32 s11, s0
	s_cbranch_execz .LBB27_27
; %bb.12:
	global_load_u8 v33, v[4:5], off offset:2048
	global_load_u8 v28, v[6:7], off offset:2048
	;; [unrolled: 1-line block ×3, first 2 shown]
	v_or_b32_e32 v30, 0x900, v0
	v_dual_mov_b32 v39, 0 :: v_dual_mov_b32 v38, 0
	v_dual_mov_b32 v40, 0 :: v_dual_mov_b32 v42, 0
	s_delay_alu instid0(VALU_DEP_3)
	v_cmp_gt_u32_e64 s0, s1, v30
	v_dual_mov_b32 v30, 0 :: v_dual_mov_b32 v35, 0
	v_dual_mov_b32 v41, 0 :: v_dual_mov_b32 v43, 0
	;; [unrolled: 1-line block ×8, first 2 shown]
	v_mov_b32_e32 v56, 0
	s_wait_xcnt 0x0
	s_and_saveexec_b32 s15, s0
	s_cbranch_execz .LBB27_26
; %bb.13:
	global_load_u8 v39, v[4:5], off offset:2304
	global_load_u8 v35, v[6:7], off offset:2304
	;; [unrolled: 1-line block ×3, first 2 shown]
	v_or_b32_e32 v38, 0xa00, v0
	v_dual_mov_b32 v42, 0 :: v_dual_mov_b32 v41, 0
	v_dual_mov_b32 v43, 0 :: v_dual_mov_b32 v45, 0
	s_delay_alu instid0(VALU_DEP_3)
	v_cmp_gt_u32_e64 s0, s1, v38
	v_dual_mov_b32 v38, 0 :: v_dual_mov_b32 v40, 0
	v_dual_mov_b32 v44, 0 :: v_dual_mov_b32 v46, 0
	;; [unrolled: 1-line block ×7, first 2 shown]
	s_wait_xcnt 0x0
	s_and_saveexec_b32 s16, s0
	s_cbranch_execz .LBB27_25
; %bb.14:
	global_load_u8 v42, v[4:5], off offset:2560
	global_load_u8 v40, v[6:7], off offset:2560
	;; [unrolled: 1-line block ×3, first 2 shown]
	v_or_b32_e32 v41, 0xb00, v0
	v_dual_mov_b32 v45, 0 :: v_dual_mov_b32 v44, 0
	v_dual_mov_b32 v46, 0 :: v_dual_mov_b32 v48, 0
	s_delay_alu instid0(VALU_DEP_3)
	v_cmp_gt_u32_e64 s0, s1, v41
	v_dual_mov_b32 v41, 0 :: v_dual_mov_b32 v43, 0
	v_dual_mov_b32 v47, 0 :: v_dual_mov_b32 v49, 0
	;; [unrolled: 1-line block ×5, first 2 shown]
	v_mov_b32_e32 v56, 0
	s_wait_xcnt 0x0
	s_and_saveexec_b32 s17, s0
	s_cbranch_execz .LBB27_24
; %bb.15:
	global_load_u8 v45, v[4:5], off offset:2816
	global_load_u8 v43, v[6:7], off offset:2816
	;; [unrolled: 1-line block ×3, first 2 shown]
	v_or_b32_e32 v44, 0xc00, v0
	v_dual_mov_b32 v48, 0 :: v_dual_mov_b32 v47, 0
	v_dual_mov_b32 v49, 0 :: v_dual_mov_b32 v50, 0
	s_delay_alu instid0(VALU_DEP_3)
	v_cmp_gt_u32_e64 s0, s1, v44
	v_dual_mov_b32 v44, 0 :: v_dual_mov_b32 v46, 0
	v_dual_mov_b32 v51, 0 :: v_dual_mov_b32 v52, 0
	;; [unrolled: 1-line block ×4, first 2 shown]
	s_wait_xcnt 0x0
	s_and_saveexec_b32 s18, s0
	s_cbranch_execz .LBB27_23
; %bb.16:
	global_load_u8 v48, v[4:5], off offset:3072
	global_load_u8 v46, v[6:7], off offset:3072
	;; [unrolled: 1-line block ×3, first 2 shown]
	v_or_b32_e32 v47, 0xd00, v0
	v_dual_mov_b32 v50, 0 :: v_dual_mov_b32 v51, 0
	v_dual_mov_b32 v52, 0 :: v_dual_mov_b32 v53, 0
	s_delay_alu instid0(VALU_DEP_3)
	v_cmp_gt_u32_e64 s0, s1, v47
	v_dual_mov_b32 v47, 0 :: v_dual_mov_b32 v49, 0
	v_dual_mov_b32 v54, 0 :: v_dual_mov_b32 v55, 0
	v_mov_b32_e32 v56, 0
	s_wait_xcnt 0x0
	s_and_saveexec_b32 s19, s0
	s_cbranch_execz .LBB27_22
; %bb.17:
	global_load_u8 v50, v[4:5], off offset:3328
	global_load_u8 v49, v[6:7], off offset:3328
	;; [unrolled: 1-line block ×3, first 2 shown]
	v_or_b32_e32 v51, 0xe00, v0
	v_dual_mov_b32 v53, 0 :: v_dual_mov_b32 v54, 0
	v_dual_mov_b32 v55, 0 :: v_dual_mov_b32 v56, 0
	s_delay_alu instid0(VALU_DEP_3)
	v_cmp_gt_u32_e64 s0, s1, v51
	v_dual_mov_b32 v51, 0 :: v_dual_mov_b32 v52, 0
	s_wait_xcnt 0x0
	s_and_saveexec_b32 s20, s0
	s_cbranch_execz .LBB27_21
; %bb.18:
	global_load_u8 v53, v[4:5], off offset:3584
	global_load_u8 v52, v[6:7], off offset:3584
	global_load_u8 v51, v[8:9], off offset:3584
	v_or_b32_e32 v54, 0xf00, v0
	v_dual_mov_b32 v56, 0 :: v_dual_mov_b32 v55, 0
	s_delay_alu instid0(VALU_DEP_2)
	v_cmp_gt_u32_e64 s0, s1, v54
	v_mov_b32_e32 v54, 0
	s_wait_xcnt 0x0
	s_and_saveexec_b32 s21, s0
	s_cbranch_execz .LBB27_20
; %bb.19:
	global_load_u8 v56, v[4:5], off offset:3840
	global_load_u8 v55, v[6:7], off offset:3840
	;; [unrolled: 1-line block ×3, first 2 shown]
.LBB27_20:
	s_wait_xcnt 0x0
	s_or_b32 exec_lo, exec_lo, s21
.LBB27_21:
	s_delay_alu instid0(SALU_CYCLE_1)
	s_or_b32 exec_lo, exec_lo, s20
.LBB27_22:
	s_delay_alu instid0(SALU_CYCLE_1)
	s_or_b32 exec_lo, exec_lo, s19
.LBB27_23:
	s_delay_alu instid0(SALU_CYCLE_1)
	s_or_b32 exec_lo, exec_lo, s18
.LBB27_24:
	s_delay_alu instid0(SALU_CYCLE_1)
	s_or_b32 exec_lo, exec_lo, s17
.LBB27_25:
	s_delay_alu instid0(SALU_CYCLE_1)
	s_or_b32 exec_lo, exec_lo, s16
.LBB27_26:
	s_delay_alu instid0(SALU_CYCLE_1)
	s_or_b32 exec_lo, exec_lo, s15
.LBB27_27:
	s_delay_alu instid0(SALU_CYCLE_1)
	s_or_b32 exec_lo, exec_lo, s11
.LBB27_28:
	s_delay_alu instid0(SALU_CYCLE_1)
	s_or_b32 exec_lo, exec_lo, s10
.LBB27_29:
	s_delay_alu instid0(SALU_CYCLE_1)
	s_or_b32 exec_lo, exec_lo, s9
.LBB27_30:
	s_delay_alu instid0(SALU_CYCLE_1)
	s_or_b32 exec_lo, exec_lo, s8
.LBB27_31:
	s_delay_alu instid0(SALU_CYCLE_1)
	s_or_b32 exec_lo, exec_lo, s7
.LBB27_32:
	s_delay_alu instid0(SALU_CYCLE_1)
	s_or_b32 exec_lo, exec_lo, s6
	s_wait_loadcnt 0x0
	v_dual_mov_b32 v4, v3 :: v_dual_mov_b32 v3, v2
.LBB27_33:
	s_or_b32 exec_lo, exec_lo, s14
.LBB27_34:
	s_delay_alu instid0(SALU_CYCLE_1) | instskip(NEXT) | instid1(SALU_CYCLE_1)
	s_or_b32 exec_lo, exec_lo, s13
	s_or_b32 exec_lo, exec_lo, s3
                                        ; implicit-def: $vgpr2
	s_and_saveexec_b32 s0, vcc_lo
	s_cbranch_execz .LBB27_37
	s_branch .LBB27_36
.LBB27_35:
	s_or_b32 exec_lo, exec_lo, s3
                                        ; implicit-def: $vgpr2
	s_and_saveexec_b32 s0, vcc_lo
	s_cbranch_execz .LBB27_37
.LBB27_36:
	s_and_b32 s3, 0xffff, s12
	s_wait_loadcnt 0x2
	v_mul_lo_u16 v2, v34, s12
	s_lshr_b32 s3, s3, 8
	s_wait_loadcnt 0x1
	v_mul_lo_u16 v5, v36, s3
	s_wait_loadcnt 0x0
	s_delay_alu instid0(VALU_DEP_1)
	v_mad_u16 v2, v5, v37, v2
.LBB27_37:
	s_or_b32 exec_lo, exec_lo, s0
	s_delay_alu instid0(SALU_CYCLE_1)
	s_mov_b32 s3, exec_lo
                                        ; implicit-def: $vgpr5
	v_cmpx_gt_i32_e64 s1, v10
	s_cbranch_execz .LBB27_39
; %bb.38:
	s_and_b32 s0, 0xffff, s12
	s_wait_loadcnt 0x2
	v_mul_lo_u16 v5, v31, s12
	s_lshr_b32 s0, s0, 8
	s_wait_loadcnt 0x1
	v_mul_lo_u16 v6, v32, s0
	s_wait_loadcnt 0x0
	s_delay_alu instid0(VALU_DEP_1)
	v_mad_u16 v5, v6, v29, v5
.LBB27_39:
	s_or_b32 exec_lo, exec_lo, s3
	v_or_b32_e32 v6, 0x200, v0
	s_delay_alu instid0(VALU_DEP_1)
	v_cmp_gt_i32_e64 s0, s1, v6
                                        ; implicit-def: $vgpr6
	s_and_saveexec_b32 s3, s0
; %bb.40:
	s_and_b32 s0, 0xffff, s12
	v_mul_lo_u16 v6, v27, s12
	s_lshr_b32 s0, s0, 8
	s_delay_alu instid0(SALU_CYCLE_1) | instskip(NEXT) | instid1(VALU_DEP_1)
	v_mul_lo_u16 v7, v25, s0
	v_mad_u16 v6, v7, v3, v6
; %bb.41:
	s_or_b32 exec_lo, exec_lo, s3
	v_or_b32_e32 v3, 0x300, v0
	s_delay_alu instid0(VALU_DEP_1)
	v_cmp_gt_i32_e64 s0, s1, v3
                                        ; implicit-def: $vgpr3
	s_and_saveexec_b32 s3, s0
; %bb.42:
	s_and_b32 s0, 0xffff, s12
	v_mul_lo_u16 v3, v21, s12
	s_lshr_b32 s0, s0, 8
	s_delay_alu instid0(SALU_CYCLE_1) | instskip(NEXT) | instid1(VALU_DEP_1)
	v_mul_lo_u16 v7, v20, s0
	v_mad_u16 v3, v7, v4, v3
; %bb.43:
	s_or_b32 exec_lo, exec_lo, s3
	v_or_b32_e32 v4, 0x400, v0
	s_delay_alu instid0(VALU_DEP_1)
	v_cmp_gt_i32_e64 s0, s1, v4
                                        ; implicit-def: $vgpr4
	s_and_saveexec_b32 s3, s0
; %bb.44:
	s_and_b32 s0, 0xffff, s12
	v_mul_lo_u16 v4, v18, s12
	s_lshr_b32 s0, s0, 8
	s_delay_alu instid0(SALU_CYCLE_1) | instskip(NEXT) | instid1(VALU_DEP_1)
	v_mul_lo_u16 v7, v16, s0
	v_mad_u16 v4, v7, v13, v4
; %bb.45:
	s_or_b32 exec_lo, exec_lo, s3
	v_or_b32_e32 v7, 0x500, v0
	s_delay_alu instid0(VALU_DEP_1)
	v_cmp_gt_i32_e64 s0, s1, v7
                                        ; implicit-def: $vgpr7
	s_and_saveexec_b32 s3, s0
; %bb.46:
	s_and_b32 s0, 0xffff, s12
	v_mul_lo_u16 v7, v19, s12
	s_lshr_b32 s0, s0, 8
	s_delay_alu instid0(SALU_CYCLE_1) | instskip(NEXT) | instid1(VALU_DEP_1)
	v_mul_lo_u16 v8, v14, s0
	v_mad_u16 v7, v8, v11, v7
; %bb.47:
	s_or_b32 exec_lo, exec_lo, s3
	v_or_b32_e32 v8, 0x600, v0
	s_delay_alu instid0(VALU_DEP_1)
	v_cmp_gt_i32_e64 s0, s1, v8
                                        ; implicit-def: $vgpr8
	s_and_saveexec_b32 s3, s0
; %bb.48:
	s_and_b32 s0, 0xffff, s12
	v_mul_lo_u16 v8, v22, s12
	s_lshr_b32 s0, s0, 8
	s_delay_alu instid0(SALU_CYCLE_1) | instskip(NEXT) | instid1(VALU_DEP_1)
	v_mul_lo_u16 v9, v17, s0
	v_mad_u16 v8, v9, v12, v8
; %bb.49:
	s_or_b32 exec_lo, exec_lo, s3
	v_or_b32_e32 v9, 0x700, v0
	s_delay_alu instid0(VALU_DEP_1)
	v_cmp_gt_i32_e64 s0, s1, v9
                                        ; implicit-def: $vgpr9
	s_and_saveexec_b32 s3, s0
; %bb.50:
	s_and_b32 s0, 0xffff, s12
	v_mul_lo_u16 v9, v26, s12
	s_lshr_b32 s0, s0, 8
	s_delay_alu instid0(SALU_CYCLE_1) | instskip(NEXT) | instid1(VALU_DEP_1)
	v_mul_lo_u16 v11, v23, s0
	v_mad_u16 v9, v11, v15, v9
; %bb.51:
	s_or_b32 exec_lo, exec_lo, s3
	v_or_b32_e32 v11, 0x800, v0
	s_delay_alu instid0(VALU_DEP_1)
	v_cmp_gt_i32_e64 s0, s1, v11
                                        ; implicit-def: $vgpr11
	s_and_saveexec_b32 s3, s0
; %bb.52:
	s_and_b32 s0, 0xffff, s12
	v_mul_lo_u16 v11, v33, s12
	s_lshr_b32 s0, s0, 8
	s_delay_alu instid0(SALU_CYCLE_1) | instskip(NEXT) | instid1(VALU_DEP_1)
	v_mul_lo_u16 v12, v28, s0
	v_mad_u16 v11, v12, v24, v11
; %bb.53:
	s_or_b32 exec_lo, exec_lo, s3
	v_or_b32_e32 v12, 0x900, v0
	s_delay_alu instid0(VALU_DEP_1)
	v_cmp_gt_i32_e64 s0, s1, v12
                                        ; implicit-def: $vgpr12
	s_and_saveexec_b32 s3, s0
; %bb.54:
	s_and_b32 s0, 0xffff, s12
	v_mul_lo_u16 v12, v39, s12
	s_lshr_b32 s0, s0, 8
	s_delay_alu instid0(SALU_CYCLE_1) | instskip(NEXT) | instid1(VALU_DEP_1)
	v_mul_lo_u16 v13, v35, s0
	v_mad_u16 v12, v13, v30, v12
; %bb.55:
	s_or_b32 exec_lo, exec_lo, s3
	v_or_b32_e32 v13, 0xa00, v0
	s_delay_alu instid0(VALU_DEP_1)
	v_cmp_gt_i32_e64 s0, s1, v13
                                        ; implicit-def: $vgpr13
	s_and_saveexec_b32 s3, s0
; %bb.56:
	s_and_b32 s0, 0xffff, s12
	v_mul_lo_u16 v13, v42, s12
	s_lshr_b32 s0, s0, 8
	s_delay_alu instid0(SALU_CYCLE_1) | instskip(NEXT) | instid1(VALU_DEP_1)
	v_mul_lo_u16 v14, v40, s0
	v_mad_u16 v13, v14, v38, v13
; %bb.57:
	s_or_b32 exec_lo, exec_lo, s3
	v_or_b32_e32 v14, 0xb00, v0
	s_delay_alu instid0(VALU_DEP_1)
	v_cmp_gt_i32_e64 s0, s1, v14
                                        ; implicit-def: $vgpr14
	s_and_saveexec_b32 s3, s0
; %bb.58:
	s_and_b32 s0, 0xffff, s12
	v_mul_lo_u16 v14, v45, s12
	s_lshr_b32 s0, s0, 8
	s_delay_alu instid0(SALU_CYCLE_1) | instskip(NEXT) | instid1(VALU_DEP_1)
	v_mul_lo_u16 v15, v43, s0
	v_mad_u16 v14, v15, v41, v14
; %bb.59:
	s_or_b32 exec_lo, exec_lo, s3
	v_or_b32_e32 v15, 0xc00, v0
	s_delay_alu instid0(VALU_DEP_1)
	v_cmp_gt_i32_e64 s0, s1, v15
                                        ; implicit-def: $vgpr15
	s_and_saveexec_b32 s3, s0
; %bb.60:
	s_and_b32 s0, 0xffff, s12
	v_mul_lo_u16 v15, v48, s12
	s_lshr_b32 s0, s0, 8
	s_delay_alu instid0(SALU_CYCLE_1) | instskip(NEXT) | instid1(VALU_DEP_1)
	v_mul_lo_u16 v16, v46, s0
	v_mad_u16 v15, v16, v44, v15
; %bb.61:
	s_or_b32 exec_lo, exec_lo, s3
	v_or_b32_e32 v16, 0xd00, v0
	s_delay_alu instid0(VALU_DEP_1)
	v_cmp_gt_i32_e64 s0, s1, v16
                                        ; implicit-def: $vgpr16
	s_and_saveexec_b32 s3, s0
; %bb.62:
	s_and_b32 s0, 0xffff, s12
	v_mul_lo_u16 v16, v50, s12
	s_lshr_b32 s0, s0, 8
	s_delay_alu instid0(SALU_CYCLE_1) | instskip(NEXT) | instid1(VALU_DEP_1)
	v_mul_lo_u16 v17, v49, s0
	v_mad_u16 v16, v17, v47, v16
; %bb.63:
	s_or_b32 exec_lo, exec_lo, s3
	v_or_b32_e32 v17, 0xe00, v0
	s_delay_alu instid0(VALU_DEP_1)
	v_cmp_gt_i32_e64 s0, s1, v17
                                        ; implicit-def: $vgpr17
	s_and_saveexec_b32 s3, s0
; %bb.64:
	s_and_b32 s0, 0xffff, s12
	v_mul_lo_u16 v17, v53, s12
	s_lshr_b32 s0, s0, 8
	s_delay_alu instid0(SALU_CYCLE_1) | instskip(NEXT) | instid1(VALU_DEP_1)
	v_mul_lo_u16 v18, v52, s0
	v_mad_u16 v17, v18, v51, v17
; %bb.65:
	s_or_b32 exec_lo, exec_lo, s3
	v_or_b32_e32 v18, 0xf00, v0
	s_delay_alu instid0(VALU_DEP_1)
	v_cmp_gt_i32_e64 s0, s1, v18
                                        ; implicit-def: $vgpr18
	s_and_saveexec_b32 s3, s0
	s_cbranch_execz .LBB27_84
; %bb.66:
	s_and_b32 s0, 0xffff, s12
	v_mul_lo_u16 v18, v56, s12
	s_lshr_b32 s0, s0, 8
	s_delay_alu instid0(SALU_CYCLE_1) | instskip(NEXT) | instid1(VALU_DEP_1)
	v_mul_lo_u16 v19, v55, s0
	v_mad_u16 v18, v19, v54, v18
	s_or_b32 exec_lo, exec_lo, s3
	s_and_saveexec_b32 s0, vcc_lo
	s_delay_alu instid0(SALU_CYCLE_1)
	s_xor_b32 s0, exec_lo, s0
	s_cbranch_execnz .LBB27_85
.LBB27_67:
	s_or_b32 exec_lo, exec_lo, s0
	s_delay_alu instid0(SALU_CYCLE_1)
	s_mov_b32 s0, exec_lo
	v_cmpx_gt_i32_e64 s1, v0
	s_cbranch_execz .LBB27_86
.LBB27_68:
	v_add_nc_u32_e32 v1, s2, v0
	v_add_nc_u32_e32 v0, 0x100, v0
	global_store_b8 v1, v5, s[4:5]
	s_wait_xcnt 0x0
	s_or_b32 exec_lo, exec_lo, s0
	s_delay_alu instid0(SALU_CYCLE_1)
	s_mov_b32 s0, exec_lo
	v_cmpx_gt_i32_e64 s1, v0
	s_cbranch_execnz .LBB27_87
.LBB27_69:
	s_or_b32 exec_lo, exec_lo, s0
	s_delay_alu instid0(SALU_CYCLE_1)
	s_mov_b32 s0, exec_lo
	v_cmpx_gt_i32_e64 s1, v0
	s_cbranch_execz .LBB27_88
.LBB27_70:
	v_add_nc_u32_e32 v1, s2, v0
	v_add_nc_u32_e32 v0, 0x100, v0
	global_store_b8 v1, v3, s[4:5]
	s_wait_xcnt 0x0
	s_or_b32 exec_lo, exec_lo, s0
	s_delay_alu instid0(SALU_CYCLE_1)
	s_mov_b32 s0, exec_lo
	v_cmpx_gt_i32_e64 s1, v0
	s_cbranch_execnz .LBB27_89
.LBB27_71:
	s_or_b32 exec_lo, exec_lo, s0
	s_delay_alu instid0(SALU_CYCLE_1)
	s_mov_b32 s0, exec_lo
	v_cmpx_gt_i32_e64 s1, v0
	s_cbranch_execz .LBB27_90
.LBB27_72:
	v_add_nc_u32_e32 v1, s2, v0
	v_add_nc_u32_e32 v0, 0x100, v0
	global_store_b8 v1, v7, s[4:5]
	s_wait_xcnt 0x0
	s_or_b32 exec_lo, exec_lo, s0
	s_delay_alu instid0(SALU_CYCLE_1)
	s_mov_b32 s0, exec_lo
	v_cmpx_gt_i32_e64 s1, v0
	s_cbranch_execnz .LBB27_91
.LBB27_73:
	s_or_b32 exec_lo, exec_lo, s0
	s_delay_alu instid0(SALU_CYCLE_1)
	s_mov_b32 s0, exec_lo
	v_cmpx_gt_i32_e64 s1, v0
	s_cbranch_execz .LBB27_92
.LBB27_74:
	v_add_nc_u32_e32 v1, s2, v0
	v_add_nc_u32_e32 v0, 0x100, v0
	global_store_b8 v1, v9, s[4:5]
	s_wait_xcnt 0x0
	s_or_b32 exec_lo, exec_lo, s0
	s_delay_alu instid0(SALU_CYCLE_1)
	s_mov_b32 s0, exec_lo
	v_cmpx_gt_i32_e64 s1, v0
	s_cbranch_execnz .LBB27_93
.LBB27_75:
	s_or_b32 exec_lo, exec_lo, s0
	s_delay_alu instid0(SALU_CYCLE_1)
	s_mov_b32 s0, exec_lo
	v_cmpx_gt_i32_e64 s1, v0
	s_cbranch_execz .LBB27_94
.LBB27_76:
	v_add_nc_u32_e32 v1, s2, v0
	v_add_nc_u32_e32 v0, 0x100, v0
	global_store_b8 v1, v12, s[4:5]
	s_wait_xcnt 0x0
	s_or_b32 exec_lo, exec_lo, s0
	s_delay_alu instid0(SALU_CYCLE_1)
	s_mov_b32 s0, exec_lo
	v_cmpx_gt_i32_e64 s1, v0
	s_cbranch_execnz .LBB27_95
.LBB27_77:
	s_or_b32 exec_lo, exec_lo, s0
	s_delay_alu instid0(SALU_CYCLE_1)
	s_mov_b32 s0, exec_lo
	v_cmpx_gt_i32_e64 s1, v0
	s_cbranch_execz .LBB27_96
.LBB27_78:
	v_add_nc_u32_e32 v1, s2, v0
	v_add_nc_u32_e32 v0, 0x100, v0
	global_store_b8 v1, v14, s[4:5]
	s_wait_xcnt 0x0
	s_or_b32 exec_lo, exec_lo, s0
	s_delay_alu instid0(SALU_CYCLE_1)
	s_mov_b32 s0, exec_lo
	v_cmpx_gt_i32_e64 s1, v0
	s_cbranch_execnz .LBB27_97
.LBB27_79:
	s_or_b32 exec_lo, exec_lo, s0
	s_delay_alu instid0(SALU_CYCLE_1)
	s_mov_b32 s0, exec_lo
	v_cmpx_gt_i32_e64 s1, v0
	s_cbranch_execz .LBB27_98
.LBB27_80:
	v_add_nc_u32_e32 v1, s2, v0
	v_add_nc_u32_e32 v0, 0x100, v0
	global_store_b8 v1, v16, s[4:5]
	s_wait_xcnt 0x0
	s_or_b32 exec_lo, exec_lo, s0
	s_delay_alu instid0(SALU_CYCLE_1)
	s_mov_b32 s0, exec_lo
	v_cmpx_gt_i32_e64 s1, v0
	s_cbranch_execnz .LBB27_99
.LBB27_81:
	s_or_b32 exec_lo, exec_lo, s0
	s_delay_alu instid0(SALU_CYCLE_1)
	s_mov_b32 s0, exec_lo
	v_cmpx_gt_i32_e64 s1, v0
	s_cbranch_execz .LBB27_83
.LBB27_82:
	v_add_nc_u32_e32 v0, s2, v0
	global_store_b8 v0, v18, s[4:5]
.LBB27_83:
	s_endpgm
.LBB27_84:
	s_or_b32 exec_lo, exec_lo, s3
	s_and_saveexec_b32 s0, vcc_lo
	s_delay_alu instid0(SALU_CYCLE_1)
	s_xor_b32 s0, exec_lo, s0
	s_cbranch_execz .LBB27_67
.LBB27_85:
	v_mov_b32_e32 v0, v10
	global_store_b8 v1, v2, s[4:5]
	s_wait_xcnt 0x0
	s_or_b32 exec_lo, exec_lo, s0
	s_delay_alu instid0(SALU_CYCLE_1)
	s_mov_b32 s0, exec_lo
	v_cmpx_gt_i32_e64 s1, v0
	s_cbranch_execnz .LBB27_68
.LBB27_86:
	s_or_b32 exec_lo, exec_lo, s0
	s_delay_alu instid0(SALU_CYCLE_1)
	s_mov_b32 s0, exec_lo
	v_cmpx_gt_i32_e64 s1, v0
	s_cbranch_execz .LBB27_69
.LBB27_87:
	v_add_nc_u32_e32 v1, s2, v0
	v_add_nc_u32_e32 v0, 0x100, v0
	global_store_b8 v1, v6, s[4:5]
	s_wait_xcnt 0x0
	s_or_b32 exec_lo, exec_lo, s0
	s_delay_alu instid0(SALU_CYCLE_1)
	s_mov_b32 s0, exec_lo
	v_cmpx_gt_i32_e64 s1, v0
	s_cbranch_execnz .LBB27_70
.LBB27_88:
	s_or_b32 exec_lo, exec_lo, s0
	s_delay_alu instid0(SALU_CYCLE_1)
	s_mov_b32 s0, exec_lo
	v_cmpx_gt_i32_e64 s1, v0
	s_cbranch_execz .LBB27_71
.LBB27_89:
	v_add_nc_u32_e32 v1, s2, v0
	v_add_nc_u32_e32 v0, 0x100, v0
	global_store_b8 v1, v4, s[4:5]
	s_wait_xcnt 0x0
	s_or_b32 exec_lo, exec_lo, s0
	s_delay_alu instid0(SALU_CYCLE_1)
	s_mov_b32 s0, exec_lo
	v_cmpx_gt_i32_e64 s1, v0
	s_cbranch_execnz .LBB27_72
.LBB27_90:
	s_or_b32 exec_lo, exec_lo, s0
	s_delay_alu instid0(SALU_CYCLE_1)
	s_mov_b32 s0, exec_lo
	v_cmpx_gt_i32_e64 s1, v0
	s_cbranch_execz .LBB27_73
.LBB27_91:
	v_add_nc_u32_e32 v1, s2, v0
	v_add_nc_u32_e32 v0, 0x100, v0
	global_store_b8 v1, v8, s[4:5]
	s_wait_xcnt 0x0
	s_or_b32 exec_lo, exec_lo, s0
	s_delay_alu instid0(SALU_CYCLE_1)
	s_mov_b32 s0, exec_lo
	v_cmpx_gt_i32_e64 s1, v0
	s_cbranch_execnz .LBB27_74
.LBB27_92:
	s_or_b32 exec_lo, exec_lo, s0
	s_delay_alu instid0(SALU_CYCLE_1)
	s_mov_b32 s0, exec_lo
	v_cmpx_gt_i32_e64 s1, v0
	s_cbranch_execz .LBB27_75
.LBB27_93:
	v_add_nc_u32_e32 v1, s2, v0
	v_add_nc_u32_e32 v0, 0x100, v0
	global_store_b8 v1, v11, s[4:5]
	s_wait_xcnt 0x0
	s_or_b32 exec_lo, exec_lo, s0
	s_delay_alu instid0(SALU_CYCLE_1)
	s_mov_b32 s0, exec_lo
	v_cmpx_gt_i32_e64 s1, v0
	s_cbranch_execnz .LBB27_76
.LBB27_94:
	s_or_b32 exec_lo, exec_lo, s0
	s_delay_alu instid0(SALU_CYCLE_1)
	s_mov_b32 s0, exec_lo
	v_cmpx_gt_i32_e64 s1, v0
	s_cbranch_execz .LBB27_77
.LBB27_95:
	v_add_nc_u32_e32 v1, s2, v0
	v_add_nc_u32_e32 v0, 0x100, v0
	global_store_b8 v1, v13, s[4:5]
	s_wait_xcnt 0x0
	s_or_b32 exec_lo, exec_lo, s0
	s_delay_alu instid0(SALU_CYCLE_1)
	s_mov_b32 s0, exec_lo
	v_cmpx_gt_i32_e64 s1, v0
	s_cbranch_execnz .LBB27_78
.LBB27_96:
	s_or_b32 exec_lo, exec_lo, s0
	s_delay_alu instid0(SALU_CYCLE_1)
	s_mov_b32 s0, exec_lo
	v_cmpx_gt_i32_e64 s1, v0
	s_cbranch_execz .LBB27_79
.LBB27_97:
	v_add_nc_u32_e32 v1, s2, v0
	v_add_nc_u32_e32 v0, 0x100, v0
	global_store_b8 v1, v15, s[4:5]
	s_wait_xcnt 0x0
	s_or_b32 exec_lo, exec_lo, s0
	s_delay_alu instid0(SALU_CYCLE_1)
	s_mov_b32 s0, exec_lo
	v_cmpx_gt_i32_e64 s1, v0
	s_cbranch_execnz .LBB27_80
.LBB27_98:
	s_or_b32 exec_lo, exec_lo, s0
	s_delay_alu instid0(SALU_CYCLE_1)
	s_mov_b32 s0, exec_lo
	v_cmpx_gt_i32_e64 s1, v0
	s_cbranch_execz .LBB27_81
.LBB27_99:
	v_add_nc_u32_e32 v1, s2, v0
	v_add_nc_u32_e32 v0, 0x100, v0
	global_store_b8 v1, v17, s[4:5]
	s_wait_xcnt 0x0
	s_or_b32 exec_lo, exec_lo, s0
	s_delay_alu instid0(SALU_CYCLE_1)
	s_mov_b32 s0, exec_lo
	v_cmpx_gt_i32_e64 s1, v0
	s_cbranch_execnz .LBB27_82
	s_branch .LBB27_83
	.section	.rodata,"a",@progbits
	.p2align	6, 0x0
	.amdhsa_kernel _ZN2at6native29vectorized_elementwise_kernelILi2EZZZNS0_12_GLOBAL__N_116addr_kernel_cudaERNS_14TensorIteratorERKN3c106ScalarES8_ENKUlvE_clEvENKUlvE_clEvEUlhhhE0_St5arrayIPcLm4EEEEviT0_T1_
		.amdhsa_group_segment_fixed_size 0
		.amdhsa_private_segment_fixed_size 0
		.amdhsa_kernarg_size 40
		.amdhsa_user_sgpr_count 2
		.amdhsa_user_sgpr_dispatch_ptr 0
		.amdhsa_user_sgpr_queue_ptr 0
		.amdhsa_user_sgpr_kernarg_segment_ptr 1
		.amdhsa_user_sgpr_dispatch_id 0
		.amdhsa_user_sgpr_kernarg_preload_length 0
		.amdhsa_user_sgpr_kernarg_preload_offset 0
		.amdhsa_user_sgpr_private_segment_size 0
		.amdhsa_wavefront_size32 1
		.amdhsa_uses_dynamic_stack 0
		.amdhsa_enable_private_segment 0
		.amdhsa_system_sgpr_workgroup_id_x 1
		.amdhsa_system_sgpr_workgroup_id_y 0
		.amdhsa_system_sgpr_workgroup_id_z 0
		.amdhsa_system_sgpr_workgroup_info 0
		.amdhsa_system_vgpr_workitem_id 0
		.amdhsa_next_free_vgpr 57
		.amdhsa_next_free_sgpr 22
		.amdhsa_named_barrier_count 0
		.amdhsa_reserve_vcc 1
		.amdhsa_float_round_mode_32 0
		.amdhsa_float_round_mode_16_64 0
		.amdhsa_float_denorm_mode_32 3
		.amdhsa_float_denorm_mode_16_64 3
		.amdhsa_fp16_overflow 0
		.amdhsa_memory_ordered 1
		.amdhsa_forward_progress 1
		.amdhsa_inst_pref_size 54
		.amdhsa_round_robin_scheduling 0
		.amdhsa_exception_fp_ieee_invalid_op 0
		.amdhsa_exception_fp_denorm_src 0
		.amdhsa_exception_fp_ieee_div_zero 0
		.amdhsa_exception_fp_ieee_overflow 0
		.amdhsa_exception_fp_ieee_underflow 0
		.amdhsa_exception_fp_ieee_inexact 0
		.amdhsa_exception_int_div_zero 0
	.end_amdhsa_kernel
	.section	.text._ZN2at6native29vectorized_elementwise_kernelILi2EZZZNS0_12_GLOBAL__N_116addr_kernel_cudaERNS_14TensorIteratorERKN3c106ScalarES8_ENKUlvE_clEvENKUlvE_clEvEUlhhhE0_St5arrayIPcLm4EEEEviT0_T1_,"axG",@progbits,_ZN2at6native29vectorized_elementwise_kernelILi2EZZZNS0_12_GLOBAL__N_116addr_kernel_cudaERNS_14TensorIteratorERKN3c106ScalarES8_ENKUlvE_clEvENKUlvE_clEvEUlhhhE0_St5arrayIPcLm4EEEEviT0_T1_,comdat
.Lfunc_end27:
	.size	_ZN2at6native29vectorized_elementwise_kernelILi2EZZZNS0_12_GLOBAL__N_116addr_kernel_cudaERNS_14TensorIteratorERKN3c106ScalarES8_ENKUlvE_clEvENKUlvE_clEvEUlhhhE0_St5arrayIPcLm4EEEEviT0_T1_, .Lfunc_end27-_ZN2at6native29vectorized_elementwise_kernelILi2EZZZNS0_12_GLOBAL__N_116addr_kernel_cudaERNS_14TensorIteratorERKN3c106ScalarES8_ENKUlvE_clEvENKUlvE_clEvEUlhhhE0_St5arrayIPcLm4EEEEviT0_T1_
                                        ; -- End function
	.set _ZN2at6native29vectorized_elementwise_kernelILi2EZZZNS0_12_GLOBAL__N_116addr_kernel_cudaERNS_14TensorIteratorERKN3c106ScalarES8_ENKUlvE_clEvENKUlvE_clEvEUlhhhE0_St5arrayIPcLm4EEEEviT0_T1_.num_vgpr, 57
	.set _ZN2at6native29vectorized_elementwise_kernelILi2EZZZNS0_12_GLOBAL__N_116addr_kernel_cudaERNS_14TensorIteratorERKN3c106ScalarES8_ENKUlvE_clEvENKUlvE_clEvEUlhhhE0_St5arrayIPcLm4EEEEviT0_T1_.num_agpr, 0
	.set _ZN2at6native29vectorized_elementwise_kernelILi2EZZZNS0_12_GLOBAL__N_116addr_kernel_cudaERNS_14TensorIteratorERKN3c106ScalarES8_ENKUlvE_clEvENKUlvE_clEvEUlhhhE0_St5arrayIPcLm4EEEEviT0_T1_.numbered_sgpr, 22
	.set _ZN2at6native29vectorized_elementwise_kernelILi2EZZZNS0_12_GLOBAL__N_116addr_kernel_cudaERNS_14TensorIteratorERKN3c106ScalarES8_ENKUlvE_clEvENKUlvE_clEvEUlhhhE0_St5arrayIPcLm4EEEEviT0_T1_.num_named_barrier, 0
	.set _ZN2at6native29vectorized_elementwise_kernelILi2EZZZNS0_12_GLOBAL__N_116addr_kernel_cudaERNS_14TensorIteratorERKN3c106ScalarES8_ENKUlvE_clEvENKUlvE_clEvEUlhhhE0_St5arrayIPcLm4EEEEviT0_T1_.private_seg_size, 0
	.set _ZN2at6native29vectorized_elementwise_kernelILi2EZZZNS0_12_GLOBAL__N_116addr_kernel_cudaERNS_14TensorIteratorERKN3c106ScalarES8_ENKUlvE_clEvENKUlvE_clEvEUlhhhE0_St5arrayIPcLm4EEEEviT0_T1_.uses_vcc, 1
	.set _ZN2at6native29vectorized_elementwise_kernelILi2EZZZNS0_12_GLOBAL__N_116addr_kernel_cudaERNS_14TensorIteratorERKN3c106ScalarES8_ENKUlvE_clEvENKUlvE_clEvEUlhhhE0_St5arrayIPcLm4EEEEviT0_T1_.uses_flat_scratch, 0
	.set _ZN2at6native29vectorized_elementwise_kernelILi2EZZZNS0_12_GLOBAL__N_116addr_kernel_cudaERNS_14TensorIteratorERKN3c106ScalarES8_ENKUlvE_clEvENKUlvE_clEvEUlhhhE0_St5arrayIPcLm4EEEEviT0_T1_.has_dyn_sized_stack, 0
	.set _ZN2at6native29vectorized_elementwise_kernelILi2EZZZNS0_12_GLOBAL__N_116addr_kernel_cudaERNS_14TensorIteratorERKN3c106ScalarES8_ENKUlvE_clEvENKUlvE_clEvEUlhhhE0_St5arrayIPcLm4EEEEviT0_T1_.has_recursion, 0
	.set _ZN2at6native29vectorized_elementwise_kernelILi2EZZZNS0_12_GLOBAL__N_116addr_kernel_cudaERNS_14TensorIteratorERKN3c106ScalarES8_ENKUlvE_clEvENKUlvE_clEvEUlhhhE0_St5arrayIPcLm4EEEEviT0_T1_.has_indirect_call, 0
	.section	.AMDGPU.csdata,"",@progbits
; Kernel info:
; codeLenInByte = 6852
; TotalNumSgprs: 24
; NumVgprs: 57
; ScratchSize: 0
; MemoryBound: 0
; FloatMode: 240
; IeeeMode: 1
; LDSByteSize: 0 bytes/workgroup (compile time only)
; SGPRBlocks: 0
; VGPRBlocks: 3
; NumSGPRsForWavesPerEU: 24
; NumVGPRsForWavesPerEU: 57
; NamedBarCnt: 0
; Occupancy: 16
; WaveLimiterHint : 1
; COMPUTE_PGM_RSRC2:SCRATCH_EN: 0
; COMPUTE_PGM_RSRC2:USER_SGPR: 2
; COMPUTE_PGM_RSRC2:TRAP_HANDLER: 0
; COMPUTE_PGM_RSRC2:TGID_X_EN: 1
; COMPUTE_PGM_RSRC2:TGID_Y_EN: 0
; COMPUTE_PGM_RSRC2:TGID_Z_EN: 0
; COMPUTE_PGM_RSRC2:TIDIG_COMP_CNT: 0
	.section	.text._ZN2at6native27unrolled_elementwise_kernelIZZZNS0_12_GLOBAL__N_116addr_kernel_cudaERNS_14TensorIteratorERKN3c106ScalarES8_ENKUlvE_clEvENKUlvE_clEvEUlhhhE0_St5arrayIPcLm4EELi4E23TrivialOffsetCalculatorILi3EjESF_ILi1EjENS0_6memory15LoadWithoutCastENSI_16StoreWithoutCastEEEviT_T0_T2_T3_T4_T5_,"axG",@progbits,_ZN2at6native27unrolled_elementwise_kernelIZZZNS0_12_GLOBAL__N_116addr_kernel_cudaERNS_14TensorIteratorERKN3c106ScalarES8_ENKUlvE_clEvENKUlvE_clEvEUlhhhE0_St5arrayIPcLm4EELi4E23TrivialOffsetCalculatorILi3EjESF_ILi1EjENS0_6memory15LoadWithoutCastENSI_16StoreWithoutCastEEEviT_T0_T2_T3_T4_T5_,comdat
	.globl	_ZN2at6native27unrolled_elementwise_kernelIZZZNS0_12_GLOBAL__N_116addr_kernel_cudaERNS_14TensorIteratorERKN3c106ScalarES8_ENKUlvE_clEvENKUlvE_clEvEUlhhhE0_St5arrayIPcLm4EELi4E23TrivialOffsetCalculatorILi3EjESF_ILi1EjENS0_6memory15LoadWithoutCastENSI_16StoreWithoutCastEEEviT_T0_T2_T3_T4_T5_ ; -- Begin function _ZN2at6native27unrolled_elementwise_kernelIZZZNS0_12_GLOBAL__N_116addr_kernel_cudaERNS_14TensorIteratorERKN3c106ScalarES8_ENKUlvE_clEvENKUlvE_clEvEUlhhhE0_St5arrayIPcLm4EELi4E23TrivialOffsetCalculatorILi3EjESF_ILi1EjENS0_6memory15LoadWithoutCastENSI_16StoreWithoutCastEEEviT_T0_T2_T3_T4_T5_
	.p2align	8
	.type	_ZN2at6native27unrolled_elementwise_kernelIZZZNS0_12_GLOBAL__N_116addr_kernel_cudaERNS_14TensorIteratorERKN3c106ScalarES8_ENKUlvE_clEvENKUlvE_clEvEUlhhhE0_St5arrayIPcLm4EELi4E23TrivialOffsetCalculatorILi3EjESF_ILi1EjENS0_6memory15LoadWithoutCastENSI_16StoreWithoutCastEEEviT_T0_T2_T3_T4_T5_,@function
_ZN2at6native27unrolled_elementwise_kernelIZZZNS0_12_GLOBAL__N_116addr_kernel_cudaERNS_14TensorIteratorERKN3c106ScalarES8_ENKUlvE_clEvENKUlvE_clEvEUlhhhE0_St5arrayIPcLm4EELi4E23TrivialOffsetCalculatorILi3EjESF_ILi1EjENS0_6memory15LoadWithoutCastENSI_16StoreWithoutCastEEEviT_T0_T2_T3_T4_T5_: ; @_ZN2at6native27unrolled_elementwise_kernelIZZZNS0_12_GLOBAL__N_116addr_kernel_cudaERNS_14TensorIteratorERKN3c106ScalarES8_ENKUlvE_clEvENKUlvE_clEvEUlhhhE0_St5arrayIPcLm4EELi4E23TrivialOffsetCalculatorILi3EjESF_ILi1EjENS0_6memory15LoadWithoutCastENSI_16StoreWithoutCastEEEviT_T0_T2_T3_T4_T5_
; %bb.0:
	v_dual_mov_b32 v3, 0 :: v_dual_mov_b32 v5, 0
	s_bfe_u32 s3, ttmp6, 0x4000c
	s_load_b256 s[4:11], s[0:1], 0x8
	s_add_co_i32 s3, s3, 1
	global_load_u16 v14, v3, s[0:1] offset:4
	s_load_b32 s12, s[0:1], 0x0
	s_and_b32 s2, ttmp6, 15
	s_wait_xcnt 0x0
	s_mul_i32 s0, ttmp9, s3
	s_getreg_b32 s13, hwreg(HW_REG_IB_STS2, 6, 4)
	s_add_co_i32 s2, s2, s0
	s_cmp_eq_u32 s13, 0
	v_dual_mov_b32 v4, 0 :: v_dual_mov_b32 v8, 0
	s_cselect_b32 s0, ttmp9, s2
	v_dual_mov_b32 v7, 0 :: v_dual_mov_b32 v6, 0
	s_lshl_b32 s1, s0, 10
	v_dual_mov_b32 v9, 0 :: v_dual_mov_b32 v10, 0
	v_dual_mov_b32 v11, 0 :: v_dual_mov_b32 v12, 0
	v_dual_mov_b32 v13, 0 :: v_dual_bitop2_b32 v2, s1, v0 bitop3:0x54
	v_or_b32_e32 v1, 0x100, v0
	s_wait_kmcnt 0x0
	s_sub_co_i32 s2, s12, s1
	s_delay_alu instid0(SALU_CYCLE_1)
	v_cmp_gt_i32_e32 vcc_lo, s2, v0
	s_wait_loadcnt 0x0
	v_readfirstlane_b32 s3, v14
	v_mov_b32_e32 v14, 0
	s_and_saveexec_b32 s12, vcc_lo
	s_cbranch_execz .LBB28_8
; %bb.1:
	s_clause 0x2
	global_load_u8 v12, v2, s[6:7]
	global_load_u8 v13, v2, s[8:9]
	;; [unrolled: 1-line block ×3, first 2 shown]
	v_or_b32_e32 v15, 0x100, v0
	v_dual_mov_b32 v11, 0 :: v_dual_mov_b32 v10, 0
	v_dual_mov_b32 v9, 0 :: v_dual_mov_b32 v6, 0
	;; [unrolled: 1-line block ×4, first 2 shown]
	v_mov_b32_e32 v3, 0
	s_mov_b32 s13, exec_lo
	s_wait_xcnt 0x0
	v_cmpx_gt_u32_e64 s2, v15
	s_cbranch_execz .LBB28_7
; %bb.2:
	v_dual_mov_b32 v6, 0 :: v_dual_add_nc_u32 v3, s1, v15
	v_or_b32_e32 v15, 0x200, v0
	v_dual_mov_b32 v7, 0 :: v_dual_mov_b32 v8, 0
	s_clause 0x2
	global_load_u8 v9, v3, s[6:7]
	global_load_u8 v10, v3, s[8:9]
	;; [unrolled: 1-line block ×3, first 2 shown]
	v_dual_mov_b32 v4, 0 :: v_dual_mov_b32 v5, 0
	s_wait_xcnt 0x0
	v_mov_b32_e32 v3, 0
	s_mov_b32 s14, exec_lo
	v_cmpx_gt_u32_e64 s2, v15
	s_cbranch_execz .LBB28_6
; %bb.3:
	v_dual_mov_b32 v4, 0 :: v_dual_add_nc_u32 v3, s1, v15
	v_or_b32_e32 v15, 0x300, v0
	v_mov_b32_e32 v5, 0
	s_mov_b32 s15, exec_lo
	s_clause 0x2
	global_load_u8 v8, v3, s[6:7]
	global_load_u8 v7, v3, s[8:9]
	;; [unrolled: 1-line block ×3, first 2 shown]
	s_wait_xcnt 0x0
	v_mov_b32_e32 v3, 0
	v_cmpx_gt_u32_e64 s2, v15
	s_cbranch_execz .LBB28_5
; %bb.4:
	v_add_nc_u32_e32 v15, s1, v15
	s_clause 0x2
	global_load_u8 v3, v15, s[6:7]
	global_load_u8 v5, v15, s[8:9]
	;; [unrolled: 1-line block ×3, first 2 shown]
.LBB28_5:
	s_wait_xcnt 0x0
	s_or_b32 exec_lo, exec_lo, s15
.LBB28_6:
	s_delay_alu instid0(SALU_CYCLE_1)
	s_or_b32 exec_lo, exec_lo, s14
.LBB28_7:
	s_delay_alu instid0(SALU_CYCLE_1) | instskip(NEXT) | instid1(SALU_CYCLE_1)
	s_or_b32 exec_lo, exec_lo, s13
	s_or_b32 exec_lo, exec_lo, s12
                                        ; implicit-def: $vgpr15
	s_and_saveexec_b32 s0, vcc_lo
	s_cbranch_execz .LBB28_10
	s_branch .LBB28_9
.LBB28_8:
	s_or_b32 exec_lo, exec_lo, s12
                                        ; implicit-def: $vgpr15
	s_and_saveexec_b32 s0, vcc_lo
	s_cbranch_execz .LBB28_10
.LBB28_9:
	s_and_b32 s6, 0xffff, s3
	s_wait_loadcnt 0x2
	v_mul_lo_u16 v12, v12, s3
	s_lshr_b32 s6, s6, 8
	s_wait_loadcnt 0x1
	v_mul_lo_u16 v13, v13, s6
	s_wait_loadcnt 0x0
	s_delay_alu instid0(VALU_DEP_1)
	v_mad_u16 v15, v13, v14, v12
.LBB28_10:
	s_or_b32 exec_lo, exec_lo, s0
	s_delay_alu instid0(SALU_CYCLE_1)
	s_mov_b32 s6, exec_lo
                                        ; implicit-def: $vgpr12
	v_cmpx_gt_i32_e64 s2, v1
	s_cbranch_execz .LBB28_12
; %bb.11:
	s_and_b32 s0, 0xffff, s3
	s_wait_loadcnt 0x2
	v_mul_lo_u16 v9, v9, s3
	s_lshr_b32 s0, s0, 8
	s_wait_loadcnt 0x1
	v_mul_lo_u16 v10, v10, s0
	s_wait_loadcnt 0x0
	s_delay_alu instid0(VALU_DEP_1)
	v_mad_u16 v12, v10, v11, v9
.LBB28_12:
	s_or_b32 exec_lo, exec_lo, s6
	s_wait_loadcnt 0x2
	v_or_b32_e32 v9, 0x200, v0
	s_delay_alu instid0(VALU_DEP_1)
	v_cmp_gt_i32_e64 s0, s2, v9
                                        ; implicit-def: $vgpr9
	s_and_saveexec_b32 s6, s0
	s_cbranch_execz .LBB28_14
; %bb.13:
	s_and_b32 s0, 0xffff, s3
	v_mul_lo_u16 v8, v8, s3
	s_lshr_b32 s0, s0, 8
	s_wait_loadcnt 0x1
	v_mul_lo_u16 v7, v7, s0
	s_wait_loadcnt 0x0
	s_delay_alu instid0(VALU_DEP_1)
	v_mad_u16 v9, v7, v6, v8
.LBB28_14:
	s_or_b32 exec_lo, exec_lo, s6
	s_wait_loadcnt 0x0
	v_or_b32_e32 v6, 0x300, v0
	s_delay_alu instid0(VALU_DEP_1)
	v_cmp_gt_i32_e64 s0, s2, v6
                                        ; implicit-def: $vgpr6
	s_and_saveexec_b32 s6, s0
	s_cbranch_execz .LBB28_20
; %bb.15:
	s_and_b32 s0, 0xffff, s3
	v_mul_lo_u16 v3, v3, s3
	s_lshr_b32 s0, s0, 8
	s_delay_alu instid0(SALU_CYCLE_1) | instskip(NEXT) | instid1(VALU_DEP_1)
	v_mul_lo_u16 v5, v5, s0
	v_mad_u16 v6, v5, v4, v3
	s_or_b32 exec_lo, exec_lo, s6
	s_and_saveexec_b32 s0, vcc_lo
	s_delay_alu instid0(SALU_CYCLE_1)
	s_xor_b32 s0, exec_lo, s0
	s_cbranch_execnz .LBB28_21
.LBB28_16:
	s_or_b32 exec_lo, exec_lo, s0
	s_delay_alu instid0(SALU_CYCLE_1)
	s_mov_b32 s0, exec_lo
	v_cmpx_gt_i32_e64 s2, v0
	s_cbranch_execz .LBB28_22
.LBB28_17:
	v_add_nc_u32_e32 v1, 0x100, v0
	s_delay_alu instid0(VALU_DEP_1) | instskip(SKIP_3) | instid1(SALU_CYCLE_1)
	v_dual_add_nc_u32 v2, s1, v0 :: v_dual_mov_b32 v0, v1
	global_store_b8 v2, v12, s[4:5]
	s_wait_xcnt 0x0
	s_or_b32 exec_lo, exec_lo, s0
	s_mov_b32 s0, exec_lo
	v_cmpx_gt_i32_e64 s2, v0
	s_cbranch_execnz .LBB28_23
.LBB28_18:
	s_or_b32 exec_lo, exec_lo, s0
	s_delay_alu instid0(SALU_CYCLE_1)
	s_mov_b32 s0, exec_lo
	v_cmpx_gt_i32_e64 s2, v0
	s_cbranch_execz .LBB28_24
.LBB28_19:
	v_add_nc_u32_e32 v0, s1, v0
	global_store_b8 v0, v6, s[4:5]
	s_endpgm
.LBB28_20:
	s_or_b32 exec_lo, exec_lo, s6
	s_and_saveexec_b32 s0, vcc_lo
	s_delay_alu instid0(SALU_CYCLE_1)
	s_xor_b32 s0, exec_lo, s0
	s_cbranch_execz .LBB28_16
.LBB28_21:
	v_mov_b32_e32 v0, v1
	global_store_b8 v2, v15, s[4:5]
	s_wait_xcnt 0x0
	s_or_b32 exec_lo, exec_lo, s0
	s_delay_alu instid0(SALU_CYCLE_1)
	s_mov_b32 s0, exec_lo
	v_cmpx_gt_i32_e64 s2, v0
	s_cbranch_execnz .LBB28_17
.LBB28_22:
	s_or_b32 exec_lo, exec_lo, s0
	s_delay_alu instid0(SALU_CYCLE_1)
	s_mov_b32 s0, exec_lo
	v_cmpx_gt_i32_e64 s2, v0
	s_cbranch_execz .LBB28_18
.LBB28_23:
	v_add_nc_u32_e32 v1, 0x100, v0
	s_delay_alu instid0(VALU_DEP_1) | instskip(SKIP_3) | instid1(SALU_CYCLE_1)
	v_dual_add_nc_u32 v2, s1, v0 :: v_dual_mov_b32 v0, v1
	global_store_b8 v2, v9, s[4:5]
	s_wait_xcnt 0x0
	s_or_b32 exec_lo, exec_lo, s0
	s_mov_b32 s0, exec_lo
	v_cmpx_gt_i32_e64 s2, v0
	s_cbranch_execnz .LBB28_19
.LBB28_24:
	s_endpgm
	.section	.rodata,"a",@progbits
	.p2align	6, 0x0
	.amdhsa_kernel _ZN2at6native27unrolled_elementwise_kernelIZZZNS0_12_GLOBAL__N_116addr_kernel_cudaERNS_14TensorIteratorERKN3c106ScalarES8_ENKUlvE_clEvENKUlvE_clEvEUlhhhE0_St5arrayIPcLm4EELi4E23TrivialOffsetCalculatorILi3EjESF_ILi1EjENS0_6memory15LoadWithoutCastENSI_16StoreWithoutCastEEEviT_T0_T2_T3_T4_T5_
		.amdhsa_group_segment_fixed_size 0
		.amdhsa_private_segment_fixed_size 0
		.amdhsa_kernarg_size 44
		.amdhsa_user_sgpr_count 2
		.amdhsa_user_sgpr_dispatch_ptr 0
		.amdhsa_user_sgpr_queue_ptr 0
		.amdhsa_user_sgpr_kernarg_segment_ptr 1
		.amdhsa_user_sgpr_dispatch_id 0
		.amdhsa_user_sgpr_kernarg_preload_length 0
		.amdhsa_user_sgpr_kernarg_preload_offset 0
		.amdhsa_user_sgpr_private_segment_size 0
		.amdhsa_wavefront_size32 1
		.amdhsa_uses_dynamic_stack 0
		.amdhsa_enable_private_segment 0
		.amdhsa_system_sgpr_workgroup_id_x 1
		.amdhsa_system_sgpr_workgroup_id_y 0
		.amdhsa_system_sgpr_workgroup_id_z 0
		.amdhsa_system_sgpr_workgroup_info 0
		.amdhsa_system_vgpr_workitem_id 0
		.amdhsa_next_free_vgpr 16
		.amdhsa_next_free_sgpr 16
		.amdhsa_named_barrier_count 0
		.amdhsa_reserve_vcc 1
		.amdhsa_float_round_mode_32 0
		.amdhsa_float_round_mode_16_64 0
		.amdhsa_float_denorm_mode_32 3
		.amdhsa_float_denorm_mode_16_64 3
		.amdhsa_fp16_overflow 0
		.amdhsa_memory_ordered 1
		.amdhsa_forward_progress 1
		.amdhsa_inst_pref_size 9
		.amdhsa_round_robin_scheduling 0
		.amdhsa_exception_fp_ieee_invalid_op 0
		.amdhsa_exception_fp_denorm_src 0
		.amdhsa_exception_fp_ieee_div_zero 0
		.amdhsa_exception_fp_ieee_overflow 0
		.amdhsa_exception_fp_ieee_underflow 0
		.amdhsa_exception_fp_ieee_inexact 0
		.amdhsa_exception_int_div_zero 0
	.end_amdhsa_kernel
	.section	.text._ZN2at6native27unrolled_elementwise_kernelIZZZNS0_12_GLOBAL__N_116addr_kernel_cudaERNS_14TensorIteratorERKN3c106ScalarES8_ENKUlvE_clEvENKUlvE_clEvEUlhhhE0_St5arrayIPcLm4EELi4E23TrivialOffsetCalculatorILi3EjESF_ILi1EjENS0_6memory15LoadWithoutCastENSI_16StoreWithoutCastEEEviT_T0_T2_T3_T4_T5_,"axG",@progbits,_ZN2at6native27unrolled_elementwise_kernelIZZZNS0_12_GLOBAL__N_116addr_kernel_cudaERNS_14TensorIteratorERKN3c106ScalarES8_ENKUlvE_clEvENKUlvE_clEvEUlhhhE0_St5arrayIPcLm4EELi4E23TrivialOffsetCalculatorILi3EjESF_ILi1EjENS0_6memory15LoadWithoutCastENSI_16StoreWithoutCastEEEviT_T0_T2_T3_T4_T5_,comdat
.Lfunc_end28:
	.size	_ZN2at6native27unrolled_elementwise_kernelIZZZNS0_12_GLOBAL__N_116addr_kernel_cudaERNS_14TensorIteratorERKN3c106ScalarES8_ENKUlvE_clEvENKUlvE_clEvEUlhhhE0_St5arrayIPcLm4EELi4E23TrivialOffsetCalculatorILi3EjESF_ILi1EjENS0_6memory15LoadWithoutCastENSI_16StoreWithoutCastEEEviT_T0_T2_T3_T4_T5_, .Lfunc_end28-_ZN2at6native27unrolled_elementwise_kernelIZZZNS0_12_GLOBAL__N_116addr_kernel_cudaERNS_14TensorIteratorERKN3c106ScalarES8_ENKUlvE_clEvENKUlvE_clEvEUlhhhE0_St5arrayIPcLm4EELi4E23TrivialOffsetCalculatorILi3EjESF_ILi1EjENS0_6memory15LoadWithoutCastENSI_16StoreWithoutCastEEEviT_T0_T2_T3_T4_T5_
                                        ; -- End function
	.set _ZN2at6native27unrolled_elementwise_kernelIZZZNS0_12_GLOBAL__N_116addr_kernel_cudaERNS_14TensorIteratorERKN3c106ScalarES8_ENKUlvE_clEvENKUlvE_clEvEUlhhhE0_St5arrayIPcLm4EELi4E23TrivialOffsetCalculatorILi3EjESF_ILi1EjENS0_6memory15LoadWithoutCastENSI_16StoreWithoutCastEEEviT_T0_T2_T3_T4_T5_.num_vgpr, 16
	.set _ZN2at6native27unrolled_elementwise_kernelIZZZNS0_12_GLOBAL__N_116addr_kernel_cudaERNS_14TensorIteratorERKN3c106ScalarES8_ENKUlvE_clEvENKUlvE_clEvEUlhhhE0_St5arrayIPcLm4EELi4E23TrivialOffsetCalculatorILi3EjESF_ILi1EjENS0_6memory15LoadWithoutCastENSI_16StoreWithoutCastEEEviT_T0_T2_T3_T4_T5_.num_agpr, 0
	.set _ZN2at6native27unrolled_elementwise_kernelIZZZNS0_12_GLOBAL__N_116addr_kernel_cudaERNS_14TensorIteratorERKN3c106ScalarES8_ENKUlvE_clEvENKUlvE_clEvEUlhhhE0_St5arrayIPcLm4EELi4E23TrivialOffsetCalculatorILi3EjESF_ILi1EjENS0_6memory15LoadWithoutCastENSI_16StoreWithoutCastEEEviT_T0_T2_T3_T4_T5_.numbered_sgpr, 16
	.set _ZN2at6native27unrolled_elementwise_kernelIZZZNS0_12_GLOBAL__N_116addr_kernel_cudaERNS_14TensorIteratorERKN3c106ScalarES8_ENKUlvE_clEvENKUlvE_clEvEUlhhhE0_St5arrayIPcLm4EELi4E23TrivialOffsetCalculatorILi3EjESF_ILi1EjENS0_6memory15LoadWithoutCastENSI_16StoreWithoutCastEEEviT_T0_T2_T3_T4_T5_.num_named_barrier, 0
	.set _ZN2at6native27unrolled_elementwise_kernelIZZZNS0_12_GLOBAL__N_116addr_kernel_cudaERNS_14TensorIteratorERKN3c106ScalarES8_ENKUlvE_clEvENKUlvE_clEvEUlhhhE0_St5arrayIPcLm4EELi4E23TrivialOffsetCalculatorILi3EjESF_ILi1EjENS0_6memory15LoadWithoutCastENSI_16StoreWithoutCastEEEviT_T0_T2_T3_T4_T5_.private_seg_size, 0
	.set _ZN2at6native27unrolled_elementwise_kernelIZZZNS0_12_GLOBAL__N_116addr_kernel_cudaERNS_14TensorIteratorERKN3c106ScalarES8_ENKUlvE_clEvENKUlvE_clEvEUlhhhE0_St5arrayIPcLm4EELi4E23TrivialOffsetCalculatorILi3EjESF_ILi1EjENS0_6memory15LoadWithoutCastENSI_16StoreWithoutCastEEEviT_T0_T2_T3_T4_T5_.uses_vcc, 1
	.set _ZN2at6native27unrolled_elementwise_kernelIZZZNS0_12_GLOBAL__N_116addr_kernel_cudaERNS_14TensorIteratorERKN3c106ScalarES8_ENKUlvE_clEvENKUlvE_clEvEUlhhhE0_St5arrayIPcLm4EELi4E23TrivialOffsetCalculatorILi3EjESF_ILi1EjENS0_6memory15LoadWithoutCastENSI_16StoreWithoutCastEEEviT_T0_T2_T3_T4_T5_.uses_flat_scratch, 0
	.set _ZN2at6native27unrolled_elementwise_kernelIZZZNS0_12_GLOBAL__N_116addr_kernel_cudaERNS_14TensorIteratorERKN3c106ScalarES8_ENKUlvE_clEvENKUlvE_clEvEUlhhhE0_St5arrayIPcLm4EELi4E23TrivialOffsetCalculatorILi3EjESF_ILi1EjENS0_6memory15LoadWithoutCastENSI_16StoreWithoutCastEEEviT_T0_T2_T3_T4_T5_.has_dyn_sized_stack, 0
	.set _ZN2at6native27unrolled_elementwise_kernelIZZZNS0_12_GLOBAL__N_116addr_kernel_cudaERNS_14TensorIteratorERKN3c106ScalarES8_ENKUlvE_clEvENKUlvE_clEvEUlhhhE0_St5arrayIPcLm4EELi4E23TrivialOffsetCalculatorILi3EjESF_ILi1EjENS0_6memory15LoadWithoutCastENSI_16StoreWithoutCastEEEviT_T0_T2_T3_T4_T5_.has_recursion, 0
	.set _ZN2at6native27unrolled_elementwise_kernelIZZZNS0_12_GLOBAL__N_116addr_kernel_cudaERNS_14TensorIteratorERKN3c106ScalarES8_ENKUlvE_clEvENKUlvE_clEvEUlhhhE0_St5arrayIPcLm4EELi4E23TrivialOffsetCalculatorILi3EjESF_ILi1EjENS0_6memory15LoadWithoutCastENSI_16StoreWithoutCastEEEviT_T0_T2_T3_T4_T5_.has_indirect_call, 0
	.section	.AMDGPU.csdata,"",@progbits
; Kernel info:
; codeLenInByte = 1144
; TotalNumSgprs: 18
; NumVgprs: 16
; ScratchSize: 0
; MemoryBound: 0
; FloatMode: 240
; IeeeMode: 1
; LDSByteSize: 0 bytes/workgroup (compile time only)
; SGPRBlocks: 0
; VGPRBlocks: 0
; NumSGPRsForWavesPerEU: 18
; NumVGPRsForWavesPerEU: 16
; NamedBarCnt: 0
; Occupancy: 16
; WaveLimiterHint : 0
; COMPUTE_PGM_RSRC2:SCRATCH_EN: 0
; COMPUTE_PGM_RSRC2:USER_SGPR: 2
; COMPUTE_PGM_RSRC2:TRAP_HANDLER: 0
; COMPUTE_PGM_RSRC2:TGID_X_EN: 1
; COMPUTE_PGM_RSRC2:TGID_Y_EN: 0
; COMPUTE_PGM_RSRC2:TGID_Z_EN: 0
; COMPUTE_PGM_RSRC2:TIDIG_COMP_CNT: 0
	.section	.text._ZN2at6native32elementwise_kernel_manual_unrollILi128ELi8EZNS0_22gpu_kernel_impl_nocastIZZZNS0_12_GLOBAL__N_116addr_kernel_cudaERNS_14TensorIteratorERKN3c106ScalarES9_ENKUlvE_clEvENKUlvE_clEvEUlhhhE0_EEvRNS_18TensorIteratorBaseERKT_EUlibE_EEviT1_,"axG",@progbits,_ZN2at6native32elementwise_kernel_manual_unrollILi128ELi8EZNS0_22gpu_kernel_impl_nocastIZZZNS0_12_GLOBAL__N_116addr_kernel_cudaERNS_14TensorIteratorERKN3c106ScalarES9_ENKUlvE_clEvENKUlvE_clEvEUlhhhE0_EEvRNS_18TensorIteratorBaseERKT_EUlibE_EEviT1_,comdat
	.globl	_ZN2at6native32elementwise_kernel_manual_unrollILi128ELi8EZNS0_22gpu_kernel_impl_nocastIZZZNS0_12_GLOBAL__N_116addr_kernel_cudaERNS_14TensorIteratorERKN3c106ScalarES9_ENKUlvE_clEvENKUlvE_clEvEUlhhhE0_EEvRNS_18TensorIteratorBaseERKT_EUlibE_EEviT1_ ; -- Begin function _ZN2at6native32elementwise_kernel_manual_unrollILi128ELi8EZNS0_22gpu_kernel_impl_nocastIZZZNS0_12_GLOBAL__N_116addr_kernel_cudaERNS_14TensorIteratorERKN3c106ScalarES9_ENKUlvE_clEvENKUlvE_clEvEUlhhhE0_EEvRNS_18TensorIteratorBaseERKT_EUlibE_EEviT1_
	.p2align	8
	.type	_ZN2at6native32elementwise_kernel_manual_unrollILi128ELi8EZNS0_22gpu_kernel_impl_nocastIZZZNS0_12_GLOBAL__N_116addr_kernel_cudaERNS_14TensorIteratorERKN3c106ScalarES9_ENKUlvE_clEvENKUlvE_clEvEUlhhhE0_EEvRNS_18TensorIteratorBaseERKT_EUlibE_EEviT1_,@function
_ZN2at6native32elementwise_kernel_manual_unrollILi128ELi8EZNS0_22gpu_kernel_impl_nocastIZZZNS0_12_GLOBAL__N_116addr_kernel_cudaERNS_14TensorIteratorERKN3c106ScalarES9_ENKUlvE_clEvENKUlvE_clEvEUlhhhE0_EEvRNS_18TensorIteratorBaseERKT_EUlibE_EEviT1_: ; @_ZN2at6native32elementwise_kernel_manual_unrollILi128ELi8EZNS0_22gpu_kernel_impl_nocastIZZZNS0_12_GLOBAL__N_116addr_kernel_cudaERNS_14TensorIteratorERKN3c106ScalarES9_ENKUlvE_clEvENKUlvE_clEvEUlhhhE0_EEvRNS_18TensorIteratorBaseERKT_EUlibE_EEviT1_
; %bb.0:
	s_clause 0x1
	s_load_b32 s33, s[0:1], 0x8
	s_load_b32 s40, s[0:1], 0x0
	s_bfe_u32 s2, ttmp6, 0x4000c
	s_and_b32 s3, ttmp6, 15
	s_add_co_i32 s2, s2, 1
	s_getreg_b32 s4, hwreg(HW_REG_IB_STS2, 6, 4)
	s_mul_i32 s2, ttmp9, s2
	s_add_nc_u64 s[20:21], s[0:1], 8
	s_add_co_i32 s3, s3, s2
	s_cmp_eq_u32 s4, 0
	s_mov_b32 s25, 0
	s_cselect_b32 s2, ttmp9, s3
	s_wait_xcnt 0x0
	s_mov_b32 s0, exec_lo
	v_lshl_or_b32 v0, s2, 10, v0
	s_delay_alu instid0(VALU_DEP_1) | instskip(SKIP_2) | instid1(SALU_CYCLE_1)
	v_or_b32_e32 v5, 0x380, v0
	s_wait_kmcnt 0x0
	s_add_co_i32 s34, s33, -1
	s_cmp_gt_u32 s34, 1
	s_cselect_b32 s35, -1, 0
	v_cmpx_le_i32_e64 s40, v5
	s_xor_b32 s36, exec_lo, s0
	s_cbranch_execz .LBB29_106
; %bb.1:
	s_clause 0x4
	s_load_b128 s[16:19], s[20:21], 0x4
	s_load_b64 s[22:23], s[20:21], 0x14
	s_load_b32 s37, s[20:21], 0x1e8
	s_load_b256 s[8:15], s[20:21], 0xc4
	s_load_b256 s[0:7], s[20:21], 0x1c8
	s_cmp_lg_u32 s33, 0
	s_mov_b32 s27, s25
	s_cselect_b32 s41, -1, 0
	s_min_u32 s39, s34, 15
	s_cmp_gt_u32 s33, 1
	s_cselect_b32 s38, -1, 0
	s_wait_kmcnt 0x0
	s_mov_b32 s24, s17
	s_mov_b32 s26, s22
	s_bfe_u32 s17, s37, 0x80008
	s_mov_b32 s22, exec_lo
	v_cmpx_gt_i32_e64 s40, v0
	s_cbranch_execnz .LBB29_9
; %bb.2:
	s_or_b32 exec_lo, exec_lo, s22
	s_delay_alu instid0(SALU_CYCLE_1)
	s_mov_b32 s22, exec_lo
	v_cmpx_gt_i32_e64 s40, v0
	s_cbranch_execnz .LBB29_21
.LBB29_3:
	s_or_b32 exec_lo, exec_lo, s22
	s_delay_alu instid0(SALU_CYCLE_1)
	s_mov_b32 s22, exec_lo
	v_cmpx_gt_i32_e64 s40, v0
	s_cbranch_execnz .LBB29_33
.LBB29_4:
	s_or_b32 exec_lo, exec_lo, s22
	s_delay_alu instid0(SALU_CYCLE_1)
	s_mov_b32 s22, exec_lo
	v_cmpx_gt_i32_e64 s40, v0
	s_cbranch_execnz .LBB29_45
.LBB29_5:
	s_or_b32 exec_lo, exec_lo, s22
	s_delay_alu instid0(SALU_CYCLE_1)
	s_mov_b32 s22, exec_lo
	v_cmpx_gt_i32_e64 s40, v0
	s_cbranch_execnz .LBB29_57
.LBB29_6:
	s_or_b32 exec_lo, exec_lo, s22
	s_delay_alu instid0(SALU_CYCLE_1)
	s_mov_b32 s22, exec_lo
	v_cmpx_gt_i32_e64 s40, v0
	s_cbranch_execnz .LBB29_69
.LBB29_7:
	s_or_b32 exec_lo, exec_lo, s22
	s_delay_alu instid0(SALU_CYCLE_1)
	s_mov_b32 s22, exec_lo
	v_cmpx_gt_i32_e64 s40, v0
	s_cbranch_execnz .LBB29_81
.LBB29_8:
	s_or_b32 exec_lo, exec_lo, s22
	s_delay_alu instid0(SALU_CYCLE_1)
	s_mov_b32 s22, exec_lo
	v_cmpx_gt_i32_e64 s40, v0
	s_cbranch_execnz .LBB29_93
	s_branch .LBB29_105
.LBB29_9:
	s_and_not1_b32 vcc_lo, exec_lo, s35
	s_cbranch_vccnz .LBB29_15
; %bb.10:
	s_and_not1_b32 vcc_lo, exec_lo, s41
	s_cbranch_vccnz .LBB29_16
; %bb.11:
	v_dual_mov_b32 v6, 0 :: v_dual_mov_b32 v1, v0
	v_dual_mov_b32 v7, 0 :: v_dual_mov_b32 v4, 0
	v_mov_b32_e32 v5, 0
	s_add_co_i32 s30, s39, 1
	s_mov_b64 s[28:29], 0xffffffffffffffe0
	s_and_b32 s42, s30, 30
	s_add_nc_u64 s[28:29], s[20:21], s[28:29]
	s_mov_b64 s[30:31], s[20:21]
.LBB29_12:                              ; =>This Inner Loop Header: Depth=1
	s_clause 0x1
	s_load_b128 s[52:55], s[30:31], 0x4
	s_load_b64 s[56:57], s[30:31], 0x14
	s_load_b256 s[44:51], s[28:29], 0xe4
	s_add_co_i32 s42, s42, -2
	s_wait_xcnt 0x0
	s_add_nc_u64 s[30:31], s[30:31], 24
	s_cmp_lg_u32 s42, 0
	s_add_nc_u64 s[28:29], s[28:29], 32
	s_wait_kmcnt 0x0
	v_mul_hi_u32 v2, s53, v1
	s_delay_alu instid0(VALU_DEP_1) | instskip(NEXT) | instid1(VALU_DEP_1)
	v_add_nc_u32_e32 v2, v1, v2
	v_lshrrev_b32_e32 v2, s54, v2
	s_delay_alu instid0(VALU_DEP_1) | instskip(SKIP_1) | instid1(VALU_DEP_1)
	v_mul_hi_u32 v3, s56, v2
	v_mul_lo_u32 v8, v2, s52
	v_dual_add_nc_u32 v3, v2, v3 :: v_dual_sub_nc_u32 v8, v1, v8
	s_delay_alu instid0(VALU_DEP_1) | instskip(NEXT) | instid1(VALU_DEP_2)
	v_lshrrev_b32_e32 v1, s57, v3
	v_mad_u32 v5, v8, s45, v5
	v_mad_u32 v4, v8, s44, v4
	;; [unrolled: 1-line block ×4, first 2 shown]
	v_mul_lo_u32 v3, v1, s55
	s_delay_alu instid0(VALU_DEP_1) | instskip(NEXT) | instid1(VALU_DEP_1)
	v_sub_nc_u32_e32 v2, v2, v3
	v_mad_u32 v5, v2, s49, v5
	v_mad_u32 v4, v2, s48, v4
	;; [unrolled: 1-line block ×4, first 2 shown]
	s_cbranch_scc1 .LBB29_12
; %bb.13:
	s_bitcmp1_b32 s39, 0
	s_cselect_b32 s42, -1, 0
	s_delay_alu instid0(SALU_CYCLE_1)
	s_and_b32 vcc_lo, exec_lo, s42
	s_cbranch_vccnz .LBB29_17
; %bb.14:
	s_load_b96 s[48:50], s[30:31], 0x4
	s_load_b128 s[44:47], s[28:29], 0xe4
	s_wait_xcnt 0x0
	s_wait_kmcnt 0x0
	v_mul_hi_u32 v2, s49, v1
	s_delay_alu instid0(VALU_DEP_1) | instskip(NEXT) | instid1(VALU_DEP_1)
	v_add_nc_u32_e32 v2, v1, v2
	v_lshrrev_b32_e32 v2, s50, v2
	s_delay_alu instid0(VALU_DEP_1) | instskip(NEXT) | instid1(VALU_DEP_1)
	v_mul_lo_u32 v2, v2, s48
	v_sub_nc_u32_e32 v1, v1, v2
	s_delay_alu instid0(VALU_DEP_1)
	v_mad_u32 v4, v1, s44, v4
	v_mad_u32 v5, v1, s45, v5
	v_mad_u32 v6, v1, s46, v6
	v_mad_u32 v7, v1, s47, v7
	s_cbranch_execz .LBB29_18
	s_branch .LBB29_20
.LBB29_15:
                                        ; implicit-def: $vgpr5
                                        ; implicit-def: $vgpr4
                                        ; implicit-def: $vgpr7
                                        ; implicit-def: $vgpr6
	s_branch .LBB29_18
.LBB29_16:
	v_dual_mov_b32 v5, 0 :: v_dual_mov_b32 v4, 0
	v_dual_mov_b32 v7, 0 :: v_dual_mov_b32 v6, 0
.LBB29_17:
	s_cbranch_execnz .LBB29_20
.LBB29_18:
	v_mov_b32_e32 v1, 0
	s_and_not1_b32 vcc_lo, exec_lo, s38
	s_delay_alu instid0(VALU_DEP_1) | instskip(NEXT) | instid1(VALU_DEP_1)
	v_mul_u64_e32 v[2:3], s[24:25], v[0:1]
	v_add_nc_u32_e32 v2, v0, v3
	s_delay_alu instid0(VALU_DEP_1) | instskip(NEXT) | instid1(VALU_DEP_1)
	v_lshrrev_b32_e32 v2, s18, v2
	v_mul_lo_u32 v3, v2, s16
	s_delay_alu instid0(VALU_DEP_1) | instskip(NEXT) | instid1(VALU_DEP_1)
	v_sub_nc_u32_e32 v3, v0, v3
	v_mul_lo_u32 v5, v3, s9
	v_mul_lo_u32 v4, v3, s8
	v_mul_lo_u32 v7, v3, s11
	v_mul_lo_u32 v6, v3, s10
	s_cbranch_vccnz .LBB29_20
; %bb.19:
	v_mov_b32_e32 v3, v1
	s_delay_alu instid0(VALU_DEP_1) | instskip(NEXT) | instid1(VALU_DEP_1)
	v_mul_u64_e32 v[8:9], s[26:27], v[2:3]
	v_add_nc_u32_e32 v1, v2, v9
	s_delay_alu instid0(VALU_DEP_1) | instskip(NEXT) | instid1(VALU_DEP_1)
	v_lshrrev_b32_e32 v1, s23, v1
	v_mul_lo_u32 v1, v1, s19
	s_delay_alu instid0(VALU_DEP_1) | instskip(NEXT) | instid1(VALU_DEP_1)
	v_sub_nc_u32_e32 v1, v2, v1
	v_mad_u32 v4, v1, s12, v4
	v_mad_u32 v5, v1, s13, v5
	;; [unrolled: 1-line block ×4, first 2 shown]
.LBB29_20:
	global_load_u8 v1, v5, s[2:3]
	global_load_u8 v2, v6, s[4:5]
	;; [unrolled: 1-line block ×3, first 2 shown]
	v_add_nc_u32_e32 v0, 0x80, v0
	s_wait_loadcnt 0x2
	v_mul_lo_u16 v1, v1, s37
	s_wait_loadcnt 0x1
	v_mul_lo_u16 v2, v2, s17
	s_wait_loadcnt 0x0
	s_delay_alu instid0(VALU_DEP_1) | instskip(SKIP_3) | instid1(SALU_CYCLE_1)
	v_mad_u16 v1, v2, v3, v1
	global_store_b8 v4, v1, s[0:1]
	s_wait_xcnt 0x0
	s_or_b32 exec_lo, exec_lo, s22
	s_mov_b32 s22, exec_lo
	v_cmpx_gt_i32_e64 s40, v0
	s_cbranch_execz .LBB29_3
.LBB29_21:
	s_and_not1_b32 vcc_lo, exec_lo, s35
	s_cbranch_vccnz .LBB29_27
; %bb.22:
	s_and_not1_b32 vcc_lo, exec_lo, s41
	s_cbranch_vccnz .LBB29_28
; %bb.23:
	v_dual_mov_b32 v6, 0 :: v_dual_mov_b32 v1, v0
	v_dual_mov_b32 v7, 0 :: v_dual_mov_b32 v4, 0
	v_mov_b32_e32 v5, 0
	s_add_co_i32 s30, s39, 1
	s_mov_b64 s[28:29], 0xffffffffffffffe0
	s_and_b32 s42, s30, 30
	s_add_nc_u64 s[28:29], s[20:21], s[28:29]
	s_mov_b64 s[30:31], s[20:21]
.LBB29_24:                              ; =>This Inner Loop Header: Depth=1
	s_clause 0x1
	s_load_b128 s[52:55], s[30:31], 0x4
	s_load_b64 s[56:57], s[30:31], 0x14
	s_load_b256 s[44:51], s[28:29], 0xe4
	s_add_co_i32 s42, s42, -2
	s_wait_xcnt 0x0
	s_add_nc_u64 s[30:31], s[30:31], 24
	s_cmp_eq_u32 s42, 0
	s_add_nc_u64 s[28:29], s[28:29], 32
	s_wait_kmcnt 0x0
	v_mul_hi_u32 v2, s53, v1
	s_delay_alu instid0(VALU_DEP_1) | instskip(NEXT) | instid1(VALU_DEP_1)
	v_add_nc_u32_e32 v2, v1, v2
	v_lshrrev_b32_e32 v2, s54, v2
	s_delay_alu instid0(VALU_DEP_1) | instskip(SKIP_1) | instid1(VALU_DEP_1)
	v_mul_hi_u32 v3, s56, v2
	v_mul_lo_u32 v8, v2, s52
	v_dual_add_nc_u32 v3, v2, v3 :: v_dual_sub_nc_u32 v8, v1, v8
	s_delay_alu instid0(VALU_DEP_1) | instskip(NEXT) | instid1(VALU_DEP_2)
	v_lshrrev_b32_e32 v1, s57, v3
	v_mad_u32 v5, v8, s45, v5
	v_mad_u32 v4, v8, s44, v4
	;; [unrolled: 1-line block ×4, first 2 shown]
	v_mul_lo_u32 v3, v1, s55
	s_delay_alu instid0(VALU_DEP_1) | instskip(NEXT) | instid1(VALU_DEP_1)
	v_sub_nc_u32_e32 v2, v2, v3
	v_mad_u32 v5, v2, s49, v5
	v_mad_u32 v4, v2, s48, v4
	;; [unrolled: 1-line block ×4, first 2 shown]
	s_cbranch_scc0 .LBB29_24
; %bb.25:
	s_bitcmp1_b32 s39, 0
	s_cselect_b32 s42, -1, 0
	s_delay_alu instid0(SALU_CYCLE_1)
	s_and_b32 vcc_lo, exec_lo, s42
	s_cbranch_vccnz .LBB29_29
; %bb.26:
	s_load_b96 s[48:50], s[30:31], 0x4
	s_load_b128 s[44:47], s[28:29], 0xe4
	s_wait_kmcnt 0x0
	v_mul_hi_u32 v2, s49, v1
	s_delay_alu instid0(VALU_DEP_1) | instskip(NEXT) | instid1(VALU_DEP_1)
	v_add_nc_u32_e32 v2, v1, v2
	v_lshrrev_b32_e32 v2, s50, v2
	s_delay_alu instid0(VALU_DEP_1) | instskip(NEXT) | instid1(VALU_DEP_1)
	v_mul_lo_u32 v2, v2, s48
	v_sub_nc_u32_e32 v1, v1, v2
	s_delay_alu instid0(VALU_DEP_1)
	v_mad_u32 v4, v1, s44, v4
	v_mad_u32 v5, v1, s45, v5
	;; [unrolled: 1-line block ×4, first 2 shown]
	s_branch .LBB29_29
.LBB29_27:
                                        ; implicit-def: $vgpr5
                                        ; implicit-def: $vgpr4
                                        ; implicit-def: $vgpr7
                                        ; implicit-def: $vgpr6
	s_branch .LBB29_30
.LBB29_28:
	v_dual_mov_b32 v5, 0 :: v_dual_mov_b32 v4, 0
	v_dual_mov_b32 v7, 0 :: v_dual_mov_b32 v6, 0
.LBB29_29:
	s_cbranch_execnz .LBB29_32
.LBB29_30:
	v_mov_b32_e32 v1, 0
	s_and_not1_b32 vcc_lo, exec_lo, s38
	s_delay_alu instid0(VALU_DEP_1) | instskip(NEXT) | instid1(VALU_DEP_1)
	v_mul_u64_e32 v[2:3], s[24:25], v[0:1]
	v_add_nc_u32_e32 v2, v0, v3
	s_delay_alu instid0(VALU_DEP_1) | instskip(NEXT) | instid1(VALU_DEP_1)
	v_lshrrev_b32_e32 v2, s18, v2
	v_mul_lo_u32 v3, v2, s16
	s_delay_alu instid0(VALU_DEP_1) | instskip(NEXT) | instid1(VALU_DEP_1)
	v_sub_nc_u32_e32 v3, v0, v3
	v_mul_lo_u32 v5, v3, s9
	v_mul_lo_u32 v4, v3, s8
	;; [unrolled: 1-line block ×4, first 2 shown]
	s_cbranch_vccnz .LBB29_32
; %bb.31:
	v_mov_b32_e32 v3, v1
	s_delay_alu instid0(VALU_DEP_1) | instskip(NEXT) | instid1(VALU_DEP_1)
	v_mul_u64_e32 v[8:9], s[26:27], v[2:3]
	v_add_nc_u32_e32 v1, v2, v9
	s_delay_alu instid0(VALU_DEP_1) | instskip(NEXT) | instid1(VALU_DEP_1)
	v_lshrrev_b32_e32 v1, s23, v1
	v_mul_lo_u32 v1, v1, s19
	s_delay_alu instid0(VALU_DEP_1) | instskip(NEXT) | instid1(VALU_DEP_1)
	v_sub_nc_u32_e32 v1, v2, v1
	v_mad_u32 v4, v1, s12, v4
	v_mad_u32 v5, v1, s13, v5
	;; [unrolled: 1-line block ×4, first 2 shown]
.LBB29_32:
	global_load_u8 v1, v5, s[2:3]
	global_load_u8 v2, v6, s[4:5]
	;; [unrolled: 1-line block ×3, first 2 shown]
	v_add_nc_u32_e32 v0, 0x80, v0
	s_wait_loadcnt 0x2
	v_mul_lo_u16 v1, v1, s37
	s_wait_loadcnt 0x1
	v_mul_lo_u16 v2, v2, s17
	s_wait_loadcnt 0x0
	s_delay_alu instid0(VALU_DEP_1) | instskip(SKIP_3) | instid1(SALU_CYCLE_1)
	v_mad_u16 v1, v2, v3, v1
	global_store_b8 v4, v1, s[0:1]
	s_wait_xcnt 0x0
	s_or_b32 exec_lo, exec_lo, s22
	s_mov_b32 s22, exec_lo
	v_cmpx_gt_i32_e64 s40, v0
	s_cbranch_execz .LBB29_4
.LBB29_33:
	s_and_not1_b32 vcc_lo, exec_lo, s35
	s_cbranch_vccnz .LBB29_39
; %bb.34:
	s_and_not1_b32 vcc_lo, exec_lo, s41
	s_cbranch_vccnz .LBB29_40
; %bb.35:
	v_dual_mov_b32 v6, 0 :: v_dual_mov_b32 v1, v0
	v_dual_mov_b32 v7, 0 :: v_dual_mov_b32 v4, 0
	v_mov_b32_e32 v5, 0
	s_add_co_i32 s30, s39, 1
	s_mov_b64 s[28:29], 0xffffffffffffffe0
	s_and_b32 s42, s30, 30
	s_add_nc_u64 s[28:29], s[20:21], s[28:29]
	s_mov_b64 s[30:31], s[20:21]
.LBB29_36:                              ; =>This Inner Loop Header: Depth=1
	s_clause 0x1
	s_load_b128 s[52:55], s[30:31], 0x4
	s_load_b64 s[56:57], s[30:31], 0x14
	s_load_b256 s[44:51], s[28:29], 0xe4
	s_add_co_i32 s42, s42, -2
	s_wait_xcnt 0x0
	s_add_nc_u64 s[30:31], s[30:31], 24
	s_cmp_eq_u32 s42, 0
	s_add_nc_u64 s[28:29], s[28:29], 32
	s_wait_kmcnt 0x0
	v_mul_hi_u32 v2, s53, v1
	s_delay_alu instid0(VALU_DEP_1) | instskip(NEXT) | instid1(VALU_DEP_1)
	v_add_nc_u32_e32 v2, v1, v2
	v_lshrrev_b32_e32 v2, s54, v2
	s_delay_alu instid0(VALU_DEP_1) | instskip(SKIP_1) | instid1(VALU_DEP_1)
	v_mul_hi_u32 v3, s56, v2
	v_mul_lo_u32 v8, v2, s52
	v_dual_add_nc_u32 v3, v2, v3 :: v_dual_sub_nc_u32 v8, v1, v8
	s_delay_alu instid0(VALU_DEP_1) | instskip(NEXT) | instid1(VALU_DEP_2)
	v_lshrrev_b32_e32 v1, s57, v3
	v_mad_u32 v5, v8, s45, v5
	v_mad_u32 v4, v8, s44, v4
	;; [unrolled: 1-line block ×4, first 2 shown]
	v_mul_lo_u32 v3, v1, s55
	s_delay_alu instid0(VALU_DEP_1) | instskip(NEXT) | instid1(VALU_DEP_1)
	v_sub_nc_u32_e32 v2, v2, v3
	v_mad_u32 v5, v2, s49, v5
	v_mad_u32 v4, v2, s48, v4
	;; [unrolled: 1-line block ×4, first 2 shown]
	s_cbranch_scc0 .LBB29_36
; %bb.37:
	s_bitcmp1_b32 s39, 0
	s_cselect_b32 s42, -1, 0
	s_delay_alu instid0(SALU_CYCLE_1)
	s_and_b32 vcc_lo, exec_lo, s42
	s_cbranch_vccnz .LBB29_41
; %bb.38:
	s_load_b96 s[48:50], s[30:31], 0x4
	s_load_b128 s[44:47], s[28:29], 0xe4
	s_wait_kmcnt 0x0
	v_mul_hi_u32 v2, s49, v1
	s_delay_alu instid0(VALU_DEP_1) | instskip(NEXT) | instid1(VALU_DEP_1)
	v_add_nc_u32_e32 v2, v1, v2
	v_lshrrev_b32_e32 v2, s50, v2
	s_delay_alu instid0(VALU_DEP_1) | instskip(NEXT) | instid1(VALU_DEP_1)
	v_mul_lo_u32 v2, v2, s48
	v_sub_nc_u32_e32 v1, v1, v2
	s_delay_alu instid0(VALU_DEP_1)
	v_mad_u32 v4, v1, s44, v4
	v_mad_u32 v5, v1, s45, v5
	v_mad_u32 v6, v1, s46, v6
	v_mad_u32 v7, v1, s47, v7
	s_branch .LBB29_41
.LBB29_39:
                                        ; implicit-def: $vgpr5
                                        ; implicit-def: $vgpr4
                                        ; implicit-def: $vgpr7
                                        ; implicit-def: $vgpr6
	s_branch .LBB29_42
.LBB29_40:
	v_dual_mov_b32 v5, 0 :: v_dual_mov_b32 v4, 0
	v_dual_mov_b32 v7, 0 :: v_dual_mov_b32 v6, 0
.LBB29_41:
	s_cbranch_execnz .LBB29_44
.LBB29_42:
	v_mov_b32_e32 v1, 0
	s_and_not1_b32 vcc_lo, exec_lo, s38
	s_delay_alu instid0(VALU_DEP_1) | instskip(NEXT) | instid1(VALU_DEP_1)
	v_mul_u64_e32 v[2:3], s[24:25], v[0:1]
	v_add_nc_u32_e32 v2, v0, v3
	s_delay_alu instid0(VALU_DEP_1) | instskip(NEXT) | instid1(VALU_DEP_1)
	v_lshrrev_b32_e32 v2, s18, v2
	v_mul_lo_u32 v3, v2, s16
	s_delay_alu instid0(VALU_DEP_1) | instskip(NEXT) | instid1(VALU_DEP_1)
	v_sub_nc_u32_e32 v3, v0, v3
	v_mul_lo_u32 v5, v3, s9
	v_mul_lo_u32 v4, v3, s8
	;; [unrolled: 1-line block ×4, first 2 shown]
	s_cbranch_vccnz .LBB29_44
; %bb.43:
	v_mov_b32_e32 v3, v1
	s_delay_alu instid0(VALU_DEP_1) | instskip(NEXT) | instid1(VALU_DEP_1)
	v_mul_u64_e32 v[8:9], s[26:27], v[2:3]
	v_add_nc_u32_e32 v1, v2, v9
	s_delay_alu instid0(VALU_DEP_1) | instskip(NEXT) | instid1(VALU_DEP_1)
	v_lshrrev_b32_e32 v1, s23, v1
	v_mul_lo_u32 v1, v1, s19
	s_delay_alu instid0(VALU_DEP_1) | instskip(NEXT) | instid1(VALU_DEP_1)
	v_sub_nc_u32_e32 v1, v2, v1
	v_mad_u32 v4, v1, s12, v4
	v_mad_u32 v5, v1, s13, v5
	;; [unrolled: 1-line block ×4, first 2 shown]
.LBB29_44:
	global_load_u8 v1, v5, s[2:3]
	global_load_u8 v2, v6, s[4:5]
	;; [unrolled: 1-line block ×3, first 2 shown]
	v_add_nc_u32_e32 v0, 0x80, v0
	s_wait_loadcnt 0x2
	v_mul_lo_u16 v1, v1, s37
	s_wait_loadcnt 0x1
	v_mul_lo_u16 v2, v2, s17
	s_wait_loadcnt 0x0
	s_delay_alu instid0(VALU_DEP_1) | instskip(SKIP_3) | instid1(SALU_CYCLE_1)
	v_mad_u16 v1, v2, v3, v1
	global_store_b8 v4, v1, s[0:1]
	s_wait_xcnt 0x0
	s_or_b32 exec_lo, exec_lo, s22
	s_mov_b32 s22, exec_lo
	v_cmpx_gt_i32_e64 s40, v0
	s_cbranch_execz .LBB29_5
.LBB29_45:
	s_and_not1_b32 vcc_lo, exec_lo, s35
	s_cbranch_vccnz .LBB29_51
; %bb.46:
	s_and_not1_b32 vcc_lo, exec_lo, s41
	s_cbranch_vccnz .LBB29_52
; %bb.47:
	v_dual_mov_b32 v5, 0 :: v_dual_mov_b32 v1, v0
	v_dual_mov_b32 v7, 0 :: v_dual_mov_b32 v4, 0
	v_mov_b32_e32 v6, 0
	s_add_co_i32 s30, s39, 1
	s_mov_b64 s[28:29], 0xffffffffffffffe0
	s_and_b32 s42, s30, 30
	s_add_nc_u64 s[28:29], s[20:21], s[28:29]
	s_mov_b64 s[30:31], s[20:21]
.LBB29_48:                              ; =>This Inner Loop Header: Depth=1
	s_clause 0x1
	s_load_b128 s[52:55], s[30:31], 0x4
	s_load_b64 s[56:57], s[30:31], 0x14
	s_load_b256 s[44:51], s[28:29], 0xe4
	s_add_co_i32 s42, s42, -2
	s_wait_xcnt 0x0
	s_add_nc_u64 s[30:31], s[30:31], 24
	s_cmp_eq_u32 s42, 0
	s_add_nc_u64 s[28:29], s[28:29], 32
	s_wait_kmcnt 0x0
	v_mul_hi_u32 v2, s53, v1
	s_delay_alu instid0(VALU_DEP_1) | instskip(NEXT) | instid1(VALU_DEP_1)
	v_add_nc_u32_e32 v2, v1, v2
	v_lshrrev_b32_e32 v2, s54, v2
	s_delay_alu instid0(VALU_DEP_1) | instskip(SKIP_1) | instid1(VALU_DEP_1)
	v_mul_hi_u32 v3, s56, v2
	v_mul_lo_u32 v8, v2, s52
	v_dual_add_nc_u32 v3, v2, v3 :: v_dual_sub_nc_u32 v8, v1, v8
	s_delay_alu instid0(VALU_DEP_1) | instskip(NEXT) | instid1(VALU_DEP_2)
	v_lshrrev_b32_e32 v1, s57, v3
	v_mad_u32 v6, v8, s45, v6
	v_mad_u32 v4, v8, s44, v4
	;; [unrolled: 1-line block ×4, first 2 shown]
	v_mul_lo_u32 v3, v1, s55
	s_delay_alu instid0(VALU_DEP_1) | instskip(NEXT) | instid1(VALU_DEP_1)
	v_sub_nc_u32_e32 v2, v2, v3
	v_mad_u32 v6, v2, s49, v6
	v_mad_u32 v4, v2, s48, v4
	;; [unrolled: 1-line block ×4, first 2 shown]
	s_cbranch_scc0 .LBB29_48
; %bb.49:
	s_bitcmp1_b32 s39, 0
	s_cselect_b32 s42, -1, 0
	s_delay_alu instid0(SALU_CYCLE_1)
	s_and_b32 vcc_lo, exec_lo, s42
	s_cbranch_vccnz .LBB29_53
; %bb.50:
	s_load_b96 s[48:50], s[30:31], 0x4
	s_load_b128 s[44:47], s[28:29], 0xe4
	s_wait_kmcnt 0x0
	v_mul_hi_u32 v2, s49, v1
	s_delay_alu instid0(VALU_DEP_1) | instskip(NEXT) | instid1(VALU_DEP_1)
	v_add_nc_u32_e32 v2, v1, v2
	v_lshrrev_b32_e32 v2, s50, v2
	s_delay_alu instid0(VALU_DEP_1) | instskip(NEXT) | instid1(VALU_DEP_1)
	v_mul_lo_u32 v2, v2, s48
	v_sub_nc_u32_e32 v1, v1, v2
	s_delay_alu instid0(VALU_DEP_1)
	v_mad_u32 v4, v1, s44, v4
	v_mad_u32 v6, v1, s45, v6
	;; [unrolled: 1-line block ×4, first 2 shown]
	s_branch .LBB29_53
.LBB29_51:
                                        ; implicit-def: $vgpr6
                                        ; implicit-def: $vgpr4
                                        ; implicit-def: $vgpr7
                                        ; implicit-def: $vgpr5
	s_branch .LBB29_54
.LBB29_52:
	v_dual_mov_b32 v6, 0 :: v_dual_mov_b32 v4, 0
	v_dual_mov_b32 v7, 0 :: v_dual_mov_b32 v5, 0
.LBB29_53:
	s_cbranch_execnz .LBB29_56
.LBB29_54:
	v_mov_b32_e32 v1, 0
	s_and_not1_b32 vcc_lo, exec_lo, s38
	s_delay_alu instid0(VALU_DEP_1) | instskip(NEXT) | instid1(VALU_DEP_1)
	v_mul_u64_e32 v[2:3], s[24:25], v[0:1]
	v_add_nc_u32_e32 v2, v0, v3
	s_delay_alu instid0(VALU_DEP_1) | instskip(NEXT) | instid1(VALU_DEP_1)
	v_lshrrev_b32_e32 v2, s18, v2
	v_mul_lo_u32 v3, v2, s16
	s_delay_alu instid0(VALU_DEP_1) | instskip(NEXT) | instid1(VALU_DEP_1)
	v_sub_nc_u32_e32 v3, v0, v3
	v_mul_lo_u32 v6, v3, s9
	v_mul_lo_u32 v4, v3, s8
	;; [unrolled: 1-line block ×4, first 2 shown]
	s_cbranch_vccnz .LBB29_56
; %bb.55:
	v_mov_b32_e32 v3, v1
	s_delay_alu instid0(VALU_DEP_1) | instskip(NEXT) | instid1(VALU_DEP_1)
	v_mul_u64_e32 v[8:9], s[26:27], v[2:3]
	v_add_nc_u32_e32 v1, v2, v9
	s_delay_alu instid0(VALU_DEP_1) | instskip(NEXT) | instid1(VALU_DEP_1)
	v_lshrrev_b32_e32 v1, s23, v1
	v_mul_lo_u32 v1, v1, s19
	s_delay_alu instid0(VALU_DEP_1) | instskip(NEXT) | instid1(VALU_DEP_1)
	v_sub_nc_u32_e32 v1, v2, v1
	v_mad_u32 v4, v1, s12, v4
	v_mad_u32 v6, v1, s13, v6
	;; [unrolled: 1-line block ×4, first 2 shown]
.LBB29_56:
	global_load_u8 v1, v6, s[2:3]
	global_load_u8 v2, v5, s[4:5]
	;; [unrolled: 1-line block ×3, first 2 shown]
	v_add_nc_u32_e32 v0, 0x80, v0
	s_wait_loadcnt 0x2
	v_mul_lo_u16 v1, v1, s37
	s_wait_loadcnt 0x1
	v_mul_lo_u16 v2, v2, s17
	s_wait_loadcnt 0x0
	s_delay_alu instid0(VALU_DEP_1) | instskip(SKIP_3) | instid1(SALU_CYCLE_1)
	v_mad_u16 v1, v2, v3, v1
	global_store_b8 v4, v1, s[0:1]
	s_wait_xcnt 0x0
	s_or_b32 exec_lo, exec_lo, s22
	s_mov_b32 s22, exec_lo
	v_cmpx_gt_i32_e64 s40, v0
	s_cbranch_execz .LBB29_6
.LBB29_57:
	s_and_not1_b32 vcc_lo, exec_lo, s35
	s_cbranch_vccnz .LBB29_63
; %bb.58:
	s_and_not1_b32 vcc_lo, exec_lo, s41
	s_cbranch_vccnz .LBB29_64
; %bb.59:
	v_dual_mov_b32 v6, 0 :: v_dual_mov_b32 v1, v0
	v_dual_mov_b32 v7, 0 :: v_dual_mov_b32 v4, 0
	v_mov_b32_e32 v5, 0
	s_add_co_i32 s30, s39, 1
	s_mov_b64 s[28:29], 0xffffffffffffffe0
	s_and_b32 s42, s30, 30
	s_add_nc_u64 s[28:29], s[20:21], s[28:29]
	s_mov_b64 s[30:31], s[20:21]
.LBB29_60:                              ; =>This Inner Loop Header: Depth=1
	s_clause 0x1
	s_load_b128 s[52:55], s[30:31], 0x4
	s_load_b64 s[56:57], s[30:31], 0x14
	s_load_b256 s[44:51], s[28:29], 0xe4
	s_add_co_i32 s42, s42, -2
	s_wait_xcnt 0x0
	s_add_nc_u64 s[30:31], s[30:31], 24
	s_cmp_eq_u32 s42, 0
	s_add_nc_u64 s[28:29], s[28:29], 32
	s_wait_kmcnt 0x0
	v_mul_hi_u32 v2, s53, v1
	s_delay_alu instid0(VALU_DEP_1) | instskip(NEXT) | instid1(VALU_DEP_1)
	v_add_nc_u32_e32 v2, v1, v2
	v_lshrrev_b32_e32 v2, s54, v2
	s_delay_alu instid0(VALU_DEP_1) | instskip(SKIP_1) | instid1(VALU_DEP_1)
	v_mul_hi_u32 v3, s56, v2
	v_mul_lo_u32 v8, v2, s52
	v_dual_add_nc_u32 v3, v2, v3 :: v_dual_sub_nc_u32 v8, v1, v8
	s_delay_alu instid0(VALU_DEP_1) | instskip(NEXT) | instid1(VALU_DEP_2)
	v_lshrrev_b32_e32 v1, s57, v3
	v_mad_u32 v5, v8, s45, v5
	v_mad_u32 v4, v8, s44, v4
	;; [unrolled: 1-line block ×4, first 2 shown]
	v_mul_lo_u32 v3, v1, s55
	s_delay_alu instid0(VALU_DEP_1) | instskip(NEXT) | instid1(VALU_DEP_1)
	v_sub_nc_u32_e32 v2, v2, v3
	v_mad_u32 v5, v2, s49, v5
	v_mad_u32 v4, v2, s48, v4
	;; [unrolled: 1-line block ×4, first 2 shown]
	s_cbranch_scc0 .LBB29_60
; %bb.61:
	s_bitcmp1_b32 s39, 0
	s_cselect_b32 s42, -1, 0
	s_delay_alu instid0(SALU_CYCLE_1)
	s_and_b32 vcc_lo, exec_lo, s42
	s_cbranch_vccnz .LBB29_65
; %bb.62:
	s_load_b96 s[48:50], s[30:31], 0x4
	s_load_b128 s[44:47], s[28:29], 0xe4
	s_wait_kmcnt 0x0
	v_mul_hi_u32 v2, s49, v1
	s_delay_alu instid0(VALU_DEP_1) | instskip(NEXT) | instid1(VALU_DEP_1)
	v_add_nc_u32_e32 v2, v1, v2
	v_lshrrev_b32_e32 v2, s50, v2
	s_delay_alu instid0(VALU_DEP_1) | instskip(NEXT) | instid1(VALU_DEP_1)
	v_mul_lo_u32 v2, v2, s48
	v_sub_nc_u32_e32 v1, v1, v2
	s_delay_alu instid0(VALU_DEP_1)
	v_mad_u32 v4, v1, s44, v4
	v_mad_u32 v5, v1, s45, v5
	;; [unrolled: 1-line block ×4, first 2 shown]
	s_branch .LBB29_65
.LBB29_63:
                                        ; implicit-def: $vgpr5
                                        ; implicit-def: $vgpr4
                                        ; implicit-def: $vgpr7
                                        ; implicit-def: $vgpr6
	s_branch .LBB29_66
.LBB29_64:
	v_dual_mov_b32 v5, 0 :: v_dual_mov_b32 v4, 0
	v_dual_mov_b32 v7, 0 :: v_dual_mov_b32 v6, 0
.LBB29_65:
	s_cbranch_execnz .LBB29_68
.LBB29_66:
	v_mov_b32_e32 v1, 0
	s_and_not1_b32 vcc_lo, exec_lo, s38
	s_delay_alu instid0(VALU_DEP_1) | instskip(NEXT) | instid1(VALU_DEP_1)
	v_mul_u64_e32 v[2:3], s[24:25], v[0:1]
	v_add_nc_u32_e32 v2, v0, v3
	s_delay_alu instid0(VALU_DEP_1) | instskip(NEXT) | instid1(VALU_DEP_1)
	v_lshrrev_b32_e32 v2, s18, v2
	v_mul_lo_u32 v3, v2, s16
	s_delay_alu instid0(VALU_DEP_1) | instskip(NEXT) | instid1(VALU_DEP_1)
	v_sub_nc_u32_e32 v3, v0, v3
	v_mul_lo_u32 v5, v3, s9
	v_mul_lo_u32 v4, v3, s8
	;; [unrolled: 1-line block ×4, first 2 shown]
	s_cbranch_vccnz .LBB29_68
; %bb.67:
	v_mov_b32_e32 v3, v1
	s_delay_alu instid0(VALU_DEP_1) | instskip(NEXT) | instid1(VALU_DEP_1)
	v_mul_u64_e32 v[8:9], s[26:27], v[2:3]
	v_add_nc_u32_e32 v1, v2, v9
	s_delay_alu instid0(VALU_DEP_1) | instskip(NEXT) | instid1(VALU_DEP_1)
	v_lshrrev_b32_e32 v1, s23, v1
	v_mul_lo_u32 v1, v1, s19
	s_delay_alu instid0(VALU_DEP_1) | instskip(NEXT) | instid1(VALU_DEP_1)
	v_sub_nc_u32_e32 v1, v2, v1
	v_mad_u32 v4, v1, s12, v4
	v_mad_u32 v5, v1, s13, v5
	;; [unrolled: 1-line block ×4, first 2 shown]
.LBB29_68:
	global_load_u8 v1, v5, s[2:3]
	global_load_u8 v2, v6, s[4:5]
	;; [unrolled: 1-line block ×3, first 2 shown]
	v_add_nc_u32_e32 v0, 0x80, v0
	s_wait_loadcnt 0x2
	v_mul_lo_u16 v1, v1, s37
	s_wait_loadcnt 0x1
	v_mul_lo_u16 v2, v2, s17
	s_wait_loadcnt 0x0
	s_delay_alu instid0(VALU_DEP_1) | instskip(SKIP_3) | instid1(SALU_CYCLE_1)
	v_mad_u16 v1, v2, v3, v1
	global_store_b8 v4, v1, s[0:1]
	s_wait_xcnt 0x0
	s_or_b32 exec_lo, exec_lo, s22
	s_mov_b32 s22, exec_lo
	v_cmpx_gt_i32_e64 s40, v0
	s_cbranch_execz .LBB29_7
.LBB29_69:
	s_and_not1_b32 vcc_lo, exec_lo, s35
	s_cbranch_vccnz .LBB29_75
; %bb.70:
	s_and_not1_b32 vcc_lo, exec_lo, s41
	s_cbranch_vccnz .LBB29_76
; %bb.71:
	v_dual_mov_b32 v6, 0 :: v_dual_mov_b32 v1, v0
	v_dual_mov_b32 v7, 0 :: v_dual_mov_b32 v4, 0
	v_mov_b32_e32 v5, 0
	s_add_co_i32 s30, s39, 1
	s_mov_b64 s[28:29], 0xffffffffffffffe0
	s_and_b32 s42, s30, 30
	s_add_nc_u64 s[28:29], s[20:21], s[28:29]
	s_mov_b64 s[30:31], s[20:21]
.LBB29_72:                              ; =>This Inner Loop Header: Depth=1
	s_clause 0x1
	s_load_b128 s[52:55], s[30:31], 0x4
	s_load_b64 s[56:57], s[30:31], 0x14
	s_load_b256 s[44:51], s[28:29], 0xe4
	s_add_co_i32 s42, s42, -2
	s_wait_xcnt 0x0
	s_add_nc_u64 s[30:31], s[30:31], 24
	s_cmp_eq_u32 s42, 0
	s_add_nc_u64 s[28:29], s[28:29], 32
	s_wait_kmcnt 0x0
	v_mul_hi_u32 v2, s53, v1
	s_delay_alu instid0(VALU_DEP_1) | instskip(NEXT) | instid1(VALU_DEP_1)
	v_add_nc_u32_e32 v2, v1, v2
	v_lshrrev_b32_e32 v2, s54, v2
	s_delay_alu instid0(VALU_DEP_1) | instskip(SKIP_1) | instid1(VALU_DEP_1)
	v_mul_hi_u32 v3, s56, v2
	v_mul_lo_u32 v8, v2, s52
	v_dual_add_nc_u32 v3, v2, v3 :: v_dual_sub_nc_u32 v8, v1, v8
	s_delay_alu instid0(VALU_DEP_1) | instskip(NEXT) | instid1(VALU_DEP_2)
	v_lshrrev_b32_e32 v1, s57, v3
	v_mad_u32 v5, v8, s45, v5
	v_mad_u32 v4, v8, s44, v4
	;; [unrolled: 1-line block ×4, first 2 shown]
	v_mul_lo_u32 v3, v1, s55
	s_delay_alu instid0(VALU_DEP_1) | instskip(NEXT) | instid1(VALU_DEP_1)
	v_sub_nc_u32_e32 v2, v2, v3
	v_mad_u32 v5, v2, s49, v5
	v_mad_u32 v4, v2, s48, v4
	;; [unrolled: 1-line block ×4, first 2 shown]
	s_cbranch_scc0 .LBB29_72
; %bb.73:
	s_bitcmp1_b32 s39, 0
	s_cselect_b32 s42, -1, 0
	s_delay_alu instid0(SALU_CYCLE_1)
	s_and_b32 vcc_lo, exec_lo, s42
	s_cbranch_vccnz .LBB29_77
; %bb.74:
	s_load_b96 s[48:50], s[30:31], 0x4
	s_load_b128 s[44:47], s[28:29], 0xe4
	s_wait_kmcnt 0x0
	v_mul_hi_u32 v2, s49, v1
	s_delay_alu instid0(VALU_DEP_1) | instskip(NEXT) | instid1(VALU_DEP_1)
	v_add_nc_u32_e32 v2, v1, v2
	v_lshrrev_b32_e32 v2, s50, v2
	s_delay_alu instid0(VALU_DEP_1) | instskip(NEXT) | instid1(VALU_DEP_1)
	v_mul_lo_u32 v2, v2, s48
	v_sub_nc_u32_e32 v1, v1, v2
	s_delay_alu instid0(VALU_DEP_1)
	v_mad_u32 v4, v1, s44, v4
	v_mad_u32 v5, v1, s45, v5
	;; [unrolled: 1-line block ×4, first 2 shown]
	s_branch .LBB29_77
.LBB29_75:
                                        ; implicit-def: $vgpr5
                                        ; implicit-def: $vgpr4
                                        ; implicit-def: $vgpr7
                                        ; implicit-def: $vgpr6
	s_branch .LBB29_78
.LBB29_76:
	v_dual_mov_b32 v5, 0 :: v_dual_mov_b32 v4, 0
	v_dual_mov_b32 v7, 0 :: v_dual_mov_b32 v6, 0
.LBB29_77:
	s_cbranch_execnz .LBB29_80
.LBB29_78:
	v_mov_b32_e32 v1, 0
	s_and_not1_b32 vcc_lo, exec_lo, s38
	s_delay_alu instid0(VALU_DEP_1) | instskip(NEXT) | instid1(VALU_DEP_1)
	v_mul_u64_e32 v[2:3], s[24:25], v[0:1]
	v_add_nc_u32_e32 v2, v0, v3
	s_delay_alu instid0(VALU_DEP_1) | instskip(NEXT) | instid1(VALU_DEP_1)
	v_lshrrev_b32_e32 v2, s18, v2
	v_mul_lo_u32 v3, v2, s16
	s_delay_alu instid0(VALU_DEP_1) | instskip(NEXT) | instid1(VALU_DEP_1)
	v_sub_nc_u32_e32 v3, v0, v3
	v_mul_lo_u32 v5, v3, s9
	v_mul_lo_u32 v4, v3, s8
	;; [unrolled: 1-line block ×4, first 2 shown]
	s_cbranch_vccnz .LBB29_80
; %bb.79:
	v_mov_b32_e32 v3, v1
	s_delay_alu instid0(VALU_DEP_1) | instskip(NEXT) | instid1(VALU_DEP_1)
	v_mul_u64_e32 v[8:9], s[26:27], v[2:3]
	v_add_nc_u32_e32 v1, v2, v9
	s_delay_alu instid0(VALU_DEP_1) | instskip(NEXT) | instid1(VALU_DEP_1)
	v_lshrrev_b32_e32 v1, s23, v1
	v_mul_lo_u32 v1, v1, s19
	s_delay_alu instid0(VALU_DEP_1) | instskip(NEXT) | instid1(VALU_DEP_1)
	v_sub_nc_u32_e32 v1, v2, v1
	v_mad_u32 v4, v1, s12, v4
	v_mad_u32 v5, v1, s13, v5
	;; [unrolled: 1-line block ×4, first 2 shown]
.LBB29_80:
	global_load_u8 v1, v5, s[2:3]
	global_load_u8 v2, v6, s[4:5]
	;; [unrolled: 1-line block ×3, first 2 shown]
	v_add_nc_u32_e32 v0, 0x80, v0
	s_wait_loadcnt 0x2
	v_mul_lo_u16 v1, v1, s37
	s_wait_loadcnt 0x1
	v_mul_lo_u16 v2, v2, s17
	s_wait_loadcnt 0x0
	s_delay_alu instid0(VALU_DEP_1) | instskip(SKIP_3) | instid1(SALU_CYCLE_1)
	v_mad_u16 v1, v2, v3, v1
	global_store_b8 v4, v1, s[0:1]
	s_wait_xcnt 0x0
	s_or_b32 exec_lo, exec_lo, s22
	s_mov_b32 s22, exec_lo
	v_cmpx_gt_i32_e64 s40, v0
	s_cbranch_execz .LBB29_8
.LBB29_81:
	s_and_not1_b32 vcc_lo, exec_lo, s35
	s_cbranch_vccnz .LBB29_87
; %bb.82:
	s_and_not1_b32 vcc_lo, exec_lo, s41
	s_cbranch_vccnz .LBB29_88
; %bb.83:
	v_dual_mov_b32 v5, 0 :: v_dual_mov_b32 v1, v0
	v_dual_mov_b32 v7, 0 :: v_dual_mov_b32 v4, 0
	v_mov_b32_e32 v6, 0
	s_add_co_i32 s30, s39, 1
	s_mov_b64 s[28:29], 0xffffffffffffffe0
	s_and_b32 s42, s30, 30
	s_add_nc_u64 s[28:29], s[20:21], s[28:29]
	s_mov_b64 s[30:31], s[20:21]
.LBB29_84:                              ; =>This Inner Loop Header: Depth=1
	s_clause 0x1
	s_load_b128 s[52:55], s[30:31], 0x4
	s_load_b64 s[56:57], s[30:31], 0x14
	s_load_b256 s[44:51], s[28:29], 0xe4
	s_add_co_i32 s42, s42, -2
	s_wait_xcnt 0x0
	s_add_nc_u64 s[30:31], s[30:31], 24
	s_cmp_eq_u32 s42, 0
	s_add_nc_u64 s[28:29], s[28:29], 32
	s_wait_kmcnt 0x0
	v_mul_hi_u32 v2, s53, v1
	s_delay_alu instid0(VALU_DEP_1) | instskip(NEXT) | instid1(VALU_DEP_1)
	v_add_nc_u32_e32 v2, v1, v2
	v_lshrrev_b32_e32 v2, s54, v2
	s_delay_alu instid0(VALU_DEP_1) | instskip(SKIP_1) | instid1(VALU_DEP_1)
	v_mul_hi_u32 v3, s56, v2
	v_mul_lo_u32 v8, v2, s52
	v_dual_add_nc_u32 v3, v2, v3 :: v_dual_sub_nc_u32 v8, v1, v8
	s_delay_alu instid0(VALU_DEP_1) | instskip(NEXT) | instid1(VALU_DEP_2)
	v_lshrrev_b32_e32 v1, s57, v3
	v_mad_u32 v6, v8, s45, v6
	v_mad_u32 v4, v8, s44, v4
	;; [unrolled: 1-line block ×4, first 2 shown]
	v_mul_lo_u32 v3, v1, s55
	s_delay_alu instid0(VALU_DEP_1) | instskip(NEXT) | instid1(VALU_DEP_1)
	v_sub_nc_u32_e32 v2, v2, v3
	v_mad_u32 v6, v2, s49, v6
	v_mad_u32 v4, v2, s48, v4
	v_mad_u32 v7, v2, s51, v7
	v_mad_u32 v5, v2, s50, v5
	s_cbranch_scc0 .LBB29_84
; %bb.85:
	s_bitcmp1_b32 s39, 0
	s_cselect_b32 s42, -1, 0
	s_delay_alu instid0(SALU_CYCLE_1)
	s_and_b32 vcc_lo, exec_lo, s42
	s_cbranch_vccnz .LBB29_89
; %bb.86:
	s_load_b96 s[48:50], s[30:31], 0x4
	s_load_b128 s[44:47], s[28:29], 0xe4
	s_wait_kmcnt 0x0
	v_mul_hi_u32 v2, s49, v1
	s_delay_alu instid0(VALU_DEP_1) | instskip(NEXT) | instid1(VALU_DEP_1)
	v_add_nc_u32_e32 v2, v1, v2
	v_lshrrev_b32_e32 v2, s50, v2
	s_delay_alu instid0(VALU_DEP_1) | instskip(NEXT) | instid1(VALU_DEP_1)
	v_mul_lo_u32 v2, v2, s48
	v_sub_nc_u32_e32 v1, v1, v2
	s_delay_alu instid0(VALU_DEP_1)
	v_mad_u32 v4, v1, s44, v4
	v_mad_u32 v6, v1, s45, v6
	v_mad_u32 v5, v1, s46, v5
	v_mad_u32 v7, v1, s47, v7
	s_branch .LBB29_89
.LBB29_87:
                                        ; implicit-def: $vgpr6
                                        ; implicit-def: $vgpr4
                                        ; implicit-def: $vgpr7
                                        ; implicit-def: $vgpr5
	s_branch .LBB29_90
.LBB29_88:
	v_dual_mov_b32 v6, 0 :: v_dual_mov_b32 v4, 0
	v_dual_mov_b32 v7, 0 :: v_dual_mov_b32 v5, 0
.LBB29_89:
	s_cbranch_execnz .LBB29_92
.LBB29_90:
	v_mov_b32_e32 v1, 0
	s_and_not1_b32 vcc_lo, exec_lo, s38
	s_delay_alu instid0(VALU_DEP_1) | instskip(NEXT) | instid1(VALU_DEP_1)
	v_mul_u64_e32 v[2:3], s[24:25], v[0:1]
	v_add_nc_u32_e32 v2, v0, v3
	s_delay_alu instid0(VALU_DEP_1) | instskip(NEXT) | instid1(VALU_DEP_1)
	v_lshrrev_b32_e32 v2, s18, v2
	v_mul_lo_u32 v3, v2, s16
	s_delay_alu instid0(VALU_DEP_1) | instskip(NEXT) | instid1(VALU_DEP_1)
	v_sub_nc_u32_e32 v3, v0, v3
	v_mul_lo_u32 v6, v3, s9
	v_mul_lo_u32 v4, v3, s8
	;; [unrolled: 1-line block ×4, first 2 shown]
	s_cbranch_vccnz .LBB29_92
; %bb.91:
	v_mov_b32_e32 v3, v1
	s_delay_alu instid0(VALU_DEP_1) | instskip(NEXT) | instid1(VALU_DEP_1)
	v_mul_u64_e32 v[8:9], s[26:27], v[2:3]
	v_add_nc_u32_e32 v1, v2, v9
	s_delay_alu instid0(VALU_DEP_1) | instskip(NEXT) | instid1(VALU_DEP_1)
	v_lshrrev_b32_e32 v1, s23, v1
	v_mul_lo_u32 v1, v1, s19
	s_delay_alu instid0(VALU_DEP_1) | instskip(NEXT) | instid1(VALU_DEP_1)
	v_sub_nc_u32_e32 v1, v2, v1
	v_mad_u32 v4, v1, s12, v4
	v_mad_u32 v6, v1, s13, v6
	;; [unrolled: 1-line block ×4, first 2 shown]
.LBB29_92:
	global_load_u8 v1, v6, s[2:3]
	global_load_u8 v2, v5, s[4:5]
	;; [unrolled: 1-line block ×3, first 2 shown]
	v_add_nc_u32_e32 v0, 0x80, v0
	s_wait_loadcnt 0x2
	v_mul_lo_u16 v1, v1, s37
	s_wait_loadcnt 0x1
	v_mul_lo_u16 v2, v2, s17
	s_wait_loadcnt 0x0
	s_delay_alu instid0(VALU_DEP_1) | instskip(SKIP_3) | instid1(SALU_CYCLE_1)
	v_mad_u16 v1, v2, v3, v1
	global_store_b8 v4, v1, s[0:1]
	s_wait_xcnt 0x0
	s_or_b32 exec_lo, exec_lo, s22
	s_mov_b32 s22, exec_lo
	v_cmpx_gt_i32_e64 s40, v0
	s_cbranch_execz .LBB29_105
.LBB29_93:
	s_and_not1_b32 vcc_lo, exec_lo, s35
	s_cbranch_vccnz .LBB29_99
; %bb.94:
	s_and_not1_b32 vcc_lo, exec_lo, s41
	s_cbranch_vccnz .LBB29_100
; %bb.95:
	v_dual_mov_b32 v6, 0 :: v_dual_mov_b32 v1, v0
	v_dual_mov_b32 v7, 0 :: v_dual_mov_b32 v4, 0
	v_mov_b32_e32 v5, 0
	s_add_co_i32 s30, s39, 1
	s_mov_b64 s[28:29], 0xffffffffffffffe0
	s_and_b32 s40, s30, 30
	s_add_nc_u64 s[28:29], s[20:21], s[28:29]
	s_mov_b64 s[30:31], s[20:21]
.LBB29_96:                              ; =>This Inner Loop Header: Depth=1
	s_clause 0x1
	s_load_b128 s[52:55], s[30:31], 0x4
	s_load_b64 s[42:43], s[30:31], 0x14
	s_load_b256 s[44:51], s[28:29], 0xe4
	s_add_co_i32 s40, s40, -2
	s_wait_xcnt 0x0
	s_add_nc_u64 s[30:31], s[30:31], 24
	s_cmp_eq_u32 s40, 0
	s_add_nc_u64 s[28:29], s[28:29], 32
	s_wait_kmcnt 0x0
	v_mul_hi_u32 v2, s53, v1
	s_delay_alu instid0(VALU_DEP_1) | instskip(NEXT) | instid1(VALU_DEP_1)
	v_add_nc_u32_e32 v2, v1, v2
	v_lshrrev_b32_e32 v2, s54, v2
	s_delay_alu instid0(VALU_DEP_1) | instskip(SKIP_1) | instid1(VALU_DEP_1)
	v_mul_hi_u32 v3, s42, v2
	v_mul_lo_u32 v8, v2, s52
	v_dual_add_nc_u32 v3, v2, v3 :: v_dual_sub_nc_u32 v8, v1, v8
	s_delay_alu instid0(VALU_DEP_1) | instskip(NEXT) | instid1(VALU_DEP_2)
	v_lshrrev_b32_e32 v1, s43, v3
	v_mad_u32 v5, v8, s45, v5
	v_mad_u32 v4, v8, s44, v4
	;; [unrolled: 1-line block ×4, first 2 shown]
	v_mul_lo_u32 v3, v1, s55
	s_delay_alu instid0(VALU_DEP_1) | instskip(NEXT) | instid1(VALU_DEP_1)
	v_sub_nc_u32_e32 v2, v2, v3
	v_mad_u32 v5, v2, s49, v5
	v_mad_u32 v4, v2, s48, v4
	;; [unrolled: 1-line block ×4, first 2 shown]
	s_cbranch_scc0 .LBB29_96
; %bb.97:
	s_bitcmp1_b32 s39, 0
	s_cselect_b32 s39, -1, 0
	s_delay_alu instid0(SALU_CYCLE_1)
	s_and_b32 vcc_lo, exec_lo, s39
	s_cbranch_vccnz .LBB29_101
; %bb.98:
	s_load_b96 s[44:46], s[30:31], 0x4
	s_load_b128 s[40:43], s[28:29], 0xe4
	s_wait_kmcnt 0x0
	v_mul_hi_u32 v2, s45, v1
	s_delay_alu instid0(VALU_DEP_1) | instskip(NEXT) | instid1(VALU_DEP_1)
	v_add_nc_u32_e32 v2, v1, v2
	v_lshrrev_b32_e32 v2, s46, v2
	s_delay_alu instid0(VALU_DEP_1) | instskip(NEXT) | instid1(VALU_DEP_1)
	v_mul_lo_u32 v2, v2, s44
	v_sub_nc_u32_e32 v1, v1, v2
	s_delay_alu instid0(VALU_DEP_1)
	v_mad_u32 v4, v1, s40, v4
	v_mad_u32 v5, v1, s41, v5
	v_mad_u32 v6, v1, s42, v6
	v_mad_u32 v7, v1, s43, v7
	s_branch .LBB29_101
.LBB29_99:
                                        ; implicit-def: $vgpr5
                                        ; implicit-def: $vgpr4
                                        ; implicit-def: $vgpr7
                                        ; implicit-def: $vgpr6
	s_branch .LBB29_102
.LBB29_100:
	v_dual_mov_b32 v5, 0 :: v_dual_mov_b32 v4, 0
	v_dual_mov_b32 v7, 0 :: v_dual_mov_b32 v6, 0
.LBB29_101:
	s_cbranch_execnz .LBB29_104
.LBB29_102:
	v_mov_b32_e32 v1, 0
	s_and_not1_b32 vcc_lo, exec_lo, s38
	s_delay_alu instid0(VALU_DEP_1) | instskip(NEXT) | instid1(VALU_DEP_1)
	v_mul_u64_e32 v[2:3], s[24:25], v[0:1]
	v_add_nc_u32_e32 v2, v0, v3
	s_delay_alu instid0(VALU_DEP_1) | instskip(NEXT) | instid1(VALU_DEP_1)
	v_lshrrev_b32_e32 v2, s18, v2
	v_mul_lo_u32 v3, v2, s16
	s_delay_alu instid0(VALU_DEP_1) | instskip(NEXT) | instid1(VALU_DEP_1)
	v_sub_nc_u32_e32 v0, v0, v3
	v_mul_lo_u32 v5, v0, s9
	v_mul_lo_u32 v4, v0, s8
	;; [unrolled: 1-line block ×4, first 2 shown]
	s_cbranch_vccnz .LBB29_104
; %bb.103:
	v_mov_b32_e32 v3, v1
	s_delay_alu instid0(VALU_DEP_1) | instskip(NEXT) | instid1(VALU_DEP_1)
	v_mul_u64_e32 v[0:1], s[26:27], v[2:3]
	v_add_nc_u32_e32 v0, v2, v1
	s_delay_alu instid0(VALU_DEP_1) | instskip(NEXT) | instid1(VALU_DEP_1)
	v_lshrrev_b32_e32 v0, s23, v0
	v_mul_lo_u32 v0, v0, s19
	s_delay_alu instid0(VALU_DEP_1) | instskip(NEXT) | instid1(VALU_DEP_1)
	v_sub_nc_u32_e32 v0, v2, v0
	v_mad_u32 v4, v0, s12, v4
	v_mad_u32 v5, v0, s13, v5
	;; [unrolled: 1-line block ×4, first 2 shown]
.LBB29_104:
	global_load_u8 v0, v5, s[2:3]
	global_load_u8 v1, v6, s[4:5]
	;; [unrolled: 1-line block ×3, first 2 shown]
	s_wait_loadcnt 0x2
	v_mul_lo_u16 v0, v0, s37
	s_wait_loadcnt 0x1
	v_mul_lo_u16 v1, v1, s17
	s_wait_loadcnt 0x0
	s_delay_alu instid0(VALU_DEP_1)
	v_mad_u16 v0, v1, v2, v0
	global_store_b8 v4, v0, s[0:1]
.LBB29_105:
	s_wait_xcnt 0x0
	s_or_b32 exec_lo, exec_lo, s22
                                        ; implicit-def: $vgpr5
                                        ; implicit-def: $vgpr0
.LBB29_106:
	s_and_not1_saveexec_b32 s0, s36
	s_cbranch_execz .LBB29_113
; %bb.107:
	v_cndmask_b32_e64 v10, 0, 1, s35
	s_and_not1_b32 vcc_lo, exec_lo, s35
	s_cbranch_vccnz .LBB29_114
; %bb.108:
	s_cmp_lg_u32 s33, 0
	s_mov_b32 s4, 0
	s_cbranch_scc0 .LBB29_118
; %bb.109:
	s_min_u32 s5, s34, 15
	v_dual_mov_b32 v3, 0 :: v_dual_mov_b32 v6, v0
	v_dual_mov_b32 v2, 0 :: v_dual_mov_b32 v1, 0
	v_mov_b32_e32 v4, 0
	s_add_co_i32 s2, s5, 1
	s_mov_b64 s[0:1], 0xffffffffffffffe0
	s_and_b32 s6, s2, 30
	s_add_nc_u64 s[0:1], s[20:21], s[0:1]
	s_mov_b64 s[2:3], s[20:21]
.LBB29_110:                             ; =>This Inner Loop Header: Depth=1
	s_clause 0x1
	s_load_b128 s[16:19], s[2:3], 0x4
	s_load_b64 s[22:23], s[2:3], 0x14
	s_load_b256 s[8:15], s[0:1], 0xe4
	s_add_co_i32 s6, s6, -2
	s_wait_xcnt 0x0
	s_add_nc_u64 s[2:3], s[2:3], 24
	s_cmp_lg_u32 s6, 0
	s_add_nc_u64 s[0:1], s[0:1], 32
	s_wait_kmcnt 0x0
	v_mul_hi_u32 v7, s17, v6
	s_delay_alu instid0(VALU_DEP_1) | instskip(NEXT) | instid1(VALU_DEP_1)
	v_add_nc_u32_e32 v7, v6, v7
	v_lshrrev_b32_e32 v7, s18, v7
	s_delay_alu instid0(VALU_DEP_1) | instskip(SKIP_1) | instid1(VALU_DEP_1)
	v_mul_hi_u32 v8, s22, v7
	v_mul_lo_u32 v9, v7, s16
	v_dual_add_nc_u32 v8, v7, v8 :: v_dual_sub_nc_u32 v9, v6, v9
	s_delay_alu instid0(VALU_DEP_1) | instskip(NEXT) | instid1(VALU_DEP_2)
	v_lshrrev_b32_e32 v6, s23, v8
	v_mad_u32 v4, v9, s9, v4
	v_mad_u32 v1, v9, s8, v1
	;; [unrolled: 1-line block ×4, first 2 shown]
	v_mul_lo_u32 v8, v6, s19
	s_delay_alu instid0(VALU_DEP_1) | instskip(NEXT) | instid1(VALU_DEP_1)
	v_sub_nc_u32_e32 v7, v7, v8
	v_mad_u32 v4, v7, s13, v4
	v_mad_u32 v1, v7, s12, v1
	;; [unrolled: 1-line block ×4, first 2 shown]
	s_cbranch_scc1 .LBB29_110
; %bb.111:
	s_bitcmp1_b32 s5, 0
	s_cselect_b32 s5, -1, 0
	s_delay_alu instid0(SALU_CYCLE_1)
	s_and_b32 vcc_lo, exec_lo, s5
	s_cbranch_vccnz .LBB29_115
; %bb.112:
	s_load_b96 s[12:14], s[2:3], 0x4
	s_load_b128 s[8:11], s[0:1], 0xe4
	s_wait_kmcnt 0x0
	v_mul_hi_u32 v7, s13, v6
	s_delay_alu instid0(VALU_DEP_1) | instskip(NEXT) | instid1(VALU_DEP_1)
	v_add_nc_u32_e32 v7, v6, v7
	v_lshrrev_b32_e32 v7, s14, v7
	s_delay_alu instid0(VALU_DEP_1) | instskip(NEXT) | instid1(VALU_DEP_1)
	v_mul_lo_u32 v7, v7, s12
	v_sub_nc_u32_e32 v6, v6, v7
	s_delay_alu instid0(VALU_DEP_1)
	v_mad_u32 v1, v6, s8, v1
	v_mad_u32 v4, v6, s9, v4
	;; [unrolled: 1-line block ×4, first 2 shown]
	s_and_not1_b32 vcc_lo, exec_lo, s4
	s_cbranch_vccz .LBB29_116
	s_branch .LBB29_119
.LBB29_113:
	s_endpgm
.LBB29_114:
	s_mov_b32 s4, -1
                                        ; implicit-def: $vgpr4
                                        ; implicit-def: $vgpr1
                                        ; implicit-def: $vgpr2
                                        ; implicit-def: $vgpr3
.LBB29_115:
	s_delay_alu instid0(SALU_CYCLE_1)
	s_and_not1_b32 vcc_lo, exec_lo, s4
	s_cbranch_vccnz .LBB29_119
.LBB29_116:
	s_clause 0x1
	s_load_b96 s[4:6], s[20:21], 0x4
	s_load_b128 s[0:3], s[20:21], 0xc4
	s_cmp_lt_u32 s33, 2
	s_wait_kmcnt 0x0
	v_mul_hi_u32 v1, s5, v0
	s_delay_alu instid0(VALU_DEP_1) | instskip(NEXT) | instid1(VALU_DEP_1)
	v_add_nc_u32_e32 v1, v0, v1
	v_lshrrev_b32_e32 v6, s6, v1
	s_delay_alu instid0(VALU_DEP_1) | instskip(NEXT) | instid1(VALU_DEP_1)
	v_mul_lo_u32 v1, v6, s4
	v_sub_nc_u32_e32 v3, v0, v1
	s_delay_alu instid0(VALU_DEP_1)
	v_mul_lo_u32 v4, v3, s1
	v_mul_lo_u32 v1, v3, s0
	;; [unrolled: 1-line block ×4, first 2 shown]
	s_cbranch_scc1 .LBB29_119
; %bb.117:
	s_clause 0x1
	s_load_b96 s[4:6], s[20:21], 0x10
	s_load_b128 s[0:3], s[20:21], 0xd4
	s_wait_kmcnt 0x0
	v_mul_hi_u32 v7, s5, v6
	s_delay_alu instid0(VALU_DEP_1) | instskip(NEXT) | instid1(VALU_DEP_1)
	v_add_nc_u32_e32 v7, v6, v7
	v_lshrrev_b32_e32 v7, s6, v7
	s_delay_alu instid0(VALU_DEP_1) | instskip(NEXT) | instid1(VALU_DEP_1)
	v_mul_lo_u32 v7, v7, s4
	v_sub_nc_u32_e32 v6, v6, v7
	s_delay_alu instid0(VALU_DEP_1)
	v_mad_u32 v1, v6, s0, v1
	v_mad_u32 v4, v6, s1, v4
	;; [unrolled: 1-line block ×4, first 2 shown]
	s_branch .LBB29_119
.LBB29_118:
	v_dual_mov_b32 v4, 0 :: v_dual_mov_b32 v1, 0
	v_dual_mov_b32 v2, 0 :: v_dual_mov_b32 v3, 0
	s_and_not1_b32 vcc_lo, exec_lo, s4
	s_cbranch_vccz .LBB29_116
.LBB29_119:
	v_cmp_ne_u32_e32 vcc_lo, 1, v10
	v_add_nc_u32_e32 v11, 0x80, v0
	s_cbranch_vccnz .LBB29_125
; %bb.120:
	s_cmp_lg_u32 s33, 0
	s_mov_b32 s4, 0
	s_cbranch_scc0 .LBB29_129
; %bb.121:
	s_min_u32 s5, s34, 15
	v_dual_mov_b32 v9, 0 :: v_dual_mov_b32 v12, v11
	v_dual_mov_b32 v7, 0 :: v_dual_mov_b32 v6, 0
	v_mov_b32_e32 v8, 0
	s_add_co_i32 s2, s5, 1
	s_mov_b64 s[0:1], 0xffffffffffffffe0
	s_and_b32 s6, s2, 30
	s_add_nc_u64 s[0:1], s[20:21], s[0:1]
	s_mov_b64 s[2:3], s[20:21]
.LBB29_122:                             ; =>This Inner Loop Header: Depth=1
	s_clause 0x1
	s_load_b128 s[16:19], s[2:3], 0x4
	s_load_b64 s[22:23], s[2:3], 0x14
	s_load_b256 s[8:15], s[0:1], 0xe4
	s_add_co_i32 s6, s6, -2
	s_wait_xcnt 0x0
	s_add_nc_u64 s[2:3], s[2:3], 24
	s_cmp_lg_u32 s6, 0
	s_add_nc_u64 s[0:1], s[0:1], 32
	s_wait_kmcnt 0x0
	v_mul_hi_u32 v13, s17, v12
	s_delay_alu instid0(VALU_DEP_1) | instskip(NEXT) | instid1(VALU_DEP_1)
	v_add_nc_u32_e32 v13, v12, v13
	v_lshrrev_b32_e32 v13, s18, v13
	s_delay_alu instid0(VALU_DEP_1) | instskip(SKIP_1) | instid1(VALU_DEP_1)
	v_mul_hi_u32 v14, s22, v13
	v_mul_lo_u32 v15, v13, s16
	v_dual_add_nc_u32 v14, v13, v14 :: v_dual_sub_nc_u32 v15, v12, v15
	s_delay_alu instid0(VALU_DEP_1) | instskip(NEXT) | instid1(VALU_DEP_2)
	v_lshrrev_b32_e32 v12, s23, v14
	v_mad_u32 v8, v15, s9, v8
	v_mad_u32 v6, v15, s8, v6
	;; [unrolled: 1-line block ×4, first 2 shown]
	v_mul_lo_u32 v14, v12, s19
	s_delay_alu instid0(VALU_DEP_1) | instskip(NEXT) | instid1(VALU_DEP_1)
	v_sub_nc_u32_e32 v13, v13, v14
	v_mad_u32 v8, v13, s13, v8
	v_mad_u32 v6, v13, s12, v6
	v_mad_u32 v7, v13, s15, v7
	v_mad_u32 v9, v13, s14, v9
	s_cbranch_scc1 .LBB29_122
; %bb.123:
	s_bitcmp1_b32 s5, 0
	s_cselect_b32 s5, -1, 0
	s_delay_alu instid0(SALU_CYCLE_1)
	s_and_b32 vcc_lo, exec_lo, s5
	s_cbranch_vccnz .LBB29_126
; %bb.124:
	s_load_b96 s[12:14], s[2:3], 0x4
	s_load_b128 s[8:11], s[0:1], 0xe4
	s_wait_kmcnt 0x0
	v_mul_hi_u32 v13, s13, v12
	s_delay_alu instid0(VALU_DEP_1) | instskip(NEXT) | instid1(VALU_DEP_1)
	v_add_nc_u32_e32 v13, v12, v13
	v_lshrrev_b32_e32 v13, s14, v13
	s_delay_alu instid0(VALU_DEP_1) | instskip(NEXT) | instid1(VALU_DEP_1)
	v_mul_lo_u32 v13, v13, s12
	v_sub_nc_u32_e32 v12, v12, v13
	s_delay_alu instid0(VALU_DEP_1)
	v_mad_u32 v6, v12, s8, v6
	v_mad_u32 v8, v12, s9, v8
	;; [unrolled: 1-line block ×4, first 2 shown]
	s_and_not1_b32 vcc_lo, exec_lo, s4
	s_cbranch_vccz .LBB29_127
	s_branch .LBB29_130
.LBB29_125:
	s_mov_b32 s4, -1
                                        ; implicit-def: $vgpr8
                                        ; implicit-def: $vgpr6
                                        ; implicit-def: $vgpr7
                                        ; implicit-def: $vgpr9
.LBB29_126:
	s_delay_alu instid0(SALU_CYCLE_1)
	s_and_not1_b32 vcc_lo, exec_lo, s4
	s_cbranch_vccnz .LBB29_130
.LBB29_127:
	s_clause 0x1
	s_load_b96 s[4:6], s[20:21], 0x4
	s_load_b128 s[0:3], s[20:21], 0xc4
	s_cmp_lt_u32 s33, 2
	s_wait_kmcnt 0x0
	v_mul_hi_u32 v6, s5, v11
	s_delay_alu instid0(VALU_DEP_1) | instskip(NEXT) | instid1(VALU_DEP_1)
	v_add_nc_u32_e32 v6, v11, v6
	v_lshrrev_b32_e32 v12, s6, v6
	s_delay_alu instid0(VALU_DEP_1) | instskip(NEXT) | instid1(VALU_DEP_1)
	v_mul_lo_u32 v6, v12, s4
	v_sub_nc_u32_e32 v9, v11, v6
	s_delay_alu instid0(VALU_DEP_1)
	v_mul_lo_u32 v8, v9, s1
	v_mul_lo_u32 v6, v9, s0
	;; [unrolled: 1-line block ×4, first 2 shown]
	s_cbranch_scc1 .LBB29_130
; %bb.128:
	s_clause 0x1
	s_load_b96 s[4:6], s[20:21], 0x10
	s_load_b128 s[0:3], s[20:21], 0xd4
	s_wait_kmcnt 0x0
	v_mul_hi_u32 v11, s5, v12
	s_delay_alu instid0(VALU_DEP_1) | instskip(NEXT) | instid1(VALU_DEP_1)
	v_add_nc_u32_e32 v11, v12, v11
	v_lshrrev_b32_e32 v11, s6, v11
	s_delay_alu instid0(VALU_DEP_1) | instskip(NEXT) | instid1(VALU_DEP_1)
	v_mul_lo_u32 v11, v11, s4
	v_sub_nc_u32_e32 v11, v12, v11
	s_delay_alu instid0(VALU_DEP_1)
	v_mad_u32 v6, v11, s0, v6
	v_mad_u32 v8, v11, s1, v8
	;; [unrolled: 1-line block ×4, first 2 shown]
	s_branch .LBB29_130
.LBB29_129:
	v_dual_mov_b32 v8, 0 :: v_dual_mov_b32 v6, 0
	v_dual_mov_b32 v7, 0 :: v_dual_mov_b32 v9, 0
	s_and_not1_b32 vcc_lo, exec_lo, s4
	s_cbranch_vccz .LBB29_127
.LBB29_130:
	v_cmp_ne_u32_e32 vcc_lo, 1, v10
	v_add_nc_u32_e32 v15, 0x100, v0
	s_cbranch_vccnz .LBB29_136
; %bb.131:
	s_cmp_lg_u32 s33, 0
	s_mov_b32 s4, 0
	s_cbranch_scc0 .LBB29_140
; %bb.132:
	s_min_u32 s5, s34, 15
	v_dual_mov_b32 v14, 0 :: v_dual_mov_b32 v16, v15
	v_dual_mov_b32 v12, 0 :: v_dual_mov_b32 v11, 0
	v_mov_b32_e32 v13, 0
	s_add_co_i32 s2, s5, 1
	s_mov_b64 s[0:1], 0xffffffffffffffe0
	s_and_b32 s6, s2, 30
	s_add_nc_u64 s[0:1], s[20:21], s[0:1]
	s_mov_b64 s[2:3], s[20:21]
.LBB29_133:                             ; =>This Inner Loop Header: Depth=1
	s_clause 0x1
	s_load_b128 s[16:19], s[2:3], 0x4
	s_load_b64 s[22:23], s[2:3], 0x14
	s_load_b256 s[8:15], s[0:1], 0xe4
	s_add_co_i32 s6, s6, -2
	s_wait_xcnt 0x0
	s_add_nc_u64 s[2:3], s[2:3], 24
	s_cmp_lg_u32 s6, 0
	s_add_nc_u64 s[0:1], s[0:1], 32
	s_wait_kmcnt 0x0
	v_mul_hi_u32 v17, s17, v16
	s_delay_alu instid0(VALU_DEP_1) | instskip(NEXT) | instid1(VALU_DEP_1)
	v_add_nc_u32_e32 v17, v16, v17
	v_lshrrev_b32_e32 v17, s18, v17
	s_delay_alu instid0(VALU_DEP_1) | instskip(SKIP_1) | instid1(VALU_DEP_1)
	v_mul_hi_u32 v18, s22, v17
	v_mul_lo_u32 v19, v17, s16
	v_dual_add_nc_u32 v18, v17, v18 :: v_dual_sub_nc_u32 v19, v16, v19
	s_delay_alu instid0(VALU_DEP_1) | instskip(NEXT) | instid1(VALU_DEP_2)
	v_lshrrev_b32_e32 v16, s23, v18
	v_mad_u32 v13, v19, s9, v13
	v_mad_u32 v11, v19, s8, v11
	;; [unrolled: 1-line block ×4, first 2 shown]
	v_mul_lo_u32 v18, v16, s19
	s_delay_alu instid0(VALU_DEP_1) | instskip(NEXT) | instid1(VALU_DEP_1)
	v_sub_nc_u32_e32 v17, v17, v18
	v_mad_u32 v13, v17, s13, v13
	v_mad_u32 v11, v17, s12, v11
	v_mad_u32 v12, v17, s15, v12
	v_mad_u32 v14, v17, s14, v14
	s_cbranch_scc1 .LBB29_133
; %bb.134:
	s_bitcmp1_b32 s5, 0
	s_cselect_b32 s5, -1, 0
	s_delay_alu instid0(SALU_CYCLE_1)
	s_and_b32 vcc_lo, exec_lo, s5
	s_cbranch_vccnz .LBB29_137
; %bb.135:
	s_load_b96 s[12:14], s[2:3], 0x4
	s_load_b128 s[8:11], s[0:1], 0xe4
	s_wait_kmcnt 0x0
	v_mul_hi_u32 v17, s13, v16
	s_delay_alu instid0(VALU_DEP_1) | instskip(NEXT) | instid1(VALU_DEP_1)
	v_add_nc_u32_e32 v17, v16, v17
	v_lshrrev_b32_e32 v17, s14, v17
	s_delay_alu instid0(VALU_DEP_1) | instskip(NEXT) | instid1(VALU_DEP_1)
	v_mul_lo_u32 v17, v17, s12
	v_sub_nc_u32_e32 v16, v16, v17
	s_delay_alu instid0(VALU_DEP_1)
	v_mad_u32 v11, v16, s8, v11
	v_mad_u32 v13, v16, s9, v13
	v_mad_u32 v14, v16, s10, v14
	v_mad_u32 v12, v16, s11, v12
	s_and_not1_b32 vcc_lo, exec_lo, s4
	s_cbranch_vccz .LBB29_138
	s_branch .LBB29_141
.LBB29_136:
	s_mov_b32 s4, -1
                                        ; implicit-def: $vgpr13
                                        ; implicit-def: $vgpr11
                                        ; implicit-def: $vgpr12
                                        ; implicit-def: $vgpr14
.LBB29_137:
	s_delay_alu instid0(SALU_CYCLE_1)
	s_and_not1_b32 vcc_lo, exec_lo, s4
	s_cbranch_vccnz .LBB29_141
.LBB29_138:
	s_clause 0x1
	s_load_b96 s[4:6], s[20:21], 0x4
	s_load_b128 s[0:3], s[20:21], 0xc4
	s_cmp_lt_u32 s33, 2
	s_wait_kmcnt 0x0
	v_mul_hi_u32 v11, s5, v15
	s_delay_alu instid0(VALU_DEP_1) | instskip(NEXT) | instid1(VALU_DEP_1)
	v_add_nc_u32_e32 v11, v15, v11
	v_lshrrev_b32_e32 v16, s6, v11
	s_delay_alu instid0(VALU_DEP_1) | instskip(NEXT) | instid1(VALU_DEP_1)
	v_mul_lo_u32 v11, v16, s4
	v_sub_nc_u32_e32 v14, v15, v11
	s_delay_alu instid0(VALU_DEP_1)
	v_mul_lo_u32 v13, v14, s1
	v_mul_lo_u32 v11, v14, s0
	;; [unrolled: 1-line block ×4, first 2 shown]
	s_cbranch_scc1 .LBB29_141
; %bb.139:
	s_clause 0x1
	s_load_b96 s[4:6], s[20:21], 0x10
	s_load_b128 s[0:3], s[20:21], 0xd4
	s_wait_kmcnt 0x0
	v_mul_hi_u32 v15, s5, v16
	s_delay_alu instid0(VALU_DEP_1) | instskip(NEXT) | instid1(VALU_DEP_1)
	v_add_nc_u32_e32 v15, v16, v15
	v_lshrrev_b32_e32 v15, s6, v15
	s_delay_alu instid0(VALU_DEP_1) | instskip(NEXT) | instid1(VALU_DEP_1)
	v_mul_lo_u32 v15, v15, s4
	v_sub_nc_u32_e32 v15, v16, v15
	s_delay_alu instid0(VALU_DEP_1)
	v_mad_u32 v11, v15, s0, v11
	v_mad_u32 v13, v15, s1, v13
	;; [unrolled: 1-line block ×4, first 2 shown]
	s_branch .LBB29_141
.LBB29_140:
	v_dual_mov_b32 v13, 0 :: v_dual_mov_b32 v11, 0
	v_dual_mov_b32 v12, 0 :: v_dual_mov_b32 v14, 0
	s_and_not1_b32 vcc_lo, exec_lo, s4
	s_cbranch_vccz .LBB29_138
.LBB29_141:
	v_cmp_ne_u32_e32 vcc_lo, 1, v10
	v_add_nc_u32_e32 v19, 0x180, v0
	s_cbranch_vccnz .LBB29_147
; %bb.142:
	s_cmp_lg_u32 s33, 0
	s_mov_b32 s4, 0
	s_cbranch_scc0 .LBB29_151
; %bb.143:
	s_min_u32 s5, s34, 15
	v_dual_mov_b32 v18, 0 :: v_dual_mov_b32 v20, v19
	v_dual_mov_b32 v16, 0 :: v_dual_mov_b32 v15, 0
	v_mov_b32_e32 v17, 0
	s_add_co_i32 s2, s5, 1
	s_mov_b64 s[0:1], 0xffffffffffffffe0
	s_and_b32 s6, s2, 30
	s_add_nc_u64 s[0:1], s[20:21], s[0:1]
	s_mov_b64 s[2:3], s[20:21]
.LBB29_144:                             ; =>This Inner Loop Header: Depth=1
	s_clause 0x1
	s_load_b128 s[16:19], s[2:3], 0x4
	s_load_b64 s[22:23], s[2:3], 0x14
	s_load_b256 s[8:15], s[0:1], 0xe4
	s_add_co_i32 s6, s6, -2
	s_wait_xcnt 0x0
	s_add_nc_u64 s[2:3], s[2:3], 24
	s_cmp_lg_u32 s6, 0
	s_add_nc_u64 s[0:1], s[0:1], 32
	s_wait_kmcnt 0x0
	v_mul_hi_u32 v21, s17, v20
	s_delay_alu instid0(VALU_DEP_1) | instskip(NEXT) | instid1(VALU_DEP_1)
	v_add_nc_u32_e32 v21, v20, v21
	v_lshrrev_b32_e32 v21, s18, v21
	s_delay_alu instid0(VALU_DEP_1) | instskip(SKIP_1) | instid1(VALU_DEP_1)
	v_mul_hi_u32 v22, s22, v21
	v_mul_lo_u32 v23, v21, s16
	v_dual_add_nc_u32 v22, v21, v22 :: v_dual_sub_nc_u32 v23, v20, v23
	s_delay_alu instid0(VALU_DEP_1) | instskip(NEXT) | instid1(VALU_DEP_2)
	v_lshrrev_b32_e32 v20, s23, v22
	v_mad_u32 v17, v23, s9, v17
	v_mad_u32 v15, v23, s8, v15
	;; [unrolled: 1-line block ×4, first 2 shown]
	v_mul_lo_u32 v22, v20, s19
	s_delay_alu instid0(VALU_DEP_1) | instskip(NEXT) | instid1(VALU_DEP_1)
	v_sub_nc_u32_e32 v21, v21, v22
	v_mad_u32 v17, v21, s13, v17
	v_mad_u32 v15, v21, s12, v15
	;; [unrolled: 1-line block ×4, first 2 shown]
	s_cbranch_scc1 .LBB29_144
; %bb.145:
	s_bitcmp1_b32 s5, 0
	s_cselect_b32 s5, -1, 0
	s_delay_alu instid0(SALU_CYCLE_1)
	s_and_b32 vcc_lo, exec_lo, s5
	s_cbranch_vccnz .LBB29_148
; %bb.146:
	s_load_b96 s[12:14], s[2:3], 0x4
	s_load_b128 s[8:11], s[0:1], 0xe4
	s_wait_kmcnt 0x0
	v_mul_hi_u32 v21, s13, v20
	s_delay_alu instid0(VALU_DEP_1) | instskip(NEXT) | instid1(VALU_DEP_1)
	v_add_nc_u32_e32 v21, v20, v21
	v_lshrrev_b32_e32 v21, s14, v21
	s_delay_alu instid0(VALU_DEP_1) | instskip(NEXT) | instid1(VALU_DEP_1)
	v_mul_lo_u32 v21, v21, s12
	v_sub_nc_u32_e32 v20, v20, v21
	s_delay_alu instid0(VALU_DEP_1)
	v_mad_u32 v15, v20, s8, v15
	v_mad_u32 v17, v20, s9, v17
	;; [unrolled: 1-line block ×4, first 2 shown]
	s_and_not1_b32 vcc_lo, exec_lo, s4
	s_cbranch_vccz .LBB29_149
	s_branch .LBB29_152
.LBB29_147:
	s_mov_b32 s4, -1
                                        ; implicit-def: $vgpr17
                                        ; implicit-def: $vgpr15
                                        ; implicit-def: $vgpr16
                                        ; implicit-def: $vgpr18
.LBB29_148:
	s_delay_alu instid0(SALU_CYCLE_1)
	s_and_not1_b32 vcc_lo, exec_lo, s4
	s_cbranch_vccnz .LBB29_152
.LBB29_149:
	s_clause 0x1
	s_load_b96 s[4:6], s[20:21], 0x4
	s_load_b128 s[0:3], s[20:21], 0xc4
	s_cmp_lt_u32 s33, 2
	s_wait_kmcnt 0x0
	v_mul_hi_u32 v15, s5, v19
	s_delay_alu instid0(VALU_DEP_1) | instskip(NEXT) | instid1(VALU_DEP_1)
	v_add_nc_u32_e32 v15, v19, v15
	v_lshrrev_b32_e32 v20, s6, v15
	s_delay_alu instid0(VALU_DEP_1) | instskip(NEXT) | instid1(VALU_DEP_1)
	v_mul_lo_u32 v15, v20, s4
	v_sub_nc_u32_e32 v18, v19, v15
	s_delay_alu instid0(VALU_DEP_1)
	v_mul_lo_u32 v17, v18, s1
	v_mul_lo_u32 v15, v18, s0
	v_mul_lo_u32 v16, v18, s3
	v_mul_lo_u32 v18, v18, s2
	s_cbranch_scc1 .LBB29_152
; %bb.150:
	s_clause 0x1
	s_load_b96 s[4:6], s[20:21], 0x10
	s_load_b128 s[0:3], s[20:21], 0xd4
	s_wait_kmcnt 0x0
	v_mul_hi_u32 v19, s5, v20
	s_delay_alu instid0(VALU_DEP_1) | instskip(NEXT) | instid1(VALU_DEP_1)
	v_add_nc_u32_e32 v19, v20, v19
	v_lshrrev_b32_e32 v19, s6, v19
	s_delay_alu instid0(VALU_DEP_1) | instskip(NEXT) | instid1(VALU_DEP_1)
	v_mul_lo_u32 v19, v19, s4
	v_sub_nc_u32_e32 v19, v20, v19
	s_delay_alu instid0(VALU_DEP_1)
	v_mad_u32 v15, v19, s0, v15
	v_mad_u32 v17, v19, s1, v17
	;; [unrolled: 1-line block ×4, first 2 shown]
	s_branch .LBB29_152
.LBB29_151:
	v_dual_mov_b32 v17, 0 :: v_dual_mov_b32 v15, 0
	v_dual_mov_b32 v16, 0 :: v_dual_mov_b32 v18, 0
	s_and_not1_b32 vcc_lo, exec_lo, s4
	s_cbranch_vccz .LBB29_149
.LBB29_152:
	v_cmp_ne_u32_e32 vcc_lo, 1, v10
	v_add_nc_u32_e32 v23, 0x200, v0
	s_cbranch_vccnz .LBB29_158
; %bb.153:
	s_cmp_lg_u32 s33, 0
	s_mov_b32 s4, 0
	s_cbranch_scc0 .LBB29_162
; %bb.154:
	s_min_u32 s5, s34, 15
	v_dual_mov_b32 v21, 0 :: v_dual_mov_b32 v24, v23
	v_dual_mov_b32 v20, 0 :: v_dual_mov_b32 v19, 0
	v_mov_b32_e32 v22, 0
	s_add_co_i32 s2, s5, 1
	s_mov_b64 s[0:1], 0xffffffffffffffe0
	s_and_b32 s6, s2, 30
	s_add_nc_u64 s[0:1], s[20:21], s[0:1]
	s_mov_b64 s[2:3], s[20:21]
.LBB29_155:                             ; =>This Inner Loop Header: Depth=1
	s_clause 0x1
	s_load_b128 s[16:19], s[2:3], 0x4
	s_load_b64 s[22:23], s[2:3], 0x14
	s_load_b256 s[8:15], s[0:1], 0xe4
	s_add_co_i32 s6, s6, -2
	s_wait_xcnt 0x0
	s_add_nc_u64 s[2:3], s[2:3], 24
	s_cmp_lg_u32 s6, 0
	s_add_nc_u64 s[0:1], s[0:1], 32
	s_wait_kmcnt 0x0
	v_mul_hi_u32 v25, s17, v24
	s_delay_alu instid0(VALU_DEP_1) | instskip(NEXT) | instid1(VALU_DEP_1)
	v_add_nc_u32_e32 v25, v24, v25
	v_lshrrev_b32_e32 v25, s18, v25
	s_delay_alu instid0(VALU_DEP_1) | instskip(SKIP_1) | instid1(VALU_DEP_1)
	v_mul_hi_u32 v26, s22, v25
	v_mul_lo_u32 v27, v25, s16
	v_dual_add_nc_u32 v26, v25, v26 :: v_dual_sub_nc_u32 v27, v24, v27
	s_delay_alu instid0(VALU_DEP_1) | instskip(NEXT) | instid1(VALU_DEP_2)
	v_lshrrev_b32_e32 v24, s23, v26
	v_mad_u32 v22, v27, s9, v22
	v_mad_u32 v19, v27, s8, v19
	;; [unrolled: 1-line block ×4, first 2 shown]
	v_mul_lo_u32 v26, v24, s19
	s_delay_alu instid0(VALU_DEP_1) | instskip(NEXT) | instid1(VALU_DEP_1)
	v_sub_nc_u32_e32 v25, v25, v26
	v_mad_u32 v22, v25, s13, v22
	v_mad_u32 v19, v25, s12, v19
	;; [unrolled: 1-line block ×4, first 2 shown]
	s_cbranch_scc1 .LBB29_155
; %bb.156:
	s_bitcmp1_b32 s5, 0
	s_cselect_b32 s5, -1, 0
	s_delay_alu instid0(SALU_CYCLE_1)
	s_and_b32 vcc_lo, exec_lo, s5
	s_cbranch_vccnz .LBB29_159
; %bb.157:
	s_load_b96 s[12:14], s[2:3], 0x4
	s_load_b128 s[8:11], s[0:1], 0xe4
	s_wait_kmcnt 0x0
	v_mul_hi_u32 v25, s13, v24
	s_delay_alu instid0(VALU_DEP_1) | instskip(NEXT) | instid1(VALU_DEP_1)
	v_add_nc_u32_e32 v25, v24, v25
	v_lshrrev_b32_e32 v25, s14, v25
	s_delay_alu instid0(VALU_DEP_1) | instskip(NEXT) | instid1(VALU_DEP_1)
	v_mul_lo_u32 v25, v25, s12
	v_sub_nc_u32_e32 v24, v24, v25
	s_delay_alu instid0(VALU_DEP_1)
	v_mad_u32 v19, v24, s8, v19
	v_mad_u32 v22, v24, s9, v22
	;; [unrolled: 1-line block ×4, first 2 shown]
	s_and_not1_b32 vcc_lo, exec_lo, s4
	s_cbranch_vccz .LBB29_160
	s_branch .LBB29_163
.LBB29_158:
	s_mov_b32 s4, -1
                                        ; implicit-def: $vgpr22
                                        ; implicit-def: $vgpr19
                                        ; implicit-def: $vgpr20
                                        ; implicit-def: $vgpr21
.LBB29_159:
	s_delay_alu instid0(SALU_CYCLE_1)
	s_and_not1_b32 vcc_lo, exec_lo, s4
	s_cbranch_vccnz .LBB29_163
.LBB29_160:
	s_clause 0x1
	s_load_b96 s[4:6], s[20:21], 0x4
	s_load_b128 s[0:3], s[20:21], 0xc4
	s_cmp_lt_u32 s33, 2
	s_wait_kmcnt 0x0
	v_mul_hi_u32 v19, s5, v23
	s_delay_alu instid0(VALU_DEP_1) | instskip(NEXT) | instid1(VALU_DEP_1)
	v_add_nc_u32_e32 v19, v23, v19
	v_lshrrev_b32_e32 v24, s6, v19
	s_delay_alu instid0(VALU_DEP_1) | instskip(NEXT) | instid1(VALU_DEP_1)
	v_mul_lo_u32 v19, v24, s4
	v_sub_nc_u32_e32 v21, v23, v19
	s_delay_alu instid0(VALU_DEP_1)
	v_mul_lo_u32 v22, v21, s1
	v_mul_lo_u32 v19, v21, s0
	;; [unrolled: 1-line block ×4, first 2 shown]
	s_cbranch_scc1 .LBB29_163
; %bb.161:
	s_clause 0x1
	s_load_b96 s[4:6], s[20:21], 0x10
	s_load_b128 s[0:3], s[20:21], 0xd4
	s_wait_kmcnt 0x0
	v_mul_hi_u32 v23, s5, v24
	s_delay_alu instid0(VALU_DEP_1) | instskip(NEXT) | instid1(VALU_DEP_1)
	v_add_nc_u32_e32 v23, v24, v23
	v_lshrrev_b32_e32 v23, s6, v23
	s_delay_alu instid0(VALU_DEP_1) | instskip(NEXT) | instid1(VALU_DEP_1)
	v_mul_lo_u32 v23, v23, s4
	v_sub_nc_u32_e32 v23, v24, v23
	s_delay_alu instid0(VALU_DEP_1)
	v_mad_u32 v19, v23, s0, v19
	v_mad_u32 v22, v23, s1, v22
	;; [unrolled: 1-line block ×4, first 2 shown]
	s_branch .LBB29_163
.LBB29_162:
	v_dual_mov_b32 v22, 0 :: v_dual_mov_b32 v19, 0
	v_dual_mov_b32 v20, 0 :: v_dual_mov_b32 v21, 0
	s_and_not1_b32 vcc_lo, exec_lo, s4
	s_cbranch_vccz .LBB29_160
.LBB29_163:
	v_cmp_ne_u32_e32 vcc_lo, 1, v10
	v_add_nc_u32_e32 v27, 0x280, v0
	s_cbranch_vccnz .LBB29_169
; %bb.164:
	s_cmp_lg_u32 s33, 0
	s_mov_b32 s4, 0
	s_cbranch_scc0 .LBB29_173
; %bb.165:
	s_min_u32 s5, s34, 15
	v_dual_mov_b32 v25, 0 :: v_dual_mov_b32 v28, v27
	v_dual_mov_b32 v24, 0 :: v_dual_mov_b32 v23, 0
	v_mov_b32_e32 v26, 0
	s_add_co_i32 s2, s5, 1
	s_mov_b64 s[0:1], 0xffffffffffffffe0
	s_and_b32 s6, s2, 30
	s_add_nc_u64 s[0:1], s[20:21], s[0:1]
	s_mov_b64 s[2:3], s[20:21]
.LBB29_166:                             ; =>This Inner Loop Header: Depth=1
	s_clause 0x1
	s_load_b128 s[16:19], s[2:3], 0x4
	s_load_b64 s[22:23], s[2:3], 0x14
	s_load_b256 s[8:15], s[0:1], 0xe4
	s_add_co_i32 s6, s6, -2
	s_wait_xcnt 0x0
	s_add_nc_u64 s[2:3], s[2:3], 24
	s_cmp_lg_u32 s6, 0
	s_add_nc_u64 s[0:1], s[0:1], 32
	s_wait_kmcnt 0x0
	v_mul_hi_u32 v29, s17, v28
	s_delay_alu instid0(VALU_DEP_1) | instskip(NEXT) | instid1(VALU_DEP_1)
	v_add_nc_u32_e32 v29, v28, v29
	v_lshrrev_b32_e32 v29, s18, v29
	s_delay_alu instid0(VALU_DEP_1) | instskip(SKIP_1) | instid1(VALU_DEP_1)
	v_mul_hi_u32 v30, s22, v29
	v_mul_lo_u32 v31, v29, s16
	v_dual_add_nc_u32 v30, v29, v30 :: v_dual_sub_nc_u32 v31, v28, v31
	s_delay_alu instid0(VALU_DEP_1) | instskip(NEXT) | instid1(VALU_DEP_2)
	v_lshrrev_b32_e32 v28, s23, v30
	v_mad_u32 v26, v31, s9, v26
	v_mad_u32 v23, v31, s8, v23
	;; [unrolled: 1-line block ×4, first 2 shown]
	v_mul_lo_u32 v30, v28, s19
	s_delay_alu instid0(VALU_DEP_1) | instskip(NEXT) | instid1(VALU_DEP_1)
	v_sub_nc_u32_e32 v29, v29, v30
	v_mad_u32 v26, v29, s13, v26
	v_mad_u32 v23, v29, s12, v23
	;; [unrolled: 1-line block ×4, first 2 shown]
	s_cbranch_scc1 .LBB29_166
; %bb.167:
	s_bitcmp1_b32 s5, 0
	s_cselect_b32 s5, -1, 0
	s_delay_alu instid0(SALU_CYCLE_1)
	s_and_b32 vcc_lo, exec_lo, s5
	s_cbranch_vccnz .LBB29_170
; %bb.168:
	s_load_b96 s[12:14], s[2:3], 0x4
	s_load_b128 s[8:11], s[0:1], 0xe4
	s_wait_kmcnt 0x0
	v_mul_hi_u32 v29, s13, v28
	s_delay_alu instid0(VALU_DEP_1) | instskip(NEXT) | instid1(VALU_DEP_1)
	v_add_nc_u32_e32 v29, v28, v29
	v_lshrrev_b32_e32 v29, s14, v29
	s_delay_alu instid0(VALU_DEP_1) | instskip(NEXT) | instid1(VALU_DEP_1)
	v_mul_lo_u32 v29, v29, s12
	v_sub_nc_u32_e32 v28, v28, v29
	s_delay_alu instid0(VALU_DEP_1)
	v_mad_u32 v23, v28, s8, v23
	v_mad_u32 v26, v28, s9, v26
	;; [unrolled: 1-line block ×4, first 2 shown]
	s_and_not1_b32 vcc_lo, exec_lo, s4
	s_cbranch_vccz .LBB29_171
	s_branch .LBB29_174
.LBB29_169:
	s_mov_b32 s4, -1
                                        ; implicit-def: $vgpr26
                                        ; implicit-def: $vgpr23
                                        ; implicit-def: $vgpr24
                                        ; implicit-def: $vgpr25
.LBB29_170:
	s_delay_alu instid0(SALU_CYCLE_1)
	s_and_not1_b32 vcc_lo, exec_lo, s4
	s_cbranch_vccnz .LBB29_174
.LBB29_171:
	s_clause 0x1
	s_load_b96 s[4:6], s[20:21], 0x4
	s_load_b128 s[0:3], s[20:21], 0xc4
	s_cmp_lt_u32 s33, 2
	s_wait_kmcnt 0x0
	v_mul_hi_u32 v23, s5, v27
	s_delay_alu instid0(VALU_DEP_1) | instskip(NEXT) | instid1(VALU_DEP_1)
	v_add_nc_u32_e32 v23, v27, v23
	v_lshrrev_b32_e32 v28, s6, v23
	s_delay_alu instid0(VALU_DEP_1) | instskip(NEXT) | instid1(VALU_DEP_1)
	v_mul_lo_u32 v23, v28, s4
	v_sub_nc_u32_e32 v25, v27, v23
	s_delay_alu instid0(VALU_DEP_1)
	v_mul_lo_u32 v26, v25, s1
	v_mul_lo_u32 v23, v25, s0
	;; [unrolled: 1-line block ×4, first 2 shown]
	s_cbranch_scc1 .LBB29_174
; %bb.172:
	s_clause 0x1
	s_load_b96 s[4:6], s[20:21], 0x10
	s_load_b128 s[0:3], s[20:21], 0xd4
	s_wait_kmcnt 0x0
	v_mul_hi_u32 v27, s5, v28
	s_delay_alu instid0(VALU_DEP_1) | instskip(NEXT) | instid1(VALU_DEP_1)
	v_add_nc_u32_e32 v27, v28, v27
	v_lshrrev_b32_e32 v27, s6, v27
	s_delay_alu instid0(VALU_DEP_1) | instskip(NEXT) | instid1(VALU_DEP_1)
	v_mul_lo_u32 v27, v27, s4
	v_sub_nc_u32_e32 v27, v28, v27
	s_delay_alu instid0(VALU_DEP_1)
	v_mad_u32 v23, v27, s0, v23
	v_mad_u32 v26, v27, s1, v26
	;; [unrolled: 1-line block ×4, first 2 shown]
	s_branch .LBB29_174
.LBB29_173:
	v_dual_mov_b32 v26, 0 :: v_dual_mov_b32 v23, 0
	v_dual_mov_b32 v24, 0 :: v_dual_mov_b32 v25, 0
	s_and_not1_b32 vcc_lo, exec_lo, s4
	s_cbranch_vccz .LBB29_171
.LBB29_174:
	v_cmp_ne_u32_e32 vcc_lo, 1, v10
	v_add_nc_u32_e32 v30, 0x300, v0
	s_cbranch_vccnz .LBB29_180
; %bb.175:
	s_cmp_lg_u32 s33, 0
	s_mov_b32 s4, 0
	s_cbranch_scc0 .LBB29_184
; %bb.176:
	s_min_u32 s5, s34, 15
	v_dual_mov_b32 v29, 0 :: v_dual_mov_b32 v31, v30
	v_dual_mov_b32 v27, 0 :: v_dual_mov_b32 v0, 0
	v_mov_b32_e32 v28, 0
	s_add_co_i32 s2, s5, 1
	s_mov_b64 s[0:1], 0xffffffffffffffe0
	s_and_b32 s6, s2, 30
	s_add_nc_u64 s[0:1], s[20:21], s[0:1]
	s_mov_b64 s[2:3], s[20:21]
.LBB29_177:                             ; =>This Inner Loop Header: Depth=1
	s_clause 0x1
	s_load_b128 s[16:19], s[2:3], 0x4
	s_load_b64 s[22:23], s[2:3], 0x14
	s_load_b256 s[8:15], s[0:1], 0xe4
	s_add_co_i32 s6, s6, -2
	s_wait_xcnt 0x0
	s_add_nc_u64 s[2:3], s[2:3], 24
	s_cmp_lg_u32 s6, 0
	s_add_nc_u64 s[0:1], s[0:1], 32
	s_wait_kmcnt 0x0
	v_mul_hi_u32 v32, s17, v31
	s_delay_alu instid0(VALU_DEP_1) | instskip(NEXT) | instid1(VALU_DEP_1)
	v_add_nc_u32_e32 v32, v31, v32
	v_lshrrev_b32_e32 v32, s18, v32
	s_delay_alu instid0(VALU_DEP_1) | instskip(SKIP_1) | instid1(VALU_DEP_1)
	v_mul_hi_u32 v33, s22, v32
	v_mul_lo_u32 v34, v32, s16
	v_dual_add_nc_u32 v33, v32, v33 :: v_dual_sub_nc_u32 v34, v31, v34
	s_delay_alu instid0(VALU_DEP_1) | instskip(NEXT) | instid1(VALU_DEP_2)
	v_lshrrev_b32_e32 v31, s23, v33
	v_mad_u32 v28, v34, s9, v28
	v_mad_u32 v0, v34, s8, v0
	;; [unrolled: 1-line block ×4, first 2 shown]
	v_mul_lo_u32 v33, v31, s19
	s_delay_alu instid0(VALU_DEP_1) | instskip(NEXT) | instid1(VALU_DEP_1)
	v_sub_nc_u32_e32 v32, v32, v33
	v_mad_u32 v28, v32, s13, v28
	v_mad_u32 v0, v32, s12, v0
	;; [unrolled: 1-line block ×4, first 2 shown]
	s_cbranch_scc1 .LBB29_177
; %bb.178:
	s_bitcmp1_b32 s5, 0
	s_cselect_b32 s5, -1, 0
	s_delay_alu instid0(SALU_CYCLE_1)
	s_and_b32 vcc_lo, exec_lo, s5
	s_cbranch_vccnz .LBB29_181
; %bb.179:
	s_load_b96 s[12:14], s[2:3], 0x4
	s_load_b128 s[8:11], s[0:1], 0xe4
	s_wait_kmcnt 0x0
	v_mul_hi_u32 v32, s13, v31
	s_delay_alu instid0(VALU_DEP_1) | instskip(NEXT) | instid1(VALU_DEP_1)
	v_add_nc_u32_e32 v32, v31, v32
	v_lshrrev_b32_e32 v32, s14, v32
	s_delay_alu instid0(VALU_DEP_1) | instskip(NEXT) | instid1(VALU_DEP_1)
	v_mul_lo_u32 v32, v32, s12
	v_sub_nc_u32_e32 v31, v31, v32
	s_delay_alu instid0(VALU_DEP_1)
	v_mad_u32 v0, v31, s8, v0
	v_mad_u32 v28, v31, s9, v28
	;; [unrolled: 1-line block ×4, first 2 shown]
	s_and_not1_b32 vcc_lo, exec_lo, s4
	s_cbranch_vccz .LBB29_182
	s_branch .LBB29_185
.LBB29_180:
	s_mov_b32 s4, -1
                                        ; implicit-def: $vgpr28
                                        ; implicit-def: $vgpr0
                                        ; implicit-def: $vgpr27
                                        ; implicit-def: $vgpr29
.LBB29_181:
	s_delay_alu instid0(SALU_CYCLE_1)
	s_and_not1_b32 vcc_lo, exec_lo, s4
	s_cbranch_vccnz .LBB29_185
.LBB29_182:
	s_clause 0x1
	s_load_b96 s[4:6], s[20:21], 0x4
	s_load_b128 s[0:3], s[20:21], 0xc4
	s_cmp_lt_u32 s33, 2
	s_wait_kmcnt 0x0
	v_mul_hi_u32 v0, s5, v30
	s_delay_alu instid0(VALU_DEP_1) | instskip(NEXT) | instid1(VALU_DEP_1)
	v_add_nc_u32_e32 v0, v30, v0
	v_lshrrev_b32_e32 v31, s6, v0
	s_delay_alu instid0(VALU_DEP_1) | instskip(NEXT) | instid1(VALU_DEP_1)
	v_mul_lo_u32 v0, v31, s4
	v_sub_nc_u32_e32 v29, v30, v0
	s_delay_alu instid0(VALU_DEP_1)
	v_mul_lo_u32 v28, v29, s1
	v_mul_lo_u32 v0, v29, s0
	;; [unrolled: 1-line block ×4, first 2 shown]
	s_cbranch_scc1 .LBB29_185
; %bb.183:
	s_clause 0x1
	s_load_b96 s[4:6], s[20:21], 0x10
	s_load_b128 s[0:3], s[20:21], 0xd4
	s_wait_kmcnt 0x0
	v_mul_hi_u32 v30, s5, v31
	s_delay_alu instid0(VALU_DEP_1) | instskip(NEXT) | instid1(VALU_DEP_1)
	v_add_nc_u32_e32 v30, v31, v30
	v_lshrrev_b32_e32 v30, s6, v30
	s_delay_alu instid0(VALU_DEP_1) | instskip(NEXT) | instid1(VALU_DEP_1)
	v_mul_lo_u32 v30, v30, s4
	v_sub_nc_u32_e32 v30, v31, v30
	s_delay_alu instid0(VALU_DEP_1)
	v_mad_u32 v0, v30, s0, v0
	v_mad_u32 v28, v30, s1, v28
	;; [unrolled: 1-line block ×4, first 2 shown]
	s_branch .LBB29_185
.LBB29_184:
	v_dual_mov_b32 v28, 0 :: v_dual_mov_b32 v0, 0
	v_dual_mov_b32 v27, 0 :: v_dual_mov_b32 v29, 0
	s_and_not1_b32 vcc_lo, exec_lo, s4
	s_cbranch_vccz .LBB29_182
.LBB29_185:
	v_cmp_ne_u32_e32 vcc_lo, 1, v10
	s_cbranch_vccnz .LBB29_191
; %bb.186:
	s_cmp_lg_u32 s33, 0
	s_mov_b32 s4, 0
	s_cbranch_scc0 .LBB29_195
; %bb.187:
	s_min_u32 s5, s34, 15
	v_dual_mov_b32 v31, 0 :: v_dual_mov_b32 v33, v5
	v_dual_mov_b32 v30, 0 :: v_dual_mov_b32 v10, 0
	v_mov_b32_e32 v32, 0
	s_add_co_i32 s2, s5, 1
	s_mov_b64 s[0:1], 0xffffffffffffffe0
	s_and_b32 s6, s2, 30
	s_add_nc_u64 s[0:1], s[20:21], s[0:1]
	s_mov_b64 s[2:3], s[20:21]
.LBB29_188:                             ; =>This Inner Loop Header: Depth=1
	s_clause 0x1
	s_load_b128 s[16:19], s[2:3], 0x4
	s_load_b64 s[22:23], s[2:3], 0x14
	s_load_b256 s[8:15], s[0:1], 0xe4
	s_add_co_i32 s6, s6, -2
	s_wait_xcnt 0x0
	s_add_nc_u64 s[2:3], s[2:3], 24
	s_cmp_lg_u32 s6, 0
	s_add_nc_u64 s[0:1], s[0:1], 32
	s_wait_kmcnt 0x0
	v_mul_hi_u32 v34, s17, v33
	s_delay_alu instid0(VALU_DEP_1) | instskip(NEXT) | instid1(VALU_DEP_1)
	v_add_nc_u32_e32 v34, v33, v34
	v_lshrrev_b32_e32 v34, s18, v34
	s_delay_alu instid0(VALU_DEP_1) | instskip(SKIP_1) | instid1(VALU_DEP_1)
	v_mul_hi_u32 v35, s22, v34
	v_mul_lo_u32 v36, v34, s16
	v_dual_add_nc_u32 v35, v34, v35 :: v_dual_sub_nc_u32 v36, v33, v36
	s_delay_alu instid0(VALU_DEP_1) | instskip(NEXT) | instid1(VALU_DEP_2)
	v_lshrrev_b32_e32 v33, s23, v35
	v_mad_u32 v32, v36, s9, v32
	v_mad_u32 v10, v36, s8, v10
	;; [unrolled: 1-line block ×4, first 2 shown]
	v_mul_lo_u32 v35, v33, s19
	s_delay_alu instid0(VALU_DEP_1) | instskip(NEXT) | instid1(VALU_DEP_1)
	v_sub_nc_u32_e32 v34, v34, v35
	v_mad_u32 v32, v34, s13, v32
	v_mad_u32 v10, v34, s12, v10
	;; [unrolled: 1-line block ×4, first 2 shown]
	s_cbranch_scc1 .LBB29_188
; %bb.189:
	s_bitcmp1_b32 s5, 0
	s_cselect_b32 s5, -1, 0
	s_delay_alu instid0(SALU_CYCLE_1)
	s_and_b32 vcc_lo, exec_lo, s5
	s_cbranch_vccnz .LBB29_192
; %bb.190:
	s_load_b96 s[12:14], s[2:3], 0x4
	s_load_b128 s[8:11], s[0:1], 0xe4
	s_wait_kmcnt 0x0
	v_mul_hi_u32 v34, s13, v33
	s_delay_alu instid0(VALU_DEP_1) | instskip(NEXT) | instid1(VALU_DEP_1)
	v_add_nc_u32_e32 v34, v33, v34
	v_lshrrev_b32_e32 v34, s14, v34
	s_delay_alu instid0(VALU_DEP_1) | instskip(NEXT) | instid1(VALU_DEP_1)
	v_mul_lo_u32 v34, v34, s12
	v_sub_nc_u32_e32 v33, v33, v34
	s_delay_alu instid0(VALU_DEP_1)
	v_mad_u32 v10, v33, s8, v10
	v_mad_u32 v32, v33, s9, v32
	;; [unrolled: 1-line block ×4, first 2 shown]
	s_and_not1_b32 vcc_lo, exec_lo, s4
	s_cbranch_vccz .LBB29_193
	s_branch .LBB29_196
.LBB29_191:
	s_mov_b32 s4, -1
                                        ; implicit-def: $vgpr32
                                        ; implicit-def: $vgpr10
                                        ; implicit-def: $vgpr30
                                        ; implicit-def: $vgpr31
.LBB29_192:
	s_delay_alu instid0(SALU_CYCLE_1)
	s_and_not1_b32 vcc_lo, exec_lo, s4
	s_cbranch_vccnz .LBB29_196
.LBB29_193:
	s_clause 0x1
	s_load_b96 s[4:6], s[20:21], 0x4
	s_load_b128 s[0:3], s[20:21], 0xc4
	s_cmp_lt_u32 s33, 2
	s_wait_kmcnt 0x0
	v_mul_hi_u32 v10, s5, v5
	s_delay_alu instid0(VALU_DEP_1) | instskip(NEXT) | instid1(VALU_DEP_1)
	v_add_nc_u32_e32 v10, v5, v10
	v_lshrrev_b32_e32 v33, s6, v10
	s_delay_alu instid0(VALU_DEP_1) | instskip(NEXT) | instid1(VALU_DEP_1)
	v_mul_lo_u32 v10, v33, s4
	v_sub_nc_u32_e32 v5, v5, v10
	s_delay_alu instid0(VALU_DEP_1)
	v_mul_lo_u32 v32, v5, s1
	v_mul_lo_u32 v10, v5, s0
	;; [unrolled: 1-line block ×4, first 2 shown]
	s_cbranch_scc1 .LBB29_196
; %bb.194:
	s_clause 0x1
	s_load_b96 s[4:6], s[20:21], 0x10
	s_load_b128 s[0:3], s[20:21], 0xd4
	s_wait_kmcnt 0x0
	v_mul_hi_u32 v5, s5, v33
	s_delay_alu instid0(VALU_DEP_1) | instskip(NEXT) | instid1(VALU_DEP_1)
	v_add_nc_u32_e32 v5, v33, v5
	v_lshrrev_b32_e32 v5, s6, v5
	s_delay_alu instid0(VALU_DEP_1) | instskip(NEXT) | instid1(VALU_DEP_1)
	v_mul_lo_u32 v5, v5, s4
	v_sub_nc_u32_e32 v5, v33, v5
	s_delay_alu instid0(VALU_DEP_1)
	v_mad_u32 v10, v5, s0, v10
	v_mad_u32 v32, v5, s1, v32
	;; [unrolled: 1-line block ×4, first 2 shown]
	s_branch .LBB29_196
.LBB29_195:
	v_dual_mov_b32 v32, 0 :: v_dual_mov_b32 v10, 0
	v_dual_mov_b32 v30, 0 :: v_dual_mov_b32 v31, 0
	s_and_not1_b32 vcc_lo, exec_lo, s4
	s_cbranch_vccz .LBB29_193
.LBB29_196:
	s_load_b256 s[0:7], s[20:21], 0x1c8
	s_wait_kmcnt 0x0
	global_load_u8 v5, v4, s[2:3]
	global_load_u8 v33, v3, s[4:5]
	;; [unrolled: 1-line block ×15, first 2 shown]
                                        ; kill: killed $vgpr22
                                        ; kill: killed $vgpr9
                                        ; kill: killed $vgpr4
                                        ; kill: killed $vgpr29
                                        ; kill: killed $vgpr26
                                        ; kill: killed $vgpr14
                                        ; kill: killed $vgpr8
                                        ; kill: killed $vgpr28
                                        ; kill: killed $vgpr18
                                        ; kill: killed $vgpr13
                                        ; kill: killed $sgpr2_sgpr3
                                        ; kill: killed $vgpr32
                                        ; kill: killed $vgpr21
                                        ; kill: killed $vgpr17
                                        ; kill: killed $vgpr3
                                        ; kill: killed $vgpr25
	global_load_u8 v3, v31, s[4:5]
	s_clause 0x7
	global_load_u8 v4, v2, s[6:7]
	global_load_u8 v8, v7, s[6:7]
	;; [unrolled: 1-line block ×8, first 2 shown]
	s_wait_xcnt 0x9
	s_load_b32 s2, s[20:21], 0x1e8
	s_wait_kmcnt 0x0
	s_bfe_u32 s3, s2, 0x80008
	s_wait_loadcnt 0x17
	v_mul_lo_u16 v2, v5, s2
	s_wait_loadcnt 0x16
	v_mul_lo_u16 v5, v33, s3
	;; [unrolled: 2-line block ×16, first 2 shown]
	s_wait_loadcnt 0x7
	v_mad_u16 v2, v5, v4, v2
	s_wait_loadcnt 0x6
	v_mad_u16 v4, v12, v8, v7
	;; [unrolled: 2-line block ×8, first 2 shown]
	s_clause 0x7
	global_store_b8 v1, v2, s[0:1]
	global_store_b8 v6, v4, s[0:1]
	;; [unrolled: 1-line block ×8, first 2 shown]
	s_endpgm
	.section	.rodata,"a",@progbits
	.p2align	6, 0x0
	.amdhsa_kernel _ZN2at6native32elementwise_kernel_manual_unrollILi128ELi8EZNS0_22gpu_kernel_impl_nocastIZZZNS0_12_GLOBAL__N_116addr_kernel_cudaERNS_14TensorIteratorERKN3c106ScalarES9_ENKUlvE_clEvENKUlvE_clEvEUlhhhE0_EEvRNS_18TensorIteratorBaseERKT_EUlibE_EEviT1_
		.amdhsa_group_segment_fixed_size 0
		.amdhsa_private_segment_fixed_size 0
		.amdhsa_kernarg_size 504
		.amdhsa_user_sgpr_count 2
		.amdhsa_user_sgpr_dispatch_ptr 0
		.amdhsa_user_sgpr_queue_ptr 0
		.amdhsa_user_sgpr_kernarg_segment_ptr 1
		.amdhsa_user_sgpr_dispatch_id 0
		.amdhsa_user_sgpr_kernarg_preload_length 0
		.amdhsa_user_sgpr_kernarg_preload_offset 0
		.amdhsa_user_sgpr_private_segment_size 0
		.amdhsa_wavefront_size32 1
		.amdhsa_uses_dynamic_stack 0
		.amdhsa_enable_private_segment 0
		.amdhsa_system_sgpr_workgroup_id_x 1
		.amdhsa_system_sgpr_workgroup_id_y 0
		.amdhsa_system_sgpr_workgroup_id_z 0
		.amdhsa_system_sgpr_workgroup_info 0
		.amdhsa_system_vgpr_workitem_id 0
		.amdhsa_next_free_vgpr 47
		.amdhsa_next_free_sgpr 58
		.amdhsa_named_barrier_count 0
		.amdhsa_reserve_vcc 1
		.amdhsa_float_round_mode_32 0
		.amdhsa_float_round_mode_16_64 0
		.amdhsa_float_denorm_mode_32 3
		.amdhsa_float_denorm_mode_16_64 3
		.amdhsa_fp16_overflow 0
		.amdhsa_memory_ordered 1
		.amdhsa_forward_progress 1
		.amdhsa_inst_pref_size 92
		.amdhsa_round_robin_scheduling 0
		.amdhsa_exception_fp_ieee_invalid_op 0
		.amdhsa_exception_fp_denorm_src 0
		.amdhsa_exception_fp_ieee_div_zero 0
		.amdhsa_exception_fp_ieee_overflow 0
		.amdhsa_exception_fp_ieee_underflow 0
		.amdhsa_exception_fp_ieee_inexact 0
		.amdhsa_exception_int_div_zero 0
	.end_amdhsa_kernel
	.section	.text._ZN2at6native32elementwise_kernel_manual_unrollILi128ELi8EZNS0_22gpu_kernel_impl_nocastIZZZNS0_12_GLOBAL__N_116addr_kernel_cudaERNS_14TensorIteratorERKN3c106ScalarES9_ENKUlvE_clEvENKUlvE_clEvEUlhhhE0_EEvRNS_18TensorIteratorBaseERKT_EUlibE_EEviT1_,"axG",@progbits,_ZN2at6native32elementwise_kernel_manual_unrollILi128ELi8EZNS0_22gpu_kernel_impl_nocastIZZZNS0_12_GLOBAL__N_116addr_kernel_cudaERNS_14TensorIteratorERKN3c106ScalarES9_ENKUlvE_clEvENKUlvE_clEvEUlhhhE0_EEvRNS_18TensorIteratorBaseERKT_EUlibE_EEviT1_,comdat
.Lfunc_end29:
	.size	_ZN2at6native32elementwise_kernel_manual_unrollILi128ELi8EZNS0_22gpu_kernel_impl_nocastIZZZNS0_12_GLOBAL__N_116addr_kernel_cudaERNS_14TensorIteratorERKN3c106ScalarES9_ENKUlvE_clEvENKUlvE_clEvEUlhhhE0_EEvRNS_18TensorIteratorBaseERKT_EUlibE_EEviT1_, .Lfunc_end29-_ZN2at6native32elementwise_kernel_manual_unrollILi128ELi8EZNS0_22gpu_kernel_impl_nocastIZZZNS0_12_GLOBAL__N_116addr_kernel_cudaERNS_14TensorIteratorERKN3c106ScalarES9_ENKUlvE_clEvENKUlvE_clEvEUlhhhE0_EEvRNS_18TensorIteratorBaseERKT_EUlibE_EEviT1_
                                        ; -- End function
	.set _ZN2at6native32elementwise_kernel_manual_unrollILi128ELi8EZNS0_22gpu_kernel_impl_nocastIZZZNS0_12_GLOBAL__N_116addr_kernel_cudaERNS_14TensorIteratorERKN3c106ScalarES9_ENKUlvE_clEvENKUlvE_clEvEUlhhhE0_EEvRNS_18TensorIteratorBaseERKT_EUlibE_EEviT1_.num_vgpr, 47
	.set _ZN2at6native32elementwise_kernel_manual_unrollILi128ELi8EZNS0_22gpu_kernel_impl_nocastIZZZNS0_12_GLOBAL__N_116addr_kernel_cudaERNS_14TensorIteratorERKN3c106ScalarES9_ENKUlvE_clEvENKUlvE_clEvEUlhhhE0_EEvRNS_18TensorIteratorBaseERKT_EUlibE_EEviT1_.num_agpr, 0
	.set _ZN2at6native32elementwise_kernel_manual_unrollILi128ELi8EZNS0_22gpu_kernel_impl_nocastIZZZNS0_12_GLOBAL__N_116addr_kernel_cudaERNS_14TensorIteratorERKN3c106ScalarES9_ENKUlvE_clEvENKUlvE_clEvEUlhhhE0_EEvRNS_18TensorIteratorBaseERKT_EUlibE_EEviT1_.numbered_sgpr, 58
	.set _ZN2at6native32elementwise_kernel_manual_unrollILi128ELi8EZNS0_22gpu_kernel_impl_nocastIZZZNS0_12_GLOBAL__N_116addr_kernel_cudaERNS_14TensorIteratorERKN3c106ScalarES9_ENKUlvE_clEvENKUlvE_clEvEUlhhhE0_EEvRNS_18TensorIteratorBaseERKT_EUlibE_EEviT1_.num_named_barrier, 0
	.set _ZN2at6native32elementwise_kernel_manual_unrollILi128ELi8EZNS0_22gpu_kernel_impl_nocastIZZZNS0_12_GLOBAL__N_116addr_kernel_cudaERNS_14TensorIteratorERKN3c106ScalarES9_ENKUlvE_clEvENKUlvE_clEvEUlhhhE0_EEvRNS_18TensorIteratorBaseERKT_EUlibE_EEviT1_.private_seg_size, 0
	.set _ZN2at6native32elementwise_kernel_manual_unrollILi128ELi8EZNS0_22gpu_kernel_impl_nocastIZZZNS0_12_GLOBAL__N_116addr_kernel_cudaERNS_14TensorIteratorERKN3c106ScalarES9_ENKUlvE_clEvENKUlvE_clEvEUlhhhE0_EEvRNS_18TensorIteratorBaseERKT_EUlibE_EEviT1_.uses_vcc, 1
	.set _ZN2at6native32elementwise_kernel_manual_unrollILi128ELi8EZNS0_22gpu_kernel_impl_nocastIZZZNS0_12_GLOBAL__N_116addr_kernel_cudaERNS_14TensorIteratorERKN3c106ScalarES9_ENKUlvE_clEvENKUlvE_clEvEUlhhhE0_EEvRNS_18TensorIteratorBaseERKT_EUlibE_EEviT1_.uses_flat_scratch, 0
	.set _ZN2at6native32elementwise_kernel_manual_unrollILi128ELi8EZNS0_22gpu_kernel_impl_nocastIZZZNS0_12_GLOBAL__N_116addr_kernel_cudaERNS_14TensorIteratorERKN3c106ScalarES9_ENKUlvE_clEvENKUlvE_clEvEUlhhhE0_EEvRNS_18TensorIteratorBaseERKT_EUlibE_EEviT1_.has_dyn_sized_stack, 0
	.set _ZN2at6native32elementwise_kernel_manual_unrollILi128ELi8EZNS0_22gpu_kernel_impl_nocastIZZZNS0_12_GLOBAL__N_116addr_kernel_cudaERNS_14TensorIteratorERKN3c106ScalarES9_ENKUlvE_clEvENKUlvE_clEvEUlhhhE0_EEvRNS_18TensorIteratorBaseERKT_EUlibE_EEviT1_.has_recursion, 0
	.set _ZN2at6native32elementwise_kernel_manual_unrollILi128ELi8EZNS0_22gpu_kernel_impl_nocastIZZZNS0_12_GLOBAL__N_116addr_kernel_cudaERNS_14TensorIteratorERKN3c106ScalarES9_ENKUlvE_clEvENKUlvE_clEvEUlhhhE0_EEvRNS_18TensorIteratorBaseERKT_EUlibE_EEviT1_.has_indirect_call, 0
	.section	.AMDGPU.csdata,"",@progbits
; Kernel info:
; codeLenInByte = 11652
; TotalNumSgprs: 60
; NumVgprs: 47
; ScratchSize: 0
; MemoryBound: 0
; FloatMode: 240
; IeeeMode: 1
; LDSByteSize: 0 bytes/workgroup (compile time only)
; SGPRBlocks: 0
; VGPRBlocks: 2
; NumSGPRsForWavesPerEU: 60
; NumVGPRsForWavesPerEU: 47
; NamedBarCnt: 0
; Occupancy: 16
; WaveLimiterHint : 1
; COMPUTE_PGM_RSRC2:SCRATCH_EN: 0
; COMPUTE_PGM_RSRC2:USER_SGPR: 2
; COMPUTE_PGM_RSRC2:TRAP_HANDLER: 0
; COMPUTE_PGM_RSRC2:TGID_X_EN: 1
; COMPUTE_PGM_RSRC2:TGID_Y_EN: 0
; COMPUTE_PGM_RSRC2:TGID_Z_EN: 0
; COMPUTE_PGM_RSRC2:TIDIG_COMP_CNT: 0
	.section	.text._ZN2at6native32elementwise_kernel_manual_unrollILi128ELi4EZNS0_15gpu_kernel_implIZZZNS0_12_GLOBAL__N_116addr_kernel_cudaERNS_14TensorIteratorERKN3c106ScalarES9_ENKUlvE_clEvENKUlvE_clEvEUlhhhE0_EEvRNS_18TensorIteratorBaseERKT_EUlibE_EEviT1_,"axG",@progbits,_ZN2at6native32elementwise_kernel_manual_unrollILi128ELi4EZNS0_15gpu_kernel_implIZZZNS0_12_GLOBAL__N_116addr_kernel_cudaERNS_14TensorIteratorERKN3c106ScalarES9_ENKUlvE_clEvENKUlvE_clEvEUlhhhE0_EEvRNS_18TensorIteratorBaseERKT_EUlibE_EEviT1_,comdat
	.globl	_ZN2at6native32elementwise_kernel_manual_unrollILi128ELi4EZNS0_15gpu_kernel_implIZZZNS0_12_GLOBAL__N_116addr_kernel_cudaERNS_14TensorIteratorERKN3c106ScalarES9_ENKUlvE_clEvENKUlvE_clEvEUlhhhE0_EEvRNS_18TensorIteratorBaseERKT_EUlibE_EEviT1_ ; -- Begin function _ZN2at6native32elementwise_kernel_manual_unrollILi128ELi4EZNS0_15gpu_kernel_implIZZZNS0_12_GLOBAL__N_116addr_kernel_cudaERNS_14TensorIteratorERKN3c106ScalarES9_ENKUlvE_clEvENKUlvE_clEvEUlhhhE0_EEvRNS_18TensorIteratorBaseERKT_EUlibE_EEviT1_
	.p2align	8
	.type	_ZN2at6native32elementwise_kernel_manual_unrollILi128ELi4EZNS0_15gpu_kernel_implIZZZNS0_12_GLOBAL__N_116addr_kernel_cudaERNS_14TensorIteratorERKN3c106ScalarES9_ENKUlvE_clEvENKUlvE_clEvEUlhhhE0_EEvRNS_18TensorIteratorBaseERKT_EUlibE_EEviT1_,@function
_ZN2at6native32elementwise_kernel_manual_unrollILi128ELi4EZNS0_15gpu_kernel_implIZZZNS0_12_GLOBAL__N_116addr_kernel_cudaERNS_14TensorIteratorERKN3c106ScalarES9_ENKUlvE_clEvENKUlvE_clEvEUlhhhE0_EEvRNS_18TensorIteratorBaseERKT_EUlibE_EEviT1_: ; @_ZN2at6native32elementwise_kernel_manual_unrollILi128ELi4EZNS0_15gpu_kernel_implIZZZNS0_12_GLOBAL__N_116addr_kernel_cudaERNS_14TensorIteratorERKN3c106ScalarES9_ENKUlvE_clEvENKUlvE_clEvEUlhhhE0_EEvRNS_18TensorIteratorBaseERKT_EUlibE_EEviT1_
; %bb.0:
	s_clause 0x1
	s_load_b64 s[2:3], s[0:1], 0x38
	s_load_b128 s[12:15], s[0:1], 0x28
	s_bfe_u32 s4, ttmp6, 0x4000c
	s_load_b32 s22, s[0:1], 0x0
	s_add_co_i32 s16, s4, 1
	s_load_b256 s[4:11], s[0:1], 0x8
	s_and_b32 s19, ttmp6, 15
	s_wait_xcnt 0x0
	s_mul_i32 s0, ttmp9, s16
	s_getreg_b32 s20, hwreg(HW_REG_IB_STS2, 6, 4)
	s_add_co_i32 s19, s19, s0
	s_mov_b32 s21, 0
	s_wait_kmcnt 0x0
	s_lshr_b64 s[16:17], s[2:3], 24
	s_lshr_b32 s1, s2, 8
	s_lshr_b32 s18, s2, 16
	;; [unrolled: 1-line block ×3, first 2 shown]
	s_cmp_eq_u32 s20, 0
	s_cselect_b32 s0, ttmp9, s19
	s_mov_b32 s19, 0
	v_lshl_or_b32 v26, s0, 9, v0
	s_mov_b32 s0, exec_lo
	s_delay_alu instid0(VALU_DEP_1) | instskip(NEXT) | instid1(VALU_DEP_1)
	v_or_b32_e32 v0, 0x180, v26
	v_cmpx_le_i32_e64 s22, v0
	s_xor_b32 s20, exec_lo, s0
	s_cbranch_execz .LBB30_2015
; %bb.1:
	s_mov_b32 s30, -1
	s_mov_b32 s27, 0
	s_mov_b32 s25, 0
	;; [unrolled: 1-line block ×4, first 2 shown]
	s_mov_b32 s26, exec_lo
	v_cmpx_gt_i32_e64 s22, v26
	s_cbranch_execz .LBB30_500
; %bb.2:
	v_mul_lo_u32 v0, v26, s13
	s_and_b32 s0, s16, 0xff
	s_delay_alu instid0(SALU_CYCLE_1) | instskip(NEXT) | instid1(VALU_DEP_1)
	s_cmp_lt_i32 s0, 11
	v_ashrrev_i32_e32 v1, 31, v0
	s_delay_alu instid0(VALU_DEP_1)
	v_add_nc_u64_e32 v[2:3], s[6:7], v[0:1]
	s_cbranch_scc1 .LBB30_9
; %bb.3:
	s_and_b32 s21, 0xffff, s0
	s_delay_alu instid0(SALU_CYCLE_1)
	s_cmp_gt_i32 s21, 25
	s_cbranch_scc0 .LBB30_18
; %bb.4:
	s_cmp_gt_i32 s21, 28
	s_cbranch_scc0 .LBB30_28
; %bb.5:
	s_cmp_gt_i32 s21, 43
	s_cbranch_scc0 .LBB30_31
; %bb.6:
	s_cmp_gt_i32 s21, 45
	s_cbranch_scc0 .LBB30_34
; %bb.7:
	s_cmp_eq_u32 s21, 46
	s_cbranch_scc0 .LBB30_37
; %bb.8:
	global_load_b32 v0, v[2:3], off
	s_mov_b32 s23, -1
	s_wait_loadcnt 0x0
	v_lshlrev_b32_e32 v0, 16, v0
	s_delay_alu instid0(VALU_DEP_1) | instskip(NEXT) | instid1(VALU_DEP_1)
	v_trunc_f32_e32 v0, v0
	v_mul_f32_e64 v1, 0x2f800000, |v0|
	s_delay_alu instid0(VALU_DEP_1) | instskip(NEXT) | instid1(VALU_DEP_1)
	v_floor_f32_e32 v1, v1
	v_fma_f32 v1, 0xcf800000, v1, |v0|
	v_ashrrev_i32_e32 v0, 31, v0
	s_delay_alu instid0(VALU_DEP_2) | instskip(NEXT) | instid1(VALU_DEP_1)
	v_cvt_u32_f32_e32 v1, v1
	v_xor_b32_e32 v1, v1, v0
	s_delay_alu instid0(VALU_DEP_1)
	v_sub_nc_u32_e32 v0, v1, v0
	s_branch .LBB30_39
.LBB30_9:
                                        ; implicit-def: $vgpr0
	s_cbranch_execnz .LBB30_101
.LBB30_10:
	s_and_not1_b32 vcc_lo, exec_lo, s23
	s_cbranch_vccnz .LBB30_148
.LBB30_11:
	s_wait_xcnt 0x0
	v_mul_lo_u32 v2, v26, s14
	s_and_b32 s0, s3, 0xff
	s_delay_alu instid0(SALU_CYCLE_1) | instskip(NEXT) | instid1(VALU_DEP_1)
	s_cmp_lt_i32 s0, 11
	v_ashrrev_i32_e32 v3, 31, v2
	s_delay_alu instid0(VALU_DEP_1)
	v_add_nc_u64_e32 v[4:5], s[8:9], v[2:3]
	s_cbranch_scc1 .LBB30_19
; %bb.12:
	s_and_b32 s21, 0xffff, s0
	s_delay_alu instid0(SALU_CYCLE_1)
	s_cmp_gt_i32 s21, 25
	s_cbranch_scc0 .LBB30_29
; %bb.13:
	s_cmp_gt_i32 s21, 28
	s_cbranch_scc0 .LBB30_32
; %bb.14:
	;; [unrolled: 3-line block ×4, first 2 shown]
	s_cmp_eq_u32 s21, 46
	s_mov_b32 s28, 0
	s_cbranch_scc0 .LBB30_149
; %bb.17:
	s_wait_loadcnt 0x0
	global_load_b32 v1, v[4:5], off
	s_mov_b32 s23, -1
	s_mov_b32 s24, 0
	s_wait_loadcnt 0x0
	v_lshlrev_b32_e32 v1, 16, v1
	s_delay_alu instid0(VALU_DEP_1) | instskip(NEXT) | instid1(VALU_DEP_1)
	v_trunc_f32_e32 v1, v1
	v_mul_f32_e64 v2, 0x2f800000, |v1|
	s_delay_alu instid0(VALU_DEP_1) | instskip(NEXT) | instid1(VALU_DEP_1)
	v_floor_f32_e32 v2, v2
	v_fma_f32 v2, 0xcf800000, v2, |v1|
	v_ashrrev_i32_e32 v1, 31, v1
	s_delay_alu instid0(VALU_DEP_2) | instskip(NEXT) | instid1(VALU_DEP_1)
	v_cvt_u32_f32_e32 v2, v2
	v_xor_b32_e32 v2, v2, v1
	s_delay_alu instid0(VALU_DEP_1)
	v_sub_nc_u32_e32 v2, v2, v1
	s_branch .LBB30_151
.LBB30_18:
                                        ; implicit-def: $vgpr0
	s_cbranch_execnz .LBB30_68
	s_branch .LBB30_100
.LBB30_19:
	s_mov_b32 s24, 0
	s_mov_b32 s23, 0
                                        ; implicit-def: $vgpr2
	s_cbranch_execnz .LBB30_213
.LBB30_20:
	s_and_not1_b32 vcc_lo, exec_lo, s23
	s_cbranch_vccnz .LBB30_261
.LBB30_21:
	s_wait_xcnt 0x0
	v_mul_lo_u32 v4, v26, s15
	s_and_b32 s0, s17, 0xff
	s_delay_alu instid0(SALU_CYCLE_1) | instskip(NEXT) | instid1(VALU_DEP_1)
	s_cmp_lt_i32 s0, 11
	v_ashrrev_i32_e32 v5, 31, v4
	s_delay_alu instid0(VALU_DEP_1)
	v_add_nc_u64_e32 v[4:5], s[10:11], v[4:5]
	s_cbranch_scc1 .LBB30_30
; %bb.22:
	s_and_b32 s21, 0xffff, s0
	s_delay_alu instid0(SALU_CYCLE_1)
	s_cmp_gt_i32 s21, 25
	s_cbranch_scc0 .LBB30_33
; %bb.23:
	s_cmp_gt_i32 s21, 28
	s_cbranch_scc0 .LBB30_36
; %bb.24:
	;; [unrolled: 3-line block ×4, first 2 shown]
	s_cmp_eq_u32 s21, 46
	s_mov_b32 s29, 0
	s_cbranch_scc0 .LBB30_262
; %bb.27:
	s_wait_loadcnt 0x0
	global_load_b32 v1, v[4:5], off
	s_mov_b32 s28, -1
	s_mov_b32 s23, 0
	s_wait_loadcnt 0x0
	v_lshlrev_b32_e32 v1, 16, v1
	s_delay_alu instid0(VALU_DEP_1) | instskip(NEXT) | instid1(VALU_DEP_1)
	v_trunc_f32_e32 v1, v1
	v_mul_f32_e64 v3, 0x2f800000, |v1|
	s_delay_alu instid0(VALU_DEP_1) | instskip(NEXT) | instid1(VALU_DEP_1)
	v_floor_f32_e32 v3, v3
	v_fma_f32 v3, 0xcf800000, v3, |v1|
	v_ashrrev_i32_e32 v1, 31, v1
	s_delay_alu instid0(VALU_DEP_2) | instskip(NEXT) | instid1(VALU_DEP_1)
	v_cvt_u32_f32_e32 v3, v3
	v_xor_b32_e32 v3, v3, v1
	s_delay_alu instid0(VALU_DEP_1)
	v_sub_nc_u32_e32 v6, v3, v1
	s_branch .LBB30_264
.LBB30_28:
	s_mov_b32 s24, -1
                                        ; implicit-def: $vgpr0
	s_branch .LBB30_51
.LBB30_29:
	s_mov_b32 s28, -1
	s_mov_b32 s24, 0
	s_mov_b32 s23, 0
                                        ; implicit-def: $vgpr2
	s_branch .LBB30_179
.LBB30_30:
	s_mov_b32 s21, -1
	s_mov_b32 s23, 0
	s_mov_b32 s28, 0
                                        ; implicit-def: $vgpr6
	s_branch .LBB30_325
.LBB30_31:
	s_mov_b32 s24, -1
                                        ; implicit-def: $vgpr0
	s_branch .LBB30_46
.LBB30_32:
	s_mov_b32 s28, -1
	s_mov_b32 s24, 0
	s_mov_b32 s23, 0
                                        ; implicit-def: $vgpr2
	s_branch .LBB30_162
.LBB30_33:
	s_mov_b32 s29, -1
	s_mov_b32 s23, 0
	s_mov_b32 s28, 0
                                        ; implicit-def: $vgpr6
	s_branch .LBB30_291
.LBB30_34:
	s_mov_b32 s24, -1
	s_branch .LBB30_38
.LBB30_35:
	s_mov_b32 s28, -1
	s_mov_b32 s24, 0
	s_mov_b32 s23, 0
                                        ; implicit-def: $vgpr2
	s_branch .LBB30_157
.LBB30_36:
	s_mov_b32 s29, -1
	s_mov_b32 s23, 0
	s_mov_b32 s28, 0
                                        ; implicit-def: $vgpr6
	s_branch .LBB30_274
.LBB30_37:
	s_mov_b32 s25, -1
.LBB30_38:
                                        ; implicit-def: $vgpr0
.LBB30_39:
	s_and_b32 vcc_lo, exec_lo, s24
	s_cbranch_vccz .LBB30_45
; %bb.40:
	s_cmp_eq_u32 s21, 44
	s_cbranch_scc0 .LBB30_44
; %bb.41:
	global_load_u8 v0, v[2:3], off
	s_mov_b32 s25, 0
	s_mov_b32 s23, -1
	s_wait_loadcnt 0x0
	v_lshlrev_b32_e32 v1, 23, v0
	v_cmp_ne_u32_e32 vcc_lo, 0, v0
	s_delay_alu instid0(VALU_DEP_2) | instskip(NEXT) | instid1(VALU_DEP_1)
	v_trunc_f32_e32 v1, v1
	v_mul_f32_e64 v4, 0x2f800000, |v1|
	s_delay_alu instid0(VALU_DEP_1) | instskip(NEXT) | instid1(VALU_DEP_1)
	v_floor_f32_e32 v4, v4
	v_fma_f32 v4, 0xcf800000, v4, |v1|
	v_ashrrev_i32_e32 v1, 31, v1
	s_delay_alu instid0(VALU_DEP_2) | instskip(NEXT) | instid1(VALU_DEP_1)
	v_cvt_u32_f32_e32 v4, v4
	v_xor_b32_e32 v4, v4, v1
	s_delay_alu instid0(VALU_DEP_1) | instskip(NEXT) | instid1(VALU_DEP_1)
	v_sub_nc_u32_e32 v1, v4, v1
	v_cndmask_b32_e32 v0, 0, v1, vcc_lo
	s_branch .LBB30_45
.LBB30_42:
	s_mov_b32 s28, -1
	s_mov_b32 s24, 0
	s_branch .LBB30_150
.LBB30_43:
	s_mov_b32 s29, -1
	s_mov_b32 s23, 0
	s_mov_b32 s28, 0
                                        ; implicit-def: $vgpr6
	s_branch .LBB30_269
.LBB30_44:
	s_mov_b32 s25, -1
                                        ; implicit-def: $vgpr0
.LBB30_45:
	s_mov_b32 s24, 0
.LBB30_46:
	s_delay_alu instid0(SALU_CYCLE_1)
	s_and_b32 vcc_lo, exec_lo, s24
	s_cbranch_vccz .LBB30_50
; %bb.47:
	s_cmp_eq_u32 s21, 29
	s_cbranch_scc0 .LBB30_49
; %bb.48:
	global_load_b64 v[0:1], v[2:3], off
	s_mov_b32 s23, -1
	s_mov_b32 s25, 0
	s_branch .LBB30_50
.LBB30_49:
	s_mov_b32 s25, -1
                                        ; implicit-def: $vgpr0
.LBB30_50:
	s_mov_b32 s24, 0
.LBB30_51:
	s_delay_alu instid0(SALU_CYCLE_1)
	s_and_b32 vcc_lo, exec_lo, s24
	s_cbranch_vccz .LBB30_67
; %bb.52:
	s_cmp_lt_i32 s21, 27
	s_cbranch_scc1 .LBB30_55
; %bb.53:
	s_cmp_gt_i32 s21, 27
	s_cbranch_scc0 .LBB30_56
; %bb.54:
	s_wait_loadcnt 0x0
	global_load_b32 v0, v[2:3], off
	s_mov_b32 s23, 0
	s_branch .LBB30_57
.LBB30_55:
	s_mov_b32 s23, -1
                                        ; implicit-def: $vgpr0
	s_branch .LBB30_60
.LBB30_56:
	s_mov_b32 s23, -1
                                        ; implicit-def: $vgpr0
.LBB30_57:
	s_delay_alu instid0(SALU_CYCLE_1)
	s_and_not1_b32 vcc_lo, exec_lo, s23
	s_cbranch_vccnz .LBB30_59
; %bb.58:
	s_wait_loadcnt 0x0
	global_load_u16 v0, v[2:3], off
.LBB30_59:
	s_mov_b32 s23, 0
.LBB30_60:
	s_delay_alu instid0(SALU_CYCLE_1)
	s_and_not1_b32 vcc_lo, exec_lo, s23
	s_cbranch_vccnz .LBB30_66
; %bb.61:
	s_wait_loadcnt 0x0
	global_load_u8 v1, v[2:3], off
	s_mov_b32 s24, 0
	s_mov_b32 s23, exec_lo
	s_wait_loadcnt 0x0
	v_cmpx_lt_i16_e32 0x7f, v1
	s_xor_b32 s23, exec_lo, s23
	s_cbranch_execz .LBB30_77
; %bb.62:
	v_cmp_ne_u16_e32 vcc_lo, 0x80, v1
	s_and_b32 s24, vcc_lo, exec_lo
	s_and_not1_saveexec_b32 s23, s23
	s_cbranch_execnz .LBB30_78
.LBB30_63:
	s_or_b32 exec_lo, exec_lo, s23
	v_mov_b32_e32 v0, 0
	s_and_saveexec_b32 s23, s24
	s_cbranch_execz .LBB30_65
.LBB30_64:
	v_and_b32_e32 v0, 0xffff, v1
	s_delay_alu instid0(VALU_DEP_1) | instskip(SKIP_1) | instid1(VALU_DEP_2)
	v_and_b32_e32 v4, 7, v0
	v_bfe_u32 v7, v0, 3, 4
	v_clz_i32_u32_e32 v5, v4
	s_delay_alu instid0(VALU_DEP_2) | instskip(NEXT) | instid1(VALU_DEP_2)
	v_cmp_eq_u32_e32 vcc_lo, 0, v7
	v_min_u32_e32 v5, 32, v5
	s_delay_alu instid0(VALU_DEP_1) | instskip(NEXT) | instid1(VALU_DEP_1)
	v_subrev_nc_u32_e32 v6, 28, v5
	v_dual_lshlrev_b32 v0, v6, v0 :: v_dual_sub_nc_u32 v5, 29, v5
	s_delay_alu instid0(VALU_DEP_1) | instskip(NEXT) | instid1(VALU_DEP_1)
	v_dual_lshlrev_b32 v1, 24, v1 :: v_dual_bitop2_b32 v0, 7, v0 bitop3:0x40
	v_dual_cndmask_b32 v0, v4, v0 :: v_dual_cndmask_b32 v5, v7, v5
	s_delay_alu instid0(VALU_DEP_2) | instskip(NEXT) | instid1(VALU_DEP_2)
	v_and_b32_e32 v1, 0x80000000, v1
	v_lshlrev_b32_e32 v0, 20, v0
	s_delay_alu instid0(VALU_DEP_3) | instskip(NEXT) | instid1(VALU_DEP_1)
	v_lshl_add_u32 v4, v5, 23, 0x3b800000
	v_or3_b32 v0, v1, v4, v0
	s_delay_alu instid0(VALU_DEP_1) | instskip(NEXT) | instid1(VALU_DEP_1)
	v_trunc_f32_e32 v0, v0
	v_mul_f32_e64 v1, 0x2f800000, |v0|
	s_delay_alu instid0(VALU_DEP_1) | instskip(NEXT) | instid1(VALU_DEP_1)
	v_floor_f32_e32 v1, v1
	v_fma_f32 v1, 0xcf800000, v1, |v0|
	v_ashrrev_i32_e32 v0, 31, v0
	s_delay_alu instid0(VALU_DEP_2) | instskip(NEXT) | instid1(VALU_DEP_1)
	v_cvt_u32_f32_e32 v1, v1
	v_xor_b32_e32 v1, v1, v0
	s_delay_alu instid0(VALU_DEP_1)
	v_sub_nc_u32_e32 v0, v1, v0
.LBB30_65:
	s_or_b32 exec_lo, exec_lo, s23
.LBB30_66:
	s_mov_b32 s23, -1
.LBB30_67:
	s_branch .LBB30_100
.LBB30_68:
	s_cmp_gt_i32 s21, 22
	s_cbranch_scc0 .LBB30_76
; %bb.69:
	s_cmp_lt_i32 s21, 24
	s_cbranch_scc1 .LBB30_79
; %bb.70:
	s_cmp_gt_i32 s21, 24
	s_cbranch_scc0 .LBB30_80
; %bb.71:
	s_wait_loadcnt 0x0
	global_load_u8 v1, v[2:3], off
	s_mov_b32 s24, 0
	s_mov_b32 s23, exec_lo
	s_wait_loadcnt 0x0
	v_cmpx_lt_i16_e32 0x7f, v1
	s_xor_b32 s23, exec_lo, s23
	s_cbranch_execz .LBB30_92
; %bb.72:
	v_cmp_ne_u16_e32 vcc_lo, 0x80, v1
	s_and_b32 s24, vcc_lo, exec_lo
	s_and_not1_saveexec_b32 s23, s23
	s_cbranch_execnz .LBB30_93
.LBB30_73:
	s_or_b32 exec_lo, exec_lo, s23
	v_mov_b32_e32 v0, 0
	s_and_saveexec_b32 s23, s24
	s_cbranch_execz .LBB30_75
.LBB30_74:
	v_and_b32_e32 v0, 0xffff, v1
	s_delay_alu instid0(VALU_DEP_1) | instskip(SKIP_1) | instid1(VALU_DEP_2)
	v_and_b32_e32 v4, 3, v0
	v_bfe_u32 v7, v0, 2, 5
	v_clz_i32_u32_e32 v5, v4
	s_delay_alu instid0(VALU_DEP_2) | instskip(NEXT) | instid1(VALU_DEP_2)
	v_cmp_eq_u32_e32 vcc_lo, 0, v7
	v_min_u32_e32 v5, 32, v5
	s_delay_alu instid0(VALU_DEP_1) | instskip(NEXT) | instid1(VALU_DEP_1)
	v_subrev_nc_u32_e32 v6, 29, v5
	v_dual_lshlrev_b32 v0, v6, v0 :: v_dual_sub_nc_u32 v5, 30, v5
	s_delay_alu instid0(VALU_DEP_1) | instskip(NEXT) | instid1(VALU_DEP_1)
	v_dual_lshlrev_b32 v1, 24, v1 :: v_dual_bitop2_b32 v0, 3, v0 bitop3:0x40
	v_dual_cndmask_b32 v0, v4, v0 :: v_dual_cndmask_b32 v5, v7, v5
	s_delay_alu instid0(VALU_DEP_2) | instskip(NEXT) | instid1(VALU_DEP_2)
	v_and_b32_e32 v1, 0x80000000, v1
	v_lshlrev_b32_e32 v0, 21, v0
	s_delay_alu instid0(VALU_DEP_3) | instskip(NEXT) | instid1(VALU_DEP_1)
	v_lshl_add_u32 v4, v5, 23, 0x37800000
	v_or3_b32 v0, v1, v4, v0
	s_delay_alu instid0(VALU_DEP_1) | instskip(NEXT) | instid1(VALU_DEP_1)
	v_trunc_f32_e32 v0, v0
	v_mul_f32_e64 v1, 0x2f800000, |v0|
	s_delay_alu instid0(VALU_DEP_1) | instskip(NEXT) | instid1(VALU_DEP_1)
	v_floor_f32_e32 v1, v1
	v_fma_f32 v1, 0xcf800000, v1, |v0|
	v_ashrrev_i32_e32 v0, 31, v0
	s_delay_alu instid0(VALU_DEP_2) | instskip(NEXT) | instid1(VALU_DEP_1)
	v_cvt_u32_f32_e32 v1, v1
	v_xor_b32_e32 v1, v1, v0
	s_delay_alu instid0(VALU_DEP_1)
	v_sub_nc_u32_e32 v0, v1, v0
.LBB30_75:
	s_or_b32 exec_lo, exec_lo, s23
	s_mov_b32 s23, 0
	s_branch .LBB30_81
.LBB30_76:
	s_mov_b32 s24, -1
                                        ; implicit-def: $vgpr0
	s_branch .LBB30_87
.LBB30_77:
	s_and_not1_saveexec_b32 s23, s23
	s_cbranch_execz .LBB30_63
.LBB30_78:
	v_cmp_ne_u16_e32 vcc_lo, 0, v1
	s_and_not1_b32 s24, s24, exec_lo
	s_and_b32 s28, vcc_lo, exec_lo
	s_delay_alu instid0(SALU_CYCLE_1)
	s_or_b32 s24, s24, s28
	s_or_b32 exec_lo, exec_lo, s23
	v_mov_b32_e32 v0, 0
	s_and_saveexec_b32 s23, s24
	s_cbranch_execnz .LBB30_64
	s_branch .LBB30_65
.LBB30_79:
	s_mov_b32 s23, -1
                                        ; implicit-def: $vgpr0
	s_branch .LBB30_84
.LBB30_80:
	s_mov_b32 s23, -1
                                        ; implicit-def: $vgpr0
.LBB30_81:
	s_delay_alu instid0(SALU_CYCLE_1)
	s_and_b32 vcc_lo, exec_lo, s23
	s_cbranch_vccz .LBB30_83
; %bb.82:
	s_wait_loadcnt 0x0
	global_load_u8 v0, v[2:3], off
	s_wait_loadcnt 0x0
	v_lshlrev_b32_e32 v0, 24, v0
	s_delay_alu instid0(VALU_DEP_1) | instskip(NEXT) | instid1(VALU_DEP_1)
	v_and_b32_e32 v1, 0x7f000000, v0
	v_clz_i32_u32_e32 v4, v1
	v_cmp_ne_u32_e32 vcc_lo, 0, v1
	v_add_nc_u32_e32 v6, 0x1000000, v1
	s_delay_alu instid0(VALU_DEP_3) | instskip(NEXT) | instid1(VALU_DEP_1)
	v_min_u32_e32 v4, 32, v4
	v_sub_nc_u32_e64 v4, v4, 4 clamp
	s_delay_alu instid0(VALU_DEP_1) | instskip(NEXT) | instid1(VALU_DEP_1)
	v_dual_lshlrev_b32 v5, v4, v1 :: v_dual_lshlrev_b32 v4, 23, v4
	v_lshrrev_b32_e32 v5, 4, v5
	s_delay_alu instid0(VALU_DEP_1) | instskip(NEXT) | instid1(VALU_DEP_1)
	v_dual_sub_nc_u32 v4, v5, v4 :: v_dual_ashrrev_i32 v5, 8, v6
	v_add_nc_u32_e32 v4, 0x3c000000, v4
	s_delay_alu instid0(VALU_DEP_1) | instskip(NEXT) | instid1(VALU_DEP_1)
	v_and_or_b32 v4, 0x7f800000, v5, v4
	v_cndmask_b32_e32 v1, 0, v4, vcc_lo
	s_delay_alu instid0(VALU_DEP_1) | instskip(NEXT) | instid1(VALU_DEP_1)
	v_and_or_b32 v0, 0x80000000, v0, v1
	v_trunc_f32_e32 v0, v0
	s_delay_alu instid0(VALU_DEP_1) | instskip(NEXT) | instid1(VALU_DEP_1)
	v_mul_f32_e64 v1, 0x2f800000, |v0|
	v_floor_f32_e32 v1, v1
	s_delay_alu instid0(VALU_DEP_1) | instskip(SKIP_1) | instid1(VALU_DEP_2)
	v_fma_f32 v1, 0xcf800000, v1, |v0|
	v_ashrrev_i32_e32 v0, 31, v0
	v_cvt_u32_f32_e32 v1, v1
	s_delay_alu instid0(VALU_DEP_1) | instskip(NEXT) | instid1(VALU_DEP_1)
	v_xor_b32_e32 v1, v1, v0
	v_sub_nc_u32_e32 v0, v1, v0
.LBB30_83:
	s_mov_b32 s23, 0
.LBB30_84:
	s_delay_alu instid0(SALU_CYCLE_1)
	s_and_not1_b32 vcc_lo, exec_lo, s23
	s_cbranch_vccnz .LBB30_86
; %bb.85:
	s_wait_loadcnt 0x0
	global_load_u8 v0, v[2:3], off
	s_wait_loadcnt 0x0
	v_lshlrev_b32_e32 v1, 25, v0
	v_lshlrev_b16 v0, 8, v0
	s_delay_alu instid0(VALU_DEP_1) | instskip(SKIP_1) | instid1(VALU_DEP_2)
	v_and_or_b32 v5, 0x7f00, v0, 0.5
	v_bfe_i32 v0, v0, 0, 16
	v_add_f32_e32 v5, -0.5, v5
	v_lshrrev_b32_e32 v4, 4, v1
	v_cmp_gt_u32_e32 vcc_lo, 0x8000000, v1
	s_delay_alu instid0(VALU_DEP_2) | instskip(NEXT) | instid1(VALU_DEP_1)
	v_or_b32_e32 v4, 0x70000000, v4
	v_mul_f32_e32 v4, 0x7800000, v4
	s_delay_alu instid0(VALU_DEP_1) | instskip(NEXT) | instid1(VALU_DEP_1)
	v_cndmask_b32_e32 v1, v4, v5, vcc_lo
	v_and_or_b32 v0, 0x80000000, v0, v1
	s_delay_alu instid0(VALU_DEP_1) | instskip(NEXT) | instid1(VALU_DEP_1)
	v_trunc_f32_e32 v0, v0
	v_mul_f32_e64 v1, 0x2f800000, |v0|
	s_delay_alu instid0(VALU_DEP_1) | instskip(NEXT) | instid1(VALU_DEP_1)
	v_floor_f32_e32 v1, v1
	v_fma_f32 v1, 0xcf800000, v1, |v0|
	v_ashrrev_i32_e32 v0, 31, v0
	s_delay_alu instid0(VALU_DEP_2) | instskip(NEXT) | instid1(VALU_DEP_1)
	v_cvt_u32_f32_e32 v1, v1
	v_xor_b32_e32 v1, v1, v0
	s_delay_alu instid0(VALU_DEP_1)
	v_sub_nc_u32_e32 v0, v1, v0
.LBB30_86:
	s_mov_b32 s24, 0
	s_mov_b32 s23, -1
.LBB30_87:
	s_and_not1_b32 vcc_lo, exec_lo, s24
	s_cbranch_vccnz .LBB30_100
; %bb.88:
	s_cmp_gt_i32 s21, 14
	s_cbranch_scc0 .LBB30_91
; %bb.89:
	s_cmp_eq_u32 s21, 15
	s_cbranch_scc0 .LBB30_94
; %bb.90:
	s_wait_loadcnt 0x0
	global_load_u16 v0, v[2:3], off
	s_mov_b32 s23, -1
	s_mov_b32 s25, 0
	s_wait_loadcnt 0x0
	v_lshlrev_b32_e32 v0, 16, v0
	s_delay_alu instid0(VALU_DEP_1) | instskip(NEXT) | instid1(VALU_DEP_1)
	v_trunc_f32_e32 v0, v0
	v_mul_f32_e64 v1, 0x2f800000, |v0|
	s_delay_alu instid0(VALU_DEP_1) | instskip(NEXT) | instid1(VALU_DEP_1)
	v_floor_f32_e32 v1, v1
	v_fma_f32 v1, 0xcf800000, v1, |v0|
	v_ashrrev_i32_e32 v0, 31, v0
	s_delay_alu instid0(VALU_DEP_2) | instskip(NEXT) | instid1(VALU_DEP_1)
	v_cvt_u32_f32_e32 v1, v1
	v_xor_b32_e32 v1, v1, v0
	s_delay_alu instid0(VALU_DEP_1)
	v_sub_nc_u32_e32 v0, v1, v0
	s_branch .LBB30_95
.LBB30_91:
	s_mov_b32 s24, -1
                                        ; implicit-def: $vgpr0
	s_branch .LBB30_96
.LBB30_92:
	s_and_not1_saveexec_b32 s23, s23
	s_cbranch_execz .LBB30_73
.LBB30_93:
	v_cmp_ne_u16_e32 vcc_lo, 0, v1
	s_and_not1_b32 s24, s24, exec_lo
	s_and_b32 s28, vcc_lo, exec_lo
	s_delay_alu instid0(SALU_CYCLE_1)
	s_or_b32 s24, s24, s28
	s_or_b32 exec_lo, exec_lo, s23
	v_mov_b32_e32 v0, 0
	s_and_saveexec_b32 s23, s24
	s_cbranch_execnz .LBB30_74
	s_branch .LBB30_75
.LBB30_94:
	s_mov_b32 s25, -1
                                        ; implicit-def: $vgpr0
.LBB30_95:
	s_mov_b32 s24, 0
.LBB30_96:
	s_delay_alu instid0(SALU_CYCLE_1)
	s_and_b32 vcc_lo, exec_lo, s24
	s_cbranch_vccz .LBB30_100
; %bb.97:
	s_cmp_eq_u32 s21, 11
	s_cbranch_scc0 .LBB30_99
; %bb.98:
	s_wait_loadcnt 0x0
	global_load_u8 v0, v[2:3], off
	s_mov_b32 s25, 0
	s_mov_b32 s23, -1
	s_wait_loadcnt 0x0
	v_cmp_ne_u16_e32 vcc_lo, 0, v0
	v_cndmask_b32_e64 v0, 0, 1, vcc_lo
	s_branch .LBB30_100
.LBB30_99:
	s_mov_b32 s25, -1
                                        ; implicit-def: $vgpr0
.LBB30_100:
	s_branch .LBB30_10
.LBB30_101:
	s_and_b32 s0, 0xffff, s0
	s_delay_alu instid0(SALU_CYCLE_1)
	s_cmp_lt_i32 s0, 5
	s_cbranch_scc1 .LBB30_106
; %bb.102:
	s_cmp_lt_i32 s0, 8
	s_cbranch_scc1 .LBB30_107
; %bb.103:
	;; [unrolled: 3-line block ×3, first 2 shown]
	s_cmp_gt_i32 s0, 9
	s_cbranch_scc0 .LBB30_109
; %bb.105:
	s_wait_loadcnt 0x0
	global_load_b64 v[0:1], v[2:3], off
	s_mov_b32 s21, 0
	s_wait_loadcnt 0x0
	v_trunc_f64_e32 v[0:1], v[0:1]
	s_delay_alu instid0(VALU_DEP_1) | instskip(NEXT) | instid1(VALU_DEP_1)
	v_ldexp_f64 v[4:5], v[0:1], 0xffffffe0
	v_floor_f64_e32 v[4:5], v[4:5]
	s_delay_alu instid0(VALU_DEP_1) | instskip(NEXT) | instid1(VALU_DEP_1)
	v_fmamk_f64 v[0:1], v[4:5], 0xc1f00000, v[0:1]
	v_cvt_u32_f64_e32 v0, v[0:1]
	s_branch .LBB30_110
.LBB30_106:
                                        ; implicit-def: $vgpr0
	s_branch .LBB30_128
.LBB30_107:
	s_mov_b32 s21, -1
                                        ; implicit-def: $vgpr0
	s_branch .LBB30_116
.LBB30_108:
	s_mov_b32 s21, -1
                                        ; implicit-def: $vgpr0
	s_branch .LBB30_113
.LBB30_109:
	s_mov_b32 s21, -1
                                        ; implicit-def: $vgpr0
.LBB30_110:
	s_delay_alu instid0(SALU_CYCLE_1)
	s_and_not1_b32 vcc_lo, exec_lo, s21
	s_cbranch_vccnz .LBB30_112
; %bb.111:
	s_wait_loadcnt 0x0
	global_load_b32 v0, v[2:3], off
	s_wait_loadcnt 0x0
	v_trunc_f32_e32 v0, v0
	s_delay_alu instid0(VALU_DEP_1) | instskip(NEXT) | instid1(VALU_DEP_1)
	v_mul_f32_e64 v1, 0x2f800000, |v0|
	v_floor_f32_e32 v1, v1
	s_delay_alu instid0(VALU_DEP_1) | instskip(SKIP_1) | instid1(VALU_DEP_2)
	v_fma_f32 v1, 0xcf800000, v1, |v0|
	v_ashrrev_i32_e32 v0, 31, v0
	v_cvt_u32_f32_e32 v1, v1
	s_delay_alu instid0(VALU_DEP_1) | instskip(NEXT) | instid1(VALU_DEP_1)
	v_xor_b32_e32 v1, v1, v0
	v_sub_nc_u32_e32 v0, v1, v0
.LBB30_112:
	s_mov_b32 s21, 0
.LBB30_113:
	s_delay_alu instid0(SALU_CYCLE_1)
	s_and_not1_b32 vcc_lo, exec_lo, s21
	s_cbranch_vccnz .LBB30_115
; %bb.114:
	s_wait_loadcnt 0x0
	global_load_b32 v0, v[2:3], off
	s_wait_loadcnt 0x0
	v_cvt_f32_f16_e32 v0, v0
	s_delay_alu instid0(VALU_DEP_1)
	v_cvt_i32_f32_e32 v0, v0
.LBB30_115:
	s_mov_b32 s21, 0
.LBB30_116:
	s_delay_alu instid0(SALU_CYCLE_1)
	s_and_not1_b32 vcc_lo, exec_lo, s21
	s_cbranch_vccnz .LBB30_127
; %bb.117:
	s_cmp_lt_i32 s0, 6
	s_cbranch_scc1 .LBB30_120
; %bb.118:
	s_cmp_gt_i32 s0, 6
	s_cbranch_scc0 .LBB30_121
; %bb.119:
	s_wait_loadcnt 0x0
	global_load_b64 v[0:1], v[2:3], off
	s_mov_b32 s21, 0
	s_wait_loadcnt 0x0
	v_trunc_f64_e32 v[0:1], v[0:1]
	s_delay_alu instid0(VALU_DEP_1) | instskip(NEXT) | instid1(VALU_DEP_1)
	v_ldexp_f64 v[4:5], v[0:1], 0xffffffe0
	v_floor_f64_e32 v[4:5], v[4:5]
	s_delay_alu instid0(VALU_DEP_1) | instskip(NEXT) | instid1(VALU_DEP_1)
	v_fmamk_f64 v[0:1], v[4:5], 0xc1f00000, v[0:1]
	v_cvt_u32_f64_e32 v0, v[0:1]
	s_branch .LBB30_122
.LBB30_120:
	s_mov_b32 s21, -1
                                        ; implicit-def: $vgpr0
	s_branch .LBB30_125
.LBB30_121:
	s_mov_b32 s21, -1
                                        ; implicit-def: $vgpr0
.LBB30_122:
	s_delay_alu instid0(SALU_CYCLE_1)
	s_and_not1_b32 vcc_lo, exec_lo, s21
	s_cbranch_vccnz .LBB30_124
; %bb.123:
	s_wait_loadcnt 0x0
	global_load_b32 v0, v[2:3], off
	s_wait_loadcnt 0x0
	v_trunc_f32_e32 v0, v0
	s_delay_alu instid0(VALU_DEP_1) | instskip(NEXT) | instid1(VALU_DEP_1)
	v_mul_f32_e64 v1, 0x2f800000, |v0|
	v_floor_f32_e32 v1, v1
	s_delay_alu instid0(VALU_DEP_1) | instskip(SKIP_1) | instid1(VALU_DEP_2)
	v_fma_f32 v1, 0xcf800000, v1, |v0|
	v_ashrrev_i32_e32 v0, 31, v0
	v_cvt_u32_f32_e32 v1, v1
	s_delay_alu instid0(VALU_DEP_1) | instskip(NEXT) | instid1(VALU_DEP_1)
	v_xor_b32_e32 v1, v1, v0
	v_sub_nc_u32_e32 v0, v1, v0
.LBB30_124:
	s_mov_b32 s21, 0
.LBB30_125:
	s_delay_alu instid0(SALU_CYCLE_1)
	s_and_not1_b32 vcc_lo, exec_lo, s21
	s_cbranch_vccnz .LBB30_127
; %bb.126:
	s_wait_loadcnt 0x0
	global_load_u16 v0, v[2:3], off
	s_wait_loadcnt 0x0
	v_cvt_f32_f16_e32 v0, v0
	s_delay_alu instid0(VALU_DEP_1)
	v_cvt_i32_f32_e32 v0, v0
.LBB30_127:
	s_cbranch_execnz .LBB30_147
.LBB30_128:
	s_cmp_lt_i32 s0, 2
	s_cbranch_scc1 .LBB30_132
; %bb.129:
	s_cmp_lt_i32 s0, 3
	s_cbranch_scc1 .LBB30_133
; %bb.130:
	s_cmp_gt_i32 s0, 3
	s_cbranch_scc0 .LBB30_134
; %bb.131:
	s_wait_loadcnt 0x0
	global_load_b64 v[0:1], v[2:3], off
	s_mov_b32 s21, 0
	s_branch .LBB30_135
.LBB30_132:
	s_mov_b32 s21, -1
                                        ; implicit-def: $vgpr0
	s_branch .LBB30_141
.LBB30_133:
	s_mov_b32 s21, -1
                                        ; implicit-def: $vgpr0
	s_branch .LBB30_138
.LBB30_134:
	s_mov_b32 s21, -1
                                        ; implicit-def: $vgpr0
.LBB30_135:
	s_delay_alu instid0(SALU_CYCLE_1)
	s_and_not1_b32 vcc_lo, exec_lo, s21
	s_cbranch_vccnz .LBB30_137
; %bb.136:
	s_wait_loadcnt 0x0
	global_load_b32 v0, v[2:3], off
.LBB30_137:
	s_mov_b32 s21, 0
.LBB30_138:
	s_delay_alu instid0(SALU_CYCLE_1)
	s_and_not1_b32 vcc_lo, exec_lo, s21
	s_cbranch_vccnz .LBB30_140
; %bb.139:
	s_wait_loadcnt 0x0
	global_load_u16 v0, v[2:3], off
.LBB30_140:
	s_mov_b32 s21, 0
.LBB30_141:
	s_delay_alu instid0(SALU_CYCLE_1)
	s_and_not1_b32 vcc_lo, exec_lo, s21
	s_cbranch_vccnz .LBB30_147
; %bb.142:
	s_cmp_gt_i32 s0, 0
	s_mov_b32 s0, 0
	s_cbranch_scc0 .LBB30_144
; %bb.143:
	s_wait_loadcnt 0x0
	global_load_u8 v0, v[2:3], off
	s_branch .LBB30_145
.LBB30_144:
	s_mov_b32 s0, -1
                                        ; implicit-def: $vgpr0
.LBB30_145:
	s_delay_alu instid0(SALU_CYCLE_1)
	s_and_not1_b32 vcc_lo, exec_lo, s0
	s_cbranch_vccnz .LBB30_147
; %bb.146:
	s_wait_loadcnt 0x0
	global_load_u8 v0, v[2:3], off
.LBB30_147:
	s_branch .LBB30_11
.LBB30_148:
	s_mov_b32 s0, 0
	s_mov_b32 s23, 0
	;; [unrolled: 1-line block ×3, first 2 shown]
	s_branch .LBB30_498
.LBB30_149:
	s_mov_b32 s24, -1
.LBB30_150:
	s_mov_b32 s23, 0
                                        ; implicit-def: $vgpr2
.LBB30_151:
	s_and_b32 vcc_lo, exec_lo, s28
	s_cbranch_vccz .LBB30_156
; %bb.152:
	s_cmp_eq_u32 s21, 44
	s_cbranch_scc0 .LBB30_155
; %bb.153:
	s_wait_loadcnt 0x0
	global_load_u8 v1, v[4:5], off
	s_mov_b32 s24, 0
	s_mov_b32 s23, -1
	s_wait_loadcnt 0x0
	v_lshlrev_b32_e32 v2, 23, v1
	v_cmp_ne_u32_e32 vcc_lo, 0, v1
	s_delay_alu instid0(VALU_DEP_2) | instskip(NEXT) | instid1(VALU_DEP_1)
	v_trunc_f32_e32 v2, v2
	v_mul_f32_e64 v3, 0x2f800000, |v2|
	s_delay_alu instid0(VALU_DEP_1) | instskip(NEXT) | instid1(VALU_DEP_1)
	v_floor_f32_e32 v3, v3
	v_fma_f32 v3, 0xcf800000, v3, |v2|
	v_ashrrev_i32_e32 v2, 31, v2
	s_delay_alu instid0(VALU_DEP_2) | instskip(NEXT) | instid1(VALU_DEP_1)
	v_cvt_u32_f32_e32 v3, v3
	v_xor_b32_e32 v3, v3, v2
	s_delay_alu instid0(VALU_DEP_1) | instskip(NEXT) | instid1(VALU_DEP_1)
	v_sub_nc_u32_e32 v2, v3, v2
	v_cndmask_b32_e32 v2, 0, v2, vcc_lo
	s_branch .LBB30_156
.LBB30_154:
	s_mov_b32 s29, -1
	s_mov_b32 s23, 0
	s_branch .LBB30_263
.LBB30_155:
	s_mov_b32 s24, -1
                                        ; implicit-def: $vgpr2
.LBB30_156:
	s_mov_b32 s28, 0
.LBB30_157:
	s_delay_alu instid0(SALU_CYCLE_1)
	s_and_b32 vcc_lo, exec_lo, s28
	s_cbranch_vccz .LBB30_161
; %bb.158:
	s_cmp_eq_u32 s21, 29
	s_cbranch_scc0 .LBB30_160
; %bb.159:
	global_load_b64 v[2:3], v[4:5], off
	s_mov_b32 s23, -1
	s_mov_b32 s24, 0
	s_branch .LBB30_161
.LBB30_160:
	s_mov_b32 s24, -1
                                        ; implicit-def: $vgpr2
.LBB30_161:
	s_mov_b32 s28, 0
.LBB30_162:
	s_delay_alu instid0(SALU_CYCLE_1)
	s_and_b32 vcc_lo, exec_lo, s28
	s_cbranch_vccz .LBB30_178
; %bb.163:
	s_cmp_lt_i32 s21, 27
	s_cbranch_scc1 .LBB30_166
; %bb.164:
	s_cmp_gt_i32 s21, 27
	s_cbranch_scc0 .LBB30_167
; %bb.165:
	s_wait_loadcnt 0x0
	global_load_b32 v2, v[4:5], off
	s_mov_b32 s23, 0
	s_branch .LBB30_168
.LBB30_166:
	s_mov_b32 s23, -1
                                        ; implicit-def: $vgpr2
	s_branch .LBB30_171
.LBB30_167:
	s_mov_b32 s23, -1
                                        ; implicit-def: $vgpr2
.LBB30_168:
	s_delay_alu instid0(SALU_CYCLE_1)
	s_and_not1_b32 vcc_lo, exec_lo, s23
	s_cbranch_vccnz .LBB30_170
; %bb.169:
	s_wait_loadcnt 0x0
	global_load_u16 v2, v[4:5], off
.LBB30_170:
	s_mov_b32 s23, 0
.LBB30_171:
	s_delay_alu instid0(SALU_CYCLE_1)
	s_and_not1_b32 vcc_lo, exec_lo, s23
	s_cbranch_vccnz .LBB30_177
; %bb.172:
	s_wait_loadcnt 0x0
	global_load_u8 v1, v[4:5], off
	s_mov_b32 s28, 0
	s_mov_b32 s23, exec_lo
	s_wait_loadcnt 0x0
	v_cmpx_lt_i16_e32 0x7f, v1
	s_xor_b32 s23, exec_lo, s23
	s_cbranch_execz .LBB30_189
; %bb.173:
	v_cmp_ne_u16_e32 vcc_lo, 0x80, v1
	s_and_b32 s28, vcc_lo, exec_lo
	s_and_not1_saveexec_b32 s23, s23
	s_cbranch_execnz .LBB30_190
.LBB30_174:
	s_or_b32 exec_lo, exec_lo, s23
	v_mov_b32_e32 v2, 0
	s_and_saveexec_b32 s23, s28
	s_cbranch_execz .LBB30_176
.LBB30_175:
	v_and_b32_e32 v2, 0xffff, v1
	s_delay_alu instid0(VALU_DEP_1) | instskip(SKIP_1) | instid1(VALU_DEP_2)
	v_dual_lshlrev_b32 v1, 24, v1 :: v_dual_bitop2_b32 v3, 7, v2 bitop3:0x40
	v_bfe_u32 v8, v2, 3, 4
	v_and_b32_e32 v1, 0x80000000, v1
	s_delay_alu instid0(VALU_DEP_3) | instskip(NEXT) | instid1(VALU_DEP_3)
	v_clz_i32_u32_e32 v6, v3
	v_cmp_eq_u32_e32 vcc_lo, 0, v8
	s_delay_alu instid0(VALU_DEP_2) | instskip(NEXT) | instid1(VALU_DEP_1)
	v_min_u32_e32 v6, 32, v6
	v_subrev_nc_u32_e32 v7, 28, v6
	v_sub_nc_u32_e32 v6, 29, v6
	s_delay_alu instid0(VALU_DEP_2) | instskip(NEXT) | instid1(VALU_DEP_2)
	v_lshlrev_b32_e32 v2, v7, v2
	v_cndmask_b32_e32 v6, v8, v6, vcc_lo
	s_delay_alu instid0(VALU_DEP_2) | instskip(NEXT) | instid1(VALU_DEP_1)
	v_and_b32_e32 v2, 7, v2
	v_cndmask_b32_e32 v2, v3, v2, vcc_lo
	s_delay_alu instid0(VALU_DEP_3) | instskip(NEXT) | instid1(VALU_DEP_2)
	v_lshl_add_u32 v3, v6, 23, 0x3b800000
	v_lshlrev_b32_e32 v2, 20, v2
	s_delay_alu instid0(VALU_DEP_1) | instskip(NEXT) | instid1(VALU_DEP_1)
	v_or3_b32 v1, v1, v3, v2
	v_trunc_f32_e32 v1, v1
	s_delay_alu instid0(VALU_DEP_1) | instskip(NEXT) | instid1(VALU_DEP_1)
	v_mul_f32_e64 v2, 0x2f800000, |v1|
	v_floor_f32_e32 v2, v2
	s_delay_alu instid0(VALU_DEP_1) | instskip(SKIP_1) | instid1(VALU_DEP_2)
	v_fma_f32 v2, 0xcf800000, v2, |v1|
	v_ashrrev_i32_e32 v1, 31, v1
	v_cvt_u32_f32_e32 v2, v2
	s_delay_alu instid0(VALU_DEP_1) | instskip(NEXT) | instid1(VALU_DEP_1)
	v_xor_b32_e32 v2, v2, v1
	v_sub_nc_u32_e32 v2, v2, v1
.LBB30_176:
	s_or_b32 exec_lo, exec_lo, s23
.LBB30_177:
	s_mov_b32 s23, -1
.LBB30_178:
	s_mov_b32 s28, 0
.LBB30_179:
	s_delay_alu instid0(SALU_CYCLE_1)
	s_and_b32 vcc_lo, exec_lo, s28
	s_cbranch_vccz .LBB30_212
; %bb.180:
	s_cmp_gt_i32 s21, 22
	s_cbranch_scc0 .LBB30_188
; %bb.181:
	s_cmp_lt_i32 s21, 24
	s_cbranch_scc1 .LBB30_191
; %bb.182:
	s_cmp_gt_i32 s21, 24
	s_cbranch_scc0 .LBB30_192
; %bb.183:
	s_wait_loadcnt 0x0
	global_load_u8 v1, v[4:5], off
	s_mov_b32 s28, 0
	s_mov_b32 s23, exec_lo
	s_wait_loadcnt 0x0
	v_cmpx_lt_i16_e32 0x7f, v1
	s_xor_b32 s23, exec_lo, s23
	s_cbranch_execz .LBB30_204
; %bb.184:
	v_cmp_ne_u16_e32 vcc_lo, 0x80, v1
	s_and_b32 s28, vcc_lo, exec_lo
	s_and_not1_saveexec_b32 s23, s23
	s_cbranch_execnz .LBB30_205
.LBB30_185:
	s_or_b32 exec_lo, exec_lo, s23
	v_mov_b32_e32 v2, 0
	s_and_saveexec_b32 s23, s28
	s_cbranch_execz .LBB30_187
.LBB30_186:
	v_and_b32_e32 v2, 0xffff, v1
	s_delay_alu instid0(VALU_DEP_1) | instskip(SKIP_1) | instid1(VALU_DEP_2)
	v_dual_lshlrev_b32 v1, 24, v1 :: v_dual_bitop2_b32 v3, 3, v2 bitop3:0x40
	v_bfe_u32 v8, v2, 2, 5
	v_and_b32_e32 v1, 0x80000000, v1
	s_delay_alu instid0(VALU_DEP_3) | instskip(NEXT) | instid1(VALU_DEP_3)
	v_clz_i32_u32_e32 v6, v3
	v_cmp_eq_u32_e32 vcc_lo, 0, v8
	s_delay_alu instid0(VALU_DEP_2) | instskip(NEXT) | instid1(VALU_DEP_1)
	v_min_u32_e32 v6, 32, v6
	v_subrev_nc_u32_e32 v7, 29, v6
	v_sub_nc_u32_e32 v6, 30, v6
	s_delay_alu instid0(VALU_DEP_2) | instskip(NEXT) | instid1(VALU_DEP_2)
	v_lshlrev_b32_e32 v2, v7, v2
	v_cndmask_b32_e32 v6, v8, v6, vcc_lo
	s_delay_alu instid0(VALU_DEP_2) | instskip(NEXT) | instid1(VALU_DEP_1)
	v_and_b32_e32 v2, 3, v2
	v_cndmask_b32_e32 v2, v3, v2, vcc_lo
	s_delay_alu instid0(VALU_DEP_3) | instskip(NEXT) | instid1(VALU_DEP_2)
	v_lshl_add_u32 v3, v6, 23, 0x37800000
	v_lshlrev_b32_e32 v2, 21, v2
	s_delay_alu instid0(VALU_DEP_1) | instskip(NEXT) | instid1(VALU_DEP_1)
	v_or3_b32 v1, v1, v3, v2
	v_trunc_f32_e32 v1, v1
	s_delay_alu instid0(VALU_DEP_1) | instskip(NEXT) | instid1(VALU_DEP_1)
	v_mul_f32_e64 v2, 0x2f800000, |v1|
	v_floor_f32_e32 v2, v2
	s_delay_alu instid0(VALU_DEP_1) | instskip(SKIP_1) | instid1(VALU_DEP_2)
	v_fma_f32 v2, 0xcf800000, v2, |v1|
	v_ashrrev_i32_e32 v1, 31, v1
	v_cvt_u32_f32_e32 v2, v2
	s_delay_alu instid0(VALU_DEP_1) | instskip(NEXT) | instid1(VALU_DEP_1)
	v_xor_b32_e32 v2, v2, v1
	v_sub_nc_u32_e32 v2, v2, v1
.LBB30_187:
	s_or_b32 exec_lo, exec_lo, s23
	s_mov_b32 s23, 0
	s_branch .LBB30_193
.LBB30_188:
	s_mov_b32 s28, -1
                                        ; implicit-def: $vgpr2
	s_branch .LBB30_199
.LBB30_189:
	s_and_not1_saveexec_b32 s23, s23
	s_cbranch_execz .LBB30_174
.LBB30_190:
	v_cmp_ne_u16_e32 vcc_lo, 0, v1
	s_and_not1_b32 s28, s28, exec_lo
	s_and_b32 s29, vcc_lo, exec_lo
	s_delay_alu instid0(SALU_CYCLE_1)
	s_or_b32 s28, s28, s29
	s_or_b32 exec_lo, exec_lo, s23
	v_mov_b32_e32 v2, 0
	s_and_saveexec_b32 s23, s28
	s_cbranch_execnz .LBB30_175
	s_branch .LBB30_176
.LBB30_191:
	s_mov_b32 s23, -1
                                        ; implicit-def: $vgpr2
	s_branch .LBB30_196
.LBB30_192:
	s_mov_b32 s23, -1
                                        ; implicit-def: $vgpr2
.LBB30_193:
	s_delay_alu instid0(SALU_CYCLE_1)
	s_and_b32 vcc_lo, exec_lo, s23
	s_cbranch_vccz .LBB30_195
; %bb.194:
	s_wait_loadcnt 0x0
	global_load_u8 v1, v[4:5], off
	s_wait_loadcnt 0x0
	v_lshlrev_b32_e32 v1, 24, v1
	s_delay_alu instid0(VALU_DEP_1) | instskip(NEXT) | instid1(VALU_DEP_1)
	v_and_b32_e32 v2, 0x7f000000, v1
	v_clz_i32_u32_e32 v3, v2
	v_cmp_ne_u32_e32 vcc_lo, 0, v2
	v_add_nc_u32_e32 v7, 0x1000000, v2
	s_delay_alu instid0(VALU_DEP_3) | instskip(NEXT) | instid1(VALU_DEP_1)
	v_min_u32_e32 v3, 32, v3
	v_sub_nc_u32_e64 v3, v3, 4 clamp
	s_delay_alu instid0(VALU_DEP_1) | instskip(NEXT) | instid1(VALU_DEP_1)
	v_dual_lshlrev_b32 v6, v3, v2 :: v_dual_lshlrev_b32 v3, 23, v3
	v_lshrrev_b32_e32 v6, 4, v6
	s_delay_alu instid0(VALU_DEP_1) | instskip(SKIP_1) | instid1(VALU_DEP_2)
	v_sub_nc_u32_e32 v3, v6, v3
	v_ashrrev_i32_e32 v6, 8, v7
	v_add_nc_u32_e32 v3, 0x3c000000, v3
	s_delay_alu instid0(VALU_DEP_1) | instskip(NEXT) | instid1(VALU_DEP_1)
	v_and_or_b32 v3, 0x7f800000, v6, v3
	v_cndmask_b32_e32 v2, 0, v3, vcc_lo
	s_delay_alu instid0(VALU_DEP_1) | instskip(NEXT) | instid1(VALU_DEP_1)
	v_and_or_b32 v1, 0x80000000, v1, v2
	v_trunc_f32_e32 v1, v1
	s_delay_alu instid0(VALU_DEP_1) | instskip(NEXT) | instid1(VALU_DEP_1)
	v_mul_f32_e64 v2, 0x2f800000, |v1|
	v_floor_f32_e32 v2, v2
	s_delay_alu instid0(VALU_DEP_1) | instskip(SKIP_1) | instid1(VALU_DEP_2)
	v_fma_f32 v2, 0xcf800000, v2, |v1|
	v_ashrrev_i32_e32 v1, 31, v1
	v_cvt_u32_f32_e32 v2, v2
	s_delay_alu instid0(VALU_DEP_1) | instskip(NEXT) | instid1(VALU_DEP_1)
	v_xor_b32_e32 v2, v2, v1
	v_sub_nc_u32_e32 v2, v2, v1
.LBB30_195:
	s_mov_b32 s23, 0
.LBB30_196:
	s_delay_alu instid0(SALU_CYCLE_1)
	s_and_not1_b32 vcc_lo, exec_lo, s23
	s_cbranch_vccnz .LBB30_198
; %bb.197:
	s_wait_loadcnt 0x0
	global_load_u8 v1, v[4:5], off
	s_wait_loadcnt 0x0
	v_lshlrev_b32_e32 v2, 25, v1
	v_lshlrev_b16 v1, 8, v1
	s_delay_alu instid0(VALU_DEP_1) | instskip(SKIP_1) | instid1(VALU_DEP_2)
	v_and_or_b32 v6, 0x7f00, v1, 0.5
	v_bfe_i32 v1, v1, 0, 16
	v_add_f32_e32 v6, -0.5, v6
	v_lshrrev_b32_e32 v3, 4, v2
	v_cmp_gt_u32_e32 vcc_lo, 0x8000000, v2
	s_delay_alu instid0(VALU_DEP_2) | instskip(NEXT) | instid1(VALU_DEP_1)
	v_or_b32_e32 v3, 0x70000000, v3
	v_mul_f32_e32 v3, 0x7800000, v3
	s_delay_alu instid0(VALU_DEP_1) | instskip(NEXT) | instid1(VALU_DEP_1)
	v_cndmask_b32_e32 v2, v3, v6, vcc_lo
	v_and_or_b32 v1, 0x80000000, v1, v2
	s_delay_alu instid0(VALU_DEP_1) | instskip(NEXT) | instid1(VALU_DEP_1)
	v_trunc_f32_e32 v1, v1
	v_mul_f32_e64 v2, 0x2f800000, |v1|
	s_delay_alu instid0(VALU_DEP_1) | instskip(NEXT) | instid1(VALU_DEP_1)
	v_floor_f32_e32 v2, v2
	v_fma_f32 v2, 0xcf800000, v2, |v1|
	v_ashrrev_i32_e32 v1, 31, v1
	s_delay_alu instid0(VALU_DEP_2) | instskip(NEXT) | instid1(VALU_DEP_1)
	v_cvt_u32_f32_e32 v2, v2
	v_xor_b32_e32 v2, v2, v1
	s_delay_alu instid0(VALU_DEP_1)
	v_sub_nc_u32_e32 v2, v2, v1
.LBB30_198:
	s_mov_b32 s28, 0
	s_mov_b32 s23, -1
.LBB30_199:
	s_and_not1_b32 vcc_lo, exec_lo, s28
	s_cbranch_vccnz .LBB30_212
; %bb.200:
	s_cmp_gt_i32 s21, 14
	s_cbranch_scc0 .LBB30_203
; %bb.201:
	s_cmp_eq_u32 s21, 15
	s_cbranch_scc0 .LBB30_206
; %bb.202:
	s_wait_loadcnt 0x0
	global_load_u16 v1, v[4:5], off
	s_mov_b32 s23, -1
	s_mov_b32 s24, 0
	s_wait_loadcnt 0x0
	v_lshlrev_b32_e32 v1, 16, v1
	s_delay_alu instid0(VALU_DEP_1) | instskip(NEXT) | instid1(VALU_DEP_1)
	v_trunc_f32_e32 v1, v1
	v_mul_f32_e64 v2, 0x2f800000, |v1|
	s_delay_alu instid0(VALU_DEP_1) | instskip(NEXT) | instid1(VALU_DEP_1)
	v_floor_f32_e32 v2, v2
	v_fma_f32 v2, 0xcf800000, v2, |v1|
	v_ashrrev_i32_e32 v1, 31, v1
	s_delay_alu instid0(VALU_DEP_2) | instskip(NEXT) | instid1(VALU_DEP_1)
	v_cvt_u32_f32_e32 v2, v2
	v_xor_b32_e32 v2, v2, v1
	s_delay_alu instid0(VALU_DEP_1)
	v_sub_nc_u32_e32 v2, v2, v1
	s_branch .LBB30_207
.LBB30_203:
	s_mov_b32 s28, -1
                                        ; implicit-def: $vgpr2
	s_branch .LBB30_208
.LBB30_204:
	s_and_not1_saveexec_b32 s23, s23
	s_cbranch_execz .LBB30_185
.LBB30_205:
	v_cmp_ne_u16_e32 vcc_lo, 0, v1
	s_and_not1_b32 s28, s28, exec_lo
	s_and_b32 s29, vcc_lo, exec_lo
	s_delay_alu instid0(SALU_CYCLE_1)
	s_or_b32 s28, s28, s29
	s_or_b32 exec_lo, exec_lo, s23
	v_mov_b32_e32 v2, 0
	s_and_saveexec_b32 s23, s28
	s_cbranch_execnz .LBB30_186
	s_branch .LBB30_187
.LBB30_206:
	s_mov_b32 s24, -1
                                        ; implicit-def: $vgpr2
.LBB30_207:
	s_mov_b32 s28, 0
.LBB30_208:
	s_delay_alu instid0(SALU_CYCLE_1)
	s_and_b32 vcc_lo, exec_lo, s28
	s_cbranch_vccz .LBB30_212
; %bb.209:
	s_cmp_eq_u32 s21, 11
	s_cbranch_scc0 .LBB30_211
; %bb.210:
	s_wait_loadcnt 0x0
	global_load_u8 v1, v[4:5], off
	s_mov_b32 s24, 0
	s_mov_b32 s23, -1
	s_wait_loadcnt 0x0
	v_cmp_ne_u16_e32 vcc_lo, 0, v1
	v_cndmask_b32_e64 v2, 0, 1, vcc_lo
	s_branch .LBB30_212
.LBB30_211:
	s_mov_b32 s24, -1
                                        ; implicit-def: $vgpr2
.LBB30_212:
	s_branch .LBB30_20
.LBB30_213:
	s_and_b32 s0, 0xffff, s0
	s_delay_alu instid0(SALU_CYCLE_1)
	s_cmp_lt_i32 s0, 5
	s_cbranch_scc1 .LBB30_218
; %bb.214:
	s_cmp_lt_i32 s0, 8
	s_cbranch_scc1 .LBB30_219
; %bb.215:
	;; [unrolled: 3-line block ×3, first 2 shown]
	s_cmp_gt_i32 s0, 9
	s_cbranch_scc0 .LBB30_221
; %bb.217:
	s_wait_loadcnt 0x0
	global_load_b64 v[2:3], v[4:5], off
	s_mov_b32 s21, 0
	s_wait_loadcnt 0x0
	v_trunc_f64_e32 v[2:3], v[2:3]
	s_delay_alu instid0(VALU_DEP_1) | instskip(NEXT) | instid1(VALU_DEP_1)
	v_ldexp_f64 v[6:7], v[2:3], 0xffffffe0
	v_floor_f64_e32 v[6:7], v[6:7]
	s_delay_alu instid0(VALU_DEP_1) | instskip(NEXT) | instid1(VALU_DEP_1)
	v_fmamk_f64 v[2:3], v[6:7], 0xc1f00000, v[2:3]
	v_cvt_u32_f64_e32 v2, v[2:3]
	s_branch .LBB30_222
.LBB30_218:
	s_mov_b32 s21, -1
                                        ; implicit-def: $vgpr2
	s_branch .LBB30_240
.LBB30_219:
	s_mov_b32 s21, -1
                                        ; implicit-def: $vgpr2
	s_branch .LBB30_228
.LBB30_220:
	s_mov_b32 s21, -1
                                        ; implicit-def: $vgpr2
	s_branch .LBB30_225
.LBB30_221:
	s_mov_b32 s21, -1
                                        ; implicit-def: $vgpr2
.LBB30_222:
	s_delay_alu instid0(SALU_CYCLE_1)
	s_and_not1_b32 vcc_lo, exec_lo, s21
	s_cbranch_vccnz .LBB30_224
; %bb.223:
	s_wait_loadcnt 0x0
	global_load_b32 v1, v[4:5], off
	s_wait_loadcnt 0x0
	v_trunc_f32_e32 v1, v1
	s_delay_alu instid0(VALU_DEP_1) | instskip(NEXT) | instid1(VALU_DEP_1)
	v_mul_f32_e64 v2, 0x2f800000, |v1|
	v_floor_f32_e32 v2, v2
	s_delay_alu instid0(VALU_DEP_1) | instskip(SKIP_1) | instid1(VALU_DEP_2)
	v_fma_f32 v2, 0xcf800000, v2, |v1|
	v_ashrrev_i32_e32 v1, 31, v1
	v_cvt_u32_f32_e32 v2, v2
	s_delay_alu instid0(VALU_DEP_1) | instskip(NEXT) | instid1(VALU_DEP_1)
	v_xor_b32_e32 v2, v2, v1
	v_sub_nc_u32_e32 v2, v2, v1
.LBB30_224:
	s_mov_b32 s21, 0
.LBB30_225:
	s_delay_alu instid0(SALU_CYCLE_1)
	s_and_not1_b32 vcc_lo, exec_lo, s21
	s_cbranch_vccnz .LBB30_227
; %bb.226:
	s_wait_loadcnt 0x0
	global_load_b32 v1, v[4:5], off
	s_wait_loadcnt 0x0
	v_cvt_f32_f16_e32 v1, v1
	s_delay_alu instid0(VALU_DEP_1)
	v_cvt_i32_f32_e32 v2, v1
.LBB30_227:
	s_mov_b32 s21, 0
.LBB30_228:
	s_delay_alu instid0(SALU_CYCLE_1)
	s_and_not1_b32 vcc_lo, exec_lo, s21
	s_cbranch_vccnz .LBB30_239
; %bb.229:
	s_cmp_lt_i32 s0, 6
	s_cbranch_scc1 .LBB30_232
; %bb.230:
	s_cmp_gt_i32 s0, 6
	s_cbranch_scc0 .LBB30_233
; %bb.231:
	s_wait_loadcnt 0x0
	global_load_b64 v[2:3], v[4:5], off
	s_mov_b32 s21, 0
	s_wait_loadcnt 0x0
	v_trunc_f64_e32 v[2:3], v[2:3]
	s_delay_alu instid0(VALU_DEP_1) | instskip(NEXT) | instid1(VALU_DEP_1)
	v_ldexp_f64 v[6:7], v[2:3], 0xffffffe0
	v_floor_f64_e32 v[6:7], v[6:7]
	s_delay_alu instid0(VALU_DEP_1) | instskip(NEXT) | instid1(VALU_DEP_1)
	v_fmamk_f64 v[2:3], v[6:7], 0xc1f00000, v[2:3]
	v_cvt_u32_f64_e32 v2, v[2:3]
	s_branch .LBB30_234
.LBB30_232:
	s_mov_b32 s21, -1
                                        ; implicit-def: $vgpr2
	s_branch .LBB30_237
.LBB30_233:
	s_mov_b32 s21, -1
                                        ; implicit-def: $vgpr2
.LBB30_234:
	s_delay_alu instid0(SALU_CYCLE_1)
	s_and_not1_b32 vcc_lo, exec_lo, s21
	s_cbranch_vccnz .LBB30_236
; %bb.235:
	s_wait_loadcnt 0x0
	global_load_b32 v1, v[4:5], off
	s_wait_loadcnt 0x0
	v_trunc_f32_e32 v1, v1
	s_delay_alu instid0(VALU_DEP_1) | instskip(NEXT) | instid1(VALU_DEP_1)
	v_mul_f32_e64 v2, 0x2f800000, |v1|
	v_floor_f32_e32 v2, v2
	s_delay_alu instid0(VALU_DEP_1) | instskip(SKIP_1) | instid1(VALU_DEP_2)
	v_fma_f32 v2, 0xcf800000, v2, |v1|
	v_ashrrev_i32_e32 v1, 31, v1
	v_cvt_u32_f32_e32 v2, v2
	s_delay_alu instid0(VALU_DEP_1) | instskip(NEXT) | instid1(VALU_DEP_1)
	v_xor_b32_e32 v2, v2, v1
	v_sub_nc_u32_e32 v2, v2, v1
.LBB30_236:
	s_mov_b32 s21, 0
.LBB30_237:
	s_delay_alu instid0(SALU_CYCLE_1)
	s_and_not1_b32 vcc_lo, exec_lo, s21
	s_cbranch_vccnz .LBB30_239
; %bb.238:
	s_wait_loadcnt 0x0
	global_load_u16 v1, v[4:5], off
	s_wait_loadcnt 0x0
	v_cvt_f32_f16_e32 v1, v1
	s_delay_alu instid0(VALU_DEP_1)
	v_cvt_i32_f32_e32 v2, v1
.LBB30_239:
	s_mov_b32 s21, 0
.LBB30_240:
	s_delay_alu instid0(SALU_CYCLE_1)
	s_and_not1_b32 vcc_lo, exec_lo, s21
	s_cbranch_vccnz .LBB30_260
; %bb.241:
	s_cmp_lt_i32 s0, 2
	s_cbranch_scc1 .LBB30_245
; %bb.242:
	s_cmp_lt_i32 s0, 3
	s_cbranch_scc1 .LBB30_246
; %bb.243:
	s_cmp_gt_i32 s0, 3
	s_cbranch_scc0 .LBB30_247
; %bb.244:
	s_wait_loadcnt 0x0
	global_load_b64 v[2:3], v[4:5], off
	s_mov_b32 s21, 0
	s_branch .LBB30_248
.LBB30_245:
	s_mov_b32 s21, -1
                                        ; implicit-def: $vgpr2
	s_branch .LBB30_254
.LBB30_246:
	s_mov_b32 s21, -1
                                        ; implicit-def: $vgpr2
	s_branch .LBB30_251
.LBB30_247:
	s_mov_b32 s21, -1
                                        ; implicit-def: $vgpr2
.LBB30_248:
	s_delay_alu instid0(SALU_CYCLE_1)
	s_and_not1_b32 vcc_lo, exec_lo, s21
	s_cbranch_vccnz .LBB30_250
; %bb.249:
	s_wait_loadcnt 0x0
	global_load_b32 v2, v[4:5], off
.LBB30_250:
	s_mov_b32 s21, 0
.LBB30_251:
	s_delay_alu instid0(SALU_CYCLE_1)
	s_and_not1_b32 vcc_lo, exec_lo, s21
	s_cbranch_vccnz .LBB30_253
; %bb.252:
	s_wait_loadcnt 0x0
	global_load_u16 v2, v[4:5], off
.LBB30_253:
	s_mov_b32 s21, 0
.LBB30_254:
	s_delay_alu instid0(SALU_CYCLE_1)
	s_and_not1_b32 vcc_lo, exec_lo, s21
	s_cbranch_vccnz .LBB30_260
; %bb.255:
	s_cmp_gt_i32 s0, 0
	s_mov_b32 s0, 0
	s_cbranch_scc0 .LBB30_257
; %bb.256:
	s_wait_loadcnt 0x0
	global_load_u8 v2, v[4:5], off
	s_branch .LBB30_258
.LBB30_257:
	s_mov_b32 s0, -1
                                        ; implicit-def: $vgpr2
.LBB30_258:
	s_delay_alu instid0(SALU_CYCLE_1)
	s_and_not1_b32 vcc_lo, exec_lo, s0
	s_cbranch_vccnz .LBB30_260
; %bb.259:
	s_wait_loadcnt 0x0
	global_load_u8 v2, v[4:5], off
.LBB30_260:
	s_branch .LBB30_21
.LBB30_261:
	s_mov_b32 s0, 0
	s_mov_b32 s23, 0
	s_branch .LBB30_498
.LBB30_262:
	s_mov_b32 s23, -1
.LBB30_263:
	s_mov_b32 s28, 0
                                        ; implicit-def: $vgpr6
.LBB30_264:
	s_and_b32 vcc_lo, exec_lo, s29
	s_cbranch_vccz .LBB30_268
; %bb.265:
	s_cmp_eq_u32 s21, 44
	s_cbranch_scc0 .LBB30_267
; %bb.266:
	s_wait_loadcnt 0x0
	global_load_u8 v1, v[4:5], off
	s_mov_b32 s23, 0
	s_mov_b32 s28, -1
	s_wait_loadcnt 0x0
	v_lshlrev_b32_e32 v3, 23, v1
	v_cmp_ne_u32_e32 vcc_lo, 0, v1
	s_delay_alu instid0(VALU_DEP_2) | instskip(NEXT) | instid1(VALU_DEP_1)
	v_trunc_f32_e32 v3, v3
	v_mul_f32_e64 v6, 0x2f800000, |v3|
	s_delay_alu instid0(VALU_DEP_1) | instskip(NEXT) | instid1(VALU_DEP_1)
	v_floor_f32_e32 v6, v6
	v_fma_f32 v6, 0xcf800000, v6, |v3|
	v_ashrrev_i32_e32 v3, 31, v3
	s_delay_alu instid0(VALU_DEP_2) | instskip(NEXT) | instid1(VALU_DEP_1)
	v_cvt_u32_f32_e32 v6, v6
	v_xor_b32_e32 v6, v6, v3
	s_delay_alu instid0(VALU_DEP_1) | instskip(NEXT) | instid1(VALU_DEP_1)
	v_sub_nc_u32_e32 v3, v6, v3
	v_cndmask_b32_e32 v6, 0, v3, vcc_lo
	s_branch .LBB30_268
.LBB30_267:
	s_mov_b32 s23, -1
                                        ; implicit-def: $vgpr6
.LBB30_268:
	s_mov_b32 s29, 0
.LBB30_269:
	s_delay_alu instid0(SALU_CYCLE_1)
	s_and_b32 vcc_lo, exec_lo, s29
	s_cbranch_vccz .LBB30_273
; %bb.270:
	s_cmp_eq_u32 s21, 29
	s_cbranch_scc0 .LBB30_272
; %bb.271:
	global_load_b64 v[6:7], v[4:5], off
	s_mov_b32 s28, -1
	s_mov_b32 s23, 0
	s_branch .LBB30_273
.LBB30_272:
	s_mov_b32 s23, -1
                                        ; implicit-def: $vgpr6
.LBB30_273:
	s_mov_b32 s29, 0
.LBB30_274:
	s_delay_alu instid0(SALU_CYCLE_1)
	s_and_b32 vcc_lo, exec_lo, s29
	s_cbranch_vccz .LBB30_290
; %bb.275:
	s_cmp_lt_i32 s21, 27
	s_cbranch_scc1 .LBB30_278
; %bb.276:
	s_cmp_gt_i32 s21, 27
	s_cbranch_scc0 .LBB30_279
; %bb.277:
	s_wait_loadcnt 0x0
	global_load_b32 v6, v[4:5], off
	s_mov_b32 s28, 0
	s_branch .LBB30_280
.LBB30_278:
	s_mov_b32 s28, -1
                                        ; implicit-def: $vgpr6
	s_branch .LBB30_283
.LBB30_279:
	s_mov_b32 s28, -1
                                        ; implicit-def: $vgpr6
.LBB30_280:
	s_delay_alu instid0(SALU_CYCLE_1)
	s_and_not1_b32 vcc_lo, exec_lo, s28
	s_cbranch_vccnz .LBB30_282
; %bb.281:
	s_wait_loadcnt 0x0
	global_load_u16 v6, v[4:5], off
.LBB30_282:
	s_mov_b32 s28, 0
.LBB30_283:
	s_delay_alu instid0(SALU_CYCLE_1)
	s_and_not1_b32 vcc_lo, exec_lo, s28
	s_cbranch_vccnz .LBB30_289
; %bb.284:
	s_wait_loadcnt 0x0
	global_load_u8 v1, v[4:5], off
	s_mov_b32 s29, 0
	s_mov_b32 s28, exec_lo
	s_wait_loadcnt 0x0
	v_cmpx_lt_i16_e32 0x7f, v1
	s_xor_b32 s28, exec_lo, s28
	s_cbranch_execz .LBB30_301
; %bb.285:
	v_cmp_ne_u16_e32 vcc_lo, 0x80, v1
	s_and_b32 s29, vcc_lo, exec_lo
	s_and_not1_saveexec_b32 s28, s28
	s_cbranch_execnz .LBB30_302
.LBB30_286:
	s_or_b32 exec_lo, exec_lo, s28
	v_mov_b32_e32 v6, 0
	s_and_saveexec_b32 s28, s29
	s_cbranch_execz .LBB30_288
.LBB30_287:
	v_and_b32_e32 v3, 0xffff, v1
	s_delay_alu instid0(VALU_DEP_1) | instskip(SKIP_1) | instid1(VALU_DEP_2)
	v_dual_lshlrev_b32 v1, 24, v1 :: v_dual_bitop2_b32 v6, 7, v3 bitop3:0x40
	v_bfe_u32 v9, v3, 3, 4
	v_and_b32_e32 v1, 0x80000000, v1
	s_delay_alu instid0(VALU_DEP_3) | instskip(NEXT) | instid1(VALU_DEP_3)
	v_clz_i32_u32_e32 v7, v6
	v_cmp_eq_u32_e32 vcc_lo, 0, v9
	s_delay_alu instid0(VALU_DEP_2) | instskip(NEXT) | instid1(VALU_DEP_1)
	v_min_u32_e32 v7, 32, v7
	v_subrev_nc_u32_e32 v8, 28, v7
	v_sub_nc_u32_e32 v7, 29, v7
	s_delay_alu instid0(VALU_DEP_2) | instskip(NEXT) | instid1(VALU_DEP_2)
	v_lshlrev_b32_e32 v3, v8, v3
	v_cndmask_b32_e32 v7, v9, v7, vcc_lo
	s_delay_alu instid0(VALU_DEP_2) | instskip(NEXT) | instid1(VALU_DEP_1)
	v_and_b32_e32 v3, 7, v3
	v_cndmask_b32_e32 v3, v6, v3, vcc_lo
	s_delay_alu instid0(VALU_DEP_3) | instskip(NEXT) | instid1(VALU_DEP_2)
	v_lshl_add_u32 v6, v7, 23, 0x3b800000
	v_lshlrev_b32_e32 v3, 20, v3
	s_delay_alu instid0(VALU_DEP_1) | instskip(NEXT) | instid1(VALU_DEP_1)
	v_or3_b32 v1, v1, v6, v3
	v_trunc_f32_e32 v1, v1
	s_delay_alu instid0(VALU_DEP_1) | instskip(NEXT) | instid1(VALU_DEP_1)
	v_mul_f32_e64 v3, 0x2f800000, |v1|
	v_floor_f32_e32 v3, v3
	s_delay_alu instid0(VALU_DEP_1) | instskip(SKIP_1) | instid1(VALU_DEP_2)
	v_fma_f32 v3, 0xcf800000, v3, |v1|
	v_ashrrev_i32_e32 v1, 31, v1
	v_cvt_u32_f32_e32 v3, v3
	s_delay_alu instid0(VALU_DEP_1) | instskip(NEXT) | instid1(VALU_DEP_1)
	v_xor_b32_e32 v3, v3, v1
	v_sub_nc_u32_e32 v6, v3, v1
.LBB30_288:
	s_or_b32 exec_lo, exec_lo, s28
.LBB30_289:
	s_mov_b32 s28, -1
.LBB30_290:
	s_mov_b32 s29, 0
.LBB30_291:
	s_delay_alu instid0(SALU_CYCLE_1)
	s_and_b32 vcc_lo, exec_lo, s29
	s_cbranch_vccz .LBB30_324
; %bb.292:
	s_cmp_gt_i32 s21, 22
	s_cbranch_scc0 .LBB30_300
; %bb.293:
	s_cmp_lt_i32 s21, 24
	s_cbranch_scc1 .LBB30_303
; %bb.294:
	s_cmp_gt_i32 s21, 24
	s_cbranch_scc0 .LBB30_304
; %bb.295:
	s_wait_loadcnt 0x0
	global_load_u8 v1, v[4:5], off
	s_mov_b32 s29, 0
	s_mov_b32 s28, exec_lo
	s_wait_loadcnt 0x0
	v_cmpx_lt_i16_e32 0x7f, v1
	s_xor_b32 s28, exec_lo, s28
	s_cbranch_execz .LBB30_316
; %bb.296:
	v_cmp_ne_u16_e32 vcc_lo, 0x80, v1
	s_and_b32 s29, vcc_lo, exec_lo
	s_and_not1_saveexec_b32 s28, s28
	s_cbranch_execnz .LBB30_317
.LBB30_297:
	s_or_b32 exec_lo, exec_lo, s28
	v_mov_b32_e32 v6, 0
	s_and_saveexec_b32 s28, s29
	s_cbranch_execz .LBB30_299
.LBB30_298:
	v_and_b32_e32 v3, 0xffff, v1
	s_delay_alu instid0(VALU_DEP_1) | instskip(SKIP_1) | instid1(VALU_DEP_2)
	v_dual_lshlrev_b32 v1, 24, v1 :: v_dual_bitop2_b32 v6, 3, v3 bitop3:0x40
	v_bfe_u32 v9, v3, 2, 5
	v_and_b32_e32 v1, 0x80000000, v1
	s_delay_alu instid0(VALU_DEP_3) | instskip(NEXT) | instid1(VALU_DEP_3)
	v_clz_i32_u32_e32 v7, v6
	v_cmp_eq_u32_e32 vcc_lo, 0, v9
	s_delay_alu instid0(VALU_DEP_2) | instskip(NEXT) | instid1(VALU_DEP_1)
	v_min_u32_e32 v7, 32, v7
	v_subrev_nc_u32_e32 v8, 29, v7
	v_sub_nc_u32_e32 v7, 30, v7
	s_delay_alu instid0(VALU_DEP_2) | instskip(NEXT) | instid1(VALU_DEP_2)
	v_lshlrev_b32_e32 v3, v8, v3
	v_cndmask_b32_e32 v7, v9, v7, vcc_lo
	s_delay_alu instid0(VALU_DEP_2) | instskip(NEXT) | instid1(VALU_DEP_1)
	v_and_b32_e32 v3, 3, v3
	v_cndmask_b32_e32 v3, v6, v3, vcc_lo
	s_delay_alu instid0(VALU_DEP_3) | instskip(NEXT) | instid1(VALU_DEP_2)
	v_lshl_add_u32 v6, v7, 23, 0x37800000
	v_lshlrev_b32_e32 v3, 21, v3
	s_delay_alu instid0(VALU_DEP_1) | instskip(NEXT) | instid1(VALU_DEP_1)
	v_or3_b32 v1, v1, v6, v3
	v_trunc_f32_e32 v1, v1
	s_delay_alu instid0(VALU_DEP_1) | instskip(NEXT) | instid1(VALU_DEP_1)
	v_mul_f32_e64 v3, 0x2f800000, |v1|
	v_floor_f32_e32 v3, v3
	s_delay_alu instid0(VALU_DEP_1) | instskip(SKIP_1) | instid1(VALU_DEP_2)
	v_fma_f32 v3, 0xcf800000, v3, |v1|
	v_ashrrev_i32_e32 v1, 31, v1
	v_cvt_u32_f32_e32 v3, v3
	s_delay_alu instid0(VALU_DEP_1) | instskip(NEXT) | instid1(VALU_DEP_1)
	v_xor_b32_e32 v3, v3, v1
	v_sub_nc_u32_e32 v6, v3, v1
.LBB30_299:
	s_or_b32 exec_lo, exec_lo, s28
	s_mov_b32 s28, 0
	s_branch .LBB30_305
.LBB30_300:
	s_mov_b32 s29, -1
                                        ; implicit-def: $vgpr6
	s_branch .LBB30_311
.LBB30_301:
	s_and_not1_saveexec_b32 s28, s28
	s_cbranch_execz .LBB30_286
.LBB30_302:
	v_cmp_ne_u16_e32 vcc_lo, 0, v1
	s_and_not1_b32 s29, s29, exec_lo
	s_and_b32 s30, vcc_lo, exec_lo
	s_delay_alu instid0(SALU_CYCLE_1)
	s_or_b32 s29, s29, s30
	s_or_b32 exec_lo, exec_lo, s28
	v_mov_b32_e32 v6, 0
	s_and_saveexec_b32 s28, s29
	s_cbranch_execnz .LBB30_287
	s_branch .LBB30_288
.LBB30_303:
	s_mov_b32 s28, -1
                                        ; implicit-def: $vgpr6
	s_branch .LBB30_308
.LBB30_304:
	s_mov_b32 s28, -1
                                        ; implicit-def: $vgpr6
.LBB30_305:
	s_delay_alu instid0(SALU_CYCLE_1)
	s_and_b32 vcc_lo, exec_lo, s28
	s_cbranch_vccz .LBB30_307
; %bb.306:
	s_wait_loadcnt 0x0
	global_load_u8 v1, v[4:5], off
	s_wait_loadcnt 0x0
	v_lshlrev_b32_e32 v1, 24, v1
	s_delay_alu instid0(VALU_DEP_1) | instskip(NEXT) | instid1(VALU_DEP_1)
	v_and_b32_e32 v3, 0x7f000000, v1
	v_clz_i32_u32_e32 v6, v3
	v_cmp_ne_u32_e32 vcc_lo, 0, v3
	v_add_nc_u32_e32 v8, 0x1000000, v3
	s_delay_alu instid0(VALU_DEP_3) | instskip(NEXT) | instid1(VALU_DEP_1)
	v_min_u32_e32 v6, 32, v6
	v_sub_nc_u32_e64 v6, v6, 4 clamp
	s_delay_alu instid0(VALU_DEP_1) | instskip(NEXT) | instid1(VALU_DEP_1)
	v_dual_lshlrev_b32 v7, v6, v3 :: v_dual_lshlrev_b32 v6, 23, v6
	v_lshrrev_b32_e32 v7, 4, v7
	s_delay_alu instid0(VALU_DEP_1) | instskip(NEXT) | instid1(VALU_DEP_1)
	v_dual_sub_nc_u32 v6, v7, v6 :: v_dual_ashrrev_i32 v7, 8, v8
	v_add_nc_u32_e32 v6, 0x3c000000, v6
	s_delay_alu instid0(VALU_DEP_1) | instskip(NEXT) | instid1(VALU_DEP_1)
	v_and_or_b32 v6, 0x7f800000, v7, v6
	v_cndmask_b32_e32 v3, 0, v6, vcc_lo
	s_delay_alu instid0(VALU_DEP_1) | instskip(NEXT) | instid1(VALU_DEP_1)
	v_and_or_b32 v1, 0x80000000, v1, v3
	v_trunc_f32_e32 v1, v1
	s_delay_alu instid0(VALU_DEP_1) | instskip(NEXT) | instid1(VALU_DEP_1)
	v_mul_f32_e64 v3, 0x2f800000, |v1|
	v_floor_f32_e32 v3, v3
	s_delay_alu instid0(VALU_DEP_1) | instskip(SKIP_1) | instid1(VALU_DEP_2)
	v_fma_f32 v3, 0xcf800000, v3, |v1|
	v_ashrrev_i32_e32 v1, 31, v1
	v_cvt_u32_f32_e32 v3, v3
	s_delay_alu instid0(VALU_DEP_1) | instskip(NEXT) | instid1(VALU_DEP_1)
	v_xor_b32_e32 v3, v3, v1
	v_sub_nc_u32_e32 v6, v3, v1
.LBB30_307:
	s_mov_b32 s28, 0
.LBB30_308:
	s_delay_alu instid0(SALU_CYCLE_1)
	s_and_not1_b32 vcc_lo, exec_lo, s28
	s_cbranch_vccnz .LBB30_310
; %bb.309:
	s_wait_loadcnt 0x0
	global_load_u8 v1, v[4:5], off
	s_wait_loadcnt 0x0
	v_lshlrev_b32_e32 v3, 25, v1
	v_lshlrev_b16 v1, 8, v1
	s_delay_alu instid0(VALU_DEP_1) | instskip(SKIP_1) | instid1(VALU_DEP_2)
	v_and_or_b32 v7, 0x7f00, v1, 0.5
	v_bfe_i32 v1, v1, 0, 16
	v_add_f32_e32 v7, -0.5, v7
	v_lshrrev_b32_e32 v6, 4, v3
	v_cmp_gt_u32_e32 vcc_lo, 0x8000000, v3
	s_delay_alu instid0(VALU_DEP_2) | instskip(NEXT) | instid1(VALU_DEP_1)
	v_or_b32_e32 v6, 0x70000000, v6
	v_mul_f32_e32 v6, 0x7800000, v6
	s_delay_alu instid0(VALU_DEP_1) | instskip(NEXT) | instid1(VALU_DEP_1)
	v_cndmask_b32_e32 v3, v6, v7, vcc_lo
	v_and_or_b32 v1, 0x80000000, v1, v3
	s_delay_alu instid0(VALU_DEP_1) | instskip(NEXT) | instid1(VALU_DEP_1)
	v_trunc_f32_e32 v1, v1
	v_mul_f32_e64 v3, 0x2f800000, |v1|
	s_delay_alu instid0(VALU_DEP_1) | instskip(NEXT) | instid1(VALU_DEP_1)
	v_floor_f32_e32 v3, v3
	v_fma_f32 v3, 0xcf800000, v3, |v1|
	v_ashrrev_i32_e32 v1, 31, v1
	s_delay_alu instid0(VALU_DEP_2) | instskip(NEXT) | instid1(VALU_DEP_1)
	v_cvt_u32_f32_e32 v3, v3
	v_xor_b32_e32 v3, v3, v1
	s_delay_alu instid0(VALU_DEP_1)
	v_sub_nc_u32_e32 v6, v3, v1
.LBB30_310:
	s_mov_b32 s29, 0
	s_mov_b32 s28, -1
.LBB30_311:
	s_and_not1_b32 vcc_lo, exec_lo, s29
	s_cbranch_vccnz .LBB30_324
; %bb.312:
	s_cmp_gt_i32 s21, 14
	s_cbranch_scc0 .LBB30_315
; %bb.313:
	s_cmp_eq_u32 s21, 15
	s_cbranch_scc0 .LBB30_318
; %bb.314:
	s_wait_loadcnt 0x0
	global_load_u16 v1, v[4:5], off
	s_mov_b32 s28, -1
	s_mov_b32 s23, 0
	s_wait_loadcnt 0x0
	v_lshlrev_b32_e32 v1, 16, v1
	s_delay_alu instid0(VALU_DEP_1) | instskip(NEXT) | instid1(VALU_DEP_1)
	v_trunc_f32_e32 v1, v1
	v_mul_f32_e64 v3, 0x2f800000, |v1|
	s_delay_alu instid0(VALU_DEP_1) | instskip(NEXT) | instid1(VALU_DEP_1)
	v_floor_f32_e32 v3, v3
	v_fma_f32 v3, 0xcf800000, v3, |v1|
	v_ashrrev_i32_e32 v1, 31, v1
	s_delay_alu instid0(VALU_DEP_2) | instskip(NEXT) | instid1(VALU_DEP_1)
	v_cvt_u32_f32_e32 v3, v3
	v_xor_b32_e32 v3, v3, v1
	s_delay_alu instid0(VALU_DEP_1)
	v_sub_nc_u32_e32 v6, v3, v1
	s_branch .LBB30_319
.LBB30_315:
	s_mov_b32 s29, -1
                                        ; implicit-def: $vgpr6
	s_branch .LBB30_320
.LBB30_316:
	s_and_not1_saveexec_b32 s28, s28
	s_cbranch_execz .LBB30_297
.LBB30_317:
	v_cmp_ne_u16_e32 vcc_lo, 0, v1
	s_and_not1_b32 s29, s29, exec_lo
	s_and_b32 s30, vcc_lo, exec_lo
	s_delay_alu instid0(SALU_CYCLE_1)
	s_or_b32 s29, s29, s30
	s_or_b32 exec_lo, exec_lo, s28
	v_mov_b32_e32 v6, 0
	s_and_saveexec_b32 s28, s29
	s_cbranch_execnz .LBB30_298
	s_branch .LBB30_299
.LBB30_318:
	s_mov_b32 s23, -1
                                        ; implicit-def: $vgpr6
.LBB30_319:
	s_mov_b32 s29, 0
.LBB30_320:
	s_delay_alu instid0(SALU_CYCLE_1)
	s_and_b32 vcc_lo, exec_lo, s29
	s_cbranch_vccz .LBB30_324
; %bb.321:
	s_cmp_eq_u32 s21, 11
	s_cbranch_scc0 .LBB30_323
; %bb.322:
	s_wait_loadcnt 0x0
	global_load_u8 v1, v[4:5], off
	s_mov_b32 s23, 0
	s_mov_b32 s28, -1
	s_wait_loadcnt 0x0
	v_cmp_ne_u16_e32 vcc_lo, 0, v1
	v_cndmask_b32_e64 v6, 0, 1, vcc_lo
	s_branch .LBB30_324
.LBB30_323:
	s_mov_b32 s23, -1
                                        ; implicit-def: $vgpr6
.LBB30_324:
	s_mov_b32 s21, 0
.LBB30_325:
	s_delay_alu instid0(SALU_CYCLE_1)
	s_and_b32 vcc_lo, exec_lo, s21
	s_cbranch_vccz .LBB30_374
; %bb.326:
	s_and_b32 s0, 0xffff, s0
	s_delay_alu instid0(SALU_CYCLE_1)
	s_cmp_lt_i32 s0, 5
	s_cbranch_scc1 .LBB30_331
; %bb.327:
	s_cmp_lt_i32 s0, 8
	s_cbranch_scc1 .LBB30_332
; %bb.328:
	;; [unrolled: 3-line block ×3, first 2 shown]
	s_cmp_gt_i32 s0, 9
	s_cbranch_scc0 .LBB30_334
; %bb.330:
	s_wait_loadcnt 0x0
	global_load_b64 v[6:7], v[4:5], off
	s_mov_b32 s21, 0
	s_wait_loadcnt 0x0
	v_trunc_f64_e32 v[6:7], v[6:7]
	s_delay_alu instid0(VALU_DEP_1) | instskip(NEXT) | instid1(VALU_DEP_1)
	v_ldexp_f64 v[8:9], v[6:7], 0xffffffe0
	v_floor_f64_e32 v[8:9], v[8:9]
	s_delay_alu instid0(VALU_DEP_1) | instskip(NEXT) | instid1(VALU_DEP_1)
	v_fmamk_f64 v[6:7], v[8:9], 0xc1f00000, v[6:7]
	v_cvt_u32_f64_e32 v6, v[6:7]
	s_branch .LBB30_335
.LBB30_331:
	s_mov_b32 s21, -1
                                        ; implicit-def: $vgpr6
	s_branch .LBB30_353
.LBB30_332:
	s_mov_b32 s21, -1
                                        ; implicit-def: $vgpr6
	s_branch .LBB30_341
.LBB30_333:
	s_mov_b32 s21, -1
                                        ; implicit-def: $vgpr6
	s_branch .LBB30_338
.LBB30_334:
	s_mov_b32 s21, -1
                                        ; implicit-def: $vgpr6
.LBB30_335:
	s_delay_alu instid0(SALU_CYCLE_1)
	s_and_not1_b32 vcc_lo, exec_lo, s21
	s_cbranch_vccnz .LBB30_337
; %bb.336:
	s_wait_loadcnt 0x0
	global_load_b32 v1, v[4:5], off
	s_wait_loadcnt 0x0
	v_trunc_f32_e32 v1, v1
	s_delay_alu instid0(VALU_DEP_1) | instskip(NEXT) | instid1(VALU_DEP_1)
	v_mul_f32_e64 v3, 0x2f800000, |v1|
	v_floor_f32_e32 v3, v3
	s_delay_alu instid0(VALU_DEP_1) | instskip(SKIP_1) | instid1(VALU_DEP_2)
	v_fma_f32 v3, 0xcf800000, v3, |v1|
	v_ashrrev_i32_e32 v1, 31, v1
	v_cvt_u32_f32_e32 v3, v3
	s_delay_alu instid0(VALU_DEP_1) | instskip(NEXT) | instid1(VALU_DEP_1)
	v_xor_b32_e32 v3, v3, v1
	v_sub_nc_u32_e32 v6, v3, v1
.LBB30_337:
	s_mov_b32 s21, 0
.LBB30_338:
	s_delay_alu instid0(SALU_CYCLE_1)
	s_and_not1_b32 vcc_lo, exec_lo, s21
	s_cbranch_vccnz .LBB30_340
; %bb.339:
	s_wait_loadcnt 0x0
	global_load_b32 v1, v[4:5], off
	s_wait_loadcnt 0x0
	v_cvt_f32_f16_e32 v1, v1
	s_delay_alu instid0(VALU_DEP_1)
	v_cvt_i32_f32_e32 v6, v1
.LBB30_340:
	s_mov_b32 s21, 0
.LBB30_341:
	s_delay_alu instid0(SALU_CYCLE_1)
	s_and_not1_b32 vcc_lo, exec_lo, s21
	s_cbranch_vccnz .LBB30_352
; %bb.342:
	s_cmp_lt_i32 s0, 6
	s_cbranch_scc1 .LBB30_345
; %bb.343:
	s_cmp_gt_i32 s0, 6
	s_cbranch_scc0 .LBB30_346
; %bb.344:
	s_wait_loadcnt 0x0
	global_load_b64 v[6:7], v[4:5], off
	s_mov_b32 s21, 0
	s_wait_loadcnt 0x0
	v_trunc_f64_e32 v[6:7], v[6:7]
	s_delay_alu instid0(VALU_DEP_1) | instskip(NEXT) | instid1(VALU_DEP_1)
	v_ldexp_f64 v[8:9], v[6:7], 0xffffffe0
	v_floor_f64_e32 v[8:9], v[8:9]
	s_delay_alu instid0(VALU_DEP_1) | instskip(NEXT) | instid1(VALU_DEP_1)
	v_fmamk_f64 v[6:7], v[8:9], 0xc1f00000, v[6:7]
	v_cvt_u32_f64_e32 v6, v[6:7]
	s_branch .LBB30_347
.LBB30_345:
	s_mov_b32 s21, -1
                                        ; implicit-def: $vgpr6
	s_branch .LBB30_350
.LBB30_346:
	s_mov_b32 s21, -1
                                        ; implicit-def: $vgpr6
.LBB30_347:
	s_delay_alu instid0(SALU_CYCLE_1)
	s_and_not1_b32 vcc_lo, exec_lo, s21
	s_cbranch_vccnz .LBB30_349
; %bb.348:
	s_wait_loadcnt 0x0
	global_load_b32 v1, v[4:5], off
	s_wait_loadcnt 0x0
	v_trunc_f32_e32 v1, v1
	s_delay_alu instid0(VALU_DEP_1) | instskip(NEXT) | instid1(VALU_DEP_1)
	v_mul_f32_e64 v3, 0x2f800000, |v1|
	v_floor_f32_e32 v3, v3
	s_delay_alu instid0(VALU_DEP_1) | instskip(SKIP_1) | instid1(VALU_DEP_2)
	v_fma_f32 v3, 0xcf800000, v3, |v1|
	v_ashrrev_i32_e32 v1, 31, v1
	v_cvt_u32_f32_e32 v3, v3
	s_delay_alu instid0(VALU_DEP_1) | instskip(NEXT) | instid1(VALU_DEP_1)
	v_xor_b32_e32 v3, v3, v1
	v_sub_nc_u32_e32 v6, v3, v1
.LBB30_349:
	s_mov_b32 s21, 0
.LBB30_350:
	s_delay_alu instid0(SALU_CYCLE_1)
	s_and_not1_b32 vcc_lo, exec_lo, s21
	s_cbranch_vccnz .LBB30_352
; %bb.351:
	s_wait_loadcnt 0x0
	global_load_u16 v1, v[4:5], off
	s_wait_loadcnt 0x0
	v_cvt_f32_f16_e32 v1, v1
	s_delay_alu instid0(VALU_DEP_1)
	v_cvt_i32_f32_e32 v6, v1
.LBB30_352:
	s_mov_b32 s21, 0
.LBB30_353:
	s_delay_alu instid0(SALU_CYCLE_1)
	s_and_not1_b32 vcc_lo, exec_lo, s21
	s_cbranch_vccnz .LBB30_373
; %bb.354:
	s_cmp_lt_i32 s0, 2
	s_cbranch_scc1 .LBB30_358
; %bb.355:
	s_cmp_lt_i32 s0, 3
	s_cbranch_scc1 .LBB30_359
; %bb.356:
	s_cmp_gt_i32 s0, 3
	s_cbranch_scc0 .LBB30_360
; %bb.357:
	s_wait_loadcnt 0x0
	global_load_b64 v[6:7], v[4:5], off
	s_mov_b32 s21, 0
	s_branch .LBB30_361
.LBB30_358:
	s_mov_b32 s21, -1
                                        ; implicit-def: $vgpr6
	s_branch .LBB30_367
.LBB30_359:
	s_mov_b32 s21, -1
                                        ; implicit-def: $vgpr6
	s_branch .LBB30_364
.LBB30_360:
	s_mov_b32 s21, -1
                                        ; implicit-def: $vgpr6
.LBB30_361:
	s_delay_alu instid0(SALU_CYCLE_1)
	s_and_not1_b32 vcc_lo, exec_lo, s21
	s_cbranch_vccnz .LBB30_363
; %bb.362:
	s_wait_loadcnt 0x0
	global_load_b32 v6, v[4:5], off
.LBB30_363:
	s_mov_b32 s21, 0
.LBB30_364:
	s_delay_alu instid0(SALU_CYCLE_1)
	s_and_not1_b32 vcc_lo, exec_lo, s21
	s_cbranch_vccnz .LBB30_366
; %bb.365:
	s_wait_loadcnt 0x0
	global_load_u16 v6, v[4:5], off
.LBB30_366:
	s_mov_b32 s21, 0
.LBB30_367:
	s_delay_alu instid0(SALU_CYCLE_1)
	s_and_not1_b32 vcc_lo, exec_lo, s21
	s_cbranch_vccnz .LBB30_373
; %bb.368:
	s_cmp_gt_i32 s0, 0
	s_mov_b32 s0, 0
	s_cbranch_scc0 .LBB30_370
; %bb.369:
	s_wait_loadcnt 0x0
	global_load_u8 v6, v[4:5], off
	s_branch .LBB30_371
.LBB30_370:
	s_mov_b32 s0, -1
                                        ; implicit-def: $vgpr6
.LBB30_371:
	s_delay_alu instid0(SALU_CYCLE_1)
	s_and_not1_b32 vcc_lo, exec_lo, s0
	s_cbranch_vccnz .LBB30_373
; %bb.372:
	s_wait_loadcnt 0x0
	global_load_u8 v6, v[4:5], off
.LBB30_373:
	s_mov_b32 s28, -1
.LBB30_374:
	s_delay_alu instid0(SALU_CYCLE_1)
	s_and_not1_b32 vcc_lo, exec_lo, s28
	s_cbranch_vccnz .LBB30_382
; %bb.375:
	s_wait_xcnt 0x0
	v_mul_lo_u32 v4, v26, s12
	s_wait_loadcnt 0x0
	v_mul_lo_u16 v3, v0, s2
	v_mul_lo_u16 v2, v2, s1
	s_and_b32 s21, s18, 0xff
	s_delay_alu instid0(SALU_CYCLE_1) | instskip(NEXT) | instid1(VALU_DEP_1)
	s_cmp_lt_i32 s21, 11
	v_mad_u16 v2, v2, v6, v3
	s_delay_alu instid0(VALU_DEP_4) | instskip(NEXT) | instid1(VALU_DEP_1)
	v_ashrrev_i32_e32 v5, 31, v4
	v_add_nc_u64_e32 v[0:1], s[4:5], v[4:5]
	s_cbranch_scc1 .LBB30_383
; %bb.376:
	s_and_b32 s28, 0xffff, s21
	s_delay_alu instid0(SALU_CYCLE_1)
	s_cmp_gt_i32 s28, 25
	s_cbranch_scc0 .LBB30_384
; %bb.377:
	s_cmp_gt_i32 s28, 28
	s_cbranch_scc0 .LBB30_385
; %bb.378:
	;; [unrolled: 3-line block ×4, first 2 shown]
	s_mov_b32 s30, 0
	s_mov_b32 s0, -1
	s_cmp_eq_u32 s28, 46
	s_mov_b32 s29, 0
	s_cbranch_scc0 .LBB30_388
; %bb.381:
	v_cvt_f32_ubyte0_e32 v3, v2
	s_mov_b32 s29, -1
	s_mov_b32 s0, 0
	s_delay_alu instid0(VALU_DEP_1) | instskip(NEXT) | instid1(VALU_DEP_1)
	v_bfe_u32 v4, v3, 16, 1
	v_add3_u32 v3, v3, v4, 0x7fff
	s_delay_alu instid0(VALU_DEP_1)
	v_lshrrev_b32_e32 v3, 16, v3
	global_store_b32 v[0:1], v3, off
	s_branch .LBB30_388
.LBB30_382:
	s_mov_b32 s0, 0
	s_branch .LBB30_498
.LBB30_383:
	s_mov_b32 s28, -1
	s_mov_b32 s0, 0
	s_mov_b32 s29, 0
	s_branch .LBB30_457
.LBB30_384:
	s_mov_b32 s30, -1
	s_mov_b32 s0, 0
	s_mov_b32 s29, 0
	s_branch .LBB30_415
.LBB30_385:
	s_mov_b32 s30, -1
	s_mov_b32 s0, 0
	s_mov_b32 s29, 0
	s_branch .LBB30_398
.LBB30_386:
	s_mov_b32 s30, -1
	s_mov_b32 s0, 0
	s_mov_b32 s29, 0
	s_branch .LBB30_394
.LBB30_387:
	s_mov_b32 s30, -1
	s_mov_b32 s0, 0
	s_mov_b32 s29, 0
.LBB30_388:
	s_and_b32 vcc_lo, exec_lo, s30
	s_cbranch_vccz .LBB30_393
; %bb.389:
	s_cmp_eq_u32 s28, 44
	s_mov_b32 s0, -1
	s_cbranch_scc0 .LBB30_393
; %bb.390:
	v_cvt_f32_ubyte0_e32 v5, v2
	s_mov_b32 s29, exec_lo
	s_wait_xcnt 0x0
	s_delay_alu instid0(VALU_DEP_1) | instskip(NEXT) | instid1(VALU_DEP_1)
	v_dual_mov_b32 v4, 0xff :: v_dual_lshrrev_b32 v3, 23, v5
	v_cmpx_ne_u32_e32 0xff, v3
; %bb.391:
	v_and_b32_e32 v4, 0x400000, v5
	v_and_or_b32 v5, 0x3fffff, v5, v3
	s_delay_alu instid0(VALU_DEP_2) | instskip(NEXT) | instid1(VALU_DEP_2)
	v_cmp_ne_u32_e32 vcc_lo, 0, v4
	v_cmp_ne_u32_e64 s0, 0, v5
	s_and_b32 s0, vcc_lo, s0
	s_delay_alu instid0(SALU_CYCLE_1) | instskip(NEXT) | instid1(VALU_DEP_1)
	v_cndmask_b32_e64 v4, 0, 1, s0
	v_add_nc_u32_e32 v4, v3, v4
; %bb.392:
	s_or_b32 exec_lo, exec_lo, s29
	s_mov_b32 s29, -1
	s_mov_b32 s0, 0
	global_store_b8 v[0:1], v4, off
.LBB30_393:
	s_mov_b32 s30, 0
.LBB30_394:
	s_delay_alu instid0(SALU_CYCLE_1)
	s_and_b32 vcc_lo, exec_lo, s30
	s_cbranch_vccz .LBB30_397
; %bb.395:
	s_cmp_eq_u32 s28, 29
	s_mov_b32 s0, -1
	s_cbranch_scc0 .LBB30_397
; %bb.396:
	s_wait_xcnt 0x0
	v_and_b32_e32 v4, 0xff, v2
	v_mov_b32_e32 v5, 0
	s_mov_b32 s29, -1
	s_mov_b32 s0, 0
	s_mov_b32 s30, 0
	global_store_b64 v[0:1], v[4:5], off
	s_branch .LBB30_398
.LBB30_397:
	s_mov_b32 s30, 0
.LBB30_398:
	s_delay_alu instid0(SALU_CYCLE_1)
	s_and_b32 vcc_lo, exec_lo, s30
	s_cbranch_vccz .LBB30_414
; %bb.399:
	s_cmp_lt_i32 s28, 27
	s_mov_b32 s29, -1
	s_cbranch_scc1 .LBB30_405
; %bb.400:
	s_cmp_gt_i32 s28, 27
	s_cbranch_scc0 .LBB30_402
; %bb.401:
	s_wait_xcnt 0x0
	v_and_b32_e32 v3, 0xff, v2
	s_mov_b32 s29, 0
	global_store_b32 v[0:1], v3, off
.LBB30_402:
	s_and_not1_b32 vcc_lo, exec_lo, s29
	s_cbranch_vccnz .LBB30_404
; %bb.403:
	s_wait_xcnt 0x0
	v_and_b32_e32 v3, 0xff, v2
	global_store_b16 v[0:1], v3, off
.LBB30_404:
	s_mov_b32 s29, 0
.LBB30_405:
	s_delay_alu instid0(SALU_CYCLE_1)
	s_and_not1_b32 vcc_lo, exec_lo, s29
	s_cbranch_vccnz .LBB30_413
; %bb.406:
	s_wait_xcnt 0x0
	v_cvt_f32_ubyte0_e32 v4, v2
	v_mov_b32_e32 v5, 0x80
	s_mov_b32 s29, exec_lo
	s_delay_alu instid0(VALU_DEP_2)
	v_cmpx_gt_u32_e32 0x43800000, v4
	s_cbranch_execz .LBB30_412
; %bb.407:
	s_mov_b32 s30, 0
	s_mov_b32 s31, exec_lo
                                        ; implicit-def: $vgpr3
	v_cmpx_lt_u32_e32 0x3bffffff, v4
	s_xor_b32 s31, exec_lo, s31
	s_cbranch_execz .LBB30_642
; %bb.408:
	v_bfe_u32 v3, v4, 20, 1
	s_mov_b32 s30, exec_lo
	s_delay_alu instid0(VALU_DEP_1) | instskip(NEXT) | instid1(VALU_DEP_1)
	v_add3_u32 v3, v4, v3, 0x487ffff
                                        ; implicit-def: $vgpr4
	v_lshrrev_b32_e32 v3, 20, v3
	s_and_not1_saveexec_b32 s31, s31
	s_cbranch_execnz .LBB30_643
.LBB30_409:
	s_or_b32 exec_lo, exec_lo, s31
	v_mov_b32_e32 v5, 0
	s_and_saveexec_b32 s31, s30
.LBB30_410:
	v_mov_b32_e32 v5, v3
.LBB30_411:
	s_or_b32 exec_lo, exec_lo, s31
.LBB30_412:
	s_delay_alu instid0(SALU_CYCLE_1)
	s_or_b32 exec_lo, exec_lo, s29
	global_store_b8 v[0:1], v5, off
.LBB30_413:
	s_mov_b32 s29, -1
.LBB30_414:
	s_mov_b32 s30, 0
.LBB30_415:
	s_delay_alu instid0(SALU_CYCLE_1)
	s_and_b32 vcc_lo, exec_lo, s30
	s_cbranch_vccz .LBB30_456
; %bb.416:
	s_cmp_gt_i32 s28, 22
	s_mov_b32 s30, -1
	s_cbranch_scc0 .LBB30_448
; %bb.417:
	s_cmp_lt_i32 s28, 24
	s_mov_b32 s29, -1
	s_cbranch_scc1 .LBB30_437
; %bb.418:
	s_cmp_gt_i32 s28, 24
	s_cbranch_scc0 .LBB30_426
; %bb.419:
	s_wait_xcnt 0x0
	v_cvt_f32_ubyte0_e32 v4, v2
	v_mov_b32_e32 v5, 0x80
	s_mov_b32 s29, exec_lo
	s_delay_alu instid0(VALU_DEP_2)
	v_cmpx_gt_u32_e32 0x47800000, v4
	s_cbranch_execz .LBB30_425
; %bb.420:
	s_mov_b32 s30, 0
	s_mov_b32 s31, exec_lo
                                        ; implicit-def: $vgpr3
	v_cmpx_lt_u32_e32 0x37ffffff, v4
	s_xor_b32 s31, exec_lo, s31
	s_cbranch_execz .LBB30_770
; %bb.421:
	v_bfe_u32 v3, v4, 21, 1
	s_mov_b32 s30, exec_lo
	s_delay_alu instid0(VALU_DEP_1) | instskip(NEXT) | instid1(VALU_DEP_1)
	v_add3_u32 v3, v4, v3, 0x88fffff
                                        ; implicit-def: $vgpr4
	v_lshrrev_b32_e32 v3, 21, v3
	s_and_not1_saveexec_b32 s31, s31
	s_cbranch_execnz .LBB30_771
.LBB30_422:
	s_or_b32 exec_lo, exec_lo, s31
	v_mov_b32_e32 v5, 0
	s_and_saveexec_b32 s31, s30
.LBB30_423:
	v_mov_b32_e32 v5, v3
.LBB30_424:
	s_or_b32 exec_lo, exec_lo, s31
.LBB30_425:
	s_delay_alu instid0(SALU_CYCLE_1)
	s_or_b32 exec_lo, exec_lo, s29
	s_mov_b32 s29, 0
	global_store_b8 v[0:1], v5, off
.LBB30_426:
	s_and_b32 vcc_lo, exec_lo, s29
	s_cbranch_vccz .LBB30_436
; %bb.427:
	s_wait_xcnt 0x0
	v_cvt_f32_ubyte0_e32 v4, v2
	s_mov_b32 s29, exec_lo
                                        ; implicit-def: $vgpr3
	s_delay_alu instid0(VALU_DEP_1)
	v_cmpx_gt_u32_e32 0x43f00000, v4
	s_xor_b32 s29, exec_lo, s29
	s_cbranch_execz .LBB30_433
; %bb.428:
	s_mov_b32 s30, exec_lo
                                        ; implicit-def: $vgpr3
	v_cmpx_lt_u32_e32 0x3c7fffff, v4
	s_xor_b32 s30, exec_lo, s30
; %bb.429:
	v_bfe_u32 v3, v4, 20, 1
	s_delay_alu instid0(VALU_DEP_1) | instskip(NEXT) | instid1(VALU_DEP_1)
	v_add3_u32 v3, v4, v3, 0x407ffff
	v_and_b32_e32 v4, 0xff00000, v3
	v_lshrrev_b32_e32 v3, 20, v3
	s_delay_alu instid0(VALU_DEP_2) | instskip(NEXT) | instid1(VALU_DEP_2)
	v_cmp_ne_u32_e32 vcc_lo, 0x7f00000, v4
                                        ; implicit-def: $vgpr4
	v_cndmask_b32_e32 v3, 0x7e, v3, vcc_lo
; %bb.430:
	s_and_not1_saveexec_b32 s30, s30
; %bb.431:
	v_add_f32_e32 v3, 0x46800000, v4
; %bb.432:
	s_or_b32 exec_lo, exec_lo, s30
                                        ; implicit-def: $vgpr4
.LBB30_433:
	s_and_not1_saveexec_b32 s29, s29
; %bb.434:
	v_mov_b32_e32 v3, 0x7f
	v_cmp_lt_u32_e32 vcc_lo, 0x7f800000, v4
	s_delay_alu instid0(VALU_DEP_2)
	v_cndmask_b32_e32 v3, 0x7e, v3, vcc_lo
; %bb.435:
	s_or_b32 exec_lo, exec_lo, s29
	global_store_b8 v[0:1], v3, off
.LBB30_436:
	s_mov_b32 s29, 0
.LBB30_437:
	s_delay_alu instid0(SALU_CYCLE_1)
	s_and_not1_b32 vcc_lo, exec_lo, s29
	s_cbranch_vccnz .LBB30_447
; %bb.438:
	s_wait_xcnt 0x0
	v_cvt_f32_ubyte0_e32 v4, v2
	s_mov_b32 s29, exec_lo
                                        ; implicit-def: $vgpr3
	s_delay_alu instid0(VALU_DEP_1)
	v_cmpx_gt_u32_e32 0x47800000, v4
	s_xor_b32 s29, exec_lo, s29
	s_cbranch_execz .LBB30_444
; %bb.439:
	s_mov_b32 s30, exec_lo
                                        ; implicit-def: $vgpr3
	v_cmpx_lt_u32_e32 0x387fffff, v4
	s_xor_b32 s30, exec_lo, s30
; %bb.440:
	v_bfe_u32 v3, v4, 21, 1
	s_delay_alu instid0(VALU_DEP_1) | instskip(NEXT) | instid1(VALU_DEP_1)
	v_add3_u32 v3, v4, v3, 0x80fffff
                                        ; implicit-def: $vgpr4
	v_lshrrev_b32_e32 v3, 21, v3
; %bb.441:
	s_and_not1_saveexec_b32 s30, s30
; %bb.442:
	v_add_f32_e32 v3, 0x43000000, v4
; %bb.443:
	s_or_b32 exec_lo, exec_lo, s30
                                        ; implicit-def: $vgpr4
.LBB30_444:
	s_and_not1_saveexec_b32 s29, s29
; %bb.445:
	v_mov_b32_e32 v3, 0x7f
	v_cmp_lt_u32_e32 vcc_lo, 0x7f800000, v4
	s_delay_alu instid0(VALU_DEP_2)
	v_cndmask_b32_e32 v3, 0x7c, v3, vcc_lo
; %bb.446:
	s_or_b32 exec_lo, exec_lo, s29
	global_store_b8 v[0:1], v3, off
.LBB30_447:
	s_mov_b32 s30, 0
	s_mov_b32 s29, -1
.LBB30_448:
	s_and_not1_b32 vcc_lo, exec_lo, s30
	s_cbranch_vccnz .LBB30_456
; %bb.449:
	s_cmp_gt_i32 s28, 14
	s_mov_b32 s30, -1
	s_cbranch_scc0 .LBB30_453
; %bb.450:
	s_cmp_eq_u32 s28, 15
	s_mov_b32 s0, -1
	s_cbranch_scc0 .LBB30_452
; %bb.451:
	s_wait_xcnt 0x0
	v_cvt_f32_ubyte0_e32 v3, v2
	s_mov_b32 s29, -1
	s_mov_b32 s0, 0
	s_delay_alu instid0(VALU_DEP_1) | instskip(NEXT) | instid1(VALU_DEP_1)
	v_bfe_u32 v4, v3, 16, 1
	v_add3_u32 v3, v3, v4, 0x7fff
	global_store_d16_hi_b16 v[0:1], v3, off
.LBB30_452:
	s_mov_b32 s30, 0
.LBB30_453:
	s_delay_alu instid0(SALU_CYCLE_1)
	s_and_b32 vcc_lo, exec_lo, s30
	s_cbranch_vccz .LBB30_456
; %bb.454:
	s_cmp_eq_u32 s28, 11
	s_mov_b32 s0, -1
	s_cbranch_scc0 .LBB30_456
; %bb.455:
	s_wait_xcnt 0x0
	v_and_b32_e32 v3, 0xff, v2
	s_mov_b32 s0, 0
	s_mov_b32 s29, -1
	s_delay_alu instid0(VALU_DEP_1)
	v_cmp_ne_u16_e32 vcc_lo, 0, v3
	v_cndmask_b32_e64 v3, 0, 1, vcc_lo
	global_store_b8 v[0:1], v3, off
.LBB30_456:
	s_mov_b32 s28, 0
.LBB30_457:
	s_delay_alu instid0(SALU_CYCLE_1)
	s_and_b32 vcc_lo, exec_lo, s28
	s_cbranch_vccz .LBB30_496
; %bb.458:
	s_and_b32 s21, 0xffff, s21
	s_mov_b32 s28, -1
	s_cmp_lt_i32 s21, 5
	s_cbranch_scc1 .LBB30_479
; %bb.459:
	s_cmp_lt_i32 s21, 8
	s_cbranch_scc1 .LBB30_469
; %bb.460:
	;; [unrolled: 3-line block ×3, first 2 shown]
	s_cmp_gt_i32 s21, 9
	s_cbranch_scc0 .LBB30_463
; %bb.462:
	s_wait_xcnt 0x0
	v_and_b32_e32 v3, 0xff, v2
	v_mov_b32_e32 v6, 0
	s_mov_b32 s28, 0
	s_delay_alu instid0(VALU_DEP_2) | instskip(NEXT) | instid1(VALU_DEP_2)
	v_and_b32_e32 v3, 0xffff, v3
	v_mov_b32_e32 v7, v6
	s_delay_alu instid0(VALU_DEP_2)
	v_cvt_f64_u32_e32 v[4:5], v3
	global_store_b128 v[0:1], v[4:7], off
.LBB30_463:
	s_and_not1_b32 vcc_lo, exec_lo, s28
	s_cbranch_vccnz .LBB30_465
; %bb.464:
	s_wait_xcnt 0x0
	v_cvt_f32_ubyte0_e32 v4, v2
	v_mov_b32_e32 v5, 0
	global_store_b64 v[0:1], v[4:5], off
.LBB30_465:
	s_mov_b32 s28, 0
.LBB30_466:
	s_delay_alu instid0(SALU_CYCLE_1)
	s_and_not1_b32 vcc_lo, exec_lo, s28
	s_cbranch_vccnz .LBB30_468
; %bb.467:
	s_wait_xcnt 0x0
	v_and_b32_e32 v3, 0xff, v2
	s_delay_alu instid0(VALU_DEP_1) | instskip(NEXT) | instid1(VALU_DEP_1)
	v_cvt_f16_u16_e32 v3, v3
	v_and_b32_e32 v3, 0xffff, v3
	global_store_b32 v[0:1], v3, off
.LBB30_468:
	s_mov_b32 s28, 0
.LBB30_469:
	s_delay_alu instid0(SALU_CYCLE_1)
	s_and_not1_b32 vcc_lo, exec_lo, s28
	s_cbranch_vccnz .LBB30_478
; %bb.470:
	s_cmp_lt_i32 s21, 6
	s_mov_b32 s28, -1
	s_cbranch_scc1 .LBB30_476
; %bb.471:
	s_cmp_gt_i32 s21, 6
	s_cbranch_scc0 .LBB30_473
; %bb.472:
	s_wait_xcnt 0x0
	v_and_b32_e32 v3, 0xff, v2
	s_mov_b32 s28, 0
	s_delay_alu instid0(VALU_DEP_1) | instskip(NEXT) | instid1(VALU_DEP_1)
	v_and_b32_e32 v3, 0xffff, v3
	v_cvt_f64_u32_e32 v[4:5], v3
	global_store_b64 v[0:1], v[4:5], off
.LBB30_473:
	s_and_not1_b32 vcc_lo, exec_lo, s28
	s_cbranch_vccnz .LBB30_475
; %bb.474:
	s_wait_xcnt 0x0
	v_cvt_f32_ubyte0_e32 v3, v2
	global_store_b32 v[0:1], v3, off
.LBB30_475:
	s_mov_b32 s28, 0
.LBB30_476:
	s_delay_alu instid0(SALU_CYCLE_1)
	s_and_not1_b32 vcc_lo, exec_lo, s28
	s_cbranch_vccnz .LBB30_478
; %bb.477:
	s_wait_xcnt 0x0
	v_and_b32_e32 v3, 0xff, v2
	s_delay_alu instid0(VALU_DEP_1)
	v_cvt_f16_u16_e32 v3, v3
	global_store_b16 v[0:1], v3, off
.LBB30_478:
	s_mov_b32 s28, 0
.LBB30_479:
	s_delay_alu instid0(SALU_CYCLE_1)
	s_and_not1_b32 vcc_lo, exec_lo, s28
	s_cbranch_vccnz .LBB30_495
; %bb.480:
	s_cmp_lt_i32 s21, 2
	s_mov_b32 s28, -1
	s_cbranch_scc1 .LBB30_490
; %bb.481:
	s_cmp_lt_i32 s21, 3
	s_cbranch_scc1 .LBB30_487
; %bb.482:
	s_cmp_gt_i32 s21, 3
	s_cbranch_scc0 .LBB30_484
; %bb.483:
	s_wait_xcnt 0x0
	v_and_b32_e32 v4, 0xff, v2
	v_mov_b32_e32 v5, 0
	s_mov_b32 s28, 0
	global_store_b64 v[0:1], v[4:5], off
.LBB30_484:
	s_and_not1_b32 vcc_lo, exec_lo, s28
	s_cbranch_vccnz .LBB30_486
; %bb.485:
	s_wait_xcnt 0x0
	v_and_b32_e32 v3, 0xff, v2
	global_store_b32 v[0:1], v3, off
.LBB30_486:
	s_mov_b32 s28, 0
.LBB30_487:
	s_delay_alu instid0(SALU_CYCLE_1)
	s_and_not1_b32 vcc_lo, exec_lo, s28
	s_cbranch_vccnz .LBB30_489
; %bb.488:
	s_wait_xcnt 0x0
	v_and_b32_e32 v3, 0xff, v2
	global_store_b16 v[0:1], v3, off
.LBB30_489:
	s_mov_b32 s28, 0
.LBB30_490:
	s_delay_alu instid0(SALU_CYCLE_1)
	s_and_not1_b32 vcc_lo, exec_lo, s28
	s_cbranch_vccnz .LBB30_495
; %bb.491:
	s_cmp_gt_i32 s21, 0
	s_mov_b32 s21, -1
	s_cbranch_scc0 .LBB30_493
; %bb.492:
	s_mov_b32 s21, 0
	global_store_b8 v[0:1], v2, off
.LBB30_493:
	s_and_not1_b32 vcc_lo, exec_lo, s21
	s_cbranch_vccnz .LBB30_495
; %bb.494:
	global_store_b8 v[0:1], v2, off
.LBB30_495:
	s_mov_b32 s29, -1
.LBB30_496:
	s_delay_alu instid0(SALU_CYCLE_1)
	s_and_not1_b32 vcc_lo, exec_lo, s29
	s_cbranch_vccnz .LBB30_498
; %bb.497:
	v_add_nc_u32_e32 v26, 0x80, v26
	s_mov_b32 s28, -1
	s_branch .LBB30_499
.LBB30_498:
	s_mov_b32 s28, 0
                                        ; implicit-def: $vgpr26
.LBB30_499:
	s_and_b32 s21, s0, exec_lo
	s_and_b32 s23, s23, exec_lo
	;; [unrolled: 1-line block ×4, first 2 shown]
	s_or_not1_b32 s30, s28, exec_lo
.LBB30_500:
	s_wait_xcnt 0x0
	s_or_b32 exec_lo, exec_lo, s26
	s_mov_b32 s29, 0
	s_mov_b32 s28, 0
                                        ; implicit-def: $sgpr0
                                        ; implicit-def: $vgpr2_vgpr3
                                        ; implicit-def: $vgpr0
	s_and_saveexec_b32 s26, s30
	s_cbranch_execz .LBB30_509
; %bb.501:
	s_mov_b32 s34, -1
	s_mov_b32 s27, s25
	s_mov_b32 s30, s24
	;; [unrolled: 1-line block ×4, first 2 shown]
	s_mov_b32 s31, exec_lo
	v_cmpx_gt_i32_e64 s22, v26
	s_cbranch_execz .LBB30_1011
; %bb.502:
	s_wait_loadcnt 0x0
	v_mul_lo_u32 v0, v26, s13
	s_and_b32 s0, s16, 0xff
	s_delay_alu instid0(SALU_CYCLE_1) | instskip(NEXT) | instid1(VALU_DEP_1)
	s_cmp_lt_i32 s0, 11
	v_ashrrev_i32_e32 v1, 31, v0
	s_delay_alu instid0(VALU_DEP_1)
	v_add_nc_u64_e32 v[2:3], s[6:7], v[0:1]
	s_cbranch_scc1 .LBB30_512
; %bb.503:
	s_and_b32 s28, 0xffff, s0
	s_delay_alu instid0(SALU_CYCLE_1)
	s_cmp_gt_i32 s28, 25
	s_cbranch_scc0 .LBB30_521
; %bb.504:
	s_cmp_gt_i32 s28, 28
	s_cbranch_scc0 .LBB30_523
; %bb.505:
	;; [unrolled: 3-line block ×4, first 2 shown]
	s_cmp_eq_u32 s28, 46
	s_mov_b32 s30, 0
	s_cbranch_scc0 .LBB30_529
; %bb.508:
	global_load_b32 v0, v[2:3], off
	s_mov_b32 s29, -1
	s_mov_b32 s27, 0
	s_wait_loadcnt 0x0
	v_lshlrev_b32_e32 v0, 16, v0
	s_delay_alu instid0(VALU_DEP_1) | instskip(NEXT) | instid1(VALU_DEP_1)
	v_trunc_f32_e32 v0, v0
	v_mul_f32_e64 v1, 0x2f800000, |v0|
	s_delay_alu instid0(VALU_DEP_1) | instskip(NEXT) | instid1(VALU_DEP_1)
	v_floor_f32_e32 v1, v1
	v_fma_f32 v1, 0xcf800000, v1, |v0|
	v_ashrrev_i32_e32 v0, 31, v0
	s_delay_alu instid0(VALU_DEP_2) | instskip(NEXT) | instid1(VALU_DEP_1)
	v_cvt_u32_f32_e32 v1, v1
	v_xor_b32_e32 v1, v1, v0
	s_delay_alu instid0(VALU_DEP_1)
	v_sub_nc_u32_e32 v0, v1, v0
	s_branch .LBB30_531
.LBB30_509:
	s_or_b32 exec_lo, exec_lo, s26
	s_mov_b32 s22, 0
	s_and_saveexec_b32 s26, s25
	s_cbranch_execnz .LBB30_1599
.LBB30_510:
	s_or_b32 exec_lo, exec_lo, s26
	s_and_saveexec_b32 s25, s27
	s_delay_alu instid0(SALU_CYCLE_1)
	s_xor_b32 s25, exec_lo, s25
	s_cbranch_execz .LBB30_1600
.LBB30_511:
	s_wait_loadcnt 0x0
	global_load_u8 v0, v[2:3], off
	s_or_b32 s28, s28, exec_lo
	s_wait_loadcnt 0x0
	v_cmp_ne_u16_e32 vcc_lo, 0, v0
	v_cndmask_b32_e64 v0, 0, 1, vcc_lo
	s_wait_xcnt 0x0
	s_or_b32 exec_lo, exec_lo, s25
	s_and_saveexec_b32 s25, s29
	s_cbranch_execz .LBB30_1646
	s_branch .LBB30_1601
.LBB30_512:
	s_mov_b32 s29, 0
	s_mov_b32 s27, s25
                                        ; implicit-def: $vgpr0
	s_cbranch_execnz .LBB30_593
.LBB30_513:
	s_and_not1_b32 vcc_lo, exec_lo, s29
	s_cbranch_vccnz .LBB30_641
.LBB30_514:
	s_wait_xcnt 0x0
	v_mul_lo_u32 v2, v26, s14
	s_and_b32 s0, s3, 0xff
	s_delay_alu instid0(SALU_CYCLE_1) | instskip(NEXT) | instid1(VALU_DEP_1)
	s_cmp_lt_i32 s0, 11
	v_ashrrev_i32_e32 v3, 31, v2
	s_delay_alu instid0(VALU_DEP_1)
	v_add_nc_u64_e32 v[4:5], s[8:9], v[2:3]
	s_cbranch_scc1 .LBB30_522
; %bb.515:
	s_and_b32 s28, 0xffff, s0
	s_delay_alu instid0(SALU_CYCLE_1)
	s_cmp_gt_i32 s28, 25
	s_cbranch_scc0 .LBB30_524
; %bb.516:
	s_cmp_gt_i32 s28, 28
	s_cbranch_scc0 .LBB30_526
; %bb.517:
	;; [unrolled: 3-line block ×4, first 2 shown]
	s_cmp_eq_u32 s28, 46
	s_mov_b32 s33, 0
	s_cbranch_scc0 .LBB30_644
; %bb.520:
	s_wait_loadcnt 0x0
	global_load_b32 v1, v[4:5], off
	s_mov_b32 s29, -1
	s_mov_b32 s30, 0
	s_wait_loadcnt 0x0
	v_lshlrev_b32_e32 v1, 16, v1
	s_delay_alu instid0(VALU_DEP_1) | instskip(NEXT) | instid1(VALU_DEP_1)
	v_trunc_f32_e32 v1, v1
	v_mul_f32_e64 v2, 0x2f800000, |v1|
	s_delay_alu instid0(VALU_DEP_1) | instskip(NEXT) | instid1(VALU_DEP_1)
	v_floor_f32_e32 v2, v2
	v_fma_f32 v2, 0xcf800000, v2, |v1|
	v_ashrrev_i32_e32 v1, 31, v1
	s_delay_alu instid0(VALU_DEP_2) | instskip(NEXT) | instid1(VALU_DEP_1)
	v_cvt_u32_f32_e32 v2, v2
	v_xor_b32_e32 v2, v2, v1
	s_delay_alu instid0(VALU_DEP_1)
	v_sub_nc_u32_e32 v2, v2, v1
	s_branch .LBB30_646
.LBB30_521:
	s_mov_b32 s30, -1
	s_mov_b32 s29, 0
	s_mov_b32 s27, s25
                                        ; implicit-def: $vgpr0
	s_branch .LBB30_559
.LBB30_522:
	s_mov_b32 s28, -1
	s_mov_b32 s29, 0
	s_mov_b32 s30, s24
                                        ; implicit-def: $vgpr2
	s_branch .LBB30_707
.LBB30_523:
	s_mov_b32 s30, -1
	s_mov_b32 s29, 0
	s_mov_b32 s27, s25
                                        ; implicit-def: $vgpr0
	s_branch .LBB30_542
.LBB30_524:
	s_mov_b32 s33, -1
	s_mov_b32 s29, 0
	s_mov_b32 s30, s24
                                        ; implicit-def: $vgpr2
	s_branch .LBB30_673
.LBB30_525:
	s_mov_b32 s30, -1
	s_mov_b32 s29, 0
	s_mov_b32 s27, s25
                                        ; implicit-def: $vgpr0
	s_branch .LBB30_537
.LBB30_526:
	s_mov_b32 s33, -1
	s_mov_b32 s29, 0
	s_mov_b32 s30, s24
                                        ; implicit-def: $vgpr2
	s_branch .LBB30_656
.LBB30_527:
	s_mov_b32 s30, -1
	s_mov_b32 s29, 0
	s_mov_b32 s27, s25
	s_branch .LBB30_530
.LBB30_528:
	s_mov_b32 s33, -1
	s_mov_b32 s29, 0
	s_mov_b32 s30, s24
                                        ; implicit-def: $vgpr2
	s_branch .LBB30_651
.LBB30_529:
	s_mov_b32 s27, -1
	s_mov_b32 s29, 0
.LBB30_530:
                                        ; implicit-def: $vgpr0
.LBB30_531:
	s_and_b32 vcc_lo, exec_lo, s30
	s_cbranch_vccz .LBB30_536
; %bb.532:
	s_cmp_eq_u32 s28, 44
	s_cbranch_scc0 .LBB30_535
; %bb.533:
	global_load_u8 v0, v[2:3], off
	s_mov_b32 s27, 0
	s_mov_b32 s29, -1
	s_wait_loadcnt 0x0
	v_lshlrev_b32_e32 v1, 23, v0
	v_cmp_ne_u32_e32 vcc_lo, 0, v0
	s_delay_alu instid0(VALU_DEP_2) | instskip(NEXT) | instid1(VALU_DEP_1)
	v_trunc_f32_e32 v1, v1
	v_mul_f32_e64 v4, 0x2f800000, |v1|
	s_delay_alu instid0(VALU_DEP_1) | instskip(NEXT) | instid1(VALU_DEP_1)
	v_floor_f32_e32 v4, v4
	v_fma_f32 v4, 0xcf800000, v4, |v1|
	v_ashrrev_i32_e32 v1, 31, v1
	s_delay_alu instid0(VALU_DEP_2) | instskip(NEXT) | instid1(VALU_DEP_1)
	v_cvt_u32_f32_e32 v4, v4
	v_xor_b32_e32 v4, v4, v1
	s_delay_alu instid0(VALU_DEP_1) | instskip(NEXT) | instid1(VALU_DEP_1)
	v_sub_nc_u32_e32 v1, v4, v1
	v_cndmask_b32_e32 v0, 0, v1, vcc_lo
	s_branch .LBB30_536
.LBB30_534:
	s_mov_b32 s33, -1
	s_mov_b32 s29, 0
	s_mov_b32 s30, s24
	s_branch .LBB30_645
.LBB30_535:
	s_mov_b32 s27, -1
                                        ; implicit-def: $vgpr0
.LBB30_536:
	s_mov_b32 s30, 0
.LBB30_537:
	s_delay_alu instid0(SALU_CYCLE_1)
	s_and_b32 vcc_lo, exec_lo, s30
	s_cbranch_vccz .LBB30_541
; %bb.538:
	s_cmp_eq_u32 s28, 29
	s_cbranch_scc0 .LBB30_540
; %bb.539:
	global_load_b64 v[0:1], v[2:3], off
	s_mov_b32 s29, -1
	s_mov_b32 s27, 0
	s_branch .LBB30_541
.LBB30_540:
	s_mov_b32 s27, -1
                                        ; implicit-def: $vgpr0
.LBB30_541:
	s_mov_b32 s30, 0
.LBB30_542:
	s_delay_alu instid0(SALU_CYCLE_1)
	s_and_b32 vcc_lo, exec_lo, s30
	s_cbranch_vccz .LBB30_558
; %bb.543:
	s_cmp_lt_i32 s28, 27
	s_cbranch_scc1 .LBB30_546
; %bb.544:
	s_cmp_gt_i32 s28, 27
	s_cbranch_scc0 .LBB30_547
; %bb.545:
	s_wait_loadcnt 0x0
	global_load_b32 v0, v[2:3], off
	s_mov_b32 s29, 0
	s_branch .LBB30_548
.LBB30_546:
	s_mov_b32 s29, -1
                                        ; implicit-def: $vgpr0
	s_branch .LBB30_551
.LBB30_547:
	s_mov_b32 s29, -1
                                        ; implicit-def: $vgpr0
.LBB30_548:
	s_delay_alu instid0(SALU_CYCLE_1)
	s_and_not1_b32 vcc_lo, exec_lo, s29
	s_cbranch_vccnz .LBB30_550
; %bb.549:
	s_wait_loadcnt 0x0
	global_load_u16 v0, v[2:3], off
.LBB30_550:
	s_mov_b32 s29, 0
.LBB30_551:
	s_delay_alu instid0(SALU_CYCLE_1)
	s_and_not1_b32 vcc_lo, exec_lo, s29
	s_cbranch_vccnz .LBB30_557
; %bb.552:
	s_wait_loadcnt 0x0
	global_load_u8 v1, v[2:3], off
	s_mov_b32 s30, 0
	s_mov_b32 s29, exec_lo
	s_wait_loadcnt 0x0
	v_cmpx_lt_i16_e32 0x7f, v1
	s_xor_b32 s29, exec_lo, s29
	s_cbranch_execz .LBB30_569
; %bb.553:
	v_cmp_ne_u16_e32 vcc_lo, 0x80, v1
	s_and_b32 s30, vcc_lo, exec_lo
	s_and_not1_saveexec_b32 s29, s29
	s_cbranch_execnz .LBB30_570
.LBB30_554:
	s_or_b32 exec_lo, exec_lo, s29
	v_mov_b32_e32 v0, 0
	s_and_saveexec_b32 s29, s30
	s_cbranch_execz .LBB30_556
.LBB30_555:
	v_and_b32_e32 v0, 0xffff, v1
	s_delay_alu instid0(VALU_DEP_1) | instskip(SKIP_1) | instid1(VALU_DEP_2)
	v_and_b32_e32 v4, 7, v0
	v_bfe_u32 v7, v0, 3, 4
	v_clz_i32_u32_e32 v5, v4
	s_delay_alu instid0(VALU_DEP_2) | instskip(NEXT) | instid1(VALU_DEP_2)
	v_cmp_eq_u32_e32 vcc_lo, 0, v7
	v_min_u32_e32 v5, 32, v5
	s_delay_alu instid0(VALU_DEP_1) | instskip(NEXT) | instid1(VALU_DEP_1)
	v_subrev_nc_u32_e32 v6, 28, v5
	v_dual_lshlrev_b32 v0, v6, v0 :: v_dual_sub_nc_u32 v5, 29, v5
	s_delay_alu instid0(VALU_DEP_1) | instskip(NEXT) | instid1(VALU_DEP_1)
	v_dual_lshlrev_b32 v1, 24, v1 :: v_dual_bitop2_b32 v0, 7, v0 bitop3:0x40
	v_dual_cndmask_b32 v0, v4, v0 :: v_dual_cndmask_b32 v5, v7, v5
	s_delay_alu instid0(VALU_DEP_2) | instskip(NEXT) | instid1(VALU_DEP_2)
	v_and_b32_e32 v1, 0x80000000, v1
	v_lshlrev_b32_e32 v0, 20, v0
	s_delay_alu instid0(VALU_DEP_3) | instskip(NEXT) | instid1(VALU_DEP_1)
	v_lshl_add_u32 v4, v5, 23, 0x3b800000
	v_or3_b32 v0, v1, v4, v0
	s_delay_alu instid0(VALU_DEP_1) | instskip(NEXT) | instid1(VALU_DEP_1)
	v_trunc_f32_e32 v0, v0
	v_mul_f32_e64 v1, 0x2f800000, |v0|
	s_delay_alu instid0(VALU_DEP_1) | instskip(NEXT) | instid1(VALU_DEP_1)
	v_floor_f32_e32 v1, v1
	v_fma_f32 v1, 0xcf800000, v1, |v0|
	v_ashrrev_i32_e32 v0, 31, v0
	s_delay_alu instid0(VALU_DEP_2) | instskip(NEXT) | instid1(VALU_DEP_1)
	v_cvt_u32_f32_e32 v1, v1
	v_xor_b32_e32 v1, v1, v0
	s_delay_alu instid0(VALU_DEP_1)
	v_sub_nc_u32_e32 v0, v1, v0
.LBB30_556:
	s_or_b32 exec_lo, exec_lo, s29
.LBB30_557:
	s_mov_b32 s29, -1
.LBB30_558:
	s_mov_b32 s30, 0
.LBB30_559:
	s_delay_alu instid0(SALU_CYCLE_1)
	s_and_b32 vcc_lo, exec_lo, s30
	s_cbranch_vccz .LBB30_592
; %bb.560:
	s_cmp_gt_i32 s28, 22
	s_cbranch_scc0 .LBB30_568
; %bb.561:
	s_cmp_lt_i32 s28, 24
	s_cbranch_scc1 .LBB30_571
; %bb.562:
	s_cmp_gt_i32 s28, 24
	s_cbranch_scc0 .LBB30_572
; %bb.563:
	s_wait_loadcnt 0x0
	global_load_u8 v1, v[2:3], off
	s_mov_b32 s30, 0
	s_mov_b32 s29, exec_lo
	s_wait_loadcnt 0x0
	v_cmpx_lt_i16_e32 0x7f, v1
	s_xor_b32 s29, exec_lo, s29
	s_cbranch_execz .LBB30_584
; %bb.564:
	v_cmp_ne_u16_e32 vcc_lo, 0x80, v1
	s_and_b32 s30, vcc_lo, exec_lo
	s_and_not1_saveexec_b32 s29, s29
	s_cbranch_execnz .LBB30_585
.LBB30_565:
	s_or_b32 exec_lo, exec_lo, s29
	v_mov_b32_e32 v0, 0
	s_and_saveexec_b32 s29, s30
	s_cbranch_execz .LBB30_567
.LBB30_566:
	v_and_b32_e32 v0, 0xffff, v1
	s_delay_alu instid0(VALU_DEP_1) | instskip(SKIP_1) | instid1(VALU_DEP_2)
	v_and_b32_e32 v4, 3, v0
	v_bfe_u32 v7, v0, 2, 5
	v_clz_i32_u32_e32 v5, v4
	s_delay_alu instid0(VALU_DEP_2) | instskip(NEXT) | instid1(VALU_DEP_2)
	v_cmp_eq_u32_e32 vcc_lo, 0, v7
	v_min_u32_e32 v5, 32, v5
	s_delay_alu instid0(VALU_DEP_1) | instskip(NEXT) | instid1(VALU_DEP_1)
	v_subrev_nc_u32_e32 v6, 29, v5
	v_dual_lshlrev_b32 v0, v6, v0 :: v_dual_sub_nc_u32 v5, 30, v5
	s_delay_alu instid0(VALU_DEP_1) | instskip(NEXT) | instid1(VALU_DEP_1)
	v_dual_lshlrev_b32 v1, 24, v1 :: v_dual_bitop2_b32 v0, 3, v0 bitop3:0x40
	v_dual_cndmask_b32 v0, v4, v0 :: v_dual_cndmask_b32 v5, v7, v5
	s_delay_alu instid0(VALU_DEP_2) | instskip(NEXT) | instid1(VALU_DEP_2)
	v_and_b32_e32 v1, 0x80000000, v1
	v_lshlrev_b32_e32 v0, 21, v0
	s_delay_alu instid0(VALU_DEP_3) | instskip(NEXT) | instid1(VALU_DEP_1)
	v_lshl_add_u32 v4, v5, 23, 0x37800000
	v_or3_b32 v0, v1, v4, v0
	s_delay_alu instid0(VALU_DEP_1) | instskip(NEXT) | instid1(VALU_DEP_1)
	v_trunc_f32_e32 v0, v0
	v_mul_f32_e64 v1, 0x2f800000, |v0|
	s_delay_alu instid0(VALU_DEP_1) | instskip(NEXT) | instid1(VALU_DEP_1)
	v_floor_f32_e32 v1, v1
	v_fma_f32 v1, 0xcf800000, v1, |v0|
	v_ashrrev_i32_e32 v0, 31, v0
	s_delay_alu instid0(VALU_DEP_2) | instskip(NEXT) | instid1(VALU_DEP_1)
	v_cvt_u32_f32_e32 v1, v1
	v_xor_b32_e32 v1, v1, v0
	s_delay_alu instid0(VALU_DEP_1)
	v_sub_nc_u32_e32 v0, v1, v0
.LBB30_567:
	s_or_b32 exec_lo, exec_lo, s29
	s_mov_b32 s29, 0
	s_branch .LBB30_573
.LBB30_568:
	s_mov_b32 s30, -1
                                        ; implicit-def: $vgpr0
	s_branch .LBB30_579
.LBB30_569:
	s_and_not1_saveexec_b32 s29, s29
	s_cbranch_execz .LBB30_554
.LBB30_570:
	v_cmp_ne_u16_e32 vcc_lo, 0, v1
	s_and_not1_b32 s30, s30, exec_lo
	s_and_b32 s33, vcc_lo, exec_lo
	s_delay_alu instid0(SALU_CYCLE_1)
	s_or_b32 s30, s30, s33
	s_or_b32 exec_lo, exec_lo, s29
	v_mov_b32_e32 v0, 0
	s_and_saveexec_b32 s29, s30
	s_cbranch_execnz .LBB30_555
	s_branch .LBB30_556
.LBB30_571:
	s_mov_b32 s29, -1
                                        ; implicit-def: $vgpr0
	s_branch .LBB30_576
.LBB30_572:
	s_mov_b32 s29, -1
                                        ; implicit-def: $vgpr0
.LBB30_573:
	s_delay_alu instid0(SALU_CYCLE_1)
	s_and_b32 vcc_lo, exec_lo, s29
	s_cbranch_vccz .LBB30_575
; %bb.574:
	s_wait_loadcnt 0x0
	global_load_u8 v0, v[2:3], off
	s_wait_loadcnt 0x0
	v_lshlrev_b32_e32 v0, 24, v0
	s_delay_alu instid0(VALU_DEP_1) | instskip(NEXT) | instid1(VALU_DEP_1)
	v_and_b32_e32 v1, 0x7f000000, v0
	v_clz_i32_u32_e32 v4, v1
	v_cmp_ne_u32_e32 vcc_lo, 0, v1
	v_add_nc_u32_e32 v6, 0x1000000, v1
	s_delay_alu instid0(VALU_DEP_3) | instskip(NEXT) | instid1(VALU_DEP_1)
	v_min_u32_e32 v4, 32, v4
	v_sub_nc_u32_e64 v4, v4, 4 clamp
	s_delay_alu instid0(VALU_DEP_1) | instskip(NEXT) | instid1(VALU_DEP_1)
	v_dual_lshlrev_b32 v5, v4, v1 :: v_dual_lshlrev_b32 v4, 23, v4
	v_lshrrev_b32_e32 v5, 4, v5
	s_delay_alu instid0(VALU_DEP_1) | instskip(NEXT) | instid1(VALU_DEP_1)
	v_dual_sub_nc_u32 v4, v5, v4 :: v_dual_ashrrev_i32 v5, 8, v6
	v_add_nc_u32_e32 v4, 0x3c000000, v4
	s_delay_alu instid0(VALU_DEP_1) | instskip(NEXT) | instid1(VALU_DEP_1)
	v_and_or_b32 v4, 0x7f800000, v5, v4
	v_cndmask_b32_e32 v1, 0, v4, vcc_lo
	s_delay_alu instid0(VALU_DEP_1) | instskip(NEXT) | instid1(VALU_DEP_1)
	v_and_or_b32 v0, 0x80000000, v0, v1
	v_trunc_f32_e32 v0, v0
	s_delay_alu instid0(VALU_DEP_1) | instskip(NEXT) | instid1(VALU_DEP_1)
	v_mul_f32_e64 v1, 0x2f800000, |v0|
	v_floor_f32_e32 v1, v1
	s_delay_alu instid0(VALU_DEP_1) | instskip(SKIP_1) | instid1(VALU_DEP_2)
	v_fma_f32 v1, 0xcf800000, v1, |v0|
	v_ashrrev_i32_e32 v0, 31, v0
	v_cvt_u32_f32_e32 v1, v1
	s_delay_alu instid0(VALU_DEP_1) | instskip(NEXT) | instid1(VALU_DEP_1)
	v_xor_b32_e32 v1, v1, v0
	v_sub_nc_u32_e32 v0, v1, v0
.LBB30_575:
	s_mov_b32 s29, 0
.LBB30_576:
	s_delay_alu instid0(SALU_CYCLE_1)
	s_and_not1_b32 vcc_lo, exec_lo, s29
	s_cbranch_vccnz .LBB30_578
; %bb.577:
	s_wait_loadcnt 0x0
	global_load_u8 v0, v[2:3], off
	s_wait_loadcnt 0x0
	v_lshlrev_b32_e32 v1, 25, v0
	v_lshlrev_b16 v0, 8, v0
	s_delay_alu instid0(VALU_DEP_1) | instskip(SKIP_1) | instid1(VALU_DEP_2)
	v_and_or_b32 v5, 0x7f00, v0, 0.5
	v_bfe_i32 v0, v0, 0, 16
	v_add_f32_e32 v5, -0.5, v5
	v_lshrrev_b32_e32 v4, 4, v1
	v_cmp_gt_u32_e32 vcc_lo, 0x8000000, v1
	s_delay_alu instid0(VALU_DEP_2) | instskip(NEXT) | instid1(VALU_DEP_1)
	v_or_b32_e32 v4, 0x70000000, v4
	v_mul_f32_e32 v4, 0x7800000, v4
	s_delay_alu instid0(VALU_DEP_1) | instskip(NEXT) | instid1(VALU_DEP_1)
	v_cndmask_b32_e32 v1, v4, v5, vcc_lo
	v_and_or_b32 v0, 0x80000000, v0, v1
	s_delay_alu instid0(VALU_DEP_1) | instskip(NEXT) | instid1(VALU_DEP_1)
	v_trunc_f32_e32 v0, v0
	v_mul_f32_e64 v1, 0x2f800000, |v0|
	s_delay_alu instid0(VALU_DEP_1) | instskip(NEXT) | instid1(VALU_DEP_1)
	v_floor_f32_e32 v1, v1
	v_fma_f32 v1, 0xcf800000, v1, |v0|
	v_ashrrev_i32_e32 v0, 31, v0
	s_delay_alu instid0(VALU_DEP_2) | instskip(NEXT) | instid1(VALU_DEP_1)
	v_cvt_u32_f32_e32 v1, v1
	v_xor_b32_e32 v1, v1, v0
	s_delay_alu instid0(VALU_DEP_1)
	v_sub_nc_u32_e32 v0, v1, v0
.LBB30_578:
	s_mov_b32 s30, 0
	s_mov_b32 s29, -1
.LBB30_579:
	s_and_not1_b32 vcc_lo, exec_lo, s30
	s_cbranch_vccnz .LBB30_592
; %bb.580:
	s_cmp_gt_i32 s28, 14
	s_cbranch_scc0 .LBB30_583
; %bb.581:
	s_cmp_eq_u32 s28, 15
	s_cbranch_scc0 .LBB30_586
; %bb.582:
	s_wait_loadcnt 0x0
	global_load_u16 v0, v[2:3], off
	s_mov_b32 s29, -1
	s_mov_b32 s27, 0
	s_wait_loadcnt 0x0
	v_lshlrev_b32_e32 v0, 16, v0
	s_delay_alu instid0(VALU_DEP_1) | instskip(NEXT) | instid1(VALU_DEP_1)
	v_trunc_f32_e32 v0, v0
	v_mul_f32_e64 v1, 0x2f800000, |v0|
	s_delay_alu instid0(VALU_DEP_1) | instskip(NEXT) | instid1(VALU_DEP_1)
	v_floor_f32_e32 v1, v1
	v_fma_f32 v1, 0xcf800000, v1, |v0|
	v_ashrrev_i32_e32 v0, 31, v0
	s_delay_alu instid0(VALU_DEP_2) | instskip(NEXT) | instid1(VALU_DEP_1)
	v_cvt_u32_f32_e32 v1, v1
	v_xor_b32_e32 v1, v1, v0
	s_delay_alu instid0(VALU_DEP_1)
	v_sub_nc_u32_e32 v0, v1, v0
	s_branch .LBB30_587
.LBB30_583:
	s_mov_b32 s30, -1
                                        ; implicit-def: $vgpr0
	s_branch .LBB30_588
.LBB30_584:
	s_and_not1_saveexec_b32 s29, s29
	s_cbranch_execz .LBB30_565
.LBB30_585:
	v_cmp_ne_u16_e32 vcc_lo, 0, v1
	s_and_not1_b32 s30, s30, exec_lo
	s_and_b32 s33, vcc_lo, exec_lo
	s_delay_alu instid0(SALU_CYCLE_1)
	s_or_b32 s30, s30, s33
	s_or_b32 exec_lo, exec_lo, s29
	v_mov_b32_e32 v0, 0
	s_and_saveexec_b32 s29, s30
	s_cbranch_execnz .LBB30_566
	s_branch .LBB30_567
.LBB30_586:
	s_mov_b32 s27, -1
                                        ; implicit-def: $vgpr0
.LBB30_587:
	s_mov_b32 s30, 0
.LBB30_588:
	s_delay_alu instid0(SALU_CYCLE_1)
	s_and_b32 vcc_lo, exec_lo, s30
	s_cbranch_vccz .LBB30_592
; %bb.589:
	s_cmp_eq_u32 s28, 11
	s_cbranch_scc0 .LBB30_591
; %bb.590:
	s_wait_loadcnt 0x0
	global_load_u8 v0, v[2:3], off
	s_mov_b32 s27, 0
	s_mov_b32 s29, -1
	s_wait_loadcnt 0x0
	v_cmp_ne_u16_e32 vcc_lo, 0, v0
	v_cndmask_b32_e64 v0, 0, 1, vcc_lo
	s_branch .LBB30_592
.LBB30_591:
	s_mov_b32 s27, -1
                                        ; implicit-def: $vgpr0
.LBB30_592:
	s_branch .LBB30_513
.LBB30_593:
	s_and_b32 s0, 0xffff, s0
	s_delay_alu instid0(SALU_CYCLE_1)
	s_cmp_lt_i32 s0, 5
	s_cbranch_scc1 .LBB30_598
; %bb.594:
	s_cmp_lt_i32 s0, 8
	s_cbranch_scc1 .LBB30_599
; %bb.595:
	;; [unrolled: 3-line block ×3, first 2 shown]
	s_cmp_gt_i32 s0, 9
	s_cbranch_scc0 .LBB30_601
; %bb.597:
	s_wait_loadcnt 0x0
	global_load_b64 v[0:1], v[2:3], off
	s_mov_b32 s28, 0
	s_wait_loadcnt 0x0
	v_trunc_f64_e32 v[0:1], v[0:1]
	s_delay_alu instid0(VALU_DEP_1) | instskip(NEXT) | instid1(VALU_DEP_1)
	v_ldexp_f64 v[4:5], v[0:1], 0xffffffe0
	v_floor_f64_e32 v[4:5], v[4:5]
	s_delay_alu instid0(VALU_DEP_1) | instskip(NEXT) | instid1(VALU_DEP_1)
	v_fmamk_f64 v[0:1], v[4:5], 0xc1f00000, v[0:1]
	v_cvt_u32_f64_e32 v0, v[0:1]
	s_branch .LBB30_602
.LBB30_598:
	s_mov_b32 s28, -1
                                        ; implicit-def: $vgpr0
	s_branch .LBB30_620
.LBB30_599:
	s_mov_b32 s28, -1
                                        ; implicit-def: $vgpr0
	s_branch .LBB30_608
.LBB30_600:
	s_mov_b32 s28, -1
                                        ; implicit-def: $vgpr0
	s_branch .LBB30_605
.LBB30_601:
	s_mov_b32 s28, -1
                                        ; implicit-def: $vgpr0
.LBB30_602:
	s_delay_alu instid0(SALU_CYCLE_1)
	s_and_not1_b32 vcc_lo, exec_lo, s28
	s_cbranch_vccnz .LBB30_604
; %bb.603:
	s_wait_loadcnt 0x0
	global_load_b32 v0, v[2:3], off
	s_wait_loadcnt 0x0
	v_trunc_f32_e32 v0, v0
	s_delay_alu instid0(VALU_DEP_1) | instskip(NEXT) | instid1(VALU_DEP_1)
	v_mul_f32_e64 v1, 0x2f800000, |v0|
	v_floor_f32_e32 v1, v1
	s_delay_alu instid0(VALU_DEP_1) | instskip(SKIP_1) | instid1(VALU_DEP_2)
	v_fma_f32 v1, 0xcf800000, v1, |v0|
	v_ashrrev_i32_e32 v0, 31, v0
	v_cvt_u32_f32_e32 v1, v1
	s_delay_alu instid0(VALU_DEP_1) | instskip(NEXT) | instid1(VALU_DEP_1)
	v_xor_b32_e32 v1, v1, v0
	v_sub_nc_u32_e32 v0, v1, v0
.LBB30_604:
	s_mov_b32 s28, 0
.LBB30_605:
	s_delay_alu instid0(SALU_CYCLE_1)
	s_and_not1_b32 vcc_lo, exec_lo, s28
	s_cbranch_vccnz .LBB30_607
; %bb.606:
	s_wait_loadcnt 0x0
	global_load_b32 v0, v[2:3], off
	s_wait_loadcnt 0x0
	v_cvt_f32_f16_e32 v0, v0
	s_delay_alu instid0(VALU_DEP_1)
	v_cvt_i32_f32_e32 v0, v0
.LBB30_607:
	s_mov_b32 s28, 0
.LBB30_608:
	s_delay_alu instid0(SALU_CYCLE_1)
	s_and_not1_b32 vcc_lo, exec_lo, s28
	s_cbranch_vccnz .LBB30_619
; %bb.609:
	s_cmp_lt_i32 s0, 6
	s_cbranch_scc1 .LBB30_612
; %bb.610:
	s_cmp_gt_i32 s0, 6
	s_cbranch_scc0 .LBB30_613
; %bb.611:
	s_wait_loadcnt 0x0
	global_load_b64 v[0:1], v[2:3], off
	s_mov_b32 s28, 0
	s_wait_loadcnt 0x0
	v_trunc_f64_e32 v[0:1], v[0:1]
	s_delay_alu instid0(VALU_DEP_1) | instskip(NEXT) | instid1(VALU_DEP_1)
	v_ldexp_f64 v[4:5], v[0:1], 0xffffffe0
	v_floor_f64_e32 v[4:5], v[4:5]
	s_delay_alu instid0(VALU_DEP_1) | instskip(NEXT) | instid1(VALU_DEP_1)
	v_fmamk_f64 v[0:1], v[4:5], 0xc1f00000, v[0:1]
	v_cvt_u32_f64_e32 v0, v[0:1]
	s_branch .LBB30_614
.LBB30_612:
	s_mov_b32 s28, -1
                                        ; implicit-def: $vgpr0
	s_branch .LBB30_617
.LBB30_613:
	s_mov_b32 s28, -1
                                        ; implicit-def: $vgpr0
.LBB30_614:
	s_delay_alu instid0(SALU_CYCLE_1)
	s_and_not1_b32 vcc_lo, exec_lo, s28
	s_cbranch_vccnz .LBB30_616
; %bb.615:
	s_wait_loadcnt 0x0
	global_load_b32 v0, v[2:3], off
	s_wait_loadcnt 0x0
	v_trunc_f32_e32 v0, v0
	s_delay_alu instid0(VALU_DEP_1) | instskip(NEXT) | instid1(VALU_DEP_1)
	v_mul_f32_e64 v1, 0x2f800000, |v0|
	v_floor_f32_e32 v1, v1
	s_delay_alu instid0(VALU_DEP_1) | instskip(SKIP_1) | instid1(VALU_DEP_2)
	v_fma_f32 v1, 0xcf800000, v1, |v0|
	v_ashrrev_i32_e32 v0, 31, v0
	v_cvt_u32_f32_e32 v1, v1
	s_delay_alu instid0(VALU_DEP_1) | instskip(NEXT) | instid1(VALU_DEP_1)
	v_xor_b32_e32 v1, v1, v0
	v_sub_nc_u32_e32 v0, v1, v0
.LBB30_616:
	s_mov_b32 s28, 0
.LBB30_617:
	s_delay_alu instid0(SALU_CYCLE_1)
	s_and_not1_b32 vcc_lo, exec_lo, s28
	s_cbranch_vccnz .LBB30_619
; %bb.618:
	s_wait_loadcnt 0x0
	global_load_u16 v0, v[2:3], off
	s_wait_loadcnt 0x0
	v_cvt_f32_f16_e32 v0, v0
	s_delay_alu instid0(VALU_DEP_1)
	v_cvt_i32_f32_e32 v0, v0
.LBB30_619:
	s_mov_b32 s28, 0
.LBB30_620:
	s_delay_alu instid0(SALU_CYCLE_1)
	s_and_not1_b32 vcc_lo, exec_lo, s28
	s_cbranch_vccnz .LBB30_640
; %bb.621:
	s_cmp_lt_i32 s0, 2
	s_cbranch_scc1 .LBB30_625
; %bb.622:
	s_cmp_lt_i32 s0, 3
	s_cbranch_scc1 .LBB30_626
; %bb.623:
	s_cmp_gt_i32 s0, 3
	s_cbranch_scc0 .LBB30_627
; %bb.624:
	s_wait_loadcnt 0x0
	global_load_b64 v[0:1], v[2:3], off
	s_mov_b32 s28, 0
	s_branch .LBB30_628
.LBB30_625:
	s_mov_b32 s28, -1
                                        ; implicit-def: $vgpr0
	s_branch .LBB30_634
.LBB30_626:
	s_mov_b32 s28, -1
                                        ; implicit-def: $vgpr0
	s_branch .LBB30_631
.LBB30_627:
	s_mov_b32 s28, -1
                                        ; implicit-def: $vgpr0
.LBB30_628:
	s_delay_alu instid0(SALU_CYCLE_1)
	s_and_not1_b32 vcc_lo, exec_lo, s28
	s_cbranch_vccnz .LBB30_630
; %bb.629:
	s_wait_loadcnt 0x0
	global_load_b32 v0, v[2:3], off
.LBB30_630:
	s_mov_b32 s28, 0
.LBB30_631:
	s_delay_alu instid0(SALU_CYCLE_1)
	s_and_not1_b32 vcc_lo, exec_lo, s28
	s_cbranch_vccnz .LBB30_633
; %bb.632:
	s_wait_loadcnt 0x0
	global_load_u16 v0, v[2:3], off
.LBB30_633:
	s_mov_b32 s28, 0
.LBB30_634:
	s_delay_alu instid0(SALU_CYCLE_1)
	s_and_not1_b32 vcc_lo, exec_lo, s28
	s_cbranch_vccnz .LBB30_640
; %bb.635:
	s_cmp_gt_i32 s0, 0
	s_mov_b32 s0, 0
	s_cbranch_scc0 .LBB30_637
; %bb.636:
	s_wait_loadcnt 0x0
	global_load_u8 v0, v[2:3], off
	s_branch .LBB30_638
.LBB30_637:
	s_mov_b32 s0, -1
                                        ; implicit-def: $vgpr0
.LBB30_638:
	s_delay_alu instid0(SALU_CYCLE_1)
	s_and_not1_b32 vcc_lo, exec_lo, s0
	s_cbranch_vccnz .LBB30_640
; %bb.639:
	s_wait_loadcnt 0x0
	global_load_u8 v0, v[2:3], off
.LBB30_640:
	s_branch .LBB30_514
.LBB30_641:
	s_mov_b32 s33, 0
	s_mov_b32 s0, s21
	;; [unrolled: 1-line block ×4, first 2 shown]
	s_branch .LBB30_1009
.LBB30_642:
	s_and_not1_saveexec_b32 s31, s31
	s_cbranch_execz .LBB30_409
.LBB30_643:
	v_add_f32_e32 v3, 0x46000000, v4
	s_and_not1_b32 s30, s30, exec_lo
	s_delay_alu instid0(VALU_DEP_1) | instskip(NEXT) | instid1(VALU_DEP_1)
	v_and_b32_e32 v3, 0xff, v3
	v_cmp_ne_u32_e32 vcc_lo, 0, v3
	s_and_b32 s33, vcc_lo, exec_lo
	s_delay_alu instid0(SALU_CYCLE_1)
	s_or_b32 s30, s30, s33
	s_or_b32 exec_lo, exec_lo, s31
	v_mov_b32_e32 v5, 0
	s_and_saveexec_b32 s31, s30
	s_cbranch_execnz .LBB30_410
	s_branch .LBB30_411
.LBB30_644:
	s_mov_b32 s30, -1
	s_mov_b32 s29, 0
.LBB30_645:
                                        ; implicit-def: $vgpr2
.LBB30_646:
	s_and_b32 vcc_lo, exec_lo, s33
	s_cbranch_vccz .LBB30_650
; %bb.647:
	s_cmp_eq_u32 s28, 44
	s_cbranch_scc0 .LBB30_649
; %bb.648:
	s_wait_loadcnt 0x0
	global_load_u8 v1, v[4:5], off
	s_mov_b32 s30, 0
	s_mov_b32 s29, -1
	s_wait_loadcnt 0x0
	v_lshlrev_b32_e32 v2, 23, v1
	v_cmp_ne_u32_e32 vcc_lo, 0, v1
	s_delay_alu instid0(VALU_DEP_2) | instskip(NEXT) | instid1(VALU_DEP_1)
	v_trunc_f32_e32 v2, v2
	v_mul_f32_e64 v3, 0x2f800000, |v2|
	s_delay_alu instid0(VALU_DEP_1) | instskip(NEXT) | instid1(VALU_DEP_1)
	v_floor_f32_e32 v3, v3
	v_fma_f32 v3, 0xcf800000, v3, |v2|
	v_ashrrev_i32_e32 v2, 31, v2
	s_delay_alu instid0(VALU_DEP_2) | instskip(NEXT) | instid1(VALU_DEP_1)
	v_cvt_u32_f32_e32 v3, v3
	v_xor_b32_e32 v3, v3, v2
	s_delay_alu instid0(VALU_DEP_1) | instskip(NEXT) | instid1(VALU_DEP_1)
	v_sub_nc_u32_e32 v2, v3, v2
	v_cndmask_b32_e32 v2, 0, v2, vcc_lo
	s_branch .LBB30_650
.LBB30_649:
	s_mov_b32 s30, -1
                                        ; implicit-def: $vgpr2
.LBB30_650:
	s_mov_b32 s33, 0
.LBB30_651:
	s_delay_alu instid0(SALU_CYCLE_1)
	s_and_b32 vcc_lo, exec_lo, s33
	s_cbranch_vccz .LBB30_655
; %bb.652:
	s_cmp_eq_u32 s28, 29
	s_cbranch_scc0 .LBB30_654
; %bb.653:
	global_load_b64 v[2:3], v[4:5], off
	s_mov_b32 s29, -1
	s_mov_b32 s30, 0
	s_branch .LBB30_655
.LBB30_654:
	s_mov_b32 s30, -1
                                        ; implicit-def: $vgpr2
.LBB30_655:
	s_mov_b32 s33, 0
.LBB30_656:
	s_delay_alu instid0(SALU_CYCLE_1)
	s_and_b32 vcc_lo, exec_lo, s33
	s_cbranch_vccz .LBB30_672
; %bb.657:
	s_cmp_lt_i32 s28, 27
	s_cbranch_scc1 .LBB30_660
; %bb.658:
	s_cmp_gt_i32 s28, 27
	s_cbranch_scc0 .LBB30_661
; %bb.659:
	s_wait_loadcnt 0x0
	global_load_b32 v2, v[4:5], off
	s_mov_b32 s29, 0
	s_branch .LBB30_662
.LBB30_660:
	s_mov_b32 s29, -1
                                        ; implicit-def: $vgpr2
	s_branch .LBB30_665
.LBB30_661:
	s_mov_b32 s29, -1
                                        ; implicit-def: $vgpr2
.LBB30_662:
	s_delay_alu instid0(SALU_CYCLE_1)
	s_and_not1_b32 vcc_lo, exec_lo, s29
	s_cbranch_vccnz .LBB30_664
; %bb.663:
	s_wait_loadcnt 0x0
	global_load_u16 v2, v[4:5], off
.LBB30_664:
	s_mov_b32 s29, 0
.LBB30_665:
	s_delay_alu instid0(SALU_CYCLE_1)
	s_and_not1_b32 vcc_lo, exec_lo, s29
	s_cbranch_vccnz .LBB30_671
; %bb.666:
	s_wait_loadcnt 0x0
	global_load_u8 v1, v[4:5], off
	s_mov_b32 s33, 0
	s_mov_b32 s29, exec_lo
	s_wait_loadcnt 0x0
	v_cmpx_lt_i16_e32 0x7f, v1
	s_xor_b32 s29, exec_lo, s29
	s_cbranch_execz .LBB30_683
; %bb.667:
	v_cmp_ne_u16_e32 vcc_lo, 0x80, v1
	s_and_b32 s33, vcc_lo, exec_lo
	s_and_not1_saveexec_b32 s29, s29
	s_cbranch_execnz .LBB30_684
.LBB30_668:
	s_or_b32 exec_lo, exec_lo, s29
	v_mov_b32_e32 v2, 0
	s_and_saveexec_b32 s29, s33
	s_cbranch_execz .LBB30_670
.LBB30_669:
	v_and_b32_e32 v2, 0xffff, v1
	s_delay_alu instid0(VALU_DEP_1) | instskip(SKIP_1) | instid1(VALU_DEP_2)
	v_dual_lshlrev_b32 v1, 24, v1 :: v_dual_bitop2_b32 v3, 7, v2 bitop3:0x40
	v_bfe_u32 v8, v2, 3, 4
	v_and_b32_e32 v1, 0x80000000, v1
	s_delay_alu instid0(VALU_DEP_3) | instskip(NEXT) | instid1(VALU_DEP_3)
	v_clz_i32_u32_e32 v6, v3
	v_cmp_eq_u32_e32 vcc_lo, 0, v8
	s_delay_alu instid0(VALU_DEP_2) | instskip(NEXT) | instid1(VALU_DEP_1)
	v_min_u32_e32 v6, 32, v6
	v_subrev_nc_u32_e32 v7, 28, v6
	v_sub_nc_u32_e32 v6, 29, v6
	s_delay_alu instid0(VALU_DEP_2) | instskip(NEXT) | instid1(VALU_DEP_2)
	v_lshlrev_b32_e32 v2, v7, v2
	v_cndmask_b32_e32 v6, v8, v6, vcc_lo
	s_delay_alu instid0(VALU_DEP_2) | instskip(NEXT) | instid1(VALU_DEP_1)
	v_and_b32_e32 v2, 7, v2
	v_cndmask_b32_e32 v2, v3, v2, vcc_lo
	s_delay_alu instid0(VALU_DEP_3) | instskip(NEXT) | instid1(VALU_DEP_2)
	v_lshl_add_u32 v3, v6, 23, 0x3b800000
	v_lshlrev_b32_e32 v2, 20, v2
	s_delay_alu instid0(VALU_DEP_1) | instskip(NEXT) | instid1(VALU_DEP_1)
	v_or3_b32 v1, v1, v3, v2
	v_trunc_f32_e32 v1, v1
	s_delay_alu instid0(VALU_DEP_1) | instskip(NEXT) | instid1(VALU_DEP_1)
	v_mul_f32_e64 v2, 0x2f800000, |v1|
	v_floor_f32_e32 v2, v2
	s_delay_alu instid0(VALU_DEP_1) | instskip(SKIP_1) | instid1(VALU_DEP_2)
	v_fma_f32 v2, 0xcf800000, v2, |v1|
	v_ashrrev_i32_e32 v1, 31, v1
	v_cvt_u32_f32_e32 v2, v2
	s_delay_alu instid0(VALU_DEP_1) | instskip(NEXT) | instid1(VALU_DEP_1)
	v_xor_b32_e32 v2, v2, v1
	v_sub_nc_u32_e32 v2, v2, v1
.LBB30_670:
	s_or_b32 exec_lo, exec_lo, s29
.LBB30_671:
	s_mov_b32 s29, -1
.LBB30_672:
	s_mov_b32 s33, 0
.LBB30_673:
	s_delay_alu instid0(SALU_CYCLE_1)
	s_and_b32 vcc_lo, exec_lo, s33
	s_cbranch_vccz .LBB30_706
; %bb.674:
	s_cmp_gt_i32 s28, 22
	s_cbranch_scc0 .LBB30_682
; %bb.675:
	s_cmp_lt_i32 s28, 24
	s_cbranch_scc1 .LBB30_685
; %bb.676:
	s_cmp_gt_i32 s28, 24
	s_cbranch_scc0 .LBB30_686
; %bb.677:
	s_wait_loadcnt 0x0
	global_load_u8 v1, v[4:5], off
	s_mov_b32 s33, 0
	s_mov_b32 s29, exec_lo
	s_wait_loadcnt 0x0
	v_cmpx_lt_i16_e32 0x7f, v1
	s_xor_b32 s29, exec_lo, s29
	s_cbranch_execz .LBB30_698
; %bb.678:
	v_cmp_ne_u16_e32 vcc_lo, 0x80, v1
	s_and_b32 s33, vcc_lo, exec_lo
	s_and_not1_saveexec_b32 s29, s29
	s_cbranch_execnz .LBB30_699
.LBB30_679:
	s_or_b32 exec_lo, exec_lo, s29
	v_mov_b32_e32 v2, 0
	s_and_saveexec_b32 s29, s33
	s_cbranch_execz .LBB30_681
.LBB30_680:
	v_and_b32_e32 v2, 0xffff, v1
	s_delay_alu instid0(VALU_DEP_1) | instskip(SKIP_1) | instid1(VALU_DEP_2)
	v_dual_lshlrev_b32 v1, 24, v1 :: v_dual_bitop2_b32 v3, 3, v2 bitop3:0x40
	v_bfe_u32 v8, v2, 2, 5
	v_and_b32_e32 v1, 0x80000000, v1
	s_delay_alu instid0(VALU_DEP_3) | instskip(NEXT) | instid1(VALU_DEP_3)
	v_clz_i32_u32_e32 v6, v3
	v_cmp_eq_u32_e32 vcc_lo, 0, v8
	s_delay_alu instid0(VALU_DEP_2) | instskip(NEXT) | instid1(VALU_DEP_1)
	v_min_u32_e32 v6, 32, v6
	v_subrev_nc_u32_e32 v7, 29, v6
	v_sub_nc_u32_e32 v6, 30, v6
	s_delay_alu instid0(VALU_DEP_2) | instskip(NEXT) | instid1(VALU_DEP_2)
	v_lshlrev_b32_e32 v2, v7, v2
	v_cndmask_b32_e32 v6, v8, v6, vcc_lo
	s_delay_alu instid0(VALU_DEP_2) | instskip(NEXT) | instid1(VALU_DEP_1)
	v_and_b32_e32 v2, 3, v2
	v_cndmask_b32_e32 v2, v3, v2, vcc_lo
	s_delay_alu instid0(VALU_DEP_3) | instskip(NEXT) | instid1(VALU_DEP_2)
	v_lshl_add_u32 v3, v6, 23, 0x37800000
	v_lshlrev_b32_e32 v2, 21, v2
	s_delay_alu instid0(VALU_DEP_1) | instskip(NEXT) | instid1(VALU_DEP_1)
	v_or3_b32 v1, v1, v3, v2
	v_trunc_f32_e32 v1, v1
	s_delay_alu instid0(VALU_DEP_1) | instskip(NEXT) | instid1(VALU_DEP_1)
	v_mul_f32_e64 v2, 0x2f800000, |v1|
	v_floor_f32_e32 v2, v2
	s_delay_alu instid0(VALU_DEP_1) | instskip(SKIP_1) | instid1(VALU_DEP_2)
	v_fma_f32 v2, 0xcf800000, v2, |v1|
	v_ashrrev_i32_e32 v1, 31, v1
	v_cvt_u32_f32_e32 v2, v2
	s_delay_alu instid0(VALU_DEP_1) | instskip(NEXT) | instid1(VALU_DEP_1)
	v_xor_b32_e32 v2, v2, v1
	v_sub_nc_u32_e32 v2, v2, v1
.LBB30_681:
	s_or_b32 exec_lo, exec_lo, s29
	s_mov_b32 s29, 0
	s_branch .LBB30_687
.LBB30_682:
	s_mov_b32 s33, -1
                                        ; implicit-def: $vgpr2
	s_branch .LBB30_693
.LBB30_683:
	s_and_not1_saveexec_b32 s29, s29
	s_cbranch_execz .LBB30_668
.LBB30_684:
	v_cmp_ne_u16_e32 vcc_lo, 0, v1
	s_and_not1_b32 s33, s33, exec_lo
	s_and_b32 s34, vcc_lo, exec_lo
	s_delay_alu instid0(SALU_CYCLE_1)
	s_or_b32 s33, s33, s34
	s_or_b32 exec_lo, exec_lo, s29
	v_mov_b32_e32 v2, 0
	s_and_saveexec_b32 s29, s33
	s_cbranch_execnz .LBB30_669
	s_branch .LBB30_670
.LBB30_685:
	s_mov_b32 s29, -1
                                        ; implicit-def: $vgpr2
	s_branch .LBB30_690
.LBB30_686:
	s_mov_b32 s29, -1
                                        ; implicit-def: $vgpr2
.LBB30_687:
	s_delay_alu instid0(SALU_CYCLE_1)
	s_and_b32 vcc_lo, exec_lo, s29
	s_cbranch_vccz .LBB30_689
; %bb.688:
	s_wait_loadcnt 0x0
	global_load_u8 v1, v[4:5], off
	s_wait_loadcnt 0x0
	v_lshlrev_b32_e32 v1, 24, v1
	s_delay_alu instid0(VALU_DEP_1) | instskip(NEXT) | instid1(VALU_DEP_1)
	v_and_b32_e32 v2, 0x7f000000, v1
	v_clz_i32_u32_e32 v3, v2
	v_cmp_ne_u32_e32 vcc_lo, 0, v2
	v_add_nc_u32_e32 v7, 0x1000000, v2
	s_delay_alu instid0(VALU_DEP_3) | instskip(NEXT) | instid1(VALU_DEP_1)
	v_min_u32_e32 v3, 32, v3
	v_sub_nc_u32_e64 v3, v3, 4 clamp
	s_delay_alu instid0(VALU_DEP_1) | instskip(NEXT) | instid1(VALU_DEP_1)
	v_dual_lshlrev_b32 v6, v3, v2 :: v_dual_lshlrev_b32 v3, 23, v3
	v_lshrrev_b32_e32 v6, 4, v6
	s_delay_alu instid0(VALU_DEP_1) | instskip(SKIP_1) | instid1(VALU_DEP_2)
	v_sub_nc_u32_e32 v3, v6, v3
	v_ashrrev_i32_e32 v6, 8, v7
	v_add_nc_u32_e32 v3, 0x3c000000, v3
	s_delay_alu instid0(VALU_DEP_1) | instskip(NEXT) | instid1(VALU_DEP_1)
	v_and_or_b32 v3, 0x7f800000, v6, v3
	v_cndmask_b32_e32 v2, 0, v3, vcc_lo
	s_delay_alu instid0(VALU_DEP_1) | instskip(NEXT) | instid1(VALU_DEP_1)
	v_and_or_b32 v1, 0x80000000, v1, v2
	v_trunc_f32_e32 v1, v1
	s_delay_alu instid0(VALU_DEP_1) | instskip(NEXT) | instid1(VALU_DEP_1)
	v_mul_f32_e64 v2, 0x2f800000, |v1|
	v_floor_f32_e32 v2, v2
	s_delay_alu instid0(VALU_DEP_1) | instskip(SKIP_1) | instid1(VALU_DEP_2)
	v_fma_f32 v2, 0xcf800000, v2, |v1|
	v_ashrrev_i32_e32 v1, 31, v1
	v_cvt_u32_f32_e32 v2, v2
	s_delay_alu instid0(VALU_DEP_1) | instskip(NEXT) | instid1(VALU_DEP_1)
	v_xor_b32_e32 v2, v2, v1
	v_sub_nc_u32_e32 v2, v2, v1
.LBB30_689:
	s_mov_b32 s29, 0
.LBB30_690:
	s_delay_alu instid0(SALU_CYCLE_1)
	s_and_not1_b32 vcc_lo, exec_lo, s29
	s_cbranch_vccnz .LBB30_692
; %bb.691:
	s_wait_loadcnt 0x0
	global_load_u8 v1, v[4:5], off
	s_wait_loadcnt 0x0
	v_lshlrev_b32_e32 v2, 25, v1
	v_lshlrev_b16 v1, 8, v1
	s_delay_alu instid0(VALU_DEP_1) | instskip(SKIP_1) | instid1(VALU_DEP_2)
	v_and_or_b32 v6, 0x7f00, v1, 0.5
	v_bfe_i32 v1, v1, 0, 16
	v_add_f32_e32 v6, -0.5, v6
	v_lshrrev_b32_e32 v3, 4, v2
	v_cmp_gt_u32_e32 vcc_lo, 0x8000000, v2
	s_delay_alu instid0(VALU_DEP_2) | instskip(NEXT) | instid1(VALU_DEP_1)
	v_or_b32_e32 v3, 0x70000000, v3
	v_mul_f32_e32 v3, 0x7800000, v3
	s_delay_alu instid0(VALU_DEP_1) | instskip(NEXT) | instid1(VALU_DEP_1)
	v_cndmask_b32_e32 v2, v3, v6, vcc_lo
	v_and_or_b32 v1, 0x80000000, v1, v2
	s_delay_alu instid0(VALU_DEP_1) | instskip(NEXT) | instid1(VALU_DEP_1)
	v_trunc_f32_e32 v1, v1
	v_mul_f32_e64 v2, 0x2f800000, |v1|
	s_delay_alu instid0(VALU_DEP_1) | instskip(NEXT) | instid1(VALU_DEP_1)
	v_floor_f32_e32 v2, v2
	v_fma_f32 v2, 0xcf800000, v2, |v1|
	v_ashrrev_i32_e32 v1, 31, v1
	s_delay_alu instid0(VALU_DEP_2) | instskip(NEXT) | instid1(VALU_DEP_1)
	v_cvt_u32_f32_e32 v2, v2
	v_xor_b32_e32 v2, v2, v1
	s_delay_alu instid0(VALU_DEP_1)
	v_sub_nc_u32_e32 v2, v2, v1
.LBB30_692:
	s_mov_b32 s33, 0
	s_mov_b32 s29, -1
.LBB30_693:
	s_and_not1_b32 vcc_lo, exec_lo, s33
	s_cbranch_vccnz .LBB30_706
; %bb.694:
	s_cmp_gt_i32 s28, 14
	s_cbranch_scc0 .LBB30_697
; %bb.695:
	s_cmp_eq_u32 s28, 15
	s_cbranch_scc0 .LBB30_700
; %bb.696:
	s_wait_loadcnt 0x0
	global_load_u16 v1, v[4:5], off
	s_mov_b32 s29, -1
	s_mov_b32 s30, 0
	s_wait_loadcnt 0x0
	v_lshlrev_b32_e32 v1, 16, v1
	s_delay_alu instid0(VALU_DEP_1) | instskip(NEXT) | instid1(VALU_DEP_1)
	v_trunc_f32_e32 v1, v1
	v_mul_f32_e64 v2, 0x2f800000, |v1|
	s_delay_alu instid0(VALU_DEP_1) | instskip(NEXT) | instid1(VALU_DEP_1)
	v_floor_f32_e32 v2, v2
	v_fma_f32 v2, 0xcf800000, v2, |v1|
	v_ashrrev_i32_e32 v1, 31, v1
	s_delay_alu instid0(VALU_DEP_2) | instskip(NEXT) | instid1(VALU_DEP_1)
	v_cvt_u32_f32_e32 v2, v2
	v_xor_b32_e32 v2, v2, v1
	s_delay_alu instid0(VALU_DEP_1)
	v_sub_nc_u32_e32 v2, v2, v1
	s_branch .LBB30_701
.LBB30_697:
	s_mov_b32 s33, -1
                                        ; implicit-def: $vgpr2
	s_branch .LBB30_702
.LBB30_698:
	s_and_not1_saveexec_b32 s29, s29
	s_cbranch_execz .LBB30_679
.LBB30_699:
	v_cmp_ne_u16_e32 vcc_lo, 0, v1
	s_and_not1_b32 s33, s33, exec_lo
	s_and_b32 s34, vcc_lo, exec_lo
	s_delay_alu instid0(SALU_CYCLE_1)
	s_or_b32 s33, s33, s34
	s_or_b32 exec_lo, exec_lo, s29
	v_mov_b32_e32 v2, 0
	s_and_saveexec_b32 s29, s33
	s_cbranch_execnz .LBB30_680
	s_branch .LBB30_681
.LBB30_700:
	s_mov_b32 s30, -1
                                        ; implicit-def: $vgpr2
.LBB30_701:
	s_mov_b32 s33, 0
.LBB30_702:
	s_delay_alu instid0(SALU_CYCLE_1)
	s_and_b32 vcc_lo, exec_lo, s33
	s_cbranch_vccz .LBB30_706
; %bb.703:
	s_cmp_eq_u32 s28, 11
	s_cbranch_scc0 .LBB30_705
; %bb.704:
	s_wait_loadcnt 0x0
	global_load_u8 v1, v[4:5], off
	s_mov_b32 s30, 0
	s_mov_b32 s29, -1
	s_wait_loadcnt 0x0
	v_cmp_ne_u16_e32 vcc_lo, 0, v1
	v_cndmask_b32_e64 v2, 0, 1, vcc_lo
	s_branch .LBB30_706
.LBB30_705:
	s_mov_b32 s30, -1
                                        ; implicit-def: $vgpr2
.LBB30_706:
	s_mov_b32 s28, 0
.LBB30_707:
	s_delay_alu instid0(SALU_CYCLE_1)
	s_and_b32 vcc_lo, exec_lo, s28
	s_cbranch_vccz .LBB30_756
; %bb.708:
	s_and_b32 s0, 0xffff, s0
	s_delay_alu instid0(SALU_CYCLE_1)
	s_cmp_lt_i32 s0, 5
	s_cbranch_scc1 .LBB30_713
; %bb.709:
	s_cmp_lt_i32 s0, 8
	s_cbranch_scc1 .LBB30_714
; %bb.710:
	;; [unrolled: 3-line block ×3, first 2 shown]
	s_cmp_gt_i32 s0, 9
	s_cbranch_scc0 .LBB30_716
; %bb.712:
	s_wait_loadcnt 0x0
	global_load_b64 v[2:3], v[4:5], off
	s_mov_b32 s28, 0
	s_wait_loadcnt 0x0
	v_trunc_f64_e32 v[2:3], v[2:3]
	s_delay_alu instid0(VALU_DEP_1) | instskip(NEXT) | instid1(VALU_DEP_1)
	v_ldexp_f64 v[6:7], v[2:3], 0xffffffe0
	v_floor_f64_e32 v[6:7], v[6:7]
	s_delay_alu instid0(VALU_DEP_1) | instskip(NEXT) | instid1(VALU_DEP_1)
	v_fmamk_f64 v[2:3], v[6:7], 0xc1f00000, v[2:3]
	v_cvt_u32_f64_e32 v2, v[2:3]
	s_branch .LBB30_717
.LBB30_713:
	s_mov_b32 s28, -1
                                        ; implicit-def: $vgpr2
	s_branch .LBB30_735
.LBB30_714:
	s_mov_b32 s28, -1
                                        ; implicit-def: $vgpr2
	s_branch .LBB30_723
.LBB30_715:
	s_mov_b32 s28, -1
                                        ; implicit-def: $vgpr2
	s_branch .LBB30_720
.LBB30_716:
	s_mov_b32 s28, -1
                                        ; implicit-def: $vgpr2
.LBB30_717:
	s_delay_alu instid0(SALU_CYCLE_1)
	s_and_not1_b32 vcc_lo, exec_lo, s28
	s_cbranch_vccnz .LBB30_719
; %bb.718:
	s_wait_loadcnt 0x0
	global_load_b32 v1, v[4:5], off
	s_wait_loadcnt 0x0
	v_trunc_f32_e32 v1, v1
	s_delay_alu instid0(VALU_DEP_1) | instskip(NEXT) | instid1(VALU_DEP_1)
	v_mul_f32_e64 v2, 0x2f800000, |v1|
	v_floor_f32_e32 v2, v2
	s_delay_alu instid0(VALU_DEP_1) | instskip(SKIP_1) | instid1(VALU_DEP_2)
	v_fma_f32 v2, 0xcf800000, v2, |v1|
	v_ashrrev_i32_e32 v1, 31, v1
	v_cvt_u32_f32_e32 v2, v2
	s_delay_alu instid0(VALU_DEP_1) | instskip(NEXT) | instid1(VALU_DEP_1)
	v_xor_b32_e32 v2, v2, v1
	v_sub_nc_u32_e32 v2, v2, v1
.LBB30_719:
	s_mov_b32 s28, 0
.LBB30_720:
	s_delay_alu instid0(SALU_CYCLE_1)
	s_and_not1_b32 vcc_lo, exec_lo, s28
	s_cbranch_vccnz .LBB30_722
; %bb.721:
	s_wait_loadcnt 0x0
	global_load_b32 v1, v[4:5], off
	s_wait_loadcnt 0x0
	v_cvt_f32_f16_e32 v1, v1
	s_delay_alu instid0(VALU_DEP_1)
	v_cvt_i32_f32_e32 v2, v1
.LBB30_722:
	s_mov_b32 s28, 0
.LBB30_723:
	s_delay_alu instid0(SALU_CYCLE_1)
	s_and_not1_b32 vcc_lo, exec_lo, s28
	s_cbranch_vccnz .LBB30_734
; %bb.724:
	s_cmp_lt_i32 s0, 6
	s_cbranch_scc1 .LBB30_727
; %bb.725:
	s_cmp_gt_i32 s0, 6
	s_cbranch_scc0 .LBB30_728
; %bb.726:
	s_wait_loadcnt 0x0
	global_load_b64 v[2:3], v[4:5], off
	s_mov_b32 s28, 0
	s_wait_loadcnt 0x0
	v_trunc_f64_e32 v[2:3], v[2:3]
	s_delay_alu instid0(VALU_DEP_1) | instskip(NEXT) | instid1(VALU_DEP_1)
	v_ldexp_f64 v[6:7], v[2:3], 0xffffffe0
	v_floor_f64_e32 v[6:7], v[6:7]
	s_delay_alu instid0(VALU_DEP_1) | instskip(NEXT) | instid1(VALU_DEP_1)
	v_fmamk_f64 v[2:3], v[6:7], 0xc1f00000, v[2:3]
	v_cvt_u32_f64_e32 v2, v[2:3]
	s_branch .LBB30_729
.LBB30_727:
	s_mov_b32 s28, -1
                                        ; implicit-def: $vgpr2
	s_branch .LBB30_732
.LBB30_728:
	s_mov_b32 s28, -1
                                        ; implicit-def: $vgpr2
.LBB30_729:
	s_delay_alu instid0(SALU_CYCLE_1)
	s_and_not1_b32 vcc_lo, exec_lo, s28
	s_cbranch_vccnz .LBB30_731
; %bb.730:
	s_wait_loadcnt 0x0
	global_load_b32 v1, v[4:5], off
	s_wait_loadcnt 0x0
	v_trunc_f32_e32 v1, v1
	s_delay_alu instid0(VALU_DEP_1) | instskip(NEXT) | instid1(VALU_DEP_1)
	v_mul_f32_e64 v2, 0x2f800000, |v1|
	v_floor_f32_e32 v2, v2
	s_delay_alu instid0(VALU_DEP_1) | instskip(SKIP_1) | instid1(VALU_DEP_2)
	v_fma_f32 v2, 0xcf800000, v2, |v1|
	v_ashrrev_i32_e32 v1, 31, v1
	v_cvt_u32_f32_e32 v2, v2
	s_delay_alu instid0(VALU_DEP_1) | instskip(NEXT) | instid1(VALU_DEP_1)
	v_xor_b32_e32 v2, v2, v1
	v_sub_nc_u32_e32 v2, v2, v1
.LBB30_731:
	s_mov_b32 s28, 0
.LBB30_732:
	s_delay_alu instid0(SALU_CYCLE_1)
	s_and_not1_b32 vcc_lo, exec_lo, s28
	s_cbranch_vccnz .LBB30_734
; %bb.733:
	s_wait_loadcnt 0x0
	global_load_u16 v1, v[4:5], off
	s_wait_loadcnt 0x0
	v_cvt_f32_f16_e32 v1, v1
	s_delay_alu instid0(VALU_DEP_1)
	v_cvt_i32_f32_e32 v2, v1
.LBB30_734:
	s_mov_b32 s28, 0
.LBB30_735:
	s_delay_alu instid0(SALU_CYCLE_1)
	s_and_not1_b32 vcc_lo, exec_lo, s28
	s_cbranch_vccnz .LBB30_755
; %bb.736:
	s_cmp_lt_i32 s0, 2
	s_cbranch_scc1 .LBB30_740
; %bb.737:
	s_cmp_lt_i32 s0, 3
	s_cbranch_scc1 .LBB30_741
; %bb.738:
	s_cmp_gt_i32 s0, 3
	s_cbranch_scc0 .LBB30_742
; %bb.739:
	s_wait_loadcnt 0x0
	global_load_b64 v[2:3], v[4:5], off
	s_mov_b32 s28, 0
	s_branch .LBB30_743
.LBB30_740:
	s_mov_b32 s28, -1
                                        ; implicit-def: $vgpr2
	s_branch .LBB30_749
.LBB30_741:
	s_mov_b32 s28, -1
                                        ; implicit-def: $vgpr2
	s_branch .LBB30_746
.LBB30_742:
	s_mov_b32 s28, -1
                                        ; implicit-def: $vgpr2
.LBB30_743:
	s_delay_alu instid0(SALU_CYCLE_1)
	s_and_not1_b32 vcc_lo, exec_lo, s28
	s_cbranch_vccnz .LBB30_745
; %bb.744:
	s_wait_loadcnt 0x0
	global_load_b32 v2, v[4:5], off
.LBB30_745:
	s_mov_b32 s28, 0
.LBB30_746:
	s_delay_alu instid0(SALU_CYCLE_1)
	s_and_not1_b32 vcc_lo, exec_lo, s28
	s_cbranch_vccnz .LBB30_748
; %bb.747:
	s_wait_loadcnt 0x0
	global_load_u16 v2, v[4:5], off
.LBB30_748:
	s_mov_b32 s28, 0
.LBB30_749:
	s_delay_alu instid0(SALU_CYCLE_1)
	s_and_not1_b32 vcc_lo, exec_lo, s28
	s_cbranch_vccnz .LBB30_755
; %bb.750:
	s_cmp_gt_i32 s0, 0
	s_mov_b32 s0, 0
	s_cbranch_scc0 .LBB30_752
; %bb.751:
	s_wait_loadcnt 0x0
	global_load_u8 v2, v[4:5], off
	s_branch .LBB30_753
.LBB30_752:
	s_mov_b32 s0, -1
                                        ; implicit-def: $vgpr2
.LBB30_753:
	s_delay_alu instid0(SALU_CYCLE_1)
	s_and_not1_b32 vcc_lo, exec_lo, s0
	s_cbranch_vccnz .LBB30_755
; %bb.754:
	s_wait_loadcnt 0x0
	global_load_u8 v2, v[4:5], off
.LBB30_755:
	s_mov_b32 s29, -1
.LBB30_756:
	s_delay_alu instid0(SALU_CYCLE_1)
	s_and_not1_b32 vcc_lo, exec_lo, s29
	s_cbranch_vccnz .LBB30_764
; %bb.757:
	s_wait_xcnt 0x0
	v_mul_lo_u32 v4, v26, s15
	s_and_b32 s0, s17, 0xff
	s_delay_alu instid0(SALU_CYCLE_1) | instskip(NEXT) | instid1(VALU_DEP_1)
	s_cmp_lt_i32 s0, 11
	v_ashrrev_i32_e32 v5, 31, v4
	s_delay_alu instid0(VALU_DEP_1)
	v_add_nc_u64_e32 v[4:5], s[10:11], v[4:5]
	s_cbranch_scc1 .LBB30_765
; %bb.758:
	s_and_b32 s29, 0xffff, s0
	s_delay_alu instid0(SALU_CYCLE_1)
	s_cmp_gt_i32 s29, 25
	s_cbranch_scc0 .LBB30_766
; %bb.759:
	s_cmp_gt_i32 s29, 28
	s_cbranch_scc0 .LBB30_767
; %bb.760:
	s_cmp_gt_i32 s29, 43
	s_cbranch_scc0 .LBB30_768
; %bb.761:
	s_cmp_gt_i32 s29, 45
	s_cbranch_scc0 .LBB30_769
; %bb.762:
	s_cmp_eq_u32 s29, 46
	s_mov_b32 s34, 0
	s_cbranch_scc0 .LBB30_772
; %bb.763:
	s_wait_loadcnt 0x0
	global_load_b32 v1, v[4:5], off
	s_mov_b32 s33, -1
	s_mov_b32 s28, 0
	s_wait_loadcnt 0x0
	v_lshlrev_b32_e32 v1, 16, v1
	s_delay_alu instid0(VALU_DEP_1) | instskip(NEXT) | instid1(VALU_DEP_1)
	v_trunc_f32_e32 v1, v1
	v_mul_f32_e64 v3, 0x2f800000, |v1|
	s_delay_alu instid0(VALU_DEP_1) | instskip(NEXT) | instid1(VALU_DEP_1)
	v_floor_f32_e32 v3, v3
	v_fma_f32 v3, 0xcf800000, v3, |v1|
	v_ashrrev_i32_e32 v1, 31, v1
	s_delay_alu instid0(VALU_DEP_2) | instskip(NEXT) | instid1(VALU_DEP_1)
	v_cvt_u32_f32_e32 v3, v3
	v_xor_b32_e32 v3, v3, v1
	s_delay_alu instid0(VALU_DEP_1)
	v_sub_nc_u32_e32 v6, v3, v1
	s_branch .LBB30_774
.LBB30_764:
	s_mov_b32 s33, 0
	s_mov_b32 s0, s21
	s_mov_b32 s28, s23
	s_branch .LBB30_1009
.LBB30_765:
	s_mov_b32 s29, -1
	s_mov_b32 s33, 0
	s_mov_b32 s28, s23
                                        ; implicit-def: $vgpr6
	s_branch .LBB30_835
.LBB30_766:
	s_mov_b32 s34, -1
	s_mov_b32 s33, 0
	s_mov_b32 s28, s23
                                        ; implicit-def: $vgpr6
	s_branch .LBB30_801
.LBB30_767:
	s_mov_b32 s34, -1
	s_mov_b32 s33, 0
	s_mov_b32 s28, s23
                                        ; implicit-def: $vgpr6
	s_branch .LBB30_784
.LBB30_768:
	s_mov_b32 s34, -1
	s_mov_b32 s33, 0
	s_mov_b32 s28, s23
                                        ; implicit-def: $vgpr6
	s_branch .LBB30_779
.LBB30_769:
	s_mov_b32 s34, -1
	s_mov_b32 s33, 0
	s_mov_b32 s28, s23
	s_branch .LBB30_773
.LBB30_770:
	s_and_not1_saveexec_b32 s31, s31
	s_cbranch_execz .LBB30_422
.LBB30_771:
	v_add_f32_e32 v3, 0x42800000, v4
	s_and_not1_b32 s30, s30, exec_lo
	s_delay_alu instid0(VALU_DEP_1) | instskip(NEXT) | instid1(VALU_DEP_1)
	v_and_b32_e32 v3, 0xff, v3
	v_cmp_ne_u32_e32 vcc_lo, 0, v3
	s_and_b32 s33, vcc_lo, exec_lo
	s_delay_alu instid0(SALU_CYCLE_1)
	s_or_b32 s30, s30, s33
	s_or_b32 exec_lo, exec_lo, s31
	v_mov_b32_e32 v5, 0
	s_and_saveexec_b32 s31, s30
	s_cbranch_execnz .LBB30_423
	s_branch .LBB30_424
.LBB30_772:
	s_mov_b32 s28, -1
	s_mov_b32 s33, 0
.LBB30_773:
                                        ; implicit-def: $vgpr6
.LBB30_774:
	s_and_b32 vcc_lo, exec_lo, s34
	s_cbranch_vccz .LBB30_778
; %bb.775:
	s_cmp_eq_u32 s29, 44
	s_cbranch_scc0 .LBB30_777
; %bb.776:
	s_wait_loadcnt 0x0
	global_load_u8 v1, v[4:5], off
	s_mov_b32 s28, 0
	s_mov_b32 s33, -1
	s_wait_loadcnt 0x0
	v_lshlrev_b32_e32 v3, 23, v1
	v_cmp_ne_u32_e32 vcc_lo, 0, v1
	s_delay_alu instid0(VALU_DEP_2) | instskip(NEXT) | instid1(VALU_DEP_1)
	v_trunc_f32_e32 v3, v3
	v_mul_f32_e64 v6, 0x2f800000, |v3|
	s_delay_alu instid0(VALU_DEP_1) | instskip(NEXT) | instid1(VALU_DEP_1)
	v_floor_f32_e32 v6, v6
	v_fma_f32 v6, 0xcf800000, v6, |v3|
	v_ashrrev_i32_e32 v3, 31, v3
	s_delay_alu instid0(VALU_DEP_2) | instskip(NEXT) | instid1(VALU_DEP_1)
	v_cvt_u32_f32_e32 v6, v6
	v_xor_b32_e32 v6, v6, v3
	s_delay_alu instid0(VALU_DEP_1) | instskip(NEXT) | instid1(VALU_DEP_1)
	v_sub_nc_u32_e32 v3, v6, v3
	v_cndmask_b32_e32 v6, 0, v3, vcc_lo
	s_branch .LBB30_778
.LBB30_777:
	s_mov_b32 s28, -1
                                        ; implicit-def: $vgpr6
.LBB30_778:
	s_mov_b32 s34, 0
.LBB30_779:
	s_delay_alu instid0(SALU_CYCLE_1)
	s_and_b32 vcc_lo, exec_lo, s34
	s_cbranch_vccz .LBB30_783
; %bb.780:
	s_cmp_eq_u32 s29, 29
	s_cbranch_scc0 .LBB30_782
; %bb.781:
	global_load_b64 v[6:7], v[4:5], off
	s_mov_b32 s33, -1
	s_mov_b32 s28, 0
	s_branch .LBB30_783
.LBB30_782:
	s_mov_b32 s28, -1
                                        ; implicit-def: $vgpr6
.LBB30_783:
	s_mov_b32 s34, 0
.LBB30_784:
	s_delay_alu instid0(SALU_CYCLE_1)
	s_and_b32 vcc_lo, exec_lo, s34
	s_cbranch_vccz .LBB30_800
; %bb.785:
	s_cmp_lt_i32 s29, 27
	s_cbranch_scc1 .LBB30_788
; %bb.786:
	s_cmp_gt_i32 s29, 27
	s_cbranch_scc0 .LBB30_789
; %bb.787:
	s_wait_loadcnt 0x0
	global_load_b32 v6, v[4:5], off
	s_mov_b32 s33, 0
	s_branch .LBB30_790
.LBB30_788:
	s_mov_b32 s33, -1
                                        ; implicit-def: $vgpr6
	s_branch .LBB30_793
.LBB30_789:
	s_mov_b32 s33, -1
                                        ; implicit-def: $vgpr6
.LBB30_790:
	s_delay_alu instid0(SALU_CYCLE_1)
	s_and_not1_b32 vcc_lo, exec_lo, s33
	s_cbranch_vccnz .LBB30_792
; %bb.791:
	s_wait_loadcnt 0x0
	global_load_u16 v6, v[4:5], off
.LBB30_792:
	s_mov_b32 s33, 0
.LBB30_793:
	s_delay_alu instid0(SALU_CYCLE_1)
	s_and_not1_b32 vcc_lo, exec_lo, s33
	s_cbranch_vccnz .LBB30_799
; %bb.794:
	s_wait_loadcnt 0x0
	global_load_u8 v1, v[4:5], off
	s_mov_b32 s34, 0
	s_mov_b32 s33, exec_lo
	s_wait_loadcnt 0x0
	v_cmpx_lt_i16_e32 0x7f, v1
	s_xor_b32 s33, exec_lo, s33
	s_cbranch_execz .LBB30_811
; %bb.795:
	v_cmp_ne_u16_e32 vcc_lo, 0x80, v1
	s_and_b32 s34, vcc_lo, exec_lo
	s_and_not1_saveexec_b32 s33, s33
	s_cbranch_execnz .LBB30_812
.LBB30_796:
	s_or_b32 exec_lo, exec_lo, s33
	v_mov_b32_e32 v6, 0
	s_and_saveexec_b32 s33, s34
	s_cbranch_execz .LBB30_798
.LBB30_797:
	v_and_b32_e32 v3, 0xffff, v1
	s_delay_alu instid0(VALU_DEP_1) | instskip(SKIP_1) | instid1(VALU_DEP_2)
	v_dual_lshlrev_b32 v1, 24, v1 :: v_dual_bitop2_b32 v6, 7, v3 bitop3:0x40
	v_bfe_u32 v9, v3, 3, 4
	v_and_b32_e32 v1, 0x80000000, v1
	s_delay_alu instid0(VALU_DEP_3) | instskip(NEXT) | instid1(VALU_DEP_3)
	v_clz_i32_u32_e32 v7, v6
	v_cmp_eq_u32_e32 vcc_lo, 0, v9
	s_delay_alu instid0(VALU_DEP_2) | instskip(NEXT) | instid1(VALU_DEP_1)
	v_min_u32_e32 v7, 32, v7
	v_subrev_nc_u32_e32 v8, 28, v7
	v_sub_nc_u32_e32 v7, 29, v7
	s_delay_alu instid0(VALU_DEP_2) | instskip(NEXT) | instid1(VALU_DEP_2)
	v_lshlrev_b32_e32 v3, v8, v3
	v_cndmask_b32_e32 v7, v9, v7, vcc_lo
	s_delay_alu instid0(VALU_DEP_2) | instskip(NEXT) | instid1(VALU_DEP_1)
	v_and_b32_e32 v3, 7, v3
	v_cndmask_b32_e32 v3, v6, v3, vcc_lo
	s_delay_alu instid0(VALU_DEP_3) | instskip(NEXT) | instid1(VALU_DEP_2)
	v_lshl_add_u32 v6, v7, 23, 0x3b800000
	v_lshlrev_b32_e32 v3, 20, v3
	s_delay_alu instid0(VALU_DEP_1) | instskip(NEXT) | instid1(VALU_DEP_1)
	v_or3_b32 v1, v1, v6, v3
	v_trunc_f32_e32 v1, v1
	s_delay_alu instid0(VALU_DEP_1) | instskip(NEXT) | instid1(VALU_DEP_1)
	v_mul_f32_e64 v3, 0x2f800000, |v1|
	v_floor_f32_e32 v3, v3
	s_delay_alu instid0(VALU_DEP_1) | instskip(SKIP_1) | instid1(VALU_DEP_2)
	v_fma_f32 v3, 0xcf800000, v3, |v1|
	v_ashrrev_i32_e32 v1, 31, v1
	v_cvt_u32_f32_e32 v3, v3
	s_delay_alu instid0(VALU_DEP_1) | instskip(NEXT) | instid1(VALU_DEP_1)
	v_xor_b32_e32 v3, v3, v1
	v_sub_nc_u32_e32 v6, v3, v1
.LBB30_798:
	s_or_b32 exec_lo, exec_lo, s33
.LBB30_799:
	s_mov_b32 s33, -1
.LBB30_800:
	s_mov_b32 s34, 0
.LBB30_801:
	s_delay_alu instid0(SALU_CYCLE_1)
	s_and_b32 vcc_lo, exec_lo, s34
	s_cbranch_vccz .LBB30_834
; %bb.802:
	s_cmp_gt_i32 s29, 22
	s_cbranch_scc0 .LBB30_810
; %bb.803:
	s_cmp_lt_i32 s29, 24
	s_cbranch_scc1 .LBB30_813
; %bb.804:
	s_cmp_gt_i32 s29, 24
	s_cbranch_scc0 .LBB30_814
; %bb.805:
	s_wait_loadcnt 0x0
	global_load_u8 v1, v[4:5], off
	s_mov_b32 s34, 0
	s_mov_b32 s33, exec_lo
	s_wait_loadcnt 0x0
	v_cmpx_lt_i16_e32 0x7f, v1
	s_xor_b32 s33, exec_lo, s33
	s_cbranch_execz .LBB30_826
; %bb.806:
	v_cmp_ne_u16_e32 vcc_lo, 0x80, v1
	s_and_b32 s34, vcc_lo, exec_lo
	s_and_not1_saveexec_b32 s33, s33
	s_cbranch_execnz .LBB30_827
.LBB30_807:
	s_or_b32 exec_lo, exec_lo, s33
	v_mov_b32_e32 v6, 0
	s_and_saveexec_b32 s33, s34
	s_cbranch_execz .LBB30_809
.LBB30_808:
	v_and_b32_e32 v3, 0xffff, v1
	s_delay_alu instid0(VALU_DEP_1) | instskip(SKIP_1) | instid1(VALU_DEP_2)
	v_dual_lshlrev_b32 v1, 24, v1 :: v_dual_bitop2_b32 v6, 3, v3 bitop3:0x40
	v_bfe_u32 v9, v3, 2, 5
	v_and_b32_e32 v1, 0x80000000, v1
	s_delay_alu instid0(VALU_DEP_3) | instskip(NEXT) | instid1(VALU_DEP_3)
	v_clz_i32_u32_e32 v7, v6
	v_cmp_eq_u32_e32 vcc_lo, 0, v9
	s_delay_alu instid0(VALU_DEP_2) | instskip(NEXT) | instid1(VALU_DEP_1)
	v_min_u32_e32 v7, 32, v7
	v_subrev_nc_u32_e32 v8, 29, v7
	v_sub_nc_u32_e32 v7, 30, v7
	s_delay_alu instid0(VALU_DEP_2) | instskip(NEXT) | instid1(VALU_DEP_2)
	v_lshlrev_b32_e32 v3, v8, v3
	v_cndmask_b32_e32 v7, v9, v7, vcc_lo
	s_delay_alu instid0(VALU_DEP_2) | instskip(NEXT) | instid1(VALU_DEP_1)
	v_and_b32_e32 v3, 3, v3
	v_cndmask_b32_e32 v3, v6, v3, vcc_lo
	s_delay_alu instid0(VALU_DEP_3) | instskip(NEXT) | instid1(VALU_DEP_2)
	v_lshl_add_u32 v6, v7, 23, 0x37800000
	v_lshlrev_b32_e32 v3, 21, v3
	s_delay_alu instid0(VALU_DEP_1) | instskip(NEXT) | instid1(VALU_DEP_1)
	v_or3_b32 v1, v1, v6, v3
	v_trunc_f32_e32 v1, v1
	s_delay_alu instid0(VALU_DEP_1) | instskip(NEXT) | instid1(VALU_DEP_1)
	v_mul_f32_e64 v3, 0x2f800000, |v1|
	v_floor_f32_e32 v3, v3
	s_delay_alu instid0(VALU_DEP_1) | instskip(SKIP_1) | instid1(VALU_DEP_2)
	v_fma_f32 v3, 0xcf800000, v3, |v1|
	v_ashrrev_i32_e32 v1, 31, v1
	v_cvt_u32_f32_e32 v3, v3
	s_delay_alu instid0(VALU_DEP_1) | instskip(NEXT) | instid1(VALU_DEP_1)
	v_xor_b32_e32 v3, v3, v1
	v_sub_nc_u32_e32 v6, v3, v1
.LBB30_809:
	s_or_b32 exec_lo, exec_lo, s33
	s_mov_b32 s33, 0
	s_branch .LBB30_815
.LBB30_810:
	s_mov_b32 s34, -1
                                        ; implicit-def: $vgpr6
	s_branch .LBB30_821
.LBB30_811:
	s_and_not1_saveexec_b32 s33, s33
	s_cbranch_execz .LBB30_796
.LBB30_812:
	v_cmp_ne_u16_e32 vcc_lo, 0, v1
	s_and_not1_b32 s34, s34, exec_lo
	s_and_b32 s35, vcc_lo, exec_lo
	s_delay_alu instid0(SALU_CYCLE_1)
	s_or_b32 s34, s34, s35
	s_or_b32 exec_lo, exec_lo, s33
	v_mov_b32_e32 v6, 0
	s_and_saveexec_b32 s33, s34
	s_cbranch_execnz .LBB30_797
	s_branch .LBB30_798
.LBB30_813:
	s_mov_b32 s33, -1
                                        ; implicit-def: $vgpr6
	s_branch .LBB30_818
.LBB30_814:
	s_mov_b32 s33, -1
                                        ; implicit-def: $vgpr6
.LBB30_815:
	s_delay_alu instid0(SALU_CYCLE_1)
	s_and_b32 vcc_lo, exec_lo, s33
	s_cbranch_vccz .LBB30_817
; %bb.816:
	s_wait_loadcnt 0x0
	global_load_u8 v1, v[4:5], off
	s_wait_loadcnt 0x0
	v_lshlrev_b32_e32 v1, 24, v1
	s_delay_alu instid0(VALU_DEP_1) | instskip(NEXT) | instid1(VALU_DEP_1)
	v_and_b32_e32 v3, 0x7f000000, v1
	v_clz_i32_u32_e32 v6, v3
	v_cmp_ne_u32_e32 vcc_lo, 0, v3
	v_add_nc_u32_e32 v8, 0x1000000, v3
	s_delay_alu instid0(VALU_DEP_3) | instskip(NEXT) | instid1(VALU_DEP_1)
	v_min_u32_e32 v6, 32, v6
	v_sub_nc_u32_e64 v6, v6, 4 clamp
	s_delay_alu instid0(VALU_DEP_1) | instskip(NEXT) | instid1(VALU_DEP_1)
	v_dual_lshlrev_b32 v7, v6, v3 :: v_dual_lshlrev_b32 v6, 23, v6
	v_lshrrev_b32_e32 v7, 4, v7
	s_delay_alu instid0(VALU_DEP_1) | instskip(NEXT) | instid1(VALU_DEP_1)
	v_dual_sub_nc_u32 v6, v7, v6 :: v_dual_ashrrev_i32 v7, 8, v8
	v_add_nc_u32_e32 v6, 0x3c000000, v6
	s_delay_alu instid0(VALU_DEP_1) | instskip(NEXT) | instid1(VALU_DEP_1)
	v_and_or_b32 v6, 0x7f800000, v7, v6
	v_cndmask_b32_e32 v3, 0, v6, vcc_lo
	s_delay_alu instid0(VALU_DEP_1) | instskip(NEXT) | instid1(VALU_DEP_1)
	v_and_or_b32 v1, 0x80000000, v1, v3
	v_trunc_f32_e32 v1, v1
	s_delay_alu instid0(VALU_DEP_1) | instskip(NEXT) | instid1(VALU_DEP_1)
	v_mul_f32_e64 v3, 0x2f800000, |v1|
	v_floor_f32_e32 v3, v3
	s_delay_alu instid0(VALU_DEP_1) | instskip(SKIP_1) | instid1(VALU_DEP_2)
	v_fma_f32 v3, 0xcf800000, v3, |v1|
	v_ashrrev_i32_e32 v1, 31, v1
	v_cvt_u32_f32_e32 v3, v3
	s_delay_alu instid0(VALU_DEP_1) | instskip(NEXT) | instid1(VALU_DEP_1)
	v_xor_b32_e32 v3, v3, v1
	v_sub_nc_u32_e32 v6, v3, v1
.LBB30_817:
	s_mov_b32 s33, 0
.LBB30_818:
	s_delay_alu instid0(SALU_CYCLE_1)
	s_and_not1_b32 vcc_lo, exec_lo, s33
	s_cbranch_vccnz .LBB30_820
; %bb.819:
	s_wait_loadcnt 0x0
	global_load_u8 v1, v[4:5], off
	s_wait_loadcnt 0x0
	v_lshlrev_b32_e32 v3, 25, v1
	v_lshlrev_b16 v1, 8, v1
	s_delay_alu instid0(VALU_DEP_1) | instskip(SKIP_1) | instid1(VALU_DEP_2)
	v_and_or_b32 v7, 0x7f00, v1, 0.5
	v_bfe_i32 v1, v1, 0, 16
	v_add_f32_e32 v7, -0.5, v7
	v_lshrrev_b32_e32 v6, 4, v3
	v_cmp_gt_u32_e32 vcc_lo, 0x8000000, v3
	s_delay_alu instid0(VALU_DEP_2) | instskip(NEXT) | instid1(VALU_DEP_1)
	v_or_b32_e32 v6, 0x70000000, v6
	v_mul_f32_e32 v6, 0x7800000, v6
	s_delay_alu instid0(VALU_DEP_1) | instskip(NEXT) | instid1(VALU_DEP_1)
	v_cndmask_b32_e32 v3, v6, v7, vcc_lo
	v_and_or_b32 v1, 0x80000000, v1, v3
	s_delay_alu instid0(VALU_DEP_1) | instskip(NEXT) | instid1(VALU_DEP_1)
	v_trunc_f32_e32 v1, v1
	v_mul_f32_e64 v3, 0x2f800000, |v1|
	s_delay_alu instid0(VALU_DEP_1) | instskip(NEXT) | instid1(VALU_DEP_1)
	v_floor_f32_e32 v3, v3
	v_fma_f32 v3, 0xcf800000, v3, |v1|
	v_ashrrev_i32_e32 v1, 31, v1
	s_delay_alu instid0(VALU_DEP_2) | instskip(NEXT) | instid1(VALU_DEP_1)
	v_cvt_u32_f32_e32 v3, v3
	v_xor_b32_e32 v3, v3, v1
	s_delay_alu instid0(VALU_DEP_1)
	v_sub_nc_u32_e32 v6, v3, v1
.LBB30_820:
	s_mov_b32 s34, 0
	s_mov_b32 s33, -1
.LBB30_821:
	s_and_not1_b32 vcc_lo, exec_lo, s34
	s_cbranch_vccnz .LBB30_834
; %bb.822:
	s_cmp_gt_i32 s29, 14
	s_cbranch_scc0 .LBB30_825
; %bb.823:
	s_cmp_eq_u32 s29, 15
	s_cbranch_scc0 .LBB30_828
; %bb.824:
	s_wait_loadcnt 0x0
	global_load_u16 v1, v[4:5], off
	s_mov_b32 s33, -1
	s_mov_b32 s28, 0
	s_wait_loadcnt 0x0
	v_lshlrev_b32_e32 v1, 16, v1
	s_delay_alu instid0(VALU_DEP_1) | instskip(NEXT) | instid1(VALU_DEP_1)
	v_trunc_f32_e32 v1, v1
	v_mul_f32_e64 v3, 0x2f800000, |v1|
	s_delay_alu instid0(VALU_DEP_1) | instskip(NEXT) | instid1(VALU_DEP_1)
	v_floor_f32_e32 v3, v3
	v_fma_f32 v3, 0xcf800000, v3, |v1|
	v_ashrrev_i32_e32 v1, 31, v1
	s_delay_alu instid0(VALU_DEP_2) | instskip(NEXT) | instid1(VALU_DEP_1)
	v_cvt_u32_f32_e32 v3, v3
	v_xor_b32_e32 v3, v3, v1
	s_delay_alu instid0(VALU_DEP_1)
	v_sub_nc_u32_e32 v6, v3, v1
	s_branch .LBB30_829
.LBB30_825:
	s_mov_b32 s34, -1
                                        ; implicit-def: $vgpr6
	s_branch .LBB30_830
.LBB30_826:
	s_and_not1_saveexec_b32 s33, s33
	s_cbranch_execz .LBB30_807
.LBB30_827:
	v_cmp_ne_u16_e32 vcc_lo, 0, v1
	s_and_not1_b32 s34, s34, exec_lo
	s_and_b32 s35, vcc_lo, exec_lo
	s_delay_alu instid0(SALU_CYCLE_1)
	s_or_b32 s34, s34, s35
	s_or_b32 exec_lo, exec_lo, s33
	v_mov_b32_e32 v6, 0
	s_and_saveexec_b32 s33, s34
	s_cbranch_execnz .LBB30_808
	s_branch .LBB30_809
.LBB30_828:
	s_mov_b32 s28, -1
                                        ; implicit-def: $vgpr6
.LBB30_829:
	s_mov_b32 s34, 0
.LBB30_830:
	s_delay_alu instid0(SALU_CYCLE_1)
	s_and_b32 vcc_lo, exec_lo, s34
	s_cbranch_vccz .LBB30_834
; %bb.831:
	s_cmp_eq_u32 s29, 11
	s_cbranch_scc0 .LBB30_833
; %bb.832:
	s_wait_loadcnt 0x0
	global_load_u8 v1, v[4:5], off
	s_mov_b32 s28, 0
	s_mov_b32 s33, -1
	s_wait_loadcnt 0x0
	v_cmp_ne_u16_e32 vcc_lo, 0, v1
	v_cndmask_b32_e64 v6, 0, 1, vcc_lo
	s_branch .LBB30_834
.LBB30_833:
	s_mov_b32 s28, -1
                                        ; implicit-def: $vgpr6
.LBB30_834:
	s_mov_b32 s29, 0
.LBB30_835:
	s_delay_alu instid0(SALU_CYCLE_1)
	s_and_b32 vcc_lo, exec_lo, s29
	s_cbranch_vccz .LBB30_884
; %bb.836:
	s_and_b32 s0, 0xffff, s0
	s_delay_alu instid0(SALU_CYCLE_1)
	s_cmp_lt_i32 s0, 5
	s_cbranch_scc1 .LBB30_841
; %bb.837:
	s_cmp_lt_i32 s0, 8
	s_cbranch_scc1 .LBB30_842
; %bb.838:
	;; [unrolled: 3-line block ×3, first 2 shown]
	s_cmp_gt_i32 s0, 9
	s_cbranch_scc0 .LBB30_844
; %bb.840:
	s_wait_loadcnt 0x0
	global_load_b64 v[6:7], v[4:5], off
	s_mov_b32 s29, 0
	s_wait_loadcnt 0x0
	v_trunc_f64_e32 v[6:7], v[6:7]
	s_delay_alu instid0(VALU_DEP_1) | instskip(NEXT) | instid1(VALU_DEP_1)
	v_ldexp_f64 v[8:9], v[6:7], 0xffffffe0
	v_floor_f64_e32 v[8:9], v[8:9]
	s_delay_alu instid0(VALU_DEP_1) | instskip(NEXT) | instid1(VALU_DEP_1)
	v_fmamk_f64 v[6:7], v[8:9], 0xc1f00000, v[6:7]
	v_cvt_u32_f64_e32 v6, v[6:7]
	s_branch .LBB30_845
.LBB30_841:
	s_mov_b32 s29, -1
                                        ; implicit-def: $vgpr6
	s_branch .LBB30_863
.LBB30_842:
	s_mov_b32 s29, -1
                                        ; implicit-def: $vgpr6
	s_branch .LBB30_851
.LBB30_843:
	s_mov_b32 s29, -1
                                        ; implicit-def: $vgpr6
	s_branch .LBB30_848
.LBB30_844:
	s_mov_b32 s29, -1
                                        ; implicit-def: $vgpr6
.LBB30_845:
	s_delay_alu instid0(SALU_CYCLE_1)
	s_and_not1_b32 vcc_lo, exec_lo, s29
	s_cbranch_vccnz .LBB30_847
; %bb.846:
	s_wait_loadcnt 0x0
	global_load_b32 v1, v[4:5], off
	s_wait_loadcnt 0x0
	v_trunc_f32_e32 v1, v1
	s_delay_alu instid0(VALU_DEP_1) | instskip(NEXT) | instid1(VALU_DEP_1)
	v_mul_f32_e64 v3, 0x2f800000, |v1|
	v_floor_f32_e32 v3, v3
	s_delay_alu instid0(VALU_DEP_1) | instskip(SKIP_1) | instid1(VALU_DEP_2)
	v_fma_f32 v3, 0xcf800000, v3, |v1|
	v_ashrrev_i32_e32 v1, 31, v1
	v_cvt_u32_f32_e32 v3, v3
	s_delay_alu instid0(VALU_DEP_1) | instskip(NEXT) | instid1(VALU_DEP_1)
	v_xor_b32_e32 v3, v3, v1
	v_sub_nc_u32_e32 v6, v3, v1
.LBB30_847:
	s_mov_b32 s29, 0
.LBB30_848:
	s_delay_alu instid0(SALU_CYCLE_1)
	s_and_not1_b32 vcc_lo, exec_lo, s29
	s_cbranch_vccnz .LBB30_850
; %bb.849:
	s_wait_loadcnt 0x0
	global_load_b32 v1, v[4:5], off
	s_wait_loadcnt 0x0
	v_cvt_f32_f16_e32 v1, v1
	s_delay_alu instid0(VALU_DEP_1)
	v_cvt_i32_f32_e32 v6, v1
.LBB30_850:
	s_mov_b32 s29, 0
.LBB30_851:
	s_delay_alu instid0(SALU_CYCLE_1)
	s_and_not1_b32 vcc_lo, exec_lo, s29
	s_cbranch_vccnz .LBB30_862
; %bb.852:
	s_cmp_lt_i32 s0, 6
	s_cbranch_scc1 .LBB30_855
; %bb.853:
	s_cmp_gt_i32 s0, 6
	s_cbranch_scc0 .LBB30_856
; %bb.854:
	s_wait_loadcnt 0x0
	global_load_b64 v[6:7], v[4:5], off
	s_mov_b32 s29, 0
	s_wait_loadcnt 0x0
	v_trunc_f64_e32 v[6:7], v[6:7]
	s_delay_alu instid0(VALU_DEP_1) | instskip(NEXT) | instid1(VALU_DEP_1)
	v_ldexp_f64 v[8:9], v[6:7], 0xffffffe0
	v_floor_f64_e32 v[8:9], v[8:9]
	s_delay_alu instid0(VALU_DEP_1) | instskip(NEXT) | instid1(VALU_DEP_1)
	v_fmamk_f64 v[6:7], v[8:9], 0xc1f00000, v[6:7]
	v_cvt_u32_f64_e32 v6, v[6:7]
	s_branch .LBB30_857
.LBB30_855:
	s_mov_b32 s29, -1
                                        ; implicit-def: $vgpr6
	s_branch .LBB30_860
.LBB30_856:
	s_mov_b32 s29, -1
                                        ; implicit-def: $vgpr6
.LBB30_857:
	s_delay_alu instid0(SALU_CYCLE_1)
	s_and_not1_b32 vcc_lo, exec_lo, s29
	s_cbranch_vccnz .LBB30_859
; %bb.858:
	s_wait_loadcnt 0x0
	global_load_b32 v1, v[4:5], off
	s_wait_loadcnt 0x0
	v_trunc_f32_e32 v1, v1
	s_delay_alu instid0(VALU_DEP_1) | instskip(NEXT) | instid1(VALU_DEP_1)
	v_mul_f32_e64 v3, 0x2f800000, |v1|
	v_floor_f32_e32 v3, v3
	s_delay_alu instid0(VALU_DEP_1) | instskip(SKIP_1) | instid1(VALU_DEP_2)
	v_fma_f32 v3, 0xcf800000, v3, |v1|
	v_ashrrev_i32_e32 v1, 31, v1
	v_cvt_u32_f32_e32 v3, v3
	s_delay_alu instid0(VALU_DEP_1) | instskip(NEXT) | instid1(VALU_DEP_1)
	v_xor_b32_e32 v3, v3, v1
	v_sub_nc_u32_e32 v6, v3, v1
.LBB30_859:
	s_mov_b32 s29, 0
.LBB30_860:
	s_delay_alu instid0(SALU_CYCLE_1)
	s_and_not1_b32 vcc_lo, exec_lo, s29
	s_cbranch_vccnz .LBB30_862
; %bb.861:
	s_wait_loadcnt 0x0
	global_load_u16 v1, v[4:5], off
	s_wait_loadcnt 0x0
	v_cvt_f32_f16_e32 v1, v1
	s_delay_alu instid0(VALU_DEP_1)
	v_cvt_i32_f32_e32 v6, v1
.LBB30_862:
	s_mov_b32 s29, 0
.LBB30_863:
	s_delay_alu instid0(SALU_CYCLE_1)
	s_and_not1_b32 vcc_lo, exec_lo, s29
	s_cbranch_vccnz .LBB30_883
; %bb.864:
	s_cmp_lt_i32 s0, 2
	s_cbranch_scc1 .LBB30_868
; %bb.865:
	s_cmp_lt_i32 s0, 3
	s_cbranch_scc1 .LBB30_869
; %bb.866:
	s_cmp_gt_i32 s0, 3
	s_cbranch_scc0 .LBB30_870
; %bb.867:
	s_wait_loadcnt 0x0
	global_load_b64 v[6:7], v[4:5], off
	s_mov_b32 s29, 0
	s_branch .LBB30_871
.LBB30_868:
	s_mov_b32 s29, -1
                                        ; implicit-def: $vgpr6
	s_branch .LBB30_877
.LBB30_869:
	s_mov_b32 s29, -1
                                        ; implicit-def: $vgpr6
	s_branch .LBB30_874
.LBB30_870:
	s_mov_b32 s29, -1
                                        ; implicit-def: $vgpr6
.LBB30_871:
	s_delay_alu instid0(SALU_CYCLE_1)
	s_and_not1_b32 vcc_lo, exec_lo, s29
	s_cbranch_vccnz .LBB30_873
; %bb.872:
	s_wait_loadcnt 0x0
	global_load_b32 v6, v[4:5], off
.LBB30_873:
	s_mov_b32 s29, 0
.LBB30_874:
	s_delay_alu instid0(SALU_CYCLE_1)
	s_and_not1_b32 vcc_lo, exec_lo, s29
	s_cbranch_vccnz .LBB30_876
; %bb.875:
	s_wait_loadcnt 0x0
	global_load_u16 v6, v[4:5], off
.LBB30_876:
	s_mov_b32 s29, 0
.LBB30_877:
	s_delay_alu instid0(SALU_CYCLE_1)
	s_and_not1_b32 vcc_lo, exec_lo, s29
	s_cbranch_vccnz .LBB30_883
; %bb.878:
	s_cmp_gt_i32 s0, 0
	s_mov_b32 s0, 0
	s_cbranch_scc0 .LBB30_880
; %bb.879:
	s_wait_loadcnt 0x0
	global_load_u8 v6, v[4:5], off
	s_branch .LBB30_881
.LBB30_880:
	s_mov_b32 s0, -1
                                        ; implicit-def: $vgpr6
.LBB30_881:
	s_delay_alu instid0(SALU_CYCLE_1)
	s_and_not1_b32 vcc_lo, exec_lo, s0
	s_cbranch_vccnz .LBB30_883
; %bb.882:
	s_wait_loadcnt 0x0
	global_load_u8 v6, v[4:5], off
.LBB30_883:
	s_mov_b32 s33, -1
.LBB30_884:
	s_delay_alu instid0(SALU_CYCLE_1)
	s_and_not1_b32 vcc_lo, exec_lo, s33
	s_cbranch_vccnz .LBB30_892
; %bb.885:
	s_wait_xcnt 0x0
	v_mul_lo_u32 v4, v26, s12
	s_wait_loadcnt 0x0
	v_mul_lo_u16 v3, v0, s2
	v_mul_lo_u16 v2, v2, s1
	s_and_b32 s29, s18, 0xff
	s_delay_alu instid0(SALU_CYCLE_1) | instskip(NEXT) | instid1(VALU_DEP_1)
	s_cmp_lt_i32 s29, 11
	v_mad_u16 v2, v2, v6, v3
	s_delay_alu instid0(VALU_DEP_4) | instskip(NEXT) | instid1(VALU_DEP_1)
	v_ashrrev_i32_e32 v5, 31, v4
	v_add_nc_u64_e32 v[0:1], s[4:5], v[4:5]
	s_cbranch_scc1 .LBB30_893
; %bb.886:
	s_and_b32 s33, 0xffff, s29
	s_delay_alu instid0(SALU_CYCLE_1)
	s_cmp_gt_i32 s33, 25
	s_cbranch_scc0 .LBB30_894
; %bb.887:
	s_cmp_gt_i32 s33, 28
	s_cbranch_scc0 .LBB30_895
; %bb.888:
	;; [unrolled: 3-line block ×4, first 2 shown]
	s_mov_b32 s35, 0
	s_mov_b32 s0, -1
	s_cmp_eq_u32 s33, 46
	s_mov_b32 s34, 0
	s_cbranch_scc0 .LBB30_898
; %bb.891:
	v_cvt_f32_ubyte0_e32 v3, v2
	s_mov_b32 s34, -1
	s_mov_b32 s0, 0
	s_delay_alu instid0(VALU_DEP_1) | instskip(NEXT) | instid1(VALU_DEP_1)
	v_bfe_u32 v4, v3, 16, 1
	v_add3_u32 v3, v3, v4, 0x7fff
	s_delay_alu instid0(VALU_DEP_1)
	v_lshrrev_b32_e32 v3, 16, v3
	global_store_b32 v[0:1], v3, off
	s_branch .LBB30_898
.LBB30_892:
	s_mov_b32 s33, 0
	s_mov_b32 s0, s21
	s_branch .LBB30_1009
.LBB30_893:
	s_mov_b32 s33, -1
	s_mov_b32 s34, 0
	s_mov_b32 s0, s21
	s_branch .LBB30_967
.LBB30_894:
	s_mov_b32 s35, -1
	s_mov_b32 s34, 0
	s_mov_b32 s0, s21
	s_branch .LBB30_925
.LBB30_895:
	s_mov_b32 s35, -1
	s_mov_b32 s34, 0
	s_mov_b32 s0, s21
	s_branch .LBB30_908
.LBB30_896:
	s_mov_b32 s35, -1
	s_mov_b32 s34, 0
	s_mov_b32 s0, s21
	s_branch .LBB30_904
.LBB30_897:
	s_mov_b32 s35, -1
	s_mov_b32 s34, 0
	s_mov_b32 s0, s21
.LBB30_898:
	s_and_b32 vcc_lo, exec_lo, s35
	s_cbranch_vccz .LBB30_903
; %bb.899:
	s_cmp_eq_u32 s33, 44
	s_mov_b32 s0, -1
	s_cbranch_scc0 .LBB30_903
; %bb.900:
	v_cvt_f32_ubyte0_e32 v5, v2
	s_mov_b32 s34, exec_lo
	s_wait_xcnt 0x0
	s_delay_alu instid0(VALU_DEP_1) | instskip(NEXT) | instid1(VALU_DEP_1)
	v_dual_mov_b32 v4, 0xff :: v_dual_lshrrev_b32 v3, 23, v5
	v_cmpx_ne_u32_e32 0xff, v3
; %bb.901:
	v_and_b32_e32 v4, 0x400000, v5
	v_and_or_b32 v5, 0x3fffff, v5, v3
	s_delay_alu instid0(VALU_DEP_2) | instskip(NEXT) | instid1(VALU_DEP_2)
	v_cmp_ne_u32_e32 vcc_lo, 0, v4
	v_cmp_ne_u32_e64 s0, 0, v5
	s_and_b32 s0, vcc_lo, s0
	s_delay_alu instid0(SALU_CYCLE_1) | instskip(NEXT) | instid1(VALU_DEP_1)
	v_cndmask_b32_e64 v4, 0, 1, s0
	v_add_nc_u32_e32 v4, v3, v4
; %bb.902:
	s_or_b32 exec_lo, exec_lo, s34
	s_mov_b32 s34, -1
	s_mov_b32 s0, 0
	global_store_b8 v[0:1], v4, off
.LBB30_903:
	s_mov_b32 s35, 0
.LBB30_904:
	s_delay_alu instid0(SALU_CYCLE_1)
	s_and_b32 vcc_lo, exec_lo, s35
	s_cbranch_vccz .LBB30_907
; %bb.905:
	s_cmp_eq_u32 s33, 29
	s_mov_b32 s0, -1
	s_cbranch_scc0 .LBB30_907
; %bb.906:
	s_wait_xcnt 0x0
	v_and_b32_e32 v4, 0xff, v2
	v_mov_b32_e32 v5, 0
	s_mov_b32 s34, -1
	s_mov_b32 s0, 0
	s_mov_b32 s35, 0
	global_store_b64 v[0:1], v[4:5], off
	s_branch .LBB30_908
.LBB30_907:
	s_mov_b32 s35, 0
.LBB30_908:
	s_delay_alu instid0(SALU_CYCLE_1)
	s_and_b32 vcc_lo, exec_lo, s35
	s_cbranch_vccz .LBB30_924
; %bb.909:
	s_cmp_lt_i32 s33, 27
	s_mov_b32 s34, -1
	s_cbranch_scc1 .LBB30_915
; %bb.910:
	s_cmp_gt_i32 s33, 27
	s_cbranch_scc0 .LBB30_912
; %bb.911:
	s_wait_xcnt 0x0
	v_and_b32_e32 v3, 0xff, v2
	s_mov_b32 s34, 0
	global_store_b32 v[0:1], v3, off
.LBB30_912:
	s_and_not1_b32 vcc_lo, exec_lo, s34
	s_cbranch_vccnz .LBB30_914
; %bb.913:
	s_wait_xcnt 0x0
	v_and_b32_e32 v3, 0xff, v2
	global_store_b16 v[0:1], v3, off
.LBB30_914:
	s_mov_b32 s34, 0
.LBB30_915:
	s_delay_alu instid0(SALU_CYCLE_1)
	s_and_not1_b32 vcc_lo, exec_lo, s34
	s_cbranch_vccnz .LBB30_923
; %bb.916:
	s_wait_xcnt 0x0
	v_cvt_f32_ubyte0_e32 v4, v2
	v_mov_b32_e32 v5, 0x80
	s_mov_b32 s34, exec_lo
	s_delay_alu instid0(VALU_DEP_2)
	v_cmpx_gt_u32_e32 0x43800000, v4
	s_cbranch_execz .LBB30_922
; %bb.917:
	s_mov_b32 s35, 0
	s_mov_b32 s36, exec_lo
                                        ; implicit-def: $vgpr3
	v_cmpx_lt_u32_e32 0x3bffffff, v4
	s_xor_b32 s36, exec_lo, s36
	s_cbranch_execz .LBB30_1151
; %bb.918:
	v_bfe_u32 v3, v4, 20, 1
	s_mov_b32 s35, exec_lo
	s_delay_alu instid0(VALU_DEP_1) | instskip(NEXT) | instid1(VALU_DEP_1)
	v_add3_u32 v3, v4, v3, 0x487ffff
                                        ; implicit-def: $vgpr4
	v_lshrrev_b32_e32 v3, 20, v3
	s_and_not1_saveexec_b32 s36, s36
	s_cbranch_execnz .LBB30_1152
.LBB30_919:
	s_or_b32 exec_lo, exec_lo, s36
	v_mov_b32_e32 v5, 0
	s_and_saveexec_b32 s36, s35
.LBB30_920:
	v_mov_b32_e32 v5, v3
.LBB30_921:
	s_or_b32 exec_lo, exec_lo, s36
.LBB30_922:
	s_delay_alu instid0(SALU_CYCLE_1)
	s_or_b32 exec_lo, exec_lo, s34
	global_store_b8 v[0:1], v5, off
.LBB30_923:
	s_mov_b32 s34, -1
.LBB30_924:
	s_mov_b32 s35, 0
.LBB30_925:
	s_delay_alu instid0(SALU_CYCLE_1)
	s_and_b32 vcc_lo, exec_lo, s35
	s_cbranch_vccz .LBB30_966
; %bb.926:
	s_cmp_gt_i32 s33, 22
	s_mov_b32 s35, -1
	s_cbranch_scc0 .LBB30_958
; %bb.927:
	s_cmp_lt_i32 s33, 24
	s_mov_b32 s34, -1
	s_cbranch_scc1 .LBB30_947
; %bb.928:
	s_cmp_gt_i32 s33, 24
	s_cbranch_scc0 .LBB30_936
; %bb.929:
	s_wait_xcnt 0x0
	v_cvt_f32_ubyte0_e32 v4, v2
	v_mov_b32_e32 v5, 0x80
	s_mov_b32 s34, exec_lo
	s_delay_alu instid0(VALU_DEP_2)
	v_cmpx_gt_u32_e32 0x47800000, v4
	s_cbranch_execz .LBB30_935
; %bb.930:
	s_mov_b32 s35, 0
	s_mov_b32 s36, exec_lo
                                        ; implicit-def: $vgpr3
	v_cmpx_lt_u32_e32 0x37ffffff, v4
	s_xor_b32 s36, exec_lo, s36
	s_cbranch_execz .LBB30_1279
; %bb.931:
	v_bfe_u32 v3, v4, 21, 1
	s_mov_b32 s35, exec_lo
	s_delay_alu instid0(VALU_DEP_1) | instskip(NEXT) | instid1(VALU_DEP_1)
	v_add3_u32 v3, v4, v3, 0x88fffff
                                        ; implicit-def: $vgpr4
	v_lshrrev_b32_e32 v3, 21, v3
	s_and_not1_saveexec_b32 s36, s36
	s_cbranch_execnz .LBB30_1280
.LBB30_932:
	s_or_b32 exec_lo, exec_lo, s36
	v_mov_b32_e32 v5, 0
	s_and_saveexec_b32 s36, s35
.LBB30_933:
	v_mov_b32_e32 v5, v3
.LBB30_934:
	s_or_b32 exec_lo, exec_lo, s36
.LBB30_935:
	s_delay_alu instid0(SALU_CYCLE_1)
	s_or_b32 exec_lo, exec_lo, s34
	s_mov_b32 s34, 0
	global_store_b8 v[0:1], v5, off
.LBB30_936:
	s_and_b32 vcc_lo, exec_lo, s34
	s_cbranch_vccz .LBB30_946
; %bb.937:
	s_wait_xcnt 0x0
	v_cvt_f32_ubyte0_e32 v4, v2
	s_mov_b32 s34, exec_lo
                                        ; implicit-def: $vgpr3
	s_delay_alu instid0(VALU_DEP_1)
	v_cmpx_gt_u32_e32 0x43f00000, v4
	s_xor_b32 s34, exec_lo, s34
	s_cbranch_execz .LBB30_943
; %bb.938:
	s_mov_b32 s35, exec_lo
                                        ; implicit-def: $vgpr3
	v_cmpx_lt_u32_e32 0x3c7fffff, v4
	s_xor_b32 s35, exec_lo, s35
; %bb.939:
	v_bfe_u32 v3, v4, 20, 1
	s_delay_alu instid0(VALU_DEP_1) | instskip(NEXT) | instid1(VALU_DEP_1)
	v_add3_u32 v3, v4, v3, 0x407ffff
	v_and_b32_e32 v4, 0xff00000, v3
	v_lshrrev_b32_e32 v3, 20, v3
	s_delay_alu instid0(VALU_DEP_2) | instskip(NEXT) | instid1(VALU_DEP_2)
	v_cmp_ne_u32_e32 vcc_lo, 0x7f00000, v4
                                        ; implicit-def: $vgpr4
	v_cndmask_b32_e32 v3, 0x7e, v3, vcc_lo
; %bb.940:
	s_and_not1_saveexec_b32 s35, s35
; %bb.941:
	v_add_f32_e32 v3, 0x46800000, v4
; %bb.942:
	s_or_b32 exec_lo, exec_lo, s35
                                        ; implicit-def: $vgpr4
.LBB30_943:
	s_and_not1_saveexec_b32 s34, s34
; %bb.944:
	v_mov_b32_e32 v3, 0x7f
	v_cmp_lt_u32_e32 vcc_lo, 0x7f800000, v4
	s_delay_alu instid0(VALU_DEP_2)
	v_cndmask_b32_e32 v3, 0x7e, v3, vcc_lo
; %bb.945:
	s_or_b32 exec_lo, exec_lo, s34
	global_store_b8 v[0:1], v3, off
.LBB30_946:
	s_mov_b32 s34, 0
.LBB30_947:
	s_delay_alu instid0(SALU_CYCLE_1)
	s_and_not1_b32 vcc_lo, exec_lo, s34
	s_cbranch_vccnz .LBB30_957
; %bb.948:
	s_wait_xcnt 0x0
	v_cvt_f32_ubyte0_e32 v4, v2
	s_mov_b32 s34, exec_lo
                                        ; implicit-def: $vgpr3
	s_delay_alu instid0(VALU_DEP_1)
	v_cmpx_gt_u32_e32 0x47800000, v4
	s_xor_b32 s34, exec_lo, s34
	s_cbranch_execz .LBB30_954
; %bb.949:
	s_mov_b32 s35, exec_lo
                                        ; implicit-def: $vgpr3
	v_cmpx_lt_u32_e32 0x387fffff, v4
	s_xor_b32 s35, exec_lo, s35
; %bb.950:
	v_bfe_u32 v3, v4, 21, 1
	s_delay_alu instid0(VALU_DEP_1) | instskip(NEXT) | instid1(VALU_DEP_1)
	v_add3_u32 v3, v4, v3, 0x80fffff
                                        ; implicit-def: $vgpr4
	v_lshrrev_b32_e32 v3, 21, v3
; %bb.951:
	s_and_not1_saveexec_b32 s35, s35
; %bb.952:
	v_add_f32_e32 v3, 0x43000000, v4
; %bb.953:
	s_or_b32 exec_lo, exec_lo, s35
                                        ; implicit-def: $vgpr4
.LBB30_954:
	s_and_not1_saveexec_b32 s34, s34
; %bb.955:
	v_mov_b32_e32 v3, 0x7f
	v_cmp_lt_u32_e32 vcc_lo, 0x7f800000, v4
	s_delay_alu instid0(VALU_DEP_2)
	v_cndmask_b32_e32 v3, 0x7c, v3, vcc_lo
; %bb.956:
	s_or_b32 exec_lo, exec_lo, s34
	global_store_b8 v[0:1], v3, off
.LBB30_957:
	s_mov_b32 s35, 0
	s_mov_b32 s34, -1
.LBB30_958:
	s_and_not1_b32 vcc_lo, exec_lo, s35
	s_cbranch_vccnz .LBB30_966
; %bb.959:
	s_cmp_gt_i32 s33, 14
	s_mov_b32 s35, -1
	s_cbranch_scc0 .LBB30_963
; %bb.960:
	s_cmp_eq_u32 s33, 15
	s_mov_b32 s0, -1
	s_cbranch_scc0 .LBB30_962
; %bb.961:
	s_wait_xcnt 0x0
	v_cvt_f32_ubyte0_e32 v3, v2
	s_mov_b32 s34, -1
	s_mov_b32 s0, 0
	s_delay_alu instid0(VALU_DEP_1) | instskip(NEXT) | instid1(VALU_DEP_1)
	v_bfe_u32 v4, v3, 16, 1
	v_add3_u32 v3, v3, v4, 0x7fff
	global_store_d16_hi_b16 v[0:1], v3, off
.LBB30_962:
	s_mov_b32 s35, 0
.LBB30_963:
	s_delay_alu instid0(SALU_CYCLE_1)
	s_and_b32 vcc_lo, exec_lo, s35
	s_cbranch_vccz .LBB30_966
; %bb.964:
	s_cmp_eq_u32 s33, 11
	s_mov_b32 s0, -1
	s_cbranch_scc0 .LBB30_966
; %bb.965:
	s_wait_xcnt 0x0
	v_and_b32_e32 v3, 0xff, v2
	s_mov_b32 s0, 0
	s_mov_b32 s34, -1
	s_delay_alu instid0(VALU_DEP_1)
	v_cmp_ne_u16_e32 vcc_lo, 0, v3
	v_cndmask_b32_e64 v3, 0, 1, vcc_lo
	global_store_b8 v[0:1], v3, off
.LBB30_966:
	s_mov_b32 s33, 0
.LBB30_967:
	s_delay_alu instid0(SALU_CYCLE_1)
	s_and_b32 vcc_lo, exec_lo, s33
	s_cbranch_vccz .LBB30_1006
; %bb.968:
	s_and_b32 s29, 0xffff, s29
	s_mov_b32 s33, -1
	s_cmp_lt_i32 s29, 5
	s_cbranch_scc1 .LBB30_989
; %bb.969:
	s_cmp_lt_i32 s29, 8
	s_cbranch_scc1 .LBB30_979
; %bb.970:
	;; [unrolled: 3-line block ×3, first 2 shown]
	s_cmp_gt_i32 s29, 9
	s_cbranch_scc0 .LBB30_973
; %bb.972:
	s_wait_xcnt 0x0
	v_and_b32_e32 v3, 0xff, v2
	v_mov_b32_e32 v6, 0
	s_mov_b32 s33, 0
	s_delay_alu instid0(VALU_DEP_2) | instskip(NEXT) | instid1(VALU_DEP_2)
	v_and_b32_e32 v3, 0xffff, v3
	v_mov_b32_e32 v7, v6
	s_delay_alu instid0(VALU_DEP_2)
	v_cvt_f64_u32_e32 v[4:5], v3
	global_store_b128 v[0:1], v[4:7], off
.LBB30_973:
	s_and_not1_b32 vcc_lo, exec_lo, s33
	s_cbranch_vccnz .LBB30_975
; %bb.974:
	s_wait_xcnt 0x0
	v_cvt_f32_ubyte0_e32 v4, v2
	v_mov_b32_e32 v5, 0
	global_store_b64 v[0:1], v[4:5], off
.LBB30_975:
	s_mov_b32 s33, 0
.LBB30_976:
	s_delay_alu instid0(SALU_CYCLE_1)
	s_and_not1_b32 vcc_lo, exec_lo, s33
	s_cbranch_vccnz .LBB30_978
; %bb.977:
	s_wait_xcnt 0x0
	v_and_b32_e32 v3, 0xff, v2
	s_delay_alu instid0(VALU_DEP_1) | instskip(NEXT) | instid1(VALU_DEP_1)
	v_cvt_f16_u16_e32 v3, v3
	v_and_b32_e32 v3, 0xffff, v3
	global_store_b32 v[0:1], v3, off
.LBB30_978:
	s_mov_b32 s33, 0
.LBB30_979:
	s_delay_alu instid0(SALU_CYCLE_1)
	s_and_not1_b32 vcc_lo, exec_lo, s33
	s_cbranch_vccnz .LBB30_988
; %bb.980:
	s_cmp_lt_i32 s29, 6
	s_mov_b32 s33, -1
	s_cbranch_scc1 .LBB30_986
; %bb.981:
	s_cmp_gt_i32 s29, 6
	s_cbranch_scc0 .LBB30_983
; %bb.982:
	s_wait_xcnt 0x0
	v_and_b32_e32 v3, 0xff, v2
	s_mov_b32 s33, 0
	s_delay_alu instid0(VALU_DEP_1) | instskip(NEXT) | instid1(VALU_DEP_1)
	v_and_b32_e32 v3, 0xffff, v3
	v_cvt_f64_u32_e32 v[4:5], v3
	global_store_b64 v[0:1], v[4:5], off
.LBB30_983:
	s_and_not1_b32 vcc_lo, exec_lo, s33
	s_cbranch_vccnz .LBB30_985
; %bb.984:
	s_wait_xcnt 0x0
	v_cvt_f32_ubyte0_e32 v3, v2
	global_store_b32 v[0:1], v3, off
.LBB30_985:
	s_mov_b32 s33, 0
.LBB30_986:
	s_delay_alu instid0(SALU_CYCLE_1)
	s_and_not1_b32 vcc_lo, exec_lo, s33
	s_cbranch_vccnz .LBB30_988
; %bb.987:
	s_wait_xcnt 0x0
	v_and_b32_e32 v3, 0xff, v2
	s_delay_alu instid0(VALU_DEP_1)
	v_cvt_f16_u16_e32 v3, v3
	global_store_b16 v[0:1], v3, off
.LBB30_988:
	s_mov_b32 s33, 0
.LBB30_989:
	s_delay_alu instid0(SALU_CYCLE_1)
	s_and_not1_b32 vcc_lo, exec_lo, s33
	s_cbranch_vccnz .LBB30_1005
; %bb.990:
	s_cmp_lt_i32 s29, 2
	s_mov_b32 s33, -1
	s_cbranch_scc1 .LBB30_1000
; %bb.991:
	s_cmp_lt_i32 s29, 3
	s_cbranch_scc1 .LBB30_997
; %bb.992:
	s_cmp_gt_i32 s29, 3
	s_cbranch_scc0 .LBB30_994
; %bb.993:
	s_wait_xcnt 0x0
	v_and_b32_e32 v4, 0xff, v2
	v_mov_b32_e32 v5, 0
	s_mov_b32 s33, 0
	global_store_b64 v[0:1], v[4:5], off
.LBB30_994:
	s_and_not1_b32 vcc_lo, exec_lo, s33
	s_cbranch_vccnz .LBB30_996
; %bb.995:
	s_wait_xcnt 0x0
	v_and_b32_e32 v3, 0xff, v2
	global_store_b32 v[0:1], v3, off
.LBB30_996:
	s_mov_b32 s33, 0
.LBB30_997:
	s_delay_alu instid0(SALU_CYCLE_1)
	s_and_not1_b32 vcc_lo, exec_lo, s33
	s_cbranch_vccnz .LBB30_999
; %bb.998:
	s_wait_xcnt 0x0
	v_and_b32_e32 v3, 0xff, v2
	global_store_b16 v[0:1], v3, off
.LBB30_999:
	s_mov_b32 s33, 0
.LBB30_1000:
	s_delay_alu instid0(SALU_CYCLE_1)
	s_and_not1_b32 vcc_lo, exec_lo, s33
	s_cbranch_vccnz .LBB30_1005
; %bb.1001:
	s_cmp_gt_i32 s29, 0
	s_mov_b32 s29, -1
	s_cbranch_scc0 .LBB30_1003
; %bb.1002:
	s_mov_b32 s29, 0
	global_store_b8 v[0:1], v2, off
.LBB30_1003:
	s_and_not1_b32 vcc_lo, exec_lo, s29
	s_cbranch_vccnz .LBB30_1005
; %bb.1004:
	global_store_b8 v[0:1], v2, off
.LBB30_1005:
	s_mov_b32 s34, -1
.LBB30_1006:
	s_delay_alu instid0(SALU_CYCLE_1)
	s_and_not1_b32 vcc_lo, exec_lo, s34
	s_cbranch_vccnz .LBB30_1008
; %bb.1007:
	v_add_nc_u32_e32 v26, 0x80, v26
	s_mov_b32 s33, -1
	s_branch .LBB30_1010
.LBB30_1008:
	s_mov_b32 s33, 0
.LBB30_1009:
                                        ; implicit-def: $vgpr26
.LBB30_1010:
	s_and_not1_b32 s29, s21, exec_lo
	s_and_b32 s0, s0, exec_lo
	s_and_not1_b32 s34, s23, exec_lo
	s_and_b32 s35, s28, exec_lo
	s_or_b32 s28, s29, s0
	s_or_b32 s29, s34, s35
	s_and_not1_b32 s0, s24, exec_lo
	s_and_b32 s30, s30, exec_lo
	s_and_not1_b32 s34, s25, exec_lo
	s_and_b32 s27, s27, exec_lo
	s_or_b32 s30, s0, s30
	s_or_b32 s27, s34, s27
	s_or_not1_b32 s34, s33, exec_lo
.LBB30_1011:
	s_wait_xcnt 0x0
	s_or_b32 exec_lo, exec_lo, s31
	s_mov_b32 s33, 0
	s_mov_b32 s35, 0
	;; [unrolled: 1-line block ×3, first 2 shown]
                                        ; implicit-def: $sgpr0
                                        ; implicit-def: $vgpr2_vgpr3
                                        ; implicit-def: $vgpr0
	s_and_saveexec_b32 s31, s34
	s_cbranch_execz .LBB30_1598
; %bb.1012:
	s_mov_b32 s41, -1
	s_mov_b32 s34, s27
	s_mov_b32 s35, s30
	;; [unrolled: 1-line block ×4, first 2 shown]
	s_mov_b32 s33, exec_lo
	v_cmpx_gt_i32_e64 s22, v26
	s_cbranch_execz .LBB30_1520
; %bb.1013:
	s_wait_loadcnt 0x0
	v_mul_lo_u32 v0, v26, s13
	s_and_b32 s0, s16, 0xff
	s_delay_alu instid0(SALU_CYCLE_1) | instskip(NEXT) | instid1(VALU_DEP_1)
	s_cmp_lt_i32 s0, 11
	v_ashrrev_i32_e32 v1, 31, v0
	s_delay_alu instid0(VALU_DEP_1)
	v_add_nc_u64_e32 v[2:3], s[6:7], v[0:1]
	s_cbranch_scc1 .LBB30_1020
; %bb.1014:
	s_and_b32 s35, 0xffff, s0
	s_delay_alu instid0(SALU_CYCLE_1)
	s_cmp_gt_i32 s35, 25
	s_cbranch_scc0 .LBB30_1021
; %bb.1015:
	s_cmp_gt_i32 s35, 28
	s_cbranch_scc0 .LBB30_1022
; %bb.1016:
	;; [unrolled: 3-line block ×4, first 2 shown]
	s_cmp_eq_u32 s35, 46
	s_mov_b32 s37, 0
	s_cbranch_scc0 .LBB30_1025
; %bb.1019:
	global_load_b32 v0, v[2:3], off
	s_mov_b32 s36, -1
	s_mov_b32 s34, 0
	s_wait_loadcnt 0x0
	v_lshlrev_b32_e32 v0, 16, v0
	s_delay_alu instid0(VALU_DEP_1) | instskip(NEXT) | instid1(VALU_DEP_1)
	v_trunc_f32_e32 v0, v0
	v_mul_f32_e64 v1, 0x2f800000, |v0|
	s_delay_alu instid0(VALU_DEP_1) | instskip(NEXT) | instid1(VALU_DEP_1)
	v_floor_f32_e32 v1, v1
	v_fma_f32 v1, 0xcf800000, v1, |v0|
	v_ashrrev_i32_e32 v0, 31, v0
	s_delay_alu instid0(VALU_DEP_2) | instskip(NEXT) | instid1(VALU_DEP_1)
	v_cvt_u32_f32_e32 v1, v1
	v_xor_b32_e32 v1, v1, v0
	s_delay_alu instid0(VALU_DEP_1)
	v_sub_nc_u32_e32 v0, v1, v0
	s_branch .LBB30_1027
.LBB30_1020:
	s_mov_b32 s35, -1
	s_mov_b32 s36, 0
	s_mov_b32 s34, s27
                                        ; implicit-def: $vgpr0
	s_branch .LBB30_1088
.LBB30_1021:
	s_mov_b32 s37, -1
	s_mov_b32 s36, 0
	s_mov_b32 s34, s27
                                        ; implicit-def: $vgpr0
	s_branch .LBB30_1054
.LBB30_1022:
	s_mov_b32 s37, -1
	s_mov_b32 s36, 0
	s_mov_b32 s34, s27
                                        ; implicit-def: $vgpr0
	s_branch .LBB30_1037
.LBB30_1023:
	s_mov_b32 s37, -1
	s_mov_b32 s36, 0
	s_mov_b32 s34, s27
                                        ; implicit-def: $vgpr0
	s_branch .LBB30_1032
.LBB30_1024:
	s_mov_b32 s37, -1
	s_mov_b32 s36, 0
	s_mov_b32 s34, s27
	s_branch .LBB30_1026
.LBB30_1025:
	s_mov_b32 s34, -1
	s_mov_b32 s36, 0
.LBB30_1026:
                                        ; implicit-def: $vgpr0
.LBB30_1027:
	s_and_b32 vcc_lo, exec_lo, s37
	s_cbranch_vccz .LBB30_1031
; %bb.1028:
	s_cmp_eq_u32 s35, 44
	s_cbranch_scc0 .LBB30_1030
; %bb.1029:
	global_load_u8 v0, v[2:3], off
	s_mov_b32 s34, 0
	s_mov_b32 s36, -1
	s_wait_loadcnt 0x0
	v_lshlrev_b32_e32 v1, 23, v0
	v_cmp_ne_u32_e32 vcc_lo, 0, v0
	s_delay_alu instid0(VALU_DEP_2) | instskip(NEXT) | instid1(VALU_DEP_1)
	v_trunc_f32_e32 v1, v1
	v_mul_f32_e64 v4, 0x2f800000, |v1|
	s_delay_alu instid0(VALU_DEP_1) | instskip(NEXT) | instid1(VALU_DEP_1)
	v_floor_f32_e32 v4, v4
	v_fma_f32 v4, 0xcf800000, v4, |v1|
	v_ashrrev_i32_e32 v1, 31, v1
	s_delay_alu instid0(VALU_DEP_2) | instskip(NEXT) | instid1(VALU_DEP_1)
	v_cvt_u32_f32_e32 v4, v4
	v_xor_b32_e32 v4, v4, v1
	s_delay_alu instid0(VALU_DEP_1) | instskip(NEXT) | instid1(VALU_DEP_1)
	v_sub_nc_u32_e32 v1, v4, v1
	v_cndmask_b32_e32 v0, 0, v1, vcc_lo
	s_branch .LBB30_1031
.LBB30_1030:
	s_mov_b32 s34, -1
                                        ; implicit-def: $vgpr0
.LBB30_1031:
	s_mov_b32 s37, 0
.LBB30_1032:
	s_delay_alu instid0(SALU_CYCLE_1)
	s_and_b32 vcc_lo, exec_lo, s37
	s_cbranch_vccz .LBB30_1036
; %bb.1033:
	s_cmp_eq_u32 s35, 29
	s_cbranch_scc0 .LBB30_1035
; %bb.1034:
	global_load_b64 v[0:1], v[2:3], off
	s_mov_b32 s36, -1
	s_mov_b32 s34, 0
	s_branch .LBB30_1036
.LBB30_1035:
	s_mov_b32 s34, -1
                                        ; implicit-def: $vgpr0
.LBB30_1036:
	s_mov_b32 s37, 0
.LBB30_1037:
	s_delay_alu instid0(SALU_CYCLE_1)
	s_and_b32 vcc_lo, exec_lo, s37
	s_cbranch_vccz .LBB30_1053
; %bb.1038:
	s_cmp_lt_i32 s35, 27
	s_cbranch_scc1 .LBB30_1041
; %bb.1039:
	s_cmp_gt_i32 s35, 27
	s_cbranch_scc0 .LBB30_1042
; %bb.1040:
	s_wait_loadcnt 0x0
	global_load_b32 v0, v[2:3], off
	s_mov_b32 s36, 0
	s_branch .LBB30_1043
.LBB30_1041:
	s_mov_b32 s36, -1
                                        ; implicit-def: $vgpr0
	s_branch .LBB30_1046
.LBB30_1042:
	s_mov_b32 s36, -1
                                        ; implicit-def: $vgpr0
.LBB30_1043:
	s_delay_alu instid0(SALU_CYCLE_1)
	s_and_not1_b32 vcc_lo, exec_lo, s36
	s_cbranch_vccnz .LBB30_1045
; %bb.1044:
	s_wait_loadcnt 0x0
	global_load_u16 v0, v[2:3], off
.LBB30_1045:
	s_mov_b32 s36, 0
.LBB30_1046:
	s_delay_alu instid0(SALU_CYCLE_1)
	s_and_not1_b32 vcc_lo, exec_lo, s36
	s_cbranch_vccnz .LBB30_1052
; %bb.1047:
	s_wait_loadcnt 0x0
	global_load_u8 v1, v[2:3], off
	s_mov_b32 s37, 0
	s_mov_b32 s36, exec_lo
	s_wait_loadcnt 0x0
	v_cmpx_lt_i16_e32 0x7f, v1
	s_xor_b32 s36, exec_lo, s36
	s_cbranch_execz .LBB30_1064
; %bb.1048:
	v_cmp_ne_u16_e32 vcc_lo, 0x80, v1
	s_and_b32 s37, vcc_lo, exec_lo
	s_and_not1_saveexec_b32 s36, s36
	s_cbranch_execnz .LBB30_1065
.LBB30_1049:
	s_or_b32 exec_lo, exec_lo, s36
	v_mov_b32_e32 v0, 0
	s_and_saveexec_b32 s36, s37
	s_cbranch_execz .LBB30_1051
.LBB30_1050:
	v_and_b32_e32 v0, 0xffff, v1
	s_delay_alu instid0(VALU_DEP_1) | instskip(SKIP_1) | instid1(VALU_DEP_2)
	v_and_b32_e32 v4, 7, v0
	v_bfe_u32 v7, v0, 3, 4
	v_clz_i32_u32_e32 v5, v4
	s_delay_alu instid0(VALU_DEP_2) | instskip(NEXT) | instid1(VALU_DEP_2)
	v_cmp_eq_u32_e32 vcc_lo, 0, v7
	v_min_u32_e32 v5, 32, v5
	s_delay_alu instid0(VALU_DEP_1) | instskip(NEXT) | instid1(VALU_DEP_1)
	v_subrev_nc_u32_e32 v6, 28, v5
	v_dual_lshlrev_b32 v0, v6, v0 :: v_dual_sub_nc_u32 v5, 29, v5
	s_delay_alu instid0(VALU_DEP_1) | instskip(NEXT) | instid1(VALU_DEP_1)
	v_dual_lshlrev_b32 v1, 24, v1 :: v_dual_bitop2_b32 v0, 7, v0 bitop3:0x40
	v_dual_cndmask_b32 v0, v4, v0 :: v_dual_cndmask_b32 v5, v7, v5
	s_delay_alu instid0(VALU_DEP_2) | instskip(NEXT) | instid1(VALU_DEP_2)
	v_and_b32_e32 v1, 0x80000000, v1
	v_lshlrev_b32_e32 v0, 20, v0
	s_delay_alu instid0(VALU_DEP_3) | instskip(NEXT) | instid1(VALU_DEP_1)
	v_lshl_add_u32 v4, v5, 23, 0x3b800000
	v_or3_b32 v0, v1, v4, v0
	s_delay_alu instid0(VALU_DEP_1) | instskip(NEXT) | instid1(VALU_DEP_1)
	v_trunc_f32_e32 v0, v0
	v_mul_f32_e64 v1, 0x2f800000, |v0|
	s_delay_alu instid0(VALU_DEP_1) | instskip(NEXT) | instid1(VALU_DEP_1)
	v_floor_f32_e32 v1, v1
	v_fma_f32 v1, 0xcf800000, v1, |v0|
	v_ashrrev_i32_e32 v0, 31, v0
	s_delay_alu instid0(VALU_DEP_2) | instskip(NEXT) | instid1(VALU_DEP_1)
	v_cvt_u32_f32_e32 v1, v1
	v_xor_b32_e32 v1, v1, v0
	s_delay_alu instid0(VALU_DEP_1)
	v_sub_nc_u32_e32 v0, v1, v0
.LBB30_1051:
	s_or_b32 exec_lo, exec_lo, s36
.LBB30_1052:
	s_mov_b32 s36, -1
.LBB30_1053:
	s_mov_b32 s37, 0
.LBB30_1054:
	s_delay_alu instid0(SALU_CYCLE_1)
	s_and_b32 vcc_lo, exec_lo, s37
	s_cbranch_vccz .LBB30_1087
; %bb.1055:
	s_cmp_gt_i32 s35, 22
	s_cbranch_scc0 .LBB30_1063
; %bb.1056:
	s_cmp_lt_i32 s35, 24
	s_cbranch_scc1 .LBB30_1066
; %bb.1057:
	s_cmp_gt_i32 s35, 24
	s_cbranch_scc0 .LBB30_1067
; %bb.1058:
	s_wait_loadcnt 0x0
	global_load_u8 v1, v[2:3], off
	s_mov_b32 s37, 0
	s_mov_b32 s36, exec_lo
	s_wait_loadcnt 0x0
	v_cmpx_lt_i16_e32 0x7f, v1
	s_xor_b32 s36, exec_lo, s36
	s_cbranch_execz .LBB30_1079
; %bb.1059:
	v_cmp_ne_u16_e32 vcc_lo, 0x80, v1
	s_and_b32 s37, vcc_lo, exec_lo
	s_and_not1_saveexec_b32 s36, s36
	s_cbranch_execnz .LBB30_1080
.LBB30_1060:
	s_or_b32 exec_lo, exec_lo, s36
	v_mov_b32_e32 v0, 0
	s_and_saveexec_b32 s36, s37
	s_cbranch_execz .LBB30_1062
.LBB30_1061:
	v_and_b32_e32 v0, 0xffff, v1
	s_delay_alu instid0(VALU_DEP_1) | instskip(SKIP_1) | instid1(VALU_DEP_2)
	v_and_b32_e32 v4, 3, v0
	v_bfe_u32 v7, v0, 2, 5
	v_clz_i32_u32_e32 v5, v4
	s_delay_alu instid0(VALU_DEP_2) | instskip(NEXT) | instid1(VALU_DEP_2)
	v_cmp_eq_u32_e32 vcc_lo, 0, v7
	v_min_u32_e32 v5, 32, v5
	s_delay_alu instid0(VALU_DEP_1) | instskip(NEXT) | instid1(VALU_DEP_1)
	v_subrev_nc_u32_e32 v6, 29, v5
	v_dual_lshlrev_b32 v0, v6, v0 :: v_dual_sub_nc_u32 v5, 30, v5
	s_delay_alu instid0(VALU_DEP_1) | instskip(NEXT) | instid1(VALU_DEP_1)
	v_dual_lshlrev_b32 v1, 24, v1 :: v_dual_bitop2_b32 v0, 3, v0 bitop3:0x40
	v_dual_cndmask_b32 v0, v4, v0 :: v_dual_cndmask_b32 v5, v7, v5
	s_delay_alu instid0(VALU_DEP_2) | instskip(NEXT) | instid1(VALU_DEP_2)
	v_and_b32_e32 v1, 0x80000000, v1
	v_lshlrev_b32_e32 v0, 21, v0
	s_delay_alu instid0(VALU_DEP_3) | instskip(NEXT) | instid1(VALU_DEP_1)
	v_lshl_add_u32 v4, v5, 23, 0x37800000
	v_or3_b32 v0, v1, v4, v0
	s_delay_alu instid0(VALU_DEP_1) | instskip(NEXT) | instid1(VALU_DEP_1)
	v_trunc_f32_e32 v0, v0
	v_mul_f32_e64 v1, 0x2f800000, |v0|
	s_delay_alu instid0(VALU_DEP_1) | instskip(NEXT) | instid1(VALU_DEP_1)
	v_floor_f32_e32 v1, v1
	v_fma_f32 v1, 0xcf800000, v1, |v0|
	v_ashrrev_i32_e32 v0, 31, v0
	s_delay_alu instid0(VALU_DEP_2) | instskip(NEXT) | instid1(VALU_DEP_1)
	v_cvt_u32_f32_e32 v1, v1
	v_xor_b32_e32 v1, v1, v0
	s_delay_alu instid0(VALU_DEP_1)
	v_sub_nc_u32_e32 v0, v1, v0
.LBB30_1062:
	s_or_b32 exec_lo, exec_lo, s36
	s_mov_b32 s36, 0
	s_branch .LBB30_1068
.LBB30_1063:
	s_mov_b32 s37, -1
                                        ; implicit-def: $vgpr0
	s_branch .LBB30_1074
.LBB30_1064:
	s_and_not1_saveexec_b32 s36, s36
	s_cbranch_execz .LBB30_1049
.LBB30_1065:
	v_cmp_ne_u16_e32 vcc_lo, 0, v1
	s_and_not1_b32 s37, s37, exec_lo
	s_and_b32 s38, vcc_lo, exec_lo
	s_delay_alu instid0(SALU_CYCLE_1)
	s_or_b32 s37, s37, s38
	s_or_b32 exec_lo, exec_lo, s36
	v_mov_b32_e32 v0, 0
	s_and_saveexec_b32 s36, s37
	s_cbranch_execnz .LBB30_1050
	s_branch .LBB30_1051
.LBB30_1066:
	s_mov_b32 s36, -1
                                        ; implicit-def: $vgpr0
	s_branch .LBB30_1071
.LBB30_1067:
	s_mov_b32 s36, -1
                                        ; implicit-def: $vgpr0
.LBB30_1068:
	s_delay_alu instid0(SALU_CYCLE_1)
	s_and_b32 vcc_lo, exec_lo, s36
	s_cbranch_vccz .LBB30_1070
; %bb.1069:
	s_wait_loadcnt 0x0
	global_load_u8 v0, v[2:3], off
	s_wait_loadcnt 0x0
	v_lshlrev_b32_e32 v0, 24, v0
	s_delay_alu instid0(VALU_DEP_1) | instskip(NEXT) | instid1(VALU_DEP_1)
	v_and_b32_e32 v1, 0x7f000000, v0
	v_clz_i32_u32_e32 v4, v1
	v_cmp_ne_u32_e32 vcc_lo, 0, v1
	v_add_nc_u32_e32 v6, 0x1000000, v1
	s_delay_alu instid0(VALU_DEP_3) | instskip(NEXT) | instid1(VALU_DEP_1)
	v_min_u32_e32 v4, 32, v4
	v_sub_nc_u32_e64 v4, v4, 4 clamp
	s_delay_alu instid0(VALU_DEP_1) | instskip(NEXT) | instid1(VALU_DEP_1)
	v_dual_lshlrev_b32 v5, v4, v1 :: v_dual_lshlrev_b32 v4, 23, v4
	v_lshrrev_b32_e32 v5, 4, v5
	s_delay_alu instid0(VALU_DEP_1) | instskip(NEXT) | instid1(VALU_DEP_1)
	v_dual_sub_nc_u32 v4, v5, v4 :: v_dual_ashrrev_i32 v5, 8, v6
	v_add_nc_u32_e32 v4, 0x3c000000, v4
	s_delay_alu instid0(VALU_DEP_1) | instskip(NEXT) | instid1(VALU_DEP_1)
	v_and_or_b32 v4, 0x7f800000, v5, v4
	v_cndmask_b32_e32 v1, 0, v4, vcc_lo
	s_delay_alu instid0(VALU_DEP_1) | instskip(NEXT) | instid1(VALU_DEP_1)
	v_and_or_b32 v0, 0x80000000, v0, v1
	v_trunc_f32_e32 v0, v0
	s_delay_alu instid0(VALU_DEP_1) | instskip(NEXT) | instid1(VALU_DEP_1)
	v_mul_f32_e64 v1, 0x2f800000, |v0|
	v_floor_f32_e32 v1, v1
	s_delay_alu instid0(VALU_DEP_1) | instskip(SKIP_1) | instid1(VALU_DEP_2)
	v_fma_f32 v1, 0xcf800000, v1, |v0|
	v_ashrrev_i32_e32 v0, 31, v0
	v_cvt_u32_f32_e32 v1, v1
	s_delay_alu instid0(VALU_DEP_1) | instskip(NEXT) | instid1(VALU_DEP_1)
	v_xor_b32_e32 v1, v1, v0
	v_sub_nc_u32_e32 v0, v1, v0
.LBB30_1070:
	s_mov_b32 s36, 0
.LBB30_1071:
	s_delay_alu instid0(SALU_CYCLE_1)
	s_and_not1_b32 vcc_lo, exec_lo, s36
	s_cbranch_vccnz .LBB30_1073
; %bb.1072:
	s_wait_loadcnt 0x0
	global_load_u8 v0, v[2:3], off
	s_wait_loadcnt 0x0
	v_lshlrev_b32_e32 v1, 25, v0
	v_lshlrev_b16 v0, 8, v0
	s_delay_alu instid0(VALU_DEP_1) | instskip(SKIP_1) | instid1(VALU_DEP_2)
	v_and_or_b32 v5, 0x7f00, v0, 0.5
	v_bfe_i32 v0, v0, 0, 16
	v_add_f32_e32 v5, -0.5, v5
	v_lshrrev_b32_e32 v4, 4, v1
	v_cmp_gt_u32_e32 vcc_lo, 0x8000000, v1
	s_delay_alu instid0(VALU_DEP_2) | instskip(NEXT) | instid1(VALU_DEP_1)
	v_or_b32_e32 v4, 0x70000000, v4
	v_mul_f32_e32 v4, 0x7800000, v4
	s_delay_alu instid0(VALU_DEP_1) | instskip(NEXT) | instid1(VALU_DEP_1)
	v_cndmask_b32_e32 v1, v4, v5, vcc_lo
	v_and_or_b32 v0, 0x80000000, v0, v1
	s_delay_alu instid0(VALU_DEP_1) | instskip(NEXT) | instid1(VALU_DEP_1)
	v_trunc_f32_e32 v0, v0
	v_mul_f32_e64 v1, 0x2f800000, |v0|
	s_delay_alu instid0(VALU_DEP_1) | instskip(NEXT) | instid1(VALU_DEP_1)
	v_floor_f32_e32 v1, v1
	v_fma_f32 v1, 0xcf800000, v1, |v0|
	v_ashrrev_i32_e32 v0, 31, v0
	s_delay_alu instid0(VALU_DEP_2) | instskip(NEXT) | instid1(VALU_DEP_1)
	v_cvt_u32_f32_e32 v1, v1
	v_xor_b32_e32 v1, v1, v0
	s_delay_alu instid0(VALU_DEP_1)
	v_sub_nc_u32_e32 v0, v1, v0
.LBB30_1073:
	s_mov_b32 s37, 0
	s_mov_b32 s36, -1
.LBB30_1074:
	s_and_not1_b32 vcc_lo, exec_lo, s37
	s_cbranch_vccnz .LBB30_1087
; %bb.1075:
	s_cmp_gt_i32 s35, 14
	s_cbranch_scc0 .LBB30_1078
; %bb.1076:
	s_cmp_eq_u32 s35, 15
	s_cbranch_scc0 .LBB30_1081
; %bb.1077:
	s_wait_loadcnt 0x0
	global_load_u16 v0, v[2:3], off
	s_mov_b32 s36, -1
	s_mov_b32 s34, 0
	s_wait_loadcnt 0x0
	v_lshlrev_b32_e32 v0, 16, v0
	s_delay_alu instid0(VALU_DEP_1) | instskip(NEXT) | instid1(VALU_DEP_1)
	v_trunc_f32_e32 v0, v0
	v_mul_f32_e64 v1, 0x2f800000, |v0|
	s_delay_alu instid0(VALU_DEP_1) | instskip(NEXT) | instid1(VALU_DEP_1)
	v_floor_f32_e32 v1, v1
	v_fma_f32 v1, 0xcf800000, v1, |v0|
	v_ashrrev_i32_e32 v0, 31, v0
	s_delay_alu instid0(VALU_DEP_2) | instskip(NEXT) | instid1(VALU_DEP_1)
	v_cvt_u32_f32_e32 v1, v1
	v_xor_b32_e32 v1, v1, v0
	s_delay_alu instid0(VALU_DEP_1)
	v_sub_nc_u32_e32 v0, v1, v0
	s_branch .LBB30_1082
.LBB30_1078:
	s_mov_b32 s37, -1
                                        ; implicit-def: $vgpr0
	s_branch .LBB30_1083
.LBB30_1079:
	s_and_not1_saveexec_b32 s36, s36
	s_cbranch_execz .LBB30_1060
.LBB30_1080:
	v_cmp_ne_u16_e32 vcc_lo, 0, v1
	s_and_not1_b32 s37, s37, exec_lo
	s_and_b32 s38, vcc_lo, exec_lo
	s_delay_alu instid0(SALU_CYCLE_1)
	s_or_b32 s37, s37, s38
	s_or_b32 exec_lo, exec_lo, s36
	v_mov_b32_e32 v0, 0
	s_and_saveexec_b32 s36, s37
	s_cbranch_execnz .LBB30_1061
	s_branch .LBB30_1062
.LBB30_1081:
	s_mov_b32 s34, -1
                                        ; implicit-def: $vgpr0
.LBB30_1082:
	s_mov_b32 s37, 0
.LBB30_1083:
	s_delay_alu instid0(SALU_CYCLE_1)
	s_and_b32 vcc_lo, exec_lo, s37
	s_cbranch_vccz .LBB30_1087
; %bb.1084:
	s_cmp_eq_u32 s35, 11
	s_cbranch_scc0 .LBB30_1086
; %bb.1085:
	s_wait_loadcnt 0x0
	global_load_u8 v0, v[2:3], off
	s_mov_b32 s34, 0
	s_mov_b32 s36, -1
	s_wait_loadcnt 0x0
	v_cmp_ne_u16_e32 vcc_lo, 0, v0
	v_cndmask_b32_e64 v0, 0, 1, vcc_lo
	s_branch .LBB30_1087
.LBB30_1086:
	s_mov_b32 s34, -1
                                        ; implicit-def: $vgpr0
.LBB30_1087:
	s_mov_b32 s35, 0
.LBB30_1088:
	s_delay_alu instid0(SALU_CYCLE_1)
	s_and_b32 vcc_lo, exec_lo, s35
	s_cbranch_vccz .LBB30_1137
; %bb.1089:
	s_and_b32 s0, 0xffff, s0
	s_delay_alu instid0(SALU_CYCLE_1)
	s_cmp_lt_i32 s0, 5
	s_cbranch_scc1 .LBB30_1094
; %bb.1090:
	s_cmp_lt_i32 s0, 8
	s_cbranch_scc1 .LBB30_1095
; %bb.1091:
	;; [unrolled: 3-line block ×3, first 2 shown]
	s_cmp_gt_i32 s0, 9
	s_cbranch_scc0 .LBB30_1097
; %bb.1093:
	s_wait_loadcnt 0x0
	global_load_b64 v[0:1], v[2:3], off
	s_mov_b32 s35, 0
	s_wait_loadcnt 0x0
	v_trunc_f64_e32 v[0:1], v[0:1]
	s_delay_alu instid0(VALU_DEP_1) | instskip(NEXT) | instid1(VALU_DEP_1)
	v_ldexp_f64 v[4:5], v[0:1], 0xffffffe0
	v_floor_f64_e32 v[4:5], v[4:5]
	s_delay_alu instid0(VALU_DEP_1) | instskip(NEXT) | instid1(VALU_DEP_1)
	v_fmamk_f64 v[0:1], v[4:5], 0xc1f00000, v[0:1]
	v_cvt_u32_f64_e32 v0, v[0:1]
	s_branch .LBB30_1098
.LBB30_1094:
	s_mov_b32 s35, -1
                                        ; implicit-def: $vgpr0
	s_branch .LBB30_1116
.LBB30_1095:
	s_mov_b32 s35, -1
                                        ; implicit-def: $vgpr0
	s_branch .LBB30_1104
.LBB30_1096:
	s_mov_b32 s35, -1
                                        ; implicit-def: $vgpr0
	s_branch .LBB30_1101
.LBB30_1097:
	s_mov_b32 s35, -1
                                        ; implicit-def: $vgpr0
.LBB30_1098:
	s_delay_alu instid0(SALU_CYCLE_1)
	s_and_not1_b32 vcc_lo, exec_lo, s35
	s_cbranch_vccnz .LBB30_1100
; %bb.1099:
	s_wait_loadcnt 0x0
	global_load_b32 v0, v[2:3], off
	s_wait_loadcnt 0x0
	v_trunc_f32_e32 v0, v0
	s_delay_alu instid0(VALU_DEP_1) | instskip(NEXT) | instid1(VALU_DEP_1)
	v_mul_f32_e64 v1, 0x2f800000, |v0|
	v_floor_f32_e32 v1, v1
	s_delay_alu instid0(VALU_DEP_1) | instskip(SKIP_1) | instid1(VALU_DEP_2)
	v_fma_f32 v1, 0xcf800000, v1, |v0|
	v_ashrrev_i32_e32 v0, 31, v0
	v_cvt_u32_f32_e32 v1, v1
	s_delay_alu instid0(VALU_DEP_1) | instskip(NEXT) | instid1(VALU_DEP_1)
	v_xor_b32_e32 v1, v1, v0
	v_sub_nc_u32_e32 v0, v1, v0
.LBB30_1100:
	s_mov_b32 s35, 0
.LBB30_1101:
	s_delay_alu instid0(SALU_CYCLE_1)
	s_and_not1_b32 vcc_lo, exec_lo, s35
	s_cbranch_vccnz .LBB30_1103
; %bb.1102:
	s_wait_loadcnt 0x0
	global_load_b32 v0, v[2:3], off
	s_wait_loadcnt 0x0
	v_cvt_f32_f16_e32 v0, v0
	s_delay_alu instid0(VALU_DEP_1)
	v_cvt_i32_f32_e32 v0, v0
.LBB30_1103:
	s_mov_b32 s35, 0
.LBB30_1104:
	s_delay_alu instid0(SALU_CYCLE_1)
	s_and_not1_b32 vcc_lo, exec_lo, s35
	s_cbranch_vccnz .LBB30_1115
; %bb.1105:
	s_cmp_lt_i32 s0, 6
	s_cbranch_scc1 .LBB30_1108
; %bb.1106:
	s_cmp_gt_i32 s0, 6
	s_cbranch_scc0 .LBB30_1109
; %bb.1107:
	s_wait_loadcnt 0x0
	global_load_b64 v[0:1], v[2:3], off
	s_mov_b32 s35, 0
	s_wait_loadcnt 0x0
	v_trunc_f64_e32 v[0:1], v[0:1]
	s_delay_alu instid0(VALU_DEP_1) | instskip(NEXT) | instid1(VALU_DEP_1)
	v_ldexp_f64 v[4:5], v[0:1], 0xffffffe0
	v_floor_f64_e32 v[4:5], v[4:5]
	s_delay_alu instid0(VALU_DEP_1) | instskip(NEXT) | instid1(VALU_DEP_1)
	v_fmamk_f64 v[0:1], v[4:5], 0xc1f00000, v[0:1]
	v_cvt_u32_f64_e32 v0, v[0:1]
	s_branch .LBB30_1110
.LBB30_1108:
	s_mov_b32 s35, -1
                                        ; implicit-def: $vgpr0
	s_branch .LBB30_1113
.LBB30_1109:
	s_mov_b32 s35, -1
                                        ; implicit-def: $vgpr0
.LBB30_1110:
	s_delay_alu instid0(SALU_CYCLE_1)
	s_and_not1_b32 vcc_lo, exec_lo, s35
	s_cbranch_vccnz .LBB30_1112
; %bb.1111:
	s_wait_loadcnt 0x0
	global_load_b32 v0, v[2:3], off
	s_wait_loadcnt 0x0
	v_trunc_f32_e32 v0, v0
	s_delay_alu instid0(VALU_DEP_1) | instskip(NEXT) | instid1(VALU_DEP_1)
	v_mul_f32_e64 v1, 0x2f800000, |v0|
	v_floor_f32_e32 v1, v1
	s_delay_alu instid0(VALU_DEP_1) | instskip(SKIP_1) | instid1(VALU_DEP_2)
	v_fma_f32 v1, 0xcf800000, v1, |v0|
	v_ashrrev_i32_e32 v0, 31, v0
	v_cvt_u32_f32_e32 v1, v1
	s_delay_alu instid0(VALU_DEP_1) | instskip(NEXT) | instid1(VALU_DEP_1)
	v_xor_b32_e32 v1, v1, v0
	v_sub_nc_u32_e32 v0, v1, v0
.LBB30_1112:
	s_mov_b32 s35, 0
.LBB30_1113:
	s_delay_alu instid0(SALU_CYCLE_1)
	s_and_not1_b32 vcc_lo, exec_lo, s35
	s_cbranch_vccnz .LBB30_1115
; %bb.1114:
	s_wait_loadcnt 0x0
	global_load_u16 v0, v[2:3], off
	s_wait_loadcnt 0x0
	v_cvt_f32_f16_e32 v0, v0
	s_delay_alu instid0(VALU_DEP_1)
	v_cvt_i32_f32_e32 v0, v0
.LBB30_1115:
	s_mov_b32 s35, 0
.LBB30_1116:
	s_delay_alu instid0(SALU_CYCLE_1)
	s_and_not1_b32 vcc_lo, exec_lo, s35
	s_cbranch_vccnz .LBB30_1136
; %bb.1117:
	s_cmp_lt_i32 s0, 2
	s_cbranch_scc1 .LBB30_1121
; %bb.1118:
	s_cmp_lt_i32 s0, 3
	s_cbranch_scc1 .LBB30_1122
; %bb.1119:
	s_cmp_gt_i32 s0, 3
	s_cbranch_scc0 .LBB30_1123
; %bb.1120:
	s_wait_loadcnt 0x0
	global_load_b64 v[0:1], v[2:3], off
	s_mov_b32 s35, 0
	s_branch .LBB30_1124
.LBB30_1121:
	s_mov_b32 s35, -1
                                        ; implicit-def: $vgpr0
	s_branch .LBB30_1130
.LBB30_1122:
	s_mov_b32 s35, -1
                                        ; implicit-def: $vgpr0
	s_branch .LBB30_1127
.LBB30_1123:
	s_mov_b32 s35, -1
                                        ; implicit-def: $vgpr0
.LBB30_1124:
	s_delay_alu instid0(SALU_CYCLE_1)
	s_and_not1_b32 vcc_lo, exec_lo, s35
	s_cbranch_vccnz .LBB30_1126
; %bb.1125:
	s_wait_loadcnt 0x0
	global_load_b32 v0, v[2:3], off
.LBB30_1126:
	s_mov_b32 s35, 0
.LBB30_1127:
	s_delay_alu instid0(SALU_CYCLE_1)
	s_and_not1_b32 vcc_lo, exec_lo, s35
	s_cbranch_vccnz .LBB30_1129
; %bb.1128:
	s_wait_loadcnt 0x0
	global_load_u16 v0, v[2:3], off
.LBB30_1129:
	s_mov_b32 s35, 0
.LBB30_1130:
	s_delay_alu instid0(SALU_CYCLE_1)
	s_and_not1_b32 vcc_lo, exec_lo, s35
	s_cbranch_vccnz .LBB30_1136
; %bb.1131:
	s_cmp_gt_i32 s0, 0
	s_mov_b32 s0, 0
	s_cbranch_scc0 .LBB30_1133
; %bb.1132:
	s_wait_loadcnt 0x0
	global_load_u8 v0, v[2:3], off
	s_branch .LBB30_1134
.LBB30_1133:
	s_mov_b32 s0, -1
                                        ; implicit-def: $vgpr0
.LBB30_1134:
	s_delay_alu instid0(SALU_CYCLE_1)
	s_and_not1_b32 vcc_lo, exec_lo, s0
	s_cbranch_vccnz .LBB30_1136
; %bb.1135:
	s_wait_loadcnt 0x0
	global_load_u8 v0, v[2:3], off
.LBB30_1136:
	s_mov_b32 s36, -1
.LBB30_1137:
	s_delay_alu instid0(SALU_CYCLE_1)
	s_and_not1_b32 vcc_lo, exec_lo, s36
	s_cbranch_vccnz .LBB30_1145
; %bb.1138:
	s_wait_xcnt 0x0
	v_mul_lo_u32 v2, v26, s14
	s_and_b32 s0, s3, 0xff
	s_delay_alu instid0(SALU_CYCLE_1) | instskip(NEXT) | instid1(VALU_DEP_1)
	s_cmp_lt_i32 s0, 11
	v_ashrrev_i32_e32 v3, 31, v2
	s_delay_alu instid0(VALU_DEP_1)
	v_add_nc_u64_e32 v[4:5], s[8:9], v[2:3]
	s_cbranch_scc1 .LBB30_1146
; %bb.1139:
	s_and_b32 s36, 0xffff, s0
	s_delay_alu instid0(SALU_CYCLE_1)
	s_cmp_gt_i32 s36, 25
	s_cbranch_scc0 .LBB30_1147
; %bb.1140:
	s_cmp_gt_i32 s36, 28
	s_cbranch_scc0 .LBB30_1148
; %bb.1141:
	s_cmp_gt_i32 s36, 43
	s_cbranch_scc0 .LBB30_1149
; %bb.1142:
	s_cmp_gt_i32 s36, 45
	s_cbranch_scc0 .LBB30_1150
; %bb.1143:
	s_cmp_eq_u32 s36, 46
	s_mov_b32 s38, 0
	s_cbranch_scc0 .LBB30_1153
; %bb.1144:
	s_wait_loadcnt 0x0
	global_load_b32 v1, v[4:5], off
	s_mov_b32 s37, -1
	s_mov_b32 s35, 0
	s_wait_loadcnt 0x0
	v_lshlrev_b32_e32 v1, 16, v1
	s_delay_alu instid0(VALU_DEP_1) | instskip(NEXT) | instid1(VALU_DEP_1)
	v_trunc_f32_e32 v1, v1
	v_mul_f32_e64 v2, 0x2f800000, |v1|
	s_delay_alu instid0(VALU_DEP_1) | instskip(NEXT) | instid1(VALU_DEP_1)
	v_floor_f32_e32 v2, v2
	v_fma_f32 v2, 0xcf800000, v2, |v1|
	v_ashrrev_i32_e32 v1, 31, v1
	s_delay_alu instid0(VALU_DEP_2) | instskip(NEXT) | instid1(VALU_DEP_1)
	v_cvt_u32_f32_e32 v2, v2
	v_xor_b32_e32 v2, v2, v1
	s_delay_alu instid0(VALU_DEP_1)
	v_sub_nc_u32_e32 v2, v2, v1
	s_branch .LBB30_1155
.LBB30_1145:
	s_mov_b32 s38, 0
	s_mov_b32 s0, s28
	;; [unrolled: 1-line block ×4, first 2 shown]
	s_branch .LBB30_1518
.LBB30_1146:
	s_mov_b32 s36, -1
	s_mov_b32 s37, 0
	s_mov_b32 s35, s30
                                        ; implicit-def: $vgpr2
	s_branch .LBB30_1216
.LBB30_1147:
	s_mov_b32 s38, -1
	s_mov_b32 s37, 0
	s_mov_b32 s35, s30
                                        ; implicit-def: $vgpr2
	s_branch .LBB30_1182
.LBB30_1148:
	s_mov_b32 s38, -1
	s_mov_b32 s37, 0
	s_mov_b32 s35, s30
                                        ; implicit-def: $vgpr2
	s_branch .LBB30_1165
.LBB30_1149:
	s_mov_b32 s38, -1
	s_mov_b32 s37, 0
	s_mov_b32 s35, s30
                                        ; implicit-def: $vgpr2
	s_branch .LBB30_1160
.LBB30_1150:
	s_mov_b32 s38, -1
	s_mov_b32 s37, 0
	s_mov_b32 s35, s30
	s_branch .LBB30_1154
.LBB30_1151:
	s_and_not1_saveexec_b32 s36, s36
	s_cbranch_execz .LBB30_919
.LBB30_1152:
	v_add_f32_e32 v3, 0x46000000, v4
	s_and_not1_b32 s35, s35, exec_lo
	s_delay_alu instid0(VALU_DEP_1) | instskip(NEXT) | instid1(VALU_DEP_1)
	v_and_b32_e32 v3, 0xff, v3
	v_cmp_ne_u32_e32 vcc_lo, 0, v3
	s_and_b32 s37, vcc_lo, exec_lo
	s_delay_alu instid0(SALU_CYCLE_1)
	s_or_b32 s35, s35, s37
	s_or_b32 exec_lo, exec_lo, s36
	v_mov_b32_e32 v5, 0
	s_and_saveexec_b32 s36, s35
	s_cbranch_execnz .LBB30_920
	s_branch .LBB30_921
.LBB30_1153:
	s_mov_b32 s35, -1
	s_mov_b32 s37, 0
.LBB30_1154:
                                        ; implicit-def: $vgpr2
.LBB30_1155:
	s_and_b32 vcc_lo, exec_lo, s38
	s_cbranch_vccz .LBB30_1159
; %bb.1156:
	s_cmp_eq_u32 s36, 44
	s_cbranch_scc0 .LBB30_1158
; %bb.1157:
	s_wait_loadcnt 0x0
	global_load_u8 v1, v[4:5], off
	s_mov_b32 s35, 0
	s_mov_b32 s37, -1
	s_wait_loadcnt 0x0
	v_lshlrev_b32_e32 v2, 23, v1
	v_cmp_ne_u32_e32 vcc_lo, 0, v1
	s_delay_alu instid0(VALU_DEP_2) | instskip(NEXT) | instid1(VALU_DEP_1)
	v_trunc_f32_e32 v2, v2
	v_mul_f32_e64 v3, 0x2f800000, |v2|
	s_delay_alu instid0(VALU_DEP_1) | instskip(NEXT) | instid1(VALU_DEP_1)
	v_floor_f32_e32 v3, v3
	v_fma_f32 v3, 0xcf800000, v3, |v2|
	v_ashrrev_i32_e32 v2, 31, v2
	s_delay_alu instid0(VALU_DEP_2) | instskip(NEXT) | instid1(VALU_DEP_1)
	v_cvt_u32_f32_e32 v3, v3
	v_xor_b32_e32 v3, v3, v2
	s_delay_alu instid0(VALU_DEP_1) | instskip(NEXT) | instid1(VALU_DEP_1)
	v_sub_nc_u32_e32 v2, v3, v2
	v_cndmask_b32_e32 v2, 0, v2, vcc_lo
	s_branch .LBB30_1159
.LBB30_1158:
	s_mov_b32 s35, -1
                                        ; implicit-def: $vgpr2
.LBB30_1159:
	s_mov_b32 s38, 0
.LBB30_1160:
	s_delay_alu instid0(SALU_CYCLE_1)
	s_and_b32 vcc_lo, exec_lo, s38
	s_cbranch_vccz .LBB30_1164
; %bb.1161:
	s_cmp_eq_u32 s36, 29
	s_cbranch_scc0 .LBB30_1163
; %bb.1162:
	global_load_b64 v[2:3], v[4:5], off
	s_mov_b32 s37, -1
	s_mov_b32 s35, 0
	s_branch .LBB30_1164
.LBB30_1163:
	s_mov_b32 s35, -1
                                        ; implicit-def: $vgpr2
.LBB30_1164:
	s_mov_b32 s38, 0
.LBB30_1165:
	s_delay_alu instid0(SALU_CYCLE_1)
	s_and_b32 vcc_lo, exec_lo, s38
	s_cbranch_vccz .LBB30_1181
; %bb.1166:
	s_cmp_lt_i32 s36, 27
	s_cbranch_scc1 .LBB30_1169
; %bb.1167:
	s_cmp_gt_i32 s36, 27
	s_cbranch_scc0 .LBB30_1170
; %bb.1168:
	s_wait_loadcnt 0x0
	global_load_b32 v2, v[4:5], off
	s_mov_b32 s37, 0
	s_branch .LBB30_1171
.LBB30_1169:
	s_mov_b32 s37, -1
                                        ; implicit-def: $vgpr2
	s_branch .LBB30_1174
.LBB30_1170:
	s_mov_b32 s37, -1
                                        ; implicit-def: $vgpr2
.LBB30_1171:
	s_delay_alu instid0(SALU_CYCLE_1)
	s_and_not1_b32 vcc_lo, exec_lo, s37
	s_cbranch_vccnz .LBB30_1173
; %bb.1172:
	s_wait_loadcnt 0x0
	global_load_u16 v2, v[4:5], off
.LBB30_1173:
	s_mov_b32 s37, 0
.LBB30_1174:
	s_delay_alu instid0(SALU_CYCLE_1)
	s_and_not1_b32 vcc_lo, exec_lo, s37
	s_cbranch_vccnz .LBB30_1180
; %bb.1175:
	s_wait_loadcnt 0x0
	global_load_u8 v1, v[4:5], off
	s_mov_b32 s38, 0
	s_mov_b32 s37, exec_lo
	s_wait_loadcnt 0x0
	v_cmpx_lt_i16_e32 0x7f, v1
	s_xor_b32 s37, exec_lo, s37
	s_cbranch_execz .LBB30_1192
; %bb.1176:
	v_cmp_ne_u16_e32 vcc_lo, 0x80, v1
	s_and_b32 s38, vcc_lo, exec_lo
	s_and_not1_saveexec_b32 s37, s37
	s_cbranch_execnz .LBB30_1193
.LBB30_1177:
	s_or_b32 exec_lo, exec_lo, s37
	v_mov_b32_e32 v2, 0
	s_and_saveexec_b32 s37, s38
	s_cbranch_execz .LBB30_1179
.LBB30_1178:
	v_and_b32_e32 v2, 0xffff, v1
	s_delay_alu instid0(VALU_DEP_1) | instskip(SKIP_1) | instid1(VALU_DEP_2)
	v_dual_lshlrev_b32 v1, 24, v1 :: v_dual_bitop2_b32 v3, 7, v2 bitop3:0x40
	v_bfe_u32 v8, v2, 3, 4
	v_and_b32_e32 v1, 0x80000000, v1
	s_delay_alu instid0(VALU_DEP_3) | instskip(NEXT) | instid1(VALU_DEP_3)
	v_clz_i32_u32_e32 v6, v3
	v_cmp_eq_u32_e32 vcc_lo, 0, v8
	s_delay_alu instid0(VALU_DEP_2) | instskip(NEXT) | instid1(VALU_DEP_1)
	v_min_u32_e32 v6, 32, v6
	v_subrev_nc_u32_e32 v7, 28, v6
	v_sub_nc_u32_e32 v6, 29, v6
	s_delay_alu instid0(VALU_DEP_2) | instskip(NEXT) | instid1(VALU_DEP_2)
	v_lshlrev_b32_e32 v2, v7, v2
	v_cndmask_b32_e32 v6, v8, v6, vcc_lo
	s_delay_alu instid0(VALU_DEP_2) | instskip(NEXT) | instid1(VALU_DEP_1)
	v_and_b32_e32 v2, 7, v2
	v_cndmask_b32_e32 v2, v3, v2, vcc_lo
	s_delay_alu instid0(VALU_DEP_3) | instskip(NEXT) | instid1(VALU_DEP_2)
	v_lshl_add_u32 v3, v6, 23, 0x3b800000
	v_lshlrev_b32_e32 v2, 20, v2
	s_delay_alu instid0(VALU_DEP_1) | instskip(NEXT) | instid1(VALU_DEP_1)
	v_or3_b32 v1, v1, v3, v2
	v_trunc_f32_e32 v1, v1
	s_delay_alu instid0(VALU_DEP_1) | instskip(NEXT) | instid1(VALU_DEP_1)
	v_mul_f32_e64 v2, 0x2f800000, |v1|
	v_floor_f32_e32 v2, v2
	s_delay_alu instid0(VALU_DEP_1) | instskip(SKIP_1) | instid1(VALU_DEP_2)
	v_fma_f32 v2, 0xcf800000, v2, |v1|
	v_ashrrev_i32_e32 v1, 31, v1
	v_cvt_u32_f32_e32 v2, v2
	s_delay_alu instid0(VALU_DEP_1) | instskip(NEXT) | instid1(VALU_DEP_1)
	v_xor_b32_e32 v2, v2, v1
	v_sub_nc_u32_e32 v2, v2, v1
.LBB30_1179:
	s_or_b32 exec_lo, exec_lo, s37
.LBB30_1180:
	s_mov_b32 s37, -1
.LBB30_1181:
	s_mov_b32 s38, 0
.LBB30_1182:
	s_delay_alu instid0(SALU_CYCLE_1)
	s_and_b32 vcc_lo, exec_lo, s38
	s_cbranch_vccz .LBB30_1215
; %bb.1183:
	s_cmp_gt_i32 s36, 22
	s_cbranch_scc0 .LBB30_1191
; %bb.1184:
	s_cmp_lt_i32 s36, 24
	s_cbranch_scc1 .LBB30_1194
; %bb.1185:
	s_cmp_gt_i32 s36, 24
	s_cbranch_scc0 .LBB30_1195
; %bb.1186:
	s_wait_loadcnt 0x0
	global_load_u8 v1, v[4:5], off
	s_mov_b32 s38, 0
	s_mov_b32 s37, exec_lo
	s_wait_loadcnt 0x0
	v_cmpx_lt_i16_e32 0x7f, v1
	s_xor_b32 s37, exec_lo, s37
	s_cbranch_execz .LBB30_1207
; %bb.1187:
	v_cmp_ne_u16_e32 vcc_lo, 0x80, v1
	s_and_b32 s38, vcc_lo, exec_lo
	s_and_not1_saveexec_b32 s37, s37
	s_cbranch_execnz .LBB30_1208
.LBB30_1188:
	s_or_b32 exec_lo, exec_lo, s37
	v_mov_b32_e32 v2, 0
	s_and_saveexec_b32 s37, s38
	s_cbranch_execz .LBB30_1190
.LBB30_1189:
	v_and_b32_e32 v2, 0xffff, v1
	s_delay_alu instid0(VALU_DEP_1) | instskip(SKIP_1) | instid1(VALU_DEP_2)
	v_dual_lshlrev_b32 v1, 24, v1 :: v_dual_bitop2_b32 v3, 3, v2 bitop3:0x40
	v_bfe_u32 v8, v2, 2, 5
	v_and_b32_e32 v1, 0x80000000, v1
	s_delay_alu instid0(VALU_DEP_3) | instskip(NEXT) | instid1(VALU_DEP_3)
	v_clz_i32_u32_e32 v6, v3
	v_cmp_eq_u32_e32 vcc_lo, 0, v8
	s_delay_alu instid0(VALU_DEP_2) | instskip(NEXT) | instid1(VALU_DEP_1)
	v_min_u32_e32 v6, 32, v6
	v_subrev_nc_u32_e32 v7, 29, v6
	v_sub_nc_u32_e32 v6, 30, v6
	s_delay_alu instid0(VALU_DEP_2) | instskip(NEXT) | instid1(VALU_DEP_2)
	v_lshlrev_b32_e32 v2, v7, v2
	v_cndmask_b32_e32 v6, v8, v6, vcc_lo
	s_delay_alu instid0(VALU_DEP_2) | instskip(NEXT) | instid1(VALU_DEP_1)
	v_and_b32_e32 v2, 3, v2
	v_cndmask_b32_e32 v2, v3, v2, vcc_lo
	s_delay_alu instid0(VALU_DEP_3) | instskip(NEXT) | instid1(VALU_DEP_2)
	v_lshl_add_u32 v3, v6, 23, 0x37800000
	v_lshlrev_b32_e32 v2, 21, v2
	s_delay_alu instid0(VALU_DEP_1) | instskip(NEXT) | instid1(VALU_DEP_1)
	v_or3_b32 v1, v1, v3, v2
	v_trunc_f32_e32 v1, v1
	s_delay_alu instid0(VALU_DEP_1) | instskip(NEXT) | instid1(VALU_DEP_1)
	v_mul_f32_e64 v2, 0x2f800000, |v1|
	v_floor_f32_e32 v2, v2
	s_delay_alu instid0(VALU_DEP_1) | instskip(SKIP_1) | instid1(VALU_DEP_2)
	v_fma_f32 v2, 0xcf800000, v2, |v1|
	v_ashrrev_i32_e32 v1, 31, v1
	v_cvt_u32_f32_e32 v2, v2
	s_delay_alu instid0(VALU_DEP_1) | instskip(NEXT) | instid1(VALU_DEP_1)
	v_xor_b32_e32 v2, v2, v1
	v_sub_nc_u32_e32 v2, v2, v1
.LBB30_1190:
	s_or_b32 exec_lo, exec_lo, s37
	s_mov_b32 s37, 0
	s_branch .LBB30_1196
.LBB30_1191:
	s_mov_b32 s38, -1
                                        ; implicit-def: $vgpr2
	s_branch .LBB30_1202
.LBB30_1192:
	s_and_not1_saveexec_b32 s37, s37
	s_cbranch_execz .LBB30_1177
.LBB30_1193:
	v_cmp_ne_u16_e32 vcc_lo, 0, v1
	s_and_not1_b32 s38, s38, exec_lo
	s_and_b32 s39, vcc_lo, exec_lo
	s_delay_alu instid0(SALU_CYCLE_1)
	s_or_b32 s38, s38, s39
	s_or_b32 exec_lo, exec_lo, s37
	v_mov_b32_e32 v2, 0
	s_and_saveexec_b32 s37, s38
	s_cbranch_execnz .LBB30_1178
	s_branch .LBB30_1179
.LBB30_1194:
	s_mov_b32 s37, -1
                                        ; implicit-def: $vgpr2
	s_branch .LBB30_1199
.LBB30_1195:
	s_mov_b32 s37, -1
                                        ; implicit-def: $vgpr2
.LBB30_1196:
	s_delay_alu instid0(SALU_CYCLE_1)
	s_and_b32 vcc_lo, exec_lo, s37
	s_cbranch_vccz .LBB30_1198
; %bb.1197:
	s_wait_loadcnt 0x0
	global_load_u8 v1, v[4:5], off
	s_wait_loadcnt 0x0
	v_lshlrev_b32_e32 v1, 24, v1
	s_delay_alu instid0(VALU_DEP_1) | instskip(NEXT) | instid1(VALU_DEP_1)
	v_and_b32_e32 v2, 0x7f000000, v1
	v_clz_i32_u32_e32 v3, v2
	v_cmp_ne_u32_e32 vcc_lo, 0, v2
	v_add_nc_u32_e32 v7, 0x1000000, v2
	s_delay_alu instid0(VALU_DEP_3) | instskip(NEXT) | instid1(VALU_DEP_1)
	v_min_u32_e32 v3, 32, v3
	v_sub_nc_u32_e64 v3, v3, 4 clamp
	s_delay_alu instid0(VALU_DEP_1) | instskip(NEXT) | instid1(VALU_DEP_1)
	v_dual_lshlrev_b32 v6, v3, v2 :: v_dual_lshlrev_b32 v3, 23, v3
	v_lshrrev_b32_e32 v6, 4, v6
	s_delay_alu instid0(VALU_DEP_1) | instskip(SKIP_1) | instid1(VALU_DEP_2)
	v_sub_nc_u32_e32 v3, v6, v3
	v_ashrrev_i32_e32 v6, 8, v7
	v_add_nc_u32_e32 v3, 0x3c000000, v3
	s_delay_alu instid0(VALU_DEP_1) | instskip(NEXT) | instid1(VALU_DEP_1)
	v_and_or_b32 v3, 0x7f800000, v6, v3
	v_cndmask_b32_e32 v2, 0, v3, vcc_lo
	s_delay_alu instid0(VALU_DEP_1) | instskip(NEXT) | instid1(VALU_DEP_1)
	v_and_or_b32 v1, 0x80000000, v1, v2
	v_trunc_f32_e32 v1, v1
	s_delay_alu instid0(VALU_DEP_1) | instskip(NEXT) | instid1(VALU_DEP_1)
	v_mul_f32_e64 v2, 0x2f800000, |v1|
	v_floor_f32_e32 v2, v2
	s_delay_alu instid0(VALU_DEP_1) | instskip(SKIP_1) | instid1(VALU_DEP_2)
	v_fma_f32 v2, 0xcf800000, v2, |v1|
	v_ashrrev_i32_e32 v1, 31, v1
	v_cvt_u32_f32_e32 v2, v2
	s_delay_alu instid0(VALU_DEP_1) | instskip(NEXT) | instid1(VALU_DEP_1)
	v_xor_b32_e32 v2, v2, v1
	v_sub_nc_u32_e32 v2, v2, v1
.LBB30_1198:
	s_mov_b32 s37, 0
.LBB30_1199:
	s_delay_alu instid0(SALU_CYCLE_1)
	s_and_not1_b32 vcc_lo, exec_lo, s37
	s_cbranch_vccnz .LBB30_1201
; %bb.1200:
	s_wait_loadcnt 0x0
	global_load_u8 v1, v[4:5], off
	s_wait_loadcnt 0x0
	v_lshlrev_b32_e32 v2, 25, v1
	v_lshlrev_b16 v1, 8, v1
	s_delay_alu instid0(VALU_DEP_1) | instskip(SKIP_1) | instid1(VALU_DEP_2)
	v_and_or_b32 v6, 0x7f00, v1, 0.5
	v_bfe_i32 v1, v1, 0, 16
	v_add_f32_e32 v6, -0.5, v6
	v_lshrrev_b32_e32 v3, 4, v2
	v_cmp_gt_u32_e32 vcc_lo, 0x8000000, v2
	s_delay_alu instid0(VALU_DEP_2) | instskip(NEXT) | instid1(VALU_DEP_1)
	v_or_b32_e32 v3, 0x70000000, v3
	v_mul_f32_e32 v3, 0x7800000, v3
	s_delay_alu instid0(VALU_DEP_1) | instskip(NEXT) | instid1(VALU_DEP_1)
	v_cndmask_b32_e32 v2, v3, v6, vcc_lo
	v_and_or_b32 v1, 0x80000000, v1, v2
	s_delay_alu instid0(VALU_DEP_1) | instskip(NEXT) | instid1(VALU_DEP_1)
	v_trunc_f32_e32 v1, v1
	v_mul_f32_e64 v2, 0x2f800000, |v1|
	s_delay_alu instid0(VALU_DEP_1) | instskip(NEXT) | instid1(VALU_DEP_1)
	v_floor_f32_e32 v2, v2
	v_fma_f32 v2, 0xcf800000, v2, |v1|
	v_ashrrev_i32_e32 v1, 31, v1
	s_delay_alu instid0(VALU_DEP_2) | instskip(NEXT) | instid1(VALU_DEP_1)
	v_cvt_u32_f32_e32 v2, v2
	v_xor_b32_e32 v2, v2, v1
	s_delay_alu instid0(VALU_DEP_1)
	v_sub_nc_u32_e32 v2, v2, v1
.LBB30_1201:
	s_mov_b32 s38, 0
	s_mov_b32 s37, -1
.LBB30_1202:
	s_and_not1_b32 vcc_lo, exec_lo, s38
	s_cbranch_vccnz .LBB30_1215
; %bb.1203:
	s_cmp_gt_i32 s36, 14
	s_cbranch_scc0 .LBB30_1206
; %bb.1204:
	s_cmp_eq_u32 s36, 15
	s_cbranch_scc0 .LBB30_1209
; %bb.1205:
	s_wait_loadcnt 0x0
	global_load_u16 v1, v[4:5], off
	s_mov_b32 s37, -1
	s_mov_b32 s35, 0
	s_wait_loadcnt 0x0
	v_lshlrev_b32_e32 v1, 16, v1
	s_delay_alu instid0(VALU_DEP_1) | instskip(NEXT) | instid1(VALU_DEP_1)
	v_trunc_f32_e32 v1, v1
	v_mul_f32_e64 v2, 0x2f800000, |v1|
	s_delay_alu instid0(VALU_DEP_1) | instskip(NEXT) | instid1(VALU_DEP_1)
	v_floor_f32_e32 v2, v2
	v_fma_f32 v2, 0xcf800000, v2, |v1|
	v_ashrrev_i32_e32 v1, 31, v1
	s_delay_alu instid0(VALU_DEP_2) | instskip(NEXT) | instid1(VALU_DEP_1)
	v_cvt_u32_f32_e32 v2, v2
	v_xor_b32_e32 v2, v2, v1
	s_delay_alu instid0(VALU_DEP_1)
	v_sub_nc_u32_e32 v2, v2, v1
	s_branch .LBB30_1210
.LBB30_1206:
	s_mov_b32 s38, -1
                                        ; implicit-def: $vgpr2
	s_branch .LBB30_1211
.LBB30_1207:
	s_and_not1_saveexec_b32 s37, s37
	s_cbranch_execz .LBB30_1188
.LBB30_1208:
	v_cmp_ne_u16_e32 vcc_lo, 0, v1
	s_and_not1_b32 s38, s38, exec_lo
	s_and_b32 s39, vcc_lo, exec_lo
	s_delay_alu instid0(SALU_CYCLE_1)
	s_or_b32 s38, s38, s39
	s_or_b32 exec_lo, exec_lo, s37
	v_mov_b32_e32 v2, 0
	s_and_saveexec_b32 s37, s38
	s_cbranch_execnz .LBB30_1189
	s_branch .LBB30_1190
.LBB30_1209:
	s_mov_b32 s35, -1
                                        ; implicit-def: $vgpr2
.LBB30_1210:
	s_mov_b32 s38, 0
.LBB30_1211:
	s_delay_alu instid0(SALU_CYCLE_1)
	s_and_b32 vcc_lo, exec_lo, s38
	s_cbranch_vccz .LBB30_1215
; %bb.1212:
	s_cmp_eq_u32 s36, 11
	s_cbranch_scc0 .LBB30_1214
; %bb.1213:
	s_wait_loadcnt 0x0
	global_load_u8 v1, v[4:5], off
	s_mov_b32 s35, 0
	s_mov_b32 s37, -1
	s_wait_loadcnt 0x0
	v_cmp_ne_u16_e32 vcc_lo, 0, v1
	v_cndmask_b32_e64 v2, 0, 1, vcc_lo
	s_branch .LBB30_1215
.LBB30_1214:
	s_mov_b32 s35, -1
                                        ; implicit-def: $vgpr2
.LBB30_1215:
	s_mov_b32 s36, 0
.LBB30_1216:
	s_delay_alu instid0(SALU_CYCLE_1)
	s_and_b32 vcc_lo, exec_lo, s36
	s_cbranch_vccz .LBB30_1265
; %bb.1217:
	s_and_b32 s0, 0xffff, s0
	s_delay_alu instid0(SALU_CYCLE_1)
	s_cmp_lt_i32 s0, 5
	s_cbranch_scc1 .LBB30_1222
; %bb.1218:
	s_cmp_lt_i32 s0, 8
	s_cbranch_scc1 .LBB30_1223
; %bb.1219:
	;; [unrolled: 3-line block ×3, first 2 shown]
	s_cmp_gt_i32 s0, 9
	s_cbranch_scc0 .LBB30_1225
; %bb.1221:
	s_wait_loadcnt 0x0
	global_load_b64 v[2:3], v[4:5], off
	s_mov_b32 s36, 0
	s_wait_loadcnt 0x0
	v_trunc_f64_e32 v[2:3], v[2:3]
	s_delay_alu instid0(VALU_DEP_1) | instskip(NEXT) | instid1(VALU_DEP_1)
	v_ldexp_f64 v[6:7], v[2:3], 0xffffffe0
	v_floor_f64_e32 v[6:7], v[6:7]
	s_delay_alu instid0(VALU_DEP_1) | instskip(NEXT) | instid1(VALU_DEP_1)
	v_fmamk_f64 v[2:3], v[6:7], 0xc1f00000, v[2:3]
	v_cvt_u32_f64_e32 v2, v[2:3]
	s_branch .LBB30_1226
.LBB30_1222:
	s_mov_b32 s36, -1
                                        ; implicit-def: $vgpr2
	s_branch .LBB30_1244
.LBB30_1223:
	s_mov_b32 s36, -1
                                        ; implicit-def: $vgpr2
	s_branch .LBB30_1232
.LBB30_1224:
	s_mov_b32 s36, -1
                                        ; implicit-def: $vgpr2
	s_branch .LBB30_1229
.LBB30_1225:
	s_mov_b32 s36, -1
                                        ; implicit-def: $vgpr2
.LBB30_1226:
	s_delay_alu instid0(SALU_CYCLE_1)
	s_and_not1_b32 vcc_lo, exec_lo, s36
	s_cbranch_vccnz .LBB30_1228
; %bb.1227:
	s_wait_loadcnt 0x0
	global_load_b32 v1, v[4:5], off
	s_wait_loadcnt 0x0
	v_trunc_f32_e32 v1, v1
	s_delay_alu instid0(VALU_DEP_1) | instskip(NEXT) | instid1(VALU_DEP_1)
	v_mul_f32_e64 v2, 0x2f800000, |v1|
	v_floor_f32_e32 v2, v2
	s_delay_alu instid0(VALU_DEP_1) | instskip(SKIP_1) | instid1(VALU_DEP_2)
	v_fma_f32 v2, 0xcf800000, v2, |v1|
	v_ashrrev_i32_e32 v1, 31, v1
	v_cvt_u32_f32_e32 v2, v2
	s_delay_alu instid0(VALU_DEP_1) | instskip(NEXT) | instid1(VALU_DEP_1)
	v_xor_b32_e32 v2, v2, v1
	v_sub_nc_u32_e32 v2, v2, v1
.LBB30_1228:
	s_mov_b32 s36, 0
.LBB30_1229:
	s_delay_alu instid0(SALU_CYCLE_1)
	s_and_not1_b32 vcc_lo, exec_lo, s36
	s_cbranch_vccnz .LBB30_1231
; %bb.1230:
	s_wait_loadcnt 0x0
	global_load_b32 v1, v[4:5], off
	s_wait_loadcnt 0x0
	v_cvt_f32_f16_e32 v1, v1
	s_delay_alu instid0(VALU_DEP_1)
	v_cvt_i32_f32_e32 v2, v1
.LBB30_1231:
	s_mov_b32 s36, 0
.LBB30_1232:
	s_delay_alu instid0(SALU_CYCLE_1)
	s_and_not1_b32 vcc_lo, exec_lo, s36
	s_cbranch_vccnz .LBB30_1243
; %bb.1233:
	s_cmp_lt_i32 s0, 6
	s_cbranch_scc1 .LBB30_1236
; %bb.1234:
	s_cmp_gt_i32 s0, 6
	s_cbranch_scc0 .LBB30_1237
; %bb.1235:
	s_wait_loadcnt 0x0
	global_load_b64 v[2:3], v[4:5], off
	s_mov_b32 s36, 0
	s_wait_loadcnt 0x0
	v_trunc_f64_e32 v[2:3], v[2:3]
	s_delay_alu instid0(VALU_DEP_1) | instskip(NEXT) | instid1(VALU_DEP_1)
	v_ldexp_f64 v[6:7], v[2:3], 0xffffffe0
	v_floor_f64_e32 v[6:7], v[6:7]
	s_delay_alu instid0(VALU_DEP_1) | instskip(NEXT) | instid1(VALU_DEP_1)
	v_fmamk_f64 v[2:3], v[6:7], 0xc1f00000, v[2:3]
	v_cvt_u32_f64_e32 v2, v[2:3]
	s_branch .LBB30_1238
.LBB30_1236:
	s_mov_b32 s36, -1
                                        ; implicit-def: $vgpr2
	s_branch .LBB30_1241
.LBB30_1237:
	s_mov_b32 s36, -1
                                        ; implicit-def: $vgpr2
.LBB30_1238:
	s_delay_alu instid0(SALU_CYCLE_1)
	s_and_not1_b32 vcc_lo, exec_lo, s36
	s_cbranch_vccnz .LBB30_1240
; %bb.1239:
	s_wait_loadcnt 0x0
	global_load_b32 v1, v[4:5], off
	s_wait_loadcnt 0x0
	v_trunc_f32_e32 v1, v1
	s_delay_alu instid0(VALU_DEP_1) | instskip(NEXT) | instid1(VALU_DEP_1)
	v_mul_f32_e64 v2, 0x2f800000, |v1|
	v_floor_f32_e32 v2, v2
	s_delay_alu instid0(VALU_DEP_1) | instskip(SKIP_1) | instid1(VALU_DEP_2)
	v_fma_f32 v2, 0xcf800000, v2, |v1|
	v_ashrrev_i32_e32 v1, 31, v1
	v_cvt_u32_f32_e32 v2, v2
	s_delay_alu instid0(VALU_DEP_1) | instskip(NEXT) | instid1(VALU_DEP_1)
	v_xor_b32_e32 v2, v2, v1
	v_sub_nc_u32_e32 v2, v2, v1
.LBB30_1240:
	s_mov_b32 s36, 0
.LBB30_1241:
	s_delay_alu instid0(SALU_CYCLE_1)
	s_and_not1_b32 vcc_lo, exec_lo, s36
	s_cbranch_vccnz .LBB30_1243
; %bb.1242:
	s_wait_loadcnt 0x0
	global_load_u16 v1, v[4:5], off
	s_wait_loadcnt 0x0
	v_cvt_f32_f16_e32 v1, v1
	s_delay_alu instid0(VALU_DEP_1)
	v_cvt_i32_f32_e32 v2, v1
.LBB30_1243:
	s_mov_b32 s36, 0
.LBB30_1244:
	s_delay_alu instid0(SALU_CYCLE_1)
	s_and_not1_b32 vcc_lo, exec_lo, s36
	s_cbranch_vccnz .LBB30_1264
; %bb.1245:
	s_cmp_lt_i32 s0, 2
	s_cbranch_scc1 .LBB30_1249
; %bb.1246:
	s_cmp_lt_i32 s0, 3
	s_cbranch_scc1 .LBB30_1250
; %bb.1247:
	s_cmp_gt_i32 s0, 3
	s_cbranch_scc0 .LBB30_1251
; %bb.1248:
	s_wait_loadcnt 0x0
	global_load_b64 v[2:3], v[4:5], off
	s_mov_b32 s36, 0
	s_branch .LBB30_1252
.LBB30_1249:
	s_mov_b32 s36, -1
                                        ; implicit-def: $vgpr2
	s_branch .LBB30_1258
.LBB30_1250:
	s_mov_b32 s36, -1
                                        ; implicit-def: $vgpr2
	s_branch .LBB30_1255
.LBB30_1251:
	s_mov_b32 s36, -1
                                        ; implicit-def: $vgpr2
.LBB30_1252:
	s_delay_alu instid0(SALU_CYCLE_1)
	s_and_not1_b32 vcc_lo, exec_lo, s36
	s_cbranch_vccnz .LBB30_1254
; %bb.1253:
	s_wait_loadcnt 0x0
	global_load_b32 v2, v[4:5], off
.LBB30_1254:
	s_mov_b32 s36, 0
.LBB30_1255:
	s_delay_alu instid0(SALU_CYCLE_1)
	s_and_not1_b32 vcc_lo, exec_lo, s36
	s_cbranch_vccnz .LBB30_1257
; %bb.1256:
	s_wait_loadcnt 0x0
	global_load_u16 v2, v[4:5], off
.LBB30_1257:
	s_mov_b32 s36, 0
.LBB30_1258:
	s_delay_alu instid0(SALU_CYCLE_1)
	s_and_not1_b32 vcc_lo, exec_lo, s36
	s_cbranch_vccnz .LBB30_1264
; %bb.1259:
	s_cmp_gt_i32 s0, 0
	s_mov_b32 s0, 0
	s_cbranch_scc0 .LBB30_1261
; %bb.1260:
	s_wait_loadcnt 0x0
	global_load_u8 v2, v[4:5], off
	s_branch .LBB30_1262
.LBB30_1261:
	s_mov_b32 s0, -1
                                        ; implicit-def: $vgpr2
.LBB30_1262:
	s_delay_alu instid0(SALU_CYCLE_1)
	s_and_not1_b32 vcc_lo, exec_lo, s0
	s_cbranch_vccnz .LBB30_1264
; %bb.1263:
	s_wait_loadcnt 0x0
	global_load_u8 v2, v[4:5], off
.LBB30_1264:
	s_mov_b32 s37, -1
.LBB30_1265:
	s_delay_alu instid0(SALU_CYCLE_1)
	s_and_not1_b32 vcc_lo, exec_lo, s37
	s_cbranch_vccnz .LBB30_1273
; %bb.1266:
	s_wait_xcnt 0x0
	v_mul_lo_u32 v4, v26, s15
	s_and_b32 s0, s17, 0xff
	s_delay_alu instid0(SALU_CYCLE_1) | instskip(NEXT) | instid1(VALU_DEP_1)
	s_cmp_lt_i32 s0, 11
	v_ashrrev_i32_e32 v5, 31, v4
	s_delay_alu instid0(VALU_DEP_1)
	v_add_nc_u64_e32 v[4:5], s[10:11], v[4:5]
	s_cbranch_scc1 .LBB30_1274
; %bb.1267:
	s_and_b32 s37, 0xffff, s0
	s_delay_alu instid0(SALU_CYCLE_1)
	s_cmp_gt_i32 s37, 25
	s_cbranch_scc0 .LBB30_1275
; %bb.1268:
	s_cmp_gt_i32 s37, 28
	s_cbranch_scc0 .LBB30_1276
; %bb.1269:
	;; [unrolled: 3-line block ×4, first 2 shown]
	s_cmp_eq_u32 s37, 46
	s_mov_b32 s39, 0
	s_cbranch_scc0 .LBB30_1281
; %bb.1272:
	s_wait_loadcnt 0x0
	global_load_b32 v1, v[4:5], off
	s_mov_b32 s38, -1
	s_mov_b32 s36, 0
	s_wait_loadcnt 0x0
	v_lshlrev_b32_e32 v1, 16, v1
	s_delay_alu instid0(VALU_DEP_1) | instskip(NEXT) | instid1(VALU_DEP_1)
	v_trunc_f32_e32 v1, v1
	v_mul_f32_e64 v3, 0x2f800000, |v1|
	s_delay_alu instid0(VALU_DEP_1) | instskip(NEXT) | instid1(VALU_DEP_1)
	v_floor_f32_e32 v3, v3
	v_fma_f32 v3, 0xcf800000, v3, |v1|
	v_ashrrev_i32_e32 v1, 31, v1
	s_delay_alu instid0(VALU_DEP_2) | instskip(NEXT) | instid1(VALU_DEP_1)
	v_cvt_u32_f32_e32 v3, v3
	v_xor_b32_e32 v3, v3, v1
	s_delay_alu instid0(VALU_DEP_1)
	v_sub_nc_u32_e32 v6, v3, v1
	s_branch .LBB30_1283
.LBB30_1273:
	s_mov_b32 s38, 0
	s_mov_b32 s0, s28
	;; [unrolled: 1-line block ×3, first 2 shown]
	s_branch .LBB30_1518
.LBB30_1274:
	s_mov_b32 s37, -1
	s_mov_b32 s38, 0
	s_mov_b32 s36, s29
                                        ; implicit-def: $vgpr6
	s_branch .LBB30_1344
.LBB30_1275:
	s_mov_b32 s39, -1
	s_mov_b32 s38, 0
	s_mov_b32 s36, s29
                                        ; implicit-def: $vgpr6
	s_branch .LBB30_1310
.LBB30_1276:
	s_mov_b32 s39, -1
	s_mov_b32 s38, 0
	s_mov_b32 s36, s29
                                        ; implicit-def: $vgpr6
	s_branch .LBB30_1293
.LBB30_1277:
	s_mov_b32 s39, -1
	s_mov_b32 s38, 0
	s_mov_b32 s36, s29
                                        ; implicit-def: $vgpr6
	s_branch .LBB30_1288
.LBB30_1278:
	s_mov_b32 s39, -1
	s_mov_b32 s38, 0
	s_mov_b32 s36, s29
	s_branch .LBB30_1282
.LBB30_1279:
	s_and_not1_saveexec_b32 s36, s36
	s_cbranch_execz .LBB30_932
.LBB30_1280:
	v_add_f32_e32 v3, 0x42800000, v4
	s_and_not1_b32 s35, s35, exec_lo
	s_delay_alu instid0(VALU_DEP_1) | instskip(NEXT) | instid1(VALU_DEP_1)
	v_and_b32_e32 v3, 0xff, v3
	v_cmp_ne_u32_e32 vcc_lo, 0, v3
	s_and_b32 s37, vcc_lo, exec_lo
	s_delay_alu instid0(SALU_CYCLE_1)
	s_or_b32 s35, s35, s37
	s_or_b32 exec_lo, exec_lo, s36
	v_mov_b32_e32 v5, 0
	s_and_saveexec_b32 s36, s35
	s_cbranch_execnz .LBB30_933
	s_branch .LBB30_934
.LBB30_1281:
	s_mov_b32 s36, -1
	s_mov_b32 s38, 0
.LBB30_1282:
                                        ; implicit-def: $vgpr6
.LBB30_1283:
	s_and_b32 vcc_lo, exec_lo, s39
	s_cbranch_vccz .LBB30_1287
; %bb.1284:
	s_cmp_eq_u32 s37, 44
	s_cbranch_scc0 .LBB30_1286
; %bb.1285:
	s_wait_loadcnt 0x0
	global_load_u8 v1, v[4:5], off
	s_mov_b32 s36, 0
	s_mov_b32 s38, -1
	s_wait_loadcnt 0x0
	v_lshlrev_b32_e32 v3, 23, v1
	v_cmp_ne_u32_e32 vcc_lo, 0, v1
	s_delay_alu instid0(VALU_DEP_2) | instskip(NEXT) | instid1(VALU_DEP_1)
	v_trunc_f32_e32 v3, v3
	v_mul_f32_e64 v6, 0x2f800000, |v3|
	s_delay_alu instid0(VALU_DEP_1) | instskip(NEXT) | instid1(VALU_DEP_1)
	v_floor_f32_e32 v6, v6
	v_fma_f32 v6, 0xcf800000, v6, |v3|
	v_ashrrev_i32_e32 v3, 31, v3
	s_delay_alu instid0(VALU_DEP_2) | instskip(NEXT) | instid1(VALU_DEP_1)
	v_cvt_u32_f32_e32 v6, v6
	v_xor_b32_e32 v6, v6, v3
	s_delay_alu instid0(VALU_DEP_1) | instskip(NEXT) | instid1(VALU_DEP_1)
	v_sub_nc_u32_e32 v3, v6, v3
	v_cndmask_b32_e32 v6, 0, v3, vcc_lo
	s_branch .LBB30_1287
.LBB30_1286:
	s_mov_b32 s36, -1
                                        ; implicit-def: $vgpr6
.LBB30_1287:
	s_mov_b32 s39, 0
.LBB30_1288:
	s_delay_alu instid0(SALU_CYCLE_1)
	s_and_b32 vcc_lo, exec_lo, s39
	s_cbranch_vccz .LBB30_1292
; %bb.1289:
	s_cmp_eq_u32 s37, 29
	s_cbranch_scc0 .LBB30_1291
; %bb.1290:
	global_load_b64 v[6:7], v[4:5], off
	s_mov_b32 s38, -1
	s_mov_b32 s36, 0
	s_branch .LBB30_1292
.LBB30_1291:
	s_mov_b32 s36, -1
                                        ; implicit-def: $vgpr6
.LBB30_1292:
	s_mov_b32 s39, 0
.LBB30_1293:
	s_delay_alu instid0(SALU_CYCLE_1)
	s_and_b32 vcc_lo, exec_lo, s39
	s_cbranch_vccz .LBB30_1309
; %bb.1294:
	s_cmp_lt_i32 s37, 27
	s_cbranch_scc1 .LBB30_1297
; %bb.1295:
	s_cmp_gt_i32 s37, 27
	s_cbranch_scc0 .LBB30_1298
; %bb.1296:
	s_wait_loadcnt 0x0
	global_load_b32 v6, v[4:5], off
	s_mov_b32 s38, 0
	s_branch .LBB30_1299
.LBB30_1297:
	s_mov_b32 s38, -1
                                        ; implicit-def: $vgpr6
	s_branch .LBB30_1302
.LBB30_1298:
	s_mov_b32 s38, -1
                                        ; implicit-def: $vgpr6
.LBB30_1299:
	s_delay_alu instid0(SALU_CYCLE_1)
	s_and_not1_b32 vcc_lo, exec_lo, s38
	s_cbranch_vccnz .LBB30_1301
; %bb.1300:
	s_wait_loadcnt 0x0
	global_load_u16 v6, v[4:5], off
.LBB30_1301:
	s_mov_b32 s38, 0
.LBB30_1302:
	s_delay_alu instid0(SALU_CYCLE_1)
	s_and_not1_b32 vcc_lo, exec_lo, s38
	s_cbranch_vccnz .LBB30_1308
; %bb.1303:
	s_wait_loadcnt 0x0
	global_load_u8 v1, v[4:5], off
	s_mov_b32 s39, 0
	s_mov_b32 s38, exec_lo
	s_wait_loadcnt 0x0
	v_cmpx_lt_i16_e32 0x7f, v1
	s_xor_b32 s38, exec_lo, s38
	s_cbranch_execz .LBB30_1320
; %bb.1304:
	v_cmp_ne_u16_e32 vcc_lo, 0x80, v1
	s_and_b32 s39, vcc_lo, exec_lo
	s_and_not1_saveexec_b32 s38, s38
	s_cbranch_execnz .LBB30_1321
.LBB30_1305:
	s_or_b32 exec_lo, exec_lo, s38
	v_mov_b32_e32 v6, 0
	s_and_saveexec_b32 s38, s39
	s_cbranch_execz .LBB30_1307
.LBB30_1306:
	v_and_b32_e32 v3, 0xffff, v1
	s_delay_alu instid0(VALU_DEP_1) | instskip(SKIP_1) | instid1(VALU_DEP_2)
	v_dual_lshlrev_b32 v1, 24, v1 :: v_dual_bitop2_b32 v6, 7, v3 bitop3:0x40
	v_bfe_u32 v9, v3, 3, 4
	v_and_b32_e32 v1, 0x80000000, v1
	s_delay_alu instid0(VALU_DEP_3) | instskip(NEXT) | instid1(VALU_DEP_3)
	v_clz_i32_u32_e32 v7, v6
	v_cmp_eq_u32_e32 vcc_lo, 0, v9
	s_delay_alu instid0(VALU_DEP_2) | instskip(NEXT) | instid1(VALU_DEP_1)
	v_min_u32_e32 v7, 32, v7
	v_subrev_nc_u32_e32 v8, 28, v7
	v_sub_nc_u32_e32 v7, 29, v7
	s_delay_alu instid0(VALU_DEP_2) | instskip(NEXT) | instid1(VALU_DEP_2)
	v_lshlrev_b32_e32 v3, v8, v3
	v_cndmask_b32_e32 v7, v9, v7, vcc_lo
	s_delay_alu instid0(VALU_DEP_2) | instskip(NEXT) | instid1(VALU_DEP_1)
	v_and_b32_e32 v3, 7, v3
	v_cndmask_b32_e32 v3, v6, v3, vcc_lo
	s_delay_alu instid0(VALU_DEP_3) | instskip(NEXT) | instid1(VALU_DEP_2)
	v_lshl_add_u32 v6, v7, 23, 0x3b800000
	v_lshlrev_b32_e32 v3, 20, v3
	s_delay_alu instid0(VALU_DEP_1) | instskip(NEXT) | instid1(VALU_DEP_1)
	v_or3_b32 v1, v1, v6, v3
	v_trunc_f32_e32 v1, v1
	s_delay_alu instid0(VALU_DEP_1) | instskip(NEXT) | instid1(VALU_DEP_1)
	v_mul_f32_e64 v3, 0x2f800000, |v1|
	v_floor_f32_e32 v3, v3
	s_delay_alu instid0(VALU_DEP_1) | instskip(SKIP_1) | instid1(VALU_DEP_2)
	v_fma_f32 v3, 0xcf800000, v3, |v1|
	v_ashrrev_i32_e32 v1, 31, v1
	v_cvt_u32_f32_e32 v3, v3
	s_delay_alu instid0(VALU_DEP_1) | instskip(NEXT) | instid1(VALU_DEP_1)
	v_xor_b32_e32 v3, v3, v1
	v_sub_nc_u32_e32 v6, v3, v1
.LBB30_1307:
	s_or_b32 exec_lo, exec_lo, s38
.LBB30_1308:
	s_mov_b32 s38, -1
.LBB30_1309:
	s_mov_b32 s39, 0
.LBB30_1310:
	s_delay_alu instid0(SALU_CYCLE_1)
	s_and_b32 vcc_lo, exec_lo, s39
	s_cbranch_vccz .LBB30_1343
; %bb.1311:
	s_cmp_gt_i32 s37, 22
	s_cbranch_scc0 .LBB30_1319
; %bb.1312:
	s_cmp_lt_i32 s37, 24
	s_cbranch_scc1 .LBB30_1322
; %bb.1313:
	s_cmp_gt_i32 s37, 24
	s_cbranch_scc0 .LBB30_1323
; %bb.1314:
	s_wait_loadcnt 0x0
	global_load_u8 v1, v[4:5], off
	s_mov_b32 s39, 0
	s_mov_b32 s38, exec_lo
	s_wait_loadcnt 0x0
	v_cmpx_lt_i16_e32 0x7f, v1
	s_xor_b32 s38, exec_lo, s38
	s_cbranch_execz .LBB30_1335
; %bb.1315:
	v_cmp_ne_u16_e32 vcc_lo, 0x80, v1
	s_and_b32 s39, vcc_lo, exec_lo
	s_and_not1_saveexec_b32 s38, s38
	s_cbranch_execnz .LBB30_1336
.LBB30_1316:
	s_or_b32 exec_lo, exec_lo, s38
	v_mov_b32_e32 v6, 0
	s_and_saveexec_b32 s38, s39
	s_cbranch_execz .LBB30_1318
.LBB30_1317:
	v_and_b32_e32 v3, 0xffff, v1
	s_delay_alu instid0(VALU_DEP_1) | instskip(SKIP_1) | instid1(VALU_DEP_2)
	v_dual_lshlrev_b32 v1, 24, v1 :: v_dual_bitop2_b32 v6, 3, v3 bitop3:0x40
	v_bfe_u32 v9, v3, 2, 5
	v_and_b32_e32 v1, 0x80000000, v1
	s_delay_alu instid0(VALU_DEP_3) | instskip(NEXT) | instid1(VALU_DEP_3)
	v_clz_i32_u32_e32 v7, v6
	v_cmp_eq_u32_e32 vcc_lo, 0, v9
	s_delay_alu instid0(VALU_DEP_2) | instskip(NEXT) | instid1(VALU_DEP_1)
	v_min_u32_e32 v7, 32, v7
	v_subrev_nc_u32_e32 v8, 29, v7
	v_sub_nc_u32_e32 v7, 30, v7
	s_delay_alu instid0(VALU_DEP_2) | instskip(NEXT) | instid1(VALU_DEP_2)
	v_lshlrev_b32_e32 v3, v8, v3
	v_cndmask_b32_e32 v7, v9, v7, vcc_lo
	s_delay_alu instid0(VALU_DEP_2) | instskip(NEXT) | instid1(VALU_DEP_1)
	v_and_b32_e32 v3, 3, v3
	v_cndmask_b32_e32 v3, v6, v3, vcc_lo
	s_delay_alu instid0(VALU_DEP_3) | instskip(NEXT) | instid1(VALU_DEP_2)
	v_lshl_add_u32 v6, v7, 23, 0x37800000
	v_lshlrev_b32_e32 v3, 21, v3
	s_delay_alu instid0(VALU_DEP_1) | instskip(NEXT) | instid1(VALU_DEP_1)
	v_or3_b32 v1, v1, v6, v3
	v_trunc_f32_e32 v1, v1
	s_delay_alu instid0(VALU_DEP_1) | instskip(NEXT) | instid1(VALU_DEP_1)
	v_mul_f32_e64 v3, 0x2f800000, |v1|
	v_floor_f32_e32 v3, v3
	s_delay_alu instid0(VALU_DEP_1) | instskip(SKIP_1) | instid1(VALU_DEP_2)
	v_fma_f32 v3, 0xcf800000, v3, |v1|
	v_ashrrev_i32_e32 v1, 31, v1
	v_cvt_u32_f32_e32 v3, v3
	s_delay_alu instid0(VALU_DEP_1) | instskip(NEXT) | instid1(VALU_DEP_1)
	v_xor_b32_e32 v3, v3, v1
	v_sub_nc_u32_e32 v6, v3, v1
.LBB30_1318:
	s_or_b32 exec_lo, exec_lo, s38
	s_mov_b32 s38, 0
	s_branch .LBB30_1324
.LBB30_1319:
	s_mov_b32 s39, -1
                                        ; implicit-def: $vgpr6
	s_branch .LBB30_1330
.LBB30_1320:
	s_and_not1_saveexec_b32 s38, s38
	s_cbranch_execz .LBB30_1305
.LBB30_1321:
	v_cmp_ne_u16_e32 vcc_lo, 0, v1
	s_and_not1_b32 s39, s39, exec_lo
	s_and_b32 s40, vcc_lo, exec_lo
	s_delay_alu instid0(SALU_CYCLE_1)
	s_or_b32 s39, s39, s40
	s_or_b32 exec_lo, exec_lo, s38
	v_mov_b32_e32 v6, 0
	s_and_saveexec_b32 s38, s39
	s_cbranch_execnz .LBB30_1306
	s_branch .LBB30_1307
.LBB30_1322:
	s_mov_b32 s38, -1
                                        ; implicit-def: $vgpr6
	s_branch .LBB30_1327
.LBB30_1323:
	s_mov_b32 s38, -1
                                        ; implicit-def: $vgpr6
.LBB30_1324:
	s_delay_alu instid0(SALU_CYCLE_1)
	s_and_b32 vcc_lo, exec_lo, s38
	s_cbranch_vccz .LBB30_1326
; %bb.1325:
	s_wait_loadcnt 0x0
	global_load_u8 v1, v[4:5], off
	s_wait_loadcnt 0x0
	v_lshlrev_b32_e32 v1, 24, v1
	s_delay_alu instid0(VALU_DEP_1) | instskip(NEXT) | instid1(VALU_DEP_1)
	v_and_b32_e32 v3, 0x7f000000, v1
	v_clz_i32_u32_e32 v6, v3
	v_cmp_ne_u32_e32 vcc_lo, 0, v3
	v_add_nc_u32_e32 v8, 0x1000000, v3
	s_delay_alu instid0(VALU_DEP_3) | instskip(NEXT) | instid1(VALU_DEP_1)
	v_min_u32_e32 v6, 32, v6
	v_sub_nc_u32_e64 v6, v6, 4 clamp
	s_delay_alu instid0(VALU_DEP_1) | instskip(NEXT) | instid1(VALU_DEP_1)
	v_dual_lshlrev_b32 v7, v6, v3 :: v_dual_lshlrev_b32 v6, 23, v6
	v_lshrrev_b32_e32 v7, 4, v7
	s_delay_alu instid0(VALU_DEP_1) | instskip(NEXT) | instid1(VALU_DEP_1)
	v_dual_sub_nc_u32 v6, v7, v6 :: v_dual_ashrrev_i32 v7, 8, v8
	v_add_nc_u32_e32 v6, 0x3c000000, v6
	s_delay_alu instid0(VALU_DEP_1) | instskip(NEXT) | instid1(VALU_DEP_1)
	v_and_or_b32 v6, 0x7f800000, v7, v6
	v_cndmask_b32_e32 v3, 0, v6, vcc_lo
	s_delay_alu instid0(VALU_DEP_1) | instskip(NEXT) | instid1(VALU_DEP_1)
	v_and_or_b32 v1, 0x80000000, v1, v3
	v_trunc_f32_e32 v1, v1
	s_delay_alu instid0(VALU_DEP_1) | instskip(NEXT) | instid1(VALU_DEP_1)
	v_mul_f32_e64 v3, 0x2f800000, |v1|
	v_floor_f32_e32 v3, v3
	s_delay_alu instid0(VALU_DEP_1) | instskip(SKIP_1) | instid1(VALU_DEP_2)
	v_fma_f32 v3, 0xcf800000, v3, |v1|
	v_ashrrev_i32_e32 v1, 31, v1
	v_cvt_u32_f32_e32 v3, v3
	s_delay_alu instid0(VALU_DEP_1) | instskip(NEXT) | instid1(VALU_DEP_1)
	v_xor_b32_e32 v3, v3, v1
	v_sub_nc_u32_e32 v6, v3, v1
.LBB30_1326:
	s_mov_b32 s38, 0
.LBB30_1327:
	s_delay_alu instid0(SALU_CYCLE_1)
	s_and_not1_b32 vcc_lo, exec_lo, s38
	s_cbranch_vccnz .LBB30_1329
; %bb.1328:
	s_wait_loadcnt 0x0
	global_load_u8 v1, v[4:5], off
	s_wait_loadcnt 0x0
	v_lshlrev_b32_e32 v3, 25, v1
	v_lshlrev_b16 v1, 8, v1
	s_delay_alu instid0(VALU_DEP_1) | instskip(SKIP_1) | instid1(VALU_DEP_2)
	v_and_or_b32 v7, 0x7f00, v1, 0.5
	v_bfe_i32 v1, v1, 0, 16
	v_add_f32_e32 v7, -0.5, v7
	v_lshrrev_b32_e32 v6, 4, v3
	v_cmp_gt_u32_e32 vcc_lo, 0x8000000, v3
	s_delay_alu instid0(VALU_DEP_2) | instskip(NEXT) | instid1(VALU_DEP_1)
	v_or_b32_e32 v6, 0x70000000, v6
	v_mul_f32_e32 v6, 0x7800000, v6
	s_delay_alu instid0(VALU_DEP_1) | instskip(NEXT) | instid1(VALU_DEP_1)
	v_cndmask_b32_e32 v3, v6, v7, vcc_lo
	v_and_or_b32 v1, 0x80000000, v1, v3
	s_delay_alu instid0(VALU_DEP_1) | instskip(NEXT) | instid1(VALU_DEP_1)
	v_trunc_f32_e32 v1, v1
	v_mul_f32_e64 v3, 0x2f800000, |v1|
	s_delay_alu instid0(VALU_DEP_1) | instskip(NEXT) | instid1(VALU_DEP_1)
	v_floor_f32_e32 v3, v3
	v_fma_f32 v3, 0xcf800000, v3, |v1|
	v_ashrrev_i32_e32 v1, 31, v1
	s_delay_alu instid0(VALU_DEP_2) | instskip(NEXT) | instid1(VALU_DEP_1)
	v_cvt_u32_f32_e32 v3, v3
	v_xor_b32_e32 v3, v3, v1
	s_delay_alu instid0(VALU_DEP_1)
	v_sub_nc_u32_e32 v6, v3, v1
.LBB30_1329:
	s_mov_b32 s39, 0
	s_mov_b32 s38, -1
.LBB30_1330:
	s_and_not1_b32 vcc_lo, exec_lo, s39
	s_cbranch_vccnz .LBB30_1343
; %bb.1331:
	s_cmp_gt_i32 s37, 14
	s_cbranch_scc0 .LBB30_1334
; %bb.1332:
	s_cmp_eq_u32 s37, 15
	s_cbranch_scc0 .LBB30_1337
; %bb.1333:
	s_wait_loadcnt 0x0
	global_load_u16 v1, v[4:5], off
	s_mov_b32 s38, -1
	s_mov_b32 s36, 0
	s_wait_loadcnt 0x0
	v_lshlrev_b32_e32 v1, 16, v1
	s_delay_alu instid0(VALU_DEP_1) | instskip(NEXT) | instid1(VALU_DEP_1)
	v_trunc_f32_e32 v1, v1
	v_mul_f32_e64 v3, 0x2f800000, |v1|
	s_delay_alu instid0(VALU_DEP_1) | instskip(NEXT) | instid1(VALU_DEP_1)
	v_floor_f32_e32 v3, v3
	v_fma_f32 v3, 0xcf800000, v3, |v1|
	v_ashrrev_i32_e32 v1, 31, v1
	s_delay_alu instid0(VALU_DEP_2) | instskip(NEXT) | instid1(VALU_DEP_1)
	v_cvt_u32_f32_e32 v3, v3
	v_xor_b32_e32 v3, v3, v1
	s_delay_alu instid0(VALU_DEP_1)
	v_sub_nc_u32_e32 v6, v3, v1
	s_branch .LBB30_1338
.LBB30_1334:
	s_mov_b32 s39, -1
                                        ; implicit-def: $vgpr6
	s_branch .LBB30_1339
.LBB30_1335:
	s_and_not1_saveexec_b32 s38, s38
	s_cbranch_execz .LBB30_1316
.LBB30_1336:
	v_cmp_ne_u16_e32 vcc_lo, 0, v1
	s_and_not1_b32 s39, s39, exec_lo
	s_and_b32 s40, vcc_lo, exec_lo
	s_delay_alu instid0(SALU_CYCLE_1)
	s_or_b32 s39, s39, s40
	s_or_b32 exec_lo, exec_lo, s38
	v_mov_b32_e32 v6, 0
	s_and_saveexec_b32 s38, s39
	s_cbranch_execnz .LBB30_1317
	s_branch .LBB30_1318
.LBB30_1337:
	s_mov_b32 s36, -1
                                        ; implicit-def: $vgpr6
.LBB30_1338:
	s_mov_b32 s39, 0
.LBB30_1339:
	s_delay_alu instid0(SALU_CYCLE_1)
	s_and_b32 vcc_lo, exec_lo, s39
	s_cbranch_vccz .LBB30_1343
; %bb.1340:
	s_cmp_eq_u32 s37, 11
	s_cbranch_scc0 .LBB30_1342
; %bb.1341:
	s_wait_loadcnt 0x0
	global_load_u8 v1, v[4:5], off
	s_mov_b32 s36, 0
	s_mov_b32 s38, -1
	s_wait_loadcnt 0x0
	v_cmp_ne_u16_e32 vcc_lo, 0, v1
	v_cndmask_b32_e64 v6, 0, 1, vcc_lo
	s_branch .LBB30_1343
.LBB30_1342:
	s_mov_b32 s36, -1
                                        ; implicit-def: $vgpr6
.LBB30_1343:
	s_mov_b32 s37, 0
.LBB30_1344:
	s_delay_alu instid0(SALU_CYCLE_1)
	s_and_b32 vcc_lo, exec_lo, s37
	s_cbranch_vccz .LBB30_1393
; %bb.1345:
	s_and_b32 s0, 0xffff, s0
	s_delay_alu instid0(SALU_CYCLE_1)
	s_cmp_lt_i32 s0, 5
	s_cbranch_scc1 .LBB30_1350
; %bb.1346:
	s_cmp_lt_i32 s0, 8
	s_cbranch_scc1 .LBB30_1351
; %bb.1347:
	;; [unrolled: 3-line block ×3, first 2 shown]
	s_cmp_gt_i32 s0, 9
	s_cbranch_scc0 .LBB30_1353
; %bb.1349:
	s_wait_loadcnt 0x0
	global_load_b64 v[6:7], v[4:5], off
	s_mov_b32 s37, 0
	s_wait_loadcnt 0x0
	v_trunc_f64_e32 v[6:7], v[6:7]
	s_delay_alu instid0(VALU_DEP_1) | instskip(NEXT) | instid1(VALU_DEP_1)
	v_ldexp_f64 v[8:9], v[6:7], 0xffffffe0
	v_floor_f64_e32 v[8:9], v[8:9]
	s_delay_alu instid0(VALU_DEP_1) | instskip(NEXT) | instid1(VALU_DEP_1)
	v_fmamk_f64 v[6:7], v[8:9], 0xc1f00000, v[6:7]
	v_cvt_u32_f64_e32 v6, v[6:7]
	s_branch .LBB30_1354
.LBB30_1350:
	s_mov_b32 s37, -1
                                        ; implicit-def: $vgpr6
	s_branch .LBB30_1372
.LBB30_1351:
	s_mov_b32 s37, -1
                                        ; implicit-def: $vgpr6
	s_branch .LBB30_1360
.LBB30_1352:
	s_mov_b32 s37, -1
                                        ; implicit-def: $vgpr6
	s_branch .LBB30_1357
.LBB30_1353:
	s_mov_b32 s37, -1
                                        ; implicit-def: $vgpr6
.LBB30_1354:
	s_delay_alu instid0(SALU_CYCLE_1)
	s_and_not1_b32 vcc_lo, exec_lo, s37
	s_cbranch_vccnz .LBB30_1356
; %bb.1355:
	s_wait_loadcnt 0x0
	global_load_b32 v1, v[4:5], off
	s_wait_loadcnt 0x0
	v_trunc_f32_e32 v1, v1
	s_delay_alu instid0(VALU_DEP_1) | instskip(NEXT) | instid1(VALU_DEP_1)
	v_mul_f32_e64 v3, 0x2f800000, |v1|
	v_floor_f32_e32 v3, v3
	s_delay_alu instid0(VALU_DEP_1) | instskip(SKIP_1) | instid1(VALU_DEP_2)
	v_fma_f32 v3, 0xcf800000, v3, |v1|
	v_ashrrev_i32_e32 v1, 31, v1
	v_cvt_u32_f32_e32 v3, v3
	s_delay_alu instid0(VALU_DEP_1) | instskip(NEXT) | instid1(VALU_DEP_1)
	v_xor_b32_e32 v3, v3, v1
	v_sub_nc_u32_e32 v6, v3, v1
.LBB30_1356:
	s_mov_b32 s37, 0
.LBB30_1357:
	s_delay_alu instid0(SALU_CYCLE_1)
	s_and_not1_b32 vcc_lo, exec_lo, s37
	s_cbranch_vccnz .LBB30_1359
; %bb.1358:
	s_wait_loadcnt 0x0
	global_load_b32 v1, v[4:5], off
	s_wait_loadcnt 0x0
	v_cvt_f32_f16_e32 v1, v1
	s_delay_alu instid0(VALU_DEP_1)
	v_cvt_i32_f32_e32 v6, v1
.LBB30_1359:
	s_mov_b32 s37, 0
.LBB30_1360:
	s_delay_alu instid0(SALU_CYCLE_1)
	s_and_not1_b32 vcc_lo, exec_lo, s37
	s_cbranch_vccnz .LBB30_1371
; %bb.1361:
	s_cmp_lt_i32 s0, 6
	s_cbranch_scc1 .LBB30_1364
; %bb.1362:
	s_cmp_gt_i32 s0, 6
	s_cbranch_scc0 .LBB30_1365
; %bb.1363:
	s_wait_loadcnt 0x0
	global_load_b64 v[6:7], v[4:5], off
	s_mov_b32 s37, 0
	s_wait_loadcnt 0x0
	v_trunc_f64_e32 v[6:7], v[6:7]
	s_delay_alu instid0(VALU_DEP_1) | instskip(NEXT) | instid1(VALU_DEP_1)
	v_ldexp_f64 v[8:9], v[6:7], 0xffffffe0
	v_floor_f64_e32 v[8:9], v[8:9]
	s_delay_alu instid0(VALU_DEP_1) | instskip(NEXT) | instid1(VALU_DEP_1)
	v_fmamk_f64 v[6:7], v[8:9], 0xc1f00000, v[6:7]
	v_cvt_u32_f64_e32 v6, v[6:7]
	s_branch .LBB30_1366
.LBB30_1364:
	s_mov_b32 s37, -1
                                        ; implicit-def: $vgpr6
	s_branch .LBB30_1369
.LBB30_1365:
	s_mov_b32 s37, -1
                                        ; implicit-def: $vgpr6
.LBB30_1366:
	s_delay_alu instid0(SALU_CYCLE_1)
	s_and_not1_b32 vcc_lo, exec_lo, s37
	s_cbranch_vccnz .LBB30_1368
; %bb.1367:
	s_wait_loadcnt 0x0
	global_load_b32 v1, v[4:5], off
	s_wait_loadcnt 0x0
	v_trunc_f32_e32 v1, v1
	s_delay_alu instid0(VALU_DEP_1) | instskip(NEXT) | instid1(VALU_DEP_1)
	v_mul_f32_e64 v3, 0x2f800000, |v1|
	v_floor_f32_e32 v3, v3
	s_delay_alu instid0(VALU_DEP_1) | instskip(SKIP_1) | instid1(VALU_DEP_2)
	v_fma_f32 v3, 0xcf800000, v3, |v1|
	v_ashrrev_i32_e32 v1, 31, v1
	v_cvt_u32_f32_e32 v3, v3
	s_delay_alu instid0(VALU_DEP_1) | instskip(NEXT) | instid1(VALU_DEP_1)
	v_xor_b32_e32 v3, v3, v1
	v_sub_nc_u32_e32 v6, v3, v1
.LBB30_1368:
	s_mov_b32 s37, 0
.LBB30_1369:
	s_delay_alu instid0(SALU_CYCLE_1)
	s_and_not1_b32 vcc_lo, exec_lo, s37
	s_cbranch_vccnz .LBB30_1371
; %bb.1370:
	s_wait_loadcnt 0x0
	global_load_u16 v1, v[4:5], off
	s_wait_loadcnt 0x0
	v_cvt_f32_f16_e32 v1, v1
	s_delay_alu instid0(VALU_DEP_1)
	v_cvt_i32_f32_e32 v6, v1
.LBB30_1371:
	s_mov_b32 s37, 0
.LBB30_1372:
	s_delay_alu instid0(SALU_CYCLE_1)
	s_and_not1_b32 vcc_lo, exec_lo, s37
	s_cbranch_vccnz .LBB30_1392
; %bb.1373:
	s_cmp_lt_i32 s0, 2
	s_cbranch_scc1 .LBB30_1377
; %bb.1374:
	s_cmp_lt_i32 s0, 3
	s_cbranch_scc1 .LBB30_1378
; %bb.1375:
	s_cmp_gt_i32 s0, 3
	s_cbranch_scc0 .LBB30_1379
; %bb.1376:
	s_wait_loadcnt 0x0
	global_load_b64 v[6:7], v[4:5], off
	s_mov_b32 s37, 0
	s_branch .LBB30_1380
.LBB30_1377:
	s_mov_b32 s37, -1
                                        ; implicit-def: $vgpr6
	s_branch .LBB30_1386
.LBB30_1378:
	s_mov_b32 s37, -1
                                        ; implicit-def: $vgpr6
	s_branch .LBB30_1383
.LBB30_1379:
	s_mov_b32 s37, -1
                                        ; implicit-def: $vgpr6
.LBB30_1380:
	s_delay_alu instid0(SALU_CYCLE_1)
	s_and_not1_b32 vcc_lo, exec_lo, s37
	s_cbranch_vccnz .LBB30_1382
; %bb.1381:
	s_wait_loadcnt 0x0
	global_load_b32 v6, v[4:5], off
.LBB30_1382:
	s_mov_b32 s37, 0
.LBB30_1383:
	s_delay_alu instid0(SALU_CYCLE_1)
	s_and_not1_b32 vcc_lo, exec_lo, s37
	s_cbranch_vccnz .LBB30_1385
; %bb.1384:
	s_wait_loadcnt 0x0
	global_load_u16 v6, v[4:5], off
.LBB30_1385:
	s_mov_b32 s37, 0
.LBB30_1386:
	s_delay_alu instid0(SALU_CYCLE_1)
	s_and_not1_b32 vcc_lo, exec_lo, s37
	s_cbranch_vccnz .LBB30_1392
; %bb.1387:
	s_cmp_gt_i32 s0, 0
	s_mov_b32 s0, 0
	s_cbranch_scc0 .LBB30_1389
; %bb.1388:
	s_wait_loadcnt 0x0
	global_load_u8 v6, v[4:5], off
	s_branch .LBB30_1390
.LBB30_1389:
	s_mov_b32 s0, -1
                                        ; implicit-def: $vgpr6
.LBB30_1390:
	s_delay_alu instid0(SALU_CYCLE_1)
	s_and_not1_b32 vcc_lo, exec_lo, s0
	s_cbranch_vccnz .LBB30_1392
; %bb.1391:
	s_wait_loadcnt 0x0
	global_load_u8 v6, v[4:5], off
.LBB30_1392:
	s_mov_b32 s38, -1
.LBB30_1393:
	s_delay_alu instid0(SALU_CYCLE_1)
	s_and_not1_b32 vcc_lo, exec_lo, s38
	s_cbranch_vccnz .LBB30_1401
; %bb.1394:
	s_wait_xcnt 0x0
	v_mul_lo_u32 v4, v26, s12
	s_wait_loadcnt 0x0
	v_mul_lo_u16 v3, v0, s2
	v_mul_lo_u16 v2, v2, s1
	s_and_b32 s37, s18, 0xff
	s_delay_alu instid0(SALU_CYCLE_1) | instskip(NEXT) | instid1(VALU_DEP_1)
	s_cmp_lt_i32 s37, 11
	v_mad_u16 v2, v2, v6, v3
	s_delay_alu instid0(VALU_DEP_4) | instskip(NEXT) | instid1(VALU_DEP_1)
	v_ashrrev_i32_e32 v5, 31, v4
	v_add_nc_u64_e32 v[0:1], s[4:5], v[4:5]
	s_cbranch_scc1 .LBB30_1402
; %bb.1395:
	s_and_b32 s38, 0xffff, s37
	s_delay_alu instid0(SALU_CYCLE_1)
	s_cmp_gt_i32 s38, 25
	s_cbranch_scc0 .LBB30_1403
; %bb.1396:
	s_cmp_gt_i32 s38, 28
	s_cbranch_scc0 .LBB30_1404
; %bb.1397:
	;; [unrolled: 3-line block ×4, first 2 shown]
	s_mov_b32 s40, 0
	s_mov_b32 s0, -1
	s_cmp_eq_u32 s38, 46
	s_mov_b32 s39, 0
	s_cbranch_scc0 .LBB30_1407
; %bb.1400:
	v_cvt_f32_ubyte0_e32 v3, v2
	s_mov_b32 s39, -1
	s_mov_b32 s0, 0
	s_delay_alu instid0(VALU_DEP_1) | instskip(NEXT) | instid1(VALU_DEP_1)
	v_bfe_u32 v4, v3, 16, 1
	v_add3_u32 v3, v3, v4, 0x7fff
	s_delay_alu instid0(VALU_DEP_1)
	v_lshrrev_b32_e32 v3, 16, v3
	global_store_b32 v[0:1], v3, off
	s_branch .LBB30_1407
.LBB30_1401:
	s_mov_b32 s38, 0
	s_mov_b32 s0, s28
	s_branch .LBB30_1518
.LBB30_1402:
	s_mov_b32 s38, -1
	s_mov_b32 s39, 0
	s_mov_b32 s0, s28
	s_branch .LBB30_1476
.LBB30_1403:
	s_mov_b32 s40, -1
	s_mov_b32 s39, 0
	s_mov_b32 s0, s28
	s_branch .LBB30_1434
.LBB30_1404:
	s_mov_b32 s40, -1
	s_mov_b32 s39, 0
	s_mov_b32 s0, s28
	s_branch .LBB30_1417
.LBB30_1405:
	s_mov_b32 s40, -1
	s_mov_b32 s39, 0
	s_mov_b32 s0, s28
	s_branch .LBB30_1413
.LBB30_1406:
	s_mov_b32 s40, -1
	s_mov_b32 s39, 0
	s_mov_b32 s0, s28
.LBB30_1407:
	s_and_b32 vcc_lo, exec_lo, s40
	s_cbranch_vccz .LBB30_1412
; %bb.1408:
	s_cmp_eq_u32 s38, 44
	s_mov_b32 s0, -1
	s_cbranch_scc0 .LBB30_1412
; %bb.1409:
	v_cvt_f32_ubyte0_e32 v5, v2
	s_mov_b32 s39, exec_lo
	s_wait_xcnt 0x0
	s_delay_alu instid0(VALU_DEP_1) | instskip(NEXT) | instid1(VALU_DEP_1)
	v_dual_mov_b32 v4, 0xff :: v_dual_lshrrev_b32 v3, 23, v5
	v_cmpx_ne_u32_e32 0xff, v3
; %bb.1410:
	v_and_b32_e32 v4, 0x400000, v5
	v_and_or_b32 v5, 0x3fffff, v5, v3
	s_delay_alu instid0(VALU_DEP_2) | instskip(NEXT) | instid1(VALU_DEP_2)
	v_cmp_ne_u32_e32 vcc_lo, 0, v4
	v_cmp_ne_u32_e64 s0, 0, v5
	s_and_b32 s0, vcc_lo, s0
	s_delay_alu instid0(SALU_CYCLE_1) | instskip(NEXT) | instid1(VALU_DEP_1)
	v_cndmask_b32_e64 v4, 0, 1, s0
	v_add_nc_u32_e32 v4, v3, v4
; %bb.1411:
	s_or_b32 exec_lo, exec_lo, s39
	s_mov_b32 s39, -1
	s_mov_b32 s0, 0
	global_store_b8 v[0:1], v4, off
.LBB30_1412:
	s_mov_b32 s40, 0
.LBB30_1413:
	s_delay_alu instid0(SALU_CYCLE_1)
	s_and_b32 vcc_lo, exec_lo, s40
	s_cbranch_vccz .LBB30_1416
; %bb.1414:
	s_cmp_eq_u32 s38, 29
	s_mov_b32 s0, -1
	s_cbranch_scc0 .LBB30_1416
; %bb.1415:
	s_wait_xcnt 0x0
	v_and_b32_e32 v4, 0xff, v2
	v_mov_b32_e32 v5, 0
	s_mov_b32 s39, -1
	s_mov_b32 s0, 0
	s_mov_b32 s40, 0
	global_store_b64 v[0:1], v[4:5], off
	s_branch .LBB30_1417
.LBB30_1416:
	s_mov_b32 s40, 0
.LBB30_1417:
	s_delay_alu instid0(SALU_CYCLE_1)
	s_and_b32 vcc_lo, exec_lo, s40
	s_cbranch_vccz .LBB30_1433
; %bb.1418:
	s_cmp_lt_i32 s38, 27
	s_mov_b32 s39, -1
	s_cbranch_scc1 .LBB30_1424
; %bb.1419:
	s_cmp_gt_i32 s38, 27
	s_cbranch_scc0 .LBB30_1421
; %bb.1420:
	s_wait_xcnt 0x0
	v_and_b32_e32 v3, 0xff, v2
	s_mov_b32 s39, 0
	global_store_b32 v[0:1], v3, off
.LBB30_1421:
	s_and_not1_b32 vcc_lo, exec_lo, s39
	s_cbranch_vccnz .LBB30_1423
; %bb.1422:
	s_wait_xcnt 0x0
	v_and_b32_e32 v3, 0xff, v2
	global_store_b16 v[0:1], v3, off
.LBB30_1423:
	s_mov_b32 s39, 0
.LBB30_1424:
	s_delay_alu instid0(SALU_CYCLE_1)
	s_and_not1_b32 vcc_lo, exec_lo, s39
	s_cbranch_vccnz .LBB30_1432
; %bb.1425:
	s_wait_xcnt 0x0
	v_cvt_f32_ubyte0_e32 v4, v2
	v_mov_b32_e32 v5, 0x80
	s_mov_b32 s39, exec_lo
	s_delay_alu instid0(VALU_DEP_2)
	v_cmpx_gt_u32_e32 0x43800000, v4
	s_cbranch_execz .LBB30_1431
; %bb.1426:
	s_mov_b32 s40, 0
	s_mov_b32 s41, exec_lo
                                        ; implicit-def: $vgpr3
	v_cmpx_lt_u32_e32 0x3bffffff, v4
	s_xor_b32 s41, exec_lo, s41
	s_cbranch_execz .LBB30_2655
; %bb.1427:
	v_bfe_u32 v3, v4, 20, 1
	s_mov_b32 s40, exec_lo
	s_delay_alu instid0(VALU_DEP_1) | instskip(NEXT) | instid1(VALU_DEP_1)
	v_add3_u32 v3, v4, v3, 0x487ffff
                                        ; implicit-def: $vgpr4
	v_lshrrev_b32_e32 v3, 20, v3
	s_and_not1_saveexec_b32 s41, s41
	s_cbranch_execnz .LBB30_2656
.LBB30_1428:
	s_or_b32 exec_lo, exec_lo, s41
	v_mov_b32_e32 v5, 0
	s_and_saveexec_b32 s41, s40
.LBB30_1429:
	v_mov_b32_e32 v5, v3
.LBB30_1430:
	s_or_b32 exec_lo, exec_lo, s41
.LBB30_1431:
	s_delay_alu instid0(SALU_CYCLE_1)
	s_or_b32 exec_lo, exec_lo, s39
	global_store_b8 v[0:1], v5, off
.LBB30_1432:
	s_mov_b32 s39, -1
.LBB30_1433:
	s_mov_b32 s40, 0
.LBB30_1434:
	s_delay_alu instid0(SALU_CYCLE_1)
	s_and_b32 vcc_lo, exec_lo, s40
	s_cbranch_vccz .LBB30_1475
; %bb.1435:
	s_cmp_gt_i32 s38, 22
	s_mov_b32 s40, -1
	s_cbranch_scc0 .LBB30_1467
; %bb.1436:
	s_cmp_lt_i32 s38, 24
	s_mov_b32 s39, -1
	s_cbranch_scc1 .LBB30_1456
; %bb.1437:
	s_cmp_gt_i32 s38, 24
	s_cbranch_scc0 .LBB30_1445
; %bb.1438:
	s_wait_xcnt 0x0
	v_cvt_f32_ubyte0_e32 v4, v2
	v_mov_b32_e32 v5, 0x80
	s_mov_b32 s39, exec_lo
	s_delay_alu instid0(VALU_DEP_2)
	v_cmpx_gt_u32_e32 0x47800000, v4
	s_cbranch_execz .LBB30_1444
; %bb.1439:
	s_mov_b32 s40, 0
	s_mov_b32 s41, exec_lo
                                        ; implicit-def: $vgpr3
	v_cmpx_lt_u32_e32 0x37ffffff, v4
	s_xor_b32 s41, exec_lo, s41
	s_cbranch_execz .LBB30_2784
; %bb.1440:
	v_bfe_u32 v3, v4, 21, 1
	s_mov_b32 s40, exec_lo
	s_delay_alu instid0(VALU_DEP_1) | instskip(NEXT) | instid1(VALU_DEP_1)
	v_add3_u32 v3, v4, v3, 0x88fffff
                                        ; implicit-def: $vgpr4
	v_lshrrev_b32_e32 v3, 21, v3
	s_and_not1_saveexec_b32 s41, s41
	s_cbranch_execnz .LBB30_2785
.LBB30_1441:
	s_or_b32 exec_lo, exec_lo, s41
	v_mov_b32_e32 v5, 0
	s_and_saveexec_b32 s41, s40
.LBB30_1442:
	v_mov_b32_e32 v5, v3
.LBB30_1443:
	s_or_b32 exec_lo, exec_lo, s41
.LBB30_1444:
	s_delay_alu instid0(SALU_CYCLE_1)
	s_or_b32 exec_lo, exec_lo, s39
	s_mov_b32 s39, 0
	global_store_b8 v[0:1], v5, off
.LBB30_1445:
	s_and_b32 vcc_lo, exec_lo, s39
	s_cbranch_vccz .LBB30_1455
; %bb.1446:
	s_wait_xcnt 0x0
	v_cvt_f32_ubyte0_e32 v4, v2
	s_mov_b32 s39, exec_lo
                                        ; implicit-def: $vgpr3
	s_delay_alu instid0(VALU_DEP_1)
	v_cmpx_gt_u32_e32 0x43f00000, v4
	s_xor_b32 s39, exec_lo, s39
	s_cbranch_execz .LBB30_1452
; %bb.1447:
	s_mov_b32 s40, exec_lo
                                        ; implicit-def: $vgpr3
	v_cmpx_lt_u32_e32 0x3c7fffff, v4
	s_xor_b32 s40, exec_lo, s40
; %bb.1448:
	v_bfe_u32 v3, v4, 20, 1
	s_delay_alu instid0(VALU_DEP_1) | instskip(NEXT) | instid1(VALU_DEP_1)
	v_add3_u32 v3, v4, v3, 0x407ffff
	v_and_b32_e32 v4, 0xff00000, v3
	v_lshrrev_b32_e32 v3, 20, v3
	s_delay_alu instid0(VALU_DEP_2) | instskip(NEXT) | instid1(VALU_DEP_2)
	v_cmp_ne_u32_e32 vcc_lo, 0x7f00000, v4
                                        ; implicit-def: $vgpr4
	v_cndmask_b32_e32 v3, 0x7e, v3, vcc_lo
; %bb.1449:
	s_and_not1_saveexec_b32 s40, s40
; %bb.1450:
	v_add_f32_e32 v3, 0x46800000, v4
; %bb.1451:
	s_or_b32 exec_lo, exec_lo, s40
                                        ; implicit-def: $vgpr4
.LBB30_1452:
	s_and_not1_saveexec_b32 s39, s39
; %bb.1453:
	v_mov_b32_e32 v3, 0x7f
	v_cmp_lt_u32_e32 vcc_lo, 0x7f800000, v4
	s_delay_alu instid0(VALU_DEP_2)
	v_cndmask_b32_e32 v3, 0x7e, v3, vcc_lo
; %bb.1454:
	s_or_b32 exec_lo, exec_lo, s39
	global_store_b8 v[0:1], v3, off
.LBB30_1455:
	s_mov_b32 s39, 0
.LBB30_1456:
	s_delay_alu instid0(SALU_CYCLE_1)
	s_and_not1_b32 vcc_lo, exec_lo, s39
	s_cbranch_vccnz .LBB30_1466
; %bb.1457:
	s_wait_xcnt 0x0
	v_cvt_f32_ubyte0_e32 v4, v2
	s_mov_b32 s39, exec_lo
                                        ; implicit-def: $vgpr3
	s_delay_alu instid0(VALU_DEP_1)
	v_cmpx_gt_u32_e32 0x47800000, v4
	s_xor_b32 s39, exec_lo, s39
	s_cbranch_execz .LBB30_1463
; %bb.1458:
	s_mov_b32 s40, exec_lo
                                        ; implicit-def: $vgpr3
	v_cmpx_lt_u32_e32 0x387fffff, v4
	s_xor_b32 s40, exec_lo, s40
; %bb.1459:
	v_bfe_u32 v3, v4, 21, 1
	s_delay_alu instid0(VALU_DEP_1) | instskip(NEXT) | instid1(VALU_DEP_1)
	v_add3_u32 v3, v4, v3, 0x80fffff
                                        ; implicit-def: $vgpr4
	v_lshrrev_b32_e32 v3, 21, v3
; %bb.1460:
	s_and_not1_saveexec_b32 s40, s40
; %bb.1461:
	v_add_f32_e32 v3, 0x43000000, v4
; %bb.1462:
	s_or_b32 exec_lo, exec_lo, s40
                                        ; implicit-def: $vgpr4
.LBB30_1463:
	s_and_not1_saveexec_b32 s39, s39
; %bb.1464:
	v_mov_b32_e32 v3, 0x7f
	v_cmp_lt_u32_e32 vcc_lo, 0x7f800000, v4
	s_delay_alu instid0(VALU_DEP_2)
	v_cndmask_b32_e32 v3, 0x7c, v3, vcc_lo
; %bb.1465:
	s_or_b32 exec_lo, exec_lo, s39
	global_store_b8 v[0:1], v3, off
.LBB30_1466:
	s_mov_b32 s40, 0
	s_mov_b32 s39, -1
.LBB30_1467:
	s_and_not1_b32 vcc_lo, exec_lo, s40
	s_cbranch_vccnz .LBB30_1475
; %bb.1468:
	s_cmp_gt_i32 s38, 14
	s_mov_b32 s40, -1
	s_cbranch_scc0 .LBB30_1472
; %bb.1469:
	s_cmp_eq_u32 s38, 15
	s_mov_b32 s0, -1
	s_cbranch_scc0 .LBB30_1471
; %bb.1470:
	s_wait_xcnt 0x0
	v_cvt_f32_ubyte0_e32 v3, v2
	s_mov_b32 s39, -1
	s_mov_b32 s0, 0
	s_delay_alu instid0(VALU_DEP_1) | instskip(NEXT) | instid1(VALU_DEP_1)
	v_bfe_u32 v4, v3, 16, 1
	v_add3_u32 v3, v3, v4, 0x7fff
	global_store_d16_hi_b16 v[0:1], v3, off
.LBB30_1471:
	s_mov_b32 s40, 0
.LBB30_1472:
	s_delay_alu instid0(SALU_CYCLE_1)
	s_and_b32 vcc_lo, exec_lo, s40
	s_cbranch_vccz .LBB30_1475
; %bb.1473:
	s_cmp_eq_u32 s38, 11
	s_mov_b32 s0, -1
	s_cbranch_scc0 .LBB30_1475
; %bb.1474:
	s_wait_xcnt 0x0
	v_and_b32_e32 v3, 0xff, v2
	s_mov_b32 s0, 0
	s_mov_b32 s39, -1
	s_delay_alu instid0(VALU_DEP_1)
	v_cmp_ne_u16_e32 vcc_lo, 0, v3
	v_cndmask_b32_e64 v3, 0, 1, vcc_lo
	global_store_b8 v[0:1], v3, off
.LBB30_1475:
	s_mov_b32 s38, 0
.LBB30_1476:
	s_delay_alu instid0(SALU_CYCLE_1)
	s_and_b32 vcc_lo, exec_lo, s38
	s_cbranch_vccz .LBB30_1515
; %bb.1477:
	s_and_b32 s37, 0xffff, s37
	s_mov_b32 s38, -1
	s_cmp_lt_i32 s37, 5
	s_cbranch_scc1 .LBB30_1498
; %bb.1478:
	s_cmp_lt_i32 s37, 8
	s_cbranch_scc1 .LBB30_1488
; %bb.1479:
	;; [unrolled: 3-line block ×3, first 2 shown]
	s_cmp_gt_i32 s37, 9
	s_cbranch_scc0 .LBB30_1482
; %bb.1481:
	s_wait_xcnt 0x0
	v_and_b32_e32 v3, 0xff, v2
	v_mov_b32_e32 v6, 0
	s_mov_b32 s38, 0
	s_delay_alu instid0(VALU_DEP_2) | instskip(NEXT) | instid1(VALU_DEP_2)
	v_and_b32_e32 v3, 0xffff, v3
	v_mov_b32_e32 v7, v6
	s_delay_alu instid0(VALU_DEP_2)
	v_cvt_f64_u32_e32 v[4:5], v3
	global_store_b128 v[0:1], v[4:7], off
.LBB30_1482:
	s_and_not1_b32 vcc_lo, exec_lo, s38
	s_cbranch_vccnz .LBB30_1484
; %bb.1483:
	s_wait_xcnt 0x0
	v_cvt_f32_ubyte0_e32 v4, v2
	v_mov_b32_e32 v5, 0
	global_store_b64 v[0:1], v[4:5], off
.LBB30_1484:
	s_mov_b32 s38, 0
.LBB30_1485:
	s_delay_alu instid0(SALU_CYCLE_1)
	s_and_not1_b32 vcc_lo, exec_lo, s38
	s_cbranch_vccnz .LBB30_1487
; %bb.1486:
	s_wait_xcnt 0x0
	v_and_b32_e32 v3, 0xff, v2
	s_delay_alu instid0(VALU_DEP_1) | instskip(NEXT) | instid1(VALU_DEP_1)
	v_cvt_f16_u16_e32 v3, v3
	v_and_b32_e32 v3, 0xffff, v3
	global_store_b32 v[0:1], v3, off
.LBB30_1487:
	s_mov_b32 s38, 0
.LBB30_1488:
	s_delay_alu instid0(SALU_CYCLE_1)
	s_and_not1_b32 vcc_lo, exec_lo, s38
	s_cbranch_vccnz .LBB30_1497
; %bb.1489:
	s_cmp_lt_i32 s37, 6
	s_mov_b32 s38, -1
	s_cbranch_scc1 .LBB30_1495
; %bb.1490:
	s_cmp_gt_i32 s37, 6
	s_cbranch_scc0 .LBB30_1492
; %bb.1491:
	s_wait_xcnt 0x0
	v_and_b32_e32 v3, 0xff, v2
	s_mov_b32 s38, 0
	s_delay_alu instid0(VALU_DEP_1) | instskip(NEXT) | instid1(VALU_DEP_1)
	v_and_b32_e32 v3, 0xffff, v3
	v_cvt_f64_u32_e32 v[4:5], v3
	global_store_b64 v[0:1], v[4:5], off
.LBB30_1492:
	s_and_not1_b32 vcc_lo, exec_lo, s38
	s_cbranch_vccnz .LBB30_1494
; %bb.1493:
	s_wait_xcnt 0x0
	v_cvt_f32_ubyte0_e32 v3, v2
	global_store_b32 v[0:1], v3, off
.LBB30_1494:
	s_mov_b32 s38, 0
.LBB30_1495:
	s_delay_alu instid0(SALU_CYCLE_1)
	s_and_not1_b32 vcc_lo, exec_lo, s38
	s_cbranch_vccnz .LBB30_1497
; %bb.1496:
	s_wait_xcnt 0x0
	v_and_b32_e32 v3, 0xff, v2
	s_delay_alu instid0(VALU_DEP_1)
	v_cvt_f16_u16_e32 v3, v3
	global_store_b16 v[0:1], v3, off
.LBB30_1497:
	s_mov_b32 s38, 0
.LBB30_1498:
	s_delay_alu instid0(SALU_CYCLE_1)
	s_and_not1_b32 vcc_lo, exec_lo, s38
	s_cbranch_vccnz .LBB30_1514
; %bb.1499:
	s_cmp_lt_i32 s37, 2
	s_mov_b32 s38, -1
	s_cbranch_scc1 .LBB30_1509
; %bb.1500:
	s_cmp_lt_i32 s37, 3
	s_cbranch_scc1 .LBB30_1506
; %bb.1501:
	s_cmp_gt_i32 s37, 3
	s_cbranch_scc0 .LBB30_1503
; %bb.1502:
	s_wait_xcnt 0x0
	v_and_b32_e32 v4, 0xff, v2
	v_mov_b32_e32 v5, 0
	s_mov_b32 s38, 0
	global_store_b64 v[0:1], v[4:5], off
.LBB30_1503:
	s_and_not1_b32 vcc_lo, exec_lo, s38
	s_cbranch_vccnz .LBB30_1505
; %bb.1504:
	s_wait_xcnt 0x0
	v_and_b32_e32 v3, 0xff, v2
	global_store_b32 v[0:1], v3, off
.LBB30_1505:
	s_mov_b32 s38, 0
.LBB30_1506:
	s_delay_alu instid0(SALU_CYCLE_1)
	s_and_not1_b32 vcc_lo, exec_lo, s38
	s_cbranch_vccnz .LBB30_1508
; %bb.1507:
	s_wait_xcnt 0x0
	v_and_b32_e32 v3, 0xff, v2
	global_store_b16 v[0:1], v3, off
.LBB30_1508:
	s_mov_b32 s38, 0
.LBB30_1509:
	s_delay_alu instid0(SALU_CYCLE_1)
	s_and_not1_b32 vcc_lo, exec_lo, s38
	s_cbranch_vccnz .LBB30_1514
; %bb.1510:
	s_cmp_gt_i32 s37, 0
	s_mov_b32 s37, -1
	s_cbranch_scc0 .LBB30_1512
; %bb.1511:
	s_mov_b32 s37, 0
	global_store_b8 v[0:1], v2, off
.LBB30_1512:
	s_and_not1_b32 vcc_lo, exec_lo, s37
	s_cbranch_vccnz .LBB30_1514
; %bb.1513:
	global_store_b8 v[0:1], v2, off
.LBB30_1514:
	s_mov_b32 s39, -1
.LBB30_1515:
	s_delay_alu instid0(SALU_CYCLE_1)
	s_and_not1_b32 vcc_lo, exec_lo, s39
	s_cbranch_vccnz .LBB30_1517
; %bb.1516:
	v_add_nc_u32_e32 v26, 0x80, v26
	s_mov_b32 s38, -1
	s_branch .LBB30_1519
.LBB30_1517:
	s_mov_b32 s38, 0
.LBB30_1518:
                                        ; implicit-def: $vgpr26
.LBB30_1519:
	s_and_not1_b32 s37, s28, exec_lo
	s_and_b32 s0, s0, exec_lo
	s_and_not1_b32 s39, s29, exec_lo
	s_and_b32 s36, s36, exec_lo
	s_or_b32 s37, s37, s0
	s_or_b32 s36, s39, s36
	s_and_not1_b32 s0, s30, exec_lo
	s_and_b32 s35, s35, exec_lo
	s_and_not1_b32 s39, s27, exec_lo
	s_and_b32 s34, s34, exec_lo
	s_or_b32 s35, s0, s35
	s_or_b32 s34, s39, s34
	s_or_not1_b32 s41, s38, exec_lo
.LBB30_1520:
	s_wait_xcnt 0x0
	s_or_b32 exec_lo, exec_lo, s33
	s_mov_b32 s38, 0
	s_mov_b32 s39, 0
	s_mov_b32 s40, 0
                                        ; implicit-def: $sgpr0
                                        ; implicit-def: $vgpr2_vgpr3
                                        ; implicit-def: $vgpr0
	s_and_saveexec_b32 s33, s41
	s_cbranch_execz .LBB30_1597
; %bb.1521:
	v_cmp_gt_i32_e32 vcc_lo, s22, v26
	s_mov_b32 s42, s34
	s_mov_b32 s41, 0
	;; [unrolled: 1-line block ×3, first 2 shown]
                                        ; implicit-def: $sgpr0
                                        ; implicit-def: $vgpr2_vgpr3
                                        ; implicit-def: $vgpr0
	s_and_saveexec_b32 s22, vcc_lo
	s_cbranch_execz .LBB30_1596
; %bb.1522:
	s_wait_loadcnt 0x0
	v_mul_lo_u32 v0, v26, s13
	s_and_b32 s0, s16, 0xff
	s_delay_alu instid0(SALU_CYCLE_1) | instskip(NEXT) | instid1(VALU_DEP_1)
	s_cmp_lt_i32 s0, 11
	v_ashrrev_i32_e32 v1, 31, v0
	s_delay_alu instid0(VALU_DEP_1)
	v_add_nc_u64_e32 v[2:3], s[6:7], v[0:1]
	s_cbranch_scc1 .LBB30_1529
; %bb.1523:
	s_and_b32 s38, 0xffff, s0
	s_delay_alu instid0(SALU_CYCLE_1)
	s_cmp_gt_i32 s38, 25
	s_cbranch_scc0 .LBB30_1530
; %bb.1524:
	s_cmp_gt_i32 s38, 28
	s_cbranch_scc0 .LBB30_1531
; %bb.1525:
	s_cmp_gt_i32 s38, 43
	s_cbranch_scc0 .LBB30_1532
; %bb.1526:
	s_cmp_gt_i32 s38, 45
	s_cbranch_scc0 .LBB30_1533
; %bb.1527:
	s_cmp_eq_u32 s38, 46
	s_mov_b32 s42, 0
	s_cbranch_scc0 .LBB30_1534
; %bb.1528:
	global_load_b32 v0, v[2:3], off
	s_mov_b32 s41, -1
	s_wait_loadcnt 0x0
	v_lshlrev_b32_e32 v0, 16, v0
	s_delay_alu instid0(VALU_DEP_1) | instskip(NEXT) | instid1(VALU_DEP_1)
	v_trunc_f32_e32 v0, v0
	v_mul_f32_e64 v1, 0x2f800000, |v0|
	s_delay_alu instid0(VALU_DEP_1) | instskip(NEXT) | instid1(VALU_DEP_1)
	v_floor_f32_e32 v1, v1
	v_fma_f32 v1, 0xcf800000, v1, |v0|
	v_ashrrev_i32_e32 v0, 31, v0
	s_delay_alu instid0(VALU_DEP_2) | instskip(NEXT) | instid1(VALU_DEP_1)
	v_cvt_u32_f32_e32 v1, v1
	v_xor_b32_e32 v1, v1, v0
	s_delay_alu instid0(VALU_DEP_1)
	v_sub_nc_u32_e32 v0, v1, v0
	s_branch .LBB30_1536
.LBB30_1529:
	s_mov_b32 s38, -1
	s_mov_b32 s39, s34
                                        ; implicit-def: $vgpr0
	s_branch .LBB30_1595
.LBB30_1530:
	s_mov_b32 s42, -1
	s_mov_b32 s39, s34
                                        ; implicit-def: $vgpr0
	s_branch .LBB30_1563
.LBB30_1531:
	s_mov_b32 s42, -1
	s_mov_b32 s39, s34
                                        ; implicit-def: $vgpr0
	s_branch .LBB30_1546
.LBB30_1532:
	s_mov_b32 s42, -1
	s_mov_b32 s39, s34
                                        ; implicit-def: $vgpr0
	s_branch .LBB30_1541
.LBB30_1533:
	s_mov_b32 s42, -1
	s_mov_b32 s39, s34
	s_branch .LBB30_1535
.LBB30_1534:
	s_mov_b32 s39, -1
.LBB30_1535:
                                        ; implicit-def: $vgpr0
.LBB30_1536:
	s_and_b32 vcc_lo, exec_lo, s42
	s_cbranch_vccz .LBB30_1540
; %bb.1537:
	s_cmp_eq_u32 s38, 44
	s_cbranch_scc0 .LBB30_1539
; %bb.1538:
	global_load_u8 v0, v[2:3], off
	s_mov_b32 s39, 0
	s_mov_b32 s41, -1
	s_wait_loadcnt 0x0
	v_lshlrev_b32_e32 v1, 23, v0
	v_cmp_ne_u32_e32 vcc_lo, 0, v0
	s_delay_alu instid0(VALU_DEP_2) | instskip(NEXT) | instid1(VALU_DEP_1)
	v_trunc_f32_e32 v1, v1
	v_mul_f32_e64 v4, 0x2f800000, |v1|
	s_delay_alu instid0(VALU_DEP_1) | instskip(NEXT) | instid1(VALU_DEP_1)
	v_floor_f32_e32 v4, v4
	v_fma_f32 v4, 0xcf800000, v4, |v1|
	v_ashrrev_i32_e32 v1, 31, v1
	s_delay_alu instid0(VALU_DEP_2) | instskip(NEXT) | instid1(VALU_DEP_1)
	v_cvt_u32_f32_e32 v4, v4
	v_xor_b32_e32 v4, v4, v1
	s_delay_alu instid0(VALU_DEP_1) | instskip(NEXT) | instid1(VALU_DEP_1)
	v_sub_nc_u32_e32 v1, v4, v1
	v_cndmask_b32_e32 v0, 0, v1, vcc_lo
	s_branch .LBB30_1540
.LBB30_1539:
	s_mov_b32 s39, -1
                                        ; implicit-def: $vgpr0
.LBB30_1540:
	s_mov_b32 s42, 0
.LBB30_1541:
	s_delay_alu instid0(SALU_CYCLE_1)
	s_and_b32 vcc_lo, exec_lo, s42
	s_cbranch_vccz .LBB30_1545
; %bb.1542:
	s_cmp_eq_u32 s38, 29
	s_cbranch_scc0 .LBB30_1544
; %bb.1543:
	global_load_b64 v[0:1], v[2:3], off
	s_mov_b32 s39, 0
	s_mov_b32 s41, -1
	s_branch .LBB30_1545
.LBB30_1544:
	s_mov_b32 s39, -1
                                        ; implicit-def: $vgpr0
.LBB30_1545:
	s_mov_b32 s42, 0
.LBB30_1546:
	s_delay_alu instid0(SALU_CYCLE_1)
	s_and_b32 vcc_lo, exec_lo, s42
	s_cbranch_vccz .LBB30_1562
; %bb.1547:
	s_cmp_lt_i32 s38, 27
	s_cbranch_scc1 .LBB30_1550
; %bb.1548:
	s_cmp_gt_i32 s38, 27
	s_cbranch_scc0 .LBB30_1551
; %bb.1549:
	s_wait_loadcnt 0x0
	global_load_b32 v0, v[2:3], off
	s_mov_b32 s41, 0
	s_branch .LBB30_1552
.LBB30_1550:
	s_mov_b32 s41, -1
                                        ; implicit-def: $vgpr0
	s_branch .LBB30_1555
.LBB30_1551:
	s_mov_b32 s41, -1
                                        ; implicit-def: $vgpr0
.LBB30_1552:
	s_delay_alu instid0(SALU_CYCLE_1)
	s_and_not1_b32 vcc_lo, exec_lo, s41
	s_cbranch_vccnz .LBB30_1554
; %bb.1553:
	s_wait_loadcnt 0x0
	global_load_u16 v0, v[2:3], off
.LBB30_1554:
	s_mov_b32 s41, 0
.LBB30_1555:
	s_delay_alu instid0(SALU_CYCLE_1)
	s_and_not1_b32 vcc_lo, exec_lo, s41
	s_cbranch_vccnz .LBB30_1561
; %bb.1556:
	s_wait_loadcnt 0x0
	global_load_u8 v1, v[2:3], off
	s_mov_b32 s42, 0
	s_mov_b32 s41, exec_lo
	s_wait_loadcnt 0x0
	v_cmpx_lt_i16_e32 0x7f, v1
	s_xor_b32 s41, exec_lo, s41
	s_cbranch_execz .LBB30_1573
; %bb.1557:
	v_cmp_ne_u16_e32 vcc_lo, 0x80, v1
	s_and_b32 s42, vcc_lo, exec_lo
	s_and_not1_saveexec_b32 s41, s41
	s_cbranch_execnz .LBB30_1574
.LBB30_1558:
	s_or_b32 exec_lo, exec_lo, s41
	v_mov_b32_e32 v0, 0
	s_and_saveexec_b32 s41, s42
	s_cbranch_execz .LBB30_1560
.LBB30_1559:
	v_and_b32_e32 v0, 0xffff, v1
	s_delay_alu instid0(VALU_DEP_1) | instskip(SKIP_1) | instid1(VALU_DEP_2)
	v_and_b32_e32 v4, 7, v0
	v_bfe_u32 v7, v0, 3, 4
	v_clz_i32_u32_e32 v5, v4
	s_delay_alu instid0(VALU_DEP_2) | instskip(NEXT) | instid1(VALU_DEP_2)
	v_cmp_eq_u32_e32 vcc_lo, 0, v7
	v_min_u32_e32 v5, 32, v5
	s_delay_alu instid0(VALU_DEP_1) | instskip(NEXT) | instid1(VALU_DEP_1)
	v_subrev_nc_u32_e32 v6, 28, v5
	v_dual_lshlrev_b32 v0, v6, v0 :: v_dual_sub_nc_u32 v5, 29, v5
	s_delay_alu instid0(VALU_DEP_1) | instskip(NEXT) | instid1(VALU_DEP_1)
	v_dual_lshlrev_b32 v1, 24, v1 :: v_dual_bitop2_b32 v0, 7, v0 bitop3:0x40
	v_dual_cndmask_b32 v0, v4, v0 :: v_dual_cndmask_b32 v5, v7, v5
	s_delay_alu instid0(VALU_DEP_2) | instskip(NEXT) | instid1(VALU_DEP_2)
	v_and_b32_e32 v1, 0x80000000, v1
	v_lshlrev_b32_e32 v0, 20, v0
	s_delay_alu instid0(VALU_DEP_3) | instskip(NEXT) | instid1(VALU_DEP_1)
	v_lshl_add_u32 v4, v5, 23, 0x3b800000
	v_or3_b32 v0, v1, v4, v0
	s_delay_alu instid0(VALU_DEP_1) | instskip(NEXT) | instid1(VALU_DEP_1)
	v_trunc_f32_e32 v0, v0
	v_mul_f32_e64 v1, 0x2f800000, |v0|
	s_delay_alu instid0(VALU_DEP_1) | instskip(NEXT) | instid1(VALU_DEP_1)
	v_floor_f32_e32 v1, v1
	v_fma_f32 v1, 0xcf800000, v1, |v0|
	v_ashrrev_i32_e32 v0, 31, v0
	s_delay_alu instid0(VALU_DEP_2) | instskip(NEXT) | instid1(VALU_DEP_1)
	v_cvt_u32_f32_e32 v1, v1
	v_xor_b32_e32 v1, v1, v0
	s_delay_alu instid0(VALU_DEP_1)
	v_sub_nc_u32_e32 v0, v1, v0
.LBB30_1560:
	s_or_b32 exec_lo, exec_lo, s41
.LBB30_1561:
	s_mov_b32 s41, -1
.LBB30_1562:
	s_mov_b32 s42, 0
.LBB30_1563:
	s_delay_alu instid0(SALU_CYCLE_1)
	s_and_b32 vcc_lo, exec_lo, s42
	s_cbranch_vccz .LBB30_1594
; %bb.1564:
	s_cmp_gt_i32 s38, 22
	s_cbranch_scc0 .LBB30_1572
; %bb.1565:
	s_cmp_lt_i32 s38, 24
	s_cbranch_scc1 .LBB30_1575
; %bb.1566:
	s_cmp_gt_i32 s38, 24
	s_cbranch_scc0 .LBB30_1576
; %bb.1567:
	s_wait_loadcnt 0x0
	global_load_u8 v1, v[2:3], off
	s_mov_b32 s41, 0
	s_mov_b32 s40, exec_lo
	s_wait_loadcnt 0x0
	v_cmpx_lt_i16_e32 0x7f, v1
	s_xor_b32 s40, exec_lo, s40
	s_cbranch_execz .LBB30_1588
; %bb.1568:
	v_cmp_ne_u16_e32 vcc_lo, 0x80, v1
	s_and_b32 s41, vcc_lo, exec_lo
	s_and_not1_saveexec_b32 s40, s40
	s_cbranch_execnz .LBB30_1589
.LBB30_1569:
	s_or_b32 exec_lo, exec_lo, s40
	v_mov_b32_e32 v0, 0
	s_and_saveexec_b32 s40, s41
	s_cbranch_execz .LBB30_1571
.LBB30_1570:
	v_and_b32_e32 v0, 0xffff, v1
	s_delay_alu instid0(VALU_DEP_1) | instskip(SKIP_1) | instid1(VALU_DEP_2)
	v_and_b32_e32 v4, 3, v0
	v_bfe_u32 v7, v0, 2, 5
	v_clz_i32_u32_e32 v5, v4
	s_delay_alu instid0(VALU_DEP_2) | instskip(NEXT) | instid1(VALU_DEP_2)
	v_cmp_eq_u32_e32 vcc_lo, 0, v7
	v_min_u32_e32 v5, 32, v5
	s_delay_alu instid0(VALU_DEP_1) | instskip(NEXT) | instid1(VALU_DEP_1)
	v_subrev_nc_u32_e32 v6, 29, v5
	v_dual_lshlrev_b32 v0, v6, v0 :: v_dual_sub_nc_u32 v5, 30, v5
	s_delay_alu instid0(VALU_DEP_1) | instskip(NEXT) | instid1(VALU_DEP_1)
	v_dual_lshlrev_b32 v1, 24, v1 :: v_dual_bitop2_b32 v0, 3, v0 bitop3:0x40
	v_dual_cndmask_b32 v0, v4, v0 :: v_dual_cndmask_b32 v5, v7, v5
	s_delay_alu instid0(VALU_DEP_2) | instskip(NEXT) | instid1(VALU_DEP_2)
	v_and_b32_e32 v1, 0x80000000, v1
	v_lshlrev_b32_e32 v0, 21, v0
	s_delay_alu instid0(VALU_DEP_3) | instskip(NEXT) | instid1(VALU_DEP_1)
	v_lshl_add_u32 v4, v5, 23, 0x37800000
	v_or3_b32 v0, v1, v4, v0
	s_delay_alu instid0(VALU_DEP_1) | instskip(NEXT) | instid1(VALU_DEP_1)
	v_trunc_f32_e32 v0, v0
	v_mul_f32_e64 v1, 0x2f800000, |v0|
	s_delay_alu instid0(VALU_DEP_1) | instskip(NEXT) | instid1(VALU_DEP_1)
	v_floor_f32_e32 v1, v1
	v_fma_f32 v1, 0xcf800000, v1, |v0|
	v_ashrrev_i32_e32 v0, 31, v0
	s_delay_alu instid0(VALU_DEP_2) | instskip(NEXT) | instid1(VALU_DEP_1)
	v_cvt_u32_f32_e32 v1, v1
	v_xor_b32_e32 v1, v1, v0
	s_delay_alu instid0(VALU_DEP_1)
	v_sub_nc_u32_e32 v0, v1, v0
.LBB30_1571:
	s_or_b32 exec_lo, exec_lo, s40
	s_mov_b32 s40, 0
	s_branch .LBB30_1577
.LBB30_1572:
	s_mov_b32 s40, -1
                                        ; implicit-def: $vgpr0
	s_branch .LBB30_1583
.LBB30_1573:
	s_and_not1_saveexec_b32 s41, s41
	s_cbranch_execz .LBB30_1558
.LBB30_1574:
	v_cmp_ne_u16_e32 vcc_lo, 0, v1
	s_and_not1_b32 s42, s42, exec_lo
	s_and_b32 s43, vcc_lo, exec_lo
	s_delay_alu instid0(SALU_CYCLE_1)
	s_or_b32 s42, s42, s43
	s_or_b32 exec_lo, exec_lo, s41
	v_mov_b32_e32 v0, 0
	s_and_saveexec_b32 s41, s42
	s_cbranch_execnz .LBB30_1559
	s_branch .LBB30_1560
.LBB30_1575:
	s_mov_b32 s40, -1
                                        ; implicit-def: $vgpr0
	s_branch .LBB30_1580
.LBB30_1576:
	s_mov_b32 s40, -1
                                        ; implicit-def: $vgpr0
.LBB30_1577:
	s_delay_alu instid0(SALU_CYCLE_1)
	s_and_b32 vcc_lo, exec_lo, s40
	s_cbranch_vccz .LBB30_1579
; %bb.1578:
	s_wait_loadcnt 0x0
	global_load_u8 v0, v[2:3], off
	s_wait_loadcnt 0x0
	v_lshlrev_b32_e32 v0, 24, v0
	s_delay_alu instid0(VALU_DEP_1) | instskip(NEXT) | instid1(VALU_DEP_1)
	v_and_b32_e32 v1, 0x7f000000, v0
	v_clz_i32_u32_e32 v4, v1
	v_cmp_ne_u32_e32 vcc_lo, 0, v1
	v_add_nc_u32_e32 v6, 0x1000000, v1
	s_delay_alu instid0(VALU_DEP_3) | instskip(NEXT) | instid1(VALU_DEP_1)
	v_min_u32_e32 v4, 32, v4
	v_sub_nc_u32_e64 v4, v4, 4 clamp
	s_delay_alu instid0(VALU_DEP_1) | instskip(NEXT) | instid1(VALU_DEP_1)
	v_dual_lshlrev_b32 v5, v4, v1 :: v_dual_lshlrev_b32 v4, 23, v4
	v_lshrrev_b32_e32 v5, 4, v5
	s_delay_alu instid0(VALU_DEP_1) | instskip(NEXT) | instid1(VALU_DEP_1)
	v_dual_sub_nc_u32 v4, v5, v4 :: v_dual_ashrrev_i32 v5, 8, v6
	v_add_nc_u32_e32 v4, 0x3c000000, v4
	s_delay_alu instid0(VALU_DEP_1) | instskip(NEXT) | instid1(VALU_DEP_1)
	v_and_or_b32 v4, 0x7f800000, v5, v4
	v_cndmask_b32_e32 v1, 0, v4, vcc_lo
	s_delay_alu instid0(VALU_DEP_1) | instskip(NEXT) | instid1(VALU_DEP_1)
	v_and_or_b32 v0, 0x80000000, v0, v1
	v_trunc_f32_e32 v0, v0
	s_delay_alu instid0(VALU_DEP_1) | instskip(NEXT) | instid1(VALU_DEP_1)
	v_mul_f32_e64 v1, 0x2f800000, |v0|
	v_floor_f32_e32 v1, v1
	s_delay_alu instid0(VALU_DEP_1) | instskip(SKIP_1) | instid1(VALU_DEP_2)
	v_fma_f32 v1, 0xcf800000, v1, |v0|
	v_ashrrev_i32_e32 v0, 31, v0
	v_cvt_u32_f32_e32 v1, v1
	s_delay_alu instid0(VALU_DEP_1) | instskip(NEXT) | instid1(VALU_DEP_1)
	v_xor_b32_e32 v1, v1, v0
	v_sub_nc_u32_e32 v0, v1, v0
.LBB30_1579:
	s_mov_b32 s40, 0
.LBB30_1580:
	s_delay_alu instid0(SALU_CYCLE_1)
	s_and_not1_b32 vcc_lo, exec_lo, s40
	s_cbranch_vccnz .LBB30_1582
; %bb.1581:
	s_wait_loadcnt 0x0
	global_load_u8 v0, v[2:3], off
	s_wait_loadcnt 0x0
	v_lshlrev_b32_e32 v1, 25, v0
	v_lshlrev_b16 v0, 8, v0
	s_delay_alu instid0(VALU_DEP_1) | instskip(SKIP_1) | instid1(VALU_DEP_2)
	v_and_or_b32 v5, 0x7f00, v0, 0.5
	v_bfe_i32 v0, v0, 0, 16
	v_add_f32_e32 v5, -0.5, v5
	v_lshrrev_b32_e32 v4, 4, v1
	v_cmp_gt_u32_e32 vcc_lo, 0x8000000, v1
	s_delay_alu instid0(VALU_DEP_2) | instskip(NEXT) | instid1(VALU_DEP_1)
	v_or_b32_e32 v4, 0x70000000, v4
	v_mul_f32_e32 v4, 0x7800000, v4
	s_delay_alu instid0(VALU_DEP_1) | instskip(NEXT) | instid1(VALU_DEP_1)
	v_cndmask_b32_e32 v1, v4, v5, vcc_lo
	v_and_or_b32 v0, 0x80000000, v0, v1
	s_delay_alu instid0(VALU_DEP_1) | instskip(NEXT) | instid1(VALU_DEP_1)
	v_trunc_f32_e32 v0, v0
	v_mul_f32_e64 v1, 0x2f800000, |v0|
	s_delay_alu instid0(VALU_DEP_1) | instskip(NEXT) | instid1(VALU_DEP_1)
	v_floor_f32_e32 v1, v1
	v_fma_f32 v1, 0xcf800000, v1, |v0|
	v_ashrrev_i32_e32 v0, 31, v0
	s_delay_alu instid0(VALU_DEP_2) | instskip(NEXT) | instid1(VALU_DEP_1)
	v_cvt_u32_f32_e32 v1, v1
	v_xor_b32_e32 v1, v1, v0
	s_delay_alu instid0(VALU_DEP_1)
	v_sub_nc_u32_e32 v0, v1, v0
.LBB30_1582:
	s_mov_b32 s40, 0
	s_mov_b32 s41, -1
.LBB30_1583:
	s_and_not1_b32 vcc_lo, exec_lo, s40
	s_mov_b32 s40, 0
	s_cbranch_vccnz .LBB30_1594
; %bb.1584:
	s_cmp_gt_i32 s38, 14
	s_cbranch_scc0 .LBB30_1587
; %bb.1585:
	s_cmp_eq_u32 s38, 15
	s_cbranch_scc0 .LBB30_1590
; %bb.1586:
	s_wait_loadcnt 0x0
	global_load_u16 v0, v[2:3], off
	s_mov_b32 s39, 0
	s_mov_b32 s41, -1
	s_wait_loadcnt 0x0
	v_lshlrev_b32_e32 v0, 16, v0
	s_delay_alu instid0(VALU_DEP_1) | instskip(NEXT) | instid1(VALU_DEP_1)
	v_trunc_f32_e32 v0, v0
	v_mul_f32_e64 v1, 0x2f800000, |v0|
	s_delay_alu instid0(VALU_DEP_1) | instskip(NEXT) | instid1(VALU_DEP_1)
	v_floor_f32_e32 v1, v1
	v_fma_f32 v1, 0xcf800000, v1, |v0|
	v_ashrrev_i32_e32 v0, 31, v0
	s_delay_alu instid0(VALU_DEP_2) | instskip(NEXT) | instid1(VALU_DEP_1)
	v_cvt_u32_f32_e32 v1, v1
	v_xor_b32_e32 v1, v1, v0
	s_delay_alu instid0(VALU_DEP_1)
	v_sub_nc_u32_e32 v0, v1, v0
	s_branch .LBB30_1592
.LBB30_1587:
	s_mov_b32 s40, -1
	s_branch .LBB30_1591
.LBB30_1588:
	s_and_not1_saveexec_b32 s40, s40
	s_cbranch_execz .LBB30_1569
.LBB30_1589:
	v_cmp_ne_u16_e32 vcc_lo, 0, v1
	s_and_not1_b32 s41, s41, exec_lo
	s_and_b32 s42, vcc_lo, exec_lo
	s_delay_alu instid0(SALU_CYCLE_1)
	s_or_b32 s41, s41, s42
	s_or_b32 exec_lo, exec_lo, s40
	v_mov_b32_e32 v0, 0
	s_and_saveexec_b32 s40, s41
	s_cbranch_execnz .LBB30_1570
	s_branch .LBB30_1571
.LBB30_1590:
	s_mov_b32 s39, -1
.LBB30_1591:
                                        ; implicit-def: $vgpr0
.LBB30_1592:
	s_and_b32 vcc_lo, exec_lo, s40
	s_mov_b32 s40, 0
	s_cbranch_vccz .LBB30_1594
; %bb.1593:
	s_cmp_lg_u32 s38, 11
	s_mov_b32 s40, -1
	s_cselect_b32 s38, -1, 0
	s_and_not1_b32 s39, s39, exec_lo
	s_and_b32 s38, s38, exec_lo
	s_delay_alu instid0(SALU_CYCLE_1)
	s_or_b32 s39, s39, s38
.LBB30_1594:
	s_mov_b32 s38, 0
.LBB30_1595:
	s_and_not1_b32 s42, s34, exec_lo
	s_and_b32 s39, s39, exec_lo
	s_and_b32 s43, s41, exec_lo
	;; [unrolled: 1-line block ×4, first 2 shown]
	s_or_b32 s42, s42, s39
.LBB30_1596:
	s_wait_xcnt 0x0
	s_or_b32 exec_lo, exec_lo, s22
	s_delay_alu instid0(SALU_CYCLE_1)
	s_and_not1_b32 s22, s34, exec_lo
	s_and_b32 s34, s42, exec_lo
	s_and_b32 s40, s43, exec_lo
	;; [unrolled: 1-line block ×4, first 2 shown]
	s_or_b32 s34, s22, s34
.LBB30_1597:
	s_or_b32 exec_lo, exec_lo, s33
	s_delay_alu instid0(SALU_CYCLE_1)
	s_and_not1_b32 s22, s28, exec_lo
	s_and_b32 s28, s37, exec_lo
	s_and_not1_b32 s30, s30, exec_lo
	s_or_b32 s28, s22, s28
	s_and_not1_b32 s22, s29, exec_lo
	s_and_b32 s29, s36, exec_lo
	s_and_b32 s33, s35, exec_lo
	s_or_b32 s29, s22, s29
	s_and_not1_b32 s22, s27, exec_lo
	s_and_b32 s27, s34, exec_lo
	s_or_b32 s30, s30, s33
	s_and_b32 s36, s40, exec_lo
	s_and_b32 s35, s39, exec_lo
	;; [unrolled: 1-line block ×3, first 2 shown]
	s_or_b32 s27, s22, s27
.LBB30_1598:
	s_or_b32 exec_lo, exec_lo, s31
	s_delay_alu instid0(SALU_CYCLE_1)
	s_and_not1_b32 s21, s21, exec_lo
	s_and_b32 s22, s28, exec_lo
	s_and_not1_b32 s24, s24, exec_lo
	s_or_b32 s21, s21, s22
	s_and_not1_b32 s22, s23, exec_lo
	s_and_b32 s23, s29, exec_lo
	s_and_b32 s28, s30, exec_lo
	s_or_b32 s23, s22, s23
	s_and_not1_b32 s22, s25, exec_lo
	s_and_b32 s25, s27, exec_lo
	s_or_b32 s24, s24, s28
	s_and_b32 s28, s36, exec_lo
	s_and_b32 s29, s35, exec_lo
	;; [unrolled: 1-line block ×3, first 2 shown]
	s_or_b32 s25, s22, s25
	s_or_b32 exec_lo, exec_lo, s26
	s_mov_b32 s22, 0
	s_and_saveexec_b32 s26, s25
	s_cbranch_execz .LBB30_510
.LBB30_1599:
	s_mov_b32 s22, exec_lo
	s_and_not1_b32 s27, s27, exec_lo
	s_trap 2
	s_or_b32 exec_lo, exec_lo, s26
	s_and_saveexec_b32 s25, s27
	s_delay_alu instid0(SALU_CYCLE_1)
	s_xor_b32 s25, exec_lo, s25
	s_cbranch_execnz .LBB30_511
.LBB30_1600:
	s_or_b32 exec_lo, exec_lo, s25
	s_and_saveexec_b32 s25, s29
	s_cbranch_execz .LBB30_1646
.LBB30_1601:
	s_sext_i32_i16 s26, s0
	s_delay_alu instid0(SALU_CYCLE_1)
	s_cmp_lt_i32 s26, 5
	s_cbranch_scc1 .LBB30_1606
; %bb.1602:
	s_cmp_lt_i32 s26, 8
	s_cbranch_scc1 .LBB30_1607
; %bb.1603:
	s_cmp_lt_i32 s26, 9
	s_cbranch_scc1 .LBB30_1608
; %bb.1604:
	s_cmp_gt_i32 s26, 9
	s_cbranch_scc0 .LBB30_1609
; %bb.1605:
	s_wait_loadcnt 0x0
	global_load_b64 v[0:1], v[2:3], off
	s_mov_b32 s26, 0
	s_wait_loadcnt 0x0
	v_trunc_f64_e32 v[0:1], v[0:1]
	s_delay_alu instid0(VALU_DEP_1) | instskip(NEXT) | instid1(VALU_DEP_1)
	v_ldexp_f64 v[4:5], v[0:1], 0xffffffe0
	v_floor_f64_e32 v[4:5], v[4:5]
	s_delay_alu instid0(VALU_DEP_1) | instskip(NEXT) | instid1(VALU_DEP_1)
	v_fmamk_f64 v[0:1], v[4:5], 0xc1f00000, v[0:1]
	v_cvt_u32_f64_e32 v0, v[0:1]
	s_branch .LBB30_1610
.LBB30_1606:
                                        ; implicit-def: $vgpr0
	s_branch .LBB30_1627
.LBB30_1607:
                                        ; implicit-def: $vgpr0
	s_branch .LBB30_1616
.LBB30_1608:
	s_mov_b32 s26, -1
                                        ; implicit-def: $vgpr0
	s_branch .LBB30_1613
.LBB30_1609:
	s_mov_b32 s26, -1
                                        ; implicit-def: $vgpr0
.LBB30_1610:
	s_delay_alu instid0(SALU_CYCLE_1)
	s_and_not1_b32 vcc_lo, exec_lo, s26
	s_cbranch_vccnz .LBB30_1612
; %bb.1611:
	s_wait_loadcnt 0x0
	global_load_b32 v0, v[2:3], off
	s_wait_loadcnt 0x0
	v_trunc_f32_e32 v0, v0
	s_delay_alu instid0(VALU_DEP_1) | instskip(NEXT) | instid1(VALU_DEP_1)
	v_mul_f32_e64 v1, 0x2f800000, |v0|
	v_floor_f32_e32 v1, v1
	s_delay_alu instid0(VALU_DEP_1) | instskip(SKIP_1) | instid1(VALU_DEP_2)
	v_fma_f32 v1, 0xcf800000, v1, |v0|
	v_ashrrev_i32_e32 v0, 31, v0
	v_cvt_u32_f32_e32 v1, v1
	s_delay_alu instid0(VALU_DEP_1) | instskip(NEXT) | instid1(VALU_DEP_1)
	v_xor_b32_e32 v1, v1, v0
	v_sub_nc_u32_e32 v0, v1, v0
.LBB30_1612:
	s_mov_b32 s26, 0
.LBB30_1613:
	s_delay_alu instid0(SALU_CYCLE_1)
	s_and_not1_b32 vcc_lo, exec_lo, s26
	s_cbranch_vccnz .LBB30_1615
; %bb.1614:
	s_wait_loadcnt 0x0
	global_load_b32 v0, v[2:3], off
	s_wait_loadcnt 0x0
	v_cvt_f32_f16_e32 v0, v0
	s_delay_alu instid0(VALU_DEP_1)
	v_cvt_i32_f32_e32 v0, v0
.LBB30_1615:
	s_cbranch_execnz .LBB30_1626
.LBB30_1616:
	s_sext_i32_i16 s26, s0
	s_delay_alu instid0(SALU_CYCLE_1)
	s_cmp_lt_i32 s26, 6
	s_cbranch_scc1 .LBB30_1619
; %bb.1617:
	s_cmp_gt_i32 s26, 6
	s_cbranch_scc0 .LBB30_1620
; %bb.1618:
	s_wait_loadcnt 0x0
	global_load_b64 v[0:1], v[2:3], off
	s_mov_b32 s26, 0
	s_wait_loadcnt 0x0
	v_trunc_f64_e32 v[0:1], v[0:1]
	s_delay_alu instid0(VALU_DEP_1) | instskip(NEXT) | instid1(VALU_DEP_1)
	v_ldexp_f64 v[4:5], v[0:1], 0xffffffe0
	v_floor_f64_e32 v[4:5], v[4:5]
	s_delay_alu instid0(VALU_DEP_1) | instskip(NEXT) | instid1(VALU_DEP_1)
	v_fmamk_f64 v[0:1], v[4:5], 0xc1f00000, v[0:1]
	v_cvt_u32_f64_e32 v0, v[0:1]
	s_branch .LBB30_1621
.LBB30_1619:
	s_mov_b32 s26, -1
                                        ; implicit-def: $vgpr0
	s_branch .LBB30_1624
.LBB30_1620:
	s_mov_b32 s26, -1
                                        ; implicit-def: $vgpr0
.LBB30_1621:
	s_delay_alu instid0(SALU_CYCLE_1)
	s_and_not1_b32 vcc_lo, exec_lo, s26
	s_cbranch_vccnz .LBB30_1623
; %bb.1622:
	s_wait_loadcnt 0x0
	global_load_b32 v0, v[2:3], off
	s_wait_loadcnt 0x0
	v_trunc_f32_e32 v0, v0
	s_delay_alu instid0(VALU_DEP_1) | instskip(NEXT) | instid1(VALU_DEP_1)
	v_mul_f32_e64 v1, 0x2f800000, |v0|
	v_floor_f32_e32 v1, v1
	s_delay_alu instid0(VALU_DEP_1) | instskip(SKIP_1) | instid1(VALU_DEP_2)
	v_fma_f32 v1, 0xcf800000, v1, |v0|
	v_ashrrev_i32_e32 v0, 31, v0
	v_cvt_u32_f32_e32 v1, v1
	s_delay_alu instid0(VALU_DEP_1) | instskip(NEXT) | instid1(VALU_DEP_1)
	v_xor_b32_e32 v1, v1, v0
	v_sub_nc_u32_e32 v0, v1, v0
.LBB30_1623:
	s_mov_b32 s26, 0
.LBB30_1624:
	s_delay_alu instid0(SALU_CYCLE_1)
	s_and_not1_b32 vcc_lo, exec_lo, s26
	s_cbranch_vccnz .LBB30_1626
; %bb.1625:
	s_wait_loadcnt 0x0
	global_load_u16 v0, v[2:3], off
	s_wait_loadcnt 0x0
	v_cvt_f32_f16_e32 v0, v0
	s_delay_alu instid0(VALU_DEP_1)
	v_cvt_i32_f32_e32 v0, v0
.LBB30_1626:
	s_cbranch_execnz .LBB30_1645
.LBB30_1627:
	s_sext_i32_i16 s26, s0
	s_delay_alu instid0(SALU_CYCLE_1)
	s_cmp_lt_i32 s26, 2
	s_cbranch_scc1 .LBB30_1631
; %bb.1628:
	s_cmp_lt_i32 s26, 3
	s_cbranch_scc1 .LBB30_1632
; %bb.1629:
	s_cmp_gt_i32 s26, 3
	s_cbranch_scc0 .LBB30_1633
; %bb.1630:
	s_wait_loadcnt 0x0
	global_load_b64 v[0:1], v[2:3], off
	s_mov_b32 s26, 0
	s_branch .LBB30_1634
.LBB30_1631:
                                        ; implicit-def: $vgpr0
	s_branch .LBB30_1640
.LBB30_1632:
	s_mov_b32 s26, -1
                                        ; implicit-def: $vgpr0
	s_branch .LBB30_1637
.LBB30_1633:
	s_mov_b32 s26, -1
                                        ; implicit-def: $vgpr0
.LBB30_1634:
	s_delay_alu instid0(SALU_CYCLE_1)
	s_and_not1_b32 vcc_lo, exec_lo, s26
	s_cbranch_vccnz .LBB30_1636
; %bb.1635:
	s_wait_loadcnt 0x0
	global_load_b32 v0, v[2:3], off
.LBB30_1636:
	s_mov_b32 s26, 0
.LBB30_1637:
	s_delay_alu instid0(SALU_CYCLE_1)
	s_and_not1_b32 vcc_lo, exec_lo, s26
	s_cbranch_vccnz .LBB30_1639
; %bb.1638:
	s_wait_loadcnt 0x0
	global_load_u16 v0, v[2:3], off
.LBB30_1639:
	s_cbranch_execnz .LBB30_1645
.LBB30_1640:
	s_sext_i32_i16 s0, s0
	s_delay_alu instid0(SALU_CYCLE_1)
	s_cmp_gt_i32 s0, 0
	s_mov_b32 s0, 0
	s_cbranch_scc0 .LBB30_1642
; %bb.1641:
	s_wait_loadcnt 0x0
	global_load_u8 v0, v[2:3], off
	s_branch .LBB30_1643
.LBB30_1642:
	s_mov_b32 s0, -1
                                        ; implicit-def: $vgpr0
.LBB30_1643:
	s_delay_alu instid0(SALU_CYCLE_1)
	s_and_not1_b32 vcc_lo, exec_lo, s0
	s_cbranch_vccnz .LBB30_1645
; %bb.1644:
	s_wait_loadcnt 0x0
	global_load_u8 v0, v[2:3], off
.LBB30_1645:
	s_or_b32 s28, s28, exec_lo
.LBB30_1646:
	s_wait_xcnt 0x0
	s_or_b32 exec_lo, exec_lo, s25
	s_mov_b32 s27, 0
	s_mov_b32 s29, 0
	;; [unrolled: 1-line block ×3, first 2 shown]
                                        ; implicit-def: $sgpr0
                                        ; implicit-def: $vgpr4_vgpr5
                                        ; implicit-def: $vgpr2
	s_and_saveexec_b32 s25, s28
	s_cbranch_execz .LBB30_1654
; %bb.1647:
	s_wait_loadcnt 0x0
	v_mul_lo_u32 v2, v26, s14
	s_and_b32 s0, s3, 0xff
	s_delay_alu instid0(SALU_CYCLE_1) | instskip(NEXT) | instid1(VALU_DEP_1)
	s_cmp_lt_i32 s0, 11
	v_ashrrev_i32_e32 v3, 31, v2
	s_delay_alu instid0(VALU_DEP_1)
	v_add_nc_u64_e32 v[4:5], s[8:9], v[2:3]
	s_cbranch_scc1 .LBB30_1657
; %bb.1648:
	s_and_b32 s26, 0xffff, s0
	s_mov_b32 s28, 0
	s_cmp_gt_i32 s26, 25
	s_cbranch_scc0 .LBB30_1658
; %bb.1649:
	s_cmp_gt_i32 s26, 28
	s_cbranch_scc0 .LBB30_1659
; %bb.1650:
	;; [unrolled: 3-line block ×4, first 2 shown]
	s_cmp_eq_u32 s26, 46
	s_mov_b32 s30, 0
	s_cbranch_scc0 .LBB30_1662
; %bb.1653:
	global_load_b32 v1, v[4:5], off
	s_mov_b32 s29, -1
	s_wait_loadcnt 0x0
	v_lshlrev_b32_e32 v1, 16, v1
	s_delay_alu instid0(VALU_DEP_1) | instskip(NEXT) | instid1(VALU_DEP_1)
	v_trunc_f32_e32 v1, v1
	v_mul_f32_e64 v2, 0x2f800000, |v1|
	s_delay_alu instid0(VALU_DEP_1) | instskip(NEXT) | instid1(VALU_DEP_1)
	v_floor_f32_e32 v2, v2
	v_fma_f32 v2, 0xcf800000, v2, |v1|
	v_ashrrev_i32_e32 v1, 31, v1
	s_delay_alu instid0(VALU_DEP_2) | instskip(NEXT) | instid1(VALU_DEP_1)
	v_cvt_u32_f32_e32 v2, v2
	v_xor_b32_e32 v2, v2, v1
	s_delay_alu instid0(VALU_DEP_1)
	v_sub_nc_u32_e32 v2, v2, v1
	s_branch .LBB30_1664
.LBB30_1654:
	s_or_b32 exec_lo, exec_lo, s25
	s_and_saveexec_b32 s25, s24
	s_cbranch_execnz .LBB30_1723
.LBB30_1655:
	s_or_b32 exec_lo, exec_lo, s25
	s_and_saveexec_b32 s24, s27
	s_delay_alu instid0(SALU_CYCLE_1)
	s_xor_b32 s24, exec_lo, s24
	s_cbranch_execz .LBB30_1724
.LBB30_1656:
	s_wait_loadcnt 0x0
	global_load_u8 v1, v[4:5], off
	s_or_b32 s26, s26, exec_lo
	s_wait_loadcnt 0x0
	v_cmp_ne_u16_e32 vcc_lo, 0, v1
	v_cndmask_b32_e64 v2, 0, 1, vcc_lo
	s_wait_xcnt 0x0
	s_or_b32 exec_lo, exec_lo, s24
	s_and_saveexec_b32 s24, s29
	s_cbranch_execz .LBB30_1770
	s_branch .LBB30_1725
.LBB30_1657:
	s_mov_b32 s30, -1
	s_mov_b32 s28, 0
	s_mov_b32 s27, s24
                                        ; implicit-def: $vgpr2
	s_branch .LBB30_1722
.LBB30_1658:
	s_mov_b32 s27, s24
                                        ; implicit-def: $vgpr2
	s_cbranch_execnz .LBB30_1691
	s_branch .LBB30_1721
.LBB30_1659:
	s_mov_b32 s30, -1
	s_mov_b32 s27, s24
                                        ; implicit-def: $vgpr2
	s_branch .LBB30_1674
.LBB30_1660:
	s_mov_b32 s30, -1
	s_mov_b32 s27, s24
                                        ; implicit-def: $vgpr2
	s_branch .LBB30_1669
.LBB30_1661:
	s_mov_b32 s30, -1
	s_mov_b32 s27, s24
	s_branch .LBB30_1663
.LBB30_1662:
	s_mov_b32 s27, -1
.LBB30_1663:
                                        ; implicit-def: $vgpr2
.LBB30_1664:
	s_and_b32 vcc_lo, exec_lo, s30
	s_cbranch_vccz .LBB30_1668
; %bb.1665:
	s_cmp_eq_u32 s26, 44
	s_cbranch_scc0 .LBB30_1667
; %bb.1666:
	global_load_u8 v1, v[4:5], off
	s_mov_b32 s27, 0
	s_mov_b32 s29, -1
	s_wait_loadcnt 0x0
	v_lshlrev_b32_e32 v2, 23, v1
	v_cmp_ne_u32_e32 vcc_lo, 0, v1
	s_delay_alu instid0(VALU_DEP_2) | instskip(NEXT) | instid1(VALU_DEP_1)
	v_trunc_f32_e32 v2, v2
	v_mul_f32_e64 v3, 0x2f800000, |v2|
	s_delay_alu instid0(VALU_DEP_1) | instskip(NEXT) | instid1(VALU_DEP_1)
	v_floor_f32_e32 v3, v3
	v_fma_f32 v3, 0xcf800000, v3, |v2|
	v_ashrrev_i32_e32 v2, 31, v2
	s_delay_alu instid0(VALU_DEP_2) | instskip(NEXT) | instid1(VALU_DEP_1)
	v_cvt_u32_f32_e32 v3, v3
	v_xor_b32_e32 v3, v3, v2
	s_delay_alu instid0(VALU_DEP_1) | instskip(NEXT) | instid1(VALU_DEP_1)
	v_sub_nc_u32_e32 v2, v3, v2
	v_cndmask_b32_e32 v2, 0, v2, vcc_lo
	s_branch .LBB30_1668
.LBB30_1667:
	s_mov_b32 s27, -1
                                        ; implicit-def: $vgpr2
.LBB30_1668:
	s_mov_b32 s30, 0
.LBB30_1669:
	s_delay_alu instid0(SALU_CYCLE_1)
	s_and_b32 vcc_lo, exec_lo, s30
	s_cbranch_vccz .LBB30_1673
; %bb.1670:
	s_cmp_eq_u32 s26, 29
	s_cbranch_scc0 .LBB30_1672
; %bb.1671:
	global_load_b64 v[2:3], v[4:5], off
	s_mov_b32 s27, 0
	s_mov_b32 s29, -1
	s_branch .LBB30_1673
.LBB30_1672:
	s_mov_b32 s27, -1
                                        ; implicit-def: $vgpr2
.LBB30_1673:
	s_mov_b32 s30, 0
.LBB30_1674:
	s_delay_alu instid0(SALU_CYCLE_1)
	s_and_b32 vcc_lo, exec_lo, s30
	s_cbranch_vccz .LBB30_1690
; %bb.1675:
	s_cmp_lt_i32 s26, 27
	s_cbranch_scc1 .LBB30_1678
; %bb.1676:
	s_cmp_gt_i32 s26, 27
	s_cbranch_scc0 .LBB30_1679
; %bb.1677:
	s_wait_loadcnt 0x0
	global_load_b32 v2, v[4:5], off
	s_mov_b32 s29, 0
	s_branch .LBB30_1680
.LBB30_1678:
	s_mov_b32 s29, -1
                                        ; implicit-def: $vgpr2
	s_branch .LBB30_1683
.LBB30_1679:
	s_mov_b32 s29, -1
                                        ; implicit-def: $vgpr2
.LBB30_1680:
	s_delay_alu instid0(SALU_CYCLE_1)
	s_and_not1_b32 vcc_lo, exec_lo, s29
	s_cbranch_vccnz .LBB30_1682
; %bb.1681:
	s_wait_loadcnt 0x0
	global_load_u16 v2, v[4:5], off
.LBB30_1682:
	s_mov_b32 s29, 0
.LBB30_1683:
	s_delay_alu instid0(SALU_CYCLE_1)
	s_and_not1_b32 vcc_lo, exec_lo, s29
	s_cbranch_vccnz .LBB30_1689
; %bb.1684:
	global_load_u8 v1, v[4:5], off
	s_mov_b32 s30, 0
	s_mov_b32 s29, exec_lo
	s_wait_loadcnt 0x0
	v_cmpx_lt_i16_e32 0x7f, v1
	s_xor_b32 s29, exec_lo, s29
	s_cbranch_execz .LBB30_1700
; %bb.1685:
	v_cmp_ne_u16_e32 vcc_lo, 0x80, v1
	s_and_b32 s30, vcc_lo, exec_lo
	s_and_not1_saveexec_b32 s29, s29
	s_cbranch_execnz .LBB30_1701
.LBB30_1686:
	s_or_b32 exec_lo, exec_lo, s29
	v_mov_b32_e32 v2, 0
	s_and_saveexec_b32 s29, s30
	s_cbranch_execz .LBB30_1688
.LBB30_1687:
	v_and_b32_e32 v2, 0xffff, v1
	s_delay_alu instid0(VALU_DEP_1) | instskip(SKIP_1) | instid1(VALU_DEP_2)
	v_dual_lshlrev_b32 v1, 24, v1 :: v_dual_bitop2_b32 v3, 7, v2 bitop3:0x40
	v_bfe_u32 v8, v2, 3, 4
	v_and_b32_e32 v1, 0x80000000, v1
	s_delay_alu instid0(VALU_DEP_3) | instskip(NEXT) | instid1(VALU_DEP_3)
	v_clz_i32_u32_e32 v6, v3
	v_cmp_eq_u32_e32 vcc_lo, 0, v8
	s_delay_alu instid0(VALU_DEP_2) | instskip(NEXT) | instid1(VALU_DEP_1)
	v_min_u32_e32 v6, 32, v6
	v_subrev_nc_u32_e32 v7, 28, v6
	v_sub_nc_u32_e32 v6, 29, v6
	s_delay_alu instid0(VALU_DEP_2) | instskip(NEXT) | instid1(VALU_DEP_2)
	v_lshlrev_b32_e32 v2, v7, v2
	v_cndmask_b32_e32 v6, v8, v6, vcc_lo
	s_delay_alu instid0(VALU_DEP_2) | instskip(NEXT) | instid1(VALU_DEP_1)
	v_and_b32_e32 v2, 7, v2
	v_cndmask_b32_e32 v2, v3, v2, vcc_lo
	s_delay_alu instid0(VALU_DEP_3) | instskip(NEXT) | instid1(VALU_DEP_2)
	v_lshl_add_u32 v3, v6, 23, 0x3b800000
	v_lshlrev_b32_e32 v2, 20, v2
	s_delay_alu instid0(VALU_DEP_1) | instskip(NEXT) | instid1(VALU_DEP_1)
	v_or3_b32 v1, v1, v3, v2
	v_trunc_f32_e32 v1, v1
	s_delay_alu instid0(VALU_DEP_1) | instskip(NEXT) | instid1(VALU_DEP_1)
	v_mul_f32_e64 v2, 0x2f800000, |v1|
	v_floor_f32_e32 v2, v2
	s_delay_alu instid0(VALU_DEP_1) | instskip(SKIP_1) | instid1(VALU_DEP_2)
	v_fma_f32 v2, 0xcf800000, v2, |v1|
	v_ashrrev_i32_e32 v1, 31, v1
	v_cvt_u32_f32_e32 v2, v2
	s_delay_alu instid0(VALU_DEP_1) | instskip(NEXT) | instid1(VALU_DEP_1)
	v_xor_b32_e32 v2, v2, v1
	v_sub_nc_u32_e32 v2, v2, v1
.LBB30_1688:
	s_or_b32 exec_lo, exec_lo, s29
.LBB30_1689:
	s_mov_b32 s29, -1
.LBB30_1690:
	s_branch .LBB30_1721
.LBB30_1691:
	s_cmp_gt_i32 s26, 22
	s_cbranch_scc0 .LBB30_1699
; %bb.1692:
	s_cmp_lt_i32 s26, 24
	s_cbranch_scc1 .LBB30_1702
; %bb.1693:
	s_cmp_gt_i32 s26, 24
	s_cbranch_scc0 .LBB30_1703
; %bb.1694:
	global_load_u8 v1, v[4:5], off
	s_mov_b32 s29, 0
	s_mov_b32 s28, exec_lo
	s_wait_loadcnt 0x0
	v_cmpx_lt_i16_e32 0x7f, v1
	s_xor_b32 s28, exec_lo, s28
	s_cbranch_execz .LBB30_1715
; %bb.1695:
	v_cmp_ne_u16_e32 vcc_lo, 0x80, v1
	s_and_b32 s29, vcc_lo, exec_lo
	s_and_not1_saveexec_b32 s28, s28
	s_cbranch_execnz .LBB30_1716
.LBB30_1696:
	s_or_b32 exec_lo, exec_lo, s28
	v_mov_b32_e32 v2, 0
	s_and_saveexec_b32 s28, s29
	s_cbranch_execz .LBB30_1698
.LBB30_1697:
	v_and_b32_e32 v2, 0xffff, v1
	s_delay_alu instid0(VALU_DEP_1) | instskip(SKIP_1) | instid1(VALU_DEP_2)
	v_dual_lshlrev_b32 v1, 24, v1 :: v_dual_bitop2_b32 v3, 3, v2 bitop3:0x40
	v_bfe_u32 v8, v2, 2, 5
	v_and_b32_e32 v1, 0x80000000, v1
	s_delay_alu instid0(VALU_DEP_3) | instskip(NEXT) | instid1(VALU_DEP_3)
	v_clz_i32_u32_e32 v6, v3
	v_cmp_eq_u32_e32 vcc_lo, 0, v8
	s_delay_alu instid0(VALU_DEP_2) | instskip(NEXT) | instid1(VALU_DEP_1)
	v_min_u32_e32 v6, 32, v6
	v_subrev_nc_u32_e32 v7, 29, v6
	v_sub_nc_u32_e32 v6, 30, v6
	s_delay_alu instid0(VALU_DEP_2) | instskip(NEXT) | instid1(VALU_DEP_2)
	v_lshlrev_b32_e32 v2, v7, v2
	v_cndmask_b32_e32 v6, v8, v6, vcc_lo
	s_delay_alu instid0(VALU_DEP_2) | instskip(NEXT) | instid1(VALU_DEP_1)
	v_and_b32_e32 v2, 3, v2
	v_cndmask_b32_e32 v2, v3, v2, vcc_lo
	s_delay_alu instid0(VALU_DEP_3) | instskip(NEXT) | instid1(VALU_DEP_2)
	v_lshl_add_u32 v3, v6, 23, 0x37800000
	v_lshlrev_b32_e32 v2, 21, v2
	s_delay_alu instid0(VALU_DEP_1) | instskip(NEXT) | instid1(VALU_DEP_1)
	v_or3_b32 v1, v1, v3, v2
	v_trunc_f32_e32 v1, v1
	s_delay_alu instid0(VALU_DEP_1) | instskip(NEXT) | instid1(VALU_DEP_1)
	v_mul_f32_e64 v2, 0x2f800000, |v1|
	v_floor_f32_e32 v2, v2
	s_delay_alu instid0(VALU_DEP_1) | instskip(SKIP_1) | instid1(VALU_DEP_2)
	v_fma_f32 v2, 0xcf800000, v2, |v1|
	v_ashrrev_i32_e32 v1, 31, v1
	v_cvt_u32_f32_e32 v2, v2
	s_delay_alu instid0(VALU_DEP_1) | instskip(NEXT) | instid1(VALU_DEP_1)
	v_xor_b32_e32 v2, v2, v1
	v_sub_nc_u32_e32 v2, v2, v1
.LBB30_1698:
	s_or_b32 exec_lo, exec_lo, s28
	s_mov_b32 s28, 0
	s_branch .LBB30_1704
.LBB30_1699:
	s_mov_b32 s28, -1
                                        ; implicit-def: $vgpr2
	s_branch .LBB30_1710
.LBB30_1700:
	s_and_not1_saveexec_b32 s29, s29
	s_cbranch_execz .LBB30_1686
.LBB30_1701:
	v_cmp_ne_u16_e32 vcc_lo, 0, v1
	s_and_not1_b32 s30, s30, exec_lo
	s_and_b32 s31, vcc_lo, exec_lo
	s_delay_alu instid0(SALU_CYCLE_1)
	s_or_b32 s30, s30, s31
	s_or_b32 exec_lo, exec_lo, s29
	v_mov_b32_e32 v2, 0
	s_and_saveexec_b32 s29, s30
	s_cbranch_execnz .LBB30_1687
	s_branch .LBB30_1688
.LBB30_1702:
	s_mov_b32 s28, -1
                                        ; implicit-def: $vgpr2
	s_branch .LBB30_1707
.LBB30_1703:
	s_mov_b32 s28, -1
                                        ; implicit-def: $vgpr2
.LBB30_1704:
	s_delay_alu instid0(SALU_CYCLE_1)
	s_and_b32 vcc_lo, exec_lo, s28
	s_cbranch_vccz .LBB30_1706
; %bb.1705:
	global_load_u8 v1, v[4:5], off
	s_wait_loadcnt 0x0
	v_lshlrev_b32_e32 v1, 24, v1
	s_delay_alu instid0(VALU_DEP_1) | instskip(NEXT) | instid1(VALU_DEP_1)
	v_and_b32_e32 v2, 0x7f000000, v1
	v_clz_i32_u32_e32 v3, v2
	v_cmp_ne_u32_e32 vcc_lo, 0, v2
	v_add_nc_u32_e32 v7, 0x1000000, v2
	s_delay_alu instid0(VALU_DEP_3) | instskip(NEXT) | instid1(VALU_DEP_1)
	v_min_u32_e32 v3, 32, v3
	v_sub_nc_u32_e64 v3, v3, 4 clamp
	s_delay_alu instid0(VALU_DEP_1) | instskip(NEXT) | instid1(VALU_DEP_1)
	v_dual_lshlrev_b32 v6, v3, v2 :: v_dual_lshlrev_b32 v3, 23, v3
	v_lshrrev_b32_e32 v6, 4, v6
	s_delay_alu instid0(VALU_DEP_1) | instskip(SKIP_1) | instid1(VALU_DEP_2)
	v_sub_nc_u32_e32 v3, v6, v3
	v_ashrrev_i32_e32 v6, 8, v7
	v_add_nc_u32_e32 v3, 0x3c000000, v3
	s_delay_alu instid0(VALU_DEP_1) | instskip(NEXT) | instid1(VALU_DEP_1)
	v_and_or_b32 v3, 0x7f800000, v6, v3
	v_cndmask_b32_e32 v2, 0, v3, vcc_lo
	s_delay_alu instid0(VALU_DEP_1) | instskip(NEXT) | instid1(VALU_DEP_1)
	v_and_or_b32 v1, 0x80000000, v1, v2
	v_trunc_f32_e32 v1, v1
	s_delay_alu instid0(VALU_DEP_1) | instskip(NEXT) | instid1(VALU_DEP_1)
	v_mul_f32_e64 v2, 0x2f800000, |v1|
	v_floor_f32_e32 v2, v2
	s_delay_alu instid0(VALU_DEP_1) | instskip(SKIP_1) | instid1(VALU_DEP_2)
	v_fma_f32 v2, 0xcf800000, v2, |v1|
	v_ashrrev_i32_e32 v1, 31, v1
	v_cvt_u32_f32_e32 v2, v2
	s_delay_alu instid0(VALU_DEP_1) | instskip(NEXT) | instid1(VALU_DEP_1)
	v_xor_b32_e32 v2, v2, v1
	v_sub_nc_u32_e32 v2, v2, v1
.LBB30_1706:
	s_mov_b32 s28, 0
.LBB30_1707:
	s_delay_alu instid0(SALU_CYCLE_1)
	s_and_not1_b32 vcc_lo, exec_lo, s28
	s_cbranch_vccnz .LBB30_1709
; %bb.1708:
	global_load_u8 v1, v[4:5], off
	s_wait_loadcnt 0x0
	v_lshlrev_b32_e32 v2, 25, v1
	v_lshlrev_b16 v1, 8, v1
	s_delay_alu instid0(VALU_DEP_1) | instskip(SKIP_1) | instid1(VALU_DEP_2)
	v_and_or_b32 v6, 0x7f00, v1, 0.5
	v_bfe_i32 v1, v1, 0, 16
	v_add_f32_e32 v6, -0.5, v6
	v_lshrrev_b32_e32 v3, 4, v2
	v_cmp_gt_u32_e32 vcc_lo, 0x8000000, v2
	s_delay_alu instid0(VALU_DEP_2) | instskip(NEXT) | instid1(VALU_DEP_1)
	v_or_b32_e32 v3, 0x70000000, v3
	v_mul_f32_e32 v3, 0x7800000, v3
	s_delay_alu instid0(VALU_DEP_1) | instskip(NEXT) | instid1(VALU_DEP_1)
	v_cndmask_b32_e32 v2, v3, v6, vcc_lo
	v_and_or_b32 v1, 0x80000000, v1, v2
	s_delay_alu instid0(VALU_DEP_1) | instskip(NEXT) | instid1(VALU_DEP_1)
	v_trunc_f32_e32 v1, v1
	v_mul_f32_e64 v2, 0x2f800000, |v1|
	s_delay_alu instid0(VALU_DEP_1) | instskip(NEXT) | instid1(VALU_DEP_1)
	v_floor_f32_e32 v2, v2
	v_fma_f32 v2, 0xcf800000, v2, |v1|
	v_ashrrev_i32_e32 v1, 31, v1
	s_delay_alu instid0(VALU_DEP_2) | instskip(NEXT) | instid1(VALU_DEP_1)
	v_cvt_u32_f32_e32 v2, v2
	v_xor_b32_e32 v2, v2, v1
	s_delay_alu instid0(VALU_DEP_1)
	v_sub_nc_u32_e32 v2, v2, v1
.LBB30_1709:
	s_mov_b32 s28, 0
	s_mov_b32 s29, -1
.LBB30_1710:
	s_and_not1_b32 vcc_lo, exec_lo, s28
	s_mov_b32 s28, 0
	s_cbranch_vccnz .LBB30_1721
; %bb.1711:
	s_cmp_gt_i32 s26, 14
	s_cbranch_scc0 .LBB30_1714
; %bb.1712:
	s_cmp_eq_u32 s26, 15
	s_cbranch_scc0 .LBB30_1717
; %bb.1713:
	global_load_u16 v1, v[4:5], off
	s_mov_b32 s27, 0
	s_mov_b32 s29, -1
	s_wait_loadcnt 0x0
	v_lshlrev_b32_e32 v1, 16, v1
	s_delay_alu instid0(VALU_DEP_1) | instskip(NEXT) | instid1(VALU_DEP_1)
	v_trunc_f32_e32 v1, v1
	v_mul_f32_e64 v2, 0x2f800000, |v1|
	s_delay_alu instid0(VALU_DEP_1) | instskip(NEXT) | instid1(VALU_DEP_1)
	v_floor_f32_e32 v2, v2
	v_fma_f32 v2, 0xcf800000, v2, |v1|
	v_ashrrev_i32_e32 v1, 31, v1
	s_delay_alu instid0(VALU_DEP_2) | instskip(NEXT) | instid1(VALU_DEP_1)
	v_cvt_u32_f32_e32 v2, v2
	v_xor_b32_e32 v2, v2, v1
	s_delay_alu instid0(VALU_DEP_1)
	v_sub_nc_u32_e32 v2, v2, v1
	s_branch .LBB30_1719
.LBB30_1714:
	s_mov_b32 s28, -1
	s_branch .LBB30_1718
.LBB30_1715:
	s_and_not1_saveexec_b32 s28, s28
	s_cbranch_execz .LBB30_1696
.LBB30_1716:
	v_cmp_ne_u16_e32 vcc_lo, 0, v1
	s_and_not1_b32 s29, s29, exec_lo
	s_and_b32 s30, vcc_lo, exec_lo
	s_delay_alu instid0(SALU_CYCLE_1)
	s_or_b32 s29, s29, s30
	s_or_b32 exec_lo, exec_lo, s28
	v_mov_b32_e32 v2, 0
	s_and_saveexec_b32 s28, s29
	s_cbranch_execnz .LBB30_1697
	s_branch .LBB30_1698
.LBB30_1717:
	s_mov_b32 s27, -1
.LBB30_1718:
                                        ; implicit-def: $vgpr2
.LBB30_1719:
	s_and_b32 vcc_lo, exec_lo, s28
	s_mov_b32 s28, 0
	s_cbranch_vccz .LBB30_1721
; %bb.1720:
	s_cmp_lg_u32 s26, 11
	s_mov_b32 s28, -1
	s_cselect_b32 s26, -1, 0
	s_and_not1_b32 s27, s27, exec_lo
	s_and_b32 s26, s26, exec_lo
	s_delay_alu instid0(SALU_CYCLE_1)
	s_or_b32 s27, s27, s26
.LBB30_1721:
	s_mov_b32 s30, 0
.LBB30_1722:
	s_and_b32 s26, s29, exec_lo
	s_and_b32 s29, s30, exec_lo
	s_and_not1_b32 s24, s24, exec_lo
	s_and_b32 s30, s27, exec_lo
	s_and_b32 s27, s28, exec_lo
	s_or_b32 s24, s24, s30
	s_wait_xcnt 0x0
	s_or_b32 exec_lo, exec_lo, s25
	s_and_saveexec_b32 s25, s24
	s_cbranch_execz .LBB30_1655
.LBB30_1723:
	s_or_b32 s22, s22, exec_lo
	s_and_not1_b32 s27, s27, exec_lo
	s_trap 2
	s_or_b32 exec_lo, exec_lo, s25
	s_and_saveexec_b32 s24, s27
	s_delay_alu instid0(SALU_CYCLE_1)
	s_xor_b32 s24, exec_lo, s24
	s_cbranch_execnz .LBB30_1656
.LBB30_1724:
	s_or_b32 exec_lo, exec_lo, s24
	s_and_saveexec_b32 s24, s29
	s_cbranch_execz .LBB30_1770
.LBB30_1725:
	s_sext_i32_i16 s25, s0
	s_delay_alu instid0(SALU_CYCLE_1)
	s_cmp_lt_i32 s25, 5
	s_cbranch_scc1 .LBB30_1730
; %bb.1726:
	s_cmp_lt_i32 s25, 8
	s_cbranch_scc1 .LBB30_1731
; %bb.1727:
	;; [unrolled: 3-line block ×3, first 2 shown]
	s_cmp_gt_i32 s25, 9
	s_cbranch_scc0 .LBB30_1733
; %bb.1729:
	s_wait_loadcnt 0x0
	global_load_b64 v[2:3], v[4:5], off
	s_mov_b32 s25, 0
	s_wait_loadcnt 0x0
	v_trunc_f64_e32 v[2:3], v[2:3]
	s_delay_alu instid0(VALU_DEP_1) | instskip(NEXT) | instid1(VALU_DEP_1)
	v_ldexp_f64 v[6:7], v[2:3], 0xffffffe0
	v_floor_f64_e32 v[6:7], v[6:7]
	s_delay_alu instid0(VALU_DEP_1) | instskip(NEXT) | instid1(VALU_DEP_1)
	v_fmamk_f64 v[2:3], v[6:7], 0xc1f00000, v[2:3]
	v_cvt_u32_f64_e32 v2, v[2:3]
	s_branch .LBB30_1734
.LBB30_1730:
                                        ; implicit-def: $vgpr2
	s_branch .LBB30_1751
.LBB30_1731:
                                        ; implicit-def: $vgpr2
	s_branch .LBB30_1740
.LBB30_1732:
	s_mov_b32 s25, -1
                                        ; implicit-def: $vgpr2
	s_branch .LBB30_1737
.LBB30_1733:
	s_mov_b32 s25, -1
                                        ; implicit-def: $vgpr2
.LBB30_1734:
	s_delay_alu instid0(SALU_CYCLE_1)
	s_and_not1_b32 vcc_lo, exec_lo, s25
	s_cbranch_vccnz .LBB30_1736
; %bb.1735:
	s_wait_loadcnt 0x0
	global_load_b32 v1, v[4:5], off
	s_wait_loadcnt 0x0
	v_trunc_f32_e32 v1, v1
	s_delay_alu instid0(VALU_DEP_1) | instskip(NEXT) | instid1(VALU_DEP_1)
	v_mul_f32_e64 v2, 0x2f800000, |v1|
	v_floor_f32_e32 v2, v2
	s_delay_alu instid0(VALU_DEP_1) | instskip(SKIP_1) | instid1(VALU_DEP_2)
	v_fma_f32 v2, 0xcf800000, v2, |v1|
	v_ashrrev_i32_e32 v1, 31, v1
	v_cvt_u32_f32_e32 v2, v2
	s_delay_alu instid0(VALU_DEP_1) | instskip(NEXT) | instid1(VALU_DEP_1)
	v_xor_b32_e32 v2, v2, v1
	v_sub_nc_u32_e32 v2, v2, v1
.LBB30_1736:
	s_mov_b32 s25, 0
.LBB30_1737:
	s_delay_alu instid0(SALU_CYCLE_1)
	s_and_not1_b32 vcc_lo, exec_lo, s25
	s_cbranch_vccnz .LBB30_1739
; %bb.1738:
	s_wait_loadcnt 0x0
	global_load_b32 v1, v[4:5], off
	s_wait_loadcnt 0x0
	v_cvt_f32_f16_e32 v1, v1
	s_delay_alu instid0(VALU_DEP_1)
	v_cvt_i32_f32_e32 v2, v1
.LBB30_1739:
	s_cbranch_execnz .LBB30_1750
.LBB30_1740:
	s_sext_i32_i16 s25, s0
	s_delay_alu instid0(SALU_CYCLE_1)
	s_cmp_lt_i32 s25, 6
	s_cbranch_scc1 .LBB30_1743
; %bb.1741:
	s_cmp_gt_i32 s25, 6
	s_cbranch_scc0 .LBB30_1744
; %bb.1742:
	s_wait_loadcnt 0x0
	global_load_b64 v[2:3], v[4:5], off
	s_mov_b32 s25, 0
	s_wait_loadcnt 0x0
	v_trunc_f64_e32 v[2:3], v[2:3]
	s_delay_alu instid0(VALU_DEP_1) | instskip(NEXT) | instid1(VALU_DEP_1)
	v_ldexp_f64 v[6:7], v[2:3], 0xffffffe0
	v_floor_f64_e32 v[6:7], v[6:7]
	s_delay_alu instid0(VALU_DEP_1) | instskip(NEXT) | instid1(VALU_DEP_1)
	v_fmamk_f64 v[2:3], v[6:7], 0xc1f00000, v[2:3]
	v_cvt_u32_f64_e32 v2, v[2:3]
	s_branch .LBB30_1745
.LBB30_1743:
	s_mov_b32 s25, -1
                                        ; implicit-def: $vgpr2
	s_branch .LBB30_1748
.LBB30_1744:
	s_mov_b32 s25, -1
                                        ; implicit-def: $vgpr2
.LBB30_1745:
	s_delay_alu instid0(SALU_CYCLE_1)
	s_and_not1_b32 vcc_lo, exec_lo, s25
	s_cbranch_vccnz .LBB30_1747
; %bb.1746:
	s_wait_loadcnt 0x0
	global_load_b32 v1, v[4:5], off
	s_wait_loadcnt 0x0
	v_trunc_f32_e32 v1, v1
	s_delay_alu instid0(VALU_DEP_1) | instskip(NEXT) | instid1(VALU_DEP_1)
	v_mul_f32_e64 v2, 0x2f800000, |v1|
	v_floor_f32_e32 v2, v2
	s_delay_alu instid0(VALU_DEP_1) | instskip(SKIP_1) | instid1(VALU_DEP_2)
	v_fma_f32 v2, 0xcf800000, v2, |v1|
	v_ashrrev_i32_e32 v1, 31, v1
	v_cvt_u32_f32_e32 v2, v2
	s_delay_alu instid0(VALU_DEP_1) | instskip(NEXT) | instid1(VALU_DEP_1)
	v_xor_b32_e32 v2, v2, v1
	v_sub_nc_u32_e32 v2, v2, v1
.LBB30_1747:
	s_mov_b32 s25, 0
.LBB30_1748:
	s_delay_alu instid0(SALU_CYCLE_1)
	s_and_not1_b32 vcc_lo, exec_lo, s25
	s_cbranch_vccnz .LBB30_1750
; %bb.1749:
	s_wait_loadcnt 0x0
	global_load_u16 v1, v[4:5], off
	s_wait_loadcnt 0x0
	v_cvt_f32_f16_e32 v1, v1
	s_delay_alu instid0(VALU_DEP_1)
	v_cvt_i32_f32_e32 v2, v1
.LBB30_1750:
	s_cbranch_execnz .LBB30_1769
.LBB30_1751:
	s_sext_i32_i16 s25, s0
	s_delay_alu instid0(SALU_CYCLE_1)
	s_cmp_lt_i32 s25, 2
	s_cbranch_scc1 .LBB30_1755
; %bb.1752:
	s_cmp_lt_i32 s25, 3
	s_cbranch_scc1 .LBB30_1756
; %bb.1753:
	s_cmp_gt_i32 s25, 3
	s_cbranch_scc0 .LBB30_1757
; %bb.1754:
	s_wait_loadcnt 0x0
	global_load_b64 v[2:3], v[4:5], off
	s_mov_b32 s25, 0
	s_branch .LBB30_1758
.LBB30_1755:
                                        ; implicit-def: $vgpr2
	s_branch .LBB30_1764
.LBB30_1756:
	s_mov_b32 s25, -1
                                        ; implicit-def: $vgpr2
	s_branch .LBB30_1761
.LBB30_1757:
	s_mov_b32 s25, -1
                                        ; implicit-def: $vgpr2
.LBB30_1758:
	s_delay_alu instid0(SALU_CYCLE_1)
	s_and_not1_b32 vcc_lo, exec_lo, s25
	s_cbranch_vccnz .LBB30_1760
; %bb.1759:
	s_wait_loadcnt 0x0
	global_load_b32 v2, v[4:5], off
.LBB30_1760:
	s_mov_b32 s25, 0
.LBB30_1761:
	s_delay_alu instid0(SALU_CYCLE_1)
	s_and_not1_b32 vcc_lo, exec_lo, s25
	s_cbranch_vccnz .LBB30_1763
; %bb.1762:
	s_wait_loadcnt 0x0
	global_load_u16 v2, v[4:5], off
.LBB30_1763:
	s_cbranch_execnz .LBB30_1769
.LBB30_1764:
	s_sext_i32_i16 s0, s0
	s_delay_alu instid0(SALU_CYCLE_1)
	s_cmp_gt_i32 s0, 0
	s_mov_b32 s0, 0
	s_cbranch_scc0 .LBB30_1766
; %bb.1765:
	s_wait_loadcnt 0x0
	global_load_u8 v2, v[4:5], off
	s_branch .LBB30_1767
.LBB30_1766:
	s_mov_b32 s0, -1
                                        ; implicit-def: $vgpr2
.LBB30_1767:
	s_delay_alu instid0(SALU_CYCLE_1)
	s_and_not1_b32 vcc_lo, exec_lo, s0
	s_cbranch_vccnz .LBB30_1769
; %bb.1768:
	s_wait_loadcnt 0x0
	global_load_u8 v2, v[4:5], off
.LBB30_1769:
	s_or_b32 s26, s26, exec_lo
.LBB30_1770:
	s_wait_xcnt 0x0
	s_or_b32 exec_lo, exec_lo, s24
	s_mov_b32 s27, 0
	s_mov_b32 s28, 0
	s_mov_b32 s25, 0
                                        ; implicit-def: $sgpr0
                                        ; implicit-def: $vgpr4_vgpr5
                                        ; implicit-def: $vgpr6
	s_and_saveexec_b32 s24, s26
	s_cbranch_execz .LBB30_1778
; %bb.1771:
	v_mul_lo_u32 v4, v26, s15
	s_and_b32 s0, s17, 0xff
	s_delay_alu instid0(SALU_CYCLE_1) | instskip(NEXT) | instid1(VALU_DEP_1)
	s_cmp_lt_i32 s0, 11
	v_ashrrev_i32_e32 v5, 31, v4
	s_delay_alu instid0(VALU_DEP_1)
	v_add_nc_u64_e32 v[4:5], s[10:11], v[4:5]
	s_cbranch_scc1 .LBB30_1781
; %bb.1772:
	s_and_b32 s25, 0xffff, s0
	s_delay_alu instid0(SALU_CYCLE_1)
	s_cmp_gt_i32 s25, 25
	s_cbranch_scc0 .LBB30_1782
; %bb.1773:
	s_cmp_gt_i32 s25, 28
	s_cbranch_scc0 .LBB30_1783
; %bb.1774:
	;; [unrolled: 3-line block ×4, first 2 shown]
	s_cmp_eq_u32 s25, 46
	s_mov_b32 s29, 0
	s_cbranch_scc0 .LBB30_1786
; %bb.1777:
	s_wait_loadcnt 0x0
	global_load_b32 v1, v[4:5], off
	s_mov_b32 s26, 0
	s_mov_b32 s28, -1
	s_wait_loadcnt 0x0
	v_lshlrev_b32_e32 v1, 16, v1
	s_delay_alu instid0(VALU_DEP_1) | instskip(NEXT) | instid1(VALU_DEP_1)
	v_trunc_f32_e32 v1, v1
	v_mul_f32_e64 v3, 0x2f800000, |v1|
	s_delay_alu instid0(VALU_DEP_1) | instskip(NEXT) | instid1(VALU_DEP_1)
	v_floor_f32_e32 v3, v3
	v_fma_f32 v3, 0xcf800000, v3, |v1|
	v_ashrrev_i32_e32 v1, 31, v1
	s_delay_alu instid0(VALU_DEP_2) | instskip(NEXT) | instid1(VALU_DEP_1)
	v_cvt_u32_f32_e32 v3, v3
	v_xor_b32_e32 v3, v3, v1
	s_delay_alu instid0(VALU_DEP_1)
	v_sub_nc_u32_e32 v6, v3, v1
	s_branch .LBB30_1788
.LBB30_1778:
	s_or_b32 exec_lo, exec_lo, s24
	s_and_saveexec_b32 s24, s23
	s_cbranch_execnz .LBB30_1847
.LBB30_1779:
	s_or_b32 exec_lo, exec_lo, s24
	s_and_saveexec_b32 s23, s27
	s_delay_alu instid0(SALU_CYCLE_1)
	s_xor_b32 s23, exec_lo, s23
	s_cbranch_execz .LBB30_1848
.LBB30_1780:
	s_wait_loadcnt 0x0
	global_load_u8 v1, v[4:5], off
	s_or_b32 s25, s25, exec_lo
	s_wait_loadcnt 0x0
	v_cmp_ne_u16_e32 vcc_lo, 0, v1
	v_cndmask_b32_e64 v6, 0, 1, vcc_lo
	s_wait_xcnt 0x0
	s_or_b32 exec_lo, exec_lo, s23
	s_and_saveexec_b32 s23, s28
	s_cbranch_execz .LBB30_1894
	s_branch .LBB30_1849
.LBB30_1781:
	s_mov_b32 s29, -1
	s_mov_b32 s26, s23
                                        ; implicit-def: $vgpr6
	s_branch .LBB30_1846
.LBB30_1782:
	s_mov_b32 s26, s23
                                        ; implicit-def: $vgpr6
	s_cbranch_execnz .LBB30_1815
	s_branch .LBB30_1845
.LBB30_1783:
	s_mov_b32 s29, -1
	s_mov_b32 s26, s23
                                        ; implicit-def: $vgpr6
	s_branch .LBB30_1798
.LBB30_1784:
	s_mov_b32 s29, -1
	s_mov_b32 s26, s23
                                        ; implicit-def: $vgpr6
	s_branch .LBB30_1793
.LBB30_1785:
	s_mov_b32 s29, -1
	s_mov_b32 s26, s23
	s_branch .LBB30_1787
.LBB30_1786:
	s_mov_b32 s26, -1
.LBB30_1787:
                                        ; implicit-def: $vgpr6
.LBB30_1788:
	s_and_b32 vcc_lo, exec_lo, s29
	s_cbranch_vccz .LBB30_1792
; %bb.1789:
	s_cmp_eq_u32 s25, 44
	s_cbranch_scc0 .LBB30_1791
; %bb.1790:
	s_wait_loadcnt 0x0
	global_load_u8 v1, v[4:5], off
	s_mov_b32 s26, 0
	s_mov_b32 s28, -1
	s_wait_loadcnt 0x0
	v_lshlrev_b32_e32 v3, 23, v1
	v_cmp_ne_u32_e32 vcc_lo, 0, v1
	s_delay_alu instid0(VALU_DEP_2) | instskip(NEXT) | instid1(VALU_DEP_1)
	v_trunc_f32_e32 v3, v3
	v_mul_f32_e64 v6, 0x2f800000, |v3|
	s_delay_alu instid0(VALU_DEP_1) | instskip(NEXT) | instid1(VALU_DEP_1)
	v_floor_f32_e32 v6, v6
	v_fma_f32 v6, 0xcf800000, v6, |v3|
	v_ashrrev_i32_e32 v3, 31, v3
	s_delay_alu instid0(VALU_DEP_2) | instskip(NEXT) | instid1(VALU_DEP_1)
	v_cvt_u32_f32_e32 v6, v6
	v_xor_b32_e32 v6, v6, v3
	s_delay_alu instid0(VALU_DEP_1) | instskip(NEXT) | instid1(VALU_DEP_1)
	v_sub_nc_u32_e32 v3, v6, v3
	v_cndmask_b32_e32 v6, 0, v3, vcc_lo
	s_branch .LBB30_1792
.LBB30_1791:
	s_mov_b32 s26, -1
                                        ; implicit-def: $vgpr6
.LBB30_1792:
	s_mov_b32 s29, 0
.LBB30_1793:
	s_delay_alu instid0(SALU_CYCLE_1)
	s_and_b32 vcc_lo, exec_lo, s29
	s_cbranch_vccz .LBB30_1797
; %bb.1794:
	s_cmp_eq_u32 s25, 29
	s_cbranch_scc0 .LBB30_1796
; %bb.1795:
	s_wait_loadcnt 0x0
	global_load_b64 v[6:7], v[4:5], off
	s_mov_b32 s26, 0
	s_mov_b32 s28, -1
	s_branch .LBB30_1797
.LBB30_1796:
	s_mov_b32 s26, -1
                                        ; implicit-def: $vgpr6
.LBB30_1797:
	s_mov_b32 s29, 0
.LBB30_1798:
	s_delay_alu instid0(SALU_CYCLE_1)
	s_and_b32 vcc_lo, exec_lo, s29
	s_cbranch_vccz .LBB30_1814
; %bb.1799:
	s_cmp_lt_i32 s25, 27
	s_cbranch_scc1 .LBB30_1802
; %bb.1800:
	s_cmp_gt_i32 s25, 27
	s_cbranch_scc0 .LBB30_1803
; %bb.1801:
	s_wait_loadcnt 0x0
	global_load_b32 v6, v[4:5], off
	s_mov_b32 s28, 0
	s_branch .LBB30_1804
.LBB30_1802:
	s_mov_b32 s28, -1
                                        ; implicit-def: $vgpr6
	s_branch .LBB30_1807
.LBB30_1803:
	s_mov_b32 s28, -1
                                        ; implicit-def: $vgpr6
.LBB30_1804:
	s_delay_alu instid0(SALU_CYCLE_1)
	s_and_not1_b32 vcc_lo, exec_lo, s28
	s_cbranch_vccnz .LBB30_1806
; %bb.1805:
	s_wait_loadcnt 0x0
	global_load_u16 v6, v[4:5], off
.LBB30_1806:
	s_mov_b32 s28, 0
.LBB30_1807:
	s_delay_alu instid0(SALU_CYCLE_1)
	s_and_not1_b32 vcc_lo, exec_lo, s28
	s_cbranch_vccnz .LBB30_1813
; %bb.1808:
	s_wait_loadcnt 0x0
	global_load_u8 v1, v[4:5], off
	s_mov_b32 s29, 0
	s_mov_b32 s28, exec_lo
	s_wait_loadcnt 0x0
	v_cmpx_lt_i16_e32 0x7f, v1
	s_xor_b32 s28, exec_lo, s28
	s_cbranch_execz .LBB30_1824
; %bb.1809:
	v_cmp_ne_u16_e32 vcc_lo, 0x80, v1
	s_and_b32 s29, vcc_lo, exec_lo
	s_and_not1_saveexec_b32 s28, s28
	s_cbranch_execnz .LBB30_1825
.LBB30_1810:
	s_or_b32 exec_lo, exec_lo, s28
	v_mov_b32_e32 v6, 0
	s_and_saveexec_b32 s28, s29
	s_cbranch_execz .LBB30_1812
.LBB30_1811:
	v_and_b32_e32 v3, 0xffff, v1
	s_delay_alu instid0(VALU_DEP_1) | instskip(SKIP_1) | instid1(VALU_DEP_2)
	v_dual_lshlrev_b32 v1, 24, v1 :: v_dual_bitop2_b32 v6, 7, v3 bitop3:0x40
	v_bfe_u32 v9, v3, 3, 4
	v_and_b32_e32 v1, 0x80000000, v1
	s_delay_alu instid0(VALU_DEP_3) | instskip(NEXT) | instid1(VALU_DEP_3)
	v_clz_i32_u32_e32 v7, v6
	v_cmp_eq_u32_e32 vcc_lo, 0, v9
	s_delay_alu instid0(VALU_DEP_2) | instskip(NEXT) | instid1(VALU_DEP_1)
	v_min_u32_e32 v7, 32, v7
	v_subrev_nc_u32_e32 v8, 28, v7
	v_sub_nc_u32_e32 v7, 29, v7
	s_delay_alu instid0(VALU_DEP_2) | instskip(NEXT) | instid1(VALU_DEP_2)
	v_lshlrev_b32_e32 v3, v8, v3
	v_cndmask_b32_e32 v7, v9, v7, vcc_lo
	s_delay_alu instid0(VALU_DEP_2) | instskip(NEXT) | instid1(VALU_DEP_1)
	v_and_b32_e32 v3, 7, v3
	v_cndmask_b32_e32 v3, v6, v3, vcc_lo
	s_delay_alu instid0(VALU_DEP_3) | instskip(NEXT) | instid1(VALU_DEP_2)
	v_lshl_add_u32 v6, v7, 23, 0x3b800000
	v_lshlrev_b32_e32 v3, 20, v3
	s_delay_alu instid0(VALU_DEP_1) | instskip(NEXT) | instid1(VALU_DEP_1)
	v_or3_b32 v1, v1, v6, v3
	v_trunc_f32_e32 v1, v1
	s_delay_alu instid0(VALU_DEP_1) | instskip(NEXT) | instid1(VALU_DEP_1)
	v_mul_f32_e64 v3, 0x2f800000, |v1|
	v_floor_f32_e32 v3, v3
	s_delay_alu instid0(VALU_DEP_1) | instskip(SKIP_1) | instid1(VALU_DEP_2)
	v_fma_f32 v3, 0xcf800000, v3, |v1|
	v_ashrrev_i32_e32 v1, 31, v1
	v_cvt_u32_f32_e32 v3, v3
	s_delay_alu instid0(VALU_DEP_1) | instskip(NEXT) | instid1(VALU_DEP_1)
	v_xor_b32_e32 v3, v3, v1
	v_sub_nc_u32_e32 v6, v3, v1
.LBB30_1812:
	s_or_b32 exec_lo, exec_lo, s28
.LBB30_1813:
	s_mov_b32 s28, -1
.LBB30_1814:
	s_branch .LBB30_1845
.LBB30_1815:
	s_cmp_gt_i32 s25, 22
	s_cbranch_scc0 .LBB30_1823
; %bb.1816:
	s_cmp_lt_i32 s25, 24
	s_cbranch_scc1 .LBB30_1826
; %bb.1817:
	s_cmp_gt_i32 s25, 24
	s_cbranch_scc0 .LBB30_1827
; %bb.1818:
	s_wait_loadcnt 0x0
	global_load_u8 v1, v[4:5], off
	s_mov_b32 s28, 0
	s_mov_b32 s27, exec_lo
	s_wait_loadcnt 0x0
	v_cmpx_lt_i16_e32 0x7f, v1
	s_xor_b32 s27, exec_lo, s27
	s_cbranch_execz .LBB30_1839
; %bb.1819:
	v_cmp_ne_u16_e32 vcc_lo, 0x80, v1
	s_and_b32 s28, vcc_lo, exec_lo
	s_and_not1_saveexec_b32 s27, s27
	s_cbranch_execnz .LBB30_1840
.LBB30_1820:
	s_or_b32 exec_lo, exec_lo, s27
	v_mov_b32_e32 v6, 0
	s_and_saveexec_b32 s27, s28
	s_cbranch_execz .LBB30_1822
.LBB30_1821:
	v_and_b32_e32 v3, 0xffff, v1
	s_delay_alu instid0(VALU_DEP_1) | instskip(SKIP_1) | instid1(VALU_DEP_2)
	v_dual_lshlrev_b32 v1, 24, v1 :: v_dual_bitop2_b32 v6, 3, v3 bitop3:0x40
	v_bfe_u32 v9, v3, 2, 5
	v_and_b32_e32 v1, 0x80000000, v1
	s_delay_alu instid0(VALU_DEP_3) | instskip(NEXT) | instid1(VALU_DEP_3)
	v_clz_i32_u32_e32 v7, v6
	v_cmp_eq_u32_e32 vcc_lo, 0, v9
	s_delay_alu instid0(VALU_DEP_2) | instskip(NEXT) | instid1(VALU_DEP_1)
	v_min_u32_e32 v7, 32, v7
	v_subrev_nc_u32_e32 v8, 29, v7
	v_sub_nc_u32_e32 v7, 30, v7
	s_delay_alu instid0(VALU_DEP_2) | instskip(NEXT) | instid1(VALU_DEP_2)
	v_lshlrev_b32_e32 v3, v8, v3
	v_cndmask_b32_e32 v7, v9, v7, vcc_lo
	s_delay_alu instid0(VALU_DEP_2) | instskip(NEXT) | instid1(VALU_DEP_1)
	v_and_b32_e32 v3, 3, v3
	v_cndmask_b32_e32 v3, v6, v3, vcc_lo
	s_delay_alu instid0(VALU_DEP_3) | instskip(NEXT) | instid1(VALU_DEP_2)
	v_lshl_add_u32 v6, v7, 23, 0x37800000
	v_lshlrev_b32_e32 v3, 21, v3
	s_delay_alu instid0(VALU_DEP_1) | instskip(NEXT) | instid1(VALU_DEP_1)
	v_or3_b32 v1, v1, v6, v3
	v_trunc_f32_e32 v1, v1
	s_delay_alu instid0(VALU_DEP_1) | instskip(NEXT) | instid1(VALU_DEP_1)
	v_mul_f32_e64 v3, 0x2f800000, |v1|
	v_floor_f32_e32 v3, v3
	s_delay_alu instid0(VALU_DEP_1) | instskip(SKIP_1) | instid1(VALU_DEP_2)
	v_fma_f32 v3, 0xcf800000, v3, |v1|
	v_ashrrev_i32_e32 v1, 31, v1
	v_cvt_u32_f32_e32 v3, v3
	s_delay_alu instid0(VALU_DEP_1) | instskip(NEXT) | instid1(VALU_DEP_1)
	v_xor_b32_e32 v3, v3, v1
	v_sub_nc_u32_e32 v6, v3, v1
.LBB30_1822:
	s_or_b32 exec_lo, exec_lo, s27
	s_mov_b32 s27, 0
	s_branch .LBB30_1828
.LBB30_1823:
	s_mov_b32 s27, -1
                                        ; implicit-def: $vgpr6
	s_branch .LBB30_1834
.LBB30_1824:
	s_and_not1_saveexec_b32 s28, s28
	s_cbranch_execz .LBB30_1810
.LBB30_1825:
	v_cmp_ne_u16_e32 vcc_lo, 0, v1
	s_and_not1_b32 s29, s29, exec_lo
	s_and_b32 s30, vcc_lo, exec_lo
	s_delay_alu instid0(SALU_CYCLE_1)
	s_or_b32 s29, s29, s30
	s_or_b32 exec_lo, exec_lo, s28
	v_mov_b32_e32 v6, 0
	s_and_saveexec_b32 s28, s29
	s_cbranch_execnz .LBB30_1811
	s_branch .LBB30_1812
.LBB30_1826:
	s_mov_b32 s27, -1
                                        ; implicit-def: $vgpr6
	s_branch .LBB30_1831
.LBB30_1827:
	s_mov_b32 s27, -1
                                        ; implicit-def: $vgpr6
.LBB30_1828:
	s_delay_alu instid0(SALU_CYCLE_1)
	s_and_b32 vcc_lo, exec_lo, s27
	s_cbranch_vccz .LBB30_1830
; %bb.1829:
	s_wait_loadcnt 0x0
	global_load_u8 v1, v[4:5], off
	s_wait_loadcnt 0x0
	v_lshlrev_b32_e32 v1, 24, v1
	s_delay_alu instid0(VALU_DEP_1) | instskip(NEXT) | instid1(VALU_DEP_1)
	v_and_b32_e32 v3, 0x7f000000, v1
	v_clz_i32_u32_e32 v6, v3
	v_cmp_ne_u32_e32 vcc_lo, 0, v3
	v_add_nc_u32_e32 v8, 0x1000000, v3
	s_delay_alu instid0(VALU_DEP_3) | instskip(NEXT) | instid1(VALU_DEP_1)
	v_min_u32_e32 v6, 32, v6
	v_sub_nc_u32_e64 v6, v6, 4 clamp
	s_delay_alu instid0(VALU_DEP_1) | instskip(NEXT) | instid1(VALU_DEP_1)
	v_dual_lshlrev_b32 v7, v6, v3 :: v_dual_lshlrev_b32 v6, 23, v6
	v_lshrrev_b32_e32 v7, 4, v7
	s_delay_alu instid0(VALU_DEP_1) | instskip(NEXT) | instid1(VALU_DEP_1)
	v_dual_sub_nc_u32 v6, v7, v6 :: v_dual_ashrrev_i32 v7, 8, v8
	v_add_nc_u32_e32 v6, 0x3c000000, v6
	s_delay_alu instid0(VALU_DEP_1) | instskip(NEXT) | instid1(VALU_DEP_1)
	v_and_or_b32 v6, 0x7f800000, v7, v6
	v_cndmask_b32_e32 v3, 0, v6, vcc_lo
	s_delay_alu instid0(VALU_DEP_1) | instskip(NEXT) | instid1(VALU_DEP_1)
	v_and_or_b32 v1, 0x80000000, v1, v3
	v_trunc_f32_e32 v1, v1
	s_delay_alu instid0(VALU_DEP_1) | instskip(NEXT) | instid1(VALU_DEP_1)
	v_mul_f32_e64 v3, 0x2f800000, |v1|
	v_floor_f32_e32 v3, v3
	s_delay_alu instid0(VALU_DEP_1) | instskip(SKIP_1) | instid1(VALU_DEP_2)
	v_fma_f32 v3, 0xcf800000, v3, |v1|
	v_ashrrev_i32_e32 v1, 31, v1
	v_cvt_u32_f32_e32 v3, v3
	s_delay_alu instid0(VALU_DEP_1) | instskip(NEXT) | instid1(VALU_DEP_1)
	v_xor_b32_e32 v3, v3, v1
	v_sub_nc_u32_e32 v6, v3, v1
.LBB30_1830:
	s_mov_b32 s27, 0
.LBB30_1831:
	s_delay_alu instid0(SALU_CYCLE_1)
	s_and_not1_b32 vcc_lo, exec_lo, s27
	s_cbranch_vccnz .LBB30_1833
; %bb.1832:
	s_wait_loadcnt 0x0
	global_load_u8 v1, v[4:5], off
	s_wait_loadcnt 0x0
	v_lshlrev_b32_e32 v3, 25, v1
	v_lshlrev_b16 v1, 8, v1
	s_delay_alu instid0(VALU_DEP_1) | instskip(SKIP_1) | instid1(VALU_DEP_2)
	v_and_or_b32 v7, 0x7f00, v1, 0.5
	v_bfe_i32 v1, v1, 0, 16
	v_add_f32_e32 v7, -0.5, v7
	v_lshrrev_b32_e32 v6, 4, v3
	v_cmp_gt_u32_e32 vcc_lo, 0x8000000, v3
	s_delay_alu instid0(VALU_DEP_2) | instskip(NEXT) | instid1(VALU_DEP_1)
	v_or_b32_e32 v6, 0x70000000, v6
	v_mul_f32_e32 v6, 0x7800000, v6
	s_delay_alu instid0(VALU_DEP_1) | instskip(NEXT) | instid1(VALU_DEP_1)
	v_cndmask_b32_e32 v3, v6, v7, vcc_lo
	v_and_or_b32 v1, 0x80000000, v1, v3
	s_delay_alu instid0(VALU_DEP_1) | instskip(NEXT) | instid1(VALU_DEP_1)
	v_trunc_f32_e32 v1, v1
	v_mul_f32_e64 v3, 0x2f800000, |v1|
	s_delay_alu instid0(VALU_DEP_1) | instskip(NEXT) | instid1(VALU_DEP_1)
	v_floor_f32_e32 v3, v3
	v_fma_f32 v3, 0xcf800000, v3, |v1|
	v_ashrrev_i32_e32 v1, 31, v1
	s_delay_alu instid0(VALU_DEP_2) | instskip(NEXT) | instid1(VALU_DEP_1)
	v_cvt_u32_f32_e32 v3, v3
	v_xor_b32_e32 v3, v3, v1
	s_delay_alu instid0(VALU_DEP_1)
	v_sub_nc_u32_e32 v6, v3, v1
.LBB30_1833:
	s_mov_b32 s27, 0
	s_mov_b32 s28, -1
.LBB30_1834:
	s_and_not1_b32 vcc_lo, exec_lo, s27
	s_mov_b32 s27, 0
	s_cbranch_vccnz .LBB30_1845
; %bb.1835:
	s_cmp_gt_i32 s25, 14
	s_cbranch_scc0 .LBB30_1838
; %bb.1836:
	s_cmp_eq_u32 s25, 15
	s_cbranch_scc0 .LBB30_1841
; %bb.1837:
	s_wait_loadcnt 0x0
	global_load_u16 v1, v[4:5], off
	s_mov_b32 s26, 0
	s_mov_b32 s28, -1
	s_wait_loadcnt 0x0
	v_lshlrev_b32_e32 v1, 16, v1
	s_delay_alu instid0(VALU_DEP_1) | instskip(NEXT) | instid1(VALU_DEP_1)
	v_trunc_f32_e32 v1, v1
	v_mul_f32_e64 v3, 0x2f800000, |v1|
	s_delay_alu instid0(VALU_DEP_1) | instskip(NEXT) | instid1(VALU_DEP_1)
	v_floor_f32_e32 v3, v3
	v_fma_f32 v3, 0xcf800000, v3, |v1|
	v_ashrrev_i32_e32 v1, 31, v1
	s_delay_alu instid0(VALU_DEP_2) | instskip(NEXT) | instid1(VALU_DEP_1)
	v_cvt_u32_f32_e32 v3, v3
	v_xor_b32_e32 v3, v3, v1
	s_delay_alu instid0(VALU_DEP_1)
	v_sub_nc_u32_e32 v6, v3, v1
	s_branch .LBB30_1843
.LBB30_1838:
	s_mov_b32 s27, -1
	s_branch .LBB30_1842
.LBB30_1839:
	s_and_not1_saveexec_b32 s27, s27
	s_cbranch_execz .LBB30_1820
.LBB30_1840:
	v_cmp_ne_u16_e32 vcc_lo, 0, v1
	s_and_not1_b32 s28, s28, exec_lo
	s_and_b32 s29, vcc_lo, exec_lo
	s_delay_alu instid0(SALU_CYCLE_1)
	s_or_b32 s28, s28, s29
	s_or_b32 exec_lo, exec_lo, s27
	v_mov_b32_e32 v6, 0
	s_and_saveexec_b32 s27, s28
	s_cbranch_execnz .LBB30_1821
	s_branch .LBB30_1822
.LBB30_1841:
	s_mov_b32 s26, -1
.LBB30_1842:
                                        ; implicit-def: $vgpr6
.LBB30_1843:
	s_and_b32 vcc_lo, exec_lo, s27
	s_mov_b32 s27, 0
	s_cbranch_vccz .LBB30_1845
; %bb.1844:
	s_cmp_lg_u32 s25, 11
	s_mov_b32 s27, -1
	s_cselect_b32 s25, -1, 0
	s_and_not1_b32 s26, s26, exec_lo
	s_and_b32 s25, s25, exec_lo
	s_delay_alu instid0(SALU_CYCLE_1)
	s_or_b32 s26, s26, s25
.LBB30_1845:
	s_mov_b32 s29, 0
.LBB30_1846:
	s_and_not1_b32 s23, s23, exec_lo
	s_and_b32 s26, s26, exec_lo
	s_and_b32 s25, s28, exec_lo
	;; [unrolled: 1-line block ×4, first 2 shown]
	s_or_b32 s23, s23, s26
	s_wait_xcnt 0x0
	s_or_b32 exec_lo, exec_lo, s24
	s_and_saveexec_b32 s24, s23
	s_cbranch_execz .LBB30_1779
.LBB30_1847:
	s_or_b32 s22, s22, exec_lo
	s_and_not1_b32 s27, s27, exec_lo
	s_trap 2
	s_or_b32 exec_lo, exec_lo, s24
	s_and_saveexec_b32 s23, s27
	s_delay_alu instid0(SALU_CYCLE_1)
	s_xor_b32 s23, exec_lo, s23
	s_cbranch_execnz .LBB30_1780
.LBB30_1848:
	s_or_b32 exec_lo, exec_lo, s23
	s_and_saveexec_b32 s23, s28
	s_cbranch_execz .LBB30_1894
.LBB30_1849:
	s_sext_i32_i16 s24, s0
	s_delay_alu instid0(SALU_CYCLE_1)
	s_cmp_lt_i32 s24, 5
	s_cbranch_scc1 .LBB30_1854
; %bb.1850:
	s_cmp_lt_i32 s24, 8
	s_cbranch_scc1 .LBB30_1855
; %bb.1851:
	;; [unrolled: 3-line block ×3, first 2 shown]
	s_cmp_gt_i32 s24, 9
	s_cbranch_scc0 .LBB30_1857
; %bb.1853:
	s_wait_loadcnt 0x0
	global_load_b64 v[6:7], v[4:5], off
	s_mov_b32 s24, 0
	s_wait_loadcnt 0x0
	v_trunc_f64_e32 v[6:7], v[6:7]
	s_delay_alu instid0(VALU_DEP_1) | instskip(NEXT) | instid1(VALU_DEP_1)
	v_ldexp_f64 v[8:9], v[6:7], 0xffffffe0
	v_floor_f64_e32 v[8:9], v[8:9]
	s_delay_alu instid0(VALU_DEP_1) | instskip(NEXT) | instid1(VALU_DEP_1)
	v_fmamk_f64 v[6:7], v[8:9], 0xc1f00000, v[6:7]
	v_cvt_u32_f64_e32 v6, v[6:7]
	s_branch .LBB30_1858
.LBB30_1854:
                                        ; implicit-def: $vgpr6
	s_branch .LBB30_1875
.LBB30_1855:
                                        ; implicit-def: $vgpr6
	s_branch .LBB30_1864
.LBB30_1856:
	s_mov_b32 s24, -1
                                        ; implicit-def: $vgpr6
	s_branch .LBB30_1861
.LBB30_1857:
	s_mov_b32 s24, -1
                                        ; implicit-def: $vgpr6
.LBB30_1858:
	s_delay_alu instid0(SALU_CYCLE_1)
	s_and_not1_b32 vcc_lo, exec_lo, s24
	s_cbranch_vccnz .LBB30_1860
; %bb.1859:
	s_wait_loadcnt 0x0
	global_load_b32 v1, v[4:5], off
	s_wait_loadcnt 0x0
	v_trunc_f32_e32 v1, v1
	s_delay_alu instid0(VALU_DEP_1) | instskip(NEXT) | instid1(VALU_DEP_1)
	v_mul_f32_e64 v3, 0x2f800000, |v1|
	v_floor_f32_e32 v3, v3
	s_delay_alu instid0(VALU_DEP_1) | instskip(SKIP_1) | instid1(VALU_DEP_2)
	v_fma_f32 v3, 0xcf800000, v3, |v1|
	v_ashrrev_i32_e32 v1, 31, v1
	v_cvt_u32_f32_e32 v3, v3
	s_delay_alu instid0(VALU_DEP_1) | instskip(NEXT) | instid1(VALU_DEP_1)
	v_xor_b32_e32 v3, v3, v1
	v_sub_nc_u32_e32 v6, v3, v1
.LBB30_1860:
	s_mov_b32 s24, 0
.LBB30_1861:
	s_delay_alu instid0(SALU_CYCLE_1)
	s_and_not1_b32 vcc_lo, exec_lo, s24
	s_cbranch_vccnz .LBB30_1863
; %bb.1862:
	s_wait_loadcnt 0x0
	global_load_b32 v1, v[4:5], off
	s_wait_loadcnt 0x0
	v_cvt_f32_f16_e32 v1, v1
	s_delay_alu instid0(VALU_DEP_1)
	v_cvt_i32_f32_e32 v6, v1
.LBB30_1863:
	s_cbranch_execnz .LBB30_1874
.LBB30_1864:
	s_sext_i32_i16 s24, s0
	s_delay_alu instid0(SALU_CYCLE_1)
	s_cmp_lt_i32 s24, 6
	s_cbranch_scc1 .LBB30_1867
; %bb.1865:
	s_cmp_gt_i32 s24, 6
	s_cbranch_scc0 .LBB30_1868
; %bb.1866:
	s_wait_loadcnt 0x0
	global_load_b64 v[6:7], v[4:5], off
	s_mov_b32 s24, 0
	s_wait_loadcnt 0x0
	v_trunc_f64_e32 v[6:7], v[6:7]
	s_delay_alu instid0(VALU_DEP_1) | instskip(NEXT) | instid1(VALU_DEP_1)
	v_ldexp_f64 v[8:9], v[6:7], 0xffffffe0
	v_floor_f64_e32 v[8:9], v[8:9]
	s_delay_alu instid0(VALU_DEP_1) | instskip(NEXT) | instid1(VALU_DEP_1)
	v_fmamk_f64 v[6:7], v[8:9], 0xc1f00000, v[6:7]
	v_cvt_u32_f64_e32 v6, v[6:7]
	s_branch .LBB30_1869
.LBB30_1867:
	s_mov_b32 s24, -1
                                        ; implicit-def: $vgpr6
	s_branch .LBB30_1872
.LBB30_1868:
	s_mov_b32 s24, -1
                                        ; implicit-def: $vgpr6
.LBB30_1869:
	s_delay_alu instid0(SALU_CYCLE_1)
	s_and_not1_b32 vcc_lo, exec_lo, s24
	s_cbranch_vccnz .LBB30_1871
; %bb.1870:
	s_wait_loadcnt 0x0
	global_load_b32 v1, v[4:5], off
	s_wait_loadcnt 0x0
	v_trunc_f32_e32 v1, v1
	s_delay_alu instid0(VALU_DEP_1) | instskip(NEXT) | instid1(VALU_DEP_1)
	v_mul_f32_e64 v3, 0x2f800000, |v1|
	v_floor_f32_e32 v3, v3
	s_delay_alu instid0(VALU_DEP_1) | instskip(SKIP_1) | instid1(VALU_DEP_2)
	v_fma_f32 v3, 0xcf800000, v3, |v1|
	v_ashrrev_i32_e32 v1, 31, v1
	v_cvt_u32_f32_e32 v3, v3
	s_delay_alu instid0(VALU_DEP_1) | instskip(NEXT) | instid1(VALU_DEP_1)
	v_xor_b32_e32 v3, v3, v1
	v_sub_nc_u32_e32 v6, v3, v1
.LBB30_1871:
	s_mov_b32 s24, 0
.LBB30_1872:
	s_delay_alu instid0(SALU_CYCLE_1)
	s_and_not1_b32 vcc_lo, exec_lo, s24
	s_cbranch_vccnz .LBB30_1874
; %bb.1873:
	s_wait_loadcnt 0x0
	global_load_u16 v1, v[4:5], off
	s_wait_loadcnt 0x0
	v_cvt_f32_f16_e32 v1, v1
	s_delay_alu instid0(VALU_DEP_1)
	v_cvt_i32_f32_e32 v6, v1
.LBB30_1874:
	s_cbranch_execnz .LBB30_1893
.LBB30_1875:
	s_sext_i32_i16 s24, s0
	s_delay_alu instid0(SALU_CYCLE_1)
	s_cmp_lt_i32 s24, 2
	s_cbranch_scc1 .LBB30_1879
; %bb.1876:
	s_cmp_lt_i32 s24, 3
	s_cbranch_scc1 .LBB30_1880
; %bb.1877:
	s_cmp_gt_i32 s24, 3
	s_cbranch_scc0 .LBB30_1881
; %bb.1878:
	s_wait_loadcnt 0x0
	global_load_b64 v[6:7], v[4:5], off
	s_mov_b32 s24, 0
	s_branch .LBB30_1882
.LBB30_1879:
                                        ; implicit-def: $vgpr6
	s_branch .LBB30_1888
.LBB30_1880:
	s_mov_b32 s24, -1
                                        ; implicit-def: $vgpr6
	s_branch .LBB30_1885
.LBB30_1881:
	s_mov_b32 s24, -1
                                        ; implicit-def: $vgpr6
.LBB30_1882:
	s_delay_alu instid0(SALU_CYCLE_1)
	s_and_not1_b32 vcc_lo, exec_lo, s24
	s_cbranch_vccnz .LBB30_1884
; %bb.1883:
	s_wait_loadcnt 0x0
	global_load_b32 v6, v[4:5], off
.LBB30_1884:
	s_mov_b32 s24, 0
.LBB30_1885:
	s_delay_alu instid0(SALU_CYCLE_1)
	s_and_not1_b32 vcc_lo, exec_lo, s24
	s_cbranch_vccnz .LBB30_1887
; %bb.1886:
	s_wait_loadcnt 0x0
	global_load_u16 v6, v[4:5], off
.LBB30_1887:
	s_cbranch_execnz .LBB30_1893
.LBB30_1888:
	s_sext_i32_i16 s0, s0
	s_delay_alu instid0(SALU_CYCLE_1)
	s_cmp_gt_i32 s0, 0
	s_mov_b32 s0, 0
	s_cbranch_scc0 .LBB30_1890
; %bb.1889:
	s_wait_loadcnt 0x0
	global_load_u8 v6, v[4:5], off
	s_branch .LBB30_1891
.LBB30_1890:
	s_mov_b32 s0, -1
                                        ; implicit-def: $vgpr6
.LBB30_1891:
	s_delay_alu instid0(SALU_CYCLE_1)
	s_and_not1_b32 vcc_lo, exec_lo, s0
	s_cbranch_vccnz .LBB30_1893
; %bb.1892:
	s_wait_loadcnt 0x0
	global_load_u8 v6, v[4:5], off
.LBB30_1893:
	s_or_b32 s25, s25, exec_lo
.LBB30_1894:
	s_wait_xcnt 0x0
	s_or_b32 exec_lo, exec_lo, s23
	s_mov_b32 s0, 0
	s_mov_b32 s26, 0
                                        ; implicit-def: $sgpr23
                                        ; implicit-def: $vgpr4_vgpr5
                                        ; implicit-def: $vgpr1
	s_and_saveexec_b32 s24, s25
	s_cbranch_execz .LBB30_1902
; %bb.1895:
	v_mul_lo_u32 v4, v26, s12
	s_wait_loadcnt 0x0
	v_mul_lo_u16 v0, v0, s2
	v_mul_lo_u16 v1, v2, s1
	s_and_b32 s23, s18, 0xff
	s_delay_alu instid0(SALU_CYCLE_1) | instskip(NEXT) | instid1(VALU_DEP_1)
	s_cmp_lt_i32 s23, 11
	v_mad_u16 v1, v1, v6, v0
	s_delay_alu instid0(VALU_DEP_4) | instskip(NEXT) | instid1(VALU_DEP_1)
	v_ashrrev_i32_e32 v5, 31, v4
	v_add_nc_u64_e32 v[4:5], s[4:5], v[4:5]
	s_cbranch_scc1 .LBB30_1905
; %bb.1896:
	s_and_b32 s25, 0xffff, s23
	s_mov_b32 s26, -1
	s_cmp_gt_i32 s25, 25
	s_mov_b32 s0, s21
	s_cbranch_scc0 .LBB30_1933
; %bb.1897:
	s_cmp_gt_i32 s25, 28
	s_mov_b32 s0, s21
	s_cbranch_scc0 .LBB30_1917
; %bb.1898:
	;; [unrolled: 4-line block ×4, first 2 shown]
	s_cmp_eq_u32 s25, 46
	s_mov_b32 s0, -1
	s_cbranch_scc0 .LBB30_1906
; %bb.1901:
	v_cvt_f32_ubyte0_e32 v0, v1
	s_mov_b32 s0, 0
	s_mov_b32 s26, 0
	s_delay_alu instid0(VALU_DEP_1) | instskip(NEXT) | instid1(VALU_DEP_1)
	v_bfe_u32 v2, v0, 16, 1
	v_add3_u32 v0, v0, v2, 0x7fff
	s_delay_alu instid0(VALU_DEP_1)
	v_lshrrev_b32_e32 v0, 16, v0
	global_store_b32 v[4:5], v0, off
	s_branch .LBB30_1907
.LBB30_1902:
	s_or_b32 exec_lo, exec_lo, s24
	s_and_saveexec_b32 s24, s21
	s_cbranch_execnz .LBB30_1975
.LBB30_1903:
	s_or_b32 exec_lo, exec_lo, s24
	s_and_saveexec_b32 s21, s0
	s_delay_alu instid0(SALU_CYCLE_1)
	s_xor_b32 s0, exec_lo, s21
	s_cbranch_execz .LBB30_1976
.LBB30_1904:
	s_wait_loadcnt 0x0
	v_and_b32_e32 v0, 0xff, v1
	s_delay_alu instid0(VALU_DEP_1)
	v_cmp_ne_u16_e32 vcc_lo, 0, v0
	v_cndmask_b32_e64 v0, 0, 1, vcc_lo
	global_store_b8 v[4:5], v0, off
	s_wait_xcnt 0x0
	s_or_b32 exec_lo, exec_lo, s0
	s_and_saveexec_b32 s0, s26
	s_delay_alu instid0(SALU_CYCLE_1)
	s_xor_b32 s0, exec_lo, s0
	s_cbranch_execz .LBB30_2014
	s_branch .LBB30_1977
.LBB30_1905:
	s_mov_b32 s27, 0
	s_mov_b32 s26, -1
	s_mov_b32 s0, s21
	s_branch .LBB30_1974
.LBB30_1906:
	s_mov_b32 s26, 0
.LBB30_1907:
	s_delay_alu instid0(SALU_CYCLE_1)
	s_and_b32 vcc_lo, exec_lo, s26
	s_cbranch_vccz .LBB30_1912
; %bb.1908:
	s_cmp_eq_u32 s25, 44
	s_mov_b32 s0, -1
	s_cbranch_scc0 .LBB30_1912
; %bb.1909:
	v_cvt_f32_ubyte0_e32 v3, v1
	v_mov_b32_e32 v2, 0xff
	s_mov_b32 s26, exec_lo
	s_wait_xcnt 0x0
	s_delay_alu instid0(VALU_DEP_2) | instskip(NEXT) | instid1(VALU_DEP_1)
	v_lshrrev_b32_e32 v0, 23, v3
	v_cmpx_ne_u32_e32 0xff, v0
; %bb.1910:
	v_and_b32_e32 v2, 0x400000, v3
	v_and_or_b32 v3, 0x3fffff, v3, v0
	s_delay_alu instid0(VALU_DEP_2) | instskip(NEXT) | instid1(VALU_DEP_2)
	v_cmp_ne_u32_e32 vcc_lo, 0, v2
	v_cmp_ne_u32_e64 s0, 0, v3
	s_and_b32 s0, vcc_lo, s0
	s_delay_alu instid0(SALU_CYCLE_1) | instskip(NEXT) | instid1(VALU_DEP_1)
	v_cndmask_b32_e64 v2, 0, 1, s0
	v_add_nc_u32_e32 v2, v0, v2
; %bb.1911:
	s_or_b32 exec_lo, exec_lo, s26
	s_mov_b32 s0, 0
	global_store_b8 v[4:5], v2, off
.LBB30_1912:
	s_mov_b32 s26, 0
.LBB30_1913:
	s_delay_alu instid0(SALU_CYCLE_1)
	s_and_b32 vcc_lo, exec_lo, s26
	s_cbranch_vccz .LBB30_1916
; %bb.1914:
	s_cmp_eq_u32 s25, 29
	s_mov_b32 s0, -1
	s_cbranch_scc0 .LBB30_1916
; %bb.1915:
	s_wait_xcnt 0x0
	v_and_b32_e32 v2, 0xff, v1
	v_mov_b32_e32 v3, 0
	s_mov_b32 s0, 0
	s_mov_b32 s26, 0
	global_store_b64 v[4:5], v[2:3], off
	s_branch .LBB30_1917
.LBB30_1916:
	s_mov_b32 s26, 0
.LBB30_1917:
	s_delay_alu instid0(SALU_CYCLE_1)
	s_and_b32 vcc_lo, exec_lo, s26
	s_cbranch_vccz .LBB30_1932
; %bb.1918:
	s_cmp_lt_i32 s25, 27
	s_mov_b32 s26, -1
	s_cbranch_scc1 .LBB30_1924
; %bb.1919:
	s_wait_xcnt 0x0
	v_and_b32_e32 v0, 0xff, v1
	s_cmp_gt_i32 s25, 27
	s_cbranch_scc0 .LBB30_1921
; %bb.1920:
	s_mov_b32 s26, 0
	global_store_b32 v[4:5], v0, off
.LBB30_1921:
	s_and_not1_b32 vcc_lo, exec_lo, s26
	s_cbranch_vccnz .LBB30_1923
; %bb.1922:
	global_store_b16 v[4:5], v0, off
.LBB30_1923:
	s_mov_b32 s26, 0
.LBB30_1924:
	s_delay_alu instid0(SALU_CYCLE_1)
	s_and_not1_b32 vcc_lo, exec_lo, s26
	s_cbranch_vccnz .LBB30_1932
; %bb.1925:
	s_wait_xcnt 0x0
	v_cvt_f32_ubyte0_e32 v2, v1
	v_mov_b32_e32 v3, 0x80
	s_mov_b32 s26, exec_lo
	s_delay_alu instid0(VALU_DEP_2)
	v_cmpx_gt_u32_e32 0x43800000, v2
	s_cbranch_execz .LBB30_1931
; %bb.1926:
	s_mov_b32 s27, 0
	s_mov_b32 s28, exec_lo
                                        ; implicit-def: $vgpr0
	v_cmpx_lt_u32_e32 0x3bffffff, v2
	s_xor_b32 s28, exec_lo, s28
	s_cbranch_execz .LBB30_2029
; %bb.1927:
	v_bfe_u32 v0, v2, 20, 1
	s_mov_b32 s27, exec_lo
	s_delay_alu instid0(VALU_DEP_1) | instskip(NEXT) | instid1(VALU_DEP_1)
	v_add3_u32 v0, v2, v0, 0x487ffff
                                        ; implicit-def: $vgpr2
	v_lshrrev_b32_e32 v0, 20, v0
	s_and_not1_saveexec_b32 s28, s28
	s_cbranch_execnz .LBB30_2030
.LBB30_1928:
	s_or_b32 exec_lo, exec_lo, s28
	v_mov_b32_e32 v3, 0
	s_and_saveexec_b32 s28, s27
.LBB30_1929:
	v_mov_b32_e32 v3, v0
.LBB30_1930:
	s_or_b32 exec_lo, exec_lo, s28
.LBB30_1931:
	s_delay_alu instid0(SALU_CYCLE_1)
	s_or_b32 exec_lo, exec_lo, s26
	global_store_b8 v[4:5], v3, off
.LBB30_1932:
	s_mov_b32 s26, 0
.LBB30_1933:
	s_delay_alu instid0(SALU_CYCLE_1)
	s_and_b32 vcc_lo, exec_lo, s26
	s_mov_b32 s26, 0
	s_cbranch_vccz .LBB30_1973
; %bb.1934:
	s_cmp_gt_i32 s25, 22
	s_mov_b32 s27, -1
	s_cbranch_scc0 .LBB30_1966
; %bb.1935:
	s_cmp_lt_i32 s25, 24
	s_cbranch_scc1 .LBB30_1955
; %bb.1936:
	s_cmp_gt_i32 s25, 24
	s_cbranch_scc0 .LBB30_1944
; %bb.1937:
	s_wait_xcnt 0x0
	v_cvt_f32_ubyte0_e32 v2, v1
	v_mov_b32_e32 v3, 0x80
	s_mov_b32 s27, exec_lo
	s_delay_alu instid0(VALU_DEP_2)
	v_cmpx_gt_u32_e32 0x47800000, v2
	s_cbranch_execz .LBB30_1943
; %bb.1938:
	s_mov_b32 s28, 0
	s_mov_b32 s29, exec_lo
                                        ; implicit-def: $vgpr0
	v_cmpx_lt_u32_e32 0x37ffffff, v2
	s_xor_b32 s29, exec_lo, s29
	s_cbranch_execz .LBB30_2150
; %bb.1939:
	v_bfe_u32 v0, v2, 21, 1
	s_mov_b32 s28, exec_lo
	s_delay_alu instid0(VALU_DEP_1) | instskip(NEXT) | instid1(VALU_DEP_1)
	v_add3_u32 v0, v2, v0, 0x88fffff
                                        ; implicit-def: $vgpr2
	v_lshrrev_b32_e32 v0, 21, v0
	s_and_not1_saveexec_b32 s29, s29
	s_cbranch_execnz .LBB30_2151
.LBB30_1940:
	s_or_b32 exec_lo, exec_lo, s29
	v_mov_b32_e32 v3, 0
	s_and_saveexec_b32 s29, s28
.LBB30_1941:
	v_mov_b32_e32 v3, v0
.LBB30_1942:
	s_or_b32 exec_lo, exec_lo, s29
.LBB30_1943:
	s_delay_alu instid0(SALU_CYCLE_1)
	s_or_b32 exec_lo, exec_lo, s27
	s_mov_b32 s27, 0
	global_store_b8 v[4:5], v3, off
.LBB30_1944:
	s_and_b32 vcc_lo, exec_lo, s27
	s_cbranch_vccz .LBB30_1954
; %bb.1945:
	s_wait_xcnt 0x0
	v_cvt_f32_ubyte0_e32 v2, v1
	s_mov_b32 s27, exec_lo
                                        ; implicit-def: $vgpr0
	s_delay_alu instid0(VALU_DEP_1)
	v_cmpx_gt_u32_e32 0x43f00000, v2
	s_xor_b32 s27, exec_lo, s27
	s_cbranch_execz .LBB30_1951
; %bb.1946:
	s_mov_b32 s28, exec_lo
                                        ; implicit-def: $vgpr0
	v_cmpx_lt_u32_e32 0x3c7fffff, v2
	s_xor_b32 s28, exec_lo, s28
; %bb.1947:
	v_bfe_u32 v0, v2, 20, 1
	s_delay_alu instid0(VALU_DEP_1) | instskip(NEXT) | instid1(VALU_DEP_1)
	v_add3_u32 v0, v2, v0, 0x407ffff
	v_and_b32_e32 v2, 0xff00000, v0
	v_lshrrev_b32_e32 v0, 20, v0
	s_delay_alu instid0(VALU_DEP_2) | instskip(NEXT) | instid1(VALU_DEP_2)
	v_cmp_ne_u32_e32 vcc_lo, 0x7f00000, v2
                                        ; implicit-def: $vgpr2
	v_cndmask_b32_e32 v0, 0x7e, v0, vcc_lo
; %bb.1948:
	s_and_not1_saveexec_b32 s28, s28
; %bb.1949:
	v_add_f32_e32 v0, 0x46800000, v2
; %bb.1950:
	s_or_b32 exec_lo, exec_lo, s28
                                        ; implicit-def: $vgpr2
.LBB30_1951:
	s_and_not1_saveexec_b32 s27, s27
; %bb.1952:
	v_mov_b32_e32 v0, 0x7f
	v_cmp_lt_u32_e32 vcc_lo, 0x7f800000, v2
	s_delay_alu instid0(VALU_DEP_2)
	v_cndmask_b32_e32 v0, 0x7e, v0, vcc_lo
; %bb.1953:
	s_or_b32 exec_lo, exec_lo, s27
	global_store_b8 v[4:5], v0, off
.LBB30_1954:
	s_mov_b32 s27, 0
.LBB30_1955:
	s_delay_alu instid0(SALU_CYCLE_1)
	s_and_not1_b32 vcc_lo, exec_lo, s27
	s_cbranch_vccnz .LBB30_1965
; %bb.1956:
	s_wait_xcnt 0x0
	v_cvt_f32_ubyte0_e32 v2, v1
	s_mov_b32 s27, exec_lo
                                        ; implicit-def: $vgpr0
	s_delay_alu instid0(VALU_DEP_1)
	v_cmpx_gt_u32_e32 0x47800000, v2
	s_xor_b32 s27, exec_lo, s27
	s_cbranch_execz .LBB30_1962
; %bb.1957:
	s_mov_b32 s28, exec_lo
                                        ; implicit-def: $vgpr0
	v_cmpx_lt_u32_e32 0x387fffff, v2
	s_xor_b32 s28, exec_lo, s28
; %bb.1958:
	v_bfe_u32 v0, v2, 21, 1
	s_delay_alu instid0(VALU_DEP_1) | instskip(NEXT) | instid1(VALU_DEP_1)
	v_add3_u32 v0, v2, v0, 0x80fffff
                                        ; implicit-def: $vgpr2
	v_lshrrev_b32_e32 v0, 21, v0
; %bb.1959:
	s_and_not1_saveexec_b32 s28, s28
; %bb.1960:
	v_add_f32_e32 v0, 0x43000000, v2
; %bb.1961:
	s_or_b32 exec_lo, exec_lo, s28
                                        ; implicit-def: $vgpr2
.LBB30_1962:
	s_and_not1_saveexec_b32 s27, s27
; %bb.1963:
	v_mov_b32_e32 v0, 0x7f
	v_cmp_lt_u32_e32 vcc_lo, 0x7f800000, v2
	s_delay_alu instid0(VALU_DEP_2)
	v_cndmask_b32_e32 v0, 0x7c, v0, vcc_lo
; %bb.1964:
	s_or_b32 exec_lo, exec_lo, s27
	global_store_b8 v[4:5], v0, off
.LBB30_1965:
	s_mov_b32 s27, 0
.LBB30_1966:
	s_delay_alu instid0(SALU_CYCLE_1)
	s_and_not1_b32 vcc_lo, exec_lo, s27
	s_mov_b32 s27, 0
	s_cbranch_vccnz .LBB30_1974
; %bb.1967:
	s_cmp_gt_i32 s25, 14
	s_mov_b32 s27, -1
	s_cbranch_scc0 .LBB30_1971
; %bb.1968:
	s_cmp_eq_u32 s25, 15
	s_mov_b32 s0, -1
	s_cbranch_scc0 .LBB30_1970
; %bb.1969:
	s_wait_xcnt 0x0
	v_cvt_f32_ubyte0_e32 v0, v1
	s_mov_b32 s0, 0
	s_delay_alu instid0(VALU_DEP_1) | instskip(NEXT) | instid1(VALU_DEP_1)
	v_bfe_u32 v2, v0, 16, 1
	v_add3_u32 v0, v0, v2, 0x7fff
	global_store_d16_hi_b16 v[4:5], v0, off
.LBB30_1970:
	s_mov_b32 s27, 0
.LBB30_1971:
	s_delay_alu instid0(SALU_CYCLE_1)
	s_and_b32 vcc_lo, exec_lo, s27
	s_mov_b32 s27, 0
	s_cbranch_vccz .LBB30_1974
; %bb.1972:
	s_cmp_lg_u32 s25, 11
	s_mov_b32 s27, -1
	s_cselect_b32 s25, -1, 0
	s_and_not1_b32 s0, s0, exec_lo
	s_and_b32 s25, s25, exec_lo
	s_delay_alu instid0(SALU_CYCLE_1)
	s_or_b32 s0, s0, s25
	s_branch .LBB30_1974
.LBB30_1973:
	s_mov_b32 s27, 0
.LBB30_1974:
	s_and_not1_b32 s21, s21, exec_lo
	s_and_b32 s25, s0, exec_lo
	s_and_b32 s26, s26, exec_lo
	;; [unrolled: 1-line block ×3, first 2 shown]
	s_or_b32 s21, s21, s25
	s_wait_xcnt 0x0
	s_or_b32 exec_lo, exec_lo, s24
	s_and_saveexec_b32 s24, s21
	s_cbranch_execz .LBB30_1903
.LBB30_1975:
	s_or_b32 s22, s22, exec_lo
	s_and_not1_b32 s0, s0, exec_lo
	s_trap 2
	s_or_b32 exec_lo, exec_lo, s24
	s_and_saveexec_b32 s21, s0
	s_delay_alu instid0(SALU_CYCLE_1)
	s_xor_b32 s0, exec_lo, s21
	s_cbranch_execnz .LBB30_1904
.LBB30_1976:
	s_or_b32 exec_lo, exec_lo, s0
	s_and_saveexec_b32 s0, s26
	s_delay_alu instid0(SALU_CYCLE_1)
	s_xor_b32 s0, exec_lo, s0
	s_cbranch_execz .LBB30_2014
.LBB30_1977:
	s_sext_i32_i16 s24, s23
	s_mov_b32 s21, -1
	s_cmp_lt_i32 s24, 5
	s_cbranch_scc1 .LBB30_1998
; %bb.1978:
	s_cmp_lt_i32 s24, 8
	s_cbranch_scc1 .LBB30_1988
; %bb.1979:
	;; [unrolled: 3-line block ×3, first 2 shown]
	s_cmp_gt_i32 s24, 9
	s_cbranch_scc0 .LBB30_1982
; %bb.1981:
	s_wait_loadcnt 0x0
	v_and_b32_e32 v0, 0xff, v1
	v_mov_b32_e32 v8, 0
	s_mov_b32 s21, 0
	s_delay_alu instid0(VALU_DEP_2) | instskip(NEXT) | instid1(VALU_DEP_2)
	v_and_b32_e32 v0, 0xffff, v0
	v_mov_b32_e32 v9, v8
	s_delay_alu instid0(VALU_DEP_2)
	v_cvt_f64_u32_e32 v[6:7], v0
	global_store_b128 v[4:5], v[6:9], off
.LBB30_1982:
	s_and_not1_b32 vcc_lo, exec_lo, s21
	s_cbranch_vccnz .LBB30_1984
; %bb.1983:
	s_wait_loadcnt 0x0
	v_cvt_f32_ubyte0_e32 v2, v1
	v_mov_b32_e32 v3, 0
	global_store_b64 v[4:5], v[2:3], off
.LBB30_1984:
	s_mov_b32 s21, 0
.LBB30_1985:
	s_delay_alu instid0(SALU_CYCLE_1)
	s_and_not1_b32 vcc_lo, exec_lo, s21
	s_cbranch_vccnz .LBB30_1987
; %bb.1986:
	s_wait_loadcnt 0x0
	v_and_b32_e32 v0, 0xff, v1
	s_delay_alu instid0(VALU_DEP_1) | instskip(NEXT) | instid1(VALU_DEP_1)
	v_cvt_f16_u16_e32 v0, v0
	v_and_b32_e32 v0, 0xffff, v0
	global_store_b32 v[4:5], v0, off
.LBB30_1987:
	s_mov_b32 s21, 0
.LBB30_1988:
	s_delay_alu instid0(SALU_CYCLE_1)
	s_and_not1_b32 vcc_lo, exec_lo, s21
	s_cbranch_vccnz .LBB30_1997
; %bb.1989:
	s_sext_i32_i16 s24, s23
	s_mov_b32 s21, -1
	s_cmp_lt_i32 s24, 6
	s_cbranch_scc1 .LBB30_1995
; %bb.1990:
	s_cmp_gt_i32 s24, 6
	s_cbranch_scc0 .LBB30_1992
; %bb.1991:
	s_wait_loadcnt 0x0
	v_and_b32_e32 v0, 0xff, v1
	s_mov_b32 s21, 0
	s_delay_alu instid0(VALU_DEP_1) | instskip(NEXT) | instid1(VALU_DEP_1)
	v_and_b32_e32 v0, 0xffff, v0
	v_cvt_f64_u32_e32 v[2:3], v0
	global_store_b64 v[4:5], v[2:3], off
.LBB30_1992:
	s_and_not1_b32 vcc_lo, exec_lo, s21
	s_cbranch_vccnz .LBB30_1994
; %bb.1993:
	s_wait_loadcnt 0x0
	v_cvt_f32_ubyte0_e32 v0, v1
	global_store_b32 v[4:5], v0, off
.LBB30_1994:
	s_mov_b32 s21, 0
.LBB30_1995:
	s_delay_alu instid0(SALU_CYCLE_1)
	s_and_not1_b32 vcc_lo, exec_lo, s21
	s_cbranch_vccnz .LBB30_1997
; %bb.1996:
	s_wait_loadcnt 0x0
	v_and_b32_e32 v0, 0xff, v1
	s_delay_alu instid0(VALU_DEP_1)
	v_cvt_f16_u16_e32 v0, v0
	global_store_b16 v[4:5], v0, off
.LBB30_1997:
	s_mov_b32 s21, 0
.LBB30_1998:
	s_delay_alu instid0(SALU_CYCLE_1)
	s_and_not1_b32 vcc_lo, exec_lo, s21
	s_cbranch_vccnz .LBB30_2014
; %bb.1999:
	s_sext_i32_i16 s24, s23
	s_mov_b32 s21, -1
	s_cmp_lt_i32 s24, 2
	s_cbranch_scc1 .LBB30_2009
; %bb.2000:
	s_cmp_lt_i32 s24, 3
	s_cbranch_scc1 .LBB30_2006
; %bb.2001:
	s_cmp_gt_i32 s24, 3
	s_cbranch_scc0 .LBB30_2003
; %bb.2002:
	s_wait_loadcnt 0x0
	v_and_b32_e32 v2, 0xff, v1
	v_mov_b32_e32 v3, 0
	s_mov_b32 s21, 0
	global_store_b64 v[4:5], v[2:3], off
.LBB30_2003:
	s_and_not1_b32 vcc_lo, exec_lo, s21
	s_cbranch_vccnz .LBB30_2005
; %bb.2004:
	s_wait_loadcnt 0x0
	v_and_b32_e32 v0, 0xff, v1
	global_store_b32 v[4:5], v0, off
.LBB30_2005:
	s_mov_b32 s21, 0
.LBB30_2006:
	s_delay_alu instid0(SALU_CYCLE_1)
	s_and_not1_b32 vcc_lo, exec_lo, s21
	s_cbranch_vccnz .LBB30_2008
; %bb.2007:
	s_wait_loadcnt 0x0
	v_and_b32_e32 v0, 0xff, v1
	global_store_b16 v[4:5], v0, off
.LBB30_2008:
	s_mov_b32 s21, 0
.LBB30_2009:
	s_delay_alu instid0(SALU_CYCLE_1)
	s_and_not1_b32 vcc_lo, exec_lo, s21
	s_cbranch_vccnz .LBB30_2014
; %bb.2010:
	s_sext_i32_i16 s21, s23
	s_delay_alu instid0(SALU_CYCLE_1)
	s_cmp_gt_i32 s21, 0
	s_mov_b32 s21, -1
	s_cbranch_scc0 .LBB30_2012
; %bb.2011:
	s_mov_b32 s21, 0
	s_wait_loadcnt 0x0
	global_store_b8 v[4:5], v1, off
.LBB30_2012:
	s_and_not1_b32 vcc_lo, exec_lo, s21
	s_cbranch_vccnz .LBB30_2014
; %bb.2013:
	s_wait_loadcnt 0x0
	global_store_b8 v[4:5], v1, off
.LBB30_2014:
	s_wait_xcnt 0x0
	s_or_b32 exec_lo, exec_lo, s0
	s_delay_alu instid0(SALU_CYCLE_1)
	s_and_b32 s21, s22, exec_lo
                                        ; implicit-def: $vgpr26
.LBB30_2015:
	s_or_saveexec_b32 s20, s20
	s_mov_b32 s0, 0
                                        ; implicit-def: $sgpr22
                                        ; implicit-def: $vgpr0_vgpr1
                                        ; implicit-def: $vgpr4
	s_xor_b32 exec_lo, exec_lo, s20
	s_cbranch_execz .LBB30_3970
; %bb.2016:
	s_wait_loadcnt 0x0
	v_mul_lo_u32 v6, s13, v26
	s_and_b32 s0, s16, 0xff
	s_delay_alu instid0(SALU_CYCLE_1) | instskip(NEXT) | instid1(VALU_DEP_1)
	s_cmp_lt_i32 s0, 11
	v_ashrrev_i32_e32 v7, 31, v6
	s_delay_alu instid0(VALU_DEP_1)
	v_add_nc_u64_e32 v[2:3], s[6:7], v[6:7]
	s_cbranch_scc1 .LBB30_2023
; %bb.2017:
	s_and_b32 s16, 0xffff, s0
	s_mov_b32 s22, 0
	s_cmp_gt_i32 s16, 25
	s_cbranch_scc0 .LBB30_2025
; %bb.2018:
	s_cmp_gt_i32 s16, 28
	s_cbranch_scc0 .LBB30_2026
; %bb.2019:
	;; [unrolled: 3-line block ×4, first 2 shown]
	s_cmp_eq_u32 s16, 46
	s_mov_b32 s24, 0
	s_cbranch_scc0 .LBB30_2031
; %bb.2022:
	global_load_b32 v0, v[2:3], off
	s_mov_b32 s23, -1
	s_wait_loadcnt 0x0
	v_lshlrev_b32_e32 v0, 16, v0
	s_delay_alu instid0(VALU_DEP_1) | instskip(NEXT) | instid1(VALU_DEP_1)
	v_trunc_f32_e32 v0, v0
	v_mul_f32_e64 v1, 0x2f800000, |v0|
	s_delay_alu instid0(VALU_DEP_1) | instskip(NEXT) | instid1(VALU_DEP_1)
	v_floor_f32_e32 v1, v1
	v_fma_f32 v1, 0xcf800000, v1, |v0|
	v_ashrrev_i32_e32 v0, 31, v0
	s_delay_alu instid0(VALU_DEP_2) | instskip(NEXT) | instid1(VALU_DEP_1)
	v_cvt_u32_f32_e32 v1, v1
	v_xor_b32_e32 v1, v1, v0
	s_delay_alu instid0(VALU_DEP_1)
	v_sub_nc_u32_e32 v0, v1, v0
	s_branch .LBB30_2033
.LBB30_2023:
	s_mov_b32 s23, 0
	s_mov_b32 s16, s21
                                        ; implicit-def: $vgpr0
	s_cbranch_execnz .LBB30_2091
.LBB30_2024:
	s_and_not1_b32 vcc_lo, exec_lo, s23
	s_cbranch_vccz .LBB30_2136
	s_branch .LBB30_3968
.LBB30_2025:
	s_mov_b32 s23, 0
                                        ; implicit-def: $vgpr0
	s_cbranch_execnz .LBB30_2058
	s_branch .LBB30_2087
.LBB30_2026:
	s_mov_b32 s23, 0
                                        ; implicit-def: $vgpr0
	s_cbranch_execz .LBB30_2057
	s_branch .LBB30_2042
.LBB30_2027:
	s_mov_b32 s23, 0
                                        ; implicit-def: $vgpr0
	s_cbranch_execnz .LBB30_2038
	s_branch .LBB30_2041
.LBB30_2028:
	s_mov_b32 s24, -1
	s_branch .LBB30_2032
.LBB30_2029:
	s_and_not1_saveexec_b32 s28, s28
	s_cbranch_execz .LBB30_1928
.LBB30_2030:
	v_add_f32_e32 v0, 0x46000000, v2
	s_and_not1_b32 s27, s27, exec_lo
	s_delay_alu instid0(VALU_DEP_1) | instskip(NEXT) | instid1(VALU_DEP_1)
	v_and_b32_e32 v0, 0xff, v0
	v_cmp_ne_u32_e32 vcc_lo, 0, v0
	s_and_b32 s29, vcc_lo, exec_lo
	s_delay_alu instid0(SALU_CYCLE_1)
	s_or_b32 s27, s27, s29
	s_or_b32 exec_lo, exec_lo, s28
	v_mov_b32_e32 v3, 0
	s_and_saveexec_b32 s28, s27
	s_cbranch_execnz .LBB30_1929
	s_branch .LBB30_1930
.LBB30_2031:
	s_mov_b32 s19, -1
.LBB30_2032:
	s_mov_b32 s23, 0
                                        ; implicit-def: $vgpr0
.LBB30_2033:
	s_and_b32 vcc_lo, exec_lo, s24
	s_cbranch_vccz .LBB30_2036
; %bb.2034:
	s_cmp_eq_u32 s16, 44
	s_cbranch_scc0 .LBB30_2037
; %bb.2035:
	global_load_u8 v0, v[2:3], off
	s_mov_b32 s19, 0
	s_mov_b32 s23, -1
	s_wait_loadcnt 0x0
	v_lshlrev_b32_e32 v1, 23, v0
	v_cmp_ne_u32_e32 vcc_lo, 0, v0
	s_delay_alu instid0(VALU_DEP_2) | instskip(NEXT) | instid1(VALU_DEP_1)
	v_trunc_f32_e32 v1, v1
	v_mul_f32_e64 v4, 0x2f800000, |v1|
	s_delay_alu instid0(VALU_DEP_1) | instskip(NEXT) | instid1(VALU_DEP_1)
	v_floor_f32_e32 v4, v4
	v_fma_f32 v4, 0xcf800000, v4, |v1|
	v_ashrrev_i32_e32 v1, 31, v1
	s_delay_alu instid0(VALU_DEP_2) | instskip(NEXT) | instid1(VALU_DEP_1)
	v_cvt_u32_f32_e32 v4, v4
	v_xor_b32_e32 v4, v4, v1
	s_delay_alu instid0(VALU_DEP_1) | instskip(NEXT) | instid1(VALU_DEP_1)
	v_sub_nc_u32_e32 v1, v4, v1
	v_cndmask_b32_e32 v0, 0, v1, vcc_lo
.LBB30_2036:
	s_branch .LBB30_2041
.LBB30_2037:
	s_mov_b32 s19, -1
                                        ; implicit-def: $vgpr0
	s_branch .LBB30_2041
.LBB30_2038:
	s_cmp_eq_u32 s16, 29
	s_cbranch_scc0 .LBB30_2040
; %bb.2039:
	global_load_b64 v[0:1], v[2:3], off
	s_mov_b32 s19, 0
	s_mov_b32 s23, -1
	s_branch .LBB30_2041
.LBB30_2040:
	s_mov_b32 s19, -1
                                        ; implicit-def: $vgpr0
.LBB30_2041:
	s_branch .LBB30_2057
.LBB30_2042:
	s_cmp_lt_i32 s16, 27
	s_cbranch_scc1 .LBB30_2045
; %bb.2043:
	s_cmp_gt_i32 s16, 27
	s_cbranch_scc0 .LBB30_2046
; %bb.2044:
	s_wait_loadcnt 0x0
	global_load_b32 v0, v[2:3], off
	s_mov_b32 s23, 0
	s_branch .LBB30_2047
.LBB30_2045:
	s_mov_b32 s23, -1
                                        ; implicit-def: $vgpr0
	s_branch .LBB30_2050
.LBB30_2046:
	s_mov_b32 s23, -1
                                        ; implicit-def: $vgpr0
.LBB30_2047:
	s_delay_alu instid0(SALU_CYCLE_1)
	s_and_not1_b32 vcc_lo, exec_lo, s23
	s_cbranch_vccnz .LBB30_2049
; %bb.2048:
	s_wait_loadcnt 0x0
	global_load_u16 v0, v[2:3], off
.LBB30_2049:
	s_mov_b32 s23, 0
.LBB30_2050:
	s_delay_alu instid0(SALU_CYCLE_1)
	s_and_not1_b32 vcc_lo, exec_lo, s23
	s_cbranch_vccnz .LBB30_2056
; %bb.2051:
	s_wait_loadcnt 0x0
	global_load_u8 v1, v[2:3], off
	s_mov_b32 s24, 0
	s_mov_b32 s23, exec_lo
	s_wait_loadcnt 0x0
	v_cmpx_lt_i16_e32 0x7f, v1
	s_xor_b32 s23, exec_lo, s23
	s_cbranch_execz .LBB30_2067
; %bb.2052:
	v_cmp_ne_u16_e32 vcc_lo, 0x80, v1
	s_and_b32 s24, vcc_lo, exec_lo
	s_and_not1_saveexec_b32 s23, s23
	s_cbranch_execnz .LBB30_2068
.LBB30_2053:
	s_or_b32 exec_lo, exec_lo, s23
	v_mov_b32_e32 v0, 0
	s_and_saveexec_b32 s23, s24
	s_cbranch_execz .LBB30_2055
.LBB30_2054:
	v_and_b32_e32 v0, 0xffff, v1
	s_delay_alu instid0(VALU_DEP_1) | instskip(SKIP_1) | instid1(VALU_DEP_2)
	v_and_b32_e32 v4, 7, v0
	v_bfe_u32 v8, v0, 3, 4
	v_clz_i32_u32_e32 v5, v4
	s_delay_alu instid0(VALU_DEP_2) | instskip(NEXT) | instid1(VALU_DEP_2)
	v_cmp_eq_u32_e32 vcc_lo, 0, v8
	v_min_u32_e32 v5, 32, v5
	s_delay_alu instid0(VALU_DEP_1) | instskip(NEXT) | instid1(VALU_DEP_1)
	v_subrev_nc_u32_e32 v7, 28, v5
	v_dual_lshlrev_b32 v0, v7, v0 :: v_dual_sub_nc_u32 v5, 29, v5
	s_delay_alu instid0(VALU_DEP_1) | instskip(NEXT) | instid1(VALU_DEP_1)
	v_dual_lshlrev_b32 v1, 24, v1 :: v_dual_bitop2_b32 v0, 7, v0 bitop3:0x40
	v_cndmask_b32_e32 v0, v4, v0, vcc_lo
	s_delay_alu instid0(VALU_DEP_3) | instskip(NEXT) | instid1(VALU_DEP_3)
	v_cndmask_b32_e32 v5, v8, v5, vcc_lo
	v_and_b32_e32 v1, 0x80000000, v1
	s_delay_alu instid0(VALU_DEP_3) | instskip(NEXT) | instid1(VALU_DEP_3)
	v_lshlrev_b32_e32 v0, 20, v0
	v_lshl_add_u32 v4, v5, 23, 0x3b800000
	s_delay_alu instid0(VALU_DEP_1) | instskip(NEXT) | instid1(VALU_DEP_1)
	v_or3_b32 v0, v1, v4, v0
	v_trunc_f32_e32 v0, v0
	s_delay_alu instid0(VALU_DEP_1) | instskip(NEXT) | instid1(VALU_DEP_1)
	v_mul_f32_e64 v1, 0x2f800000, |v0|
	v_floor_f32_e32 v1, v1
	s_delay_alu instid0(VALU_DEP_1) | instskip(SKIP_1) | instid1(VALU_DEP_2)
	v_fma_f32 v1, 0xcf800000, v1, |v0|
	v_ashrrev_i32_e32 v0, 31, v0
	v_cvt_u32_f32_e32 v1, v1
	s_delay_alu instid0(VALU_DEP_1) | instskip(NEXT) | instid1(VALU_DEP_1)
	v_xor_b32_e32 v1, v1, v0
	v_sub_nc_u32_e32 v0, v1, v0
.LBB30_2055:
	s_or_b32 exec_lo, exec_lo, s23
.LBB30_2056:
	s_mov_b32 s23, -1
.LBB30_2057:
	s_branch .LBB30_2087
.LBB30_2058:
	s_cmp_gt_i32 s16, 22
	s_cbranch_scc0 .LBB30_2066
; %bb.2059:
	s_cmp_lt_i32 s16, 24
	s_cbranch_scc1 .LBB30_2069
; %bb.2060:
	s_cmp_gt_i32 s16, 24
	s_cbranch_scc0 .LBB30_2070
; %bb.2061:
	s_wait_loadcnt 0x0
	global_load_u8 v1, v[2:3], off
	s_mov_b32 s23, 0
	s_mov_b32 s22, exec_lo
	s_wait_loadcnt 0x0
	v_cmpx_lt_i16_e32 0x7f, v1
	s_xor_b32 s22, exec_lo, s22
	s_cbranch_execz .LBB30_2081
; %bb.2062:
	v_cmp_ne_u16_e32 vcc_lo, 0x80, v1
	s_and_b32 s23, vcc_lo, exec_lo
	s_and_not1_saveexec_b32 s22, s22
	s_cbranch_execnz .LBB30_2082
.LBB30_2063:
	s_or_b32 exec_lo, exec_lo, s22
	v_mov_b32_e32 v0, 0
	s_and_saveexec_b32 s22, s23
	s_cbranch_execz .LBB30_2065
.LBB30_2064:
	v_and_b32_e32 v0, 0xffff, v1
	s_delay_alu instid0(VALU_DEP_1) | instskip(SKIP_1) | instid1(VALU_DEP_2)
	v_and_b32_e32 v4, 3, v0
	v_bfe_u32 v8, v0, 2, 5
	v_clz_i32_u32_e32 v5, v4
	s_delay_alu instid0(VALU_DEP_2) | instskip(NEXT) | instid1(VALU_DEP_2)
	v_cmp_eq_u32_e32 vcc_lo, 0, v8
	v_min_u32_e32 v5, 32, v5
	s_delay_alu instid0(VALU_DEP_1) | instskip(NEXT) | instid1(VALU_DEP_1)
	v_subrev_nc_u32_e32 v7, 29, v5
	v_dual_lshlrev_b32 v0, v7, v0 :: v_dual_sub_nc_u32 v5, 30, v5
	s_delay_alu instid0(VALU_DEP_1) | instskip(NEXT) | instid1(VALU_DEP_1)
	v_dual_lshlrev_b32 v1, 24, v1 :: v_dual_bitop2_b32 v0, 3, v0 bitop3:0x40
	v_cndmask_b32_e32 v0, v4, v0, vcc_lo
	s_delay_alu instid0(VALU_DEP_3) | instskip(NEXT) | instid1(VALU_DEP_3)
	v_cndmask_b32_e32 v5, v8, v5, vcc_lo
	v_and_b32_e32 v1, 0x80000000, v1
	s_delay_alu instid0(VALU_DEP_3) | instskip(NEXT) | instid1(VALU_DEP_3)
	v_lshlrev_b32_e32 v0, 21, v0
	v_lshl_add_u32 v4, v5, 23, 0x37800000
	s_delay_alu instid0(VALU_DEP_1) | instskip(NEXT) | instid1(VALU_DEP_1)
	v_or3_b32 v0, v1, v4, v0
	v_trunc_f32_e32 v0, v0
	s_delay_alu instid0(VALU_DEP_1) | instskip(NEXT) | instid1(VALU_DEP_1)
	v_mul_f32_e64 v1, 0x2f800000, |v0|
	v_floor_f32_e32 v1, v1
	s_delay_alu instid0(VALU_DEP_1) | instskip(SKIP_1) | instid1(VALU_DEP_2)
	v_fma_f32 v1, 0xcf800000, v1, |v0|
	v_ashrrev_i32_e32 v0, 31, v0
	v_cvt_u32_f32_e32 v1, v1
	s_delay_alu instid0(VALU_DEP_1) | instskip(NEXT) | instid1(VALU_DEP_1)
	v_xor_b32_e32 v1, v1, v0
	v_sub_nc_u32_e32 v0, v1, v0
.LBB30_2065:
	s_or_b32 exec_lo, exec_lo, s22
	s_mov_b32 s22, 0
	s_branch .LBB30_2071
.LBB30_2066:
                                        ; implicit-def: $vgpr0
	s_mov_b32 s22, 0
	s_branch .LBB30_2077
.LBB30_2067:
	s_and_not1_saveexec_b32 s23, s23
	s_cbranch_execz .LBB30_2053
.LBB30_2068:
	v_cmp_ne_u16_e32 vcc_lo, 0, v1
	s_and_not1_b32 s24, s24, exec_lo
	s_and_b32 s25, vcc_lo, exec_lo
	s_delay_alu instid0(SALU_CYCLE_1)
	s_or_b32 s24, s24, s25
	s_or_b32 exec_lo, exec_lo, s23
	v_mov_b32_e32 v0, 0
	s_and_saveexec_b32 s23, s24
	s_cbranch_execnz .LBB30_2054
	s_branch .LBB30_2055
.LBB30_2069:
	s_mov_b32 s22, -1
                                        ; implicit-def: $vgpr0
	s_branch .LBB30_2074
.LBB30_2070:
	s_mov_b32 s22, -1
                                        ; implicit-def: $vgpr0
.LBB30_2071:
	s_delay_alu instid0(SALU_CYCLE_1)
	s_and_b32 vcc_lo, exec_lo, s22
	s_cbranch_vccz .LBB30_2073
; %bb.2072:
	s_wait_loadcnt 0x0
	global_load_u8 v0, v[2:3], off
	s_wait_loadcnt 0x0
	v_lshlrev_b32_e32 v0, 24, v0
	s_delay_alu instid0(VALU_DEP_1) | instskip(NEXT) | instid1(VALU_DEP_1)
	v_and_b32_e32 v1, 0x7f000000, v0
	v_clz_i32_u32_e32 v4, v1
	v_add_nc_u32_e32 v7, 0x1000000, v1
	v_cmp_ne_u32_e32 vcc_lo, 0, v1
	s_delay_alu instid0(VALU_DEP_3) | instskip(NEXT) | instid1(VALU_DEP_1)
	v_min_u32_e32 v4, 32, v4
	v_sub_nc_u32_e64 v4, v4, 4 clamp
	s_delay_alu instid0(VALU_DEP_1) | instskip(NEXT) | instid1(VALU_DEP_1)
	v_dual_lshlrev_b32 v5, v4, v1 :: v_dual_lshlrev_b32 v4, 23, v4
	v_lshrrev_b32_e32 v5, 4, v5
	s_delay_alu instid0(VALU_DEP_1) | instskip(NEXT) | instid1(VALU_DEP_1)
	v_dual_sub_nc_u32 v4, v5, v4 :: v_dual_ashrrev_i32 v5, 8, v7
	v_add_nc_u32_e32 v4, 0x3c000000, v4
	s_delay_alu instid0(VALU_DEP_1) | instskip(NEXT) | instid1(VALU_DEP_1)
	v_and_or_b32 v4, 0x7f800000, v5, v4
	v_cndmask_b32_e32 v1, 0, v4, vcc_lo
	s_delay_alu instid0(VALU_DEP_1) | instskip(NEXT) | instid1(VALU_DEP_1)
	v_and_or_b32 v0, 0x80000000, v0, v1
	v_trunc_f32_e32 v0, v0
	s_delay_alu instid0(VALU_DEP_1) | instskip(NEXT) | instid1(VALU_DEP_1)
	v_mul_f32_e64 v1, 0x2f800000, |v0|
	v_floor_f32_e32 v1, v1
	s_delay_alu instid0(VALU_DEP_1) | instskip(SKIP_1) | instid1(VALU_DEP_2)
	v_fma_f32 v1, 0xcf800000, v1, |v0|
	v_ashrrev_i32_e32 v0, 31, v0
	v_cvt_u32_f32_e32 v1, v1
	s_delay_alu instid0(VALU_DEP_1) | instskip(NEXT) | instid1(VALU_DEP_1)
	v_xor_b32_e32 v1, v1, v0
	v_sub_nc_u32_e32 v0, v1, v0
.LBB30_2073:
	s_mov_b32 s22, 0
.LBB30_2074:
	s_delay_alu instid0(SALU_CYCLE_1)
	s_and_not1_b32 vcc_lo, exec_lo, s22
	s_cbranch_vccnz .LBB30_2076
; %bb.2075:
	s_wait_loadcnt 0x0
	global_load_u8 v0, v[2:3], off
	s_wait_loadcnt 0x0
	v_lshlrev_b32_e32 v1, 25, v0
	v_lshlrev_b16 v0, 8, v0
	s_delay_alu instid0(VALU_DEP_1) | instskip(SKIP_1) | instid1(VALU_DEP_2)
	v_and_or_b32 v5, 0x7f00, v0, 0.5
	v_bfe_i32 v0, v0, 0, 16
	v_add_f32_e32 v5, -0.5, v5
	v_lshrrev_b32_e32 v4, 4, v1
	v_cmp_gt_u32_e32 vcc_lo, 0x8000000, v1
	s_delay_alu instid0(VALU_DEP_2) | instskip(NEXT) | instid1(VALU_DEP_1)
	v_or_b32_e32 v4, 0x70000000, v4
	v_mul_f32_e32 v4, 0x7800000, v4
	s_delay_alu instid0(VALU_DEP_1) | instskip(NEXT) | instid1(VALU_DEP_1)
	v_cndmask_b32_e32 v1, v4, v5, vcc_lo
	v_and_or_b32 v0, 0x80000000, v0, v1
	s_delay_alu instid0(VALU_DEP_1) | instskip(NEXT) | instid1(VALU_DEP_1)
	v_trunc_f32_e32 v0, v0
	v_mul_f32_e64 v1, 0x2f800000, |v0|
	s_delay_alu instid0(VALU_DEP_1) | instskip(NEXT) | instid1(VALU_DEP_1)
	v_floor_f32_e32 v1, v1
	v_fma_f32 v1, 0xcf800000, v1, |v0|
	v_ashrrev_i32_e32 v0, 31, v0
	s_delay_alu instid0(VALU_DEP_2) | instskip(NEXT) | instid1(VALU_DEP_1)
	v_cvt_u32_f32_e32 v1, v1
	v_xor_b32_e32 v1, v1, v0
	s_delay_alu instid0(VALU_DEP_1)
	v_sub_nc_u32_e32 v0, v1, v0
.LBB30_2076:
	s_mov_b32 s23, -1
	s_mov_b32 s22, 0
	s_cbranch_execnz .LBB30_2087
.LBB30_2077:
	s_cmp_gt_i32 s16, 14
	s_cbranch_scc0 .LBB30_2080
; %bb.2078:
	s_cmp_eq_u32 s16, 15
	s_cbranch_scc0 .LBB30_2083
; %bb.2079:
	s_wait_loadcnt 0x0
	global_load_u16 v0, v[2:3], off
	s_mov_b32 s19, 0
	s_mov_b32 s23, -1
	s_wait_loadcnt 0x0
	v_lshlrev_b32_e32 v0, 16, v0
	s_delay_alu instid0(VALU_DEP_1) | instskip(NEXT) | instid1(VALU_DEP_1)
	v_trunc_f32_e32 v0, v0
	v_mul_f32_e64 v1, 0x2f800000, |v0|
	s_delay_alu instid0(VALU_DEP_1) | instskip(NEXT) | instid1(VALU_DEP_1)
	v_floor_f32_e32 v1, v1
	v_fma_f32 v1, 0xcf800000, v1, |v0|
	v_ashrrev_i32_e32 v0, 31, v0
	s_delay_alu instid0(VALU_DEP_2) | instskip(NEXT) | instid1(VALU_DEP_1)
	v_cvt_u32_f32_e32 v1, v1
	v_xor_b32_e32 v1, v1, v0
	s_delay_alu instid0(VALU_DEP_1)
	v_sub_nc_u32_e32 v0, v1, v0
	s_branch .LBB30_2085
.LBB30_2080:
	s_mov_b32 s22, -1
	s_branch .LBB30_2084
.LBB30_2081:
	s_and_not1_saveexec_b32 s22, s22
	s_cbranch_execz .LBB30_2063
.LBB30_2082:
	v_cmp_ne_u16_e32 vcc_lo, 0, v1
	s_and_not1_b32 s23, s23, exec_lo
	s_and_b32 s24, vcc_lo, exec_lo
	s_delay_alu instid0(SALU_CYCLE_1)
	s_or_b32 s23, s23, s24
	s_or_b32 exec_lo, exec_lo, s22
	v_mov_b32_e32 v0, 0
	s_and_saveexec_b32 s22, s23
	s_cbranch_execnz .LBB30_2064
	s_branch .LBB30_2065
.LBB30_2083:
	s_mov_b32 s19, -1
.LBB30_2084:
                                        ; implicit-def: $vgpr0
.LBB30_2085:
	s_and_b32 vcc_lo, exec_lo, s22
	s_mov_b32 s22, 0
	s_cbranch_vccz .LBB30_2087
; %bb.2086:
	s_cmp_lg_u32 s16, 11
	s_mov_b32 s22, -1
	s_cselect_b32 s19, -1, 0
.LBB30_2087:
	s_delay_alu instid0(SALU_CYCLE_1)
	s_and_b32 vcc_lo, exec_lo, s19
	s_mov_b32 s16, s21
	s_cbranch_vccnz .LBB30_2148
; %bb.2088:
	s_and_not1_b32 vcc_lo, exec_lo, s22
	s_cbranch_vccnz .LBB30_2090
.LBB30_2089:
	s_wait_loadcnt 0x0
	global_load_u8 v0, v[2:3], off
	s_mov_b32 s23, -1
	s_wait_loadcnt 0x0
	v_cmp_ne_u16_e32 vcc_lo, 0, v0
	v_cndmask_b32_e64 v0, 0, 1, vcc_lo
.LBB30_2090:
	s_branch .LBB30_2024
.LBB30_2091:
	s_and_b32 s19, 0xffff, s0
	s_delay_alu instid0(SALU_CYCLE_1)
	s_cmp_lt_i32 s19, 5
	s_cbranch_scc1 .LBB30_2096
; %bb.2092:
	s_cmp_lt_i32 s19, 8
	s_cbranch_scc1 .LBB30_2097
; %bb.2093:
	;; [unrolled: 3-line block ×3, first 2 shown]
	s_cmp_gt_i32 s19, 9
	s_cbranch_scc0 .LBB30_2099
; %bb.2095:
	s_wait_loadcnt 0x0
	global_load_b64 v[0:1], v[2:3], off
	s_mov_b32 s22, 0
	s_wait_loadcnt 0x0
	v_trunc_f64_e32 v[0:1], v[0:1]
	s_delay_alu instid0(VALU_DEP_1) | instskip(NEXT) | instid1(VALU_DEP_1)
	v_ldexp_f64 v[4:5], v[0:1], 0xffffffe0
	v_floor_f64_e32 v[4:5], v[4:5]
	s_delay_alu instid0(VALU_DEP_1) | instskip(NEXT) | instid1(VALU_DEP_1)
	v_fmamk_f64 v[0:1], v[4:5], 0xc1f00000, v[0:1]
	v_cvt_u32_f64_e32 v0, v[0:1]
	s_branch .LBB30_2100
.LBB30_2096:
                                        ; implicit-def: $vgpr0
	s_branch .LBB30_2117
.LBB30_2097:
                                        ; implicit-def: $vgpr0
	s_branch .LBB30_2106
.LBB30_2098:
	s_mov_b32 s22, -1
                                        ; implicit-def: $vgpr0
	s_branch .LBB30_2103
.LBB30_2099:
	s_mov_b32 s22, -1
                                        ; implicit-def: $vgpr0
.LBB30_2100:
	s_delay_alu instid0(SALU_CYCLE_1)
	s_and_not1_b32 vcc_lo, exec_lo, s22
	s_cbranch_vccnz .LBB30_2102
; %bb.2101:
	s_wait_loadcnt 0x0
	global_load_b32 v0, v[2:3], off
	s_wait_loadcnt 0x0
	v_trunc_f32_e32 v0, v0
	s_delay_alu instid0(VALU_DEP_1) | instskip(NEXT) | instid1(VALU_DEP_1)
	v_mul_f32_e64 v1, 0x2f800000, |v0|
	v_floor_f32_e32 v1, v1
	s_delay_alu instid0(VALU_DEP_1) | instskip(SKIP_1) | instid1(VALU_DEP_2)
	v_fma_f32 v1, 0xcf800000, v1, |v0|
	v_ashrrev_i32_e32 v0, 31, v0
	v_cvt_u32_f32_e32 v1, v1
	s_delay_alu instid0(VALU_DEP_1) | instskip(NEXT) | instid1(VALU_DEP_1)
	v_xor_b32_e32 v1, v1, v0
	v_sub_nc_u32_e32 v0, v1, v0
.LBB30_2102:
	s_mov_b32 s22, 0
.LBB30_2103:
	s_delay_alu instid0(SALU_CYCLE_1)
	s_and_not1_b32 vcc_lo, exec_lo, s22
	s_cbranch_vccnz .LBB30_2105
; %bb.2104:
	s_wait_loadcnt 0x0
	global_load_b32 v0, v[2:3], off
	s_wait_loadcnt 0x0
	v_cvt_f32_f16_e32 v0, v0
	s_delay_alu instid0(VALU_DEP_1)
	v_cvt_i32_f32_e32 v0, v0
.LBB30_2105:
	s_cbranch_execnz .LBB30_2116
.LBB30_2106:
	s_cmp_lt_i32 s19, 6
	s_cbranch_scc1 .LBB30_2109
; %bb.2107:
	s_cmp_gt_i32 s19, 6
	s_cbranch_scc0 .LBB30_2110
; %bb.2108:
	s_wait_loadcnt 0x0
	global_load_b64 v[0:1], v[2:3], off
	s_mov_b32 s22, 0
	s_wait_loadcnt 0x0
	v_trunc_f64_e32 v[0:1], v[0:1]
	s_delay_alu instid0(VALU_DEP_1) | instskip(NEXT) | instid1(VALU_DEP_1)
	v_ldexp_f64 v[4:5], v[0:1], 0xffffffe0
	v_floor_f64_e32 v[4:5], v[4:5]
	s_delay_alu instid0(VALU_DEP_1) | instskip(NEXT) | instid1(VALU_DEP_1)
	v_fmamk_f64 v[0:1], v[4:5], 0xc1f00000, v[0:1]
	v_cvt_u32_f64_e32 v0, v[0:1]
	s_branch .LBB30_2111
.LBB30_2109:
	s_mov_b32 s22, -1
                                        ; implicit-def: $vgpr0
	s_branch .LBB30_2114
.LBB30_2110:
	s_mov_b32 s22, -1
                                        ; implicit-def: $vgpr0
.LBB30_2111:
	s_delay_alu instid0(SALU_CYCLE_1)
	s_and_not1_b32 vcc_lo, exec_lo, s22
	s_cbranch_vccnz .LBB30_2113
; %bb.2112:
	s_wait_loadcnt 0x0
	global_load_b32 v0, v[2:3], off
	s_wait_loadcnt 0x0
	v_trunc_f32_e32 v0, v0
	s_delay_alu instid0(VALU_DEP_1) | instskip(NEXT) | instid1(VALU_DEP_1)
	v_mul_f32_e64 v1, 0x2f800000, |v0|
	v_floor_f32_e32 v1, v1
	s_delay_alu instid0(VALU_DEP_1) | instskip(SKIP_1) | instid1(VALU_DEP_2)
	v_fma_f32 v1, 0xcf800000, v1, |v0|
	v_ashrrev_i32_e32 v0, 31, v0
	v_cvt_u32_f32_e32 v1, v1
	s_delay_alu instid0(VALU_DEP_1) | instskip(NEXT) | instid1(VALU_DEP_1)
	v_xor_b32_e32 v1, v1, v0
	v_sub_nc_u32_e32 v0, v1, v0
.LBB30_2113:
	s_mov_b32 s22, 0
.LBB30_2114:
	s_delay_alu instid0(SALU_CYCLE_1)
	s_and_not1_b32 vcc_lo, exec_lo, s22
	s_cbranch_vccnz .LBB30_2116
; %bb.2115:
	s_wait_loadcnt 0x0
	global_load_u16 v0, v[2:3], off
	s_wait_loadcnt 0x0
	v_cvt_f32_f16_e32 v0, v0
	s_delay_alu instid0(VALU_DEP_1)
	v_cvt_i32_f32_e32 v0, v0
.LBB30_2116:
	s_cbranch_execnz .LBB30_2135
.LBB30_2117:
	s_cmp_lt_i32 s19, 2
	s_cbranch_scc1 .LBB30_2121
; %bb.2118:
	s_cmp_lt_i32 s19, 3
	s_cbranch_scc1 .LBB30_2122
; %bb.2119:
	s_cmp_gt_i32 s19, 3
	s_cbranch_scc0 .LBB30_2123
; %bb.2120:
	s_wait_loadcnt 0x0
	global_load_b64 v[0:1], v[2:3], off
	s_mov_b32 s22, 0
	s_branch .LBB30_2124
.LBB30_2121:
                                        ; implicit-def: $vgpr0
	s_branch .LBB30_2130
.LBB30_2122:
	s_mov_b32 s22, -1
                                        ; implicit-def: $vgpr0
	s_branch .LBB30_2127
.LBB30_2123:
	s_mov_b32 s22, -1
                                        ; implicit-def: $vgpr0
.LBB30_2124:
	s_delay_alu instid0(SALU_CYCLE_1)
	s_and_not1_b32 vcc_lo, exec_lo, s22
	s_cbranch_vccnz .LBB30_2126
; %bb.2125:
	s_wait_loadcnt 0x0
	global_load_b32 v0, v[2:3], off
.LBB30_2126:
	s_mov_b32 s22, 0
.LBB30_2127:
	s_delay_alu instid0(SALU_CYCLE_1)
	s_and_not1_b32 vcc_lo, exec_lo, s22
	s_cbranch_vccnz .LBB30_2129
; %bb.2128:
	s_wait_loadcnt 0x0
	global_load_u16 v0, v[2:3], off
.LBB30_2129:
	s_cbranch_execnz .LBB30_2135
.LBB30_2130:
	s_cmp_gt_i32 s19, 0
	s_mov_b32 s19, 0
	s_cbranch_scc0 .LBB30_2132
; %bb.2131:
	s_wait_loadcnt 0x0
	global_load_u8 v0, v[2:3], off
	s_branch .LBB30_2133
.LBB30_2132:
	s_mov_b32 s19, -1
                                        ; implicit-def: $vgpr0
.LBB30_2133:
	s_delay_alu instid0(SALU_CYCLE_1)
	s_and_not1_b32 vcc_lo, exec_lo, s19
	s_cbranch_vccnz .LBB30_2135
; %bb.2134:
	s_wait_loadcnt 0x0
	global_load_u8 v0, v[2:3], off
.LBB30_2135:
.LBB30_2136:
	v_mul_lo_u32 v8, s14, v26
	s_and_b32 s3, s3, 0xff
	s_delay_alu instid0(SALU_CYCLE_1) | instskip(NEXT) | instid1(VALU_DEP_1)
	s_cmp_lt_i32 s3, 11
	v_ashrrev_i32_e32 v9, 31, v8
	s_delay_alu instid0(VALU_DEP_1)
	v_add_nc_u64_e32 v[4:5], s[8:9], v[8:9]
	s_cbranch_scc1 .LBB30_2143
; %bb.2137:
	s_and_b32 s19, 0xffff, s3
	s_mov_b32 s23, 0
	s_cmp_gt_i32 s19, 25
	s_cbranch_scc0 .LBB30_2145
; %bb.2138:
	s_cmp_gt_i32 s19, 28
	s_cbranch_scc0 .LBB30_2146
; %bb.2139:
	;; [unrolled: 3-line block ×4, first 2 shown]
	s_cmp_eq_u32 s19, 46
	s_mov_b32 s25, 0
	s_cbranch_scc0 .LBB30_2152
; %bb.2142:
	s_wait_loadcnt 0x0
	global_load_b32 v1, v[4:5], off
	s_mov_b32 s22, 0
	s_mov_b32 s24, -1
	s_wait_loadcnt 0x0
	v_lshlrev_b32_e32 v1, 16, v1
	s_delay_alu instid0(VALU_DEP_1) | instskip(SKIP_1) | instid1(VALU_DEP_1)
	v_trunc_f32_e32 v1, v1
	s_wait_xcnt 0x1
	v_mul_f32_e64 v2, 0x2f800000, |v1|
	s_delay_alu instid0(VALU_DEP_1) | instskip(NEXT) | instid1(VALU_DEP_1)
	v_floor_f32_e32 v2, v2
	v_fma_f32 v2, 0xcf800000, v2, |v1|
	v_ashrrev_i32_e32 v1, 31, v1
	s_delay_alu instid0(VALU_DEP_2) | instskip(NEXT) | instid1(VALU_DEP_1)
	v_cvt_u32_f32_e32 v2, v2
	v_xor_b32_e32 v2, v2, v1
	s_delay_alu instid0(VALU_DEP_1)
	v_sub_nc_u32_e32 v2, v2, v1
	s_branch .LBB30_2154
.LBB30_2143:
	s_mov_b32 s24, 0
                                        ; implicit-def: $vgpr2
	s_cbranch_execnz .LBB30_2215
.LBB30_2144:
	s_and_not1_b32 vcc_lo, exec_lo, s24
	s_cbranch_vccnz .LBB30_3968
	s_branch .LBB30_2262
.LBB30_2145:
	s_mov_b32 s24, 0
	s_mov_b32 s22, 0
                                        ; implicit-def: $vgpr2
	s_cbranch_execnz .LBB30_2181
	s_branch .LBB30_2211
.LBB30_2146:
	s_mov_b32 s25, -1
	s_mov_b32 s24, 0
	s_mov_b32 s22, 0
                                        ; implicit-def: $vgpr2
	s_branch .LBB30_2164
.LBB30_2147:
	s_mov_b32 s25, -1
	s_mov_b32 s24, 0
	s_mov_b32 s22, 0
                                        ; implicit-def: $vgpr2
	s_branch .LBB30_2159
.LBB30_2148:
	s_or_b32 s16, s21, exec_lo
	s_trap 2
	s_cbranch_execz .LBB30_2089
	s_branch .LBB30_2090
.LBB30_2149:
	s_mov_b32 s25, -1
	s_mov_b32 s24, 0
	s_mov_b32 s22, 0
	s_branch .LBB30_2153
.LBB30_2150:
	s_and_not1_saveexec_b32 s29, s29
	s_cbranch_execz .LBB30_1940
.LBB30_2151:
	v_add_f32_e32 v0, 0x42800000, v2
	s_and_not1_b32 s28, s28, exec_lo
	s_delay_alu instid0(VALU_DEP_1) | instskip(NEXT) | instid1(VALU_DEP_1)
	v_and_b32_e32 v0, 0xff, v0
	v_cmp_ne_u32_e32 vcc_lo, 0, v0
	s_and_b32 s30, vcc_lo, exec_lo
	s_delay_alu instid0(SALU_CYCLE_1)
	s_or_b32 s28, s28, s30
	s_or_b32 exec_lo, exec_lo, s29
	v_mov_b32_e32 v3, 0
	s_and_saveexec_b32 s29, s28
	s_cbranch_execnz .LBB30_1941
	s_branch .LBB30_1942
.LBB30_2152:
	s_mov_b32 s22, -1
	s_mov_b32 s24, 0
.LBB30_2153:
                                        ; implicit-def: $vgpr2
.LBB30_2154:
	s_and_b32 vcc_lo, exec_lo, s25
	s_cbranch_vccz .LBB30_2158
; %bb.2155:
	s_cmp_eq_u32 s19, 44
	s_cbranch_scc0 .LBB30_2157
; %bb.2156:
	s_wait_loadcnt 0x0
	global_load_u8 v1, v[4:5], off
	s_mov_b32 s22, 0
	s_mov_b32 s24, -1
	s_wait_loadcnt 0x0
	s_wait_xcnt 0x1
	v_lshlrev_b32_e32 v2, 23, v1
	v_cmp_ne_u32_e32 vcc_lo, 0, v1
	s_delay_alu instid0(VALU_DEP_2) | instskip(NEXT) | instid1(VALU_DEP_1)
	v_trunc_f32_e32 v2, v2
	v_mul_f32_e64 v3, 0x2f800000, |v2|
	s_delay_alu instid0(VALU_DEP_1) | instskip(NEXT) | instid1(VALU_DEP_1)
	v_floor_f32_e32 v3, v3
	v_fma_f32 v3, 0xcf800000, v3, |v2|
	v_ashrrev_i32_e32 v2, 31, v2
	s_delay_alu instid0(VALU_DEP_2) | instskip(NEXT) | instid1(VALU_DEP_1)
	v_cvt_u32_f32_e32 v3, v3
	v_xor_b32_e32 v3, v3, v2
	s_delay_alu instid0(VALU_DEP_1) | instskip(NEXT) | instid1(VALU_DEP_1)
	v_sub_nc_u32_e32 v2, v3, v2
	v_cndmask_b32_e32 v2, 0, v2, vcc_lo
	s_branch .LBB30_2158
.LBB30_2157:
	s_mov_b32 s22, -1
                                        ; implicit-def: $vgpr2
.LBB30_2158:
	s_mov_b32 s25, 0
.LBB30_2159:
	s_delay_alu instid0(SALU_CYCLE_1)
	s_and_b32 vcc_lo, exec_lo, s25
	s_cbranch_vccz .LBB30_2163
; %bb.2160:
	s_cmp_eq_u32 s19, 29
	s_cbranch_scc0 .LBB30_2162
; %bb.2161:
	global_load_b64 v[2:3], v[4:5], off
	s_mov_b32 s22, 0
	s_mov_b32 s24, -1
	s_branch .LBB30_2163
.LBB30_2162:
	s_mov_b32 s22, -1
                                        ; implicit-def: $vgpr2
.LBB30_2163:
	s_mov_b32 s25, 0
.LBB30_2164:
	s_delay_alu instid0(SALU_CYCLE_1)
	s_and_b32 vcc_lo, exec_lo, s25
	s_cbranch_vccz .LBB30_2180
; %bb.2165:
	s_cmp_lt_i32 s19, 27
	s_cbranch_scc1 .LBB30_2168
; %bb.2166:
	s_cmp_gt_i32 s19, 27
	s_cbranch_scc0 .LBB30_2169
; %bb.2167:
	s_wait_loadcnt 0x0
	global_load_b32 v2, v[4:5], off
	s_mov_b32 s24, 0
	s_branch .LBB30_2170
.LBB30_2168:
	s_mov_b32 s24, -1
                                        ; implicit-def: $vgpr2
	s_branch .LBB30_2173
.LBB30_2169:
	s_mov_b32 s24, -1
                                        ; implicit-def: $vgpr2
.LBB30_2170:
	s_delay_alu instid0(SALU_CYCLE_1)
	s_and_not1_b32 vcc_lo, exec_lo, s24
	s_cbranch_vccnz .LBB30_2172
; %bb.2171:
	s_wait_loadcnt 0x0
	global_load_u16 v2, v[4:5], off
.LBB30_2172:
	s_mov_b32 s24, 0
.LBB30_2173:
	s_delay_alu instid0(SALU_CYCLE_1)
	s_and_not1_b32 vcc_lo, exec_lo, s24
	s_cbranch_vccnz .LBB30_2179
; %bb.2174:
	s_wait_loadcnt 0x0
	global_load_u8 v1, v[4:5], off
	s_mov_b32 s25, 0
	s_mov_b32 s24, exec_lo
	s_wait_loadcnt 0x0
	v_cmpx_lt_i16_e32 0x7f, v1
	s_xor_b32 s24, exec_lo, s24
	s_cbranch_execz .LBB30_2190
; %bb.2175:
	v_cmp_ne_u16_e32 vcc_lo, 0x80, v1
	s_and_b32 s25, vcc_lo, exec_lo
	s_and_not1_saveexec_b32 s24, s24
	s_cbranch_execnz .LBB30_2191
.LBB30_2176:
	s_or_b32 exec_lo, exec_lo, s24
	v_mov_b32_e32 v2, 0
	s_and_saveexec_b32 s24, s25
	s_cbranch_execz .LBB30_2178
.LBB30_2177:
	v_and_b32_e32 v2, 0xffff, v1
	s_delay_alu instid0(VALU_DEP_1) | instskip(SKIP_1) | instid1(VALU_DEP_2)
	v_and_b32_e32 v3, 7, v2
	v_bfe_u32 v10, v2, 3, 4
	v_clz_i32_u32_e32 v7, v3
	s_delay_alu instid0(VALU_DEP_2) | instskip(NEXT) | instid1(VALU_DEP_2)
	v_cmp_eq_u32_e32 vcc_lo, 0, v10
	v_min_u32_e32 v7, 32, v7
	s_delay_alu instid0(VALU_DEP_1) | instskip(NEXT) | instid1(VALU_DEP_1)
	v_subrev_nc_u32_e32 v9, 28, v7
	v_dual_lshlrev_b32 v2, v9, v2 :: v_dual_sub_nc_u32 v7, 29, v7
	s_delay_alu instid0(VALU_DEP_1) | instskip(NEXT) | instid1(VALU_DEP_1)
	v_dual_lshlrev_b32 v1, 24, v1 :: v_dual_bitop2_b32 v2, 7, v2 bitop3:0x40
	v_dual_cndmask_b32 v7, v10, v7 :: v_dual_cndmask_b32 v2, v3, v2
	s_delay_alu instid0(VALU_DEP_2) | instskip(NEXT) | instid1(VALU_DEP_2)
	v_and_b32_e32 v1, 0x80000000, v1
	v_lshl_add_u32 v3, v7, 23, 0x3b800000
	s_delay_alu instid0(VALU_DEP_3) | instskip(NEXT) | instid1(VALU_DEP_1)
	v_lshlrev_b32_e32 v2, 20, v2
	v_or3_b32 v1, v1, v3, v2
	s_delay_alu instid0(VALU_DEP_1) | instskip(NEXT) | instid1(VALU_DEP_1)
	v_trunc_f32_e32 v1, v1
	v_mul_f32_e64 v2, 0x2f800000, |v1|
	s_delay_alu instid0(VALU_DEP_1) | instskip(NEXT) | instid1(VALU_DEP_1)
	v_floor_f32_e32 v2, v2
	v_fma_f32 v2, 0xcf800000, v2, |v1|
	v_ashrrev_i32_e32 v1, 31, v1
	s_delay_alu instid0(VALU_DEP_2) | instskip(NEXT) | instid1(VALU_DEP_1)
	v_cvt_u32_f32_e32 v2, v2
	v_xor_b32_e32 v2, v2, v1
	s_delay_alu instid0(VALU_DEP_1)
	v_sub_nc_u32_e32 v2, v2, v1
.LBB30_2178:
	s_or_b32 exec_lo, exec_lo, s24
.LBB30_2179:
	s_mov_b32 s24, -1
.LBB30_2180:
	s_branch .LBB30_2211
.LBB30_2181:
	s_cmp_gt_i32 s19, 22
	s_cbranch_scc0 .LBB30_2189
; %bb.2182:
	s_cmp_lt_i32 s19, 24
	s_cbranch_scc1 .LBB30_2192
; %bb.2183:
	s_cmp_gt_i32 s19, 24
	s_cbranch_scc0 .LBB30_2193
; %bb.2184:
	s_wait_loadcnt 0x0
	global_load_u8 v1, v[4:5], off
	s_mov_b32 s24, 0
	s_mov_b32 s23, exec_lo
	s_wait_loadcnt 0x0
	v_cmpx_lt_i16_e32 0x7f, v1
	s_xor_b32 s23, exec_lo, s23
	s_cbranch_execz .LBB30_2205
; %bb.2185:
	v_cmp_ne_u16_e32 vcc_lo, 0x80, v1
	s_and_b32 s24, vcc_lo, exec_lo
	s_and_not1_saveexec_b32 s23, s23
	s_cbranch_execnz .LBB30_2206
.LBB30_2186:
	s_or_b32 exec_lo, exec_lo, s23
	v_mov_b32_e32 v2, 0
	s_and_saveexec_b32 s23, s24
	s_cbranch_execz .LBB30_2188
.LBB30_2187:
	v_and_b32_e32 v2, 0xffff, v1
	s_delay_alu instid0(VALU_DEP_1) | instskip(SKIP_1) | instid1(VALU_DEP_2)
	v_and_b32_e32 v3, 3, v2
	v_bfe_u32 v10, v2, 2, 5
	v_clz_i32_u32_e32 v7, v3
	s_delay_alu instid0(VALU_DEP_2) | instskip(NEXT) | instid1(VALU_DEP_2)
	v_cmp_eq_u32_e32 vcc_lo, 0, v10
	v_min_u32_e32 v7, 32, v7
	s_delay_alu instid0(VALU_DEP_1) | instskip(NEXT) | instid1(VALU_DEP_1)
	v_subrev_nc_u32_e32 v9, 29, v7
	v_dual_lshlrev_b32 v2, v9, v2 :: v_dual_sub_nc_u32 v7, 30, v7
	s_delay_alu instid0(VALU_DEP_1) | instskip(NEXT) | instid1(VALU_DEP_1)
	v_dual_lshlrev_b32 v1, 24, v1 :: v_dual_bitop2_b32 v2, 3, v2 bitop3:0x40
	v_dual_cndmask_b32 v7, v10, v7 :: v_dual_cndmask_b32 v2, v3, v2
	s_delay_alu instid0(VALU_DEP_2) | instskip(NEXT) | instid1(VALU_DEP_2)
	v_and_b32_e32 v1, 0x80000000, v1
	v_lshl_add_u32 v3, v7, 23, 0x37800000
	s_delay_alu instid0(VALU_DEP_3) | instskip(NEXT) | instid1(VALU_DEP_1)
	v_lshlrev_b32_e32 v2, 21, v2
	v_or3_b32 v1, v1, v3, v2
	s_delay_alu instid0(VALU_DEP_1) | instskip(NEXT) | instid1(VALU_DEP_1)
	v_trunc_f32_e32 v1, v1
	v_mul_f32_e64 v2, 0x2f800000, |v1|
	s_delay_alu instid0(VALU_DEP_1) | instskip(NEXT) | instid1(VALU_DEP_1)
	v_floor_f32_e32 v2, v2
	v_fma_f32 v2, 0xcf800000, v2, |v1|
	v_ashrrev_i32_e32 v1, 31, v1
	s_delay_alu instid0(VALU_DEP_2) | instskip(NEXT) | instid1(VALU_DEP_1)
	v_cvt_u32_f32_e32 v2, v2
	v_xor_b32_e32 v2, v2, v1
	s_delay_alu instid0(VALU_DEP_1)
	v_sub_nc_u32_e32 v2, v2, v1
.LBB30_2188:
	s_or_b32 exec_lo, exec_lo, s23
	s_mov_b32 s23, 0
	s_branch .LBB30_2194
.LBB30_2189:
	s_mov_b32 s23, -1
                                        ; implicit-def: $vgpr2
	s_branch .LBB30_2200
.LBB30_2190:
	s_and_not1_saveexec_b32 s24, s24
	s_cbranch_execz .LBB30_2176
.LBB30_2191:
	v_cmp_ne_u16_e32 vcc_lo, 0, v1
	s_and_not1_b32 s25, s25, exec_lo
	s_and_b32 s26, vcc_lo, exec_lo
	s_delay_alu instid0(SALU_CYCLE_1)
	s_or_b32 s25, s25, s26
	s_or_b32 exec_lo, exec_lo, s24
	v_mov_b32_e32 v2, 0
	s_and_saveexec_b32 s24, s25
	s_cbranch_execnz .LBB30_2177
	s_branch .LBB30_2178
.LBB30_2192:
	s_mov_b32 s23, -1
                                        ; implicit-def: $vgpr2
	s_branch .LBB30_2197
.LBB30_2193:
	s_mov_b32 s23, -1
                                        ; implicit-def: $vgpr2
.LBB30_2194:
	s_delay_alu instid0(SALU_CYCLE_1)
	s_and_b32 vcc_lo, exec_lo, s23
	s_cbranch_vccz .LBB30_2196
; %bb.2195:
	s_wait_loadcnt 0x0
	global_load_u8 v1, v[4:5], off
	s_wait_loadcnt 0x0
	v_lshlrev_b32_e32 v1, 24, v1
	s_wait_xcnt 0x1
	s_delay_alu instid0(VALU_DEP_1) | instskip(NEXT) | instid1(VALU_DEP_1)
	v_and_b32_e32 v2, 0x7f000000, v1
	v_clz_i32_u32_e32 v3, v2
	v_cmp_ne_u32_e32 vcc_lo, 0, v2
	v_add_nc_u32_e32 v9, 0x1000000, v2
	s_delay_alu instid0(VALU_DEP_3) | instskip(NEXT) | instid1(VALU_DEP_1)
	v_min_u32_e32 v3, 32, v3
	v_sub_nc_u32_e64 v3, v3, 4 clamp
	s_delay_alu instid0(VALU_DEP_1) | instskip(NEXT) | instid1(VALU_DEP_1)
	v_dual_lshlrev_b32 v7, v3, v2 :: v_dual_lshlrev_b32 v3, 23, v3
	v_lshrrev_b32_e32 v7, 4, v7
	s_delay_alu instid0(VALU_DEP_1) | instskip(NEXT) | instid1(VALU_DEP_1)
	v_dual_sub_nc_u32 v3, v7, v3 :: v_dual_ashrrev_i32 v7, 8, v9
	v_add_nc_u32_e32 v3, 0x3c000000, v3
	s_delay_alu instid0(VALU_DEP_1) | instskip(NEXT) | instid1(VALU_DEP_1)
	v_and_or_b32 v3, 0x7f800000, v7, v3
	v_cndmask_b32_e32 v2, 0, v3, vcc_lo
	s_delay_alu instid0(VALU_DEP_1) | instskip(NEXT) | instid1(VALU_DEP_1)
	v_and_or_b32 v1, 0x80000000, v1, v2
	v_trunc_f32_e32 v1, v1
	s_delay_alu instid0(VALU_DEP_1) | instskip(NEXT) | instid1(VALU_DEP_1)
	v_mul_f32_e64 v2, 0x2f800000, |v1|
	v_floor_f32_e32 v2, v2
	s_delay_alu instid0(VALU_DEP_1) | instskip(SKIP_1) | instid1(VALU_DEP_2)
	v_fma_f32 v2, 0xcf800000, v2, |v1|
	v_ashrrev_i32_e32 v1, 31, v1
	v_cvt_u32_f32_e32 v2, v2
	s_delay_alu instid0(VALU_DEP_1) | instskip(NEXT) | instid1(VALU_DEP_1)
	v_xor_b32_e32 v2, v2, v1
	v_sub_nc_u32_e32 v2, v2, v1
.LBB30_2196:
	s_mov_b32 s23, 0
.LBB30_2197:
	s_delay_alu instid0(SALU_CYCLE_1)
	s_and_not1_b32 vcc_lo, exec_lo, s23
	s_cbranch_vccnz .LBB30_2199
; %bb.2198:
	s_wait_loadcnt 0x0
	global_load_u8 v1, v[4:5], off
	s_wait_loadcnt 0x0
	s_wait_xcnt 0x1
	v_lshlrev_b32_e32 v2, 25, v1
	v_lshlrev_b16 v1, 8, v1
	s_delay_alu instid0(VALU_DEP_1) | instskip(SKIP_1) | instid1(VALU_DEP_2)
	v_and_or_b32 v7, 0x7f00, v1, 0.5
	v_bfe_i32 v1, v1, 0, 16
	v_dual_add_f32 v7, -0.5, v7 :: v_dual_lshrrev_b32 v3, 4, v2
	v_cmp_gt_u32_e32 vcc_lo, 0x8000000, v2
	s_delay_alu instid0(VALU_DEP_2) | instskip(NEXT) | instid1(VALU_DEP_1)
	v_or_b32_e32 v3, 0x70000000, v3
	v_mul_f32_e32 v3, 0x7800000, v3
	s_delay_alu instid0(VALU_DEP_1) | instskip(NEXT) | instid1(VALU_DEP_1)
	v_cndmask_b32_e32 v2, v3, v7, vcc_lo
	v_and_or_b32 v1, 0x80000000, v1, v2
	s_delay_alu instid0(VALU_DEP_1) | instskip(NEXT) | instid1(VALU_DEP_1)
	v_trunc_f32_e32 v1, v1
	v_mul_f32_e64 v2, 0x2f800000, |v1|
	s_delay_alu instid0(VALU_DEP_1) | instskip(NEXT) | instid1(VALU_DEP_1)
	v_floor_f32_e32 v2, v2
	v_fma_f32 v2, 0xcf800000, v2, |v1|
	v_ashrrev_i32_e32 v1, 31, v1
	s_delay_alu instid0(VALU_DEP_2) | instskip(NEXT) | instid1(VALU_DEP_1)
	v_cvt_u32_f32_e32 v2, v2
	v_xor_b32_e32 v2, v2, v1
	s_delay_alu instid0(VALU_DEP_1)
	v_sub_nc_u32_e32 v2, v2, v1
.LBB30_2199:
	s_mov_b32 s23, 0
	s_mov_b32 s24, -1
.LBB30_2200:
	s_and_not1_b32 vcc_lo, exec_lo, s23
	s_mov_b32 s23, 0
	s_cbranch_vccnz .LBB30_2211
; %bb.2201:
	s_cmp_gt_i32 s19, 14
	s_cbranch_scc0 .LBB30_2204
; %bb.2202:
	s_cmp_eq_u32 s19, 15
	s_cbranch_scc0 .LBB30_2207
; %bb.2203:
	s_wait_loadcnt 0x0
	global_load_u16 v1, v[4:5], off
	s_mov_b32 s22, 0
	s_mov_b32 s24, -1
	s_wait_loadcnt 0x0
	v_lshlrev_b32_e32 v1, 16, v1
	s_delay_alu instid0(VALU_DEP_1) | instskip(SKIP_1) | instid1(VALU_DEP_1)
	v_trunc_f32_e32 v1, v1
	s_wait_xcnt 0x1
	v_mul_f32_e64 v2, 0x2f800000, |v1|
	s_delay_alu instid0(VALU_DEP_1) | instskip(NEXT) | instid1(VALU_DEP_1)
	v_floor_f32_e32 v2, v2
	v_fma_f32 v2, 0xcf800000, v2, |v1|
	v_ashrrev_i32_e32 v1, 31, v1
	s_delay_alu instid0(VALU_DEP_2) | instskip(NEXT) | instid1(VALU_DEP_1)
	v_cvt_u32_f32_e32 v2, v2
	v_xor_b32_e32 v2, v2, v1
	s_delay_alu instid0(VALU_DEP_1)
	v_sub_nc_u32_e32 v2, v2, v1
	s_branch .LBB30_2209
.LBB30_2204:
	s_mov_b32 s23, -1
	s_branch .LBB30_2208
.LBB30_2205:
	s_and_not1_saveexec_b32 s23, s23
	s_cbranch_execz .LBB30_2186
.LBB30_2206:
	v_cmp_ne_u16_e32 vcc_lo, 0, v1
	s_and_not1_b32 s24, s24, exec_lo
	s_and_b32 s25, vcc_lo, exec_lo
	s_delay_alu instid0(SALU_CYCLE_1)
	s_or_b32 s24, s24, s25
	s_or_b32 exec_lo, exec_lo, s23
	v_mov_b32_e32 v2, 0
	s_and_saveexec_b32 s23, s24
	s_cbranch_execnz .LBB30_2187
	s_branch .LBB30_2188
.LBB30_2207:
	s_mov_b32 s22, -1
.LBB30_2208:
                                        ; implicit-def: $vgpr2
.LBB30_2209:
	s_and_b32 vcc_lo, exec_lo, s23
	s_mov_b32 s23, 0
	s_cbranch_vccz .LBB30_2211
; %bb.2210:
	s_cmp_lg_u32 s19, 11
	s_mov_b32 s23, -1
	s_cselect_b32 s22, -1, 0
.LBB30_2211:
	s_delay_alu instid0(SALU_CYCLE_1)
	s_and_b32 vcc_lo, exec_lo, s22
	s_cbranch_vccnz .LBB30_2274
; %bb.2212:
	s_and_not1_b32 vcc_lo, exec_lo, s23
	s_cbranch_vccnz .LBB30_2214
.LBB30_2213:
	s_wait_loadcnt 0x0
	global_load_u8 v1, v[4:5], off
	s_mov_b32 s24, -1
	s_wait_loadcnt 0x0
	v_cmp_ne_u16_e32 vcc_lo, 0, v1
	s_wait_xcnt 0x1
	v_cndmask_b32_e64 v2, 0, 1, vcc_lo
.LBB30_2214:
	s_branch .LBB30_2144
.LBB30_2215:
	s_and_b32 s19, 0xffff, s3
	s_delay_alu instid0(SALU_CYCLE_1)
	s_cmp_lt_i32 s19, 5
	s_cbranch_scc1 .LBB30_2220
; %bb.2216:
	s_cmp_lt_i32 s19, 8
	s_cbranch_scc1 .LBB30_2221
; %bb.2217:
	;; [unrolled: 3-line block ×3, first 2 shown]
	s_cmp_gt_i32 s19, 9
	s_cbranch_scc0 .LBB30_2223
; %bb.2219:
	s_wait_loadcnt 0x0
	global_load_b64 v[2:3], v[4:5], off
	s_mov_b32 s22, 0
	s_wait_loadcnt 0x0
	v_trunc_f64_e32 v[2:3], v[2:3]
	s_delay_alu instid0(VALU_DEP_1) | instskip(NEXT) | instid1(VALU_DEP_1)
	v_ldexp_f64 v[10:11], v[2:3], 0xffffffe0
	v_floor_f64_e32 v[10:11], v[10:11]
	s_delay_alu instid0(VALU_DEP_1) | instskip(NEXT) | instid1(VALU_DEP_1)
	v_fmamk_f64 v[2:3], v[10:11], 0xc1f00000, v[2:3]
	v_cvt_u32_f64_e32 v2, v[2:3]
	s_branch .LBB30_2224
.LBB30_2220:
                                        ; implicit-def: $vgpr2
	s_branch .LBB30_2242
.LBB30_2221:
	s_mov_b32 s22, -1
                                        ; implicit-def: $vgpr2
	s_branch .LBB30_2230
.LBB30_2222:
	s_mov_b32 s22, -1
                                        ; implicit-def: $vgpr2
	s_branch .LBB30_2227
.LBB30_2223:
	s_mov_b32 s22, -1
                                        ; implicit-def: $vgpr2
.LBB30_2224:
	s_delay_alu instid0(SALU_CYCLE_1)
	s_and_not1_b32 vcc_lo, exec_lo, s22
	s_cbranch_vccnz .LBB30_2226
; %bb.2225:
	s_wait_loadcnt 0x0
	global_load_b32 v1, v[4:5], off
	s_wait_loadcnt 0x0
	v_trunc_f32_e32 v1, v1
	s_wait_xcnt 0x1
	s_delay_alu instid0(VALU_DEP_1) | instskip(NEXT) | instid1(VALU_DEP_1)
	v_mul_f32_e64 v2, 0x2f800000, |v1|
	v_floor_f32_e32 v2, v2
	s_delay_alu instid0(VALU_DEP_1) | instskip(SKIP_1) | instid1(VALU_DEP_2)
	v_fma_f32 v2, 0xcf800000, v2, |v1|
	v_ashrrev_i32_e32 v1, 31, v1
	v_cvt_u32_f32_e32 v2, v2
	s_delay_alu instid0(VALU_DEP_1) | instskip(NEXT) | instid1(VALU_DEP_1)
	v_xor_b32_e32 v2, v2, v1
	v_sub_nc_u32_e32 v2, v2, v1
.LBB30_2226:
	s_mov_b32 s22, 0
.LBB30_2227:
	s_delay_alu instid0(SALU_CYCLE_1)
	s_and_not1_b32 vcc_lo, exec_lo, s22
	s_cbranch_vccnz .LBB30_2229
; %bb.2228:
	s_wait_loadcnt 0x0
	global_load_b32 v1, v[4:5], off
	s_wait_loadcnt 0x0
	v_cvt_f32_f16_e32 v1, v1
	s_wait_xcnt 0x1
	s_delay_alu instid0(VALU_DEP_1)
	v_cvt_i32_f32_e32 v2, v1
.LBB30_2229:
	s_mov_b32 s22, 0
.LBB30_2230:
	s_delay_alu instid0(SALU_CYCLE_1)
	s_and_not1_b32 vcc_lo, exec_lo, s22
	s_cbranch_vccnz .LBB30_2241
; %bb.2231:
	s_cmp_lt_i32 s19, 6
	s_cbranch_scc1 .LBB30_2234
; %bb.2232:
	s_cmp_gt_i32 s19, 6
	s_cbranch_scc0 .LBB30_2235
; %bb.2233:
	s_wait_loadcnt 0x0
	global_load_b64 v[2:3], v[4:5], off
	s_mov_b32 s22, 0
	s_wait_loadcnt 0x0
	v_trunc_f64_e32 v[2:3], v[2:3]
	s_delay_alu instid0(VALU_DEP_1) | instskip(NEXT) | instid1(VALU_DEP_1)
	v_ldexp_f64 v[10:11], v[2:3], 0xffffffe0
	v_floor_f64_e32 v[10:11], v[10:11]
	s_delay_alu instid0(VALU_DEP_1) | instskip(NEXT) | instid1(VALU_DEP_1)
	v_fmamk_f64 v[2:3], v[10:11], 0xc1f00000, v[2:3]
	v_cvt_u32_f64_e32 v2, v[2:3]
	s_branch .LBB30_2236
.LBB30_2234:
	s_mov_b32 s22, -1
                                        ; implicit-def: $vgpr2
	s_branch .LBB30_2239
.LBB30_2235:
	s_mov_b32 s22, -1
                                        ; implicit-def: $vgpr2
.LBB30_2236:
	s_delay_alu instid0(SALU_CYCLE_1)
	s_and_not1_b32 vcc_lo, exec_lo, s22
	s_cbranch_vccnz .LBB30_2238
; %bb.2237:
	s_wait_loadcnt 0x0
	global_load_b32 v1, v[4:5], off
	s_wait_loadcnt 0x0
	v_trunc_f32_e32 v1, v1
	s_wait_xcnt 0x1
	s_delay_alu instid0(VALU_DEP_1) | instskip(NEXT) | instid1(VALU_DEP_1)
	v_mul_f32_e64 v2, 0x2f800000, |v1|
	v_floor_f32_e32 v2, v2
	s_delay_alu instid0(VALU_DEP_1) | instskip(SKIP_1) | instid1(VALU_DEP_2)
	v_fma_f32 v2, 0xcf800000, v2, |v1|
	v_ashrrev_i32_e32 v1, 31, v1
	v_cvt_u32_f32_e32 v2, v2
	s_delay_alu instid0(VALU_DEP_1) | instskip(NEXT) | instid1(VALU_DEP_1)
	v_xor_b32_e32 v2, v2, v1
	v_sub_nc_u32_e32 v2, v2, v1
.LBB30_2238:
	s_mov_b32 s22, 0
.LBB30_2239:
	s_delay_alu instid0(SALU_CYCLE_1)
	s_and_not1_b32 vcc_lo, exec_lo, s22
	s_cbranch_vccnz .LBB30_2241
; %bb.2240:
	s_wait_loadcnt 0x0
	global_load_u16 v1, v[4:5], off
	s_wait_loadcnt 0x0
	v_cvt_f32_f16_e32 v1, v1
	s_wait_xcnt 0x1
	s_delay_alu instid0(VALU_DEP_1)
	v_cvt_i32_f32_e32 v2, v1
.LBB30_2241:
	s_cbranch_execnz .LBB30_2261
.LBB30_2242:
	s_cmp_lt_i32 s19, 2
	s_cbranch_scc1 .LBB30_2246
; %bb.2243:
	s_cmp_lt_i32 s19, 3
	s_cbranch_scc1 .LBB30_2247
; %bb.2244:
	s_cmp_gt_i32 s19, 3
	s_cbranch_scc0 .LBB30_2248
; %bb.2245:
	s_wait_loadcnt 0x0
	global_load_b64 v[2:3], v[4:5], off
	s_mov_b32 s22, 0
	s_branch .LBB30_2249
.LBB30_2246:
	s_mov_b32 s22, -1
                                        ; implicit-def: $vgpr2
	s_branch .LBB30_2255
.LBB30_2247:
	s_mov_b32 s22, -1
                                        ; implicit-def: $vgpr2
	s_branch .LBB30_2252
.LBB30_2248:
	s_mov_b32 s22, -1
                                        ; implicit-def: $vgpr2
.LBB30_2249:
	s_delay_alu instid0(SALU_CYCLE_1)
	s_and_not1_b32 vcc_lo, exec_lo, s22
	s_cbranch_vccnz .LBB30_2251
; %bb.2250:
	s_wait_loadcnt 0x0
	global_load_b32 v2, v[4:5], off
.LBB30_2251:
	s_mov_b32 s22, 0
.LBB30_2252:
	s_delay_alu instid0(SALU_CYCLE_1)
	s_and_not1_b32 vcc_lo, exec_lo, s22
	s_cbranch_vccnz .LBB30_2254
; %bb.2253:
	s_wait_loadcnt 0x0
	global_load_u16 v2, v[4:5], off
.LBB30_2254:
	s_mov_b32 s22, 0
.LBB30_2255:
	s_delay_alu instid0(SALU_CYCLE_1)
	s_and_not1_b32 vcc_lo, exec_lo, s22
	s_cbranch_vccnz .LBB30_2261
; %bb.2256:
	s_cmp_gt_i32 s19, 0
	s_mov_b32 s19, 0
	s_cbranch_scc0 .LBB30_2258
; %bb.2257:
	s_wait_loadcnt 0x0
	global_load_u8 v2, v[4:5], off
	s_branch .LBB30_2259
.LBB30_2258:
	s_mov_b32 s19, -1
                                        ; implicit-def: $vgpr2
.LBB30_2259:
	s_delay_alu instid0(SALU_CYCLE_1)
	s_and_not1_b32 vcc_lo, exec_lo, s19
	s_cbranch_vccnz .LBB30_2261
; %bb.2260:
	s_wait_loadcnt 0x0
	global_load_u8 v2, v[4:5], off
.LBB30_2261:
.LBB30_2262:
	v_mul_lo_u32 v10, s15, v26
	s_and_b32 s17, s17, 0xff
	s_delay_alu instid0(SALU_CYCLE_1) | instskip(NEXT) | instid1(VALU_DEP_1)
	s_cmp_lt_i32 s17, 11
	v_ashrrev_i32_e32 v11, 31, v10
	s_delay_alu instid0(VALU_DEP_1)
	v_add_nc_u64_e32 v[12:13], s[10:11], v[10:11]
	s_cbranch_scc1 .LBB30_2269
; %bb.2263:
	s_and_b32 s19, 0xffff, s17
	s_mov_b32 s23, 0
	s_cmp_gt_i32 s19, 25
	s_cbranch_scc0 .LBB30_2271
; %bb.2264:
	s_cmp_gt_i32 s19, 28
	s_cbranch_scc0 .LBB30_2272
; %bb.2265:
	;; [unrolled: 3-line block ×4, first 2 shown]
	s_cmp_eq_u32 s19, 46
	s_mov_b32 s25, 0
	s_cbranch_scc0 .LBB30_2276
; %bb.2268:
	s_wait_loadcnt 0x0
	global_load_b32 v1, v[12:13], off
	s_mov_b32 s22, 0
	s_mov_b32 s24, -1
	s_wait_loadcnt 0x0
	v_lshlrev_b32_e32 v1, 16, v1
	s_delay_alu instid0(VALU_DEP_1) | instskip(SKIP_1) | instid1(VALU_DEP_1)
	v_trunc_f32_e32 v1, v1
	s_wait_xcnt 0x1
	v_mul_f32_e64 v3, 0x2f800000, |v1|
	s_delay_alu instid0(VALU_DEP_1) | instskip(NEXT) | instid1(VALU_DEP_1)
	v_floor_f32_e32 v3, v3
	v_fma_f32 v3, 0xcf800000, v3, |v1|
	v_ashrrev_i32_e32 v1, 31, v1
	s_delay_alu instid0(VALU_DEP_2) | instskip(NEXT) | instid1(VALU_DEP_1)
	v_cvt_u32_f32_e32 v3, v3
	v_xor_b32_e32 v3, v3, v1
	s_delay_alu instid0(VALU_DEP_1)
	v_sub_nc_u32_e32 v4, v3, v1
	s_branch .LBB30_2278
.LBB30_2269:
	s_mov_b32 s24, 0
                                        ; implicit-def: $vgpr4
	s_cbranch_execnz .LBB30_2340
.LBB30_2270:
	s_and_not1_b32 vcc_lo, exec_lo, s24
	s_cbranch_vccnz .LBB30_3968
	s_branch .LBB30_2388
.LBB30_2271:
	s_mov_b32 s25, -1
	s_mov_b32 s24, 0
	s_mov_b32 s22, 0
                                        ; implicit-def: $vgpr4
	s_branch .LBB30_2305
.LBB30_2272:
	s_mov_b32 s25, -1
	s_mov_b32 s24, 0
	s_mov_b32 s22, 0
                                        ; implicit-def: $vgpr4
	s_branch .LBB30_2288
.LBB30_2273:
	s_mov_b32 s25, -1
	s_mov_b32 s24, 0
	s_mov_b32 s22, 0
                                        ; implicit-def: $vgpr4
	s_branch .LBB30_2283
.LBB30_2274:
	s_or_b32 s16, s16, exec_lo
	s_trap 2
	s_cbranch_execz .LBB30_2213
	s_branch .LBB30_2214
.LBB30_2275:
	s_mov_b32 s25, -1
	s_mov_b32 s24, 0
	s_mov_b32 s22, 0
	s_branch .LBB30_2277
.LBB30_2276:
	s_mov_b32 s22, -1
	s_mov_b32 s24, 0
.LBB30_2277:
                                        ; implicit-def: $vgpr4
.LBB30_2278:
	s_and_b32 vcc_lo, exec_lo, s25
	s_cbranch_vccz .LBB30_2282
; %bb.2279:
	s_cmp_eq_u32 s19, 44
	s_cbranch_scc0 .LBB30_2281
; %bb.2280:
	s_wait_loadcnt 0x0
	global_load_u8 v1, v[12:13], off
	s_mov_b32 s22, 0
	s_mov_b32 s24, -1
	s_wait_loadcnt 0x0
	s_wait_xcnt 0x1
	v_lshlrev_b32_e32 v3, 23, v1
	v_cmp_ne_u32_e32 vcc_lo, 0, v1
	s_delay_alu instid0(VALU_DEP_2) | instskip(NEXT) | instid1(VALU_DEP_1)
	v_trunc_f32_e32 v3, v3
	v_mul_f32_e64 v4, 0x2f800000, |v3|
	s_delay_alu instid0(VALU_DEP_1) | instskip(NEXT) | instid1(VALU_DEP_1)
	v_floor_f32_e32 v4, v4
	v_fma_f32 v4, 0xcf800000, v4, |v3|
	v_ashrrev_i32_e32 v3, 31, v3
	s_delay_alu instid0(VALU_DEP_2) | instskip(NEXT) | instid1(VALU_DEP_1)
	v_cvt_u32_f32_e32 v4, v4
	v_xor_b32_e32 v4, v4, v3
	s_delay_alu instid0(VALU_DEP_1) | instskip(NEXT) | instid1(VALU_DEP_1)
	v_sub_nc_u32_e32 v3, v4, v3
	v_cndmask_b32_e32 v4, 0, v3, vcc_lo
	s_branch .LBB30_2282
.LBB30_2281:
	s_mov_b32 s22, -1
                                        ; implicit-def: $vgpr4
.LBB30_2282:
	s_mov_b32 s25, 0
.LBB30_2283:
	s_delay_alu instid0(SALU_CYCLE_1)
	s_and_b32 vcc_lo, exec_lo, s25
	s_cbranch_vccz .LBB30_2287
; %bb.2284:
	s_cmp_eq_u32 s19, 29
	s_cbranch_scc0 .LBB30_2286
; %bb.2285:
	global_load_b64 v[4:5], v[12:13], off
	s_mov_b32 s22, 0
	s_mov_b32 s24, -1
	s_branch .LBB30_2287
.LBB30_2286:
	s_mov_b32 s22, -1
                                        ; implicit-def: $vgpr4
.LBB30_2287:
	s_mov_b32 s25, 0
.LBB30_2288:
	s_delay_alu instid0(SALU_CYCLE_1)
	s_and_b32 vcc_lo, exec_lo, s25
	s_cbranch_vccz .LBB30_2304
; %bb.2289:
	s_cmp_lt_i32 s19, 27
	s_cbranch_scc1 .LBB30_2292
; %bb.2290:
	s_cmp_gt_i32 s19, 27
	s_cbranch_scc0 .LBB30_2293
; %bb.2291:
	s_wait_loadcnt 0x0
	global_load_b32 v4, v[12:13], off
	s_mov_b32 s24, 0
	s_branch .LBB30_2294
.LBB30_2292:
	s_mov_b32 s24, -1
                                        ; implicit-def: $vgpr4
	s_branch .LBB30_2297
.LBB30_2293:
	s_mov_b32 s24, -1
                                        ; implicit-def: $vgpr4
.LBB30_2294:
	s_delay_alu instid0(SALU_CYCLE_1)
	s_and_not1_b32 vcc_lo, exec_lo, s24
	s_cbranch_vccnz .LBB30_2296
; %bb.2295:
	s_wait_loadcnt 0x0
	global_load_u16 v4, v[12:13], off
.LBB30_2296:
	s_mov_b32 s24, 0
.LBB30_2297:
	s_delay_alu instid0(SALU_CYCLE_1)
	s_and_not1_b32 vcc_lo, exec_lo, s24
	s_cbranch_vccnz .LBB30_2303
; %bb.2298:
	s_wait_loadcnt 0x0
	global_load_u8 v1, v[12:13], off
	s_mov_b32 s25, 0
	s_mov_b32 s24, exec_lo
	s_wait_loadcnt 0x0
	v_cmpx_lt_i16_e32 0x7f, v1
	s_xor_b32 s24, exec_lo, s24
	s_cbranch_execz .LBB30_2315
; %bb.2299:
	v_cmp_ne_u16_e32 vcc_lo, 0x80, v1
	s_and_b32 s25, vcc_lo, exec_lo
	s_and_not1_saveexec_b32 s24, s24
	s_cbranch_execnz .LBB30_2316
.LBB30_2300:
	s_or_b32 exec_lo, exec_lo, s24
	v_mov_b32_e32 v4, 0
	s_and_saveexec_b32 s24, s25
	s_cbranch_execz .LBB30_2302
.LBB30_2301:
	v_and_b32_e32 v3, 0xffff, v1
	s_delay_alu instid0(VALU_DEP_1) | instskip(SKIP_1) | instid1(VALU_DEP_2)
	v_and_b32_e32 v4, 7, v3
	v_bfe_u32 v9, v3, 3, 4
	v_clz_i32_u32_e32 v5, v4
	s_delay_alu instid0(VALU_DEP_2) | instskip(NEXT) | instid1(VALU_DEP_2)
	v_cmp_eq_u32_e32 vcc_lo, 0, v9
	v_min_u32_e32 v5, 32, v5
	s_delay_alu instid0(VALU_DEP_1) | instskip(NEXT) | instid1(VALU_DEP_1)
	v_subrev_nc_u32_e32 v7, 28, v5
	v_dual_lshlrev_b32 v3, v7, v3 :: v_dual_sub_nc_u32 v5, 29, v5
	s_delay_alu instid0(VALU_DEP_1) | instskip(NEXT) | instid1(VALU_DEP_1)
	v_dual_lshlrev_b32 v1, 24, v1 :: v_dual_bitop2_b32 v3, 7, v3 bitop3:0x40
	v_dual_cndmask_b32 v3, v4, v3, vcc_lo :: v_dual_cndmask_b32 v5, v9, v5, vcc_lo
	s_delay_alu instid0(VALU_DEP_2) | instskip(NEXT) | instid1(VALU_DEP_2)
	v_and_b32_e32 v1, 0x80000000, v1
	v_lshlrev_b32_e32 v3, 20, v3
	s_delay_alu instid0(VALU_DEP_3) | instskip(NEXT) | instid1(VALU_DEP_1)
	v_lshl_add_u32 v4, v5, 23, 0x3b800000
	v_or3_b32 v1, v1, v4, v3
	s_delay_alu instid0(VALU_DEP_1) | instskip(NEXT) | instid1(VALU_DEP_1)
	v_trunc_f32_e32 v1, v1
	v_mul_f32_e64 v3, 0x2f800000, |v1|
	s_delay_alu instid0(VALU_DEP_1) | instskip(NEXT) | instid1(VALU_DEP_1)
	v_floor_f32_e32 v3, v3
	v_fma_f32 v3, 0xcf800000, v3, |v1|
	v_ashrrev_i32_e32 v1, 31, v1
	s_delay_alu instid0(VALU_DEP_2) | instskip(NEXT) | instid1(VALU_DEP_1)
	v_cvt_u32_f32_e32 v3, v3
	v_xor_b32_e32 v3, v3, v1
	s_delay_alu instid0(VALU_DEP_1)
	v_sub_nc_u32_e32 v4, v3, v1
.LBB30_2302:
	s_or_b32 exec_lo, exec_lo, s24
.LBB30_2303:
	s_mov_b32 s24, -1
.LBB30_2304:
	s_mov_b32 s25, 0
.LBB30_2305:
	s_delay_alu instid0(SALU_CYCLE_1)
	s_and_b32 vcc_lo, exec_lo, s25
	s_cbranch_vccz .LBB30_2336
; %bb.2306:
	s_cmp_gt_i32 s19, 22
	s_cbranch_scc0 .LBB30_2314
; %bb.2307:
	s_cmp_lt_i32 s19, 24
	s_cbranch_scc1 .LBB30_2317
; %bb.2308:
	s_cmp_gt_i32 s19, 24
	s_cbranch_scc0 .LBB30_2318
; %bb.2309:
	s_wait_loadcnt 0x0
	global_load_u8 v1, v[12:13], off
	s_mov_b32 s24, 0
	s_mov_b32 s23, exec_lo
	s_wait_loadcnt 0x0
	v_cmpx_lt_i16_e32 0x7f, v1
	s_xor_b32 s23, exec_lo, s23
	s_cbranch_execz .LBB30_2330
; %bb.2310:
	v_cmp_ne_u16_e32 vcc_lo, 0x80, v1
	s_and_b32 s24, vcc_lo, exec_lo
	s_and_not1_saveexec_b32 s23, s23
	s_cbranch_execnz .LBB30_2331
.LBB30_2311:
	s_or_b32 exec_lo, exec_lo, s23
	v_mov_b32_e32 v4, 0
	s_and_saveexec_b32 s23, s24
	s_cbranch_execz .LBB30_2313
.LBB30_2312:
	v_and_b32_e32 v3, 0xffff, v1
	s_delay_alu instid0(VALU_DEP_1) | instskip(SKIP_1) | instid1(VALU_DEP_2)
	v_and_b32_e32 v4, 3, v3
	v_bfe_u32 v9, v3, 2, 5
	v_clz_i32_u32_e32 v5, v4
	s_delay_alu instid0(VALU_DEP_2) | instskip(NEXT) | instid1(VALU_DEP_2)
	v_cmp_eq_u32_e32 vcc_lo, 0, v9
	v_min_u32_e32 v5, 32, v5
	s_delay_alu instid0(VALU_DEP_1) | instskip(NEXT) | instid1(VALU_DEP_1)
	v_subrev_nc_u32_e32 v7, 29, v5
	v_dual_lshlrev_b32 v3, v7, v3 :: v_dual_sub_nc_u32 v5, 30, v5
	s_delay_alu instid0(VALU_DEP_1) | instskip(NEXT) | instid1(VALU_DEP_1)
	v_dual_lshlrev_b32 v1, 24, v1 :: v_dual_bitop2_b32 v3, 3, v3 bitop3:0x40
	v_dual_cndmask_b32 v3, v4, v3, vcc_lo :: v_dual_cndmask_b32 v5, v9, v5, vcc_lo
	s_delay_alu instid0(VALU_DEP_2) | instskip(NEXT) | instid1(VALU_DEP_2)
	v_and_b32_e32 v1, 0x80000000, v1
	v_lshlrev_b32_e32 v3, 21, v3
	s_delay_alu instid0(VALU_DEP_3) | instskip(NEXT) | instid1(VALU_DEP_1)
	v_lshl_add_u32 v4, v5, 23, 0x37800000
	v_or3_b32 v1, v1, v4, v3
	s_delay_alu instid0(VALU_DEP_1) | instskip(NEXT) | instid1(VALU_DEP_1)
	v_trunc_f32_e32 v1, v1
	v_mul_f32_e64 v3, 0x2f800000, |v1|
	s_delay_alu instid0(VALU_DEP_1) | instskip(NEXT) | instid1(VALU_DEP_1)
	v_floor_f32_e32 v3, v3
	v_fma_f32 v3, 0xcf800000, v3, |v1|
	v_ashrrev_i32_e32 v1, 31, v1
	s_delay_alu instid0(VALU_DEP_2) | instskip(NEXT) | instid1(VALU_DEP_1)
	v_cvt_u32_f32_e32 v3, v3
	v_xor_b32_e32 v3, v3, v1
	s_delay_alu instid0(VALU_DEP_1)
	v_sub_nc_u32_e32 v4, v3, v1
.LBB30_2313:
	s_or_b32 exec_lo, exec_lo, s23
	s_mov_b32 s23, 0
	s_branch .LBB30_2319
.LBB30_2314:
	s_mov_b32 s23, -1
                                        ; implicit-def: $vgpr4
	s_branch .LBB30_2325
.LBB30_2315:
	s_and_not1_saveexec_b32 s24, s24
	s_cbranch_execz .LBB30_2300
.LBB30_2316:
	v_cmp_ne_u16_e32 vcc_lo, 0, v1
	s_and_not1_b32 s25, s25, exec_lo
	s_and_b32 s26, vcc_lo, exec_lo
	s_delay_alu instid0(SALU_CYCLE_1)
	s_or_b32 s25, s25, s26
	s_or_b32 exec_lo, exec_lo, s24
	v_mov_b32_e32 v4, 0
	s_and_saveexec_b32 s24, s25
	s_cbranch_execnz .LBB30_2301
	s_branch .LBB30_2302
.LBB30_2317:
	s_mov_b32 s23, -1
                                        ; implicit-def: $vgpr4
	s_branch .LBB30_2322
.LBB30_2318:
	s_mov_b32 s23, -1
                                        ; implicit-def: $vgpr4
.LBB30_2319:
	s_delay_alu instid0(SALU_CYCLE_1)
	s_and_b32 vcc_lo, exec_lo, s23
	s_cbranch_vccz .LBB30_2321
; %bb.2320:
	s_wait_loadcnt 0x0
	global_load_u8 v1, v[12:13], off
	s_wait_loadcnt 0x0
	v_lshlrev_b32_e32 v1, 24, v1
	s_wait_xcnt 0x1
	s_delay_alu instid0(VALU_DEP_1) | instskip(NEXT) | instid1(VALU_DEP_1)
	v_and_b32_e32 v3, 0x7f000000, v1
	v_clz_i32_u32_e32 v4, v3
	v_add_nc_u32_e32 v7, 0x1000000, v3
	v_cmp_ne_u32_e32 vcc_lo, 0, v3
	s_delay_alu instid0(VALU_DEP_3) | instskip(NEXT) | instid1(VALU_DEP_1)
	v_min_u32_e32 v4, 32, v4
	v_sub_nc_u32_e64 v4, v4, 4 clamp
	s_delay_alu instid0(VALU_DEP_1) | instskip(NEXT) | instid1(VALU_DEP_1)
	v_dual_lshlrev_b32 v5, v4, v3 :: v_dual_lshlrev_b32 v4, 23, v4
	v_lshrrev_b32_e32 v5, 4, v5
	s_delay_alu instid0(VALU_DEP_1) | instskip(NEXT) | instid1(VALU_DEP_1)
	v_dual_sub_nc_u32 v4, v5, v4 :: v_dual_ashrrev_i32 v5, 8, v7
	v_add_nc_u32_e32 v4, 0x3c000000, v4
	s_delay_alu instid0(VALU_DEP_1) | instskip(NEXT) | instid1(VALU_DEP_1)
	v_and_or_b32 v4, 0x7f800000, v5, v4
	v_cndmask_b32_e32 v3, 0, v4, vcc_lo
	s_delay_alu instid0(VALU_DEP_1) | instskip(NEXT) | instid1(VALU_DEP_1)
	v_and_or_b32 v1, 0x80000000, v1, v3
	v_trunc_f32_e32 v1, v1
	s_delay_alu instid0(VALU_DEP_1) | instskip(NEXT) | instid1(VALU_DEP_1)
	v_mul_f32_e64 v3, 0x2f800000, |v1|
	v_floor_f32_e32 v3, v3
	s_delay_alu instid0(VALU_DEP_1) | instskip(SKIP_1) | instid1(VALU_DEP_2)
	v_fma_f32 v3, 0xcf800000, v3, |v1|
	v_ashrrev_i32_e32 v1, 31, v1
	v_cvt_u32_f32_e32 v3, v3
	s_delay_alu instid0(VALU_DEP_1) | instskip(NEXT) | instid1(VALU_DEP_1)
	v_xor_b32_e32 v3, v3, v1
	v_sub_nc_u32_e32 v4, v3, v1
.LBB30_2321:
	s_mov_b32 s23, 0
.LBB30_2322:
	s_delay_alu instid0(SALU_CYCLE_1)
	s_and_not1_b32 vcc_lo, exec_lo, s23
	s_cbranch_vccnz .LBB30_2324
; %bb.2323:
	s_wait_loadcnt 0x0
	global_load_u8 v1, v[12:13], off
	s_wait_loadcnt 0x0
	s_wait_xcnt 0x1
	v_lshlrev_b32_e32 v3, 25, v1
	v_lshlrev_b16 v1, 8, v1
	s_delay_alu instid0(VALU_DEP_1) | instskip(NEXT) | instid1(VALU_DEP_3)
	v_and_or_b32 v5, 0x7f00, v1, 0.5
	v_lshrrev_b32_e32 v4, 4, v3
	v_bfe_i32 v1, v1, 0, 16
	s_delay_alu instid0(VALU_DEP_3) | instskip(NEXT) | instid1(VALU_DEP_3)
	v_add_f32_e32 v5, -0.5, v5
	v_or_b32_e32 v4, 0x70000000, v4
	s_delay_alu instid0(VALU_DEP_1) | instskip(SKIP_1) | instid1(VALU_DEP_2)
	v_mul_f32_e32 v4, 0x7800000, v4
	v_cmp_gt_u32_e32 vcc_lo, 0x8000000, v3
	v_cndmask_b32_e32 v3, v4, v5, vcc_lo
	s_delay_alu instid0(VALU_DEP_1) | instskip(NEXT) | instid1(VALU_DEP_1)
	v_and_or_b32 v1, 0x80000000, v1, v3
	v_trunc_f32_e32 v1, v1
	s_delay_alu instid0(VALU_DEP_1) | instskip(NEXT) | instid1(VALU_DEP_1)
	v_mul_f32_e64 v3, 0x2f800000, |v1|
	v_floor_f32_e32 v3, v3
	s_delay_alu instid0(VALU_DEP_1) | instskip(SKIP_1) | instid1(VALU_DEP_2)
	v_fma_f32 v3, 0xcf800000, v3, |v1|
	v_ashrrev_i32_e32 v1, 31, v1
	v_cvt_u32_f32_e32 v3, v3
	s_delay_alu instid0(VALU_DEP_1) | instskip(NEXT) | instid1(VALU_DEP_1)
	v_xor_b32_e32 v3, v3, v1
	v_sub_nc_u32_e32 v4, v3, v1
.LBB30_2324:
	s_mov_b32 s23, 0
	s_mov_b32 s24, -1
.LBB30_2325:
	s_and_not1_b32 vcc_lo, exec_lo, s23
	s_mov_b32 s23, 0
	s_cbranch_vccnz .LBB30_2336
; %bb.2326:
	s_cmp_gt_i32 s19, 14
	s_cbranch_scc0 .LBB30_2329
; %bb.2327:
	s_cmp_eq_u32 s19, 15
	s_cbranch_scc0 .LBB30_2332
; %bb.2328:
	s_wait_loadcnt 0x0
	global_load_u16 v1, v[12:13], off
	s_mov_b32 s22, 0
	s_mov_b32 s24, -1
	s_wait_loadcnt 0x0
	v_lshlrev_b32_e32 v1, 16, v1
	s_delay_alu instid0(VALU_DEP_1) | instskip(SKIP_1) | instid1(VALU_DEP_1)
	v_trunc_f32_e32 v1, v1
	s_wait_xcnt 0x1
	v_mul_f32_e64 v3, 0x2f800000, |v1|
	s_delay_alu instid0(VALU_DEP_1) | instskip(NEXT) | instid1(VALU_DEP_1)
	v_floor_f32_e32 v3, v3
	v_fma_f32 v3, 0xcf800000, v3, |v1|
	v_ashrrev_i32_e32 v1, 31, v1
	s_delay_alu instid0(VALU_DEP_2) | instskip(NEXT) | instid1(VALU_DEP_1)
	v_cvt_u32_f32_e32 v3, v3
	v_xor_b32_e32 v3, v3, v1
	s_delay_alu instid0(VALU_DEP_1)
	v_sub_nc_u32_e32 v4, v3, v1
	s_branch .LBB30_2334
.LBB30_2329:
	s_mov_b32 s23, -1
	s_branch .LBB30_2333
.LBB30_2330:
	s_and_not1_saveexec_b32 s23, s23
	s_cbranch_execz .LBB30_2311
.LBB30_2331:
	v_cmp_ne_u16_e32 vcc_lo, 0, v1
	s_and_not1_b32 s24, s24, exec_lo
	s_and_b32 s25, vcc_lo, exec_lo
	s_delay_alu instid0(SALU_CYCLE_1)
	s_or_b32 s24, s24, s25
	s_or_b32 exec_lo, exec_lo, s23
	v_mov_b32_e32 v4, 0
	s_and_saveexec_b32 s23, s24
	s_cbranch_execnz .LBB30_2312
	s_branch .LBB30_2313
.LBB30_2332:
	s_mov_b32 s22, -1
.LBB30_2333:
                                        ; implicit-def: $vgpr4
.LBB30_2334:
	s_and_b32 vcc_lo, exec_lo, s23
	s_mov_b32 s23, 0
	s_cbranch_vccz .LBB30_2336
; %bb.2335:
	s_cmp_lg_u32 s19, 11
	s_mov_b32 s23, -1
	s_cselect_b32 s22, -1, 0
.LBB30_2336:
	s_delay_alu instid0(SALU_CYCLE_1)
	s_and_b32 vcc_lo, exec_lo, s22
	s_cbranch_vccnz .LBB30_2399
; %bb.2337:
	s_and_not1_b32 vcc_lo, exec_lo, s23
	s_cbranch_vccnz .LBB30_2339
.LBB30_2338:
	s_wait_loadcnt 0x0
	global_load_u8 v1, v[12:13], off
	s_mov_b32 s24, -1
	s_wait_loadcnt 0x0
	v_cmp_ne_u16_e32 vcc_lo, 0, v1
	s_wait_xcnt 0x1
	v_cndmask_b32_e64 v4, 0, 1, vcc_lo
.LBB30_2339:
	s_branch .LBB30_2270
.LBB30_2340:
	s_and_b32 s19, 0xffff, s17
	s_delay_alu instid0(SALU_CYCLE_1)
	s_cmp_lt_i32 s19, 5
	s_cbranch_scc1 .LBB30_2345
; %bb.2341:
	s_cmp_lt_i32 s19, 8
	s_cbranch_scc1 .LBB30_2346
; %bb.2342:
	;; [unrolled: 3-line block ×3, first 2 shown]
	s_cmp_gt_i32 s19, 9
	s_cbranch_scc0 .LBB30_2348
; %bb.2344:
	s_wait_loadcnt 0x0
	global_load_b64 v[4:5], v[12:13], off
	s_mov_b32 s22, 0
	s_wait_loadcnt 0x0
	v_trunc_f64_e32 v[4:5], v[4:5]
	s_delay_alu instid0(VALU_DEP_1) | instskip(NEXT) | instid1(VALU_DEP_1)
	v_ldexp_f64 v[14:15], v[4:5], 0xffffffe0
	v_floor_f64_e32 v[14:15], v[14:15]
	s_delay_alu instid0(VALU_DEP_1) | instskip(NEXT) | instid1(VALU_DEP_1)
	v_fmamk_f64 v[4:5], v[14:15], 0xc1f00000, v[4:5]
	v_cvt_u32_f64_e32 v4, v[4:5]
	s_branch .LBB30_2349
.LBB30_2345:
	s_mov_b32 s22, -1
                                        ; implicit-def: $vgpr4
	s_branch .LBB30_2367
.LBB30_2346:
	s_mov_b32 s22, -1
                                        ; implicit-def: $vgpr4
	s_branch .LBB30_2355
.LBB30_2347:
	s_mov_b32 s22, -1
                                        ; implicit-def: $vgpr4
	s_branch .LBB30_2352
.LBB30_2348:
	s_mov_b32 s22, -1
                                        ; implicit-def: $vgpr4
.LBB30_2349:
	s_delay_alu instid0(SALU_CYCLE_1)
	s_and_not1_b32 vcc_lo, exec_lo, s22
	s_cbranch_vccnz .LBB30_2351
; %bb.2350:
	s_wait_loadcnt 0x0
	global_load_b32 v1, v[12:13], off
	s_wait_loadcnt 0x0
	v_trunc_f32_e32 v1, v1
	s_wait_xcnt 0x1
	s_delay_alu instid0(VALU_DEP_1) | instskip(NEXT) | instid1(VALU_DEP_1)
	v_mul_f32_e64 v3, 0x2f800000, |v1|
	v_floor_f32_e32 v3, v3
	s_delay_alu instid0(VALU_DEP_1) | instskip(SKIP_1) | instid1(VALU_DEP_2)
	v_fma_f32 v3, 0xcf800000, v3, |v1|
	v_ashrrev_i32_e32 v1, 31, v1
	v_cvt_u32_f32_e32 v3, v3
	s_delay_alu instid0(VALU_DEP_1) | instskip(NEXT) | instid1(VALU_DEP_1)
	v_xor_b32_e32 v3, v3, v1
	v_sub_nc_u32_e32 v4, v3, v1
.LBB30_2351:
	s_mov_b32 s22, 0
.LBB30_2352:
	s_delay_alu instid0(SALU_CYCLE_1)
	s_and_not1_b32 vcc_lo, exec_lo, s22
	s_cbranch_vccnz .LBB30_2354
; %bb.2353:
	s_wait_loadcnt 0x0
	global_load_b32 v1, v[12:13], off
	s_wait_loadcnt 0x0
	v_cvt_f32_f16_e32 v1, v1
	s_wait_xcnt 0x1
	s_delay_alu instid0(VALU_DEP_1)
	v_cvt_i32_f32_e32 v4, v1
.LBB30_2354:
	s_mov_b32 s22, 0
.LBB30_2355:
	s_delay_alu instid0(SALU_CYCLE_1)
	s_and_not1_b32 vcc_lo, exec_lo, s22
	s_cbranch_vccnz .LBB30_2366
; %bb.2356:
	s_cmp_lt_i32 s19, 6
	s_cbranch_scc1 .LBB30_2359
; %bb.2357:
	s_cmp_gt_i32 s19, 6
	s_cbranch_scc0 .LBB30_2360
; %bb.2358:
	s_wait_loadcnt 0x0
	global_load_b64 v[4:5], v[12:13], off
	s_mov_b32 s22, 0
	s_wait_loadcnt 0x0
	v_trunc_f64_e32 v[4:5], v[4:5]
	s_delay_alu instid0(VALU_DEP_1) | instskip(NEXT) | instid1(VALU_DEP_1)
	v_ldexp_f64 v[14:15], v[4:5], 0xffffffe0
	v_floor_f64_e32 v[14:15], v[14:15]
	s_delay_alu instid0(VALU_DEP_1) | instskip(NEXT) | instid1(VALU_DEP_1)
	v_fmamk_f64 v[4:5], v[14:15], 0xc1f00000, v[4:5]
	v_cvt_u32_f64_e32 v4, v[4:5]
	s_branch .LBB30_2361
.LBB30_2359:
	s_mov_b32 s22, -1
                                        ; implicit-def: $vgpr4
	s_branch .LBB30_2364
.LBB30_2360:
	s_mov_b32 s22, -1
                                        ; implicit-def: $vgpr4
.LBB30_2361:
	s_delay_alu instid0(SALU_CYCLE_1)
	s_and_not1_b32 vcc_lo, exec_lo, s22
	s_cbranch_vccnz .LBB30_2363
; %bb.2362:
	s_wait_loadcnt 0x0
	global_load_b32 v1, v[12:13], off
	s_wait_loadcnt 0x0
	v_trunc_f32_e32 v1, v1
	s_wait_xcnt 0x1
	s_delay_alu instid0(VALU_DEP_1) | instskip(NEXT) | instid1(VALU_DEP_1)
	v_mul_f32_e64 v3, 0x2f800000, |v1|
	v_floor_f32_e32 v3, v3
	s_delay_alu instid0(VALU_DEP_1) | instskip(SKIP_1) | instid1(VALU_DEP_2)
	v_fma_f32 v3, 0xcf800000, v3, |v1|
	v_ashrrev_i32_e32 v1, 31, v1
	v_cvt_u32_f32_e32 v3, v3
	s_delay_alu instid0(VALU_DEP_1) | instskip(NEXT) | instid1(VALU_DEP_1)
	v_xor_b32_e32 v3, v3, v1
	v_sub_nc_u32_e32 v4, v3, v1
.LBB30_2363:
	s_mov_b32 s22, 0
.LBB30_2364:
	s_delay_alu instid0(SALU_CYCLE_1)
	s_and_not1_b32 vcc_lo, exec_lo, s22
	s_cbranch_vccnz .LBB30_2366
; %bb.2365:
	s_wait_loadcnt 0x0
	global_load_u16 v1, v[12:13], off
	s_wait_loadcnt 0x0
	v_cvt_f32_f16_e32 v1, v1
	s_wait_xcnt 0x1
	s_delay_alu instid0(VALU_DEP_1)
	v_cvt_i32_f32_e32 v4, v1
.LBB30_2366:
	s_mov_b32 s22, 0
.LBB30_2367:
	s_delay_alu instid0(SALU_CYCLE_1)
	s_and_not1_b32 vcc_lo, exec_lo, s22
	s_cbranch_vccnz .LBB30_2387
; %bb.2368:
	s_cmp_lt_i32 s19, 2
	s_cbranch_scc1 .LBB30_2372
; %bb.2369:
	s_cmp_lt_i32 s19, 3
	s_cbranch_scc1 .LBB30_2373
; %bb.2370:
	s_cmp_gt_i32 s19, 3
	s_cbranch_scc0 .LBB30_2374
; %bb.2371:
	s_wait_loadcnt 0x0
	global_load_b64 v[4:5], v[12:13], off
	s_mov_b32 s22, 0
	s_branch .LBB30_2375
.LBB30_2372:
	s_mov_b32 s22, -1
                                        ; implicit-def: $vgpr4
	s_branch .LBB30_2381
.LBB30_2373:
	s_mov_b32 s22, -1
                                        ; implicit-def: $vgpr4
	s_branch .LBB30_2378
.LBB30_2374:
	s_mov_b32 s22, -1
                                        ; implicit-def: $vgpr4
.LBB30_2375:
	s_delay_alu instid0(SALU_CYCLE_1)
	s_and_not1_b32 vcc_lo, exec_lo, s22
	s_cbranch_vccnz .LBB30_2377
; %bb.2376:
	s_wait_loadcnt 0x0
	global_load_b32 v4, v[12:13], off
.LBB30_2377:
	s_mov_b32 s22, 0
.LBB30_2378:
	s_delay_alu instid0(SALU_CYCLE_1)
	s_and_not1_b32 vcc_lo, exec_lo, s22
	s_cbranch_vccnz .LBB30_2380
; %bb.2379:
	s_wait_loadcnt 0x0
	global_load_u16 v4, v[12:13], off
.LBB30_2380:
	s_mov_b32 s22, 0
.LBB30_2381:
	s_delay_alu instid0(SALU_CYCLE_1)
	s_and_not1_b32 vcc_lo, exec_lo, s22
	s_cbranch_vccnz .LBB30_2387
; %bb.2382:
	s_cmp_gt_i32 s19, 0
	s_mov_b32 s19, 0
	s_cbranch_scc0 .LBB30_2384
; %bb.2383:
	s_wait_loadcnt 0x0
	global_load_u8 v4, v[12:13], off
	s_branch .LBB30_2385
.LBB30_2384:
	s_mov_b32 s19, -1
                                        ; implicit-def: $vgpr4
.LBB30_2385:
	s_delay_alu instid0(SALU_CYCLE_1)
	s_and_not1_b32 vcc_lo, exec_lo, s19
	s_cbranch_vccnz .LBB30_2387
; %bb.2386:
	s_wait_loadcnt 0x0
	global_load_u8 v4, v[12:13], off
.LBB30_2387:
.LBB30_2388:
	s_lshl_b32 s13, s13, 7
	s_cmp_lt_i32 s0, 11
	s_wait_xcnt 0x0
	v_add_nc_u32_e32 v12, s13, v6
	s_delay_alu instid0(VALU_DEP_1) | instskip(NEXT) | instid1(VALU_DEP_1)
	v_ashrrev_i32_e32 v13, 31, v12
	v_add_nc_u64_e32 v[14:15], s[6:7], v[12:13]
	s_cbranch_scc1 .LBB30_2395
; %bb.2389:
	s_and_b32 s19, 0xffff, s0
	s_mov_b32 s23, 0
	s_cmp_gt_i32 s19, 25
	s_cbranch_scc0 .LBB30_2396
; %bb.2390:
	s_cmp_gt_i32 s19, 28
	s_cbranch_scc0 .LBB30_2397
; %bb.2391:
	;; [unrolled: 3-line block ×4, first 2 shown]
	s_cmp_eq_u32 s19, 46
	s_mov_b32 s25, 0
	s_cbranch_scc0 .LBB30_2401
; %bb.2394:
	s_wait_loadcnt 0x0
	global_load_b32 v1, v[14:15], off
	s_mov_b32 s22, 0
	s_mov_b32 s24, -1
	s_wait_loadcnt 0x0
	v_lshlrev_b32_e32 v1, 16, v1
	s_delay_alu instid0(VALU_DEP_1) | instskip(NEXT) | instid1(VALU_DEP_1)
	v_trunc_f32_e32 v1, v1
	v_mul_f32_e64 v3, 0x2f800000, |v1|
	s_delay_alu instid0(VALU_DEP_1) | instskip(NEXT) | instid1(VALU_DEP_1)
	v_floor_f32_e32 v3, v3
	v_fma_f32 v3, 0xcf800000, v3, |v1|
	v_ashrrev_i32_e32 v1, 31, v1
	s_delay_alu instid0(VALU_DEP_2) | instskip(NEXT) | instid1(VALU_DEP_1)
	v_cvt_u32_f32_e32 v3, v3
	v_xor_b32_e32 v3, v3, v1
	s_delay_alu instid0(VALU_DEP_1)
	v_sub_nc_u32_e32 v6, v3, v1
	s_branch .LBB30_2403
.LBB30_2395:
	s_mov_b32 s19, -1
	s_mov_b32 s24, 0
                                        ; implicit-def: $vgpr6
	s_branch .LBB30_2465
.LBB30_2396:
	s_mov_b32 s25, -1
	s_mov_b32 s24, 0
	s_mov_b32 s22, 0
                                        ; implicit-def: $vgpr6
	s_branch .LBB30_2430
.LBB30_2397:
	s_mov_b32 s25, -1
	s_mov_b32 s24, 0
	s_mov_b32 s22, 0
                                        ; implicit-def: $vgpr6
	s_branch .LBB30_2413
.LBB30_2398:
	s_mov_b32 s25, -1
	s_mov_b32 s24, 0
	s_mov_b32 s22, 0
                                        ; implicit-def: $vgpr6
	s_branch .LBB30_2408
.LBB30_2399:
	s_or_b32 s16, s16, exec_lo
	s_trap 2
	s_cbranch_execz .LBB30_2338
	s_branch .LBB30_2339
.LBB30_2400:
	s_mov_b32 s25, -1
	s_mov_b32 s24, 0
	s_mov_b32 s22, 0
	s_branch .LBB30_2402
.LBB30_2401:
	s_mov_b32 s22, -1
	s_mov_b32 s24, 0
.LBB30_2402:
                                        ; implicit-def: $vgpr6
.LBB30_2403:
	s_and_b32 vcc_lo, exec_lo, s25
	s_cbranch_vccz .LBB30_2407
; %bb.2404:
	s_cmp_eq_u32 s19, 44
	s_cbranch_scc0 .LBB30_2406
; %bb.2405:
	s_wait_loadcnt 0x0
	global_load_u8 v1, v[14:15], off
	s_mov_b32 s22, 0
	s_mov_b32 s24, -1
	s_wait_loadcnt 0x0
	v_lshlrev_b32_e32 v3, 23, v1
	v_cmp_ne_u32_e32 vcc_lo, 0, v1
	s_delay_alu instid0(VALU_DEP_2) | instskip(NEXT) | instid1(VALU_DEP_1)
	v_trunc_f32_e32 v3, v3
	v_mul_f32_e64 v5, 0x2f800000, |v3|
	s_delay_alu instid0(VALU_DEP_1) | instskip(NEXT) | instid1(VALU_DEP_1)
	v_floor_f32_e32 v5, v5
	v_fma_f32 v5, 0xcf800000, v5, |v3|
	v_ashrrev_i32_e32 v3, 31, v3
	s_delay_alu instid0(VALU_DEP_2) | instskip(NEXT) | instid1(VALU_DEP_1)
	v_cvt_u32_f32_e32 v5, v5
	v_xor_b32_e32 v5, v5, v3
	s_delay_alu instid0(VALU_DEP_1) | instskip(NEXT) | instid1(VALU_DEP_1)
	v_sub_nc_u32_e32 v3, v5, v3
	v_cndmask_b32_e32 v6, 0, v3, vcc_lo
	s_branch .LBB30_2407
.LBB30_2406:
	s_mov_b32 s22, -1
                                        ; implicit-def: $vgpr6
.LBB30_2407:
	s_mov_b32 s25, 0
.LBB30_2408:
	s_delay_alu instid0(SALU_CYCLE_1)
	s_and_b32 vcc_lo, exec_lo, s25
	s_cbranch_vccz .LBB30_2412
; %bb.2409:
	s_cmp_eq_u32 s19, 29
	s_cbranch_scc0 .LBB30_2411
; %bb.2410:
	global_load_b64 v[6:7], v[14:15], off
	s_mov_b32 s22, 0
	s_mov_b32 s24, -1
	s_branch .LBB30_2412
.LBB30_2411:
	s_mov_b32 s22, -1
                                        ; implicit-def: $vgpr6
.LBB30_2412:
	s_mov_b32 s25, 0
.LBB30_2413:
	s_delay_alu instid0(SALU_CYCLE_1)
	s_and_b32 vcc_lo, exec_lo, s25
	s_cbranch_vccz .LBB30_2429
; %bb.2414:
	s_cmp_lt_i32 s19, 27
	s_cbranch_scc1 .LBB30_2417
; %bb.2415:
	s_cmp_gt_i32 s19, 27
	s_cbranch_scc0 .LBB30_2418
; %bb.2416:
	s_wait_loadcnt 0x0
	global_load_b32 v6, v[14:15], off
	s_mov_b32 s24, 0
	s_branch .LBB30_2419
.LBB30_2417:
	s_mov_b32 s24, -1
                                        ; implicit-def: $vgpr6
	s_branch .LBB30_2422
.LBB30_2418:
	s_mov_b32 s24, -1
                                        ; implicit-def: $vgpr6
.LBB30_2419:
	s_delay_alu instid0(SALU_CYCLE_1)
	s_and_not1_b32 vcc_lo, exec_lo, s24
	s_cbranch_vccnz .LBB30_2421
; %bb.2420:
	s_wait_loadcnt 0x0
	global_load_u16 v6, v[14:15], off
.LBB30_2421:
	s_mov_b32 s24, 0
.LBB30_2422:
	s_delay_alu instid0(SALU_CYCLE_1)
	s_and_not1_b32 vcc_lo, exec_lo, s24
	s_cbranch_vccnz .LBB30_2428
; %bb.2423:
	s_wait_loadcnt 0x0
	global_load_u8 v1, v[14:15], off
	s_mov_b32 s25, 0
	s_mov_b32 s24, exec_lo
	s_wait_loadcnt 0x0
	v_cmpx_lt_i16_e32 0x7f, v1
	s_xor_b32 s24, exec_lo, s24
	s_cbranch_execz .LBB30_2440
; %bb.2424:
	v_cmp_ne_u16_e32 vcc_lo, 0x80, v1
	s_and_b32 s25, vcc_lo, exec_lo
	s_and_not1_saveexec_b32 s24, s24
	s_cbranch_execnz .LBB30_2441
.LBB30_2425:
	s_or_b32 exec_lo, exec_lo, s24
	v_mov_b32_e32 v6, 0
	s_and_saveexec_b32 s24, s25
	s_cbranch_execz .LBB30_2427
.LBB30_2426:
	v_and_b32_e32 v3, 0xffff, v1
	s_delay_alu instid0(VALU_DEP_1) | instskip(SKIP_1) | instid1(VALU_DEP_2)
	v_and_b32_e32 v5, 7, v3
	v_bfe_u32 v9, v3, 3, 4
	v_clz_i32_u32_e32 v6, v5
	s_delay_alu instid0(VALU_DEP_2) | instskip(NEXT) | instid1(VALU_DEP_2)
	v_cmp_eq_u32_e32 vcc_lo, 0, v9
	v_min_u32_e32 v6, 32, v6
	s_delay_alu instid0(VALU_DEP_1) | instskip(NEXT) | instid1(VALU_DEP_1)
	v_subrev_nc_u32_e32 v7, 28, v6
	v_dual_lshlrev_b32 v3, v7, v3 :: v_dual_sub_nc_u32 v6, 29, v6
	s_delay_alu instid0(VALU_DEP_1) | instskip(NEXT) | instid1(VALU_DEP_2)
	v_dual_lshlrev_b32 v1, 24, v1 :: v_dual_bitop2_b32 v3, 7, v3 bitop3:0x40
	v_cndmask_b32_e32 v6, v9, v6, vcc_lo
	s_delay_alu instid0(VALU_DEP_2) | instskip(NEXT) | instid1(VALU_DEP_3)
	v_cndmask_b32_e32 v3, v5, v3, vcc_lo
	v_and_b32_e32 v1, 0x80000000, v1
	s_delay_alu instid0(VALU_DEP_3) | instskip(NEXT) | instid1(VALU_DEP_3)
	v_lshl_add_u32 v5, v6, 23, 0x3b800000
	v_lshlrev_b32_e32 v3, 20, v3
	s_delay_alu instid0(VALU_DEP_1) | instskip(NEXT) | instid1(VALU_DEP_1)
	v_or3_b32 v1, v1, v5, v3
	v_trunc_f32_e32 v1, v1
	s_delay_alu instid0(VALU_DEP_1) | instskip(NEXT) | instid1(VALU_DEP_1)
	v_mul_f32_e64 v3, 0x2f800000, |v1|
	v_floor_f32_e32 v3, v3
	s_delay_alu instid0(VALU_DEP_1) | instskip(SKIP_1) | instid1(VALU_DEP_2)
	v_fma_f32 v3, 0xcf800000, v3, |v1|
	v_ashrrev_i32_e32 v1, 31, v1
	v_cvt_u32_f32_e32 v3, v3
	s_delay_alu instid0(VALU_DEP_1) | instskip(NEXT) | instid1(VALU_DEP_1)
	v_xor_b32_e32 v3, v3, v1
	v_sub_nc_u32_e32 v6, v3, v1
.LBB30_2427:
	s_or_b32 exec_lo, exec_lo, s24
.LBB30_2428:
	s_mov_b32 s24, -1
.LBB30_2429:
	s_mov_b32 s25, 0
.LBB30_2430:
	s_delay_alu instid0(SALU_CYCLE_1)
	s_and_b32 vcc_lo, exec_lo, s25
	s_cbranch_vccz .LBB30_2461
; %bb.2431:
	s_cmp_gt_i32 s19, 22
	s_cbranch_scc0 .LBB30_2439
; %bb.2432:
	s_cmp_lt_i32 s19, 24
	s_cbranch_scc1 .LBB30_2442
; %bb.2433:
	s_cmp_gt_i32 s19, 24
	s_cbranch_scc0 .LBB30_2443
; %bb.2434:
	s_wait_loadcnt 0x0
	global_load_u8 v1, v[14:15], off
	s_mov_b32 s24, 0
	s_mov_b32 s23, exec_lo
	s_wait_loadcnt 0x0
	v_cmpx_lt_i16_e32 0x7f, v1
	s_xor_b32 s23, exec_lo, s23
	s_cbranch_execz .LBB30_2455
; %bb.2435:
	v_cmp_ne_u16_e32 vcc_lo, 0x80, v1
	s_and_b32 s24, vcc_lo, exec_lo
	s_and_not1_saveexec_b32 s23, s23
	s_cbranch_execnz .LBB30_2456
.LBB30_2436:
	s_or_b32 exec_lo, exec_lo, s23
	v_mov_b32_e32 v6, 0
	s_and_saveexec_b32 s23, s24
	s_cbranch_execz .LBB30_2438
.LBB30_2437:
	v_and_b32_e32 v3, 0xffff, v1
	s_delay_alu instid0(VALU_DEP_1) | instskip(SKIP_1) | instid1(VALU_DEP_2)
	v_and_b32_e32 v5, 3, v3
	v_bfe_u32 v9, v3, 2, 5
	v_clz_i32_u32_e32 v6, v5
	s_delay_alu instid0(VALU_DEP_2) | instskip(NEXT) | instid1(VALU_DEP_2)
	v_cmp_eq_u32_e32 vcc_lo, 0, v9
	v_min_u32_e32 v6, 32, v6
	s_delay_alu instid0(VALU_DEP_1) | instskip(NEXT) | instid1(VALU_DEP_1)
	v_subrev_nc_u32_e32 v7, 29, v6
	v_dual_lshlrev_b32 v3, v7, v3 :: v_dual_sub_nc_u32 v6, 30, v6
	s_delay_alu instid0(VALU_DEP_1) | instskip(NEXT) | instid1(VALU_DEP_2)
	v_dual_lshlrev_b32 v1, 24, v1 :: v_dual_bitop2_b32 v3, 3, v3 bitop3:0x40
	v_cndmask_b32_e32 v6, v9, v6, vcc_lo
	s_delay_alu instid0(VALU_DEP_2) | instskip(NEXT) | instid1(VALU_DEP_3)
	v_cndmask_b32_e32 v3, v5, v3, vcc_lo
	v_and_b32_e32 v1, 0x80000000, v1
	s_delay_alu instid0(VALU_DEP_3) | instskip(NEXT) | instid1(VALU_DEP_3)
	v_lshl_add_u32 v5, v6, 23, 0x37800000
	v_lshlrev_b32_e32 v3, 21, v3
	s_delay_alu instid0(VALU_DEP_1) | instskip(NEXT) | instid1(VALU_DEP_1)
	v_or3_b32 v1, v1, v5, v3
	v_trunc_f32_e32 v1, v1
	s_delay_alu instid0(VALU_DEP_1) | instskip(NEXT) | instid1(VALU_DEP_1)
	v_mul_f32_e64 v3, 0x2f800000, |v1|
	v_floor_f32_e32 v3, v3
	s_delay_alu instid0(VALU_DEP_1) | instskip(SKIP_1) | instid1(VALU_DEP_2)
	v_fma_f32 v3, 0xcf800000, v3, |v1|
	v_ashrrev_i32_e32 v1, 31, v1
	v_cvt_u32_f32_e32 v3, v3
	s_delay_alu instid0(VALU_DEP_1) | instskip(NEXT) | instid1(VALU_DEP_1)
	v_xor_b32_e32 v3, v3, v1
	v_sub_nc_u32_e32 v6, v3, v1
.LBB30_2438:
	s_or_b32 exec_lo, exec_lo, s23
	s_mov_b32 s23, 0
	s_branch .LBB30_2444
.LBB30_2439:
	s_mov_b32 s23, -1
                                        ; implicit-def: $vgpr6
	s_branch .LBB30_2450
.LBB30_2440:
	s_and_not1_saveexec_b32 s24, s24
	s_cbranch_execz .LBB30_2425
.LBB30_2441:
	v_cmp_ne_u16_e32 vcc_lo, 0, v1
	s_and_not1_b32 s25, s25, exec_lo
	s_and_b32 s26, vcc_lo, exec_lo
	s_delay_alu instid0(SALU_CYCLE_1)
	s_or_b32 s25, s25, s26
	s_or_b32 exec_lo, exec_lo, s24
	v_mov_b32_e32 v6, 0
	s_and_saveexec_b32 s24, s25
	s_cbranch_execnz .LBB30_2426
	s_branch .LBB30_2427
.LBB30_2442:
	s_mov_b32 s23, -1
                                        ; implicit-def: $vgpr6
	s_branch .LBB30_2447
.LBB30_2443:
	s_mov_b32 s23, -1
                                        ; implicit-def: $vgpr6
.LBB30_2444:
	s_delay_alu instid0(SALU_CYCLE_1)
	s_and_b32 vcc_lo, exec_lo, s23
	s_cbranch_vccz .LBB30_2446
; %bb.2445:
	s_wait_loadcnt 0x0
	global_load_u8 v1, v[14:15], off
	s_wait_loadcnt 0x0
	v_lshlrev_b32_e32 v1, 24, v1
	s_delay_alu instid0(VALU_DEP_1) | instskip(NEXT) | instid1(VALU_DEP_1)
	v_and_b32_e32 v3, 0x7f000000, v1
	v_clz_i32_u32_e32 v5, v3
	v_add_nc_u32_e32 v7, 0x1000000, v3
	v_cmp_ne_u32_e32 vcc_lo, 0, v3
	s_delay_alu instid0(VALU_DEP_3) | instskip(NEXT) | instid1(VALU_DEP_1)
	v_min_u32_e32 v5, 32, v5
	v_sub_nc_u32_e64 v5, v5, 4 clamp
	s_delay_alu instid0(VALU_DEP_1) | instskip(NEXT) | instid1(VALU_DEP_1)
	v_dual_lshlrev_b32 v6, v5, v3 :: v_dual_lshlrev_b32 v5, 23, v5
	v_lshrrev_b32_e32 v6, 4, v6
	s_delay_alu instid0(VALU_DEP_1) | instskip(NEXT) | instid1(VALU_DEP_1)
	v_dual_sub_nc_u32 v5, v6, v5 :: v_dual_ashrrev_i32 v6, 8, v7
	v_add_nc_u32_e32 v5, 0x3c000000, v5
	s_delay_alu instid0(VALU_DEP_1) | instskip(NEXT) | instid1(VALU_DEP_1)
	v_and_or_b32 v5, 0x7f800000, v6, v5
	v_cndmask_b32_e32 v3, 0, v5, vcc_lo
	s_delay_alu instid0(VALU_DEP_1) | instskip(NEXT) | instid1(VALU_DEP_1)
	v_and_or_b32 v1, 0x80000000, v1, v3
	v_trunc_f32_e32 v1, v1
	s_delay_alu instid0(VALU_DEP_1) | instskip(NEXT) | instid1(VALU_DEP_1)
	v_mul_f32_e64 v3, 0x2f800000, |v1|
	v_floor_f32_e32 v3, v3
	s_delay_alu instid0(VALU_DEP_1) | instskip(SKIP_1) | instid1(VALU_DEP_2)
	v_fma_f32 v3, 0xcf800000, v3, |v1|
	v_ashrrev_i32_e32 v1, 31, v1
	v_cvt_u32_f32_e32 v3, v3
	s_delay_alu instid0(VALU_DEP_1) | instskip(NEXT) | instid1(VALU_DEP_1)
	v_xor_b32_e32 v3, v3, v1
	v_sub_nc_u32_e32 v6, v3, v1
.LBB30_2446:
	s_mov_b32 s23, 0
.LBB30_2447:
	s_delay_alu instid0(SALU_CYCLE_1)
	s_and_not1_b32 vcc_lo, exec_lo, s23
	s_cbranch_vccnz .LBB30_2449
; %bb.2448:
	s_wait_loadcnt 0x0
	global_load_u8 v1, v[14:15], off
	s_wait_loadcnt 0x0
	v_lshlrev_b32_e32 v3, 25, v1
	v_lshlrev_b16 v1, 8, v1
	s_delay_alu instid0(VALU_DEP_1) | instskip(SKIP_1) | instid1(VALU_DEP_2)
	v_and_or_b32 v6, 0x7f00, v1, 0.5
	v_bfe_i32 v1, v1, 0, 16
	v_dual_add_f32 v6, -0.5, v6 :: v_dual_lshrrev_b32 v5, 4, v3
	v_cmp_gt_u32_e32 vcc_lo, 0x8000000, v3
	s_delay_alu instid0(VALU_DEP_2) | instskip(NEXT) | instid1(VALU_DEP_1)
	v_or_b32_e32 v5, 0x70000000, v5
	v_mul_f32_e32 v5, 0x7800000, v5
	s_delay_alu instid0(VALU_DEP_1) | instskip(NEXT) | instid1(VALU_DEP_1)
	v_cndmask_b32_e32 v3, v5, v6, vcc_lo
	v_and_or_b32 v1, 0x80000000, v1, v3
	s_delay_alu instid0(VALU_DEP_1) | instskip(NEXT) | instid1(VALU_DEP_1)
	v_trunc_f32_e32 v1, v1
	v_mul_f32_e64 v3, 0x2f800000, |v1|
	s_delay_alu instid0(VALU_DEP_1) | instskip(NEXT) | instid1(VALU_DEP_1)
	v_floor_f32_e32 v3, v3
	v_fma_f32 v3, 0xcf800000, v3, |v1|
	v_ashrrev_i32_e32 v1, 31, v1
	s_delay_alu instid0(VALU_DEP_2) | instskip(NEXT) | instid1(VALU_DEP_1)
	v_cvt_u32_f32_e32 v3, v3
	v_xor_b32_e32 v3, v3, v1
	s_delay_alu instid0(VALU_DEP_1)
	v_sub_nc_u32_e32 v6, v3, v1
.LBB30_2449:
	s_mov_b32 s23, 0
	s_mov_b32 s24, -1
.LBB30_2450:
	s_and_not1_b32 vcc_lo, exec_lo, s23
	s_mov_b32 s23, 0
	s_cbranch_vccnz .LBB30_2461
; %bb.2451:
	s_cmp_gt_i32 s19, 14
	s_cbranch_scc0 .LBB30_2454
; %bb.2452:
	s_cmp_eq_u32 s19, 15
	s_cbranch_scc0 .LBB30_2457
; %bb.2453:
	s_wait_loadcnt 0x0
	global_load_u16 v1, v[14:15], off
	s_mov_b32 s22, 0
	s_mov_b32 s24, -1
	s_wait_loadcnt 0x0
	v_lshlrev_b32_e32 v1, 16, v1
	s_delay_alu instid0(VALU_DEP_1) | instskip(NEXT) | instid1(VALU_DEP_1)
	v_trunc_f32_e32 v1, v1
	v_mul_f32_e64 v3, 0x2f800000, |v1|
	s_delay_alu instid0(VALU_DEP_1) | instskip(NEXT) | instid1(VALU_DEP_1)
	v_floor_f32_e32 v3, v3
	v_fma_f32 v3, 0xcf800000, v3, |v1|
	v_ashrrev_i32_e32 v1, 31, v1
	s_delay_alu instid0(VALU_DEP_2) | instskip(NEXT) | instid1(VALU_DEP_1)
	v_cvt_u32_f32_e32 v3, v3
	v_xor_b32_e32 v3, v3, v1
	s_delay_alu instid0(VALU_DEP_1)
	v_sub_nc_u32_e32 v6, v3, v1
	s_branch .LBB30_2459
.LBB30_2454:
	s_mov_b32 s23, -1
	s_branch .LBB30_2458
.LBB30_2455:
	s_and_not1_saveexec_b32 s23, s23
	s_cbranch_execz .LBB30_2436
.LBB30_2456:
	v_cmp_ne_u16_e32 vcc_lo, 0, v1
	s_and_not1_b32 s24, s24, exec_lo
	s_and_b32 s25, vcc_lo, exec_lo
	s_delay_alu instid0(SALU_CYCLE_1)
	s_or_b32 s24, s24, s25
	s_or_b32 exec_lo, exec_lo, s23
	v_mov_b32_e32 v6, 0
	s_and_saveexec_b32 s23, s24
	s_cbranch_execnz .LBB30_2437
	s_branch .LBB30_2438
.LBB30_2457:
	s_mov_b32 s22, -1
.LBB30_2458:
                                        ; implicit-def: $vgpr6
.LBB30_2459:
	s_and_b32 vcc_lo, exec_lo, s23
	s_mov_b32 s23, 0
	s_cbranch_vccz .LBB30_2461
; %bb.2460:
	s_cmp_lg_u32 s19, 11
	s_mov_b32 s23, -1
	s_cselect_b32 s22, -1, 0
.LBB30_2461:
	s_delay_alu instid0(SALU_CYCLE_1)
	s_and_b32 vcc_lo, exec_lo, s22
	s_cbranch_vccnz .LBB30_2526
; %bb.2462:
	s_and_not1_b32 vcc_lo, exec_lo, s23
	s_cbranch_vccnz .LBB30_2464
.LBB30_2463:
	s_wait_loadcnt 0x0
	global_load_u8 v1, v[14:15], off
	s_mov_b32 s24, -1
	s_wait_loadcnt 0x0
	v_cmp_ne_u16_e32 vcc_lo, 0, v1
	v_cndmask_b32_e64 v6, 0, 1, vcc_lo
.LBB30_2464:
	s_mov_b32 s19, 0
.LBB30_2465:
	s_delay_alu instid0(SALU_CYCLE_1)
	s_and_b32 vcc_lo, exec_lo, s19
	s_cbranch_vccz .LBB30_2514
; %bb.2466:
	s_and_b32 s19, 0xffff, s0
	s_delay_alu instid0(SALU_CYCLE_1)
	s_cmp_lt_i32 s19, 5
	s_cbranch_scc1 .LBB30_2471
; %bb.2467:
	s_cmp_lt_i32 s19, 8
	s_cbranch_scc1 .LBB30_2472
; %bb.2468:
	;; [unrolled: 3-line block ×3, first 2 shown]
	s_cmp_gt_i32 s19, 9
	s_cbranch_scc0 .LBB30_2474
; %bb.2470:
	s_wait_loadcnt 0x0
	global_load_b64 v[6:7], v[14:15], off
	s_mov_b32 s22, 0
	s_wait_loadcnt 0x0
	v_trunc_f64_e32 v[6:7], v[6:7]
	s_delay_alu instid0(VALU_DEP_1) | instskip(NEXT) | instid1(VALU_DEP_1)
	v_ldexp_f64 v[16:17], v[6:7], 0xffffffe0
	v_floor_f64_e32 v[16:17], v[16:17]
	s_delay_alu instid0(VALU_DEP_1) | instskip(NEXT) | instid1(VALU_DEP_1)
	v_fmamk_f64 v[6:7], v[16:17], 0xc1f00000, v[6:7]
	v_cvt_u32_f64_e32 v6, v[6:7]
	s_branch .LBB30_2475
.LBB30_2471:
	s_mov_b32 s22, -1
                                        ; implicit-def: $vgpr6
	s_branch .LBB30_2493
.LBB30_2472:
	s_mov_b32 s22, -1
                                        ; implicit-def: $vgpr6
	s_branch .LBB30_2481
.LBB30_2473:
	s_mov_b32 s22, -1
                                        ; implicit-def: $vgpr6
	s_branch .LBB30_2478
.LBB30_2474:
	s_mov_b32 s22, -1
                                        ; implicit-def: $vgpr6
.LBB30_2475:
	s_delay_alu instid0(SALU_CYCLE_1)
	s_and_not1_b32 vcc_lo, exec_lo, s22
	s_cbranch_vccnz .LBB30_2477
; %bb.2476:
	s_wait_loadcnt 0x0
	global_load_b32 v1, v[14:15], off
	s_wait_loadcnt 0x0
	v_trunc_f32_e32 v1, v1
	s_delay_alu instid0(VALU_DEP_1) | instskip(NEXT) | instid1(VALU_DEP_1)
	v_mul_f32_e64 v3, 0x2f800000, |v1|
	v_floor_f32_e32 v3, v3
	s_delay_alu instid0(VALU_DEP_1) | instskip(SKIP_1) | instid1(VALU_DEP_2)
	v_fma_f32 v3, 0xcf800000, v3, |v1|
	v_ashrrev_i32_e32 v1, 31, v1
	v_cvt_u32_f32_e32 v3, v3
	s_delay_alu instid0(VALU_DEP_1) | instskip(NEXT) | instid1(VALU_DEP_1)
	v_xor_b32_e32 v3, v3, v1
	v_sub_nc_u32_e32 v6, v3, v1
.LBB30_2477:
	s_mov_b32 s22, 0
.LBB30_2478:
	s_delay_alu instid0(SALU_CYCLE_1)
	s_and_not1_b32 vcc_lo, exec_lo, s22
	s_cbranch_vccnz .LBB30_2480
; %bb.2479:
	s_wait_loadcnt 0x0
	global_load_b32 v1, v[14:15], off
	s_wait_loadcnt 0x0
	v_cvt_f32_f16_e32 v1, v1
	s_delay_alu instid0(VALU_DEP_1)
	v_cvt_i32_f32_e32 v6, v1
.LBB30_2480:
	s_mov_b32 s22, 0
.LBB30_2481:
	s_delay_alu instid0(SALU_CYCLE_1)
	s_and_not1_b32 vcc_lo, exec_lo, s22
	s_cbranch_vccnz .LBB30_2492
; %bb.2482:
	s_cmp_lt_i32 s19, 6
	s_cbranch_scc1 .LBB30_2485
; %bb.2483:
	s_cmp_gt_i32 s19, 6
	s_cbranch_scc0 .LBB30_2486
; %bb.2484:
	s_wait_loadcnt 0x0
	global_load_b64 v[6:7], v[14:15], off
	s_mov_b32 s22, 0
	s_wait_loadcnt 0x0
	v_trunc_f64_e32 v[6:7], v[6:7]
	s_delay_alu instid0(VALU_DEP_1) | instskip(NEXT) | instid1(VALU_DEP_1)
	v_ldexp_f64 v[16:17], v[6:7], 0xffffffe0
	v_floor_f64_e32 v[16:17], v[16:17]
	s_delay_alu instid0(VALU_DEP_1) | instskip(NEXT) | instid1(VALU_DEP_1)
	v_fmamk_f64 v[6:7], v[16:17], 0xc1f00000, v[6:7]
	v_cvt_u32_f64_e32 v6, v[6:7]
	s_branch .LBB30_2487
.LBB30_2485:
	s_mov_b32 s22, -1
                                        ; implicit-def: $vgpr6
	s_branch .LBB30_2490
.LBB30_2486:
	s_mov_b32 s22, -1
                                        ; implicit-def: $vgpr6
.LBB30_2487:
	s_delay_alu instid0(SALU_CYCLE_1)
	s_and_not1_b32 vcc_lo, exec_lo, s22
	s_cbranch_vccnz .LBB30_2489
; %bb.2488:
	s_wait_loadcnt 0x0
	global_load_b32 v1, v[14:15], off
	s_wait_loadcnt 0x0
	v_trunc_f32_e32 v1, v1
	s_delay_alu instid0(VALU_DEP_1) | instskip(NEXT) | instid1(VALU_DEP_1)
	v_mul_f32_e64 v3, 0x2f800000, |v1|
	v_floor_f32_e32 v3, v3
	s_delay_alu instid0(VALU_DEP_1) | instskip(SKIP_1) | instid1(VALU_DEP_2)
	v_fma_f32 v3, 0xcf800000, v3, |v1|
	v_ashrrev_i32_e32 v1, 31, v1
	v_cvt_u32_f32_e32 v3, v3
	s_delay_alu instid0(VALU_DEP_1) | instskip(NEXT) | instid1(VALU_DEP_1)
	v_xor_b32_e32 v3, v3, v1
	v_sub_nc_u32_e32 v6, v3, v1
.LBB30_2489:
	s_mov_b32 s22, 0
.LBB30_2490:
	s_delay_alu instid0(SALU_CYCLE_1)
	s_and_not1_b32 vcc_lo, exec_lo, s22
	s_cbranch_vccnz .LBB30_2492
; %bb.2491:
	s_wait_loadcnt 0x0
	global_load_u16 v1, v[14:15], off
	s_wait_loadcnt 0x0
	v_cvt_f32_f16_e32 v1, v1
	s_delay_alu instid0(VALU_DEP_1)
	v_cvt_i32_f32_e32 v6, v1
.LBB30_2492:
	s_mov_b32 s22, 0
.LBB30_2493:
	s_delay_alu instid0(SALU_CYCLE_1)
	s_and_not1_b32 vcc_lo, exec_lo, s22
	s_cbranch_vccnz .LBB30_2513
; %bb.2494:
	s_cmp_lt_i32 s19, 2
	s_cbranch_scc1 .LBB30_2498
; %bb.2495:
	s_cmp_lt_i32 s19, 3
	s_cbranch_scc1 .LBB30_2499
; %bb.2496:
	s_cmp_gt_i32 s19, 3
	s_cbranch_scc0 .LBB30_2500
; %bb.2497:
	s_wait_loadcnt 0x0
	global_load_b64 v[6:7], v[14:15], off
	s_mov_b32 s22, 0
	s_branch .LBB30_2501
.LBB30_2498:
	s_mov_b32 s22, -1
                                        ; implicit-def: $vgpr6
	s_branch .LBB30_2507
.LBB30_2499:
	s_mov_b32 s22, -1
                                        ; implicit-def: $vgpr6
	s_branch .LBB30_2504
.LBB30_2500:
	s_mov_b32 s22, -1
                                        ; implicit-def: $vgpr6
.LBB30_2501:
	s_delay_alu instid0(SALU_CYCLE_1)
	s_and_not1_b32 vcc_lo, exec_lo, s22
	s_cbranch_vccnz .LBB30_2503
; %bb.2502:
	s_wait_loadcnt 0x0
	global_load_b32 v6, v[14:15], off
.LBB30_2503:
	s_mov_b32 s22, 0
.LBB30_2504:
	s_delay_alu instid0(SALU_CYCLE_1)
	s_and_not1_b32 vcc_lo, exec_lo, s22
	s_cbranch_vccnz .LBB30_2506
; %bb.2505:
	s_wait_loadcnt 0x0
	global_load_u16 v6, v[14:15], off
.LBB30_2506:
	s_mov_b32 s22, 0
.LBB30_2507:
	s_delay_alu instid0(SALU_CYCLE_1)
	s_and_not1_b32 vcc_lo, exec_lo, s22
	s_cbranch_vccnz .LBB30_2513
; %bb.2508:
	s_cmp_gt_i32 s19, 0
	s_mov_b32 s19, 0
	s_cbranch_scc0 .LBB30_2510
; %bb.2509:
	s_wait_loadcnt 0x0
	global_load_u8 v6, v[14:15], off
	s_branch .LBB30_2511
.LBB30_2510:
	s_mov_b32 s19, -1
                                        ; implicit-def: $vgpr6
.LBB30_2511:
	s_delay_alu instid0(SALU_CYCLE_1)
	s_and_not1_b32 vcc_lo, exec_lo, s19
	s_cbranch_vccnz .LBB30_2513
; %bb.2512:
	s_wait_loadcnt 0x0
	global_load_u8 v6, v[14:15], off
.LBB30_2513:
	s_mov_b32 s24, -1
.LBB30_2514:
	s_delay_alu instid0(SALU_CYCLE_1)
	s_and_not1_b32 vcc_lo, exec_lo, s24
	s_cbranch_vccnz .LBB30_3968
; %bb.2515:
	s_lshl_b32 s14, s14, 7
	s_cmp_lt_i32 s3, 11
	s_wait_xcnt 0x0
	v_add_nc_u32_e32 v14, s14, v8
	s_delay_alu instid0(VALU_DEP_1) | instskip(NEXT) | instid1(VALU_DEP_1)
	v_ashrrev_i32_e32 v15, 31, v14
	v_add_nc_u64_e32 v[16:17], s[8:9], v[14:15]
	s_cbranch_scc1 .LBB30_2522
; %bb.2516:
	s_and_b32 s19, 0xffff, s3
	s_mov_b32 s23, 0
	s_cmp_gt_i32 s19, 25
	s_cbranch_scc0 .LBB30_2523
; %bb.2517:
	s_cmp_gt_i32 s19, 28
	s_cbranch_scc0 .LBB30_2524
; %bb.2518:
	s_cmp_gt_i32 s19, 43
	s_cbranch_scc0 .LBB30_2525
; %bb.2519:
	s_cmp_gt_i32 s19, 45
	s_cbranch_scc0 .LBB30_2527
; %bb.2520:
	s_cmp_eq_u32 s19, 46
	s_mov_b32 s25, 0
	s_cbranch_scc0 .LBB30_2528
; %bb.2521:
	s_wait_loadcnt 0x0
	global_load_b32 v1, v[16:17], off
	s_mov_b32 s22, 0
	s_mov_b32 s24, -1
	s_wait_loadcnt 0x0
	v_lshlrev_b32_e32 v1, 16, v1
	s_delay_alu instid0(VALU_DEP_1) | instskip(NEXT) | instid1(VALU_DEP_1)
	v_trunc_f32_e32 v1, v1
	v_mul_f32_e64 v3, 0x2f800000, |v1|
	s_delay_alu instid0(VALU_DEP_1) | instskip(NEXT) | instid1(VALU_DEP_1)
	v_floor_f32_e32 v3, v3
	v_fma_f32 v3, 0xcf800000, v3, |v1|
	v_ashrrev_i32_e32 v1, 31, v1
	s_delay_alu instid0(VALU_DEP_2) | instskip(NEXT) | instid1(VALU_DEP_1)
	v_cvt_u32_f32_e32 v3, v3
	v_xor_b32_e32 v3, v3, v1
	s_delay_alu instid0(VALU_DEP_1)
	v_sub_nc_u32_e32 v8, v3, v1
	s_branch .LBB30_2530
.LBB30_2522:
	s_mov_b32 s19, -1
	s_mov_b32 s24, 0
                                        ; implicit-def: $vgpr8
	s_branch .LBB30_2592
.LBB30_2523:
	s_mov_b32 s25, -1
	s_mov_b32 s24, 0
	s_mov_b32 s22, 0
                                        ; implicit-def: $vgpr8
	s_branch .LBB30_2557
.LBB30_2524:
	s_mov_b32 s25, -1
	s_mov_b32 s24, 0
	s_mov_b32 s22, 0
                                        ; implicit-def: $vgpr8
	s_branch .LBB30_2540
.LBB30_2525:
	s_mov_b32 s25, -1
	s_mov_b32 s24, 0
	s_mov_b32 s22, 0
                                        ; implicit-def: $vgpr8
	s_branch .LBB30_2535
.LBB30_2526:
	s_or_b32 s16, s16, exec_lo
	s_trap 2
	s_cbranch_execz .LBB30_2463
	s_branch .LBB30_2464
.LBB30_2527:
	s_mov_b32 s25, -1
	s_mov_b32 s24, 0
	s_mov_b32 s22, 0
	s_branch .LBB30_2529
.LBB30_2528:
	s_mov_b32 s22, -1
	s_mov_b32 s24, 0
.LBB30_2529:
                                        ; implicit-def: $vgpr8
.LBB30_2530:
	s_and_b32 vcc_lo, exec_lo, s25
	s_cbranch_vccz .LBB30_2534
; %bb.2531:
	s_cmp_eq_u32 s19, 44
	s_cbranch_scc0 .LBB30_2533
; %bb.2532:
	s_wait_loadcnt 0x0
	global_load_u8 v1, v[16:17], off
	s_mov_b32 s22, 0
	s_mov_b32 s24, -1
	s_wait_loadcnt 0x0
	v_lshlrev_b32_e32 v3, 23, v1
	v_cmp_ne_u32_e32 vcc_lo, 0, v1
	s_delay_alu instid0(VALU_DEP_2) | instskip(NEXT) | instid1(VALU_DEP_1)
	v_trunc_f32_e32 v3, v3
	v_mul_f32_e64 v5, 0x2f800000, |v3|
	s_delay_alu instid0(VALU_DEP_1) | instskip(NEXT) | instid1(VALU_DEP_1)
	v_floor_f32_e32 v5, v5
	v_fma_f32 v5, 0xcf800000, v5, |v3|
	v_ashrrev_i32_e32 v3, 31, v3
	s_delay_alu instid0(VALU_DEP_2) | instskip(NEXT) | instid1(VALU_DEP_1)
	v_cvt_u32_f32_e32 v5, v5
	v_xor_b32_e32 v5, v5, v3
	s_delay_alu instid0(VALU_DEP_1) | instskip(NEXT) | instid1(VALU_DEP_1)
	v_sub_nc_u32_e32 v3, v5, v3
	v_cndmask_b32_e32 v8, 0, v3, vcc_lo
	s_branch .LBB30_2534
.LBB30_2533:
	s_mov_b32 s22, -1
                                        ; implicit-def: $vgpr8
.LBB30_2534:
	s_mov_b32 s25, 0
.LBB30_2535:
	s_delay_alu instid0(SALU_CYCLE_1)
	s_and_b32 vcc_lo, exec_lo, s25
	s_cbranch_vccz .LBB30_2539
; %bb.2536:
	s_cmp_eq_u32 s19, 29
	s_cbranch_scc0 .LBB30_2538
; %bb.2537:
	global_load_b64 v[8:9], v[16:17], off
	s_mov_b32 s22, 0
	s_mov_b32 s24, -1
	s_branch .LBB30_2539
.LBB30_2538:
	s_mov_b32 s22, -1
                                        ; implicit-def: $vgpr8
.LBB30_2539:
	s_mov_b32 s25, 0
.LBB30_2540:
	s_delay_alu instid0(SALU_CYCLE_1)
	s_and_b32 vcc_lo, exec_lo, s25
	s_cbranch_vccz .LBB30_2556
; %bb.2541:
	s_cmp_lt_i32 s19, 27
	s_cbranch_scc1 .LBB30_2544
; %bb.2542:
	s_cmp_gt_i32 s19, 27
	s_cbranch_scc0 .LBB30_2545
; %bb.2543:
	s_wait_loadcnt 0x0
	global_load_b32 v8, v[16:17], off
	s_mov_b32 s24, 0
	s_branch .LBB30_2546
.LBB30_2544:
	s_mov_b32 s24, -1
                                        ; implicit-def: $vgpr8
	s_branch .LBB30_2549
.LBB30_2545:
	s_mov_b32 s24, -1
                                        ; implicit-def: $vgpr8
.LBB30_2546:
	s_delay_alu instid0(SALU_CYCLE_1)
	s_and_not1_b32 vcc_lo, exec_lo, s24
	s_cbranch_vccnz .LBB30_2548
; %bb.2547:
	s_wait_loadcnt 0x0
	global_load_u16 v8, v[16:17], off
.LBB30_2548:
	s_mov_b32 s24, 0
.LBB30_2549:
	s_delay_alu instid0(SALU_CYCLE_1)
	s_and_not1_b32 vcc_lo, exec_lo, s24
	s_cbranch_vccnz .LBB30_2555
; %bb.2550:
	s_wait_loadcnt 0x0
	global_load_u8 v1, v[16:17], off
	s_mov_b32 s25, 0
	s_mov_b32 s24, exec_lo
	s_wait_loadcnt 0x0
	v_cmpx_lt_i16_e32 0x7f, v1
	s_xor_b32 s24, exec_lo, s24
	s_cbranch_execz .LBB30_2567
; %bb.2551:
	v_cmp_ne_u16_e32 vcc_lo, 0x80, v1
	s_and_b32 s25, vcc_lo, exec_lo
	s_and_not1_saveexec_b32 s24, s24
	s_cbranch_execnz .LBB30_2568
.LBB30_2552:
	s_or_b32 exec_lo, exec_lo, s24
	v_mov_b32_e32 v8, 0
	s_and_saveexec_b32 s24, s25
	s_cbranch_execz .LBB30_2554
.LBB30_2553:
	v_and_b32_e32 v3, 0xffff, v1
	s_delay_alu instid0(VALU_DEP_1) | instskip(SKIP_1) | instid1(VALU_DEP_2)
	v_dual_lshlrev_b32 v1, 24, v1 :: v_dual_bitop2_b32 v5, 7, v3 bitop3:0x40
	v_bfe_u32 v9, v3, 3, 4
	v_and_b32_e32 v1, 0x80000000, v1
	s_delay_alu instid0(VALU_DEP_3) | instskip(NEXT) | instid1(VALU_DEP_3)
	v_clz_i32_u32_e32 v7, v5
	v_cmp_eq_u32_e32 vcc_lo, 0, v9
	s_delay_alu instid0(VALU_DEP_2) | instskip(NEXT) | instid1(VALU_DEP_1)
	v_min_u32_e32 v7, 32, v7
	v_subrev_nc_u32_e32 v8, 28, v7
	v_sub_nc_u32_e32 v7, 29, v7
	s_delay_alu instid0(VALU_DEP_2) | instskip(NEXT) | instid1(VALU_DEP_2)
	v_lshlrev_b32_e32 v3, v8, v3
	v_cndmask_b32_e32 v7, v9, v7, vcc_lo
	s_delay_alu instid0(VALU_DEP_2) | instskip(NEXT) | instid1(VALU_DEP_1)
	v_and_b32_e32 v3, 7, v3
	v_cndmask_b32_e32 v3, v5, v3, vcc_lo
	s_delay_alu instid0(VALU_DEP_3) | instskip(NEXT) | instid1(VALU_DEP_2)
	v_lshl_add_u32 v5, v7, 23, 0x3b800000
	v_lshlrev_b32_e32 v3, 20, v3
	s_delay_alu instid0(VALU_DEP_1) | instskip(NEXT) | instid1(VALU_DEP_1)
	v_or3_b32 v1, v1, v5, v3
	v_trunc_f32_e32 v1, v1
	s_delay_alu instid0(VALU_DEP_1) | instskip(NEXT) | instid1(VALU_DEP_1)
	v_mul_f32_e64 v3, 0x2f800000, |v1|
	v_floor_f32_e32 v3, v3
	s_delay_alu instid0(VALU_DEP_1) | instskip(SKIP_1) | instid1(VALU_DEP_2)
	v_fma_f32 v3, 0xcf800000, v3, |v1|
	v_ashrrev_i32_e32 v1, 31, v1
	v_cvt_u32_f32_e32 v3, v3
	s_delay_alu instid0(VALU_DEP_1) | instskip(NEXT) | instid1(VALU_DEP_1)
	v_xor_b32_e32 v3, v3, v1
	v_sub_nc_u32_e32 v8, v3, v1
.LBB30_2554:
	s_or_b32 exec_lo, exec_lo, s24
.LBB30_2555:
	s_mov_b32 s24, -1
.LBB30_2556:
	s_mov_b32 s25, 0
.LBB30_2557:
	s_delay_alu instid0(SALU_CYCLE_1)
	s_and_b32 vcc_lo, exec_lo, s25
	s_cbranch_vccz .LBB30_2588
; %bb.2558:
	s_cmp_gt_i32 s19, 22
	s_cbranch_scc0 .LBB30_2566
; %bb.2559:
	s_cmp_lt_i32 s19, 24
	s_cbranch_scc1 .LBB30_2569
; %bb.2560:
	s_cmp_gt_i32 s19, 24
	s_cbranch_scc0 .LBB30_2570
; %bb.2561:
	s_wait_loadcnt 0x0
	global_load_u8 v1, v[16:17], off
	s_mov_b32 s24, 0
	s_mov_b32 s23, exec_lo
	s_wait_loadcnt 0x0
	v_cmpx_lt_i16_e32 0x7f, v1
	s_xor_b32 s23, exec_lo, s23
	s_cbranch_execz .LBB30_2582
; %bb.2562:
	v_cmp_ne_u16_e32 vcc_lo, 0x80, v1
	s_and_b32 s24, vcc_lo, exec_lo
	s_and_not1_saveexec_b32 s23, s23
	s_cbranch_execnz .LBB30_2583
.LBB30_2563:
	s_or_b32 exec_lo, exec_lo, s23
	v_mov_b32_e32 v8, 0
	s_and_saveexec_b32 s23, s24
	s_cbranch_execz .LBB30_2565
.LBB30_2564:
	v_and_b32_e32 v3, 0xffff, v1
	s_delay_alu instid0(VALU_DEP_1) | instskip(SKIP_1) | instid1(VALU_DEP_2)
	v_dual_lshlrev_b32 v1, 24, v1 :: v_dual_bitop2_b32 v5, 3, v3 bitop3:0x40
	v_bfe_u32 v9, v3, 2, 5
	v_and_b32_e32 v1, 0x80000000, v1
	s_delay_alu instid0(VALU_DEP_3) | instskip(NEXT) | instid1(VALU_DEP_3)
	v_clz_i32_u32_e32 v7, v5
	v_cmp_eq_u32_e32 vcc_lo, 0, v9
	s_delay_alu instid0(VALU_DEP_2) | instskip(NEXT) | instid1(VALU_DEP_1)
	v_min_u32_e32 v7, 32, v7
	v_subrev_nc_u32_e32 v8, 29, v7
	v_sub_nc_u32_e32 v7, 30, v7
	s_delay_alu instid0(VALU_DEP_2) | instskip(NEXT) | instid1(VALU_DEP_2)
	v_lshlrev_b32_e32 v3, v8, v3
	v_cndmask_b32_e32 v7, v9, v7, vcc_lo
	s_delay_alu instid0(VALU_DEP_2) | instskip(NEXT) | instid1(VALU_DEP_1)
	v_and_b32_e32 v3, 3, v3
	v_cndmask_b32_e32 v3, v5, v3, vcc_lo
	s_delay_alu instid0(VALU_DEP_3) | instskip(NEXT) | instid1(VALU_DEP_2)
	v_lshl_add_u32 v5, v7, 23, 0x37800000
	v_lshlrev_b32_e32 v3, 21, v3
	s_delay_alu instid0(VALU_DEP_1) | instskip(NEXT) | instid1(VALU_DEP_1)
	v_or3_b32 v1, v1, v5, v3
	v_trunc_f32_e32 v1, v1
	s_delay_alu instid0(VALU_DEP_1) | instskip(NEXT) | instid1(VALU_DEP_1)
	v_mul_f32_e64 v3, 0x2f800000, |v1|
	v_floor_f32_e32 v3, v3
	s_delay_alu instid0(VALU_DEP_1) | instskip(SKIP_1) | instid1(VALU_DEP_2)
	v_fma_f32 v3, 0xcf800000, v3, |v1|
	v_ashrrev_i32_e32 v1, 31, v1
	v_cvt_u32_f32_e32 v3, v3
	s_delay_alu instid0(VALU_DEP_1) | instskip(NEXT) | instid1(VALU_DEP_1)
	v_xor_b32_e32 v3, v3, v1
	v_sub_nc_u32_e32 v8, v3, v1
.LBB30_2565:
	s_or_b32 exec_lo, exec_lo, s23
	s_mov_b32 s23, 0
	s_branch .LBB30_2571
.LBB30_2566:
	s_mov_b32 s23, -1
                                        ; implicit-def: $vgpr8
	s_branch .LBB30_2577
.LBB30_2567:
	s_and_not1_saveexec_b32 s24, s24
	s_cbranch_execz .LBB30_2552
.LBB30_2568:
	v_cmp_ne_u16_e32 vcc_lo, 0, v1
	s_and_not1_b32 s25, s25, exec_lo
	s_and_b32 s26, vcc_lo, exec_lo
	s_delay_alu instid0(SALU_CYCLE_1)
	s_or_b32 s25, s25, s26
	s_or_b32 exec_lo, exec_lo, s24
	v_mov_b32_e32 v8, 0
	s_and_saveexec_b32 s24, s25
	s_cbranch_execnz .LBB30_2553
	s_branch .LBB30_2554
.LBB30_2569:
	s_mov_b32 s23, -1
                                        ; implicit-def: $vgpr8
	s_branch .LBB30_2574
.LBB30_2570:
	s_mov_b32 s23, -1
                                        ; implicit-def: $vgpr8
.LBB30_2571:
	s_delay_alu instid0(SALU_CYCLE_1)
	s_and_b32 vcc_lo, exec_lo, s23
	s_cbranch_vccz .LBB30_2573
; %bb.2572:
	s_wait_loadcnt 0x0
	global_load_u8 v1, v[16:17], off
	s_wait_loadcnt 0x0
	v_lshlrev_b32_e32 v1, 24, v1
	s_delay_alu instid0(VALU_DEP_1) | instskip(NEXT) | instid1(VALU_DEP_1)
	v_and_b32_e32 v3, 0x7f000000, v1
	v_clz_i32_u32_e32 v5, v3
	v_cmp_ne_u32_e32 vcc_lo, 0, v3
	v_add_nc_u32_e32 v8, 0x1000000, v3
	s_delay_alu instid0(VALU_DEP_3) | instskip(NEXT) | instid1(VALU_DEP_1)
	v_min_u32_e32 v5, 32, v5
	v_sub_nc_u32_e64 v5, v5, 4 clamp
	s_delay_alu instid0(VALU_DEP_1) | instskip(NEXT) | instid1(VALU_DEP_1)
	v_dual_lshlrev_b32 v7, v5, v3 :: v_dual_lshlrev_b32 v5, 23, v5
	v_lshrrev_b32_e32 v7, 4, v7
	s_delay_alu instid0(VALU_DEP_1) | instskip(NEXT) | instid1(VALU_DEP_1)
	v_dual_sub_nc_u32 v5, v7, v5 :: v_dual_ashrrev_i32 v7, 8, v8
	v_add_nc_u32_e32 v5, 0x3c000000, v5
	s_delay_alu instid0(VALU_DEP_1) | instskip(NEXT) | instid1(VALU_DEP_1)
	v_and_or_b32 v5, 0x7f800000, v7, v5
	v_cndmask_b32_e32 v3, 0, v5, vcc_lo
	s_delay_alu instid0(VALU_DEP_1) | instskip(NEXT) | instid1(VALU_DEP_1)
	v_and_or_b32 v1, 0x80000000, v1, v3
	v_trunc_f32_e32 v1, v1
	s_delay_alu instid0(VALU_DEP_1) | instskip(NEXT) | instid1(VALU_DEP_1)
	v_mul_f32_e64 v3, 0x2f800000, |v1|
	v_floor_f32_e32 v3, v3
	s_delay_alu instid0(VALU_DEP_1) | instskip(SKIP_1) | instid1(VALU_DEP_2)
	v_fma_f32 v3, 0xcf800000, v3, |v1|
	v_ashrrev_i32_e32 v1, 31, v1
	v_cvt_u32_f32_e32 v3, v3
	s_delay_alu instid0(VALU_DEP_1) | instskip(NEXT) | instid1(VALU_DEP_1)
	v_xor_b32_e32 v3, v3, v1
	v_sub_nc_u32_e32 v8, v3, v1
.LBB30_2573:
	s_mov_b32 s23, 0
.LBB30_2574:
	s_delay_alu instid0(SALU_CYCLE_1)
	s_and_not1_b32 vcc_lo, exec_lo, s23
	s_cbranch_vccnz .LBB30_2576
; %bb.2575:
	s_wait_loadcnt 0x0
	global_load_u8 v1, v[16:17], off
	s_wait_loadcnt 0x0
	v_lshlrev_b32_e32 v3, 25, v1
	v_lshlrev_b16 v1, 8, v1
	s_delay_alu instid0(VALU_DEP_1) | instskip(SKIP_1) | instid1(VALU_DEP_2)
	v_and_or_b32 v7, 0x7f00, v1, 0.5
	v_bfe_i32 v1, v1, 0, 16
	v_add_f32_e32 v7, -0.5, v7
	v_lshrrev_b32_e32 v5, 4, v3
	v_cmp_gt_u32_e32 vcc_lo, 0x8000000, v3
	s_delay_alu instid0(VALU_DEP_2) | instskip(NEXT) | instid1(VALU_DEP_1)
	v_or_b32_e32 v5, 0x70000000, v5
	v_mul_f32_e32 v5, 0x7800000, v5
	s_delay_alu instid0(VALU_DEP_1) | instskip(NEXT) | instid1(VALU_DEP_1)
	v_cndmask_b32_e32 v3, v5, v7, vcc_lo
	v_and_or_b32 v1, 0x80000000, v1, v3
	s_delay_alu instid0(VALU_DEP_1) | instskip(NEXT) | instid1(VALU_DEP_1)
	v_trunc_f32_e32 v1, v1
	v_mul_f32_e64 v3, 0x2f800000, |v1|
	s_delay_alu instid0(VALU_DEP_1) | instskip(NEXT) | instid1(VALU_DEP_1)
	v_floor_f32_e32 v3, v3
	v_fma_f32 v3, 0xcf800000, v3, |v1|
	v_ashrrev_i32_e32 v1, 31, v1
	s_delay_alu instid0(VALU_DEP_2) | instskip(NEXT) | instid1(VALU_DEP_1)
	v_cvt_u32_f32_e32 v3, v3
	v_xor_b32_e32 v3, v3, v1
	s_delay_alu instid0(VALU_DEP_1)
	v_sub_nc_u32_e32 v8, v3, v1
.LBB30_2576:
	s_mov_b32 s23, 0
	s_mov_b32 s24, -1
.LBB30_2577:
	s_and_not1_b32 vcc_lo, exec_lo, s23
	s_mov_b32 s23, 0
	s_cbranch_vccnz .LBB30_2588
; %bb.2578:
	s_cmp_gt_i32 s19, 14
	s_cbranch_scc0 .LBB30_2581
; %bb.2579:
	s_cmp_eq_u32 s19, 15
	s_cbranch_scc0 .LBB30_2584
; %bb.2580:
	s_wait_loadcnt 0x0
	global_load_u16 v1, v[16:17], off
	s_mov_b32 s22, 0
	s_mov_b32 s24, -1
	s_wait_loadcnt 0x0
	v_lshlrev_b32_e32 v1, 16, v1
	s_delay_alu instid0(VALU_DEP_1) | instskip(NEXT) | instid1(VALU_DEP_1)
	v_trunc_f32_e32 v1, v1
	v_mul_f32_e64 v3, 0x2f800000, |v1|
	s_delay_alu instid0(VALU_DEP_1) | instskip(NEXT) | instid1(VALU_DEP_1)
	v_floor_f32_e32 v3, v3
	v_fma_f32 v3, 0xcf800000, v3, |v1|
	v_ashrrev_i32_e32 v1, 31, v1
	s_delay_alu instid0(VALU_DEP_2) | instskip(NEXT) | instid1(VALU_DEP_1)
	v_cvt_u32_f32_e32 v3, v3
	v_xor_b32_e32 v3, v3, v1
	s_delay_alu instid0(VALU_DEP_1)
	v_sub_nc_u32_e32 v8, v3, v1
	s_branch .LBB30_2586
.LBB30_2581:
	s_mov_b32 s23, -1
	s_branch .LBB30_2585
.LBB30_2582:
	s_and_not1_saveexec_b32 s23, s23
	s_cbranch_execz .LBB30_2563
.LBB30_2583:
	v_cmp_ne_u16_e32 vcc_lo, 0, v1
	s_and_not1_b32 s24, s24, exec_lo
	s_and_b32 s25, vcc_lo, exec_lo
	s_delay_alu instid0(SALU_CYCLE_1)
	s_or_b32 s24, s24, s25
	s_or_b32 exec_lo, exec_lo, s23
	v_mov_b32_e32 v8, 0
	s_and_saveexec_b32 s23, s24
	s_cbranch_execnz .LBB30_2564
	s_branch .LBB30_2565
.LBB30_2584:
	s_mov_b32 s22, -1
.LBB30_2585:
                                        ; implicit-def: $vgpr8
.LBB30_2586:
	s_and_b32 vcc_lo, exec_lo, s23
	s_mov_b32 s23, 0
	s_cbranch_vccz .LBB30_2588
; %bb.2587:
	s_cmp_lg_u32 s19, 11
	s_mov_b32 s23, -1
	s_cselect_b32 s22, -1, 0
.LBB30_2588:
	s_delay_alu instid0(SALU_CYCLE_1)
	s_and_b32 vcc_lo, exec_lo, s22
	s_cbranch_vccnz .LBB30_2653
; %bb.2589:
	s_and_not1_b32 vcc_lo, exec_lo, s23
	s_cbranch_vccnz .LBB30_2591
.LBB30_2590:
	s_wait_loadcnt 0x0
	global_load_u8 v1, v[16:17], off
	s_mov_b32 s24, -1
	s_wait_loadcnt 0x0
	v_cmp_ne_u16_e32 vcc_lo, 0, v1
	v_cndmask_b32_e64 v8, 0, 1, vcc_lo
.LBB30_2591:
	s_mov_b32 s19, 0
.LBB30_2592:
	s_delay_alu instid0(SALU_CYCLE_1)
	s_and_b32 vcc_lo, exec_lo, s19
	s_cbranch_vccz .LBB30_2641
; %bb.2593:
	s_and_b32 s19, 0xffff, s3
	s_delay_alu instid0(SALU_CYCLE_1)
	s_cmp_lt_i32 s19, 5
	s_cbranch_scc1 .LBB30_2598
; %bb.2594:
	s_cmp_lt_i32 s19, 8
	s_cbranch_scc1 .LBB30_2599
; %bb.2595:
	;; [unrolled: 3-line block ×3, first 2 shown]
	s_cmp_gt_i32 s19, 9
	s_cbranch_scc0 .LBB30_2601
; %bb.2597:
	s_wait_loadcnt 0x0
	global_load_b64 v[8:9], v[16:17], off
	s_mov_b32 s22, 0
	s_wait_loadcnt 0x0
	v_trunc_f64_e32 v[8:9], v[8:9]
	s_delay_alu instid0(VALU_DEP_1) | instskip(NEXT) | instid1(VALU_DEP_1)
	v_ldexp_f64 v[18:19], v[8:9], 0xffffffe0
	v_floor_f64_e32 v[18:19], v[18:19]
	s_delay_alu instid0(VALU_DEP_1) | instskip(NEXT) | instid1(VALU_DEP_1)
	v_fmamk_f64 v[8:9], v[18:19], 0xc1f00000, v[8:9]
	v_cvt_u32_f64_e32 v8, v[8:9]
	s_branch .LBB30_2602
.LBB30_2598:
	s_mov_b32 s22, -1
                                        ; implicit-def: $vgpr8
	s_branch .LBB30_2620
.LBB30_2599:
	s_mov_b32 s22, -1
                                        ; implicit-def: $vgpr8
	s_branch .LBB30_2608
.LBB30_2600:
	s_mov_b32 s22, -1
                                        ; implicit-def: $vgpr8
	s_branch .LBB30_2605
.LBB30_2601:
	s_mov_b32 s22, -1
                                        ; implicit-def: $vgpr8
.LBB30_2602:
	s_delay_alu instid0(SALU_CYCLE_1)
	s_and_not1_b32 vcc_lo, exec_lo, s22
	s_cbranch_vccnz .LBB30_2604
; %bb.2603:
	s_wait_loadcnt 0x0
	global_load_b32 v1, v[16:17], off
	s_wait_loadcnt 0x0
	v_trunc_f32_e32 v1, v1
	s_delay_alu instid0(VALU_DEP_1) | instskip(NEXT) | instid1(VALU_DEP_1)
	v_mul_f32_e64 v3, 0x2f800000, |v1|
	v_floor_f32_e32 v3, v3
	s_delay_alu instid0(VALU_DEP_1) | instskip(SKIP_1) | instid1(VALU_DEP_2)
	v_fma_f32 v3, 0xcf800000, v3, |v1|
	v_ashrrev_i32_e32 v1, 31, v1
	v_cvt_u32_f32_e32 v3, v3
	s_delay_alu instid0(VALU_DEP_1) | instskip(NEXT) | instid1(VALU_DEP_1)
	v_xor_b32_e32 v3, v3, v1
	v_sub_nc_u32_e32 v8, v3, v1
.LBB30_2604:
	s_mov_b32 s22, 0
.LBB30_2605:
	s_delay_alu instid0(SALU_CYCLE_1)
	s_and_not1_b32 vcc_lo, exec_lo, s22
	s_cbranch_vccnz .LBB30_2607
; %bb.2606:
	s_wait_loadcnt 0x0
	global_load_b32 v1, v[16:17], off
	s_wait_loadcnt 0x0
	v_cvt_f32_f16_e32 v1, v1
	s_delay_alu instid0(VALU_DEP_1)
	v_cvt_i32_f32_e32 v8, v1
.LBB30_2607:
	s_mov_b32 s22, 0
.LBB30_2608:
	s_delay_alu instid0(SALU_CYCLE_1)
	s_and_not1_b32 vcc_lo, exec_lo, s22
	s_cbranch_vccnz .LBB30_2619
; %bb.2609:
	s_cmp_lt_i32 s19, 6
	s_cbranch_scc1 .LBB30_2612
; %bb.2610:
	s_cmp_gt_i32 s19, 6
	s_cbranch_scc0 .LBB30_2613
; %bb.2611:
	s_wait_loadcnt 0x0
	global_load_b64 v[8:9], v[16:17], off
	s_mov_b32 s22, 0
	s_wait_loadcnt 0x0
	v_trunc_f64_e32 v[8:9], v[8:9]
	s_delay_alu instid0(VALU_DEP_1) | instskip(NEXT) | instid1(VALU_DEP_1)
	v_ldexp_f64 v[18:19], v[8:9], 0xffffffe0
	v_floor_f64_e32 v[18:19], v[18:19]
	s_delay_alu instid0(VALU_DEP_1) | instskip(NEXT) | instid1(VALU_DEP_1)
	v_fmamk_f64 v[8:9], v[18:19], 0xc1f00000, v[8:9]
	v_cvt_u32_f64_e32 v8, v[8:9]
	s_branch .LBB30_2614
.LBB30_2612:
	s_mov_b32 s22, -1
                                        ; implicit-def: $vgpr8
	s_branch .LBB30_2617
.LBB30_2613:
	s_mov_b32 s22, -1
                                        ; implicit-def: $vgpr8
.LBB30_2614:
	s_delay_alu instid0(SALU_CYCLE_1)
	s_and_not1_b32 vcc_lo, exec_lo, s22
	s_cbranch_vccnz .LBB30_2616
; %bb.2615:
	s_wait_loadcnt 0x0
	global_load_b32 v1, v[16:17], off
	s_wait_loadcnt 0x0
	v_trunc_f32_e32 v1, v1
	s_delay_alu instid0(VALU_DEP_1) | instskip(NEXT) | instid1(VALU_DEP_1)
	v_mul_f32_e64 v3, 0x2f800000, |v1|
	v_floor_f32_e32 v3, v3
	s_delay_alu instid0(VALU_DEP_1) | instskip(SKIP_1) | instid1(VALU_DEP_2)
	v_fma_f32 v3, 0xcf800000, v3, |v1|
	v_ashrrev_i32_e32 v1, 31, v1
	v_cvt_u32_f32_e32 v3, v3
	s_delay_alu instid0(VALU_DEP_1) | instskip(NEXT) | instid1(VALU_DEP_1)
	v_xor_b32_e32 v3, v3, v1
	v_sub_nc_u32_e32 v8, v3, v1
.LBB30_2616:
	s_mov_b32 s22, 0
.LBB30_2617:
	s_delay_alu instid0(SALU_CYCLE_1)
	s_and_not1_b32 vcc_lo, exec_lo, s22
	s_cbranch_vccnz .LBB30_2619
; %bb.2618:
	s_wait_loadcnt 0x0
	global_load_u16 v1, v[16:17], off
	s_wait_loadcnt 0x0
	v_cvt_f32_f16_e32 v1, v1
	s_delay_alu instid0(VALU_DEP_1)
	v_cvt_i32_f32_e32 v8, v1
.LBB30_2619:
	s_mov_b32 s22, 0
.LBB30_2620:
	s_delay_alu instid0(SALU_CYCLE_1)
	s_and_not1_b32 vcc_lo, exec_lo, s22
	s_cbranch_vccnz .LBB30_2640
; %bb.2621:
	s_cmp_lt_i32 s19, 2
	s_cbranch_scc1 .LBB30_2625
; %bb.2622:
	s_cmp_lt_i32 s19, 3
	s_cbranch_scc1 .LBB30_2626
; %bb.2623:
	s_cmp_gt_i32 s19, 3
	s_cbranch_scc0 .LBB30_2627
; %bb.2624:
	s_wait_loadcnt 0x0
	global_load_b64 v[8:9], v[16:17], off
	s_mov_b32 s22, 0
	s_branch .LBB30_2628
.LBB30_2625:
	s_mov_b32 s22, -1
                                        ; implicit-def: $vgpr8
	s_branch .LBB30_2634
.LBB30_2626:
	s_mov_b32 s22, -1
                                        ; implicit-def: $vgpr8
	s_branch .LBB30_2631
.LBB30_2627:
	s_mov_b32 s22, -1
                                        ; implicit-def: $vgpr8
.LBB30_2628:
	s_delay_alu instid0(SALU_CYCLE_1)
	s_and_not1_b32 vcc_lo, exec_lo, s22
	s_cbranch_vccnz .LBB30_2630
; %bb.2629:
	s_wait_loadcnt 0x0
	global_load_b32 v8, v[16:17], off
.LBB30_2630:
	s_mov_b32 s22, 0
.LBB30_2631:
	s_delay_alu instid0(SALU_CYCLE_1)
	s_and_not1_b32 vcc_lo, exec_lo, s22
	s_cbranch_vccnz .LBB30_2633
; %bb.2632:
	s_wait_loadcnt 0x0
	global_load_u16 v8, v[16:17], off
.LBB30_2633:
	s_mov_b32 s22, 0
.LBB30_2634:
	s_delay_alu instid0(SALU_CYCLE_1)
	s_and_not1_b32 vcc_lo, exec_lo, s22
	s_cbranch_vccnz .LBB30_2640
; %bb.2635:
	s_cmp_gt_i32 s19, 0
	s_mov_b32 s19, 0
	s_cbranch_scc0 .LBB30_2637
; %bb.2636:
	s_wait_loadcnt 0x0
	global_load_u8 v8, v[16:17], off
	s_branch .LBB30_2638
.LBB30_2637:
	s_mov_b32 s19, -1
                                        ; implicit-def: $vgpr8
.LBB30_2638:
	s_delay_alu instid0(SALU_CYCLE_1)
	s_and_not1_b32 vcc_lo, exec_lo, s19
	s_cbranch_vccnz .LBB30_2640
; %bb.2639:
	s_wait_loadcnt 0x0
	global_load_u8 v8, v[16:17], off
.LBB30_2640:
	s_mov_b32 s24, -1
.LBB30_2641:
	s_delay_alu instid0(SALU_CYCLE_1)
	s_and_not1_b32 vcc_lo, exec_lo, s24
	s_cbranch_vccnz .LBB30_3968
; %bb.2642:
	s_lshl_b32 s15, s15, 7
	s_cmp_lt_i32 s17, 11
	s_wait_xcnt 0x0
	v_add_nc_u32_e32 v16, s15, v10
	s_delay_alu instid0(VALU_DEP_1) | instskip(NEXT) | instid1(VALU_DEP_1)
	v_ashrrev_i32_e32 v17, 31, v16
	v_add_nc_u64_e32 v[18:19], s[10:11], v[16:17]
	s_cbranch_scc1 .LBB30_2649
; %bb.2643:
	s_and_b32 s19, 0xffff, s17
	s_mov_b32 s23, 0
	s_cmp_gt_i32 s19, 25
	s_cbranch_scc0 .LBB30_2650
; %bb.2644:
	s_cmp_gt_i32 s19, 28
	s_cbranch_scc0 .LBB30_2651
; %bb.2645:
	;; [unrolled: 3-line block ×4, first 2 shown]
	s_cmp_eq_u32 s19, 46
	s_mov_b32 s25, 0
	s_cbranch_scc0 .LBB30_2657
; %bb.2648:
	s_wait_loadcnt 0x0
	global_load_b32 v1, v[18:19], off
	s_mov_b32 s22, 0
	s_mov_b32 s24, -1
	s_wait_loadcnt 0x0
	v_lshlrev_b32_e32 v1, 16, v1
	s_delay_alu instid0(VALU_DEP_1) | instskip(NEXT) | instid1(VALU_DEP_1)
	v_trunc_f32_e32 v1, v1
	v_mul_f32_e64 v3, 0x2f800000, |v1|
	s_delay_alu instid0(VALU_DEP_1) | instskip(NEXT) | instid1(VALU_DEP_1)
	v_floor_f32_e32 v3, v3
	v_fma_f32 v3, 0xcf800000, v3, |v1|
	v_ashrrev_i32_e32 v1, 31, v1
	s_delay_alu instid0(VALU_DEP_2) | instskip(NEXT) | instid1(VALU_DEP_1)
	v_cvt_u32_f32_e32 v3, v3
	v_xor_b32_e32 v3, v3, v1
	s_delay_alu instid0(VALU_DEP_1)
	v_sub_nc_u32_e32 v10, v3, v1
	s_branch .LBB30_2659
.LBB30_2649:
	s_mov_b32 s19, -1
	s_mov_b32 s24, 0
                                        ; implicit-def: $vgpr10
	s_branch .LBB30_2721
.LBB30_2650:
	s_mov_b32 s25, -1
	s_mov_b32 s24, 0
	s_mov_b32 s22, 0
                                        ; implicit-def: $vgpr10
	s_branch .LBB30_2686
.LBB30_2651:
	s_mov_b32 s25, -1
	s_mov_b32 s24, 0
	s_mov_b32 s22, 0
                                        ; implicit-def: $vgpr10
	s_branch .LBB30_2669
.LBB30_2652:
	s_mov_b32 s25, -1
	s_mov_b32 s24, 0
	s_mov_b32 s22, 0
                                        ; implicit-def: $vgpr10
	s_branch .LBB30_2664
.LBB30_2653:
	s_or_b32 s16, s16, exec_lo
	s_trap 2
	s_cbranch_execz .LBB30_2590
	s_branch .LBB30_2591
.LBB30_2654:
	s_mov_b32 s25, -1
	s_mov_b32 s24, 0
	s_mov_b32 s22, 0
	s_branch .LBB30_2658
.LBB30_2655:
	s_and_not1_saveexec_b32 s41, s41
	s_cbranch_execz .LBB30_1428
.LBB30_2656:
	v_add_f32_e32 v3, 0x46000000, v4
	s_and_not1_b32 s40, s40, exec_lo
	s_delay_alu instid0(VALU_DEP_1) | instskip(NEXT) | instid1(VALU_DEP_1)
	v_and_b32_e32 v3, 0xff, v3
	v_cmp_ne_u32_e32 vcc_lo, 0, v3
	s_and_b32 s42, vcc_lo, exec_lo
	s_delay_alu instid0(SALU_CYCLE_1)
	s_or_b32 s40, s40, s42
	s_or_b32 exec_lo, exec_lo, s41
	v_mov_b32_e32 v5, 0
	s_and_saveexec_b32 s41, s40
	s_cbranch_execnz .LBB30_1429
	s_branch .LBB30_1430
.LBB30_2657:
	s_mov_b32 s22, -1
	s_mov_b32 s24, 0
.LBB30_2658:
                                        ; implicit-def: $vgpr10
.LBB30_2659:
	s_and_b32 vcc_lo, exec_lo, s25
	s_cbranch_vccz .LBB30_2663
; %bb.2660:
	s_cmp_eq_u32 s19, 44
	s_cbranch_scc0 .LBB30_2662
; %bb.2661:
	s_wait_loadcnt 0x0
	global_load_u8 v1, v[18:19], off
	s_mov_b32 s22, 0
	s_mov_b32 s24, -1
	s_wait_loadcnt 0x0
	v_lshlrev_b32_e32 v3, 23, v1
	v_cmp_ne_u32_e32 vcc_lo, 0, v1
	s_delay_alu instid0(VALU_DEP_2) | instskip(NEXT) | instid1(VALU_DEP_1)
	v_trunc_f32_e32 v3, v3
	v_mul_f32_e64 v5, 0x2f800000, |v3|
	s_delay_alu instid0(VALU_DEP_1) | instskip(NEXT) | instid1(VALU_DEP_1)
	v_floor_f32_e32 v5, v5
	v_fma_f32 v5, 0xcf800000, v5, |v3|
	v_ashrrev_i32_e32 v3, 31, v3
	s_delay_alu instid0(VALU_DEP_2) | instskip(NEXT) | instid1(VALU_DEP_1)
	v_cvt_u32_f32_e32 v5, v5
	v_xor_b32_e32 v5, v5, v3
	s_delay_alu instid0(VALU_DEP_1) | instskip(NEXT) | instid1(VALU_DEP_1)
	v_sub_nc_u32_e32 v3, v5, v3
	v_cndmask_b32_e32 v10, 0, v3, vcc_lo
	s_branch .LBB30_2663
.LBB30_2662:
	s_mov_b32 s22, -1
                                        ; implicit-def: $vgpr10
.LBB30_2663:
	s_mov_b32 s25, 0
.LBB30_2664:
	s_delay_alu instid0(SALU_CYCLE_1)
	s_and_b32 vcc_lo, exec_lo, s25
	s_cbranch_vccz .LBB30_2668
; %bb.2665:
	s_cmp_eq_u32 s19, 29
	s_cbranch_scc0 .LBB30_2667
; %bb.2666:
	global_load_b64 v[10:11], v[18:19], off
	s_mov_b32 s22, 0
	s_mov_b32 s24, -1
	s_branch .LBB30_2668
.LBB30_2667:
	s_mov_b32 s22, -1
                                        ; implicit-def: $vgpr10
.LBB30_2668:
	s_mov_b32 s25, 0
.LBB30_2669:
	s_delay_alu instid0(SALU_CYCLE_1)
	s_and_b32 vcc_lo, exec_lo, s25
	s_cbranch_vccz .LBB30_2685
; %bb.2670:
	s_cmp_lt_i32 s19, 27
	s_cbranch_scc1 .LBB30_2673
; %bb.2671:
	s_cmp_gt_i32 s19, 27
	s_cbranch_scc0 .LBB30_2674
; %bb.2672:
	s_wait_loadcnt 0x0
	global_load_b32 v10, v[18:19], off
	s_mov_b32 s24, 0
	s_branch .LBB30_2675
.LBB30_2673:
	s_mov_b32 s24, -1
                                        ; implicit-def: $vgpr10
	s_branch .LBB30_2678
.LBB30_2674:
	s_mov_b32 s24, -1
                                        ; implicit-def: $vgpr10
.LBB30_2675:
	s_delay_alu instid0(SALU_CYCLE_1)
	s_and_not1_b32 vcc_lo, exec_lo, s24
	s_cbranch_vccnz .LBB30_2677
; %bb.2676:
	s_wait_loadcnt 0x0
	global_load_u16 v10, v[18:19], off
.LBB30_2677:
	s_mov_b32 s24, 0
.LBB30_2678:
	s_delay_alu instid0(SALU_CYCLE_1)
	s_and_not1_b32 vcc_lo, exec_lo, s24
	s_cbranch_vccnz .LBB30_2684
; %bb.2679:
	s_wait_loadcnt 0x0
	global_load_u8 v1, v[18:19], off
	s_mov_b32 s25, 0
	s_mov_b32 s24, exec_lo
	s_wait_loadcnt 0x0
	v_cmpx_lt_i16_e32 0x7f, v1
	s_xor_b32 s24, exec_lo, s24
	s_cbranch_execz .LBB30_2696
; %bb.2680:
	v_cmp_ne_u16_e32 vcc_lo, 0x80, v1
	s_and_b32 s25, vcc_lo, exec_lo
	s_and_not1_saveexec_b32 s24, s24
	s_cbranch_execnz .LBB30_2697
.LBB30_2681:
	s_or_b32 exec_lo, exec_lo, s24
	v_mov_b32_e32 v10, 0
	s_and_saveexec_b32 s24, s25
	s_cbranch_execz .LBB30_2683
.LBB30_2682:
	v_and_b32_e32 v3, 0xffff, v1
	s_delay_alu instid0(VALU_DEP_1) | instskip(SKIP_1) | instid1(VALU_DEP_2)
	v_dual_lshlrev_b32 v1, 24, v1 :: v_dual_bitop2_b32 v5, 7, v3 bitop3:0x40
	v_bfe_u32 v10, v3, 3, 4
	v_and_b32_e32 v1, 0x80000000, v1
	s_delay_alu instid0(VALU_DEP_3) | instskip(NEXT) | instid1(VALU_DEP_3)
	v_clz_i32_u32_e32 v7, v5
	v_cmp_eq_u32_e32 vcc_lo, 0, v10
	s_delay_alu instid0(VALU_DEP_2) | instskip(NEXT) | instid1(VALU_DEP_1)
	v_min_u32_e32 v7, 32, v7
	v_subrev_nc_u32_e32 v9, 28, v7
	v_sub_nc_u32_e32 v7, 29, v7
	s_delay_alu instid0(VALU_DEP_2) | instskip(NEXT) | instid1(VALU_DEP_2)
	v_lshlrev_b32_e32 v3, v9, v3
	v_cndmask_b32_e32 v7, v10, v7, vcc_lo
	s_delay_alu instid0(VALU_DEP_2) | instskip(NEXT) | instid1(VALU_DEP_1)
	v_and_b32_e32 v3, 7, v3
	v_cndmask_b32_e32 v3, v5, v3, vcc_lo
	s_delay_alu instid0(VALU_DEP_3) | instskip(NEXT) | instid1(VALU_DEP_2)
	v_lshl_add_u32 v5, v7, 23, 0x3b800000
	v_lshlrev_b32_e32 v3, 20, v3
	s_delay_alu instid0(VALU_DEP_1) | instskip(NEXT) | instid1(VALU_DEP_1)
	v_or3_b32 v1, v1, v5, v3
	v_trunc_f32_e32 v1, v1
	s_delay_alu instid0(VALU_DEP_1) | instskip(NEXT) | instid1(VALU_DEP_1)
	v_mul_f32_e64 v3, 0x2f800000, |v1|
	v_floor_f32_e32 v3, v3
	s_delay_alu instid0(VALU_DEP_1) | instskip(SKIP_1) | instid1(VALU_DEP_2)
	v_fma_f32 v3, 0xcf800000, v3, |v1|
	v_ashrrev_i32_e32 v1, 31, v1
	v_cvt_u32_f32_e32 v3, v3
	s_delay_alu instid0(VALU_DEP_1) | instskip(NEXT) | instid1(VALU_DEP_1)
	v_xor_b32_e32 v3, v3, v1
	v_sub_nc_u32_e32 v10, v3, v1
.LBB30_2683:
	s_or_b32 exec_lo, exec_lo, s24
.LBB30_2684:
	s_mov_b32 s24, -1
.LBB30_2685:
	s_mov_b32 s25, 0
.LBB30_2686:
	s_delay_alu instid0(SALU_CYCLE_1)
	s_and_b32 vcc_lo, exec_lo, s25
	s_cbranch_vccz .LBB30_2717
; %bb.2687:
	s_cmp_gt_i32 s19, 22
	s_cbranch_scc0 .LBB30_2695
; %bb.2688:
	s_cmp_lt_i32 s19, 24
	s_cbranch_scc1 .LBB30_2698
; %bb.2689:
	s_cmp_gt_i32 s19, 24
	s_cbranch_scc0 .LBB30_2699
; %bb.2690:
	s_wait_loadcnt 0x0
	global_load_u8 v1, v[18:19], off
	s_mov_b32 s24, 0
	s_mov_b32 s23, exec_lo
	s_wait_loadcnt 0x0
	v_cmpx_lt_i16_e32 0x7f, v1
	s_xor_b32 s23, exec_lo, s23
	s_cbranch_execz .LBB30_2711
; %bb.2691:
	v_cmp_ne_u16_e32 vcc_lo, 0x80, v1
	s_and_b32 s24, vcc_lo, exec_lo
	s_and_not1_saveexec_b32 s23, s23
	s_cbranch_execnz .LBB30_2712
.LBB30_2692:
	s_or_b32 exec_lo, exec_lo, s23
	v_mov_b32_e32 v10, 0
	s_and_saveexec_b32 s23, s24
	s_cbranch_execz .LBB30_2694
.LBB30_2693:
	v_and_b32_e32 v3, 0xffff, v1
	s_delay_alu instid0(VALU_DEP_1) | instskip(SKIP_1) | instid1(VALU_DEP_2)
	v_dual_lshlrev_b32 v1, 24, v1 :: v_dual_bitop2_b32 v5, 3, v3 bitop3:0x40
	v_bfe_u32 v10, v3, 2, 5
	v_and_b32_e32 v1, 0x80000000, v1
	s_delay_alu instid0(VALU_DEP_3) | instskip(NEXT) | instid1(VALU_DEP_3)
	v_clz_i32_u32_e32 v7, v5
	v_cmp_eq_u32_e32 vcc_lo, 0, v10
	s_delay_alu instid0(VALU_DEP_2) | instskip(NEXT) | instid1(VALU_DEP_1)
	v_min_u32_e32 v7, 32, v7
	v_subrev_nc_u32_e32 v9, 29, v7
	v_sub_nc_u32_e32 v7, 30, v7
	s_delay_alu instid0(VALU_DEP_2) | instskip(NEXT) | instid1(VALU_DEP_2)
	v_lshlrev_b32_e32 v3, v9, v3
	v_cndmask_b32_e32 v7, v10, v7, vcc_lo
	s_delay_alu instid0(VALU_DEP_2) | instskip(NEXT) | instid1(VALU_DEP_1)
	v_and_b32_e32 v3, 3, v3
	v_cndmask_b32_e32 v3, v5, v3, vcc_lo
	s_delay_alu instid0(VALU_DEP_3) | instskip(NEXT) | instid1(VALU_DEP_2)
	v_lshl_add_u32 v5, v7, 23, 0x37800000
	v_lshlrev_b32_e32 v3, 21, v3
	s_delay_alu instid0(VALU_DEP_1) | instskip(NEXT) | instid1(VALU_DEP_1)
	v_or3_b32 v1, v1, v5, v3
	v_trunc_f32_e32 v1, v1
	s_delay_alu instid0(VALU_DEP_1) | instskip(NEXT) | instid1(VALU_DEP_1)
	v_mul_f32_e64 v3, 0x2f800000, |v1|
	v_floor_f32_e32 v3, v3
	s_delay_alu instid0(VALU_DEP_1) | instskip(SKIP_1) | instid1(VALU_DEP_2)
	v_fma_f32 v3, 0xcf800000, v3, |v1|
	v_ashrrev_i32_e32 v1, 31, v1
	v_cvt_u32_f32_e32 v3, v3
	s_delay_alu instid0(VALU_DEP_1) | instskip(NEXT) | instid1(VALU_DEP_1)
	v_xor_b32_e32 v3, v3, v1
	v_sub_nc_u32_e32 v10, v3, v1
.LBB30_2694:
	s_or_b32 exec_lo, exec_lo, s23
	s_mov_b32 s23, 0
	s_branch .LBB30_2700
.LBB30_2695:
	s_mov_b32 s23, -1
                                        ; implicit-def: $vgpr10
	s_branch .LBB30_2706
.LBB30_2696:
	s_and_not1_saveexec_b32 s24, s24
	s_cbranch_execz .LBB30_2681
.LBB30_2697:
	v_cmp_ne_u16_e32 vcc_lo, 0, v1
	s_and_not1_b32 s25, s25, exec_lo
	s_and_b32 s26, vcc_lo, exec_lo
	s_delay_alu instid0(SALU_CYCLE_1)
	s_or_b32 s25, s25, s26
	s_or_b32 exec_lo, exec_lo, s24
	v_mov_b32_e32 v10, 0
	s_and_saveexec_b32 s24, s25
	s_cbranch_execnz .LBB30_2682
	s_branch .LBB30_2683
.LBB30_2698:
	s_mov_b32 s23, -1
                                        ; implicit-def: $vgpr10
	s_branch .LBB30_2703
.LBB30_2699:
	s_mov_b32 s23, -1
                                        ; implicit-def: $vgpr10
.LBB30_2700:
	s_delay_alu instid0(SALU_CYCLE_1)
	s_and_b32 vcc_lo, exec_lo, s23
	s_cbranch_vccz .LBB30_2702
; %bb.2701:
	s_wait_loadcnt 0x0
	global_load_u8 v1, v[18:19], off
	s_wait_loadcnt 0x0
	v_lshlrev_b32_e32 v1, 24, v1
	s_delay_alu instid0(VALU_DEP_1) | instskip(NEXT) | instid1(VALU_DEP_1)
	v_and_b32_e32 v3, 0x7f000000, v1
	v_clz_i32_u32_e32 v5, v3
	v_add_nc_u32_e32 v9, 0x1000000, v3
	v_cmp_ne_u32_e32 vcc_lo, 0, v3
	s_delay_alu instid0(VALU_DEP_3) | instskip(NEXT) | instid1(VALU_DEP_1)
	v_min_u32_e32 v5, 32, v5
	v_sub_nc_u32_e64 v5, v5, 4 clamp
	s_delay_alu instid0(VALU_DEP_1) | instskip(NEXT) | instid1(VALU_DEP_1)
	v_dual_lshlrev_b32 v7, v5, v3 :: v_dual_lshlrev_b32 v5, 23, v5
	v_lshrrev_b32_e32 v7, 4, v7
	s_delay_alu instid0(VALU_DEP_1) | instskip(SKIP_1) | instid1(VALU_DEP_2)
	v_sub_nc_u32_e32 v5, v7, v5
	v_ashrrev_i32_e32 v7, 8, v9
	v_add_nc_u32_e32 v5, 0x3c000000, v5
	s_delay_alu instid0(VALU_DEP_1) | instskip(NEXT) | instid1(VALU_DEP_1)
	v_and_or_b32 v5, 0x7f800000, v7, v5
	v_cndmask_b32_e32 v3, 0, v5, vcc_lo
	s_delay_alu instid0(VALU_DEP_1) | instskip(NEXT) | instid1(VALU_DEP_1)
	v_and_or_b32 v1, 0x80000000, v1, v3
	v_trunc_f32_e32 v1, v1
	s_delay_alu instid0(VALU_DEP_1) | instskip(NEXT) | instid1(VALU_DEP_1)
	v_mul_f32_e64 v3, 0x2f800000, |v1|
	v_floor_f32_e32 v3, v3
	s_delay_alu instid0(VALU_DEP_1) | instskip(SKIP_1) | instid1(VALU_DEP_2)
	v_fma_f32 v3, 0xcf800000, v3, |v1|
	v_ashrrev_i32_e32 v1, 31, v1
	v_cvt_u32_f32_e32 v3, v3
	s_delay_alu instid0(VALU_DEP_1) | instskip(NEXT) | instid1(VALU_DEP_1)
	v_xor_b32_e32 v3, v3, v1
	v_sub_nc_u32_e32 v10, v3, v1
.LBB30_2702:
	s_mov_b32 s23, 0
.LBB30_2703:
	s_delay_alu instid0(SALU_CYCLE_1)
	s_and_not1_b32 vcc_lo, exec_lo, s23
	s_cbranch_vccnz .LBB30_2705
; %bb.2704:
	s_wait_loadcnt 0x0
	global_load_u8 v1, v[18:19], off
	s_wait_loadcnt 0x0
	v_lshlrev_b32_e32 v3, 25, v1
	v_lshlrev_b16 v1, 8, v1
	s_delay_alu instid0(VALU_DEP_1) | instskip(SKIP_1) | instid1(VALU_DEP_2)
	v_and_or_b32 v7, 0x7f00, v1, 0.5
	v_bfe_i32 v1, v1, 0, 16
	v_add_f32_e32 v7, -0.5, v7
	v_lshrrev_b32_e32 v5, 4, v3
	v_cmp_gt_u32_e32 vcc_lo, 0x8000000, v3
	s_delay_alu instid0(VALU_DEP_2) | instskip(NEXT) | instid1(VALU_DEP_1)
	v_or_b32_e32 v5, 0x70000000, v5
	v_mul_f32_e32 v5, 0x7800000, v5
	s_delay_alu instid0(VALU_DEP_1) | instskip(NEXT) | instid1(VALU_DEP_1)
	v_cndmask_b32_e32 v3, v5, v7, vcc_lo
	v_and_or_b32 v1, 0x80000000, v1, v3
	s_delay_alu instid0(VALU_DEP_1) | instskip(NEXT) | instid1(VALU_DEP_1)
	v_trunc_f32_e32 v1, v1
	v_mul_f32_e64 v3, 0x2f800000, |v1|
	s_delay_alu instid0(VALU_DEP_1) | instskip(NEXT) | instid1(VALU_DEP_1)
	v_floor_f32_e32 v3, v3
	v_fma_f32 v3, 0xcf800000, v3, |v1|
	v_ashrrev_i32_e32 v1, 31, v1
	s_delay_alu instid0(VALU_DEP_2) | instskip(NEXT) | instid1(VALU_DEP_1)
	v_cvt_u32_f32_e32 v3, v3
	v_xor_b32_e32 v3, v3, v1
	s_delay_alu instid0(VALU_DEP_1)
	v_sub_nc_u32_e32 v10, v3, v1
.LBB30_2705:
	s_mov_b32 s23, 0
	s_mov_b32 s24, -1
.LBB30_2706:
	s_and_not1_b32 vcc_lo, exec_lo, s23
	s_mov_b32 s23, 0
	s_cbranch_vccnz .LBB30_2717
; %bb.2707:
	s_cmp_gt_i32 s19, 14
	s_cbranch_scc0 .LBB30_2710
; %bb.2708:
	s_cmp_eq_u32 s19, 15
	s_cbranch_scc0 .LBB30_2713
; %bb.2709:
	s_wait_loadcnt 0x0
	global_load_u16 v1, v[18:19], off
	s_mov_b32 s22, 0
	s_mov_b32 s24, -1
	s_wait_loadcnt 0x0
	v_lshlrev_b32_e32 v1, 16, v1
	s_delay_alu instid0(VALU_DEP_1) | instskip(NEXT) | instid1(VALU_DEP_1)
	v_trunc_f32_e32 v1, v1
	v_mul_f32_e64 v3, 0x2f800000, |v1|
	s_delay_alu instid0(VALU_DEP_1) | instskip(NEXT) | instid1(VALU_DEP_1)
	v_floor_f32_e32 v3, v3
	v_fma_f32 v3, 0xcf800000, v3, |v1|
	v_ashrrev_i32_e32 v1, 31, v1
	s_delay_alu instid0(VALU_DEP_2) | instskip(NEXT) | instid1(VALU_DEP_1)
	v_cvt_u32_f32_e32 v3, v3
	v_xor_b32_e32 v3, v3, v1
	s_delay_alu instid0(VALU_DEP_1)
	v_sub_nc_u32_e32 v10, v3, v1
	s_branch .LBB30_2715
.LBB30_2710:
	s_mov_b32 s23, -1
	s_branch .LBB30_2714
.LBB30_2711:
	s_and_not1_saveexec_b32 s23, s23
	s_cbranch_execz .LBB30_2692
.LBB30_2712:
	v_cmp_ne_u16_e32 vcc_lo, 0, v1
	s_and_not1_b32 s24, s24, exec_lo
	s_and_b32 s25, vcc_lo, exec_lo
	s_delay_alu instid0(SALU_CYCLE_1)
	s_or_b32 s24, s24, s25
	s_or_b32 exec_lo, exec_lo, s23
	v_mov_b32_e32 v10, 0
	s_and_saveexec_b32 s23, s24
	s_cbranch_execnz .LBB30_2693
	s_branch .LBB30_2694
.LBB30_2713:
	s_mov_b32 s22, -1
.LBB30_2714:
                                        ; implicit-def: $vgpr10
.LBB30_2715:
	s_and_b32 vcc_lo, exec_lo, s23
	s_mov_b32 s23, 0
	s_cbranch_vccz .LBB30_2717
; %bb.2716:
	s_cmp_lg_u32 s19, 11
	s_mov_b32 s23, -1
	s_cselect_b32 s22, -1, 0
.LBB30_2717:
	s_delay_alu instid0(SALU_CYCLE_1)
	s_and_b32 vcc_lo, exec_lo, s22
	s_cbranch_vccnz .LBB30_2782
; %bb.2718:
	s_and_not1_b32 vcc_lo, exec_lo, s23
	s_cbranch_vccnz .LBB30_2720
.LBB30_2719:
	s_wait_loadcnt 0x0
	global_load_u8 v1, v[18:19], off
	s_mov_b32 s24, -1
	s_wait_loadcnt 0x0
	v_cmp_ne_u16_e32 vcc_lo, 0, v1
	v_cndmask_b32_e64 v10, 0, 1, vcc_lo
.LBB30_2720:
	s_mov_b32 s19, 0
.LBB30_2721:
	s_delay_alu instid0(SALU_CYCLE_1)
	s_and_b32 vcc_lo, exec_lo, s19
	s_cbranch_vccz .LBB30_2770
; %bb.2722:
	s_and_b32 s19, 0xffff, s17
	s_delay_alu instid0(SALU_CYCLE_1)
	s_cmp_lt_i32 s19, 5
	s_cbranch_scc1 .LBB30_2727
; %bb.2723:
	s_cmp_lt_i32 s19, 8
	s_cbranch_scc1 .LBB30_2728
; %bb.2724:
	;; [unrolled: 3-line block ×3, first 2 shown]
	s_cmp_gt_i32 s19, 9
	s_cbranch_scc0 .LBB30_2730
; %bb.2726:
	s_wait_loadcnt 0x0
	global_load_b64 v[10:11], v[18:19], off
	s_mov_b32 s22, 0
	s_wait_loadcnt 0x0
	v_trunc_f64_e32 v[10:11], v[10:11]
	s_delay_alu instid0(VALU_DEP_1) | instskip(NEXT) | instid1(VALU_DEP_1)
	v_ldexp_f64 v[20:21], v[10:11], 0xffffffe0
	v_floor_f64_e32 v[20:21], v[20:21]
	s_delay_alu instid0(VALU_DEP_1) | instskip(NEXT) | instid1(VALU_DEP_1)
	v_fmamk_f64 v[10:11], v[20:21], 0xc1f00000, v[10:11]
	v_cvt_u32_f64_e32 v10, v[10:11]
	s_branch .LBB30_2731
.LBB30_2727:
	s_mov_b32 s22, -1
                                        ; implicit-def: $vgpr10
	s_branch .LBB30_2749
.LBB30_2728:
	s_mov_b32 s22, -1
                                        ; implicit-def: $vgpr10
	s_branch .LBB30_2737
.LBB30_2729:
	s_mov_b32 s22, -1
                                        ; implicit-def: $vgpr10
	s_branch .LBB30_2734
.LBB30_2730:
	s_mov_b32 s22, -1
                                        ; implicit-def: $vgpr10
.LBB30_2731:
	s_delay_alu instid0(SALU_CYCLE_1)
	s_and_not1_b32 vcc_lo, exec_lo, s22
	s_cbranch_vccnz .LBB30_2733
; %bb.2732:
	s_wait_loadcnt 0x0
	global_load_b32 v1, v[18:19], off
	s_wait_loadcnt 0x0
	v_trunc_f32_e32 v1, v1
	s_delay_alu instid0(VALU_DEP_1) | instskip(NEXT) | instid1(VALU_DEP_1)
	v_mul_f32_e64 v3, 0x2f800000, |v1|
	v_floor_f32_e32 v3, v3
	s_delay_alu instid0(VALU_DEP_1) | instskip(SKIP_1) | instid1(VALU_DEP_2)
	v_fma_f32 v3, 0xcf800000, v3, |v1|
	v_ashrrev_i32_e32 v1, 31, v1
	v_cvt_u32_f32_e32 v3, v3
	s_delay_alu instid0(VALU_DEP_1) | instskip(NEXT) | instid1(VALU_DEP_1)
	v_xor_b32_e32 v3, v3, v1
	v_sub_nc_u32_e32 v10, v3, v1
.LBB30_2733:
	s_mov_b32 s22, 0
.LBB30_2734:
	s_delay_alu instid0(SALU_CYCLE_1)
	s_and_not1_b32 vcc_lo, exec_lo, s22
	s_cbranch_vccnz .LBB30_2736
; %bb.2735:
	s_wait_loadcnt 0x0
	global_load_b32 v1, v[18:19], off
	s_wait_loadcnt 0x0
	v_cvt_f32_f16_e32 v1, v1
	s_delay_alu instid0(VALU_DEP_1)
	v_cvt_i32_f32_e32 v10, v1
.LBB30_2736:
	s_mov_b32 s22, 0
.LBB30_2737:
	s_delay_alu instid0(SALU_CYCLE_1)
	s_and_not1_b32 vcc_lo, exec_lo, s22
	s_cbranch_vccnz .LBB30_2748
; %bb.2738:
	s_cmp_lt_i32 s19, 6
	s_cbranch_scc1 .LBB30_2741
; %bb.2739:
	s_cmp_gt_i32 s19, 6
	s_cbranch_scc0 .LBB30_2742
; %bb.2740:
	s_wait_loadcnt 0x0
	global_load_b64 v[10:11], v[18:19], off
	s_mov_b32 s22, 0
	s_wait_loadcnt 0x0
	v_trunc_f64_e32 v[10:11], v[10:11]
	s_delay_alu instid0(VALU_DEP_1) | instskip(NEXT) | instid1(VALU_DEP_1)
	v_ldexp_f64 v[20:21], v[10:11], 0xffffffe0
	v_floor_f64_e32 v[20:21], v[20:21]
	s_delay_alu instid0(VALU_DEP_1) | instskip(NEXT) | instid1(VALU_DEP_1)
	v_fmamk_f64 v[10:11], v[20:21], 0xc1f00000, v[10:11]
	v_cvt_u32_f64_e32 v10, v[10:11]
	s_branch .LBB30_2743
.LBB30_2741:
	s_mov_b32 s22, -1
                                        ; implicit-def: $vgpr10
	s_branch .LBB30_2746
.LBB30_2742:
	s_mov_b32 s22, -1
                                        ; implicit-def: $vgpr10
.LBB30_2743:
	s_delay_alu instid0(SALU_CYCLE_1)
	s_and_not1_b32 vcc_lo, exec_lo, s22
	s_cbranch_vccnz .LBB30_2745
; %bb.2744:
	s_wait_loadcnt 0x0
	global_load_b32 v1, v[18:19], off
	s_wait_loadcnt 0x0
	v_trunc_f32_e32 v1, v1
	s_delay_alu instid0(VALU_DEP_1) | instskip(NEXT) | instid1(VALU_DEP_1)
	v_mul_f32_e64 v3, 0x2f800000, |v1|
	v_floor_f32_e32 v3, v3
	s_delay_alu instid0(VALU_DEP_1) | instskip(SKIP_1) | instid1(VALU_DEP_2)
	v_fma_f32 v3, 0xcf800000, v3, |v1|
	v_ashrrev_i32_e32 v1, 31, v1
	v_cvt_u32_f32_e32 v3, v3
	s_delay_alu instid0(VALU_DEP_1) | instskip(NEXT) | instid1(VALU_DEP_1)
	v_xor_b32_e32 v3, v3, v1
	v_sub_nc_u32_e32 v10, v3, v1
.LBB30_2745:
	s_mov_b32 s22, 0
.LBB30_2746:
	s_delay_alu instid0(SALU_CYCLE_1)
	s_and_not1_b32 vcc_lo, exec_lo, s22
	s_cbranch_vccnz .LBB30_2748
; %bb.2747:
	s_wait_loadcnt 0x0
	global_load_u16 v1, v[18:19], off
	s_wait_loadcnt 0x0
	v_cvt_f32_f16_e32 v1, v1
	s_delay_alu instid0(VALU_DEP_1)
	v_cvt_i32_f32_e32 v10, v1
.LBB30_2748:
	s_mov_b32 s22, 0
.LBB30_2749:
	s_delay_alu instid0(SALU_CYCLE_1)
	s_and_not1_b32 vcc_lo, exec_lo, s22
	s_cbranch_vccnz .LBB30_2769
; %bb.2750:
	s_cmp_lt_i32 s19, 2
	s_cbranch_scc1 .LBB30_2754
; %bb.2751:
	s_cmp_lt_i32 s19, 3
	s_cbranch_scc1 .LBB30_2755
; %bb.2752:
	s_cmp_gt_i32 s19, 3
	s_cbranch_scc0 .LBB30_2756
; %bb.2753:
	s_wait_loadcnt 0x0
	global_load_b64 v[10:11], v[18:19], off
	s_mov_b32 s22, 0
	s_branch .LBB30_2757
.LBB30_2754:
	s_mov_b32 s22, -1
                                        ; implicit-def: $vgpr10
	s_branch .LBB30_2763
.LBB30_2755:
	s_mov_b32 s22, -1
                                        ; implicit-def: $vgpr10
	s_branch .LBB30_2760
.LBB30_2756:
	s_mov_b32 s22, -1
                                        ; implicit-def: $vgpr10
.LBB30_2757:
	s_delay_alu instid0(SALU_CYCLE_1)
	s_and_not1_b32 vcc_lo, exec_lo, s22
	s_cbranch_vccnz .LBB30_2759
; %bb.2758:
	s_wait_loadcnt 0x0
	global_load_b32 v10, v[18:19], off
.LBB30_2759:
	s_mov_b32 s22, 0
.LBB30_2760:
	s_delay_alu instid0(SALU_CYCLE_1)
	s_and_not1_b32 vcc_lo, exec_lo, s22
	s_cbranch_vccnz .LBB30_2762
; %bb.2761:
	s_wait_loadcnt 0x0
	global_load_u16 v10, v[18:19], off
.LBB30_2762:
	s_mov_b32 s22, 0
.LBB30_2763:
	s_delay_alu instid0(SALU_CYCLE_1)
	s_and_not1_b32 vcc_lo, exec_lo, s22
	s_cbranch_vccnz .LBB30_2769
; %bb.2764:
	s_cmp_gt_i32 s19, 0
	s_mov_b32 s19, 0
	s_cbranch_scc0 .LBB30_2766
; %bb.2765:
	s_wait_loadcnt 0x0
	global_load_u8 v10, v[18:19], off
	s_branch .LBB30_2767
.LBB30_2766:
	s_mov_b32 s19, -1
                                        ; implicit-def: $vgpr10
.LBB30_2767:
	s_delay_alu instid0(SALU_CYCLE_1)
	s_and_not1_b32 vcc_lo, exec_lo, s19
	s_cbranch_vccnz .LBB30_2769
; %bb.2768:
	s_wait_loadcnt 0x0
	global_load_u8 v10, v[18:19], off
.LBB30_2769:
	s_mov_b32 s24, -1
.LBB30_2770:
	s_delay_alu instid0(SALU_CYCLE_1)
	s_and_not1_b32 vcc_lo, exec_lo, s24
	s_cbranch_vccnz .LBB30_3968
; %bb.2771:
	s_wait_xcnt 0x0
	v_add_nc_u32_e32 v18, s13, v12
	s_cmp_lt_i32 s0, 11
	s_delay_alu instid0(VALU_DEP_1) | instskip(NEXT) | instid1(VALU_DEP_1)
	v_ashrrev_i32_e32 v19, 31, v18
	v_add_nc_u64_e32 v[20:21], s[6:7], v[18:19]
	s_cbranch_scc1 .LBB30_2778
; %bb.2772:
	s_and_b32 s19, 0xffff, s0
	s_mov_b32 s23, 0
	s_cmp_gt_i32 s19, 25
	s_cbranch_scc0 .LBB30_2779
; %bb.2773:
	s_cmp_gt_i32 s19, 28
	s_cbranch_scc0 .LBB30_2780
; %bb.2774:
	;; [unrolled: 3-line block ×4, first 2 shown]
	s_cmp_eq_u32 s19, 46
	s_mov_b32 s25, 0
	s_cbranch_scc0 .LBB30_2786
; %bb.2777:
	s_wait_loadcnt 0x0
	global_load_b32 v1, v[20:21], off
	s_mov_b32 s22, 0
	s_mov_b32 s24, -1
	s_wait_loadcnt 0x0
	v_lshlrev_b32_e32 v1, 16, v1
	s_delay_alu instid0(VALU_DEP_1) | instskip(NEXT) | instid1(VALU_DEP_1)
	v_trunc_f32_e32 v1, v1
	v_mul_f32_e64 v3, 0x2f800000, |v1|
	s_delay_alu instid0(VALU_DEP_1) | instskip(NEXT) | instid1(VALU_DEP_1)
	v_floor_f32_e32 v3, v3
	v_fma_f32 v3, 0xcf800000, v3, |v1|
	v_ashrrev_i32_e32 v1, 31, v1
	s_delay_alu instid0(VALU_DEP_2) | instskip(NEXT) | instid1(VALU_DEP_1)
	v_cvt_u32_f32_e32 v3, v3
	v_xor_b32_e32 v3, v3, v1
	s_delay_alu instid0(VALU_DEP_1)
	v_sub_nc_u32_e32 v12, v3, v1
	s_branch .LBB30_2788
.LBB30_2778:
	s_mov_b32 s19, -1
	s_mov_b32 s24, 0
                                        ; implicit-def: $vgpr12
	s_branch .LBB30_2850
.LBB30_2779:
	s_mov_b32 s25, -1
	s_mov_b32 s24, 0
	s_mov_b32 s22, 0
                                        ; implicit-def: $vgpr12
	s_branch .LBB30_2815
.LBB30_2780:
	s_mov_b32 s25, -1
	s_mov_b32 s24, 0
	s_mov_b32 s22, 0
                                        ; implicit-def: $vgpr12
	s_branch .LBB30_2798
.LBB30_2781:
	s_mov_b32 s25, -1
	s_mov_b32 s24, 0
	s_mov_b32 s22, 0
                                        ; implicit-def: $vgpr12
	s_branch .LBB30_2793
.LBB30_2782:
	s_or_b32 s16, s16, exec_lo
	s_trap 2
	s_cbranch_execz .LBB30_2719
	s_branch .LBB30_2720
.LBB30_2783:
	s_mov_b32 s25, -1
	s_mov_b32 s24, 0
	s_mov_b32 s22, 0
	s_branch .LBB30_2787
.LBB30_2784:
	s_and_not1_saveexec_b32 s41, s41
	s_cbranch_execz .LBB30_1441
.LBB30_2785:
	v_add_f32_e32 v3, 0x42800000, v4
	s_and_not1_b32 s40, s40, exec_lo
	s_delay_alu instid0(VALU_DEP_1) | instskip(NEXT) | instid1(VALU_DEP_1)
	v_and_b32_e32 v3, 0xff, v3
	v_cmp_ne_u32_e32 vcc_lo, 0, v3
	s_and_b32 s42, vcc_lo, exec_lo
	s_delay_alu instid0(SALU_CYCLE_1)
	s_or_b32 s40, s40, s42
	s_or_b32 exec_lo, exec_lo, s41
	v_mov_b32_e32 v5, 0
	s_and_saveexec_b32 s41, s40
	s_cbranch_execnz .LBB30_1442
	s_branch .LBB30_1443
.LBB30_2786:
	s_mov_b32 s22, -1
	s_mov_b32 s24, 0
.LBB30_2787:
                                        ; implicit-def: $vgpr12
.LBB30_2788:
	s_and_b32 vcc_lo, exec_lo, s25
	s_cbranch_vccz .LBB30_2792
; %bb.2789:
	s_cmp_eq_u32 s19, 44
	s_cbranch_scc0 .LBB30_2791
; %bb.2790:
	s_wait_loadcnt 0x0
	global_load_u8 v1, v[20:21], off
	s_mov_b32 s22, 0
	s_mov_b32 s24, -1
	s_wait_loadcnt 0x0
	v_lshlrev_b32_e32 v3, 23, v1
	v_cmp_ne_u32_e32 vcc_lo, 0, v1
	s_delay_alu instid0(VALU_DEP_2) | instskip(NEXT) | instid1(VALU_DEP_1)
	v_trunc_f32_e32 v3, v3
	v_mul_f32_e64 v5, 0x2f800000, |v3|
	s_delay_alu instid0(VALU_DEP_1) | instskip(NEXT) | instid1(VALU_DEP_1)
	v_floor_f32_e32 v5, v5
	v_fma_f32 v5, 0xcf800000, v5, |v3|
	v_ashrrev_i32_e32 v3, 31, v3
	s_delay_alu instid0(VALU_DEP_2) | instskip(NEXT) | instid1(VALU_DEP_1)
	v_cvt_u32_f32_e32 v5, v5
	v_xor_b32_e32 v5, v5, v3
	s_delay_alu instid0(VALU_DEP_1) | instskip(NEXT) | instid1(VALU_DEP_1)
	v_sub_nc_u32_e32 v3, v5, v3
	v_cndmask_b32_e32 v12, 0, v3, vcc_lo
	s_branch .LBB30_2792
.LBB30_2791:
	s_mov_b32 s22, -1
                                        ; implicit-def: $vgpr12
.LBB30_2792:
	s_mov_b32 s25, 0
.LBB30_2793:
	s_delay_alu instid0(SALU_CYCLE_1)
	s_and_b32 vcc_lo, exec_lo, s25
	s_cbranch_vccz .LBB30_2797
; %bb.2794:
	s_cmp_eq_u32 s19, 29
	s_cbranch_scc0 .LBB30_2796
; %bb.2795:
	global_load_b64 v[12:13], v[20:21], off
	s_mov_b32 s22, 0
	s_mov_b32 s24, -1
	s_branch .LBB30_2797
.LBB30_2796:
	s_mov_b32 s22, -1
                                        ; implicit-def: $vgpr12
.LBB30_2797:
	s_mov_b32 s25, 0
.LBB30_2798:
	s_delay_alu instid0(SALU_CYCLE_1)
	s_and_b32 vcc_lo, exec_lo, s25
	s_cbranch_vccz .LBB30_2814
; %bb.2799:
	s_cmp_lt_i32 s19, 27
	s_cbranch_scc1 .LBB30_2802
; %bb.2800:
	s_cmp_gt_i32 s19, 27
	s_cbranch_scc0 .LBB30_2803
; %bb.2801:
	s_wait_loadcnt 0x0
	global_load_b32 v12, v[20:21], off
	s_mov_b32 s24, 0
	s_branch .LBB30_2804
.LBB30_2802:
	s_mov_b32 s24, -1
                                        ; implicit-def: $vgpr12
	s_branch .LBB30_2807
.LBB30_2803:
	s_mov_b32 s24, -1
                                        ; implicit-def: $vgpr12
.LBB30_2804:
	s_delay_alu instid0(SALU_CYCLE_1)
	s_and_not1_b32 vcc_lo, exec_lo, s24
	s_cbranch_vccnz .LBB30_2806
; %bb.2805:
	s_wait_loadcnt 0x0
	global_load_u16 v12, v[20:21], off
.LBB30_2806:
	s_mov_b32 s24, 0
.LBB30_2807:
	s_delay_alu instid0(SALU_CYCLE_1)
	s_and_not1_b32 vcc_lo, exec_lo, s24
	s_cbranch_vccnz .LBB30_2813
; %bb.2808:
	s_wait_loadcnt 0x0
	global_load_u8 v1, v[20:21], off
	s_mov_b32 s25, 0
	s_mov_b32 s24, exec_lo
	s_wait_loadcnt 0x0
	v_cmpx_lt_i16_e32 0x7f, v1
	s_xor_b32 s24, exec_lo, s24
	s_cbranch_execz .LBB30_2825
; %bb.2809:
	v_cmp_ne_u16_e32 vcc_lo, 0x80, v1
	s_and_b32 s25, vcc_lo, exec_lo
	s_and_not1_saveexec_b32 s24, s24
	s_cbranch_execnz .LBB30_2826
.LBB30_2810:
	s_or_b32 exec_lo, exec_lo, s24
	v_mov_b32_e32 v12, 0
	s_and_saveexec_b32 s24, s25
	s_cbranch_execz .LBB30_2812
.LBB30_2811:
	v_and_b32_e32 v3, 0xffff, v1
	s_delay_alu instid0(VALU_DEP_1) | instskip(SKIP_1) | instid1(VALU_DEP_2)
	v_dual_lshlrev_b32 v1, 24, v1 :: v_dual_bitop2_b32 v5, 7, v3 bitop3:0x40
	v_bfe_u32 v11, v3, 3, 4
	v_and_b32_e32 v1, 0x80000000, v1
	s_delay_alu instid0(VALU_DEP_3) | instskip(NEXT) | instid1(VALU_DEP_3)
	v_clz_i32_u32_e32 v7, v5
	v_cmp_eq_u32_e32 vcc_lo, 0, v11
	s_delay_alu instid0(VALU_DEP_2) | instskip(NEXT) | instid1(VALU_DEP_1)
	v_min_u32_e32 v7, 32, v7
	v_subrev_nc_u32_e32 v9, 28, v7
	v_sub_nc_u32_e32 v7, 29, v7
	s_delay_alu instid0(VALU_DEP_2) | instskip(NEXT) | instid1(VALU_DEP_2)
	v_lshlrev_b32_e32 v3, v9, v3
	v_cndmask_b32_e32 v7, v11, v7, vcc_lo
	s_delay_alu instid0(VALU_DEP_2) | instskip(NEXT) | instid1(VALU_DEP_1)
	v_and_b32_e32 v3, 7, v3
	v_cndmask_b32_e32 v3, v5, v3, vcc_lo
	s_delay_alu instid0(VALU_DEP_3) | instskip(NEXT) | instid1(VALU_DEP_2)
	v_lshl_add_u32 v5, v7, 23, 0x3b800000
	v_lshlrev_b32_e32 v3, 20, v3
	s_delay_alu instid0(VALU_DEP_1) | instskip(NEXT) | instid1(VALU_DEP_1)
	v_or3_b32 v1, v1, v5, v3
	v_trunc_f32_e32 v1, v1
	s_delay_alu instid0(VALU_DEP_1) | instskip(NEXT) | instid1(VALU_DEP_1)
	v_mul_f32_e64 v3, 0x2f800000, |v1|
	v_floor_f32_e32 v3, v3
	s_delay_alu instid0(VALU_DEP_1) | instskip(SKIP_1) | instid1(VALU_DEP_2)
	v_fma_f32 v3, 0xcf800000, v3, |v1|
	v_ashrrev_i32_e32 v1, 31, v1
	v_cvt_u32_f32_e32 v3, v3
	s_delay_alu instid0(VALU_DEP_1) | instskip(NEXT) | instid1(VALU_DEP_1)
	v_xor_b32_e32 v3, v3, v1
	v_sub_nc_u32_e32 v12, v3, v1
.LBB30_2812:
	s_or_b32 exec_lo, exec_lo, s24
.LBB30_2813:
	s_mov_b32 s24, -1
.LBB30_2814:
	s_mov_b32 s25, 0
.LBB30_2815:
	s_delay_alu instid0(SALU_CYCLE_1)
	s_and_b32 vcc_lo, exec_lo, s25
	s_cbranch_vccz .LBB30_2846
; %bb.2816:
	s_cmp_gt_i32 s19, 22
	s_cbranch_scc0 .LBB30_2824
; %bb.2817:
	s_cmp_lt_i32 s19, 24
	s_cbranch_scc1 .LBB30_2827
; %bb.2818:
	s_cmp_gt_i32 s19, 24
	s_cbranch_scc0 .LBB30_2828
; %bb.2819:
	s_wait_loadcnt 0x0
	global_load_u8 v1, v[20:21], off
	s_mov_b32 s24, 0
	s_mov_b32 s23, exec_lo
	s_wait_loadcnt 0x0
	v_cmpx_lt_i16_e32 0x7f, v1
	s_xor_b32 s23, exec_lo, s23
	s_cbranch_execz .LBB30_2840
; %bb.2820:
	v_cmp_ne_u16_e32 vcc_lo, 0x80, v1
	s_and_b32 s24, vcc_lo, exec_lo
	s_and_not1_saveexec_b32 s23, s23
	s_cbranch_execnz .LBB30_2841
.LBB30_2821:
	s_or_b32 exec_lo, exec_lo, s23
	v_mov_b32_e32 v12, 0
	s_and_saveexec_b32 s23, s24
	s_cbranch_execz .LBB30_2823
.LBB30_2822:
	v_and_b32_e32 v3, 0xffff, v1
	s_delay_alu instid0(VALU_DEP_1) | instskip(SKIP_1) | instid1(VALU_DEP_2)
	v_dual_lshlrev_b32 v1, 24, v1 :: v_dual_bitop2_b32 v5, 3, v3 bitop3:0x40
	v_bfe_u32 v11, v3, 2, 5
	v_and_b32_e32 v1, 0x80000000, v1
	s_delay_alu instid0(VALU_DEP_3) | instskip(NEXT) | instid1(VALU_DEP_3)
	v_clz_i32_u32_e32 v7, v5
	v_cmp_eq_u32_e32 vcc_lo, 0, v11
	s_delay_alu instid0(VALU_DEP_2) | instskip(NEXT) | instid1(VALU_DEP_1)
	v_min_u32_e32 v7, 32, v7
	v_subrev_nc_u32_e32 v9, 29, v7
	v_sub_nc_u32_e32 v7, 30, v7
	s_delay_alu instid0(VALU_DEP_2) | instskip(NEXT) | instid1(VALU_DEP_2)
	v_lshlrev_b32_e32 v3, v9, v3
	v_cndmask_b32_e32 v7, v11, v7, vcc_lo
	s_delay_alu instid0(VALU_DEP_2) | instskip(NEXT) | instid1(VALU_DEP_1)
	v_and_b32_e32 v3, 3, v3
	v_cndmask_b32_e32 v3, v5, v3, vcc_lo
	s_delay_alu instid0(VALU_DEP_3) | instskip(NEXT) | instid1(VALU_DEP_2)
	v_lshl_add_u32 v5, v7, 23, 0x37800000
	v_lshlrev_b32_e32 v3, 21, v3
	s_delay_alu instid0(VALU_DEP_1) | instskip(NEXT) | instid1(VALU_DEP_1)
	v_or3_b32 v1, v1, v5, v3
	v_trunc_f32_e32 v1, v1
	s_delay_alu instid0(VALU_DEP_1) | instskip(NEXT) | instid1(VALU_DEP_1)
	v_mul_f32_e64 v3, 0x2f800000, |v1|
	v_floor_f32_e32 v3, v3
	s_delay_alu instid0(VALU_DEP_1) | instskip(SKIP_1) | instid1(VALU_DEP_2)
	v_fma_f32 v3, 0xcf800000, v3, |v1|
	v_ashrrev_i32_e32 v1, 31, v1
	v_cvt_u32_f32_e32 v3, v3
	s_delay_alu instid0(VALU_DEP_1) | instskip(NEXT) | instid1(VALU_DEP_1)
	v_xor_b32_e32 v3, v3, v1
	v_sub_nc_u32_e32 v12, v3, v1
.LBB30_2823:
	s_or_b32 exec_lo, exec_lo, s23
	s_mov_b32 s23, 0
	s_branch .LBB30_2829
.LBB30_2824:
	s_mov_b32 s23, -1
                                        ; implicit-def: $vgpr12
	s_branch .LBB30_2835
.LBB30_2825:
	s_and_not1_saveexec_b32 s24, s24
	s_cbranch_execz .LBB30_2810
.LBB30_2826:
	v_cmp_ne_u16_e32 vcc_lo, 0, v1
	s_and_not1_b32 s25, s25, exec_lo
	s_and_b32 s26, vcc_lo, exec_lo
	s_delay_alu instid0(SALU_CYCLE_1)
	s_or_b32 s25, s25, s26
	s_or_b32 exec_lo, exec_lo, s24
	v_mov_b32_e32 v12, 0
	s_and_saveexec_b32 s24, s25
	s_cbranch_execnz .LBB30_2811
	s_branch .LBB30_2812
.LBB30_2827:
	s_mov_b32 s23, -1
                                        ; implicit-def: $vgpr12
	s_branch .LBB30_2832
.LBB30_2828:
	s_mov_b32 s23, -1
                                        ; implicit-def: $vgpr12
.LBB30_2829:
	s_delay_alu instid0(SALU_CYCLE_1)
	s_and_b32 vcc_lo, exec_lo, s23
	s_cbranch_vccz .LBB30_2831
; %bb.2830:
	s_wait_loadcnt 0x0
	global_load_u8 v1, v[20:21], off
	s_wait_loadcnt 0x0
	v_lshlrev_b32_e32 v1, 24, v1
	s_delay_alu instid0(VALU_DEP_1) | instskip(NEXT) | instid1(VALU_DEP_1)
	v_and_b32_e32 v3, 0x7f000000, v1
	v_clz_i32_u32_e32 v5, v3
	v_add_nc_u32_e32 v9, 0x1000000, v3
	v_cmp_ne_u32_e32 vcc_lo, 0, v3
	s_delay_alu instid0(VALU_DEP_3) | instskip(NEXT) | instid1(VALU_DEP_1)
	v_min_u32_e32 v5, 32, v5
	v_sub_nc_u32_e64 v5, v5, 4 clamp
	s_delay_alu instid0(VALU_DEP_1) | instskip(NEXT) | instid1(VALU_DEP_1)
	v_dual_lshlrev_b32 v7, v5, v3 :: v_dual_lshlrev_b32 v5, 23, v5
	v_lshrrev_b32_e32 v7, 4, v7
	s_delay_alu instid0(VALU_DEP_1) | instskip(SKIP_1) | instid1(VALU_DEP_2)
	v_sub_nc_u32_e32 v5, v7, v5
	v_ashrrev_i32_e32 v7, 8, v9
	v_add_nc_u32_e32 v5, 0x3c000000, v5
	s_delay_alu instid0(VALU_DEP_1) | instskip(NEXT) | instid1(VALU_DEP_1)
	v_and_or_b32 v5, 0x7f800000, v7, v5
	v_cndmask_b32_e32 v3, 0, v5, vcc_lo
	s_delay_alu instid0(VALU_DEP_1) | instskip(NEXT) | instid1(VALU_DEP_1)
	v_and_or_b32 v1, 0x80000000, v1, v3
	v_trunc_f32_e32 v1, v1
	s_delay_alu instid0(VALU_DEP_1) | instskip(NEXT) | instid1(VALU_DEP_1)
	v_mul_f32_e64 v3, 0x2f800000, |v1|
	v_floor_f32_e32 v3, v3
	s_delay_alu instid0(VALU_DEP_1) | instskip(SKIP_1) | instid1(VALU_DEP_2)
	v_fma_f32 v3, 0xcf800000, v3, |v1|
	v_ashrrev_i32_e32 v1, 31, v1
	v_cvt_u32_f32_e32 v3, v3
	s_delay_alu instid0(VALU_DEP_1) | instskip(NEXT) | instid1(VALU_DEP_1)
	v_xor_b32_e32 v3, v3, v1
	v_sub_nc_u32_e32 v12, v3, v1
.LBB30_2831:
	s_mov_b32 s23, 0
.LBB30_2832:
	s_delay_alu instid0(SALU_CYCLE_1)
	s_and_not1_b32 vcc_lo, exec_lo, s23
	s_cbranch_vccnz .LBB30_2834
; %bb.2833:
	s_wait_loadcnt 0x0
	global_load_u8 v1, v[20:21], off
	s_wait_loadcnt 0x0
	v_lshlrev_b32_e32 v3, 25, v1
	v_lshlrev_b16 v1, 8, v1
	s_delay_alu instid0(VALU_DEP_1) | instskip(SKIP_1) | instid1(VALU_DEP_2)
	v_and_or_b32 v7, 0x7f00, v1, 0.5
	v_bfe_i32 v1, v1, 0, 16
	v_add_f32_e32 v7, -0.5, v7
	v_lshrrev_b32_e32 v5, 4, v3
	v_cmp_gt_u32_e32 vcc_lo, 0x8000000, v3
	s_delay_alu instid0(VALU_DEP_2) | instskip(NEXT) | instid1(VALU_DEP_1)
	v_or_b32_e32 v5, 0x70000000, v5
	v_mul_f32_e32 v5, 0x7800000, v5
	s_delay_alu instid0(VALU_DEP_1) | instskip(NEXT) | instid1(VALU_DEP_1)
	v_cndmask_b32_e32 v3, v5, v7, vcc_lo
	v_and_or_b32 v1, 0x80000000, v1, v3
	s_delay_alu instid0(VALU_DEP_1) | instskip(NEXT) | instid1(VALU_DEP_1)
	v_trunc_f32_e32 v1, v1
	v_mul_f32_e64 v3, 0x2f800000, |v1|
	s_delay_alu instid0(VALU_DEP_1) | instskip(NEXT) | instid1(VALU_DEP_1)
	v_floor_f32_e32 v3, v3
	v_fma_f32 v3, 0xcf800000, v3, |v1|
	v_ashrrev_i32_e32 v1, 31, v1
	s_delay_alu instid0(VALU_DEP_2) | instskip(NEXT) | instid1(VALU_DEP_1)
	v_cvt_u32_f32_e32 v3, v3
	v_xor_b32_e32 v3, v3, v1
	s_delay_alu instid0(VALU_DEP_1)
	v_sub_nc_u32_e32 v12, v3, v1
.LBB30_2834:
	s_mov_b32 s23, 0
	s_mov_b32 s24, -1
.LBB30_2835:
	s_and_not1_b32 vcc_lo, exec_lo, s23
	s_mov_b32 s23, 0
	s_cbranch_vccnz .LBB30_2846
; %bb.2836:
	s_cmp_gt_i32 s19, 14
	s_cbranch_scc0 .LBB30_2839
; %bb.2837:
	s_cmp_eq_u32 s19, 15
	s_cbranch_scc0 .LBB30_2842
; %bb.2838:
	s_wait_loadcnt 0x0
	global_load_u16 v1, v[20:21], off
	s_mov_b32 s22, 0
	s_mov_b32 s24, -1
	s_wait_loadcnt 0x0
	v_lshlrev_b32_e32 v1, 16, v1
	s_delay_alu instid0(VALU_DEP_1) | instskip(NEXT) | instid1(VALU_DEP_1)
	v_trunc_f32_e32 v1, v1
	v_mul_f32_e64 v3, 0x2f800000, |v1|
	s_delay_alu instid0(VALU_DEP_1) | instskip(NEXT) | instid1(VALU_DEP_1)
	v_floor_f32_e32 v3, v3
	v_fma_f32 v3, 0xcf800000, v3, |v1|
	v_ashrrev_i32_e32 v1, 31, v1
	s_delay_alu instid0(VALU_DEP_2) | instskip(NEXT) | instid1(VALU_DEP_1)
	v_cvt_u32_f32_e32 v3, v3
	v_xor_b32_e32 v3, v3, v1
	s_delay_alu instid0(VALU_DEP_1)
	v_sub_nc_u32_e32 v12, v3, v1
	s_branch .LBB30_2844
.LBB30_2839:
	s_mov_b32 s23, -1
	s_branch .LBB30_2843
.LBB30_2840:
	s_and_not1_saveexec_b32 s23, s23
	s_cbranch_execz .LBB30_2821
.LBB30_2841:
	v_cmp_ne_u16_e32 vcc_lo, 0, v1
	s_and_not1_b32 s24, s24, exec_lo
	s_and_b32 s25, vcc_lo, exec_lo
	s_delay_alu instid0(SALU_CYCLE_1)
	s_or_b32 s24, s24, s25
	s_or_b32 exec_lo, exec_lo, s23
	v_mov_b32_e32 v12, 0
	s_and_saveexec_b32 s23, s24
	s_cbranch_execnz .LBB30_2822
	s_branch .LBB30_2823
.LBB30_2842:
	s_mov_b32 s22, -1
.LBB30_2843:
                                        ; implicit-def: $vgpr12
.LBB30_2844:
	s_and_b32 vcc_lo, exec_lo, s23
	s_mov_b32 s23, 0
	s_cbranch_vccz .LBB30_2846
; %bb.2845:
	s_cmp_lg_u32 s19, 11
	s_mov_b32 s23, -1
	s_cselect_b32 s22, -1, 0
.LBB30_2846:
	s_delay_alu instid0(SALU_CYCLE_1)
	s_and_b32 vcc_lo, exec_lo, s22
	s_cbranch_vccnz .LBB30_2911
; %bb.2847:
	s_and_not1_b32 vcc_lo, exec_lo, s23
	s_cbranch_vccnz .LBB30_2849
.LBB30_2848:
	s_wait_loadcnt 0x0
	global_load_u8 v1, v[20:21], off
	s_mov_b32 s24, -1
	s_wait_loadcnt 0x0
	v_cmp_ne_u16_e32 vcc_lo, 0, v1
	v_cndmask_b32_e64 v12, 0, 1, vcc_lo
.LBB30_2849:
	s_mov_b32 s19, 0
.LBB30_2850:
	s_delay_alu instid0(SALU_CYCLE_1)
	s_and_b32 vcc_lo, exec_lo, s19
	s_cbranch_vccz .LBB30_2899
; %bb.2851:
	s_and_b32 s19, 0xffff, s0
	s_delay_alu instid0(SALU_CYCLE_1)
	s_cmp_lt_i32 s19, 5
	s_cbranch_scc1 .LBB30_2856
; %bb.2852:
	s_cmp_lt_i32 s19, 8
	s_cbranch_scc1 .LBB30_2857
; %bb.2853:
	;; [unrolled: 3-line block ×3, first 2 shown]
	s_cmp_gt_i32 s19, 9
	s_cbranch_scc0 .LBB30_2859
; %bb.2855:
	s_wait_loadcnt 0x0
	global_load_b64 v[12:13], v[20:21], off
	s_mov_b32 s22, 0
	s_wait_loadcnt 0x0
	v_trunc_f64_e32 v[12:13], v[12:13]
	s_delay_alu instid0(VALU_DEP_1) | instskip(NEXT) | instid1(VALU_DEP_1)
	v_ldexp_f64 v[22:23], v[12:13], 0xffffffe0
	v_floor_f64_e32 v[22:23], v[22:23]
	s_delay_alu instid0(VALU_DEP_1) | instskip(NEXT) | instid1(VALU_DEP_1)
	v_fmamk_f64 v[12:13], v[22:23], 0xc1f00000, v[12:13]
	v_cvt_u32_f64_e32 v12, v[12:13]
	s_branch .LBB30_2860
.LBB30_2856:
	s_mov_b32 s22, -1
                                        ; implicit-def: $vgpr12
	s_branch .LBB30_2878
.LBB30_2857:
	s_mov_b32 s22, -1
                                        ; implicit-def: $vgpr12
	s_branch .LBB30_2866
.LBB30_2858:
	s_mov_b32 s22, -1
                                        ; implicit-def: $vgpr12
	s_branch .LBB30_2863
.LBB30_2859:
	s_mov_b32 s22, -1
                                        ; implicit-def: $vgpr12
.LBB30_2860:
	s_delay_alu instid0(SALU_CYCLE_1)
	s_and_not1_b32 vcc_lo, exec_lo, s22
	s_cbranch_vccnz .LBB30_2862
; %bb.2861:
	s_wait_loadcnt 0x0
	global_load_b32 v1, v[20:21], off
	s_wait_loadcnt 0x0
	v_trunc_f32_e32 v1, v1
	s_delay_alu instid0(VALU_DEP_1) | instskip(NEXT) | instid1(VALU_DEP_1)
	v_mul_f32_e64 v3, 0x2f800000, |v1|
	v_floor_f32_e32 v3, v3
	s_delay_alu instid0(VALU_DEP_1) | instskip(SKIP_1) | instid1(VALU_DEP_2)
	v_fma_f32 v3, 0xcf800000, v3, |v1|
	v_ashrrev_i32_e32 v1, 31, v1
	v_cvt_u32_f32_e32 v3, v3
	s_delay_alu instid0(VALU_DEP_1) | instskip(NEXT) | instid1(VALU_DEP_1)
	v_xor_b32_e32 v3, v3, v1
	v_sub_nc_u32_e32 v12, v3, v1
.LBB30_2862:
	s_mov_b32 s22, 0
.LBB30_2863:
	s_delay_alu instid0(SALU_CYCLE_1)
	s_and_not1_b32 vcc_lo, exec_lo, s22
	s_cbranch_vccnz .LBB30_2865
; %bb.2864:
	s_wait_loadcnt 0x0
	global_load_b32 v1, v[20:21], off
	s_wait_loadcnt 0x0
	v_cvt_f32_f16_e32 v1, v1
	s_delay_alu instid0(VALU_DEP_1)
	v_cvt_i32_f32_e32 v12, v1
.LBB30_2865:
	s_mov_b32 s22, 0
.LBB30_2866:
	s_delay_alu instid0(SALU_CYCLE_1)
	s_and_not1_b32 vcc_lo, exec_lo, s22
	s_cbranch_vccnz .LBB30_2877
; %bb.2867:
	s_cmp_lt_i32 s19, 6
	s_cbranch_scc1 .LBB30_2870
; %bb.2868:
	s_cmp_gt_i32 s19, 6
	s_cbranch_scc0 .LBB30_2871
; %bb.2869:
	s_wait_loadcnt 0x0
	global_load_b64 v[12:13], v[20:21], off
	s_mov_b32 s22, 0
	s_wait_loadcnt 0x0
	v_trunc_f64_e32 v[12:13], v[12:13]
	s_delay_alu instid0(VALU_DEP_1) | instskip(NEXT) | instid1(VALU_DEP_1)
	v_ldexp_f64 v[22:23], v[12:13], 0xffffffe0
	v_floor_f64_e32 v[22:23], v[22:23]
	s_delay_alu instid0(VALU_DEP_1) | instskip(NEXT) | instid1(VALU_DEP_1)
	v_fmamk_f64 v[12:13], v[22:23], 0xc1f00000, v[12:13]
	v_cvt_u32_f64_e32 v12, v[12:13]
	s_branch .LBB30_2872
.LBB30_2870:
	s_mov_b32 s22, -1
                                        ; implicit-def: $vgpr12
	s_branch .LBB30_2875
.LBB30_2871:
	s_mov_b32 s22, -1
                                        ; implicit-def: $vgpr12
.LBB30_2872:
	s_delay_alu instid0(SALU_CYCLE_1)
	s_and_not1_b32 vcc_lo, exec_lo, s22
	s_cbranch_vccnz .LBB30_2874
; %bb.2873:
	s_wait_loadcnt 0x0
	global_load_b32 v1, v[20:21], off
	s_wait_loadcnt 0x0
	v_trunc_f32_e32 v1, v1
	s_delay_alu instid0(VALU_DEP_1) | instskip(NEXT) | instid1(VALU_DEP_1)
	v_mul_f32_e64 v3, 0x2f800000, |v1|
	v_floor_f32_e32 v3, v3
	s_delay_alu instid0(VALU_DEP_1) | instskip(SKIP_1) | instid1(VALU_DEP_2)
	v_fma_f32 v3, 0xcf800000, v3, |v1|
	v_ashrrev_i32_e32 v1, 31, v1
	v_cvt_u32_f32_e32 v3, v3
	s_delay_alu instid0(VALU_DEP_1) | instskip(NEXT) | instid1(VALU_DEP_1)
	v_xor_b32_e32 v3, v3, v1
	v_sub_nc_u32_e32 v12, v3, v1
.LBB30_2874:
	s_mov_b32 s22, 0
.LBB30_2875:
	s_delay_alu instid0(SALU_CYCLE_1)
	s_and_not1_b32 vcc_lo, exec_lo, s22
	s_cbranch_vccnz .LBB30_2877
; %bb.2876:
	s_wait_loadcnt 0x0
	global_load_u16 v1, v[20:21], off
	s_wait_loadcnt 0x0
	v_cvt_f32_f16_e32 v1, v1
	s_delay_alu instid0(VALU_DEP_1)
	v_cvt_i32_f32_e32 v12, v1
.LBB30_2877:
	s_mov_b32 s22, 0
.LBB30_2878:
	s_delay_alu instid0(SALU_CYCLE_1)
	s_and_not1_b32 vcc_lo, exec_lo, s22
	s_cbranch_vccnz .LBB30_2898
; %bb.2879:
	s_cmp_lt_i32 s19, 2
	s_cbranch_scc1 .LBB30_2883
; %bb.2880:
	s_cmp_lt_i32 s19, 3
	s_cbranch_scc1 .LBB30_2884
; %bb.2881:
	s_cmp_gt_i32 s19, 3
	s_cbranch_scc0 .LBB30_2885
; %bb.2882:
	s_wait_loadcnt 0x0
	global_load_b64 v[12:13], v[20:21], off
	s_mov_b32 s22, 0
	s_branch .LBB30_2886
.LBB30_2883:
	s_mov_b32 s22, -1
                                        ; implicit-def: $vgpr12
	s_branch .LBB30_2892
.LBB30_2884:
	s_mov_b32 s22, -1
                                        ; implicit-def: $vgpr12
	s_branch .LBB30_2889
.LBB30_2885:
	s_mov_b32 s22, -1
                                        ; implicit-def: $vgpr12
.LBB30_2886:
	s_delay_alu instid0(SALU_CYCLE_1)
	s_and_not1_b32 vcc_lo, exec_lo, s22
	s_cbranch_vccnz .LBB30_2888
; %bb.2887:
	s_wait_loadcnt 0x0
	global_load_b32 v12, v[20:21], off
.LBB30_2888:
	s_mov_b32 s22, 0
.LBB30_2889:
	s_delay_alu instid0(SALU_CYCLE_1)
	s_and_not1_b32 vcc_lo, exec_lo, s22
	s_cbranch_vccnz .LBB30_2891
; %bb.2890:
	s_wait_loadcnt 0x0
	global_load_u16 v12, v[20:21], off
.LBB30_2891:
	s_mov_b32 s22, 0
.LBB30_2892:
	s_delay_alu instid0(SALU_CYCLE_1)
	s_and_not1_b32 vcc_lo, exec_lo, s22
	s_cbranch_vccnz .LBB30_2898
; %bb.2893:
	s_cmp_gt_i32 s19, 0
	s_mov_b32 s19, 0
	s_cbranch_scc0 .LBB30_2895
; %bb.2894:
	s_wait_loadcnt 0x0
	global_load_u8 v12, v[20:21], off
	s_branch .LBB30_2896
.LBB30_2895:
	s_mov_b32 s19, -1
                                        ; implicit-def: $vgpr12
.LBB30_2896:
	s_delay_alu instid0(SALU_CYCLE_1)
	s_and_not1_b32 vcc_lo, exec_lo, s19
	s_cbranch_vccnz .LBB30_2898
; %bb.2897:
	s_wait_loadcnt 0x0
	global_load_u8 v12, v[20:21], off
.LBB30_2898:
	s_mov_b32 s24, -1
.LBB30_2899:
	s_delay_alu instid0(SALU_CYCLE_1)
	s_and_not1_b32 vcc_lo, exec_lo, s24
	s_cbranch_vccnz .LBB30_3968
; %bb.2900:
	s_wait_xcnt 0x0
	v_add_nc_u32_e32 v20, s14, v14
	s_cmp_lt_i32 s3, 11
	s_delay_alu instid0(VALU_DEP_1) | instskip(NEXT) | instid1(VALU_DEP_1)
	v_ashrrev_i32_e32 v21, 31, v20
	v_add_nc_u64_e32 v[22:23], s[8:9], v[20:21]
	s_cbranch_scc1 .LBB30_2907
; %bb.2901:
	s_and_b32 s19, 0xffff, s3
	s_mov_b32 s23, 0
	s_cmp_gt_i32 s19, 25
	s_cbranch_scc0 .LBB30_2908
; %bb.2902:
	s_cmp_gt_i32 s19, 28
	s_cbranch_scc0 .LBB30_2909
; %bb.2903:
	;; [unrolled: 3-line block ×4, first 2 shown]
	s_cmp_eq_u32 s19, 46
	s_mov_b32 s25, 0
	s_cbranch_scc0 .LBB30_2913
; %bb.2906:
	s_wait_loadcnt 0x0
	global_load_b32 v1, v[22:23], off
	s_mov_b32 s22, 0
	s_mov_b32 s24, -1
	s_wait_loadcnt 0x0
	v_lshlrev_b32_e32 v1, 16, v1
	s_delay_alu instid0(VALU_DEP_1) | instskip(NEXT) | instid1(VALU_DEP_1)
	v_trunc_f32_e32 v1, v1
	v_mul_f32_e64 v3, 0x2f800000, |v1|
	s_delay_alu instid0(VALU_DEP_1) | instskip(NEXT) | instid1(VALU_DEP_1)
	v_floor_f32_e32 v3, v3
	v_fma_f32 v3, 0xcf800000, v3, |v1|
	v_ashrrev_i32_e32 v1, 31, v1
	s_delay_alu instid0(VALU_DEP_2) | instskip(NEXT) | instid1(VALU_DEP_1)
	v_cvt_u32_f32_e32 v3, v3
	v_xor_b32_e32 v3, v3, v1
	s_delay_alu instid0(VALU_DEP_1)
	v_sub_nc_u32_e32 v14, v3, v1
	s_branch .LBB30_2915
.LBB30_2907:
	s_mov_b32 s19, -1
	s_mov_b32 s24, 0
                                        ; implicit-def: $vgpr14
	s_branch .LBB30_2977
.LBB30_2908:
	s_mov_b32 s25, -1
	s_mov_b32 s24, 0
	s_mov_b32 s22, 0
                                        ; implicit-def: $vgpr14
	s_branch .LBB30_2942
.LBB30_2909:
	s_mov_b32 s25, -1
	s_mov_b32 s24, 0
	s_mov_b32 s22, 0
                                        ; implicit-def: $vgpr14
	s_branch .LBB30_2925
.LBB30_2910:
	s_mov_b32 s25, -1
	s_mov_b32 s24, 0
	s_mov_b32 s22, 0
                                        ; implicit-def: $vgpr14
	s_branch .LBB30_2920
.LBB30_2911:
	s_or_b32 s16, s16, exec_lo
	s_trap 2
	s_cbranch_execz .LBB30_2848
	s_branch .LBB30_2849
.LBB30_2912:
	s_mov_b32 s25, -1
	s_mov_b32 s24, 0
	s_mov_b32 s22, 0
	s_branch .LBB30_2914
.LBB30_2913:
	s_mov_b32 s22, -1
	s_mov_b32 s24, 0
.LBB30_2914:
                                        ; implicit-def: $vgpr14
.LBB30_2915:
	s_and_b32 vcc_lo, exec_lo, s25
	s_cbranch_vccz .LBB30_2919
; %bb.2916:
	s_cmp_eq_u32 s19, 44
	s_cbranch_scc0 .LBB30_2918
; %bb.2917:
	s_wait_loadcnt 0x0
	global_load_u8 v1, v[22:23], off
	s_mov_b32 s22, 0
	s_mov_b32 s24, -1
	s_wait_loadcnt 0x0
	v_lshlrev_b32_e32 v3, 23, v1
	v_cmp_ne_u32_e32 vcc_lo, 0, v1
	s_delay_alu instid0(VALU_DEP_2) | instskip(NEXT) | instid1(VALU_DEP_1)
	v_trunc_f32_e32 v3, v3
	v_mul_f32_e64 v5, 0x2f800000, |v3|
	s_delay_alu instid0(VALU_DEP_1) | instskip(NEXT) | instid1(VALU_DEP_1)
	v_floor_f32_e32 v5, v5
	v_fma_f32 v5, 0xcf800000, v5, |v3|
	v_ashrrev_i32_e32 v3, 31, v3
	s_delay_alu instid0(VALU_DEP_2) | instskip(NEXT) | instid1(VALU_DEP_1)
	v_cvt_u32_f32_e32 v5, v5
	v_xor_b32_e32 v5, v5, v3
	s_delay_alu instid0(VALU_DEP_1) | instskip(NEXT) | instid1(VALU_DEP_1)
	v_sub_nc_u32_e32 v3, v5, v3
	v_cndmask_b32_e32 v14, 0, v3, vcc_lo
	s_branch .LBB30_2919
.LBB30_2918:
	s_mov_b32 s22, -1
                                        ; implicit-def: $vgpr14
.LBB30_2919:
	s_mov_b32 s25, 0
.LBB30_2920:
	s_delay_alu instid0(SALU_CYCLE_1)
	s_and_b32 vcc_lo, exec_lo, s25
	s_cbranch_vccz .LBB30_2924
; %bb.2921:
	s_cmp_eq_u32 s19, 29
	s_cbranch_scc0 .LBB30_2923
; %bb.2922:
	global_load_b64 v[14:15], v[22:23], off
	s_mov_b32 s22, 0
	s_mov_b32 s24, -1
	s_branch .LBB30_2924
.LBB30_2923:
	s_mov_b32 s22, -1
                                        ; implicit-def: $vgpr14
.LBB30_2924:
	s_mov_b32 s25, 0
.LBB30_2925:
	s_delay_alu instid0(SALU_CYCLE_1)
	s_and_b32 vcc_lo, exec_lo, s25
	s_cbranch_vccz .LBB30_2941
; %bb.2926:
	s_cmp_lt_i32 s19, 27
	s_cbranch_scc1 .LBB30_2929
; %bb.2927:
	s_cmp_gt_i32 s19, 27
	s_cbranch_scc0 .LBB30_2930
; %bb.2928:
	s_wait_loadcnt 0x0
	global_load_b32 v14, v[22:23], off
	s_mov_b32 s24, 0
	s_branch .LBB30_2931
.LBB30_2929:
	s_mov_b32 s24, -1
                                        ; implicit-def: $vgpr14
	s_branch .LBB30_2934
.LBB30_2930:
	s_mov_b32 s24, -1
                                        ; implicit-def: $vgpr14
.LBB30_2931:
	s_delay_alu instid0(SALU_CYCLE_1)
	s_and_not1_b32 vcc_lo, exec_lo, s24
	s_cbranch_vccnz .LBB30_2933
; %bb.2932:
	s_wait_loadcnt 0x0
	global_load_u16 v14, v[22:23], off
.LBB30_2933:
	s_mov_b32 s24, 0
.LBB30_2934:
	s_delay_alu instid0(SALU_CYCLE_1)
	s_and_not1_b32 vcc_lo, exec_lo, s24
	s_cbranch_vccnz .LBB30_2940
; %bb.2935:
	s_wait_loadcnt 0x0
	global_load_u8 v1, v[22:23], off
	s_mov_b32 s25, 0
	s_mov_b32 s24, exec_lo
	s_wait_loadcnt 0x0
	v_cmpx_lt_i16_e32 0x7f, v1
	s_xor_b32 s24, exec_lo, s24
	s_cbranch_execz .LBB30_2952
; %bb.2936:
	v_cmp_ne_u16_e32 vcc_lo, 0x80, v1
	s_and_b32 s25, vcc_lo, exec_lo
	s_and_not1_saveexec_b32 s24, s24
	s_cbranch_execnz .LBB30_2953
.LBB30_2937:
	s_or_b32 exec_lo, exec_lo, s24
	v_mov_b32_e32 v14, 0
	s_and_saveexec_b32 s24, s25
	s_cbranch_execz .LBB30_2939
.LBB30_2938:
	v_and_b32_e32 v3, 0xffff, v1
	s_delay_alu instid0(VALU_DEP_1) | instskip(SKIP_1) | instid1(VALU_DEP_2)
	v_dual_lshlrev_b32 v1, 24, v1 :: v_dual_bitop2_b32 v5, 7, v3 bitop3:0x40
	v_bfe_u32 v11, v3, 3, 4
	v_and_b32_e32 v1, 0x80000000, v1
	s_delay_alu instid0(VALU_DEP_3) | instskip(NEXT) | instid1(VALU_DEP_3)
	v_clz_i32_u32_e32 v7, v5
	v_cmp_eq_u32_e32 vcc_lo, 0, v11
	s_delay_alu instid0(VALU_DEP_2) | instskip(NEXT) | instid1(VALU_DEP_1)
	v_min_u32_e32 v7, 32, v7
	v_subrev_nc_u32_e32 v9, 28, v7
	v_sub_nc_u32_e32 v7, 29, v7
	s_delay_alu instid0(VALU_DEP_2) | instskip(NEXT) | instid1(VALU_DEP_2)
	v_lshlrev_b32_e32 v3, v9, v3
	v_cndmask_b32_e32 v7, v11, v7, vcc_lo
	s_delay_alu instid0(VALU_DEP_2) | instskip(NEXT) | instid1(VALU_DEP_1)
	v_and_b32_e32 v3, 7, v3
	v_cndmask_b32_e32 v3, v5, v3, vcc_lo
	s_delay_alu instid0(VALU_DEP_3) | instskip(NEXT) | instid1(VALU_DEP_2)
	v_lshl_add_u32 v5, v7, 23, 0x3b800000
	v_lshlrev_b32_e32 v3, 20, v3
	s_delay_alu instid0(VALU_DEP_1) | instskip(NEXT) | instid1(VALU_DEP_1)
	v_or3_b32 v1, v1, v5, v3
	v_trunc_f32_e32 v1, v1
	s_delay_alu instid0(VALU_DEP_1) | instskip(NEXT) | instid1(VALU_DEP_1)
	v_mul_f32_e64 v3, 0x2f800000, |v1|
	v_floor_f32_e32 v3, v3
	s_delay_alu instid0(VALU_DEP_1) | instskip(SKIP_1) | instid1(VALU_DEP_2)
	v_fma_f32 v3, 0xcf800000, v3, |v1|
	v_ashrrev_i32_e32 v1, 31, v1
	v_cvt_u32_f32_e32 v3, v3
	s_delay_alu instid0(VALU_DEP_1) | instskip(NEXT) | instid1(VALU_DEP_1)
	v_xor_b32_e32 v3, v3, v1
	v_sub_nc_u32_e32 v14, v3, v1
.LBB30_2939:
	s_or_b32 exec_lo, exec_lo, s24
.LBB30_2940:
	s_mov_b32 s24, -1
.LBB30_2941:
	s_mov_b32 s25, 0
.LBB30_2942:
	s_delay_alu instid0(SALU_CYCLE_1)
	s_and_b32 vcc_lo, exec_lo, s25
	s_cbranch_vccz .LBB30_2973
; %bb.2943:
	s_cmp_gt_i32 s19, 22
	s_cbranch_scc0 .LBB30_2951
; %bb.2944:
	s_cmp_lt_i32 s19, 24
	s_cbranch_scc1 .LBB30_2954
; %bb.2945:
	s_cmp_gt_i32 s19, 24
	s_cbranch_scc0 .LBB30_2955
; %bb.2946:
	s_wait_loadcnt 0x0
	global_load_u8 v1, v[22:23], off
	s_mov_b32 s24, 0
	s_mov_b32 s23, exec_lo
	s_wait_loadcnt 0x0
	v_cmpx_lt_i16_e32 0x7f, v1
	s_xor_b32 s23, exec_lo, s23
	s_cbranch_execz .LBB30_2967
; %bb.2947:
	v_cmp_ne_u16_e32 vcc_lo, 0x80, v1
	s_and_b32 s24, vcc_lo, exec_lo
	s_and_not1_saveexec_b32 s23, s23
	s_cbranch_execnz .LBB30_2968
.LBB30_2948:
	s_or_b32 exec_lo, exec_lo, s23
	v_mov_b32_e32 v14, 0
	s_and_saveexec_b32 s23, s24
	s_cbranch_execz .LBB30_2950
.LBB30_2949:
	v_and_b32_e32 v3, 0xffff, v1
	s_delay_alu instid0(VALU_DEP_1) | instskip(SKIP_1) | instid1(VALU_DEP_2)
	v_dual_lshlrev_b32 v1, 24, v1 :: v_dual_bitop2_b32 v5, 3, v3 bitop3:0x40
	v_bfe_u32 v11, v3, 2, 5
	v_and_b32_e32 v1, 0x80000000, v1
	s_delay_alu instid0(VALU_DEP_3) | instskip(NEXT) | instid1(VALU_DEP_3)
	v_clz_i32_u32_e32 v7, v5
	v_cmp_eq_u32_e32 vcc_lo, 0, v11
	s_delay_alu instid0(VALU_DEP_2) | instskip(NEXT) | instid1(VALU_DEP_1)
	v_min_u32_e32 v7, 32, v7
	v_subrev_nc_u32_e32 v9, 29, v7
	v_sub_nc_u32_e32 v7, 30, v7
	s_delay_alu instid0(VALU_DEP_2) | instskip(NEXT) | instid1(VALU_DEP_2)
	v_lshlrev_b32_e32 v3, v9, v3
	v_cndmask_b32_e32 v7, v11, v7, vcc_lo
	s_delay_alu instid0(VALU_DEP_2) | instskip(NEXT) | instid1(VALU_DEP_1)
	v_and_b32_e32 v3, 3, v3
	v_cndmask_b32_e32 v3, v5, v3, vcc_lo
	s_delay_alu instid0(VALU_DEP_3) | instskip(NEXT) | instid1(VALU_DEP_2)
	v_lshl_add_u32 v5, v7, 23, 0x37800000
	v_lshlrev_b32_e32 v3, 21, v3
	s_delay_alu instid0(VALU_DEP_1) | instskip(NEXT) | instid1(VALU_DEP_1)
	v_or3_b32 v1, v1, v5, v3
	v_trunc_f32_e32 v1, v1
	s_delay_alu instid0(VALU_DEP_1) | instskip(NEXT) | instid1(VALU_DEP_1)
	v_mul_f32_e64 v3, 0x2f800000, |v1|
	v_floor_f32_e32 v3, v3
	s_delay_alu instid0(VALU_DEP_1) | instskip(SKIP_1) | instid1(VALU_DEP_2)
	v_fma_f32 v3, 0xcf800000, v3, |v1|
	v_ashrrev_i32_e32 v1, 31, v1
	v_cvt_u32_f32_e32 v3, v3
	s_delay_alu instid0(VALU_DEP_1) | instskip(NEXT) | instid1(VALU_DEP_1)
	v_xor_b32_e32 v3, v3, v1
	v_sub_nc_u32_e32 v14, v3, v1
.LBB30_2950:
	s_or_b32 exec_lo, exec_lo, s23
	s_mov_b32 s23, 0
	s_branch .LBB30_2956
.LBB30_2951:
	s_mov_b32 s23, -1
                                        ; implicit-def: $vgpr14
	s_branch .LBB30_2962
.LBB30_2952:
	s_and_not1_saveexec_b32 s24, s24
	s_cbranch_execz .LBB30_2937
.LBB30_2953:
	v_cmp_ne_u16_e32 vcc_lo, 0, v1
	s_and_not1_b32 s25, s25, exec_lo
	s_and_b32 s26, vcc_lo, exec_lo
	s_delay_alu instid0(SALU_CYCLE_1)
	s_or_b32 s25, s25, s26
	s_or_b32 exec_lo, exec_lo, s24
	v_mov_b32_e32 v14, 0
	s_and_saveexec_b32 s24, s25
	s_cbranch_execnz .LBB30_2938
	s_branch .LBB30_2939
.LBB30_2954:
	s_mov_b32 s23, -1
                                        ; implicit-def: $vgpr14
	s_branch .LBB30_2959
.LBB30_2955:
	s_mov_b32 s23, -1
                                        ; implicit-def: $vgpr14
.LBB30_2956:
	s_delay_alu instid0(SALU_CYCLE_1)
	s_and_b32 vcc_lo, exec_lo, s23
	s_cbranch_vccz .LBB30_2958
; %bb.2957:
	s_wait_loadcnt 0x0
	global_load_u8 v1, v[22:23], off
	s_wait_loadcnt 0x0
	v_lshlrev_b32_e32 v1, 24, v1
	s_delay_alu instid0(VALU_DEP_1) | instskip(NEXT) | instid1(VALU_DEP_1)
	v_and_b32_e32 v3, 0x7f000000, v1
	v_clz_i32_u32_e32 v5, v3
	v_add_nc_u32_e32 v9, 0x1000000, v3
	v_cmp_ne_u32_e32 vcc_lo, 0, v3
	s_delay_alu instid0(VALU_DEP_3) | instskip(NEXT) | instid1(VALU_DEP_1)
	v_min_u32_e32 v5, 32, v5
	v_sub_nc_u32_e64 v5, v5, 4 clamp
	s_delay_alu instid0(VALU_DEP_1) | instskip(NEXT) | instid1(VALU_DEP_1)
	v_dual_lshlrev_b32 v7, v5, v3 :: v_dual_lshlrev_b32 v5, 23, v5
	v_lshrrev_b32_e32 v7, 4, v7
	s_delay_alu instid0(VALU_DEP_1) | instskip(SKIP_1) | instid1(VALU_DEP_2)
	v_sub_nc_u32_e32 v5, v7, v5
	v_ashrrev_i32_e32 v7, 8, v9
	v_add_nc_u32_e32 v5, 0x3c000000, v5
	s_delay_alu instid0(VALU_DEP_1) | instskip(NEXT) | instid1(VALU_DEP_1)
	v_and_or_b32 v5, 0x7f800000, v7, v5
	v_cndmask_b32_e32 v3, 0, v5, vcc_lo
	s_delay_alu instid0(VALU_DEP_1) | instskip(NEXT) | instid1(VALU_DEP_1)
	v_and_or_b32 v1, 0x80000000, v1, v3
	v_trunc_f32_e32 v1, v1
	s_delay_alu instid0(VALU_DEP_1) | instskip(NEXT) | instid1(VALU_DEP_1)
	v_mul_f32_e64 v3, 0x2f800000, |v1|
	v_floor_f32_e32 v3, v3
	s_delay_alu instid0(VALU_DEP_1) | instskip(SKIP_1) | instid1(VALU_DEP_2)
	v_fma_f32 v3, 0xcf800000, v3, |v1|
	v_ashrrev_i32_e32 v1, 31, v1
	v_cvt_u32_f32_e32 v3, v3
	s_delay_alu instid0(VALU_DEP_1) | instskip(NEXT) | instid1(VALU_DEP_1)
	v_xor_b32_e32 v3, v3, v1
	v_sub_nc_u32_e32 v14, v3, v1
.LBB30_2958:
	s_mov_b32 s23, 0
.LBB30_2959:
	s_delay_alu instid0(SALU_CYCLE_1)
	s_and_not1_b32 vcc_lo, exec_lo, s23
	s_cbranch_vccnz .LBB30_2961
; %bb.2960:
	s_wait_loadcnt 0x0
	global_load_u8 v1, v[22:23], off
	s_wait_loadcnt 0x0
	v_lshlrev_b32_e32 v3, 25, v1
	v_lshlrev_b16 v1, 8, v1
	s_delay_alu instid0(VALU_DEP_1) | instskip(SKIP_1) | instid1(VALU_DEP_2)
	v_and_or_b32 v7, 0x7f00, v1, 0.5
	v_bfe_i32 v1, v1, 0, 16
	v_add_f32_e32 v7, -0.5, v7
	v_lshrrev_b32_e32 v5, 4, v3
	v_cmp_gt_u32_e32 vcc_lo, 0x8000000, v3
	s_delay_alu instid0(VALU_DEP_2) | instskip(NEXT) | instid1(VALU_DEP_1)
	v_or_b32_e32 v5, 0x70000000, v5
	v_mul_f32_e32 v5, 0x7800000, v5
	s_delay_alu instid0(VALU_DEP_1) | instskip(NEXT) | instid1(VALU_DEP_1)
	v_cndmask_b32_e32 v3, v5, v7, vcc_lo
	v_and_or_b32 v1, 0x80000000, v1, v3
	s_delay_alu instid0(VALU_DEP_1) | instskip(NEXT) | instid1(VALU_DEP_1)
	v_trunc_f32_e32 v1, v1
	v_mul_f32_e64 v3, 0x2f800000, |v1|
	s_delay_alu instid0(VALU_DEP_1) | instskip(NEXT) | instid1(VALU_DEP_1)
	v_floor_f32_e32 v3, v3
	v_fma_f32 v3, 0xcf800000, v3, |v1|
	v_ashrrev_i32_e32 v1, 31, v1
	s_delay_alu instid0(VALU_DEP_2) | instskip(NEXT) | instid1(VALU_DEP_1)
	v_cvt_u32_f32_e32 v3, v3
	v_xor_b32_e32 v3, v3, v1
	s_delay_alu instid0(VALU_DEP_1)
	v_sub_nc_u32_e32 v14, v3, v1
.LBB30_2961:
	s_mov_b32 s23, 0
	s_mov_b32 s24, -1
.LBB30_2962:
	s_and_not1_b32 vcc_lo, exec_lo, s23
	s_mov_b32 s23, 0
	s_cbranch_vccnz .LBB30_2973
; %bb.2963:
	s_cmp_gt_i32 s19, 14
	s_cbranch_scc0 .LBB30_2966
; %bb.2964:
	s_cmp_eq_u32 s19, 15
	s_cbranch_scc0 .LBB30_2969
; %bb.2965:
	s_wait_loadcnt 0x0
	global_load_u16 v1, v[22:23], off
	s_mov_b32 s22, 0
	s_mov_b32 s24, -1
	s_wait_loadcnt 0x0
	v_lshlrev_b32_e32 v1, 16, v1
	s_delay_alu instid0(VALU_DEP_1) | instskip(NEXT) | instid1(VALU_DEP_1)
	v_trunc_f32_e32 v1, v1
	v_mul_f32_e64 v3, 0x2f800000, |v1|
	s_delay_alu instid0(VALU_DEP_1) | instskip(NEXT) | instid1(VALU_DEP_1)
	v_floor_f32_e32 v3, v3
	v_fma_f32 v3, 0xcf800000, v3, |v1|
	v_ashrrev_i32_e32 v1, 31, v1
	s_delay_alu instid0(VALU_DEP_2) | instskip(NEXT) | instid1(VALU_DEP_1)
	v_cvt_u32_f32_e32 v3, v3
	v_xor_b32_e32 v3, v3, v1
	s_delay_alu instid0(VALU_DEP_1)
	v_sub_nc_u32_e32 v14, v3, v1
	s_branch .LBB30_2971
.LBB30_2966:
	s_mov_b32 s23, -1
	s_branch .LBB30_2970
.LBB30_2967:
	s_and_not1_saveexec_b32 s23, s23
	s_cbranch_execz .LBB30_2948
.LBB30_2968:
	v_cmp_ne_u16_e32 vcc_lo, 0, v1
	s_and_not1_b32 s24, s24, exec_lo
	s_and_b32 s25, vcc_lo, exec_lo
	s_delay_alu instid0(SALU_CYCLE_1)
	s_or_b32 s24, s24, s25
	s_or_b32 exec_lo, exec_lo, s23
	v_mov_b32_e32 v14, 0
	s_and_saveexec_b32 s23, s24
	s_cbranch_execnz .LBB30_2949
	s_branch .LBB30_2950
.LBB30_2969:
	s_mov_b32 s22, -1
.LBB30_2970:
                                        ; implicit-def: $vgpr14
.LBB30_2971:
	s_and_b32 vcc_lo, exec_lo, s23
	s_mov_b32 s23, 0
	s_cbranch_vccz .LBB30_2973
; %bb.2972:
	s_cmp_lg_u32 s19, 11
	s_mov_b32 s23, -1
	s_cselect_b32 s22, -1, 0
.LBB30_2973:
	s_delay_alu instid0(SALU_CYCLE_1)
	s_and_b32 vcc_lo, exec_lo, s22
	s_cbranch_vccnz .LBB30_3038
; %bb.2974:
	s_and_not1_b32 vcc_lo, exec_lo, s23
	s_cbranch_vccnz .LBB30_2976
.LBB30_2975:
	s_wait_loadcnt 0x0
	global_load_u8 v1, v[22:23], off
	s_mov_b32 s24, -1
	s_wait_loadcnt 0x0
	v_cmp_ne_u16_e32 vcc_lo, 0, v1
	v_cndmask_b32_e64 v14, 0, 1, vcc_lo
.LBB30_2976:
	s_mov_b32 s19, 0
.LBB30_2977:
	s_delay_alu instid0(SALU_CYCLE_1)
	s_and_b32 vcc_lo, exec_lo, s19
	s_cbranch_vccz .LBB30_3026
; %bb.2978:
	s_and_b32 s19, 0xffff, s3
	s_delay_alu instid0(SALU_CYCLE_1)
	s_cmp_lt_i32 s19, 5
	s_cbranch_scc1 .LBB30_2983
; %bb.2979:
	s_cmp_lt_i32 s19, 8
	s_cbranch_scc1 .LBB30_2984
; %bb.2980:
	;; [unrolled: 3-line block ×3, first 2 shown]
	s_cmp_gt_i32 s19, 9
	s_cbranch_scc0 .LBB30_2986
; %bb.2982:
	s_wait_loadcnt 0x0
	global_load_b64 v[14:15], v[22:23], off
	s_mov_b32 s22, 0
	s_wait_loadcnt 0x0
	v_trunc_f64_e32 v[14:15], v[14:15]
	s_delay_alu instid0(VALU_DEP_1) | instskip(NEXT) | instid1(VALU_DEP_1)
	v_ldexp_f64 v[24:25], v[14:15], 0xffffffe0
	v_floor_f64_e32 v[24:25], v[24:25]
	s_delay_alu instid0(VALU_DEP_1) | instskip(NEXT) | instid1(VALU_DEP_1)
	v_fmamk_f64 v[14:15], v[24:25], 0xc1f00000, v[14:15]
	v_cvt_u32_f64_e32 v14, v[14:15]
	s_branch .LBB30_2987
.LBB30_2983:
	s_mov_b32 s22, -1
                                        ; implicit-def: $vgpr14
	s_branch .LBB30_3005
.LBB30_2984:
	s_mov_b32 s22, -1
                                        ; implicit-def: $vgpr14
	s_branch .LBB30_2993
.LBB30_2985:
	s_mov_b32 s22, -1
                                        ; implicit-def: $vgpr14
	s_branch .LBB30_2990
.LBB30_2986:
	s_mov_b32 s22, -1
                                        ; implicit-def: $vgpr14
.LBB30_2987:
	s_delay_alu instid0(SALU_CYCLE_1)
	s_and_not1_b32 vcc_lo, exec_lo, s22
	s_cbranch_vccnz .LBB30_2989
; %bb.2988:
	s_wait_loadcnt 0x0
	global_load_b32 v1, v[22:23], off
	s_wait_loadcnt 0x0
	v_trunc_f32_e32 v1, v1
	s_delay_alu instid0(VALU_DEP_1) | instskip(NEXT) | instid1(VALU_DEP_1)
	v_mul_f32_e64 v3, 0x2f800000, |v1|
	v_floor_f32_e32 v3, v3
	s_delay_alu instid0(VALU_DEP_1) | instskip(SKIP_1) | instid1(VALU_DEP_2)
	v_fma_f32 v3, 0xcf800000, v3, |v1|
	v_ashrrev_i32_e32 v1, 31, v1
	v_cvt_u32_f32_e32 v3, v3
	s_delay_alu instid0(VALU_DEP_1) | instskip(NEXT) | instid1(VALU_DEP_1)
	v_xor_b32_e32 v3, v3, v1
	v_sub_nc_u32_e32 v14, v3, v1
.LBB30_2989:
	s_mov_b32 s22, 0
.LBB30_2990:
	s_delay_alu instid0(SALU_CYCLE_1)
	s_and_not1_b32 vcc_lo, exec_lo, s22
	s_cbranch_vccnz .LBB30_2992
; %bb.2991:
	s_wait_loadcnt 0x0
	global_load_b32 v1, v[22:23], off
	s_wait_loadcnt 0x0
	v_cvt_f32_f16_e32 v1, v1
	s_delay_alu instid0(VALU_DEP_1)
	v_cvt_i32_f32_e32 v14, v1
.LBB30_2992:
	s_mov_b32 s22, 0
.LBB30_2993:
	s_delay_alu instid0(SALU_CYCLE_1)
	s_and_not1_b32 vcc_lo, exec_lo, s22
	s_cbranch_vccnz .LBB30_3004
; %bb.2994:
	s_cmp_lt_i32 s19, 6
	s_cbranch_scc1 .LBB30_2997
; %bb.2995:
	s_cmp_gt_i32 s19, 6
	s_cbranch_scc0 .LBB30_2998
; %bb.2996:
	s_wait_loadcnt 0x0
	global_load_b64 v[14:15], v[22:23], off
	s_mov_b32 s22, 0
	s_wait_loadcnt 0x0
	v_trunc_f64_e32 v[14:15], v[14:15]
	s_delay_alu instid0(VALU_DEP_1) | instskip(NEXT) | instid1(VALU_DEP_1)
	v_ldexp_f64 v[24:25], v[14:15], 0xffffffe0
	v_floor_f64_e32 v[24:25], v[24:25]
	s_delay_alu instid0(VALU_DEP_1) | instskip(NEXT) | instid1(VALU_DEP_1)
	v_fmamk_f64 v[14:15], v[24:25], 0xc1f00000, v[14:15]
	v_cvt_u32_f64_e32 v14, v[14:15]
	s_branch .LBB30_2999
.LBB30_2997:
	s_mov_b32 s22, -1
                                        ; implicit-def: $vgpr14
	s_branch .LBB30_3002
.LBB30_2998:
	s_mov_b32 s22, -1
                                        ; implicit-def: $vgpr14
.LBB30_2999:
	s_delay_alu instid0(SALU_CYCLE_1)
	s_and_not1_b32 vcc_lo, exec_lo, s22
	s_cbranch_vccnz .LBB30_3001
; %bb.3000:
	s_wait_loadcnt 0x0
	global_load_b32 v1, v[22:23], off
	s_wait_loadcnt 0x0
	v_trunc_f32_e32 v1, v1
	s_delay_alu instid0(VALU_DEP_1) | instskip(NEXT) | instid1(VALU_DEP_1)
	v_mul_f32_e64 v3, 0x2f800000, |v1|
	v_floor_f32_e32 v3, v3
	s_delay_alu instid0(VALU_DEP_1) | instskip(SKIP_1) | instid1(VALU_DEP_2)
	v_fma_f32 v3, 0xcf800000, v3, |v1|
	v_ashrrev_i32_e32 v1, 31, v1
	v_cvt_u32_f32_e32 v3, v3
	s_delay_alu instid0(VALU_DEP_1) | instskip(NEXT) | instid1(VALU_DEP_1)
	v_xor_b32_e32 v3, v3, v1
	v_sub_nc_u32_e32 v14, v3, v1
.LBB30_3001:
	s_mov_b32 s22, 0
.LBB30_3002:
	s_delay_alu instid0(SALU_CYCLE_1)
	s_and_not1_b32 vcc_lo, exec_lo, s22
	s_cbranch_vccnz .LBB30_3004
; %bb.3003:
	s_wait_loadcnt 0x0
	global_load_u16 v1, v[22:23], off
	s_wait_loadcnt 0x0
	v_cvt_f32_f16_e32 v1, v1
	s_delay_alu instid0(VALU_DEP_1)
	v_cvt_i32_f32_e32 v14, v1
.LBB30_3004:
	s_mov_b32 s22, 0
.LBB30_3005:
	s_delay_alu instid0(SALU_CYCLE_1)
	s_and_not1_b32 vcc_lo, exec_lo, s22
	s_cbranch_vccnz .LBB30_3025
; %bb.3006:
	s_cmp_lt_i32 s19, 2
	s_cbranch_scc1 .LBB30_3010
; %bb.3007:
	s_cmp_lt_i32 s19, 3
	s_cbranch_scc1 .LBB30_3011
; %bb.3008:
	s_cmp_gt_i32 s19, 3
	s_cbranch_scc0 .LBB30_3012
; %bb.3009:
	s_wait_loadcnt 0x0
	global_load_b64 v[14:15], v[22:23], off
	s_mov_b32 s22, 0
	s_branch .LBB30_3013
.LBB30_3010:
	s_mov_b32 s22, -1
                                        ; implicit-def: $vgpr14
	s_branch .LBB30_3019
.LBB30_3011:
	s_mov_b32 s22, -1
                                        ; implicit-def: $vgpr14
	s_branch .LBB30_3016
.LBB30_3012:
	s_mov_b32 s22, -1
                                        ; implicit-def: $vgpr14
.LBB30_3013:
	s_delay_alu instid0(SALU_CYCLE_1)
	s_and_not1_b32 vcc_lo, exec_lo, s22
	s_cbranch_vccnz .LBB30_3015
; %bb.3014:
	s_wait_loadcnt 0x0
	global_load_b32 v14, v[22:23], off
.LBB30_3015:
	s_mov_b32 s22, 0
.LBB30_3016:
	s_delay_alu instid0(SALU_CYCLE_1)
	s_and_not1_b32 vcc_lo, exec_lo, s22
	s_cbranch_vccnz .LBB30_3018
; %bb.3017:
	s_wait_loadcnt 0x0
	global_load_u16 v14, v[22:23], off
.LBB30_3018:
	s_mov_b32 s22, 0
.LBB30_3019:
	s_delay_alu instid0(SALU_CYCLE_1)
	s_and_not1_b32 vcc_lo, exec_lo, s22
	s_cbranch_vccnz .LBB30_3025
; %bb.3020:
	s_cmp_gt_i32 s19, 0
	s_mov_b32 s19, 0
	s_cbranch_scc0 .LBB30_3022
; %bb.3021:
	s_wait_loadcnt 0x0
	global_load_u8 v14, v[22:23], off
	s_branch .LBB30_3023
.LBB30_3022:
	s_mov_b32 s19, -1
                                        ; implicit-def: $vgpr14
.LBB30_3023:
	s_delay_alu instid0(SALU_CYCLE_1)
	s_and_not1_b32 vcc_lo, exec_lo, s19
	s_cbranch_vccnz .LBB30_3025
; %bb.3024:
	s_wait_loadcnt 0x0
	global_load_u8 v14, v[22:23], off
.LBB30_3025:
	s_mov_b32 s24, -1
.LBB30_3026:
	s_delay_alu instid0(SALU_CYCLE_1)
	s_and_not1_b32 vcc_lo, exec_lo, s24
	s_cbranch_vccnz .LBB30_3968
; %bb.3027:
	s_wait_xcnt 0x0
	v_add_nc_u32_e32 v22, s15, v16
	s_cmp_lt_i32 s17, 11
	s_delay_alu instid0(VALU_DEP_1) | instskip(NEXT) | instid1(VALU_DEP_1)
	v_ashrrev_i32_e32 v23, 31, v22
	v_add_nc_u64_e32 v[24:25], s[10:11], v[22:23]
	s_cbranch_scc1 .LBB30_3034
; %bb.3028:
	s_and_b32 s19, 0xffff, s17
	s_mov_b32 s23, 0
	s_cmp_gt_i32 s19, 25
	s_cbranch_scc0 .LBB30_3035
; %bb.3029:
	s_cmp_gt_i32 s19, 28
	s_cbranch_scc0 .LBB30_3036
; %bb.3030:
	;; [unrolled: 3-line block ×4, first 2 shown]
	s_cmp_eq_u32 s19, 46
	s_mov_b32 s25, 0
	s_cbranch_scc0 .LBB30_3040
; %bb.3033:
	s_wait_loadcnt 0x0
	global_load_b32 v1, v[24:25], off
	s_mov_b32 s22, 0
	s_mov_b32 s24, -1
	s_wait_loadcnt 0x0
	v_lshlrev_b32_e32 v1, 16, v1
	s_delay_alu instid0(VALU_DEP_1) | instskip(NEXT) | instid1(VALU_DEP_1)
	v_trunc_f32_e32 v1, v1
	v_mul_f32_e64 v3, 0x2f800000, |v1|
	s_delay_alu instid0(VALU_DEP_1) | instskip(NEXT) | instid1(VALU_DEP_1)
	v_floor_f32_e32 v3, v3
	v_fma_f32 v3, 0xcf800000, v3, |v1|
	v_ashrrev_i32_e32 v1, 31, v1
	s_delay_alu instid0(VALU_DEP_2) | instskip(NEXT) | instid1(VALU_DEP_1)
	v_cvt_u32_f32_e32 v3, v3
	v_xor_b32_e32 v3, v3, v1
	s_delay_alu instid0(VALU_DEP_1)
	v_sub_nc_u32_e32 v16, v3, v1
	s_branch .LBB30_3042
.LBB30_3034:
	s_mov_b32 s19, -1
	s_mov_b32 s24, 0
                                        ; implicit-def: $vgpr16
	s_branch .LBB30_3104
.LBB30_3035:
	s_mov_b32 s25, -1
	s_mov_b32 s24, 0
	s_mov_b32 s22, 0
                                        ; implicit-def: $vgpr16
	s_branch .LBB30_3069
.LBB30_3036:
	s_mov_b32 s25, -1
	s_mov_b32 s24, 0
	s_mov_b32 s22, 0
                                        ; implicit-def: $vgpr16
	s_branch .LBB30_3052
.LBB30_3037:
	s_mov_b32 s25, -1
	s_mov_b32 s24, 0
	s_mov_b32 s22, 0
                                        ; implicit-def: $vgpr16
	s_branch .LBB30_3047
.LBB30_3038:
	s_or_b32 s16, s16, exec_lo
	s_trap 2
	s_cbranch_execz .LBB30_2975
	s_branch .LBB30_2976
.LBB30_3039:
	s_mov_b32 s25, -1
	s_mov_b32 s24, 0
	s_mov_b32 s22, 0
	s_branch .LBB30_3041
.LBB30_3040:
	s_mov_b32 s22, -1
	s_mov_b32 s24, 0
.LBB30_3041:
                                        ; implicit-def: $vgpr16
.LBB30_3042:
	s_and_b32 vcc_lo, exec_lo, s25
	s_cbranch_vccz .LBB30_3046
; %bb.3043:
	s_cmp_eq_u32 s19, 44
	s_cbranch_scc0 .LBB30_3045
; %bb.3044:
	s_wait_loadcnt 0x0
	global_load_u8 v1, v[24:25], off
	s_mov_b32 s22, 0
	s_mov_b32 s24, -1
	s_wait_loadcnt 0x0
	v_lshlrev_b32_e32 v3, 23, v1
	v_cmp_ne_u32_e32 vcc_lo, 0, v1
	s_delay_alu instid0(VALU_DEP_2) | instskip(NEXT) | instid1(VALU_DEP_1)
	v_trunc_f32_e32 v3, v3
	v_mul_f32_e64 v5, 0x2f800000, |v3|
	s_delay_alu instid0(VALU_DEP_1) | instskip(NEXT) | instid1(VALU_DEP_1)
	v_floor_f32_e32 v5, v5
	v_fma_f32 v5, 0xcf800000, v5, |v3|
	v_ashrrev_i32_e32 v3, 31, v3
	s_delay_alu instid0(VALU_DEP_2) | instskip(NEXT) | instid1(VALU_DEP_1)
	v_cvt_u32_f32_e32 v5, v5
	v_xor_b32_e32 v5, v5, v3
	s_delay_alu instid0(VALU_DEP_1) | instskip(NEXT) | instid1(VALU_DEP_1)
	v_sub_nc_u32_e32 v3, v5, v3
	v_cndmask_b32_e32 v16, 0, v3, vcc_lo
	s_branch .LBB30_3046
.LBB30_3045:
	s_mov_b32 s22, -1
                                        ; implicit-def: $vgpr16
.LBB30_3046:
	s_mov_b32 s25, 0
.LBB30_3047:
	s_delay_alu instid0(SALU_CYCLE_1)
	s_and_b32 vcc_lo, exec_lo, s25
	s_cbranch_vccz .LBB30_3051
; %bb.3048:
	s_cmp_eq_u32 s19, 29
	s_cbranch_scc0 .LBB30_3050
; %bb.3049:
	global_load_b64 v[16:17], v[24:25], off
	s_mov_b32 s22, 0
	s_mov_b32 s24, -1
	s_branch .LBB30_3051
.LBB30_3050:
	s_mov_b32 s22, -1
                                        ; implicit-def: $vgpr16
.LBB30_3051:
	s_mov_b32 s25, 0
.LBB30_3052:
	s_delay_alu instid0(SALU_CYCLE_1)
	s_and_b32 vcc_lo, exec_lo, s25
	s_cbranch_vccz .LBB30_3068
; %bb.3053:
	s_cmp_lt_i32 s19, 27
	s_cbranch_scc1 .LBB30_3056
; %bb.3054:
	s_cmp_gt_i32 s19, 27
	s_cbranch_scc0 .LBB30_3057
; %bb.3055:
	s_wait_loadcnt 0x0
	global_load_b32 v16, v[24:25], off
	s_mov_b32 s24, 0
	s_branch .LBB30_3058
.LBB30_3056:
	s_mov_b32 s24, -1
                                        ; implicit-def: $vgpr16
	s_branch .LBB30_3061
.LBB30_3057:
	s_mov_b32 s24, -1
                                        ; implicit-def: $vgpr16
.LBB30_3058:
	s_delay_alu instid0(SALU_CYCLE_1)
	s_and_not1_b32 vcc_lo, exec_lo, s24
	s_cbranch_vccnz .LBB30_3060
; %bb.3059:
	s_wait_loadcnt 0x0
	global_load_u16 v16, v[24:25], off
.LBB30_3060:
	s_mov_b32 s24, 0
.LBB30_3061:
	s_delay_alu instid0(SALU_CYCLE_1)
	s_and_not1_b32 vcc_lo, exec_lo, s24
	s_cbranch_vccnz .LBB30_3067
; %bb.3062:
	s_wait_loadcnt 0x0
	global_load_u8 v1, v[24:25], off
	s_mov_b32 s25, 0
	s_mov_b32 s24, exec_lo
	s_wait_loadcnt 0x0
	v_cmpx_lt_i16_e32 0x7f, v1
	s_xor_b32 s24, exec_lo, s24
	s_cbranch_execz .LBB30_3079
; %bb.3063:
	v_cmp_ne_u16_e32 vcc_lo, 0x80, v1
	s_and_b32 s25, vcc_lo, exec_lo
	s_and_not1_saveexec_b32 s24, s24
	s_cbranch_execnz .LBB30_3080
.LBB30_3064:
	s_or_b32 exec_lo, exec_lo, s24
	v_mov_b32_e32 v16, 0
	s_and_saveexec_b32 s24, s25
	s_cbranch_execz .LBB30_3066
.LBB30_3065:
	v_and_b32_e32 v3, 0xffff, v1
	s_delay_alu instid0(VALU_DEP_1) | instskip(SKIP_1) | instid1(VALU_DEP_2)
	v_dual_lshlrev_b32 v1, 24, v1 :: v_dual_bitop2_b32 v5, 7, v3 bitop3:0x40
	v_bfe_u32 v11, v3, 3, 4
	v_and_b32_e32 v1, 0x80000000, v1
	s_delay_alu instid0(VALU_DEP_3) | instskip(NEXT) | instid1(VALU_DEP_3)
	v_clz_i32_u32_e32 v7, v5
	v_cmp_eq_u32_e32 vcc_lo, 0, v11
	s_delay_alu instid0(VALU_DEP_2) | instskip(NEXT) | instid1(VALU_DEP_1)
	v_min_u32_e32 v7, 32, v7
	v_subrev_nc_u32_e32 v9, 28, v7
	v_sub_nc_u32_e32 v7, 29, v7
	s_delay_alu instid0(VALU_DEP_2) | instskip(NEXT) | instid1(VALU_DEP_2)
	v_lshlrev_b32_e32 v3, v9, v3
	v_cndmask_b32_e32 v7, v11, v7, vcc_lo
	s_delay_alu instid0(VALU_DEP_2) | instskip(NEXT) | instid1(VALU_DEP_1)
	v_and_b32_e32 v3, 7, v3
	v_cndmask_b32_e32 v3, v5, v3, vcc_lo
	s_delay_alu instid0(VALU_DEP_3) | instskip(NEXT) | instid1(VALU_DEP_2)
	v_lshl_add_u32 v5, v7, 23, 0x3b800000
	v_lshlrev_b32_e32 v3, 20, v3
	s_delay_alu instid0(VALU_DEP_1) | instskip(NEXT) | instid1(VALU_DEP_1)
	v_or3_b32 v1, v1, v5, v3
	v_trunc_f32_e32 v1, v1
	s_delay_alu instid0(VALU_DEP_1) | instskip(NEXT) | instid1(VALU_DEP_1)
	v_mul_f32_e64 v3, 0x2f800000, |v1|
	v_floor_f32_e32 v3, v3
	s_delay_alu instid0(VALU_DEP_1) | instskip(SKIP_1) | instid1(VALU_DEP_2)
	v_fma_f32 v3, 0xcf800000, v3, |v1|
	v_ashrrev_i32_e32 v1, 31, v1
	v_cvt_u32_f32_e32 v3, v3
	s_delay_alu instid0(VALU_DEP_1) | instskip(NEXT) | instid1(VALU_DEP_1)
	v_xor_b32_e32 v3, v3, v1
	v_sub_nc_u32_e32 v16, v3, v1
.LBB30_3066:
	s_or_b32 exec_lo, exec_lo, s24
.LBB30_3067:
	s_mov_b32 s24, -1
.LBB30_3068:
	s_mov_b32 s25, 0
.LBB30_3069:
	s_delay_alu instid0(SALU_CYCLE_1)
	s_and_b32 vcc_lo, exec_lo, s25
	s_cbranch_vccz .LBB30_3100
; %bb.3070:
	s_cmp_gt_i32 s19, 22
	s_cbranch_scc0 .LBB30_3078
; %bb.3071:
	s_cmp_lt_i32 s19, 24
	s_cbranch_scc1 .LBB30_3081
; %bb.3072:
	s_cmp_gt_i32 s19, 24
	s_cbranch_scc0 .LBB30_3082
; %bb.3073:
	s_wait_loadcnt 0x0
	global_load_u8 v1, v[24:25], off
	s_mov_b32 s24, 0
	s_mov_b32 s23, exec_lo
	s_wait_loadcnt 0x0
	v_cmpx_lt_i16_e32 0x7f, v1
	s_xor_b32 s23, exec_lo, s23
	s_cbranch_execz .LBB30_3094
; %bb.3074:
	v_cmp_ne_u16_e32 vcc_lo, 0x80, v1
	s_and_b32 s24, vcc_lo, exec_lo
	s_and_not1_saveexec_b32 s23, s23
	s_cbranch_execnz .LBB30_3095
.LBB30_3075:
	s_or_b32 exec_lo, exec_lo, s23
	v_mov_b32_e32 v16, 0
	s_and_saveexec_b32 s23, s24
	s_cbranch_execz .LBB30_3077
.LBB30_3076:
	v_and_b32_e32 v3, 0xffff, v1
	s_delay_alu instid0(VALU_DEP_1) | instskip(SKIP_1) | instid1(VALU_DEP_2)
	v_dual_lshlrev_b32 v1, 24, v1 :: v_dual_bitop2_b32 v5, 3, v3 bitop3:0x40
	v_bfe_u32 v11, v3, 2, 5
	v_and_b32_e32 v1, 0x80000000, v1
	s_delay_alu instid0(VALU_DEP_3) | instskip(NEXT) | instid1(VALU_DEP_3)
	v_clz_i32_u32_e32 v7, v5
	v_cmp_eq_u32_e32 vcc_lo, 0, v11
	s_delay_alu instid0(VALU_DEP_2) | instskip(NEXT) | instid1(VALU_DEP_1)
	v_min_u32_e32 v7, 32, v7
	v_subrev_nc_u32_e32 v9, 29, v7
	v_sub_nc_u32_e32 v7, 30, v7
	s_delay_alu instid0(VALU_DEP_2) | instskip(NEXT) | instid1(VALU_DEP_2)
	v_lshlrev_b32_e32 v3, v9, v3
	v_cndmask_b32_e32 v7, v11, v7, vcc_lo
	s_delay_alu instid0(VALU_DEP_2) | instskip(NEXT) | instid1(VALU_DEP_1)
	v_and_b32_e32 v3, 3, v3
	v_cndmask_b32_e32 v3, v5, v3, vcc_lo
	s_delay_alu instid0(VALU_DEP_3) | instskip(NEXT) | instid1(VALU_DEP_2)
	v_lshl_add_u32 v5, v7, 23, 0x37800000
	v_lshlrev_b32_e32 v3, 21, v3
	s_delay_alu instid0(VALU_DEP_1) | instskip(NEXT) | instid1(VALU_DEP_1)
	v_or3_b32 v1, v1, v5, v3
	v_trunc_f32_e32 v1, v1
	s_delay_alu instid0(VALU_DEP_1) | instskip(NEXT) | instid1(VALU_DEP_1)
	v_mul_f32_e64 v3, 0x2f800000, |v1|
	v_floor_f32_e32 v3, v3
	s_delay_alu instid0(VALU_DEP_1) | instskip(SKIP_1) | instid1(VALU_DEP_2)
	v_fma_f32 v3, 0xcf800000, v3, |v1|
	v_ashrrev_i32_e32 v1, 31, v1
	v_cvt_u32_f32_e32 v3, v3
	s_delay_alu instid0(VALU_DEP_1) | instskip(NEXT) | instid1(VALU_DEP_1)
	v_xor_b32_e32 v3, v3, v1
	v_sub_nc_u32_e32 v16, v3, v1
.LBB30_3077:
	s_or_b32 exec_lo, exec_lo, s23
	s_mov_b32 s23, 0
	s_branch .LBB30_3083
.LBB30_3078:
	s_mov_b32 s23, -1
                                        ; implicit-def: $vgpr16
	s_branch .LBB30_3089
.LBB30_3079:
	s_and_not1_saveexec_b32 s24, s24
	s_cbranch_execz .LBB30_3064
.LBB30_3080:
	v_cmp_ne_u16_e32 vcc_lo, 0, v1
	s_and_not1_b32 s25, s25, exec_lo
	s_and_b32 s26, vcc_lo, exec_lo
	s_delay_alu instid0(SALU_CYCLE_1)
	s_or_b32 s25, s25, s26
	s_or_b32 exec_lo, exec_lo, s24
	v_mov_b32_e32 v16, 0
	s_and_saveexec_b32 s24, s25
	s_cbranch_execnz .LBB30_3065
	s_branch .LBB30_3066
.LBB30_3081:
	s_mov_b32 s23, -1
                                        ; implicit-def: $vgpr16
	s_branch .LBB30_3086
.LBB30_3082:
	s_mov_b32 s23, -1
                                        ; implicit-def: $vgpr16
.LBB30_3083:
	s_delay_alu instid0(SALU_CYCLE_1)
	s_and_b32 vcc_lo, exec_lo, s23
	s_cbranch_vccz .LBB30_3085
; %bb.3084:
	s_wait_loadcnt 0x0
	global_load_u8 v1, v[24:25], off
	s_wait_loadcnt 0x0
	v_lshlrev_b32_e32 v1, 24, v1
	s_delay_alu instid0(VALU_DEP_1) | instskip(NEXT) | instid1(VALU_DEP_1)
	v_and_b32_e32 v3, 0x7f000000, v1
	v_clz_i32_u32_e32 v5, v3
	v_add_nc_u32_e32 v9, 0x1000000, v3
	v_cmp_ne_u32_e32 vcc_lo, 0, v3
	s_delay_alu instid0(VALU_DEP_3) | instskip(NEXT) | instid1(VALU_DEP_1)
	v_min_u32_e32 v5, 32, v5
	v_sub_nc_u32_e64 v5, v5, 4 clamp
	s_delay_alu instid0(VALU_DEP_1) | instskip(NEXT) | instid1(VALU_DEP_1)
	v_dual_lshlrev_b32 v7, v5, v3 :: v_dual_lshlrev_b32 v5, 23, v5
	v_lshrrev_b32_e32 v7, 4, v7
	s_delay_alu instid0(VALU_DEP_1) | instskip(SKIP_1) | instid1(VALU_DEP_2)
	v_sub_nc_u32_e32 v5, v7, v5
	v_ashrrev_i32_e32 v7, 8, v9
	v_add_nc_u32_e32 v5, 0x3c000000, v5
	s_delay_alu instid0(VALU_DEP_1) | instskip(NEXT) | instid1(VALU_DEP_1)
	v_and_or_b32 v5, 0x7f800000, v7, v5
	v_cndmask_b32_e32 v3, 0, v5, vcc_lo
	s_delay_alu instid0(VALU_DEP_1) | instskip(NEXT) | instid1(VALU_DEP_1)
	v_and_or_b32 v1, 0x80000000, v1, v3
	v_trunc_f32_e32 v1, v1
	s_delay_alu instid0(VALU_DEP_1) | instskip(NEXT) | instid1(VALU_DEP_1)
	v_mul_f32_e64 v3, 0x2f800000, |v1|
	v_floor_f32_e32 v3, v3
	s_delay_alu instid0(VALU_DEP_1) | instskip(SKIP_1) | instid1(VALU_DEP_2)
	v_fma_f32 v3, 0xcf800000, v3, |v1|
	v_ashrrev_i32_e32 v1, 31, v1
	v_cvt_u32_f32_e32 v3, v3
	s_delay_alu instid0(VALU_DEP_1) | instskip(NEXT) | instid1(VALU_DEP_1)
	v_xor_b32_e32 v3, v3, v1
	v_sub_nc_u32_e32 v16, v3, v1
.LBB30_3085:
	s_mov_b32 s23, 0
.LBB30_3086:
	s_delay_alu instid0(SALU_CYCLE_1)
	s_and_not1_b32 vcc_lo, exec_lo, s23
	s_cbranch_vccnz .LBB30_3088
; %bb.3087:
	s_wait_loadcnt 0x0
	global_load_u8 v1, v[24:25], off
	s_wait_loadcnt 0x0
	v_lshlrev_b32_e32 v3, 25, v1
	v_lshlrev_b16 v1, 8, v1
	s_delay_alu instid0(VALU_DEP_1) | instskip(SKIP_1) | instid1(VALU_DEP_2)
	v_and_or_b32 v7, 0x7f00, v1, 0.5
	v_bfe_i32 v1, v1, 0, 16
	v_add_f32_e32 v7, -0.5, v7
	v_lshrrev_b32_e32 v5, 4, v3
	v_cmp_gt_u32_e32 vcc_lo, 0x8000000, v3
	s_delay_alu instid0(VALU_DEP_2) | instskip(NEXT) | instid1(VALU_DEP_1)
	v_or_b32_e32 v5, 0x70000000, v5
	v_mul_f32_e32 v5, 0x7800000, v5
	s_delay_alu instid0(VALU_DEP_1) | instskip(NEXT) | instid1(VALU_DEP_1)
	v_cndmask_b32_e32 v3, v5, v7, vcc_lo
	v_and_or_b32 v1, 0x80000000, v1, v3
	s_delay_alu instid0(VALU_DEP_1) | instskip(NEXT) | instid1(VALU_DEP_1)
	v_trunc_f32_e32 v1, v1
	v_mul_f32_e64 v3, 0x2f800000, |v1|
	s_delay_alu instid0(VALU_DEP_1) | instskip(NEXT) | instid1(VALU_DEP_1)
	v_floor_f32_e32 v3, v3
	v_fma_f32 v3, 0xcf800000, v3, |v1|
	v_ashrrev_i32_e32 v1, 31, v1
	s_delay_alu instid0(VALU_DEP_2) | instskip(NEXT) | instid1(VALU_DEP_1)
	v_cvt_u32_f32_e32 v3, v3
	v_xor_b32_e32 v3, v3, v1
	s_delay_alu instid0(VALU_DEP_1)
	v_sub_nc_u32_e32 v16, v3, v1
.LBB30_3088:
	s_mov_b32 s23, 0
	s_mov_b32 s24, -1
.LBB30_3089:
	s_and_not1_b32 vcc_lo, exec_lo, s23
	s_mov_b32 s23, 0
	s_cbranch_vccnz .LBB30_3100
; %bb.3090:
	s_cmp_gt_i32 s19, 14
	s_cbranch_scc0 .LBB30_3093
; %bb.3091:
	s_cmp_eq_u32 s19, 15
	s_cbranch_scc0 .LBB30_3096
; %bb.3092:
	s_wait_loadcnt 0x0
	global_load_u16 v1, v[24:25], off
	s_mov_b32 s22, 0
	s_mov_b32 s24, -1
	s_wait_loadcnt 0x0
	v_lshlrev_b32_e32 v1, 16, v1
	s_delay_alu instid0(VALU_DEP_1) | instskip(NEXT) | instid1(VALU_DEP_1)
	v_trunc_f32_e32 v1, v1
	v_mul_f32_e64 v3, 0x2f800000, |v1|
	s_delay_alu instid0(VALU_DEP_1) | instskip(NEXT) | instid1(VALU_DEP_1)
	v_floor_f32_e32 v3, v3
	v_fma_f32 v3, 0xcf800000, v3, |v1|
	v_ashrrev_i32_e32 v1, 31, v1
	s_delay_alu instid0(VALU_DEP_2) | instskip(NEXT) | instid1(VALU_DEP_1)
	v_cvt_u32_f32_e32 v3, v3
	v_xor_b32_e32 v3, v3, v1
	s_delay_alu instid0(VALU_DEP_1)
	v_sub_nc_u32_e32 v16, v3, v1
	s_branch .LBB30_3098
.LBB30_3093:
	s_mov_b32 s23, -1
	s_branch .LBB30_3097
.LBB30_3094:
	s_and_not1_saveexec_b32 s23, s23
	s_cbranch_execz .LBB30_3075
.LBB30_3095:
	v_cmp_ne_u16_e32 vcc_lo, 0, v1
	s_and_not1_b32 s24, s24, exec_lo
	s_and_b32 s25, vcc_lo, exec_lo
	s_delay_alu instid0(SALU_CYCLE_1)
	s_or_b32 s24, s24, s25
	s_or_b32 exec_lo, exec_lo, s23
	v_mov_b32_e32 v16, 0
	s_and_saveexec_b32 s23, s24
	s_cbranch_execnz .LBB30_3076
	s_branch .LBB30_3077
.LBB30_3096:
	s_mov_b32 s22, -1
.LBB30_3097:
                                        ; implicit-def: $vgpr16
.LBB30_3098:
	s_and_b32 vcc_lo, exec_lo, s23
	s_mov_b32 s23, 0
	s_cbranch_vccz .LBB30_3100
; %bb.3099:
	s_cmp_lg_u32 s19, 11
	s_mov_b32 s23, -1
	s_cselect_b32 s22, -1, 0
.LBB30_3100:
	s_delay_alu instid0(SALU_CYCLE_1)
	s_and_b32 vcc_lo, exec_lo, s22
	s_cbranch_vccnz .LBB30_3165
; %bb.3101:
	s_and_not1_b32 vcc_lo, exec_lo, s23
	s_cbranch_vccnz .LBB30_3103
.LBB30_3102:
	s_wait_loadcnt 0x0
	global_load_u8 v1, v[24:25], off
	s_mov_b32 s24, -1
	s_wait_loadcnt 0x0
	v_cmp_ne_u16_e32 vcc_lo, 0, v1
	v_cndmask_b32_e64 v16, 0, 1, vcc_lo
.LBB30_3103:
	s_mov_b32 s19, 0
.LBB30_3104:
	s_delay_alu instid0(SALU_CYCLE_1)
	s_and_b32 vcc_lo, exec_lo, s19
	s_cbranch_vccz .LBB30_3153
; %bb.3105:
	s_and_b32 s19, 0xffff, s17
	s_delay_alu instid0(SALU_CYCLE_1)
	s_cmp_lt_i32 s19, 5
	s_cbranch_scc1 .LBB30_3110
; %bb.3106:
	s_cmp_lt_i32 s19, 8
	s_cbranch_scc1 .LBB30_3111
; %bb.3107:
	;; [unrolled: 3-line block ×3, first 2 shown]
	s_cmp_gt_i32 s19, 9
	s_cbranch_scc0 .LBB30_3113
; %bb.3109:
	s_wait_loadcnt 0x0
	global_load_b64 v[16:17], v[24:25], off
	s_mov_b32 s22, 0
	s_wait_loadcnt 0x0
	v_trunc_f64_e32 v[16:17], v[16:17]
	s_delay_alu instid0(VALU_DEP_1) | instskip(NEXT) | instid1(VALU_DEP_1)
	v_ldexp_f64 v[28:29], v[16:17], 0xffffffe0
	v_floor_f64_e32 v[28:29], v[28:29]
	s_delay_alu instid0(VALU_DEP_1) | instskip(NEXT) | instid1(VALU_DEP_1)
	v_fmamk_f64 v[16:17], v[28:29], 0xc1f00000, v[16:17]
	v_cvt_u32_f64_e32 v16, v[16:17]
	s_branch .LBB30_3114
.LBB30_3110:
	s_mov_b32 s22, -1
                                        ; implicit-def: $vgpr16
	s_branch .LBB30_3132
.LBB30_3111:
	s_mov_b32 s22, -1
                                        ; implicit-def: $vgpr16
	s_branch .LBB30_3120
.LBB30_3112:
	s_mov_b32 s22, -1
                                        ; implicit-def: $vgpr16
	s_branch .LBB30_3117
.LBB30_3113:
	s_mov_b32 s22, -1
                                        ; implicit-def: $vgpr16
.LBB30_3114:
	s_delay_alu instid0(SALU_CYCLE_1)
	s_and_not1_b32 vcc_lo, exec_lo, s22
	s_cbranch_vccnz .LBB30_3116
; %bb.3115:
	s_wait_loadcnt 0x0
	global_load_b32 v1, v[24:25], off
	s_wait_loadcnt 0x0
	v_trunc_f32_e32 v1, v1
	s_delay_alu instid0(VALU_DEP_1) | instskip(NEXT) | instid1(VALU_DEP_1)
	v_mul_f32_e64 v3, 0x2f800000, |v1|
	v_floor_f32_e32 v3, v3
	s_delay_alu instid0(VALU_DEP_1) | instskip(SKIP_1) | instid1(VALU_DEP_2)
	v_fma_f32 v3, 0xcf800000, v3, |v1|
	v_ashrrev_i32_e32 v1, 31, v1
	v_cvt_u32_f32_e32 v3, v3
	s_delay_alu instid0(VALU_DEP_1) | instskip(NEXT) | instid1(VALU_DEP_1)
	v_xor_b32_e32 v3, v3, v1
	v_sub_nc_u32_e32 v16, v3, v1
.LBB30_3116:
	s_mov_b32 s22, 0
.LBB30_3117:
	s_delay_alu instid0(SALU_CYCLE_1)
	s_and_not1_b32 vcc_lo, exec_lo, s22
	s_cbranch_vccnz .LBB30_3119
; %bb.3118:
	s_wait_loadcnt 0x0
	global_load_b32 v1, v[24:25], off
	s_wait_loadcnt 0x0
	v_cvt_f32_f16_e32 v1, v1
	s_delay_alu instid0(VALU_DEP_1)
	v_cvt_i32_f32_e32 v16, v1
.LBB30_3119:
	s_mov_b32 s22, 0
.LBB30_3120:
	s_delay_alu instid0(SALU_CYCLE_1)
	s_and_not1_b32 vcc_lo, exec_lo, s22
	s_cbranch_vccnz .LBB30_3131
; %bb.3121:
	s_cmp_lt_i32 s19, 6
	s_cbranch_scc1 .LBB30_3124
; %bb.3122:
	s_cmp_gt_i32 s19, 6
	s_cbranch_scc0 .LBB30_3125
; %bb.3123:
	s_wait_loadcnt 0x0
	global_load_b64 v[16:17], v[24:25], off
	s_mov_b32 s22, 0
	s_wait_loadcnt 0x0
	v_trunc_f64_e32 v[16:17], v[16:17]
	s_delay_alu instid0(VALU_DEP_1) | instskip(NEXT) | instid1(VALU_DEP_1)
	v_ldexp_f64 v[28:29], v[16:17], 0xffffffe0
	v_floor_f64_e32 v[28:29], v[28:29]
	s_delay_alu instid0(VALU_DEP_1) | instskip(NEXT) | instid1(VALU_DEP_1)
	v_fmamk_f64 v[16:17], v[28:29], 0xc1f00000, v[16:17]
	v_cvt_u32_f64_e32 v16, v[16:17]
	s_branch .LBB30_3126
.LBB30_3124:
	s_mov_b32 s22, -1
                                        ; implicit-def: $vgpr16
	s_branch .LBB30_3129
.LBB30_3125:
	s_mov_b32 s22, -1
                                        ; implicit-def: $vgpr16
.LBB30_3126:
	s_delay_alu instid0(SALU_CYCLE_1)
	s_and_not1_b32 vcc_lo, exec_lo, s22
	s_cbranch_vccnz .LBB30_3128
; %bb.3127:
	s_wait_loadcnt 0x0
	global_load_b32 v1, v[24:25], off
	s_wait_loadcnt 0x0
	v_trunc_f32_e32 v1, v1
	s_delay_alu instid0(VALU_DEP_1) | instskip(NEXT) | instid1(VALU_DEP_1)
	v_mul_f32_e64 v3, 0x2f800000, |v1|
	v_floor_f32_e32 v3, v3
	s_delay_alu instid0(VALU_DEP_1) | instskip(SKIP_1) | instid1(VALU_DEP_2)
	v_fma_f32 v3, 0xcf800000, v3, |v1|
	v_ashrrev_i32_e32 v1, 31, v1
	v_cvt_u32_f32_e32 v3, v3
	s_delay_alu instid0(VALU_DEP_1) | instskip(NEXT) | instid1(VALU_DEP_1)
	v_xor_b32_e32 v3, v3, v1
	v_sub_nc_u32_e32 v16, v3, v1
.LBB30_3128:
	s_mov_b32 s22, 0
.LBB30_3129:
	s_delay_alu instid0(SALU_CYCLE_1)
	s_and_not1_b32 vcc_lo, exec_lo, s22
	s_cbranch_vccnz .LBB30_3131
; %bb.3130:
	s_wait_loadcnt 0x0
	global_load_u16 v1, v[24:25], off
	s_wait_loadcnt 0x0
	v_cvt_f32_f16_e32 v1, v1
	s_delay_alu instid0(VALU_DEP_1)
	v_cvt_i32_f32_e32 v16, v1
.LBB30_3131:
	s_mov_b32 s22, 0
.LBB30_3132:
	s_delay_alu instid0(SALU_CYCLE_1)
	s_and_not1_b32 vcc_lo, exec_lo, s22
	s_cbranch_vccnz .LBB30_3152
; %bb.3133:
	s_cmp_lt_i32 s19, 2
	s_cbranch_scc1 .LBB30_3137
; %bb.3134:
	s_cmp_lt_i32 s19, 3
	s_cbranch_scc1 .LBB30_3138
; %bb.3135:
	s_cmp_gt_i32 s19, 3
	s_cbranch_scc0 .LBB30_3139
; %bb.3136:
	s_wait_loadcnt 0x0
	global_load_b64 v[16:17], v[24:25], off
	s_mov_b32 s22, 0
	s_branch .LBB30_3140
.LBB30_3137:
	s_mov_b32 s22, -1
                                        ; implicit-def: $vgpr16
	s_branch .LBB30_3146
.LBB30_3138:
	s_mov_b32 s22, -1
                                        ; implicit-def: $vgpr16
	s_branch .LBB30_3143
.LBB30_3139:
	s_mov_b32 s22, -1
                                        ; implicit-def: $vgpr16
.LBB30_3140:
	s_delay_alu instid0(SALU_CYCLE_1)
	s_and_not1_b32 vcc_lo, exec_lo, s22
	s_cbranch_vccnz .LBB30_3142
; %bb.3141:
	s_wait_loadcnt 0x0
	global_load_b32 v16, v[24:25], off
.LBB30_3142:
	s_mov_b32 s22, 0
.LBB30_3143:
	s_delay_alu instid0(SALU_CYCLE_1)
	s_and_not1_b32 vcc_lo, exec_lo, s22
	s_cbranch_vccnz .LBB30_3145
; %bb.3144:
	s_wait_loadcnt 0x0
	global_load_u16 v16, v[24:25], off
.LBB30_3145:
	s_mov_b32 s22, 0
.LBB30_3146:
	s_delay_alu instid0(SALU_CYCLE_1)
	s_and_not1_b32 vcc_lo, exec_lo, s22
	s_cbranch_vccnz .LBB30_3152
; %bb.3147:
	s_cmp_gt_i32 s19, 0
	s_mov_b32 s19, 0
	s_cbranch_scc0 .LBB30_3149
; %bb.3148:
	s_wait_loadcnt 0x0
	global_load_u8 v16, v[24:25], off
	s_branch .LBB30_3150
.LBB30_3149:
	s_mov_b32 s19, -1
                                        ; implicit-def: $vgpr16
.LBB30_3150:
	s_delay_alu instid0(SALU_CYCLE_1)
	s_and_not1_b32 vcc_lo, exec_lo, s19
	s_cbranch_vccnz .LBB30_3152
; %bb.3151:
	s_wait_loadcnt 0x0
	global_load_u8 v16, v[24:25], off
.LBB30_3152:
	s_mov_b32 s24, -1
.LBB30_3153:
	s_delay_alu instid0(SALU_CYCLE_1)
	s_and_not1_b32 vcc_lo, exec_lo, s24
	s_cbranch_vccnz .LBB30_3968
; %bb.3154:
	v_add_nc_u32_e32 v18, s13, v18
	s_cmp_lt_i32 s0, 11
	s_delay_alu instid0(VALU_DEP_1) | instskip(SKIP_1) | instid1(VALU_DEP_1)
	v_ashrrev_i32_e32 v19, 31, v18
	s_wait_xcnt 0x0
	v_add_nc_u64_e32 v[24:25], s[6:7], v[18:19]
	s_cbranch_scc1 .LBB30_3161
; %bb.3155:
	s_and_b32 s6, 0xffff, s0
	s_mov_b32 s13, 0
	s_cmp_gt_i32 s6, 25
	s_cbranch_scc0 .LBB30_3162
; %bb.3156:
	s_cmp_gt_i32 s6, 28
	s_cbranch_scc0 .LBB30_3163
; %bb.3157:
	;; [unrolled: 3-line block ×4, first 2 shown]
	s_cmp_eq_u32 s6, 46
	s_mov_b32 s22, 0
	s_cbranch_scc0 .LBB30_3167
; %bb.3160:
	s_wait_loadcnt 0x0
	global_load_b32 v1, v[24:25], off
	s_mov_b32 s7, 0
	s_mov_b32 s19, -1
	s_wait_loadcnt 0x0
	v_lshlrev_b32_e32 v1, 16, v1
	s_delay_alu instid0(VALU_DEP_1) | instskip(NEXT) | instid1(VALU_DEP_1)
	v_trunc_f32_e32 v1, v1
	v_mul_f32_e64 v3, 0x2f800000, |v1|
	s_delay_alu instid0(VALU_DEP_1) | instskip(NEXT) | instid1(VALU_DEP_1)
	v_floor_f32_e32 v3, v3
	v_fma_f32 v3, 0xcf800000, v3, |v1|
	v_ashrrev_i32_e32 v1, 31, v1
	s_delay_alu instid0(VALU_DEP_2) | instskip(NEXT) | instid1(VALU_DEP_1)
	v_cvt_u32_f32_e32 v3, v3
	v_xor_b32_e32 v3, v3, v1
	s_delay_alu instid0(VALU_DEP_1)
	v_sub_nc_u32_e32 v18, v3, v1
	s_branch .LBB30_3169
.LBB30_3161:
	s_mov_b32 s6, -1
	s_mov_b32 s19, 0
                                        ; implicit-def: $vgpr18
	s_branch .LBB30_3231
.LBB30_3162:
	s_mov_b32 s22, -1
	s_mov_b32 s19, 0
	s_mov_b32 s7, 0
                                        ; implicit-def: $vgpr18
	s_branch .LBB30_3196
.LBB30_3163:
	s_mov_b32 s22, -1
	s_mov_b32 s19, 0
	s_mov_b32 s7, 0
                                        ; implicit-def: $vgpr18
	s_branch .LBB30_3179
.LBB30_3164:
	s_mov_b32 s22, -1
	s_mov_b32 s19, 0
	s_mov_b32 s7, 0
                                        ; implicit-def: $vgpr18
	s_branch .LBB30_3174
.LBB30_3165:
	s_or_b32 s16, s16, exec_lo
	s_trap 2
	s_cbranch_execz .LBB30_3102
	s_branch .LBB30_3103
.LBB30_3166:
	s_mov_b32 s22, -1
	s_mov_b32 s19, 0
	s_mov_b32 s7, 0
	s_branch .LBB30_3168
.LBB30_3167:
	s_mov_b32 s7, -1
	s_mov_b32 s19, 0
.LBB30_3168:
                                        ; implicit-def: $vgpr18
.LBB30_3169:
	s_and_b32 vcc_lo, exec_lo, s22
	s_cbranch_vccz .LBB30_3173
; %bb.3170:
	s_cmp_eq_u32 s6, 44
	s_cbranch_scc0 .LBB30_3172
; %bb.3171:
	s_wait_loadcnt 0x0
	global_load_u8 v1, v[24:25], off
	s_mov_b32 s7, 0
	s_mov_b32 s19, -1
	s_wait_loadcnt 0x0
	v_lshlrev_b32_e32 v3, 23, v1
	v_cmp_ne_u32_e32 vcc_lo, 0, v1
	s_delay_alu instid0(VALU_DEP_2) | instskip(NEXT) | instid1(VALU_DEP_1)
	v_trunc_f32_e32 v3, v3
	v_mul_f32_e64 v5, 0x2f800000, |v3|
	s_delay_alu instid0(VALU_DEP_1) | instskip(NEXT) | instid1(VALU_DEP_1)
	v_floor_f32_e32 v5, v5
	v_fma_f32 v5, 0xcf800000, v5, |v3|
	v_ashrrev_i32_e32 v3, 31, v3
	s_delay_alu instid0(VALU_DEP_2) | instskip(NEXT) | instid1(VALU_DEP_1)
	v_cvt_u32_f32_e32 v5, v5
	v_xor_b32_e32 v5, v5, v3
	s_delay_alu instid0(VALU_DEP_1) | instskip(NEXT) | instid1(VALU_DEP_1)
	v_sub_nc_u32_e32 v3, v5, v3
	v_cndmask_b32_e32 v18, 0, v3, vcc_lo
	s_branch .LBB30_3173
.LBB30_3172:
	s_mov_b32 s7, -1
                                        ; implicit-def: $vgpr18
.LBB30_3173:
	s_mov_b32 s22, 0
.LBB30_3174:
	s_delay_alu instid0(SALU_CYCLE_1)
	s_and_b32 vcc_lo, exec_lo, s22
	s_cbranch_vccz .LBB30_3178
; %bb.3175:
	s_cmp_eq_u32 s6, 29
	s_cbranch_scc0 .LBB30_3177
; %bb.3176:
	global_load_b64 v[18:19], v[24:25], off
	s_mov_b32 s7, 0
	s_mov_b32 s19, -1
	s_branch .LBB30_3178
.LBB30_3177:
	s_mov_b32 s7, -1
                                        ; implicit-def: $vgpr18
.LBB30_3178:
	s_mov_b32 s22, 0
.LBB30_3179:
	s_delay_alu instid0(SALU_CYCLE_1)
	s_and_b32 vcc_lo, exec_lo, s22
	s_cbranch_vccz .LBB30_3195
; %bb.3180:
	s_cmp_lt_i32 s6, 27
	s_cbranch_scc1 .LBB30_3183
; %bb.3181:
	s_cmp_gt_i32 s6, 27
	s_cbranch_scc0 .LBB30_3184
; %bb.3182:
	s_wait_loadcnt 0x0
	global_load_b32 v18, v[24:25], off
	s_mov_b32 s19, 0
	s_branch .LBB30_3185
.LBB30_3183:
	s_mov_b32 s19, -1
                                        ; implicit-def: $vgpr18
	s_branch .LBB30_3188
.LBB30_3184:
	s_mov_b32 s19, -1
                                        ; implicit-def: $vgpr18
.LBB30_3185:
	s_delay_alu instid0(SALU_CYCLE_1)
	s_and_not1_b32 vcc_lo, exec_lo, s19
	s_cbranch_vccnz .LBB30_3187
; %bb.3186:
	s_wait_loadcnt 0x0
	global_load_u16 v18, v[24:25], off
.LBB30_3187:
	s_mov_b32 s19, 0
.LBB30_3188:
	s_delay_alu instid0(SALU_CYCLE_1)
	s_and_not1_b32 vcc_lo, exec_lo, s19
	s_cbranch_vccnz .LBB30_3194
; %bb.3189:
	s_wait_loadcnt 0x0
	global_load_u8 v1, v[24:25], off
	s_mov_b32 s22, 0
	s_mov_b32 s19, exec_lo
	s_wait_loadcnt 0x0
	v_cmpx_lt_i16_e32 0x7f, v1
	s_xor_b32 s19, exec_lo, s19
	s_cbranch_execz .LBB30_3206
; %bb.3190:
	v_cmp_ne_u16_e32 vcc_lo, 0x80, v1
	s_and_b32 s22, vcc_lo, exec_lo
	s_and_not1_saveexec_b32 s19, s19
	s_cbranch_execnz .LBB30_3207
.LBB30_3191:
	s_or_b32 exec_lo, exec_lo, s19
	v_mov_b32_e32 v18, 0
	s_and_saveexec_b32 s19, s22
	s_cbranch_execz .LBB30_3193
.LBB30_3192:
	v_and_b32_e32 v3, 0xffff, v1
	s_delay_alu instid0(VALU_DEP_1) | instskip(SKIP_1) | instid1(VALU_DEP_2)
	v_dual_lshlrev_b32 v1, 24, v1 :: v_dual_bitop2_b32 v5, 7, v3 bitop3:0x40
	v_bfe_u32 v11, v3, 3, 4
	v_and_b32_e32 v1, 0x80000000, v1
	s_delay_alu instid0(VALU_DEP_3) | instskip(NEXT) | instid1(VALU_DEP_3)
	v_clz_i32_u32_e32 v7, v5
	v_cmp_eq_u32_e32 vcc_lo, 0, v11
	s_delay_alu instid0(VALU_DEP_2) | instskip(NEXT) | instid1(VALU_DEP_1)
	v_min_u32_e32 v7, 32, v7
	v_subrev_nc_u32_e32 v9, 28, v7
	v_sub_nc_u32_e32 v7, 29, v7
	s_delay_alu instid0(VALU_DEP_2) | instskip(NEXT) | instid1(VALU_DEP_2)
	v_lshlrev_b32_e32 v3, v9, v3
	v_cndmask_b32_e32 v7, v11, v7, vcc_lo
	s_delay_alu instid0(VALU_DEP_2) | instskip(NEXT) | instid1(VALU_DEP_1)
	v_and_b32_e32 v3, 7, v3
	v_cndmask_b32_e32 v3, v5, v3, vcc_lo
	s_delay_alu instid0(VALU_DEP_3) | instskip(NEXT) | instid1(VALU_DEP_2)
	v_lshl_add_u32 v5, v7, 23, 0x3b800000
	v_lshlrev_b32_e32 v3, 20, v3
	s_delay_alu instid0(VALU_DEP_1) | instskip(NEXT) | instid1(VALU_DEP_1)
	v_or3_b32 v1, v1, v5, v3
	v_trunc_f32_e32 v1, v1
	s_delay_alu instid0(VALU_DEP_1) | instskip(NEXT) | instid1(VALU_DEP_1)
	v_mul_f32_e64 v3, 0x2f800000, |v1|
	v_floor_f32_e32 v3, v3
	s_delay_alu instid0(VALU_DEP_1) | instskip(SKIP_1) | instid1(VALU_DEP_2)
	v_fma_f32 v3, 0xcf800000, v3, |v1|
	v_ashrrev_i32_e32 v1, 31, v1
	v_cvt_u32_f32_e32 v3, v3
	s_delay_alu instid0(VALU_DEP_1) | instskip(NEXT) | instid1(VALU_DEP_1)
	v_xor_b32_e32 v3, v3, v1
	v_sub_nc_u32_e32 v18, v3, v1
.LBB30_3193:
	s_or_b32 exec_lo, exec_lo, s19
.LBB30_3194:
	s_mov_b32 s19, -1
.LBB30_3195:
	s_mov_b32 s22, 0
.LBB30_3196:
	s_delay_alu instid0(SALU_CYCLE_1)
	s_and_b32 vcc_lo, exec_lo, s22
	s_cbranch_vccz .LBB30_3227
; %bb.3197:
	s_cmp_gt_i32 s6, 22
	s_cbranch_scc0 .LBB30_3205
; %bb.3198:
	s_cmp_lt_i32 s6, 24
	s_cbranch_scc1 .LBB30_3208
; %bb.3199:
	s_cmp_gt_i32 s6, 24
	s_cbranch_scc0 .LBB30_3209
; %bb.3200:
	s_wait_loadcnt 0x0
	global_load_u8 v1, v[24:25], off
	s_mov_b32 s19, 0
	s_mov_b32 s13, exec_lo
	s_wait_loadcnt 0x0
	v_cmpx_lt_i16_e32 0x7f, v1
	s_xor_b32 s13, exec_lo, s13
	s_cbranch_execz .LBB30_3221
; %bb.3201:
	v_cmp_ne_u16_e32 vcc_lo, 0x80, v1
	s_and_b32 s19, vcc_lo, exec_lo
	s_and_not1_saveexec_b32 s13, s13
	s_cbranch_execnz .LBB30_3222
.LBB30_3202:
	s_or_b32 exec_lo, exec_lo, s13
	v_mov_b32_e32 v18, 0
	s_and_saveexec_b32 s13, s19
	s_cbranch_execz .LBB30_3204
.LBB30_3203:
	v_and_b32_e32 v3, 0xffff, v1
	s_delay_alu instid0(VALU_DEP_1) | instskip(SKIP_1) | instid1(VALU_DEP_2)
	v_dual_lshlrev_b32 v1, 24, v1 :: v_dual_bitop2_b32 v5, 3, v3 bitop3:0x40
	v_bfe_u32 v11, v3, 2, 5
	v_and_b32_e32 v1, 0x80000000, v1
	s_delay_alu instid0(VALU_DEP_3) | instskip(NEXT) | instid1(VALU_DEP_3)
	v_clz_i32_u32_e32 v7, v5
	v_cmp_eq_u32_e32 vcc_lo, 0, v11
	s_delay_alu instid0(VALU_DEP_2) | instskip(NEXT) | instid1(VALU_DEP_1)
	v_min_u32_e32 v7, 32, v7
	v_subrev_nc_u32_e32 v9, 29, v7
	v_sub_nc_u32_e32 v7, 30, v7
	s_delay_alu instid0(VALU_DEP_2) | instskip(NEXT) | instid1(VALU_DEP_2)
	v_lshlrev_b32_e32 v3, v9, v3
	v_cndmask_b32_e32 v7, v11, v7, vcc_lo
	s_delay_alu instid0(VALU_DEP_2) | instskip(NEXT) | instid1(VALU_DEP_1)
	v_and_b32_e32 v3, 3, v3
	v_cndmask_b32_e32 v3, v5, v3, vcc_lo
	s_delay_alu instid0(VALU_DEP_3) | instskip(NEXT) | instid1(VALU_DEP_2)
	v_lshl_add_u32 v5, v7, 23, 0x37800000
	v_lshlrev_b32_e32 v3, 21, v3
	s_delay_alu instid0(VALU_DEP_1) | instskip(NEXT) | instid1(VALU_DEP_1)
	v_or3_b32 v1, v1, v5, v3
	v_trunc_f32_e32 v1, v1
	s_delay_alu instid0(VALU_DEP_1) | instskip(NEXT) | instid1(VALU_DEP_1)
	v_mul_f32_e64 v3, 0x2f800000, |v1|
	v_floor_f32_e32 v3, v3
	s_delay_alu instid0(VALU_DEP_1) | instskip(SKIP_1) | instid1(VALU_DEP_2)
	v_fma_f32 v3, 0xcf800000, v3, |v1|
	v_ashrrev_i32_e32 v1, 31, v1
	v_cvt_u32_f32_e32 v3, v3
	s_delay_alu instid0(VALU_DEP_1) | instskip(NEXT) | instid1(VALU_DEP_1)
	v_xor_b32_e32 v3, v3, v1
	v_sub_nc_u32_e32 v18, v3, v1
.LBB30_3204:
	s_or_b32 exec_lo, exec_lo, s13
	s_mov_b32 s13, 0
	s_branch .LBB30_3210
.LBB30_3205:
	s_mov_b32 s13, -1
                                        ; implicit-def: $vgpr18
	s_branch .LBB30_3216
.LBB30_3206:
	s_and_not1_saveexec_b32 s19, s19
	s_cbranch_execz .LBB30_3191
.LBB30_3207:
	v_cmp_ne_u16_e32 vcc_lo, 0, v1
	s_and_not1_b32 s22, s22, exec_lo
	s_and_b32 s23, vcc_lo, exec_lo
	s_delay_alu instid0(SALU_CYCLE_1)
	s_or_b32 s22, s22, s23
	s_or_b32 exec_lo, exec_lo, s19
	v_mov_b32_e32 v18, 0
	s_and_saveexec_b32 s19, s22
	s_cbranch_execnz .LBB30_3192
	s_branch .LBB30_3193
.LBB30_3208:
	s_mov_b32 s13, -1
                                        ; implicit-def: $vgpr18
	s_branch .LBB30_3213
.LBB30_3209:
	s_mov_b32 s13, -1
                                        ; implicit-def: $vgpr18
.LBB30_3210:
	s_delay_alu instid0(SALU_CYCLE_1)
	s_and_b32 vcc_lo, exec_lo, s13
	s_cbranch_vccz .LBB30_3212
; %bb.3211:
	s_wait_loadcnt 0x0
	global_load_u8 v1, v[24:25], off
	s_wait_loadcnt 0x0
	v_lshlrev_b32_e32 v1, 24, v1
	s_delay_alu instid0(VALU_DEP_1) | instskip(NEXT) | instid1(VALU_DEP_1)
	v_and_b32_e32 v3, 0x7f000000, v1
	v_clz_i32_u32_e32 v5, v3
	v_add_nc_u32_e32 v9, 0x1000000, v3
	v_cmp_ne_u32_e32 vcc_lo, 0, v3
	s_delay_alu instid0(VALU_DEP_3) | instskip(NEXT) | instid1(VALU_DEP_1)
	v_min_u32_e32 v5, 32, v5
	v_sub_nc_u32_e64 v5, v5, 4 clamp
	s_delay_alu instid0(VALU_DEP_1) | instskip(NEXT) | instid1(VALU_DEP_1)
	v_dual_lshlrev_b32 v7, v5, v3 :: v_dual_lshlrev_b32 v5, 23, v5
	v_lshrrev_b32_e32 v7, 4, v7
	s_delay_alu instid0(VALU_DEP_1) | instskip(SKIP_1) | instid1(VALU_DEP_2)
	v_sub_nc_u32_e32 v5, v7, v5
	v_ashrrev_i32_e32 v7, 8, v9
	v_add_nc_u32_e32 v5, 0x3c000000, v5
	s_delay_alu instid0(VALU_DEP_1) | instskip(NEXT) | instid1(VALU_DEP_1)
	v_and_or_b32 v5, 0x7f800000, v7, v5
	v_cndmask_b32_e32 v3, 0, v5, vcc_lo
	s_delay_alu instid0(VALU_DEP_1) | instskip(NEXT) | instid1(VALU_DEP_1)
	v_and_or_b32 v1, 0x80000000, v1, v3
	v_trunc_f32_e32 v1, v1
	s_delay_alu instid0(VALU_DEP_1) | instskip(NEXT) | instid1(VALU_DEP_1)
	v_mul_f32_e64 v3, 0x2f800000, |v1|
	v_floor_f32_e32 v3, v3
	s_delay_alu instid0(VALU_DEP_1) | instskip(SKIP_1) | instid1(VALU_DEP_2)
	v_fma_f32 v3, 0xcf800000, v3, |v1|
	v_ashrrev_i32_e32 v1, 31, v1
	v_cvt_u32_f32_e32 v3, v3
	s_delay_alu instid0(VALU_DEP_1) | instskip(NEXT) | instid1(VALU_DEP_1)
	v_xor_b32_e32 v3, v3, v1
	v_sub_nc_u32_e32 v18, v3, v1
.LBB30_3212:
	s_mov_b32 s13, 0
.LBB30_3213:
	s_delay_alu instid0(SALU_CYCLE_1)
	s_and_not1_b32 vcc_lo, exec_lo, s13
	s_cbranch_vccnz .LBB30_3215
; %bb.3214:
	s_wait_loadcnt 0x0
	global_load_u8 v1, v[24:25], off
	s_wait_loadcnt 0x0
	v_lshlrev_b32_e32 v3, 25, v1
	v_lshlrev_b16 v1, 8, v1
	s_delay_alu instid0(VALU_DEP_1) | instskip(SKIP_1) | instid1(VALU_DEP_2)
	v_and_or_b32 v7, 0x7f00, v1, 0.5
	v_bfe_i32 v1, v1, 0, 16
	v_add_f32_e32 v7, -0.5, v7
	v_lshrrev_b32_e32 v5, 4, v3
	v_cmp_gt_u32_e32 vcc_lo, 0x8000000, v3
	s_delay_alu instid0(VALU_DEP_2) | instskip(NEXT) | instid1(VALU_DEP_1)
	v_or_b32_e32 v5, 0x70000000, v5
	v_mul_f32_e32 v5, 0x7800000, v5
	s_delay_alu instid0(VALU_DEP_1) | instskip(NEXT) | instid1(VALU_DEP_1)
	v_cndmask_b32_e32 v3, v5, v7, vcc_lo
	v_and_or_b32 v1, 0x80000000, v1, v3
	s_delay_alu instid0(VALU_DEP_1) | instskip(NEXT) | instid1(VALU_DEP_1)
	v_trunc_f32_e32 v1, v1
	v_mul_f32_e64 v3, 0x2f800000, |v1|
	s_delay_alu instid0(VALU_DEP_1) | instskip(NEXT) | instid1(VALU_DEP_1)
	v_floor_f32_e32 v3, v3
	v_fma_f32 v3, 0xcf800000, v3, |v1|
	v_ashrrev_i32_e32 v1, 31, v1
	s_delay_alu instid0(VALU_DEP_2) | instskip(NEXT) | instid1(VALU_DEP_1)
	v_cvt_u32_f32_e32 v3, v3
	v_xor_b32_e32 v3, v3, v1
	s_delay_alu instid0(VALU_DEP_1)
	v_sub_nc_u32_e32 v18, v3, v1
.LBB30_3215:
	s_mov_b32 s13, 0
	s_mov_b32 s19, -1
.LBB30_3216:
	s_and_not1_b32 vcc_lo, exec_lo, s13
	s_mov_b32 s13, 0
	s_cbranch_vccnz .LBB30_3227
; %bb.3217:
	s_cmp_gt_i32 s6, 14
	s_cbranch_scc0 .LBB30_3220
; %bb.3218:
	s_cmp_eq_u32 s6, 15
	s_cbranch_scc0 .LBB30_3223
; %bb.3219:
	s_wait_loadcnt 0x0
	global_load_u16 v1, v[24:25], off
	s_mov_b32 s7, 0
	s_mov_b32 s19, -1
	s_wait_loadcnt 0x0
	v_lshlrev_b32_e32 v1, 16, v1
	s_delay_alu instid0(VALU_DEP_1) | instskip(NEXT) | instid1(VALU_DEP_1)
	v_trunc_f32_e32 v1, v1
	v_mul_f32_e64 v3, 0x2f800000, |v1|
	s_delay_alu instid0(VALU_DEP_1) | instskip(NEXT) | instid1(VALU_DEP_1)
	v_floor_f32_e32 v3, v3
	v_fma_f32 v3, 0xcf800000, v3, |v1|
	v_ashrrev_i32_e32 v1, 31, v1
	s_delay_alu instid0(VALU_DEP_2) | instskip(NEXT) | instid1(VALU_DEP_1)
	v_cvt_u32_f32_e32 v3, v3
	v_xor_b32_e32 v3, v3, v1
	s_delay_alu instid0(VALU_DEP_1)
	v_sub_nc_u32_e32 v18, v3, v1
	s_branch .LBB30_3225
.LBB30_3220:
	s_mov_b32 s13, -1
	s_branch .LBB30_3224
.LBB30_3221:
	s_and_not1_saveexec_b32 s13, s13
	s_cbranch_execz .LBB30_3202
.LBB30_3222:
	v_cmp_ne_u16_e32 vcc_lo, 0, v1
	s_and_not1_b32 s19, s19, exec_lo
	s_and_b32 s22, vcc_lo, exec_lo
	s_delay_alu instid0(SALU_CYCLE_1)
	s_or_b32 s19, s19, s22
	s_or_b32 exec_lo, exec_lo, s13
	v_mov_b32_e32 v18, 0
	s_and_saveexec_b32 s13, s19
	s_cbranch_execnz .LBB30_3203
	s_branch .LBB30_3204
.LBB30_3223:
	s_mov_b32 s7, -1
.LBB30_3224:
                                        ; implicit-def: $vgpr18
.LBB30_3225:
	s_and_b32 vcc_lo, exec_lo, s13
	s_mov_b32 s13, 0
	s_cbranch_vccz .LBB30_3227
; %bb.3226:
	s_cmp_lg_u32 s6, 11
	s_mov_b32 s13, -1
	s_cselect_b32 s7, -1, 0
.LBB30_3227:
	s_delay_alu instid0(SALU_CYCLE_1)
	s_and_b32 vcc_lo, exec_lo, s7
	s_cbranch_vccnz .LBB30_3292
; %bb.3228:
	s_and_not1_b32 vcc_lo, exec_lo, s13
	s_cbranch_vccnz .LBB30_3230
.LBB30_3229:
	s_wait_loadcnt 0x0
	global_load_u8 v1, v[24:25], off
	s_mov_b32 s19, -1
	s_wait_loadcnt 0x0
	v_cmp_ne_u16_e32 vcc_lo, 0, v1
	v_cndmask_b32_e64 v18, 0, 1, vcc_lo
.LBB30_3230:
	s_mov_b32 s6, 0
.LBB30_3231:
	s_delay_alu instid0(SALU_CYCLE_1)
	s_and_b32 vcc_lo, exec_lo, s6
	s_cbranch_vccz .LBB30_3280
; %bb.3232:
	s_and_b32 s0, 0xffff, s0
	s_delay_alu instid0(SALU_CYCLE_1)
	s_cmp_lt_i32 s0, 5
	s_cbranch_scc1 .LBB30_3237
; %bb.3233:
	s_cmp_lt_i32 s0, 8
	s_cbranch_scc1 .LBB30_3238
; %bb.3234:
	;; [unrolled: 3-line block ×3, first 2 shown]
	s_cmp_gt_i32 s0, 9
	s_cbranch_scc0 .LBB30_3240
; %bb.3236:
	s_wait_loadcnt 0x0
	global_load_b64 v[18:19], v[24:25], off
	s_mov_b32 s6, 0
	s_wait_loadcnt 0x0
	v_trunc_f64_e32 v[18:19], v[18:19]
	s_delay_alu instid0(VALU_DEP_1) | instskip(NEXT) | instid1(VALU_DEP_1)
	v_ldexp_f64 v[28:29], v[18:19], 0xffffffe0
	v_floor_f64_e32 v[28:29], v[28:29]
	s_delay_alu instid0(VALU_DEP_1) | instskip(NEXT) | instid1(VALU_DEP_1)
	v_fmamk_f64 v[18:19], v[28:29], 0xc1f00000, v[18:19]
	v_cvt_u32_f64_e32 v18, v[18:19]
	s_branch .LBB30_3241
.LBB30_3237:
	s_mov_b32 s6, -1
                                        ; implicit-def: $vgpr18
	s_branch .LBB30_3259
.LBB30_3238:
	s_mov_b32 s6, -1
                                        ; implicit-def: $vgpr18
	s_branch .LBB30_3247
.LBB30_3239:
	s_mov_b32 s6, -1
                                        ; implicit-def: $vgpr18
	s_branch .LBB30_3244
.LBB30_3240:
	s_mov_b32 s6, -1
                                        ; implicit-def: $vgpr18
.LBB30_3241:
	s_delay_alu instid0(SALU_CYCLE_1)
	s_and_not1_b32 vcc_lo, exec_lo, s6
	s_cbranch_vccnz .LBB30_3243
; %bb.3242:
	s_wait_loadcnt 0x0
	global_load_b32 v1, v[24:25], off
	s_wait_loadcnt 0x0
	v_trunc_f32_e32 v1, v1
	s_delay_alu instid0(VALU_DEP_1) | instskip(NEXT) | instid1(VALU_DEP_1)
	v_mul_f32_e64 v3, 0x2f800000, |v1|
	v_floor_f32_e32 v3, v3
	s_delay_alu instid0(VALU_DEP_1) | instskip(SKIP_1) | instid1(VALU_DEP_2)
	v_fma_f32 v3, 0xcf800000, v3, |v1|
	v_ashrrev_i32_e32 v1, 31, v1
	v_cvt_u32_f32_e32 v3, v3
	s_delay_alu instid0(VALU_DEP_1) | instskip(NEXT) | instid1(VALU_DEP_1)
	v_xor_b32_e32 v3, v3, v1
	v_sub_nc_u32_e32 v18, v3, v1
.LBB30_3243:
	s_mov_b32 s6, 0
.LBB30_3244:
	s_delay_alu instid0(SALU_CYCLE_1)
	s_and_not1_b32 vcc_lo, exec_lo, s6
	s_cbranch_vccnz .LBB30_3246
; %bb.3245:
	s_wait_loadcnt 0x0
	global_load_b32 v1, v[24:25], off
	s_wait_loadcnt 0x0
	v_cvt_f32_f16_e32 v1, v1
	s_delay_alu instid0(VALU_DEP_1)
	v_cvt_i32_f32_e32 v18, v1
.LBB30_3246:
	s_mov_b32 s6, 0
.LBB30_3247:
	s_delay_alu instid0(SALU_CYCLE_1)
	s_and_not1_b32 vcc_lo, exec_lo, s6
	s_cbranch_vccnz .LBB30_3258
; %bb.3248:
	s_cmp_lt_i32 s0, 6
	s_cbranch_scc1 .LBB30_3251
; %bb.3249:
	s_cmp_gt_i32 s0, 6
	s_cbranch_scc0 .LBB30_3252
; %bb.3250:
	s_wait_loadcnt 0x0
	global_load_b64 v[18:19], v[24:25], off
	s_mov_b32 s6, 0
	s_wait_loadcnt 0x0
	v_trunc_f64_e32 v[18:19], v[18:19]
	s_delay_alu instid0(VALU_DEP_1) | instskip(NEXT) | instid1(VALU_DEP_1)
	v_ldexp_f64 v[28:29], v[18:19], 0xffffffe0
	v_floor_f64_e32 v[28:29], v[28:29]
	s_delay_alu instid0(VALU_DEP_1) | instskip(NEXT) | instid1(VALU_DEP_1)
	v_fmamk_f64 v[18:19], v[28:29], 0xc1f00000, v[18:19]
	v_cvt_u32_f64_e32 v18, v[18:19]
	s_branch .LBB30_3253
.LBB30_3251:
	s_mov_b32 s6, -1
                                        ; implicit-def: $vgpr18
	s_branch .LBB30_3256
.LBB30_3252:
	s_mov_b32 s6, -1
                                        ; implicit-def: $vgpr18
.LBB30_3253:
	s_delay_alu instid0(SALU_CYCLE_1)
	s_and_not1_b32 vcc_lo, exec_lo, s6
	s_cbranch_vccnz .LBB30_3255
; %bb.3254:
	s_wait_loadcnt 0x0
	global_load_b32 v1, v[24:25], off
	s_wait_loadcnt 0x0
	v_trunc_f32_e32 v1, v1
	s_delay_alu instid0(VALU_DEP_1) | instskip(NEXT) | instid1(VALU_DEP_1)
	v_mul_f32_e64 v3, 0x2f800000, |v1|
	v_floor_f32_e32 v3, v3
	s_delay_alu instid0(VALU_DEP_1) | instskip(SKIP_1) | instid1(VALU_DEP_2)
	v_fma_f32 v3, 0xcf800000, v3, |v1|
	v_ashrrev_i32_e32 v1, 31, v1
	v_cvt_u32_f32_e32 v3, v3
	s_delay_alu instid0(VALU_DEP_1) | instskip(NEXT) | instid1(VALU_DEP_1)
	v_xor_b32_e32 v3, v3, v1
	v_sub_nc_u32_e32 v18, v3, v1
.LBB30_3255:
	s_mov_b32 s6, 0
.LBB30_3256:
	s_delay_alu instid0(SALU_CYCLE_1)
	s_and_not1_b32 vcc_lo, exec_lo, s6
	s_cbranch_vccnz .LBB30_3258
; %bb.3257:
	s_wait_loadcnt 0x0
	global_load_u16 v1, v[24:25], off
	s_wait_loadcnt 0x0
	v_cvt_f32_f16_e32 v1, v1
	s_delay_alu instid0(VALU_DEP_1)
	v_cvt_i32_f32_e32 v18, v1
.LBB30_3258:
	s_mov_b32 s6, 0
.LBB30_3259:
	s_delay_alu instid0(SALU_CYCLE_1)
	s_and_not1_b32 vcc_lo, exec_lo, s6
	s_cbranch_vccnz .LBB30_3279
; %bb.3260:
	s_cmp_lt_i32 s0, 2
	s_cbranch_scc1 .LBB30_3264
; %bb.3261:
	s_cmp_lt_i32 s0, 3
	s_cbranch_scc1 .LBB30_3265
; %bb.3262:
	s_cmp_gt_i32 s0, 3
	s_cbranch_scc0 .LBB30_3266
; %bb.3263:
	s_wait_loadcnt 0x0
	global_load_b64 v[18:19], v[24:25], off
	s_mov_b32 s6, 0
	s_branch .LBB30_3267
.LBB30_3264:
	s_mov_b32 s6, -1
                                        ; implicit-def: $vgpr18
	s_branch .LBB30_3273
.LBB30_3265:
	s_mov_b32 s6, -1
                                        ; implicit-def: $vgpr18
	s_branch .LBB30_3270
.LBB30_3266:
	s_mov_b32 s6, -1
                                        ; implicit-def: $vgpr18
.LBB30_3267:
	s_delay_alu instid0(SALU_CYCLE_1)
	s_and_not1_b32 vcc_lo, exec_lo, s6
	s_cbranch_vccnz .LBB30_3269
; %bb.3268:
	s_wait_loadcnt 0x0
	global_load_b32 v18, v[24:25], off
.LBB30_3269:
	s_mov_b32 s6, 0
.LBB30_3270:
	s_delay_alu instid0(SALU_CYCLE_1)
	s_and_not1_b32 vcc_lo, exec_lo, s6
	s_cbranch_vccnz .LBB30_3272
; %bb.3271:
	s_wait_loadcnt 0x0
	global_load_u16 v18, v[24:25], off
.LBB30_3272:
	s_mov_b32 s6, 0
.LBB30_3273:
	s_delay_alu instid0(SALU_CYCLE_1)
	s_and_not1_b32 vcc_lo, exec_lo, s6
	s_cbranch_vccnz .LBB30_3279
; %bb.3274:
	s_cmp_gt_i32 s0, 0
	s_mov_b32 s0, 0
	s_cbranch_scc0 .LBB30_3276
; %bb.3275:
	s_wait_loadcnt 0x0
	global_load_u8 v18, v[24:25], off
	s_branch .LBB30_3277
.LBB30_3276:
	s_mov_b32 s0, -1
                                        ; implicit-def: $vgpr18
.LBB30_3277:
	s_delay_alu instid0(SALU_CYCLE_1)
	s_and_not1_b32 vcc_lo, exec_lo, s0
	s_cbranch_vccnz .LBB30_3279
; %bb.3278:
	s_wait_loadcnt 0x0
	global_load_u8 v18, v[24:25], off
.LBB30_3279:
	s_mov_b32 s19, -1
.LBB30_3280:
	s_delay_alu instid0(SALU_CYCLE_1)
	s_and_not1_b32 vcc_lo, exec_lo, s19
	s_cbranch_vccnz .LBB30_3968
; %bb.3281:
	v_add_nc_u32_e32 v20, s14, v20
	s_cmp_lt_i32 s3, 11
	s_delay_alu instid0(VALU_DEP_1) | instskip(SKIP_1) | instid1(VALU_DEP_1)
	v_ashrrev_i32_e32 v21, 31, v20
	s_wait_xcnt 0x0
	v_add_nc_u64_e32 v[24:25], s[8:9], v[20:21]
	s_cbranch_scc1 .LBB30_3288
; %bb.3282:
	s_and_b32 s0, 0xffff, s3
	s_mov_b32 s7, 0
	s_cmp_gt_i32 s0, 25
	s_cbranch_scc0 .LBB30_3289
; %bb.3283:
	s_cmp_gt_i32 s0, 28
	s_cbranch_scc0 .LBB30_3290
; %bb.3284:
	;; [unrolled: 3-line block ×4, first 2 shown]
	s_cmp_eq_u32 s0, 46
	s_mov_b32 s9, 0
	s_cbranch_scc0 .LBB30_3294
; %bb.3287:
	s_wait_loadcnt 0x0
	global_load_b32 v1, v[24:25], off
	s_mov_b32 s6, 0
	s_mov_b32 s8, -1
	s_wait_loadcnt 0x0
	v_lshlrev_b32_e32 v1, 16, v1
	s_delay_alu instid0(VALU_DEP_1) | instskip(NEXT) | instid1(VALU_DEP_1)
	v_trunc_f32_e32 v1, v1
	v_mul_f32_e64 v3, 0x2f800000, |v1|
	s_delay_alu instid0(VALU_DEP_1) | instskip(NEXT) | instid1(VALU_DEP_1)
	v_floor_f32_e32 v3, v3
	v_fma_f32 v3, 0xcf800000, v3, |v1|
	v_ashrrev_i32_e32 v1, 31, v1
	s_delay_alu instid0(VALU_DEP_2) | instskip(NEXT) | instid1(VALU_DEP_1)
	v_cvt_u32_f32_e32 v3, v3
	v_xor_b32_e32 v3, v3, v1
	s_delay_alu instid0(VALU_DEP_1)
	v_sub_nc_u32_e32 v20, v3, v1
	s_branch .LBB30_3296
.LBB30_3288:
	s_mov_b32 s0, -1
	s_mov_b32 s8, 0
                                        ; implicit-def: $vgpr20
	s_branch .LBB30_3358
.LBB30_3289:
	s_mov_b32 s9, -1
	s_mov_b32 s8, 0
	s_mov_b32 s6, 0
                                        ; implicit-def: $vgpr20
	s_branch .LBB30_3323
.LBB30_3290:
	s_mov_b32 s9, -1
	s_mov_b32 s8, 0
	s_mov_b32 s6, 0
                                        ; implicit-def: $vgpr20
	s_branch .LBB30_3306
.LBB30_3291:
	s_mov_b32 s9, -1
	s_mov_b32 s8, 0
	s_mov_b32 s6, 0
                                        ; implicit-def: $vgpr20
	s_branch .LBB30_3301
.LBB30_3292:
	s_or_b32 s16, s16, exec_lo
	s_trap 2
	s_cbranch_execz .LBB30_3229
	s_branch .LBB30_3230
.LBB30_3293:
	s_mov_b32 s9, -1
	s_mov_b32 s8, 0
	s_mov_b32 s6, 0
	s_branch .LBB30_3295
.LBB30_3294:
	s_mov_b32 s6, -1
	s_mov_b32 s8, 0
.LBB30_3295:
                                        ; implicit-def: $vgpr20
.LBB30_3296:
	s_and_b32 vcc_lo, exec_lo, s9
	s_cbranch_vccz .LBB30_3300
; %bb.3297:
	s_cmp_eq_u32 s0, 44
	s_cbranch_scc0 .LBB30_3299
; %bb.3298:
	s_wait_loadcnt 0x0
	global_load_u8 v1, v[24:25], off
	s_mov_b32 s6, 0
	s_mov_b32 s8, -1
	s_wait_loadcnt 0x0
	v_lshlrev_b32_e32 v3, 23, v1
	v_cmp_ne_u32_e32 vcc_lo, 0, v1
	s_delay_alu instid0(VALU_DEP_2) | instskip(NEXT) | instid1(VALU_DEP_1)
	v_trunc_f32_e32 v3, v3
	v_mul_f32_e64 v5, 0x2f800000, |v3|
	s_delay_alu instid0(VALU_DEP_1) | instskip(NEXT) | instid1(VALU_DEP_1)
	v_floor_f32_e32 v5, v5
	v_fma_f32 v5, 0xcf800000, v5, |v3|
	v_ashrrev_i32_e32 v3, 31, v3
	s_delay_alu instid0(VALU_DEP_2) | instskip(NEXT) | instid1(VALU_DEP_1)
	v_cvt_u32_f32_e32 v5, v5
	v_xor_b32_e32 v5, v5, v3
	s_delay_alu instid0(VALU_DEP_1) | instskip(NEXT) | instid1(VALU_DEP_1)
	v_sub_nc_u32_e32 v3, v5, v3
	v_cndmask_b32_e32 v20, 0, v3, vcc_lo
	s_branch .LBB30_3300
.LBB30_3299:
	s_mov_b32 s6, -1
                                        ; implicit-def: $vgpr20
.LBB30_3300:
	s_mov_b32 s9, 0
.LBB30_3301:
	s_delay_alu instid0(SALU_CYCLE_1)
	s_and_b32 vcc_lo, exec_lo, s9
	s_cbranch_vccz .LBB30_3305
; %bb.3302:
	s_cmp_eq_u32 s0, 29
	s_cbranch_scc0 .LBB30_3304
; %bb.3303:
	global_load_b64 v[20:21], v[24:25], off
	s_mov_b32 s6, 0
	s_mov_b32 s8, -1
	s_branch .LBB30_3305
.LBB30_3304:
	s_mov_b32 s6, -1
                                        ; implicit-def: $vgpr20
.LBB30_3305:
	s_mov_b32 s9, 0
.LBB30_3306:
	s_delay_alu instid0(SALU_CYCLE_1)
	s_and_b32 vcc_lo, exec_lo, s9
	s_cbranch_vccz .LBB30_3322
; %bb.3307:
	s_cmp_lt_i32 s0, 27
	s_cbranch_scc1 .LBB30_3310
; %bb.3308:
	s_cmp_gt_i32 s0, 27
	s_cbranch_scc0 .LBB30_3311
; %bb.3309:
	s_wait_loadcnt 0x0
	global_load_b32 v20, v[24:25], off
	s_mov_b32 s8, 0
	s_branch .LBB30_3312
.LBB30_3310:
	s_mov_b32 s8, -1
                                        ; implicit-def: $vgpr20
	s_branch .LBB30_3315
.LBB30_3311:
	s_mov_b32 s8, -1
                                        ; implicit-def: $vgpr20
.LBB30_3312:
	s_delay_alu instid0(SALU_CYCLE_1)
	s_and_not1_b32 vcc_lo, exec_lo, s8
	s_cbranch_vccnz .LBB30_3314
; %bb.3313:
	s_wait_loadcnt 0x0
	global_load_u16 v20, v[24:25], off
.LBB30_3314:
	s_mov_b32 s8, 0
.LBB30_3315:
	s_delay_alu instid0(SALU_CYCLE_1)
	s_and_not1_b32 vcc_lo, exec_lo, s8
	s_cbranch_vccnz .LBB30_3321
; %bb.3316:
	s_wait_loadcnt 0x0
	global_load_u8 v1, v[24:25], off
	s_mov_b32 s9, 0
	s_mov_b32 s8, exec_lo
	s_wait_loadcnt 0x0
	v_cmpx_lt_i16_e32 0x7f, v1
	s_xor_b32 s8, exec_lo, s8
	s_cbranch_execz .LBB30_3333
; %bb.3317:
	v_cmp_ne_u16_e32 vcc_lo, 0x80, v1
	s_and_b32 s9, vcc_lo, exec_lo
	s_and_not1_saveexec_b32 s8, s8
	s_cbranch_execnz .LBB30_3334
.LBB30_3318:
	s_or_b32 exec_lo, exec_lo, s8
	v_mov_b32_e32 v20, 0
	s_and_saveexec_b32 s8, s9
	s_cbranch_execz .LBB30_3320
.LBB30_3319:
	v_and_b32_e32 v3, 0xffff, v1
	s_delay_alu instid0(VALU_DEP_1) | instskip(SKIP_1) | instid1(VALU_DEP_2)
	v_dual_lshlrev_b32 v1, 24, v1 :: v_dual_bitop2_b32 v5, 7, v3 bitop3:0x40
	v_bfe_u32 v11, v3, 3, 4
	v_and_b32_e32 v1, 0x80000000, v1
	s_delay_alu instid0(VALU_DEP_3) | instskip(NEXT) | instid1(VALU_DEP_3)
	v_clz_i32_u32_e32 v7, v5
	v_cmp_eq_u32_e32 vcc_lo, 0, v11
	s_delay_alu instid0(VALU_DEP_2) | instskip(NEXT) | instid1(VALU_DEP_1)
	v_min_u32_e32 v7, 32, v7
	v_subrev_nc_u32_e32 v9, 28, v7
	v_sub_nc_u32_e32 v7, 29, v7
	s_delay_alu instid0(VALU_DEP_2) | instskip(NEXT) | instid1(VALU_DEP_2)
	v_lshlrev_b32_e32 v3, v9, v3
	v_cndmask_b32_e32 v7, v11, v7, vcc_lo
	s_delay_alu instid0(VALU_DEP_2) | instskip(NEXT) | instid1(VALU_DEP_1)
	v_and_b32_e32 v3, 7, v3
	v_cndmask_b32_e32 v3, v5, v3, vcc_lo
	s_delay_alu instid0(VALU_DEP_3) | instskip(NEXT) | instid1(VALU_DEP_2)
	v_lshl_add_u32 v5, v7, 23, 0x3b800000
	v_lshlrev_b32_e32 v3, 20, v3
	s_delay_alu instid0(VALU_DEP_1) | instskip(NEXT) | instid1(VALU_DEP_1)
	v_or3_b32 v1, v1, v5, v3
	v_trunc_f32_e32 v1, v1
	s_delay_alu instid0(VALU_DEP_1) | instskip(NEXT) | instid1(VALU_DEP_1)
	v_mul_f32_e64 v3, 0x2f800000, |v1|
	v_floor_f32_e32 v3, v3
	s_delay_alu instid0(VALU_DEP_1) | instskip(SKIP_1) | instid1(VALU_DEP_2)
	v_fma_f32 v3, 0xcf800000, v3, |v1|
	v_ashrrev_i32_e32 v1, 31, v1
	v_cvt_u32_f32_e32 v3, v3
	s_delay_alu instid0(VALU_DEP_1) | instskip(NEXT) | instid1(VALU_DEP_1)
	v_xor_b32_e32 v3, v3, v1
	v_sub_nc_u32_e32 v20, v3, v1
.LBB30_3320:
	s_or_b32 exec_lo, exec_lo, s8
.LBB30_3321:
	s_mov_b32 s8, -1
.LBB30_3322:
	s_mov_b32 s9, 0
.LBB30_3323:
	s_delay_alu instid0(SALU_CYCLE_1)
	s_and_b32 vcc_lo, exec_lo, s9
	s_cbranch_vccz .LBB30_3354
; %bb.3324:
	s_cmp_gt_i32 s0, 22
	s_cbranch_scc0 .LBB30_3332
; %bb.3325:
	s_cmp_lt_i32 s0, 24
	s_cbranch_scc1 .LBB30_3335
; %bb.3326:
	s_cmp_gt_i32 s0, 24
	s_cbranch_scc0 .LBB30_3336
; %bb.3327:
	s_wait_loadcnt 0x0
	global_load_u8 v1, v[24:25], off
	s_mov_b32 s8, 0
	s_mov_b32 s7, exec_lo
	s_wait_loadcnt 0x0
	v_cmpx_lt_i16_e32 0x7f, v1
	s_xor_b32 s7, exec_lo, s7
	s_cbranch_execz .LBB30_3348
; %bb.3328:
	v_cmp_ne_u16_e32 vcc_lo, 0x80, v1
	s_and_b32 s8, vcc_lo, exec_lo
	s_and_not1_saveexec_b32 s7, s7
	s_cbranch_execnz .LBB30_3349
.LBB30_3329:
	s_or_b32 exec_lo, exec_lo, s7
	v_mov_b32_e32 v20, 0
	s_and_saveexec_b32 s7, s8
	s_cbranch_execz .LBB30_3331
.LBB30_3330:
	v_and_b32_e32 v3, 0xffff, v1
	s_delay_alu instid0(VALU_DEP_1) | instskip(SKIP_1) | instid1(VALU_DEP_2)
	v_dual_lshlrev_b32 v1, 24, v1 :: v_dual_bitop2_b32 v5, 3, v3 bitop3:0x40
	v_bfe_u32 v11, v3, 2, 5
	v_and_b32_e32 v1, 0x80000000, v1
	s_delay_alu instid0(VALU_DEP_3) | instskip(NEXT) | instid1(VALU_DEP_3)
	v_clz_i32_u32_e32 v7, v5
	v_cmp_eq_u32_e32 vcc_lo, 0, v11
	s_delay_alu instid0(VALU_DEP_2) | instskip(NEXT) | instid1(VALU_DEP_1)
	v_min_u32_e32 v7, 32, v7
	v_subrev_nc_u32_e32 v9, 29, v7
	v_sub_nc_u32_e32 v7, 30, v7
	s_delay_alu instid0(VALU_DEP_2) | instskip(NEXT) | instid1(VALU_DEP_2)
	v_lshlrev_b32_e32 v3, v9, v3
	v_cndmask_b32_e32 v7, v11, v7, vcc_lo
	s_delay_alu instid0(VALU_DEP_2) | instskip(NEXT) | instid1(VALU_DEP_1)
	v_and_b32_e32 v3, 3, v3
	v_cndmask_b32_e32 v3, v5, v3, vcc_lo
	s_delay_alu instid0(VALU_DEP_3) | instskip(NEXT) | instid1(VALU_DEP_2)
	v_lshl_add_u32 v5, v7, 23, 0x37800000
	v_lshlrev_b32_e32 v3, 21, v3
	s_delay_alu instid0(VALU_DEP_1) | instskip(NEXT) | instid1(VALU_DEP_1)
	v_or3_b32 v1, v1, v5, v3
	v_trunc_f32_e32 v1, v1
	s_delay_alu instid0(VALU_DEP_1) | instskip(NEXT) | instid1(VALU_DEP_1)
	v_mul_f32_e64 v3, 0x2f800000, |v1|
	v_floor_f32_e32 v3, v3
	s_delay_alu instid0(VALU_DEP_1) | instskip(SKIP_1) | instid1(VALU_DEP_2)
	v_fma_f32 v3, 0xcf800000, v3, |v1|
	v_ashrrev_i32_e32 v1, 31, v1
	v_cvt_u32_f32_e32 v3, v3
	s_delay_alu instid0(VALU_DEP_1) | instskip(NEXT) | instid1(VALU_DEP_1)
	v_xor_b32_e32 v3, v3, v1
	v_sub_nc_u32_e32 v20, v3, v1
.LBB30_3331:
	s_or_b32 exec_lo, exec_lo, s7
	s_mov_b32 s7, 0
	s_branch .LBB30_3337
.LBB30_3332:
	s_mov_b32 s7, -1
                                        ; implicit-def: $vgpr20
	s_branch .LBB30_3343
.LBB30_3333:
	s_and_not1_saveexec_b32 s8, s8
	s_cbranch_execz .LBB30_3318
.LBB30_3334:
	v_cmp_ne_u16_e32 vcc_lo, 0, v1
	s_and_not1_b32 s9, s9, exec_lo
	s_and_b32 s13, vcc_lo, exec_lo
	s_delay_alu instid0(SALU_CYCLE_1)
	s_or_b32 s9, s9, s13
	s_or_b32 exec_lo, exec_lo, s8
	v_mov_b32_e32 v20, 0
	s_and_saveexec_b32 s8, s9
	s_cbranch_execnz .LBB30_3319
	s_branch .LBB30_3320
.LBB30_3335:
	s_mov_b32 s7, -1
                                        ; implicit-def: $vgpr20
	s_branch .LBB30_3340
.LBB30_3336:
	s_mov_b32 s7, -1
                                        ; implicit-def: $vgpr20
.LBB30_3337:
	s_delay_alu instid0(SALU_CYCLE_1)
	s_and_b32 vcc_lo, exec_lo, s7
	s_cbranch_vccz .LBB30_3339
; %bb.3338:
	s_wait_loadcnt 0x0
	global_load_u8 v1, v[24:25], off
	s_wait_loadcnt 0x0
	v_lshlrev_b32_e32 v1, 24, v1
	s_delay_alu instid0(VALU_DEP_1) | instskip(NEXT) | instid1(VALU_DEP_1)
	v_and_b32_e32 v3, 0x7f000000, v1
	v_clz_i32_u32_e32 v5, v3
	v_add_nc_u32_e32 v9, 0x1000000, v3
	v_cmp_ne_u32_e32 vcc_lo, 0, v3
	s_delay_alu instid0(VALU_DEP_3) | instskip(NEXT) | instid1(VALU_DEP_1)
	v_min_u32_e32 v5, 32, v5
	v_sub_nc_u32_e64 v5, v5, 4 clamp
	s_delay_alu instid0(VALU_DEP_1) | instskip(NEXT) | instid1(VALU_DEP_1)
	v_dual_lshlrev_b32 v7, v5, v3 :: v_dual_lshlrev_b32 v5, 23, v5
	v_lshrrev_b32_e32 v7, 4, v7
	s_delay_alu instid0(VALU_DEP_1) | instskip(SKIP_1) | instid1(VALU_DEP_2)
	v_sub_nc_u32_e32 v5, v7, v5
	v_ashrrev_i32_e32 v7, 8, v9
	v_add_nc_u32_e32 v5, 0x3c000000, v5
	s_delay_alu instid0(VALU_DEP_1) | instskip(NEXT) | instid1(VALU_DEP_1)
	v_and_or_b32 v5, 0x7f800000, v7, v5
	v_cndmask_b32_e32 v3, 0, v5, vcc_lo
	s_delay_alu instid0(VALU_DEP_1) | instskip(NEXT) | instid1(VALU_DEP_1)
	v_and_or_b32 v1, 0x80000000, v1, v3
	v_trunc_f32_e32 v1, v1
	s_delay_alu instid0(VALU_DEP_1) | instskip(NEXT) | instid1(VALU_DEP_1)
	v_mul_f32_e64 v3, 0x2f800000, |v1|
	v_floor_f32_e32 v3, v3
	s_delay_alu instid0(VALU_DEP_1) | instskip(SKIP_1) | instid1(VALU_DEP_2)
	v_fma_f32 v3, 0xcf800000, v3, |v1|
	v_ashrrev_i32_e32 v1, 31, v1
	v_cvt_u32_f32_e32 v3, v3
	s_delay_alu instid0(VALU_DEP_1) | instskip(NEXT) | instid1(VALU_DEP_1)
	v_xor_b32_e32 v3, v3, v1
	v_sub_nc_u32_e32 v20, v3, v1
.LBB30_3339:
	s_mov_b32 s7, 0
.LBB30_3340:
	s_delay_alu instid0(SALU_CYCLE_1)
	s_and_not1_b32 vcc_lo, exec_lo, s7
	s_cbranch_vccnz .LBB30_3342
; %bb.3341:
	s_wait_loadcnt 0x0
	global_load_u8 v1, v[24:25], off
	s_wait_loadcnt 0x0
	v_lshlrev_b32_e32 v3, 25, v1
	v_lshlrev_b16 v1, 8, v1
	s_delay_alu instid0(VALU_DEP_1) | instskip(SKIP_1) | instid1(VALU_DEP_2)
	v_and_or_b32 v7, 0x7f00, v1, 0.5
	v_bfe_i32 v1, v1, 0, 16
	v_add_f32_e32 v7, -0.5, v7
	v_lshrrev_b32_e32 v5, 4, v3
	v_cmp_gt_u32_e32 vcc_lo, 0x8000000, v3
	s_delay_alu instid0(VALU_DEP_2) | instskip(NEXT) | instid1(VALU_DEP_1)
	v_or_b32_e32 v5, 0x70000000, v5
	v_mul_f32_e32 v5, 0x7800000, v5
	s_delay_alu instid0(VALU_DEP_1) | instskip(NEXT) | instid1(VALU_DEP_1)
	v_cndmask_b32_e32 v3, v5, v7, vcc_lo
	v_and_or_b32 v1, 0x80000000, v1, v3
	s_delay_alu instid0(VALU_DEP_1) | instskip(NEXT) | instid1(VALU_DEP_1)
	v_trunc_f32_e32 v1, v1
	v_mul_f32_e64 v3, 0x2f800000, |v1|
	s_delay_alu instid0(VALU_DEP_1) | instskip(NEXT) | instid1(VALU_DEP_1)
	v_floor_f32_e32 v3, v3
	v_fma_f32 v3, 0xcf800000, v3, |v1|
	v_ashrrev_i32_e32 v1, 31, v1
	s_delay_alu instid0(VALU_DEP_2) | instskip(NEXT) | instid1(VALU_DEP_1)
	v_cvt_u32_f32_e32 v3, v3
	v_xor_b32_e32 v3, v3, v1
	s_delay_alu instid0(VALU_DEP_1)
	v_sub_nc_u32_e32 v20, v3, v1
.LBB30_3342:
	s_mov_b32 s7, 0
	s_mov_b32 s8, -1
.LBB30_3343:
	s_and_not1_b32 vcc_lo, exec_lo, s7
	s_mov_b32 s7, 0
	s_cbranch_vccnz .LBB30_3354
; %bb.3344:
	s_cmp_gt_i32 s0, 14
	s_cbranch_scc0 .LBB30_3347
; %bb.3345:
	s_cmp_eq_u32 s0, 15
	s_cbranch_scc0 .LBB30_3350
; %bb.3346:
	s_wait_loadcnt 0x0
	global_load_u16 v1, v[24:25], off
	s_mov_b32 s6, 0
	s_mov_b32 s8, -1
	s_wait_loadcnt 0x0
	v_lshlrev_b32_e32 v1, 16, v1
	s_delay_alu instid0(VALU_DEP_1) | instskip(NEXT) | instid1(VALU_DEP_1)
	v_trunc_f32_e32 v1, v1
	v_mul_f32_e64 v3, 0x2f800000, |v1|
	s_delay_alu instid0(VALU_DEP_1) | instskip(NEXT) | instid1(VALU_DEP_1)
	v_floor_f32_e32 v3, v3
	v_fma_f32 v3, 0xcf800000, v3, |v1|
	v_ashrrev_i32_e32 v1, 31, v1
	s_delay_alu instid0(VALU_DEP_2) | instskip(NEXT) | instid1(VALU_DEP_1)
	v_cvt_u32_f32_e32 v3, v3
	v_xor_b32_e32 v3, v3, v1
	s_delay_alu instid0(VALU_DEP_1)
	v_sub_nc_u32_e32 v20, v3, v1
	s_branch .LBB30_3352
.LBB30_3347:
	s_mov_b32 s7, -1
	s_branch .LBB30_3351
.LBB30_3348:
	s_and_not1_saveexec_b32 s7, s7
	s_cbranch_execz .LBB30_3329
.LBB30_3349:
	v_cmp_ne_u16_e32 vcc_lo, 0, v1
	s_and_not1_b32 s8, s8, exec_lo
	s_and_b32 s9, vcc_lo, exec_lo
	s_delay_alu instid0(SALU_CYCLE_1)
	s_or_b32 s8, s8, s9
	s_or_b32 exec_lo, exec_lo, s7
	v_mov_b32_e32 v20, 0
	s_and_saveexec_b32 s7, s8
	s_cbranch_execnz .LBB30_3330
	s_branch .LBB30_3331
.LBB30_3350:
	s_mov_b32 s6, -1
.LBB30_3351:
                                        ; implicit-def: $vgpr20
.LBB30_3352:
	s_and_b32 vcc_lo, exec_lo, s7
	s_mov_b32 s7, 0
	s_cbranch_vccz .LBB30_3354
; %bb.3353:
	s_cmp_lg_u32 s0, 11
	s_mov_b32 s7, -1
	s_cselect_b32 s6, -1, 0
.LBB30_3354:
	s_delay_alu instid0(SALU_CYCLE_1)
	s_and_b32 vcc_lo, exec_lo, s6
	s_cbranch_vccnz .LBB30_3419
; %bb.3355:
	s_and_not1_b32 vcc_lo, exec_lo, s7
	s_cbranch_vccnz .LBB30_3357
.LBB30_3356:
	s_wait_loadcnt 0x0
	global_load_u8 v1, v[24:25], off
	s_mov_b32 s8, -1
	s_wait_loadcnt 0x0
	v_cmp_ne_u16_e32 vcc_lo, 0, v1
	v_cndmask_b32_e64 v20, 0, 1, vcc_lo
.LBB30_3357:
	s_mov_b32 s0, 0
.LBB30_3358:
	s_delay_alu instid0(SALU_CYCLE_1)
	s_and_b32 vcc_lo, exec_lo, s0
	s_cbranch_vccz .LBB30_3407
; %bb.3359:
	s_and_b32 s0, 0xffff, s3
	s_delay_alu instid0(SALU_CYCLE_1)
	s_cmp_lt_i32 s0, 5
	s_cbranch_scc1 .LBB30_3364
; %bb.3360:
	s_cmp_lt_i32 s0, 8
	s_cbranch_scc1 .LBB30_3365
; %bb.3361:
	;; [unrolled: 3-line block ×3, first 2 shown]
	s_cmp_gt_i32 s0, 9
	s_cbranch_scc0 .LBB30_3367
; %bb.3363:
	s_wait_loadcnt 0x0
	global_load_b64 v[20:21], v[24:25], off
	s_mov_b32 s3, 0
	s_wait_loadcnt 0x0
	v_trunc_f64_e32 v[20:21], v[20:21]
	s_delay_alu instid0(VALU_DEP_1) | instskip(NEXT) | instid1(VALU_DEP_1)
	v_ldexp_f64 v[28:29], v[20:21], 0xffffffe0
	v_floor_f64_e32 v[28:29], v[28:29]
	s_delay_alu instid0(VALU_DEP_1) | instskip(NEXT) | instid1(VALU_DEP_1)
	v_fmamk_f64 v[20:21], v[28:29], 0xc1f00000, v[20:21]
	v_cvt_u32_f64_e32 v20, v[20:21]
	s_branch .LBB30_3368
.LBB30_3364:
	s_mov_b32 s3, -1
                                        ; implicit-def: $vgpr20
	s_branch .LBB30_3386
.LBB30_3365:
	s_mov_b32 s3, -1
                                        ; implicit-def: $vgpr20
	s_branch .LBB30_3374
.LBB30_3366:
	s_mov_b32 s3, -1
                                        ; implicit-def: $vgpr20
	s_branch .LBB30_3371
.LBB30_3367:
	s_mov_b32 s3, -1
                                        ; implicit-def: $vgpr20
.LBB30_3368:
	s_delay_alu instid0(SALU_CYCLE_1)
	s_and_not1_b32 vcc_lo, exec_lo, s3
	s_cbranch_vccnz .LBB30_3370
; %bb.3369:
	s_wait_loadcnt 0x0
	global_load_b32 v1, v[24:25], off
	s_wait_loadcnt 0x0
	v_trunc_f32_e32 v1, v1
	s_delay_alu instid0(VALU_DEP_1) | instskip(NEXT) | instid1(VALU_DEP_1)
	v_mul_f32_e64 v3, 0x2f800000, |v1|
	v_floor_f32_e32 v3, v3
	s_delay_alu instid0(VALU_DEP_1) | instskip(SKIP_1) | instid1(VALU_DEP_2)
	v_fma_f32 v3, 0xcf800000, v3, |v1|
	v_ashrrev_i32_e32 v1, 31, v1
	v_cvt_u32_f32_e32 v3, v3
	s_delay_alu instid0(VALU_DEP_1) | instskip(NEXT) | instid1(VALU_DEP_1)
	v_xor_b32_e32 v3, v3, v1
	v_sub_nc_u32_e32 v20, v3, v1
.LBB30_3370:
	s_mov_b32 s3, 0
.LBB30_3371:
	s_delay_alu instid0(SALU_CYCLE_1)
	s_and_not1_b32 vcc_lo, exec_lo, s3
	s_cbranch_vccnz .LBB30_3373
; %bb.3372:
	s_wait_loadcnt 0x0
	global_load_b32 v1, v[24:25], off
	s_wait_loadcnt 0x0
	v_cvt_f32_f16_e32 v1, v1
	s_delay_alu instid0(VALU_DEP_1)
	v_cvt_i32_f32_e32 v20, v1
.LBB30_3373:
	s_mov_b32 s3, 0
.LBB30_3374:
	s_delay_alu instid0(SALU_CYCLE_1)
	s_and_not1_b32 vcc_lo, exec_lo, s3
	s_cbranch_vccnz .LBB30_3385
; %bb.3375:
	s_cmp_lt_i32 s0, 6
	s_cbranch_scc1 .LBB30_3378
; %bb.3376:
	s_cmp_gt_i32 s0, 6
	s_cbranch_scc0 .LBB30_3379
; %bb.3377:
	s_wait_loadcnt 0x0
	global_load_b64 v[20:21], v[24:25], off
	s_mov_b32 s3, 0
	s_wait_loadcnt 0x0
	v_trunc_f64_e32 v[20:21], v[20:21]
	s_delay_alu instid0(VALU_DEP_1) | instskip(NEXT) | instid1(VALU_DEP_1)
	v_ldexp_f64 v[28:29], v[20:21], 0xffffffe0
	v_floor_f64_e32 v[28:29], v[28:29]
	s_delay_alu instid0(VALU_DEP_1) | instskip(NEXT) | instid1(VALU_DEP_1)
	v_fmamk_f64 v[20:21], v[28:29], 0xc1f00000, v[20:21]
	v_cvt_u32_f64_e32 v20, v[20:21]
	s_branch .LBB30_3380
.LBB30_3378:
	s_mov_b32 s3, -1
                                        ; implicit-def: $vgpr20
	s_branch .LBB30_3383
.LBB30_3379:
	s_mov_b32 s3, -1
                                        ; implicit-def: $vgpr20
.LBB30_3380:
	s_delay_alu instid0(SALU_CYCLE_1)
	s_and_not1_b32 vcc_lo, exec_lo, s3
	s_cbranch_vccnz .LBB30_3382
; %bb.3381:
	s_wait_loadcnt 0x0
	global_load_b32 v1, v[24:25], off
	s_wait_loadcnt 0x0
	v_trunc_f32_e32 v1, v1
	s_delay_alu instid0(VALU_DEP_1) | instskip(NEXT) | instid1(VALU_DEP_1)
	v_mul_f32_e64 v3, 0x2f800000, |v1|
	v_floor_f32_e32 v3, v3
	s_delay_alu instid0(VALU_DEP_1) | instskip(SKIP_1) | instid1(VALU_DEP_2)
	v_fma_f32 v3, 0xcf800000, v3, |v1|
	v_ashrrev_i32_e32 v1, 31, v1
	v_cvt_u32_f32_e32 v3, v3
	s_delay_alu instid0(VALU_DEP_1) | instskip(NEXT) | instid1(VALU_DEP_1)
	v_xor_b32_e32 v3, v3, v1
	v_sub_nc_u32_e32 v20, v3, v1
.LBB30_3382:
	s_mov_b32 s3, 0
.LBB30_3383:
	s_delay_alu instid0(SALU_CYCLE_1)
	s_and_not1_b32 vcc_lo, exec_lo, s3
	s_cbranch_vccnz .LBB30_3385
; %bb.3384:
	s_wait_loadcnt 0x0
	global_load_u16 v1, v[24:25], off
	s_wait_loadcnt 0x0
	v_cvt_f32_f16_e32 v1, v1
	s_delay_alu instid0(VALU_DEP_1)
	v_cvt_i32_f32_e32 v20, v1
.LBB30_3385:
	s_mov_b32 s3, 0
.LBB30_3386:
	s_delay_alu instid0(SALU_CYCLE_1)
	s_and_not1_b32 vcc_lo, exec_lo, s3
	s_cbranch_vccnz .LBB30_3406
; %bb.3387:
	s_cmp_lt_i32 s0, 2
	s_cbranch_scc1 .LBB30_3391
; %bb.3388:
	s_cmp_lt_i32 s0, 3
	s_cbranch_scc1 .LBB30_3392
; %bb.3389:
	s_cmp_gt_i32 s0, 3
	s_cbranch_scc0 .LBB30_3393
; %bb.3390:
	s_wait_loadcnt 0x0
	global_load_b64 v[20:21], v[24:25], off
	s_mov_b32 s3, 0
	s_branch .LBB30_3394
.LBB30_3391:
	s_mov_b32 s3, -1
                                        ; implicit-def: $vgpr20
	s_branch .LBB30_3400
.LBB30_3392:
	s_mov_b32 s3, -1
                                        ; implicit-def: $vgpr20
	s_branch .LBB30_3397
.LBB30_3393:
	s_mov_b32 s3, -1
                                        ; implicit-def: $vgpr20
.LBB30_3394:
	s_delay_alu instid0(SALU_CYCLE_1)
	s_and_not1_b32 vcc_lo, exec_lo, s3
	s_cbranch_vccnz .LBB30_3396
; %bb.3395:
	s_wait_loadcnt 0x0
	global_load_b32 v20, v[24:25], off
.LBB30_3396:
	s_mov_b32 s3, 0
.LBB30_3397:
	s_delay_alu instid0(SALU_CYCLE_1)
	s_and_not1_b32 vcc_lo, exec_lo, s3
	s_cbranch_vccnz .LBB30_3399
; %bb.3398:
	s_wait_loadcnt 0x0
	global_load_u16 v20, v[24:25], off
.LBB30_3399:
	s_mov_b32 s3, 0
.LBB30_3400:
	s_delay_alu instid0(SALU_CYCLE_1)
	s_and_not1_b32 vcc_lo, exec_lo, s3
	s_cbranch_vccnz .LBB30_3406
; %bb.3401:
	s_cmp_gt_i32 s0, 0
	s_mov_b32 s0, 0
	s_cbranch_scc0 .LBB30_3403
; %bb.3402:
	s_wait_loadcnt 0x0
	global_load_u8 v20, v[24:25], off
	s_branch .LBB30_3404
.LBB30_3403:
	s_mov_b32 s0, -1
                                        ; implicit-def: $vgpr20
.LBB30_3404:
	s_delay_alu instid0(SALU_CYCLE_1)
	s_and_not1_b32 vcc_lo, exec_lo, s0
	s_cbranch_vccnz .LBB30_3406
; %bb.3405:
	s_wait_loadcnt 0x0
	global_load_u8 v20, v[24:25], off
.LBB30_3406:
	s_mov_b32 s8, -1
.LBB30_3407:
	s_delay_alu instid0(SALU_CYCLE_1)
	s_and_not1_b32 vcc_lo, exec_lo, s8
	s_cbranch_vccnz .LBB30_3968
; %bb.3408:
	v_add_nc_u32_e32 v22, s15, v22
	s_cmp_lt_i32 s17, 11
	s_delay_alu instid0(VALU_DEP_1) | instskip(SKIP_1) | instid1(VALU_DEP_1)
	v_ashrrev_i32_e32 v23, 31, v22
	s_wait_xcnt 0x0
	v_add_nc_u64_e32 v[24:25], s[10:11], v[22:23]
	s_cbranch_scc1 .LBB30_3415
; %bb.3409:
	s_and_b32 s0, 0xffff, s17
	s_mov_b32 s6, 0
	s_cmp_gt_i32 s0, 25
	s_cbranch_scc0 .LBB30_3416
; %bb.3410:
	s_cmp_gt_i32 s0, 28
	s_cbranch_scc0 .LBB30_3417
; %bb.3411:
	;; [unrolled: 3-line block ×4, first 2 shown]
	s_cmp_eq_u32 s0, 46
	s_mov_b32 s8, 0
	s_cbranch_scc0 .LBB30_3421
; %bb.3414:
	s_wait_loadcnt 0x0
	global_load_b32 v1, v[24:25], off
	s_mov_b32 s3, 0
	s_mov_b32 s7, -1
	s_wait_loadcnt 0x0
	v_lshlrev_b32_e32 v1, 16, v1
	s_delay_alu instid0(VALU_DEP_1) | instskip(NEXT) | instid1(VALU_DEP_1)
	v_trunc_f32_e32 v1, v1
	v_mul_f32_e64 v3, 0x2f800000, |v1|
	s_delay_alu instid0(VALU_DEP_1) | instskip(NEXT) | instid1(VALU_DEP_1)
	v_floor_f32_e32 v3, v3
	v_fma_f32 v3, 0xcf800000, v3, |v1|
	v_ashrrev_i32_e32 v1, 31, v1
	s_delay_alu instid0(VALU_DEP_2) | instskip(NEXT) | instid1(VALU_DEP_1)
	v_cvt_u32_f32_e32 v3, v3
	v_xor_b32_e32 v3, v3, v1
	s_delay_alu instid0(VALU_DEP_1)
	v_sub_nc_u32_e32 v22, v3, v1
	s_branch .LBB30_3423
.LBB30_3415:
	s_mov_b32 s0, -1
	s_mov_b32 s7, 0
                                        ; implicit-def: $vgpr22
	s_branch .LBB30_3485
.LBB30_3416:
	s_mov_b32 s8, -1
	s_mov_b32 s7, 0
	s_mov_b32 s3, 0
                                        ; implicit-def: $vgpr22
	s_branch .LBB30_3450
.LBB30_3417:
	s_mov_b32 s8, -1
	s_mov_b32 s7, 0
	s_mov_b32 s3, 0
                                        ; implicit-def: $vgpr22
	s_branch .LBB30_3433
.LBB30_3418:
	s_mov_b32 s8, -1
	s_mov_b32 s7, 0
	s_mov_b32 s3, 0
                                        ; implicit-def: $vgpr22
	s_branch .LBB30_3428
.LBB30_3419:
	s_or_b32 s16, s16, exec_lo
	s_trap 2
	s_cbranch_execz .LBB30_3356
	s_branch .LBB30_3357
.LBB30_3420:
	s_mov_b32 s8, -1
	s_mov_b32 s7, 0
	s_mov_b32 s3, 0
	s_branch .LBB30_3422
.LBB30_3421:
	s_mov_b32 s3, -1
	s_mov_b32 s7, 0
.LBB30_3422:
                                        ; implicit-def: $vgpr22
.LBB30_3423:
	s_and_b32 vcc_lo, exec_lo, s8
	s_cbranch_vccz .LBB30_3427
; %bb.3424:
	s_cmp_eq_u32 s0, 44
	s_cbranch_scc0 .LBB30_3426
; %bb.3425:
	s_wait_loadcnt 0x0
	global_load_u8 v1, v[24:25], off
	s_mov_b32 s3, 0
	s_mov_b32 s7, -1
	s_wait_loadcnt 0x0
	v_lshlrev_b32_e32 v3, 23, v1
	v_cmp_ne_u32_e32 vcc_lo, 0, v1
	s_delay_alu instid0(VALU_DEP_2) | instskip(NEXT) | instid1(VALU_DEP_1)
	v_trunc_f32_e32 v3, v3
	v_mul_f32_e64 v5, 0x2f800000, |v3|
	s_delay_alu instid0(VALU_DEP_1) | instskip(NEXT) | instid1(VALU_DEP_1)
	v_floor_f32_e32 v5, v5
	v_fma_f32 v5, 0xcf800000, v5, |v3|
	v_ashrrev_i32_e32 v3, 31, v3
	s_delay_alu instid0(VALU_DEP_2) | instskip(NEXT) | instid1(VALU_DEP_1)
	v_cvt_u32_f32_e32 v5, v5
	v_xor_b32_e32 v5, v5, v3
	s_delay_alu instid0(VALU_DEP_1) | instskip(NEXT) | instid1(VALU_DEP_1)
	v_sub_nc_u32_e32 v3, v5, v3
	v_cndmask_b32_e32 v22, 0, v3, vcc_lo
	s_branch .LBB30_3427
.LBB30_3426:
	s_mov_b32 s3, -1
                                        ; implicit-def: $vgpr22
.LBB30_3427:
	s_mov_b32 s8, 0
.LBB30_3428:
	s_delay_alu instid0(SALU_CYCLE_1)
	s_and_b32 vcc_lo, exec_lo, s8
	s_cbranch_vccz .LBB30_3432
; %bb.3429:
	s_cmp_eq_u32 s0, 29
	s_cbranch_scc0 .LBB30_3431
; %bb.3430:
	global_load_b64 v[22:23], v[24:25], off
	s_mov_b32 s3, 0
	s_mov_b32 s7, -1
	s_branch .LBB30_3432
.LBB30_3431:
	s_mov_b32 s3, -1
                                        ; implicit-def: $vgpr22
.LBB30_3432:
	s_mov_b32 s8, 0
.LBB30_3433:
	s_delay_alu instid0(SALU_CYCLE_1)
	s_and_b32 vcc_lo, exec_lo, s8
	s_cbranch_vccz .LBB30_3449
; %bb.3434:
	s_cmp_lt_i32 s0, 27
	s_cbranch_scc1 .LBB30_3437
; %bb.3435:
	s_cmp_gt_i32 s0, 27
	s_cbranch_scc0 .LBB30_3438
; %bb.3436:
	s_wait_loadcnt 0x0
	global_load_b32 v22, v[24:25], off
	s_mov_b32 s7, 0
	s_branch .LBB30_3439
.LBB30_3437:
	s_mov_b32 s7, -1
                                        ; implicit-def: $vgpr22
	s_branch .LBB30_3442
.LBB30_3438:
	s_mov_b32 s7, -1
                                        ; implicit-def: $vgpr22
.LBB30_3439:
	s_delay_alu instid0(SALU_CYCLE_1)
	s_and_not1_b32 vcc_lo, exec_lo, s7
	s_cbranch_vccnz .LBB30_3441
; %bb.3440:
	s_wait_loadcnt 0x0
	global_load_u16 v22, v[24:25], off
.LBB30_3441:
	s_mov_b32 s7, 0
.LBB30_3442:
	s_delay_alu instid0(SALU_CYCLE_1)
	s_and_not1_b32 vcc_lo, exec_lo, s7
	s_cbranch_vccnz .LBB30_3448
; %bb.3443:
	s_wait_loadcnt 0x0
	global_load_u8 v1, v[24:25], off
	s_mov_b32 s8, 0
	s_mov_b32 s7, exec_lo
	s_wait_loadcnt 0x0
	v_cmpx_lt_i16_e32 0x7f, v1
	s_xor_b32 s7, exec_lo, s7
	s_cbranch_execz .LBB30_3460
; %bb.3444:
	v_cmp_ne_u16_e32 vcc_lo, 0x80, v1
	s_and_b32 s8, vcc_lo, exec_lo
	s_and_not1_saveexec_b32 s7, s7
	s_cbranch_execnz .LBB30_3461
.LBB30_3445:
	s_or_b32 exec_lo, exec_lo, s7
	v_mov_b32_e32 v22, 0
	s_and_saveexec_b32 s7, s8
	s_cbranch_execz .LBB30_3447
.LBB30_3446:
	v_and_b32_e32 v3, 0xffff, v1
	s_delay_alu instid0(VALU_DEP_1) | instskip(SKIP_1) | instid1(VALU_DEP_2)
	v_dual_lshlrev_b32 v1, 24, v1 :: v_dual_bitop2_b32 v5, 7, v3 bitop3:0x40
	v_bfe_u32 v11, v3, 3, 4
	v_and_b32_e32 v1, 0x80000000, v1
	s_delay_alu instid0(VALU_DEP_3) | instskip(NEXT) | instid1(VALU_DEP_3)
	v_clz_i32_u32_e32 v7, v5
	v_cmp_eq_u32_e32 vcc_lo, 0, v11
	s_delay_alu instid0(VALU_DEP_2) | instskip(NEXT) | instid1(VALU_DEP_1)
	v_min_u32_e32 v7, 32, v7
	v_subrev_nc_u32_e32 v9, 28, v7
	v_sub_nc_u32_e32 v7, 29, v7
	s_delay_alu instid0(VALU_DEP_2) | instskip(NEXT) | instid1(VALU_DEP_2)
	v_lshlrev_b32_e32 v3, v9, v3
	v_cndmask_b32_e32 v7, v11, v7, vcc_lo
	s_delay_alu instid0(VALU_DEP_2) | instskip(NEXT) | instid1(VALU_DEP_1)
	v_and_b32_e32 v3, 7, v3
	v_cndmask_b32_e32 v3, v5, v3, vcc_lo
	s_delay_alu instid0(VALU_DEP_3) | instskip(NEXT) | instid1(VALU_DEP_2)
	v_lshl_add_u32 v5, v7, 23, 0x3b800000
	v_lshlrev_b32_e32 v3, 20, v3
	s_delay_alu instid0(VALU_DEP_1) | instskip(NEXT) | instid1(VALU_DEP_1)
	v_or3_b32 v1, v1, v5, v3
	v_trunc_f32_e32 v1, v1
	s_delay_alu instid0(VALU_DEP_1) | instskip(NEXT) | instid1(VALU_DEP_1)
	v_mul_f32_e64 v3, 0x2f800000, |v1|
	v_floor_f32_e32 v3, v3
	s_delay_alu instid0(VALU_DEP_1) | instskip(SKIP_1) | instid1(VALU_DEP_2)
	v_fma_f32 v3, 0xcf800000, v3, |v1|
	v_ashrrev_i32_e32 v1, 31, v1
	v_cvt_u32_f32_e32 v3, v3
	s_delay_alu instid0(VALU_DEP_1) | instskip(NEXT) | instid1(VALU_DEP_1)
	v_xor_b32_e32 v3, v3, v1
	v_sub_nc_u32_e32 v22, v3, v1
.LBB30_3447:
	s_or_b32 exec_lo, exec_lo, s7
.LBB30_3448:
	s_mov_b32 s7, -1
.LBB30_3449:
	s_mov_b32 s8, 0
.LBB30_3450:
	s_delay_alu instid0(SALU_CYCLE_1)
	s_and_b32 vcc_lo, exec_lo, s8
	s_cbranch_vccz .LBB30_3481
; %bb.3451:
	s_cmp_gt_i32 s0, 22
	s_cbranch_scc0 .LBB30_3459
; %bb.3452:
	s_cmp_lt_i32 s0, 24
	s_cbranch_scc1 .LBB30_3462
; %bb.3453:
	s_cmp_gt_i32 s0, 24
	s_cbranch_scc0 .LBB30_3463
; %bb.3454:
	s_wait_loadcnt 0x0
	global_load_u8 v1, v[24:25], off
	s_mov_b32 s7, 0
	s_mov_b32 s6, exec_lo
	s_wait_loadcnt 0x0
	v_cmpx_lt_i16_e32 0x7f, v1
	s_xor_b32 s6, exec_lo, s6
	s_cbranch_execz .LBB30_3475
; %bb.3455:
	v_cmp_ne_u16_e32 vcc_lo, 0x80, v1
	s_and_b32 s7, vcc_lo, exec_lo
	s_and_not1_saveexec_b32 s6, s6
	s_cbranch_execnz .LBB30_3476
.LBB30_3456:
	s_or_b32 exec_lo, exec_lo, s6
	v_mov_b32_e32 v22, 0
	s_and_saveexec_b32 s6, s7
	s_cbranch_execz .LBB30_3458
.LBB30_3457:
	v_and_b32_e32 v3, 0xffff, v1
	s_delay_alu instid0(VALU_DEP_1) | instskip(SKIP_1) | instid1(VALU_DEP_2)
	v_dual_lshlrev_b32 v1, 24, v1 :: v_dual_bitop2_b32 v5, 3, v3 bitop3:0x40
	v_bfe_u32 v11, v3, 2, 5
	v_and_b32_e32 v1, 0x80000000, v1
	s_delay_alu instid0(VALU_DEP_3) | instskip(NEXT) | instid1(VALU_DEP_3)
	v_clz_i32_u32_e32 v7, v5
	v_cmp_eq_u32_e32 vcc_lo, 0, v11
	s_delay_alu instid0(VALU_DEP_2) | instskip(NEXT) | instid1(VALU_DEP_1)
	v_min_u32_e32 v7, 32, v7
	v_subrev_nc_u32_e32 v9, 29, v7
	v_sub_nc_u32_e32 v7, 30, v7
	s_delay_alu instid0(VALU_DEP_2) | instskip(NEXT) | instid1(VALU_DEP_2)
	v_lshlrev_b32_e32 v3, v9, v3
	v_cndmask_b32_e32 v7, v11, v7, vcc_lo
	s_delay_alu instid0(VALU_DEP_2) | instskip(NEXT) | instid1(VALU_DEP_1)
	v_and_b32_e32 v3, 3, v3
	v_cndmask_b32_e32 v3, v5, v3, vcc_lo
	s_delay_alu instid0(VALU_DEP_3) | instskip(NEXT) | instid1(VALU_DEP_2)
	v_lshl_add_u32 v5, v7, 23, 0x37800000
	v_lshlrev_b32_e32 v3, 21, v3
	s_delay_alu instid0(VALU_DEP_1) | instskip(NEXT) | instid1(VALU_DEP_1)
	v_or3_b32 v1, v1, v5, v3
	v_trunc_f32_e32 v1, v1
	s_delay_alu instid0(VALU_DEP_1) | instskip(NEXT) | instid1(VALU_DEP_1)
	v_mul_f32_e64 v3, 0x2f800000, |v1|
	v_floor_f32_e32 v3, v3
	s_delay_alu instid0(VALU_DEP_1) | instskip(SKIP_1) | instid1(VALU_DEP_2)
	v_fma_f32 v3, 0xcf800000, v3, |v1|
	v_ashrrev_i32_e32 v1, 31, v1
	v_cvt_u32_f32_e32 v3, v3
	s_delay_alu instid0(VALU_DEP_1) | instskip(NEXT) | instid1(VALU_DEP_1)
	v_xor_b32_e32 v3, v3, v1
	v_sub_nc_u32_e32 v22, v3, v1
.LBB30_3458:
	s_or_b32 exec_lo, exec_lo, s6
	s_mov_b32 s6, 0
	s_branch .LBB30_3464
.LBB30_3459:
	s_mov_b32 s6, -1
                                        ; implicit-def: $vgpr22
	s_branch .LBB30_3470
.LBB30_3460:
	s_and_not1_saveexec_b32 s7, s7
	s_cbranch_execz .LBB30_3445
.LBB30_3461:
	v_cmp_ne_u16_e32 vcc_lo, 0, v1
	s_and_not1_b32 s8, s8, exec_lo
	s_and_b32 s9, vcc_lo, exec_lo
	s_delay_alu instid0(SALU_CYCLE_1)
	s_or_b32 s8, s8, s9
	s_or_b32 exec_lo, exec_lo, s7
	v_mov_b32_e32 v22, 0
	s_and_saveexec_b32 s7, s8
	s_cbranch_execnz .LBB30_3446
	s_branch .LBB30_3447
.LBB30_3462:
	s_mov_b32 s6, -1
                                        ; implicit-def: $vgpr22
	s_branch .LBB30_3467
.LBB30_3463:
	s_mov_b32 s6, -1
                                        ; implicit-def: $vgpr22
.LBB30_3464:
	s_delay_alu instid0(SALU_CYCLE_1)
	s_and_b32 vcc_lo, exec_lo, s6
	s_cbranch_vccz .LBB30_3466
; %bb.3465:
	s_wait_loadcnt 0x0
	global_load_u8 v1, v[24:25], off
	s_wait_loadcnt 0x0
	v_lshlrev_b32_e32 v1, 24, v1
	s_delay_alu instid0(VALU_DEP_1) | instskip(NEXT) | instid1(VALU_DEP_1)
	v_and_b32_e32 v3, 0x7f000000, v1
	v_clz_i32_u32_e32 v5, v3
	v_add_nc_u32_e32 v9, 0x1000000, v3
	v_cmp_ne_u32_e32 vcc_lo, 0, v3
	s_delay_alu instid0(VALU_DEP_3) | instskip(NEXT) | instid1(VALU_DEP_1)
	v_min_u32_e32 v5, 32, v5
	v_sub_nc_u32_e64 v5, v5, 4 clamp
	s_delay_alu instid0(VALU_DEP_1) | instskip(NEXT) | instid1(VALU_DEP_1)
	v_dual_lshlrev_b32 v7, v5, v3 :: v_dual_lshlrev_b32 v5, 23, v5
	v_lshrrev_b32_e32 v7, 4, v7
	s_delay_alu instid0(VALU_DEP_1) | instskip(SKIP_1) | instid1(VALU_DEP_2)
	v_sub_nc_u32_e32 v5, v7, v5
	v_ashrrev_i32_e32 v7, 8, v9
	v_add_nc_u32_e32 v5, 0x3c000000, v5
	s_delay_alu instid0(VALU_DEP_1) | instskip(NEXT) | instid1(VALU_DEP_1)
	v_and_or_b32 v5, 0x7f800000, v7, v5
	v_cndmask_b32_e32 v3, 0, v5, vcc_lo
	s_delay_alu instid0(VALU_DEP_1) | instskip(NEXT) | instid1(VALU_DEP_1)
	v_and_or_b32 v1, 0x80000000, v1, v3
	v_trunc_f32_e32 v1, v1
	s_delay_alu instid0(VALU_DEP_1) | instskip(NEXT) | instid1(VALU_DEP_1)
	v_mul_f32_e64 v3, 0x2f800000, |v1|
	v_floor_f32_e32 v3, v3
	s_delay_alu instid0(VALU_DEP_1) | instskip(SKIP_1) | instid1(VALU_DEP_2)
	v_fma_f32 v3, 0xcf800000, v3, |v1|
	v_ashrrev_i32_e32 v1, 31, v1
	v_cvt_u32_f32_e32 v3, v3
	s_delay_alu instid0(VALU_DEP_1) | instskip(NEXT) | instid1(VALU_DEP_1)
	v_xor_b32_e32 v3, v3, v1
	v_sub_nc_u32_e32 v22, v3, v1
.LBB30_3466:
	s_mov_b32 s6, 0
.LBB30_3467:
	s_delay_alu instid0(SALU_CYCLE_1)
	s_and_not1_b32 vcc_lo, exec_lo, s6
	s_cbranch_vccnz .LBB30_3469
; %bb.3468:
	s_wait_loadcnt 0x0
	global_load_u8 v1, v[24:25], off
	s_wait_loadcnt 0x0
	v_lshlrev_b32_e32 v3, 25, v1
	v_lshlrev_b16 v1, 8, v1
	s_delay_alu instid0(VALU_DEP_1) | instskip(SKIP_1) | instid1(VALU_DEP_2)
	v_and_or_b32 v7, 0x7f00, v1, 0.5
	v_bfe_i32 v1, v1, 0, 16
	v_add_f32_e32 v7, -0.5, v7
	v_lshrrev_b32_e32 v5, 4, v3
	v_cmp_gt_u32_e32 vcc_lo, 0x8000000, v3
	s_delay_alu instid0(VALU_DEP_2) | instskip(NEXT) | instid1(VALU_DEP_1)
	v_or_b32_e32 v5, 0x70000000, v5
	v_mul_f32_e32 v5, 0x7800000, v5
	s_delay_alu instid0(VALU_DEP_1) | instskip(NEXT) | instid1(VALU_DEP_1)
	v_cndmask_b32_e32 v3, v5, v7, vcc_lo
	v_and_or_b32 v1, 0x80000000, v1, v3
	s_delay_alu instid0(VALU_DEP_1) | instskip(NEXT) | instid1(VALU_DEP_1)
	v_trunc_f32_e32 v1, v1
	v_mul_f32_e64 v3, 0x2f800000, |v1|
	s_delay_alu instid0(VALU_DEP_1) | instskip(NEXT) | instid1(VALU_DEP_1)
	v_floor_f32_e32 v3, v3
	v_fma_f32 v3, 0xcf800000, v3, |v1|
	v_ashrrev_i32_e32 v1, 31, v1
	s_delay_alu instid0(VALU_DEP_2) | instskip(NEXT) | instid1(VALU_DEP_1)
	v_cvt_u32_f32_e32 v3, v3
	v_xor_b32_e32 v3, v3, v1
	s_delay_alu instid0(VALU_DEP_1)
	v_sub_nc_u32_e32 v22, v3, v1
.LBB30_3469:
	s_mov_b32 s6, 0
	s_mov_b32 s7, -1
.LBB30_3470:
	s_and_not1_b32 vcc_lo, exec_lo, s6
	s_mov_b32 s6, 0
	s_cbranch_vccnz .LBB30_3481
; %bb.3471:
	s_cmp_gt_i32 s0, 14
	s_cbranch_scc0 .LBB30_3474
; %bb.3472:
	s_cmp_eq_u32 s0, 15
	s_cbranch_scc0 .LBB30_3477
; %bb.3473:
	s_wait_loadcnt 0x0
	global_load_u16 v1, v[24:25], off
	s_mov_b32 s3, 0
	s_mov_b32 s7, -1
	s_wait_loadcnt 0x0
	v_lshlrev_b32_e32 v1, 16, v1
	s_delay_alu instid0(VALU_DEP_1) | instskip(NEXT) | instid1(VALU_DEP_1)
	v_trunc_f32_e32 v1, v1
	v_mul_f32_e64 v3, 0x2f800000, |v1|
	s_delay_alu instid0(VALU_DEP_1) | instskip(NEXT) | instid1(VALU_DEP_1)
	v_floor_f32_e32 v3, v3
	v_fma_f32 v3, 0xcf800000, v3, |v1|
	v_ashrrev_i32_e32 v1, 31, v1
	s_delay_alu instid0(VALU_DEP_2) | instskip(NEXT) | instid1(VALU_DEP_1)
	v_cvt_u32_f32_e32 v3, v3
	v_xor_b32_e32 v3, v3, v1
	s_delay_alu instid0(VALU_DEP_1)
	v_sub_nc_u32_e32 v22, v3, v1
	s_branch .LBB30_3479
.LBB30_3474:
	s_mov_b32 s6, -1
	s_branch .LBB30_3478
.LBB30_3475:
	s_and_not1_saveexec_b32 s6, s6
	s_cbranch_execz .LBB30_3456
.LBB30_3476:
	v_cmp_ne_u16_e32 vcc_lo, 0, v1
	s_and_not1_b32 s7, s7, exec_lo
	s_and_b32 s8, vcc_lo, exec_lo
	s_delay_alu instid0(SALU_CYCLE_1)
	s_or_b32 s7, s7, s8
	s_or_b32 exec_lo, exec_lo, s6
	v_mov_b32_e32 v22, 0
	s_and_saveexec_b32 s6, s7
	s_cbranch_execnz .LBB30_3457
	s_branch .LBB30_3458
.LBB30_3477:
	s_mov_b32 s3, -1
.LBB30_3478:
                                        ; implicit-def: $vgpr22
.LBB30_3479:
	s_and_b32 vcc_lo, exec_lo, s6
	s_mov_b32 s6, 0
	s_cbranch_vccz .LBB30_3481
; %bb.3480:
	s_cmp_lg_u32 s0, 11
	s_mov_b32 s6, -1
	s_cselect_b32 s3, -1, 0
.LBB30_3481:
	s_delay_alu instid0(SALU_CYCLE_1)
	s_and_b32 vcc_lo, exec_lo, s3
	s_cbranch_vccnz .LBB30_4014
; %bb.3482:
	s_and_not1_b32 vcc_lo, exec_lo, s6
	s_cbranch_vccnz .LBB30_3484
.LBB30_3483:
	s_wait_loadcnt 0x0
	global_load_u8 v1, v[24:25], off
	s_mov_b32 s7, -1
	s_wait_loadcnt 0x0
	v_cmp_ne_u16_e32 vcc_lo, 0, v1
	v_cndmask_b32_e64 v22, 0, 1, vcc_lo
.LBB30_3484:
	s_mov_b32 s0, 0
.LBB30_3485:
	s_delay_alu instid0(SALU_CYCLE_1)
	s_and_b32 vcc_lo, exec_lo, s0
	s_cbranch_vccz .LBB30_3534
; %bb.3486:
	s_and_b32 s0, 0xffff, s17
	s_delay_alu instid0(SALU_CYCLE_1)
	s_cmp_lt_i32 s0, 5
	s_cbranch_scc1 .LBB30_3491
; %bb.3487:
	s_cmp_lt_i32 s0, 8
	s_cbranch_scc1 .LBB30_3492
; %bb.3488:
	;; [unrolled: 3-line block ×3, first 2 shown]
	s_cmp_gt_i32 s0, 9
	s_cbranch_scc0 .LBB30_3494
; %bb.3490:
	s_wait_loadcnt 0x0
	global_load_b64 v[22:23], v[24:25], off
	s_mov_b32 s3, 0
	s_wait_loadcnt 0x0
	v_trunc_f64_e32 v[22:23], v[22:23]
	s_delay_alu instid0(VALU_DEP_1) | instskip(NEXT) | instid1(VALU_DEP_1)
	v_ldexp_f64 v[28:29], v[22:23], 0xffffffe0
	v_floor_f64_e32 v[28:29], v[28:29]
	s_delay_alu instid0(VALU_DEP_1) | instskip(NEXT) | instid1(VALU_DEP_1)
	v_fmamk_f64 v[22:23], v[28:29], 0xc1f00000, v[22:23]
	v_cvt_u32_f64_e32 v22, v[22:23]
	s_branch .LBB30_3495
.LBB30_3491:
	s_mov_b32 s3, -1
                                        ; implicit-def: $vgpr22
	s_branch .LBB30_3513
.LBB30_3492:
	s_mov_b32 s3, -1
                                        ; implicit-def: $vgpr22
	s_branch .LBB30_3501
.LBB30_3493:
	s_mov_b32 s3, -1
                                        ; implicit-def: $vgpr22
	s_branch .LBB30_3498
.LBB30_3494:
	s_mov_b32 s3, -1
                                        ; implicit-def: $vgpr22
.LBB30_3495:
	s_delay_alu instid0(SALU_CYCLE_1)
	s_and_not1_b32 vcc_lo, exec_lo, s3
	s_cbranch_vccnz .LBB30_3497
; %bb.3496:
	s_wait_loadcnt 0x0
	global_load_b32 v1, v[24:25], off
	s_wait_loadcnt 0x0
	v_trunc_f32_e32 v1, v1
	s_delay_alu instid0(VALU_DEP_1) | instskip(NEXT) | instid1(VALU_DEP_1)
	v_mul_f32_e64 v3, 0x2f800000, |v1|
	v_floor_f32_e32 v3, v3
	s_delay_alu instid0(VALU_DEP_1) | instskip(SKIP_1) | instid1(VALU_DEP_2)
	v_fma_f32 v3, 0xcf800000, v3, |v1|
	v_ashrrev_i32_e32 v1, 31, v1
	v_cvt_u32_f32_e32 v3, v3
	s_delay_alu instid0(VALU_DEP_1) | instskip(NEXT) | instid1(VALU_DEP_1)
	v_xor_b32_e32 v3, v3, v1
	v_sub_nc_u32_e32 v22, v3, v1
.LBB30_3497:
	s_mov_b32 s3, 0
.LBB30_3498:
	s_delay_alu instid0(SALU_CYCLE_1)
	s_and_not1_b32 vcc_lo, exec_lo, s3
	s_cbranch_vccnz .LBB30_3500
; %bb.3499:
	s_wait_loadcnt 0x0
	global_load_b32 v1, v[24:25], off
	s_wait_loadcnt 0x0
	v_cvt_f32_f16_e32 v1, v1
	s_delay_alu instid0(VALU_DEP_1)
	v_cvt_i32_f32_e32 v22, v1
.LBB30_3500:
	s_mov_b32 s3, 0
.LBB30_3501:
	s_delay_alu instid0(SALU_CYCLE_1)
	s_and_not1_b32 vcc_lo, exec_lo, s3
	s_cbranch_vccnz .LBB30_3512
; %bb.3502:
	s_cmp_lt_i32 s0, 6
	s_cbranch_scc1 .LBB30_3505
; %bb.3503:
	s_cmp_gt_i32 s0, 6
	s_cbranch_scc0 .LBB30_3506
; %bb.3504:
	s_wait_loadcnt 0x0
	global_load_b64 v[22:23], v[24:25], off
	s_mov_b32 s3, 0
	s_wait_loadcnt 0x0
	v_trunc_f64_e32 v[22:23], v[22:23]
	s_delay_alu instid0(VALU_DEP_1) | instskip(NEXT) | instid1(VALU_DEP_1)
	v_ldexp_f64 v[28:29], v[22:23], 0xffffffe0
	v_floor_f64_e32 v[28:29], v[28:29]
	s_delay_alu instid0(VALU_DEP_1) | instskip(NEXT) | instid1(VALU_DEP_1)
	v_fmamk_f64 v[22:23], v[28:29], 0xc1f00000, v[22:23]
	v_cvt_u32_f64_e32 v22, v[22:23]
	s_branch .LBB30_3507
.LBB30_3505:
	s_mov_b32 s3, -1
                                        ; implicit-def: $vgpr22
	s_branch .LBB30_3510
.LBB30_3506:
	s_mov_b32 s3, -1
                                        ; implicit-def: $vgpr22
.LBB30_3507:
	s_delay_alu instid0(SALU_CYCLE_1)
	s_and_not1_b32 vcc_lo, exec_lo, s3
	s_cbranch_vccnz .LBB30_3509
; %bb.3508:
	s_wait_loadcnt 0x0
	global_load_b32 v1, v[24:25], off
	s_wait_loadcnt 0x0
	v_trunc_f32_e32 v1, v1
	s_delay_alu instid0(VALU_DEP_1) | instskip(NEXT) | instid1(VALU_DEP_1)
	v_mul_f32_e64 v3, 0x2f800000, |v1|
	v_floor_f32_e32 v3, v3
	s_delay_alu instid0(VALU_DEP_1) | instskip(SKIP_1) | instid1(VALU_DEP_2)
	v_fma_f32 v3, 0xcf800000, v3, |v1|
	v_ashrrev_i32_e32 v1, 31, v1
	v_cvt_u32_f32_e32 v3, v3
	s_delay_alu instid0(VALU_DEP_1) | instskip(NEXT) | instid1(VALU_DEP_1)
	v_xor_b32_e32 v3, v3, v1
	v_sub_nc_u32_e32 v22, v3, v1
.LBB30_3509:
	s_mov_b32 s3, 0
.LBB30_3510:
	s_delay_alu instid0(SALU_CYCLE_1)
	s_and_not1_b32 vcc_lo, exec_lo, s3
	s_cbranch_vccnz .LBB30_3512
; %bb.3511:
	s_wait_loadcnt 0x0
	global_load_u16 v1, v[24:25], off
	s_wait_loadcnt 0x0
	v_cvt_f32_f16_e32 v1, v1
	s_delay_alu instid0(VALU_DEP_1)
	v_cvt_i32_f32_e32 v22, v1
.LBB30_3512:
	s_mov_b32 s3, 0
.LBB30_3513:
	s_delay_alu instid0(SALU_CYCLE_1)
	s_and_not1_b32 vcc_lo, exec_lo, s3
	s_cbranch_vccnz .LBB30_3533
; %bb.3514:
	s_cmp_lt_i32 s0, 2
	s_cbranch_scc1 .LBB30_3518
; %bb.3515:
	s_cmp_lt_i32 s0, 3
	s_cbranch_scc1 .LBB30_3519
; %bb.3516:
	s_cmp_gt_i32 s0, 3
	s_cbranch_scc0 .LBB30_3520
; %bb.3517:
	s_wait_loadcnt 0x0
	global_load_b64 v[22:23], v[24:25], off
	s_mov_b32 s3, 0
	s_branch .LBB30_3521
.LBB30_3518:
	s_mov_b32 s3, -1
                                        ; implicit-def: $vgpr22
	s_branch .LBB30_3527
.LBB30_3519:
	s_mov_b32 s3, -1
                                        ; implicit-def: $vgpr22
	s_branch .LBB30_3524
.LBB30_3520:
	s_mov_b32 s3, -1
                                        ; implicit-def: $vgpr22
.LBB30_3521:
	s_delay_alu instid0(SALU_CYCLE_1)
	s_and_not1_b32 vcc_lo, exec_lo, s3
	s_cbranch_vccnz .LBB30_3523
; %bb.3522:
	s_wait_loadcnt 0x0
	global_load_b32 v22, v[24:25], off
.LBB30_3523:
	s_mov_b32 s3, 0
.LBB30_3524:
	s_delay_alu instid0(SALU_CYCLE_1)
	s_and_not1_b32 vcc_lo, exec_lo, s3
	s_cbranch_vccnz .LBB30_3526
; %bb.3525:
	s_wait_loadcnt 0x0
	global_load_u16 v22, v[24:25], off
.LBB30_3526:
	s_mov_b32 s3, 0
.LBB30_3527:
	s_delay_alu instid0(SALU_CYCLE_1)
	s_and_not1_b32 vcc_lo, exec_lo, s3
	s_cbranch_vccnz .LBB30_3533
; %bb.3528:
	s_cmp_gt_i32 s0, 0
	s_mov_b32 s0, 0
	s_cbranch_scc0 .LBB30_3530
; %bb.3529:
	s_wait_loadcnt 0x0
	global_load_u8 v22, v[24:25], off
	s_branch .LBB30_3531
.LBB30_3530:
	s_mov_b32 s0, -1
                                        ; implicit-def: $vgpr22
.LBB30_3531:
	s_delay_alu instid0(SALU_CYCLE_1)
	s_and_not1_b32 vcc_lo, exec_lo, s0
	s_cbranch_vccnz .LBB30_3533
; %bb.3532:
	s_wait_loadcnt 0x0
	global_load_u8 v22, v[24:25], off
.LBB30_3533:
	s_mov_b32 s7, -1
.LBB30_3534:
	s_delay_alu instid0(SALU_CYCLE_1)
	s_and_not1_b32 vcc_lo, exec_lo, s7
	s_cbranch_vccnz .LBB30_3968
; %bb.3535:
	s_wait_xcnt 0x0
	v_mul_lo_u32 v24, s12, v26
	s_wait_loadcnt 0x0
	v_mul_lo_u16 v3, v0, s2
	v_mul_lo_u16 v2, v2, s1
	s_and_b32 s22, s18, 0xff
	s_delay_alu instid0(SALU_CYCLE_1) | instskip(NEXT) | instid1(VALU_DEP_1)
	s_cmp_lt_i32 s22, 11
	v_mad_u16 v2, v2, v4, v3
	s_delay_alu instid0(VALU_DEP_4) | instskip(NEXT) | instid1(VALU_DEP_1)
	v_ashrrev_i32_e32 v25, 31, v24
	v_add_nc_u64_e32 v[0:1], s[4:5], v[24:25]
	s_cbranch_scc1 .LBB30_3613
; %bb.3536:
	s_and_b32 s3, 0xffff, s22
	s_mov_b32 s8, -1
	s_mov_b32 s6, 0
	s_cmp_gt_i32 s3, 25
	s_mov_b32 s7, 0
	s_mov_b32 s0, 0
	s_cbranch_scc0 .LBB30_3569
; %bb.3537:
	s_cmp_gt_i32 s3, 28
	s_cbranch_scc0 .LBB30_3552
; %bb.3538:
	s_cmp_gt_i32 s3, 43
	;; [unrolled: 3-line block ×3, first 2 shown]
	s_cbranch_scc0 .LBB30_3542
; %bb.3540:
	s_mov_b32 s0, -1
	s_mov_b32 s8, 0
	s_cmp_eq_u32 s3, 46
	s_cbranch_scc0 .LBB30_3542
; %bb.3541:
	v_cvt_f32_ubyte0_e32 v3, v2
	s_mov_b32 s0, 0
	s_mov_b32 s7, -1
	s_delay_alu instid0(VALU_DEP_1) | instskip(NEXT) | instid1(VALU_DEP_1)
	v_bfe_u32 v4, v3, 16, 1
	v_add3_u32 v3, v3, v4, 0x7fff
	s_delay_alu instid0(VALU_DEP_1)
	v_lshrrev_b32_e32 v3, 16, v3
	global_store_b32 v[0:1], v3, off
.LBB30_3542:
	s_and_b32 vcc_lo, exec_lo, s8
	s_cbranch_vccz .LBB30_3547
; %bb.3543:
	s_cmp_eq_u32 s3, 44
	s_mov_b32 s0, -1
	s_cbranch_scc0 .LBB30_3547
; %bb.3544:
	v_cvt_f32_ubyte0_e32 v5, v2
	s_mov_b32 s7, exec_lo
	s_wait_xcnt 0x0
	s_delay_alu instid0(VALU_DEP_1) | instskip(NEXT) | instid1(VALU_DEP_1)
	v_dual_mov_b32 v4, 0xff :: v_dual_lshrrev_b32 v3, 23, v5
	v_cmpx_ne_u32_e32 0xff, v3
; %bb.3545:
	v_and_b32_e32 v4, 0x400000, v5
	v_and_or_b32 v5, 0x3fffff, v5, v3
	s_delay_alu instid0(VALU_DEP_2) | instskip(NEXT) | instid1(VALU_DEP_2)
	v_cmp_ne_u32_e32 vcc_lo, 0, v4
	v_cmp_ne_u32_e64 s0, 0, v5
	s_and_b32 s0, vcc_lo, s0
	s_delay_alu instid0(SALU_CYCLE_1) | instskip(NEXT) | instid1(VALU_DEP_1)
	v_cndmask_b32_e64 v4, 0, 1, s0
	v_add_nc_u32_e32 v4, v3, v4
; %bb.3546:
	s_or_b32 exec_lo, exec_lo, s7
	s_mov_b32 s0, 0
	s_mov_b32 s7, -1
	global_store_b8 v[0:1], v4, off
.LBB30_3547:
	s_mov_b32 s8, 0
.LBB30_3548:
	s_delay_alu instid0(SALU_CYCLE_1)
	s_and_b32 vcc_lo, exec_lo, s8
	s_cbranch_vccz .LBB30_3551
; %bb.3549:
	s_cmp_eq_u32 s3, 29
	s_mov_b32 s0, -1
	s_cbranch_scc0 .LBB30_3551
; %bb.3550:
	s_wait_xcnt 0x0
	v_and_b32_e32 v4, 0xff, v2
	v_mov_b32_e32 v5, 0
	s_mov_b32 s0, 0
	s_mov_b32 s7, -1
	global_store_b64 v[0:1], v[4:5], off
.LBB30_3551:
	s_mov_b32 s8, 0
.LBB30_3552:
	s_delay_alu instid0(SALU_CYCLE_1)
	s_and_b32 vcc_lo, exec_lo, s8
	s_cbranch_vccz .LBB30_3568
; %bb.3553:
	s_cmp_lt_i32 s3, 27
	s_mov_b32 s7, -1
	s_cbranch_scc1 .LBB30_3559
; %bb.3554:
	s_cmp_gt_i32 s3, 27
	s_cbranch_scc0 .LBB30_3556
; %bb.3555:
	s_wait_xcnt 0x0
	v_and_b32_e32 v3, 0xff, v2
	s_mov_b32 s7, 0
	global_store_b32 v[0:1], v3, off
.LBB30_3556:
	s_and_not1_b32 vcc_lo, exec_lo, s7
	s_cbranch_vccnz .LBB30_3558
; %bb.3557:
	s_wait_xcnt 0x0
	v_and_b32_e32 v3, 0xff, v2
	global_store_b16 v[0:1], v3, off
.LBB30_3558:
	s_mov_b32 s7, 0
.LBB30_3559:
	s_delay_alu instid0(SALU_CYCLE_1)
	s_and_not1_b32 vcc_lo, exec_lo, s7
	s_cbranch_vccnz .LBB30_3567
; %bb.3560:
	s_wait_xcnt 0x0
	v_cvt_f32_ubyte0_e32 v4, v2
	v_mov_b32_e32 v5, 0x80
	s_mov_b32 s7, exec_lo
	s_delay_alu instid0(VALU_DEP_2)
	v_cmpx_gt_u32_e32 0x43800000, v4
	s_cbranch_execz .LBB30_3566
; %bb.3561:
	s_mov_b32 s8, 0
	s_mov_b32 s9, exec_lo
                                        ; implicit-def: $vgpr3
	v_cmpx_lt_u32_e32 0x3bffffff, v4
	s_xor_b32 s9, exec_lo, s9
	s_cbranch_execz .LBB30_4015
; %bb.3562:
	v_bfe_u32 v3, v4, 20, 1
	s_mov_b32 s8, exec_lo
	s_delay_alu instid0(VALU_DEP_1) | instskip(NEXT) | instid1(VALU_DEP_1)
	v_add3_u32 v3, v4, v3, 0x487ffff
                                        ; implicit-def: $vgpr4
	v_lshrrev_b32_e32 v3, 20, v3
	s_and_not1_saveexec_b32 s9, s9
	s_cbranch_execnz .LBB30_4016
.LBB30_3563:
	s_or_b32 exec_lo, exec_lo, s9
	v_mov_b32_e32 v5, 0
	s_and_saveexec_b32 s9, s8
.LBB30_3564:
	v_mov_b32_e32 v5, v3
.LBB30_3565:
	s_or_b32 exec_lo, exec_lo, s9
.LBB30_3566:
	s_delay_alu instid0(SALU_CYCLE_1)
	s_or_b32 exec_lo, exec_lo, s7
	global_store_b8 v[0:1], v5, off
.LBB30_3567:
	s_mov_b32 s7, -1
.LBB30_3568:
	s_mov_b32 s8, 0
.LBB30_3569:
	s_delay_alu instid0(SALU_CYCLE_1)
	s_and_b32 vcc_lo, exec_lo, s8
	s_cbranch_vccz .LBB30_3609
; %bb.3570:
	s_cmp_gt_i32 s3, 22
	s_mov_b32 s6, -1
	s_cbranch_scc0 .LBB30_3602
; %bb.3571:
	s_cmp_lt_i32 s3, 24
	s_cbranch_scc1 .LBB30_3591
; %bb.3572:
	s_cmp_gt_i32 s3, 24
	s_cbranch_scc0 .LBB30_3580
; %bb.3573:
	s_wait_xcnt 0x0
	v_cvt_f32_ubyte0_e32 v4, v2
	v_mov_b32_e32 v5, 0x80
	s_mov_b32 s6, exec_lo
	s_delay_alu instid0(VALU_DEP_2)
	v_cmpx_gt_u32_e32 0x47800000, v4
	s_cbranch_execz .LBB30_3579
; %bb.3574:
	s_mov_b32 s7, 0
	s_mov_b32 s8, exec_lo
                                        ; implicit-def: $vgpr3
	v_cmpx_lt_u32_e32 0x37ffffff, v4
	s_xor_b32 s8, exec_lo, s8
	s_cbranch_execz .LBB30_4018
; %bb.3575:
	v_bfe_u32 v3, v4, 21, 1
	s_mov_b32 s7, exec_lo
	s_delay_alu instid0(VALU_DEP_1) | instskip(NEXT) | instid1(VALU_DEP_1)
	v_add3_u32 v3, v4, v3, 0x88fffff
                                        ; implicit-def: $vgpr4
	v_lshrrev_b32_e32 v3, 21, v3
	s_and_not1_saveexec_b32 s8, s8
	s_cbranch_execnz .LBB30_4019
.LBB30_3576:
	s_or_b32 exec_lo, exec_lo, s8
	v_mov_b32_e32 v5, 0
	s_and_saveexec_b32 s8, s7
.LBB30_3577:
	v_mov_b32_e32 v5, v3
.LBB30_3578:
	s_or_b32 exec_lo, exec_lo, s8
.LBB30_3579:
	s_delay_alu instid0(SALU_CYCLE_1)
	s_or_b32 exec_lo, exec_lo, s6
	s_mov_b32 s6, 0
	global_store_b8 v[0:1], v5, off
.LBB30_3580:
	s_and_b32 vcc_lo, exec_lo, s6
	s_cbranch_vccz .LBB30_3590
; %bb.3581:
	s_wait_xcnt 0x0
	v_cvt_f32_ubyte0_e32 v4, v2
	s_mov_b32 s6, exec_lo
                                        ; implicit-def: $vgpr3
	s_delay_alu instid0(VALU_DEP_1)
	v_cmpx_gt_u32_e32 0x43f00000, v4
	s_xor_b32 s6, exec_lo, s6
	s_cbranch_execz .LBB30_3587
; %bb.3582:
	s_mov_b32 s7, exec_lo
                                        ; implicit-def: $vgpr3
	v_cmpx_lt_u32_e32 0x3c7fffff, v4
	s_xor_b32 s7, exec_lo, s7
; %bb.3583:
	v_bfe_u32 v3, v4, 20, 1
	s_delay_alu instid0(VALU_DEP_1) | instskip(NEXT) | instid1(VALU_DEP_1)
	v_add3_u32 v3, v4, v3, 0x407ffff
	v_and_b32_e32 v4, 0xff00000, v3
	v_lshrrev_b32_e32 v3, 20, v3
	s_delay_alu instid0(VALU_DEP_2) | instskip(NEXT) | instid1(VALU_DEP_2)
	v_cmp_ne_u32_e32 vcc_lo, 0x7f00000, v4
                                        ; implicit-def: $vgpr4
	v_cndmask_b32_e32 v3, 0x7e, v3, vcc_lo
; %bb.3584:
	s_and_not1_saveexec_b32 s7, s7
; %bb.3585:
	v_add_f32_e32 v3, 0x46800000, v4
; %bb.3586:
	s_or_b32 exec_lo, exec_lo, s7
                                        ; implicit-def: $vgpr4
.LBB30_3587:
	s_and_not1_saveexec_b32 s6, s6
; %bb.3588:
	v_mov_b32_e32 v3, 0x7f
	v_cmp_lt_u32_e32 vcc_lo, 0x7f800000, v4
	s_delay_alu instid0(VALU_DEP_2)
	v_cndmask_b32_e32 v3, 0x7e, v3, vcc_lo
; %bb.3589:
	s_or_b32 exec_lo, exec_lo, s6
	global_store_b8 v[0:1], v3, off
.LBB30_3590:
	s_mov_b32 s6, 0
.LBB30_3591:
	s_delay_alu instid0(SALU_CYCLE_1)
	s_and_not1_b32 vcc_lo, exec_lo, s6
	s_cbranch_vccnz .LBB30_3601
; %bb.3592:
	s_wait_xcnt 0x0
	v_cvt_f32_ubyte0_e32 v4, v2
	s_mov_b32 s6, exec_lo
                                        ; implicit-def: $vgpr3
	s_delay_alu instid0(VALU_DEP_1)
	v_cmpx_gt_u32_e32 0x47800000, v4
	s_xor_b32 s6, exec_lo, s6
	s_cbranch_execz .LBB30_3598
; %bb.3593:
	s_mov_b32 s7, exec_lo
                                        ; implicit-def: $vgpr3
	v_cmpx_lt_u32_e32 0x387fffff, v4
	s_xor_b32 s7, exec_lo, s7
; %bb.3594:
	v_bfe_u32 v3, v4, 21, 1
	s_delay_alu instid0(VALU_DEP_1) | instskip(NEXT) | instid1(VALU_DEP_1)
	v_add3_u32 v3, v4, v3, 0x80fffff
                                        ; implicit-def: $vgpr4
	v_lshrrev_b32_e32 v3, 21, v3
; %bb.3595:
	s_and_not1_saveexec_b32 s7, s7
; %bb.3596:
	v_add_f32_e32 v3, 0x43000000, v4
; %bb.3597:
	s_or_b32 exec_lo, exec_lo, s7
                                        ; implicit-def: $vgpr4
.LBB30_3598:
	s_and_not1_saveexec_b32 s6, s6
; %bb.3599:
	v_mov_b32_e32 v3, 0x7f
	v_cmp_lt_u32_e32 vcc_lo, 0x7f800000, v4
	s_delay_alu instid0(VALU_DEP_2)
	v_cndmask_b32_e32 v3, 0x7c, v3, vcc_lo
; %bb.3600:
	s_or_b32 exec_lo, exec_lo, s6
	global_store_b8 v[0:1], v3, off
.LBB30_3601:
	s_mov_b32 s6, 0
	s_mov_b32 s7, -1
.LBB30_3602:
	s_and_not1_b32 vcc_lo, exec_lo, s6
	s_mov_b32 s6, 0
	s_cbranch_vccnz .LBB30_3609
; %bb.3603:
	s_cmp_gt_i32 s3, 14
	s_mov_b32 s6, -1
	s_cbranch_scc0 .LBB30_3607
; %bb.3604:
	s_cmp_eq_u32 s3, 15
	s_mov_b32 s0, -1
	s_cbranch_scc0 .LBB30_3606
; %bb.3605:
	s_wait_xcnt 0x0
	v_cvt_f32_ubyte0_e32 v3, v2
	s_mov_b32 s0, 0
	s_mov_b32 s7, -1
	s_delay_alu instid0(VALU_DEP_1) | instskip(NEXT) | instid1(VALU_DEP_1)
	v_bfe_u32 v4, v3, 16, 1
	v_add3_u32 v3, v3, v4, 0x7fff
	global_store_d16_hi_b16 v[0:1], v3, off
.LBB30_3606:
	s_mov_b32 s6, 0
.LBB30_3607:
	s_delay_alu instid0(SALU_CYCLE_1)
	s_and_b32 vcc_lo, exec_lo, s6
	s_mov_b32 s6, 0
	s_cbranch_vccz .LBB30_3609
; %bb.3608:
	s_cmp_lg_u32 s3, 11
	s_mov_b32 s6, -1
	s_cselect_b32 s0, -1, 0
.LBB30_3609:
	s_delay_alu instid0(SALU_CYCLE_1)
	s_and_b32 vcc_lo, exec_lo, s0
	s_cbranch_vccnz .LBB30_4017
; %bb.3610:
	s_and_not1_b32 vcc_lo, exec_lo, s6
	s_cbranch_vccnz .LBB30_3612
.LBB30_3611:
	s_wait_xcnt 0x0
	v_and_b32_e32 v3, 0xff, v2
	s_mov_b32 s7, -1
	s_delay_alu instid0(VALU_DEP_1)
	v_cmp_ne_u16_e32 vcc_lo, 0, v3
	v_cndmask_b32_e64 v3, 0, 1, vcc_lo
	global_store_b8 v[0:1], v3, off
.LBB30_3612:
	s_mov_b32 s0, 0
	s_branch .LBB30_3614
.LBB30_3613:
	s_mov_b32 s0, -1
	s_mov_b32 s7, 0
.LBB30_3614:
	s_and_b32 vcc_lo, exec_lo, s0
	s_cbranch_vccz .LBB30_3653
; %bb.3615:
	s_and_b32 s0, 0xffff, s22
	s_mov_b32 s3, -1
	s_cmp_lt_i32 s0, 5
	s_cbranch_scc1 .LBB30_3636
; %bb.3616:
	s_cmp_lt_i32 s0, 8
	s_cbranch_scc1 .LBB30_3626
; %bb.3617:
	;; [unrolled: 3-line block ×3, first 2 shown]
	s_cmp_gt_i32 s0, 9
	s_cbranch_scc0 .LBB30_3620
; %bb.3619:
	s_wait_xcnt 0x0
	v_and_b32_e32 v3, 0xff, v2
	v_mov_b32_e32 v28, 0
	s_mov_b32 s3, 0
	s_delay_alu instid0(VALU_DEP_2) | instskip(NEXT) | instid1(VALU_DEP_2)
	v_and_b32_e32 v3, 0xffff, v3
	v_mov_b32_e32 v29, v28
	s_delay_alu instid0(VALU_DEP_2)
	v_cvt_f64_u32_e32 v[26:27], v3
	global_store_b128 v[0:1], v[26:29], off
.LBB30_3620:
	s_and_not1_b32 vcc_lo, exec_lo, s3
	s_cbranch_vccnz .LBB30_3622
; %bb.3621:
	s_wait_xcnt 0x0
	v_cvt_f32_ubyte0_e32 v4, v2
	v_mov_b32_e32 v5, 0
	global_store_b64 v[0:1], v[4:5], off
.LBB30_3622:
	s_mov_b32 s3, 0
.LBB30_3623:
	s_delay_alu instid0(SALU_CYCLE_1)
	s_and_not1_b32 vcc_lo, exec_lo, s3
	s_cbranch_vccnz .LBB30_3625
; %bb.3624:
	s_wait_xcnt 0x0
	v_and_b32_e32 v3, 0xff, v2
	s_delay_alu instid0(VALU_DEP_1) | instskip(NEXT) | instid1(VALU_DEP_1)
	v_cvt_f16_u16_e32 v3, v3
	v_and_b32_e32 v3, 0xffff, v3
	global_store_b32 v[0:1], v3, off
.LBB30_3625:
	s_mov_b32 s3, 0
.LBB30_3626:
	s_delay_alu instid0(SALU_CYCLE_1)
	s_and_not1_b32 vcc_lo, exec_lo, s3
	s_cbranch_vccnz .LBB30_3635
; %bb.3627:
	s_cmp_lt_i32 s0, 6
	s_mov_b32 s3, -1
	s_cbranch_scc1 .LBB30_3633
; %bb.3628:
	s_cmp_gt_i32 s0, 6
	s_cbranch_scc0 .LBB30_3630
; %bb.3629:
	s_wait_xcnt 0x0
	v_and_b32_e32 v3, 0xff, v2
	s_mov_b32 s3, 0
	s_delay_alu instid0(VALU_DEP_1) | instskip(NEXT) | instid1(VALU_DEP_1)
	v_and_b32_e32 v3, 0xffff, v3
	v_cvt_f64_u32_e32 v[4:5], v3
	global_store_b64 v[0:1], v[4:5], off
.LBB30_3630:
	s_and_not1_b32 vcc_lo, exec_lo, s3
	s_cbranch_vccnz .LBB30_3632
; %bb.3631:
	s_wait_xcnt 0x0
	v_cvt_f32_ubyte0_e32 v3, v2
	global_store_b32 v[0:1], v3, off
.LBB30_3632:
	s_mov_b32 s3, 0
.LBB30_3633:
	s_delay_alu instid0(SALU_CYCLE_1)
	s_and_not1_b32 vcc_lo, exec_lo, s3
	s_cbranch_vccnz .LBB30_3635
; %bb.3634:
	s_wait_xcnt 0x0
	v_and_b32_e32 v3, 0xff, v2
	s_delay_alu instid0(VALU_DEP_1)
	v_cvt_f16_u16_e32 v3, v3
	global_store_b16 v[0:1], v3, off
.LBB30_3635:
	s_mov_b32 s3, 0
.LBB30_3636:
	s_delay_alu instid0(SALU_CYCLE_1)
	s_and_not1_b32 vcc_lo, exec_lo, s3
	s_cbranch_vccnz .LBB30_3652
; %bb.3637:
	s_cmp_lt_i32 s0, 2
	s_mov_b32 s3, -1
	s_cbranch_scc1 .LBB30_3647
; %bb.3638:
	s_cmp_lt_i32 s0, 3
	s_cbranch_scc1 .LBB30_3644
; %bb.3639:
	s_cmp_gt_i32 s0, 3
	s_cbranch_scc0 .LBB30_3641
; %bb.3640:
	s_wait_xcnt 0x0
	v_and_b32_e32 v4, 0xff, v2
	v_mov_b32_e32 v5, 0
	s_mov_b32 s3, 0
	global_store_b64 v[0:1], v[4:5], off
.LBB30_3641:
	s_and_not1_b32 vcc_lo, exec_lo, s3
	s_cbranch_vccnz .LBB30_3643
; %bb.3642:
	s_wait_xcnt 0x0
	v_and_b32_e32 v3, 0xff, v2
	global_store_b32 v[0:1], v3, off
.LBB30_3643:
	s_mov_b32 s3, 0
.LBB30_3644:
	s_delay_alu instid0(SALU_CYCLE_1)
	s_and_not1_b32 vcc_lo, exec_lo, s3
	s_cbranch_vccnz .LBB30_3646
; %bb.3645:
	s_wait_xcnt 0x0
	v_and_b32_e32 v3, 0xff, v2
	global_store_b16 v[0:1], v3, off
.LBB30_3646:
	s_mov_b32 s3, 0
.LBB30_3647:
	s_delay_alu instid0(SALU_CYCLE_1)
	s_and_not1_b32 vcc_lo, exec_lo, s3
	s_cbranch_vccnz .LBB30_3652
; %bb.3648:
	s_cmp_gt_i32 s0, 0
	s_mov_b32 s0, -1
	s_cbranch_scc0 .LBB30_3650
; %bb.3649:
	s_mov_b32 s0, 0
	global_store_b8 v[0:1], v2, off
.LBB30_3650:
	s_and_not1_b32 vcc_lo, exec_lo, s0
	s_cbranch_vccnz .LBB30_3652
; %bb.3651:
	global_store_b8 v[0:1], v2, off
.LBB30_3652:
	s_mov_b32 s7, -1
.LBB30_3653:
	s_delay_alu instid0(SALU_CYCLE_1)
	s_and_not1_b32 vcc_lo, exec_lo, s7
	s_cbranch_vccnz .LBB30_3968
; %bb.3654:
	s_lshl_b32 s3, s12, 7
	s_wait_xcnt 0x0
	v_mul_lo_u16 v4, v6, s2
	v_add_nc_u32_e32 v0, s3, v24
	v_mul_lo_u16 v5, v8, s1
	s_cmp_lt_i32 s22, 11
	s_delay_alu instid0(VALU_DEP_2) | instskip(NEXT) | instid1(VALU_DEP_1)
	v_ashrrev_i32_e32 v1, 31, v0
	v_add_nc_u64_e32 v[2:3], s[4:5], v[0:1]
	s_delay_alu instid0(VALU_DEP_3)
	v_mad_u16 v1, v5, v10, v4
	s_cbranch_scc1 .LBB30_3732
; %bb.3655:
	s_and_b32 s6, 0xffff, s22
	s_mov_b32 s9, -1
	s_mov_b32 s7, 0
	s_cmp_gt_i32 s6, 25
	s_mov_b32 s8, 0
	s_mov_b32 s0, 0
	s_cbranch_scc0 .LBB30_3688
; %bb.3656:
	s_cmp_gt_i32 s6, 28
	s_cbranch_scc0 .LBB30_3671
; %bb.3657:
	s_cmp_gt_i32 s6, 43
	;; [unrolled: 3-line block ×3, first 2 shown]
	s_cbranch_scc0 .LBB30_3661
; %bb.3659:
	s_mov_b32 s0, -1
	s_mov_b32 s9, 0
	s_cmp_eq_u32 s6, 46
	s_cbranch_scc0 .LBB30_3661
; %bb.3660:
	v_cvt_f32_ubyte0_e32 v4, v1
	s_mov_b32 s0, 0
	s_mov_b32 s8, -1
	s_delay_alu instid0(VALU_DEP_1) | instskip(NEXT) | instid1(VALU_DEP_1)
	v_bfe_u32 v5, v4, 16, 1
	v_add3_u32 v4, v4, v5, 0x7fff
	s_delay_alu instid0(VALU_DEP_1)
	v_lshrrev_b32_e32 v4, 16, v4
	global_store_b32 v[2:3], v4, off
.LBB30_3661:
	s_and_b32 vcc_lo, exec_lo, s9
	s_cbranch_vccz .LBB30_3666
; %bb.3662:
	s_cmp_eq_u32 s6, 44
	s_mov_b32 s0, -1
	s_cbranch_scc0 .LBB30_3666
; %bb.3663:
	v_cvt_f32_ubyte0_e32 v6, v1
	s_mov_b32 s8, exec_lo
	s_wait_xcnt 0x0
	s_delay_alu instid0(VALU_DEP_1) | instskip(NEXT) | instid1(VALU_DEP_1)
	v_dual_mov_b32 v5, 0xff :: v_dual_lshrrev_b32 v4, 23, v6
	v_cmpx_ne_u32_e32 0xff, v4
; %bb.3664:
	v_and_b32_e32 v5, 0x400000, v6
	v_and_or_b32 v6, 0x3fffff, v6, v4
	s_delay_alu instid0(VALU_DEP_2) | instskip(NEXT) | instid1(VALU_DEP_2)
	v_cmp_ne_u32_e32 vcc_lo, 0, v5
	v_cmp_ne_u32_e64 s0, 0, v6
	s_and_b32 s0, vcc_lo, s0
	s_delay_alu instid0(SALU_CYCLE_1) | instskip(NEXT) | instid1(VALU_DEP_1)
	v_cndmask_b32_e64 v5, 0, 1, s0
	v_add_nc_u32_e32 v5, v4, v5
; %bb.3665:
	s_or_b32 exec_lo, exec_lo, s8
	s_mov_b32 s0, 0
	s_mov_b32 s8, -1
	global_store_b8 v[2:3], v5, off
.LBB30_3666:
	s_mov_b32 s9, 0
.LBB30_3667:
	s_delay_alu instid0(SALU_CYCLE_1)
	s_and_b32 vcc_lo, exec_lo, s9
	s_cbranch_vccz .LBB30_3670
; %bb.3668:
	s_cmp_eq_u32 s6, 29
	s_mov_b32 s0, -1
	s_cbranch_scc0 .LBB30_3670
; %bb.3669:
	s_wait_xcnt 0x0
	v_and_b32_e32 v4, 0xff, v1
	v_mov_b32_e32 v5, 0
	s_mov_b32 s0, 0
	s_mov_b32 s8, -1
	global_store_b64 v[2:3], v[4:5], off
.LBB30_3670:
	s_mov_b32 s9, 0
.LBB30_3671:
	s_delay_alu instid0(SALU_CYCLE_1)
	s_and_b32 vcc_lo, exec_lo, s9
	s_cbranch_vccz .LBB30_3687
; %bb.3672:
	s_cmp_lt_i32 s6, 27
	s_mov_b32 s8, -1
	s_cbranch_scc1 .LBB30_3678
; %bb.3673:
	s_cmp_gt_i32 s6, 27
	s_cbranch_scc0 .LBB30_3675
; %bb.3674:
	s_wait_xcnt 0x0
	v_and_b32_e32 v4, 0xff, v1
	s_mov_b32 s8, 0
	global_store_b32 v[2:3], v4, off
.LBB30_3675:
	s_and_not1_b32 vcc_lo, exec_lo, s8
	s_cbranch_vccnz .LBB30_3677
; %bb.3676:
	s_wait_xcnt 0x0
	v_and_b32_e32 v4, 0xff, v1
	global_store_b16 v[2:3], v4, off
.LBB30_3677:
	s_mov_b32 s8, 0
.LBB30_3678:
	s_delay_alu instid0(SALU_CYCLE_1)
	s_and_not1_b32 vcc_lo, exec_lo, s8
	s_cbranch_vccnz .LBB30_3686
; %bb.3679:
	s_wait_xcnt 0x0
	v_cvt_f32_ubyte0_e32 v5, v1
	v_mov_b32_e32 v6, 0x80
	s_mov_b32 s8, exec_lo
	s_delay_alu instid0(VALU_DEP_2)
	v_cmpx_gt_u32_e32 0x43800000, v5
	s_cbranch_execz .LBB30_3685
; %bb.3680:
	s_mov_b32 s9, 0
	s_mov_b32 s10, exec_lo
                                        ; implicit-def: $vgpr4
	v_cmpx_lt_u32_e32 0x3bffffff, v5
	s_xor_b32 s10, exec_lo, s10
	s_cbranch_execz .LBB30_4020
; %bb.3681:
	v_bfe_u32 v4, v5, 20, 1
	s_mov_b32 s9, exec_lo
	s_delay_alu instid0(VALU_DEP_1) | instskip(NEXT) | instid1(VALU_DEP_1)
	v_add3_u32 v4, v5, v4, 0x487ffff
                                        ; implicit-def: $vgpr5
	v_lshrrev_b32_e32 v4, 20, v4
	s_and_not1_saveexec_b32 s10, s10
	s_cbranch_execnz .LBB30_4021
.LBB30_3682:
	s_or_b32 exec_lo, exec_lo, s10
	v_mov_b32_e32 v6, 0
	s_and_saveexec_b32 s10, s9
.LBB30_3683:
	v_mov_b32_e32 v6, v4
.LBB30_3684:
	s_or_b32 exec_lo, exec_lo, s10
.LBB30_3685:
	s_delay_alu instid0(SALU_CYCLE_1)
	s_or_b32 exec_lo, exec_lo, s8
	global_store_b8 v[2:3], v6, off
.LBB30_3686:
	s_mov_b32 s8, -1
.LBB30_3687:
	s_mov_b32 s9, 0
.LBB30_3688:
	s_delay_alu instid0(SALU_CYCLE_1)
	s_and_b32 vcc_lo, exec_lo, s9
	s_cbranch_vccz .LBB30_3728
; %bb.3689:
	s_cmp_gt_i32 s6, 22
	s_mov_b32 s7, -1
	s_cbranch_scc0 .LBB30_3721
; %bb.3690:
	s_cmp_lt_i32 s6, 24
	s_cbranch_scc1 .LBB30_3710
; %bb.3691:
	s_cmp_gt_i32 s6, 24
	s_cbranch_scc0 .LBB30_3699
; %bb.3692:
	s_wait_xcnt 0x0
	v_cvt_f32_ubyte0_e32 v5, v1
	v_mov_b32_e32 v6, 0x80
	s_mov_b32 s7, exec_lo
	s_delay_alu instid0(VALU_DEP_2)
	v_cmpx_gt_u32_e32 0x47800000, v5
	s_cbranch_execz .LBB30_3698
; %bb.3693:
	s_mov_b32 s8, 0
	s_mov_b32 s9, exec_lo
                                        ; implicit-def: $vgpr4
	v_cmpx_lt_u32_e32 0x37ffffff, v5
	s_xor_b32 s9, exec_lo, s9
	s_cbranch_execz .LBB30_4023
; %bb.3694:
	v_bfe_u32 v4, v5, 21, 1
	s_mov_b32 s8, exec_lo
	s_delay_alu instid0(VALU_DEP_1) | instskip(NEXT) | instid1(VALU_DEP_1)
	v_add3_u32 v4, v5, v4, 0x88fffff
                                        ; implicit-def: $vgpr5
	v_lshrrev_b32_e32 v4, 21, v4
	s_and_not1_saveexec_b32 s9, s9
	s_cbranch_execnz .LBB30_4024
.LBB30_3695:
	s_or_b32 exec_lo, exec_lo, s9
	v_mov_b32_e32 v6, 0
	s_and_saveexec_b32 s9, s8
.LBB30_3696:
	v_mov_b32_e32 v6, v4
.LBB30_3697:
	s_or_b32 exec_lo, exec_lo, s9
.LBB30_3698:
	s_delay_alu instid0(SALU_CYCLE_1)
	s_or_b32 exec_lo, exec_lo, s7
	s_mov_b32 s7, 0
	global_store_b8 v[2:3], v6, off
.LBB30_3699:
	s_and_b32 vcc_lo, exec_lo, s7
	s_cbranch_vccz .LBB30_3709
; %bb.3700:
	s_wait_xcnt 0x0
	v_cvt_f32_ubyte0_e32 v5, v1
	s_mov_b32 s7, exec_lo
                                        ; implicit-def: $vgpr4
	s_delay_alu instid0(VALU_DEP_1)
	v_cmpx_gt_u32_e32 0x43f00000, v5
	s_xor_b32 s7, exec_lo, s7
	s_cbranch_execz .LBB30_3706
; %bb.3701:
	s_mov_b32 s8, exec_lo
                                        ; implicit-def: $vgpr4
	v_cmpx_lt_u32_e32 0x3c7fffff, v5
	s_xor_b32 s8, exec_lo, s8
; %bb.3702:
	v_bfe_u32 v4, v5, 20, 1
	s_delay_alu instid0(VALU_DEP_1) | instskip(NEXT) | instid1(VALU_DEP_1)
	v_add3_u32 v4, v5, v4, 0x407ffff
	v_and_b32_e32 v5, 0xff00000, v4
	v_lshrrev_b32_e32 v4, 20, v4
	s_delay_alu instid0(VALU_DEP_2) | instskip(NEXT) | instid1(VALU_DEP_2)
	v_cmp_ne_u32_e32 vcc_lo, 0x7f00000, v5
                                        ; implicit-def: $vgpr5
	v_cndmask_b32_e32 v4, 0x7e, v4, vcc_lo
; %bb.3703:
	s_and_not1_saveexec_b32 s8, s8
; %bb.3704:
	v_add_f32_e32 v4, 0x46800000, v5
; %bb.3705:
	s_or_b32 exec_lo, exec_lo, s8
                                        ; implicit-def: $vgpr5
.LBB30_3706:
	s_and_not1_saveexec_b32 s7, s7
; %bb.3707:
	v_mov_b32_e32 v4, 0x7f
	v_cmp_lt_u32_e32 vcc_lo, 0x7f800000, v5
	s_delay_alu instid0(VALU_DEP_2)
	v_cndmask_b32_e32 v4, 0x7e, v4, vcc_lo
; %bb.3708:
	s_or_b32 exec_lo, exec_lo, s7
	global_store_b8 v[2:3], v4, off
.LBB30_3709:
	s_mov_b32 s7, 0
.LBB30_3710:
	s_delay_alu instid0(SALU_CYCLE_1)
	s_and_not1_b32 vcc_lo, exec_lo, s7
	s_cbranch_vccnz .LBB30_3720
; %bb.3711:
	s_wait_xcnt 0x0
	v_cvt_f32_ubyte0_e32 v5, v1
	s_mov_b32 s7, exec_lo
                                        ; implicit-def: $vgpr4
	s_delay_alu instid0(VALU_DEP_1)
	v_cmpx_gt_u32_e32 0x47800000, v5
	s_xor_b32 s7, exec_lo, s7
	s_cbranch_execz .LBB30_3717
; %bb.3712:
	s_mov_b32 s8, exec_lo
                                        ; implicit-def: $vgpr4
	v_cmpx_lt_u32_e32 0x387fffff, v5
	s_xor_b32 s8, exec_lo, s8
; %bb.3713:
	v_bfe_u32 v4, v5, 21, 1
	s_delay_alu instid0(VALU_DEP_1) | instskip(NEXT) | instid1(VALU_DEP_1)
	v_add3_u32 v4, v5, v4, 0x80fffff
                                        ; implicit-def: $vgpr5
	v_lshrrev_b32_e32 v4, 21, v4
; %bb.3714:
	s_and_not1_saveexec_b32 s8, s8
; %bb.3715:
	v_add_f32_e32 v4, 0x43000000, v5
; %bb.3716:
	s_or_b32 exec_lo, exec_lo, s8
                                        ; implicit-def: $vgpr5
.LBB30_3717:
	s_and_not1_saveexec_b32 s7, s7
; %bb.3718:
	v_mov_b32_e32 v4, 0x7f
	v_cmp_lt_u32_e32 vcc_lo, 0x7f800000, v5
	s_delay_alu instid0(VALU_DEP_2)
	v_cndmask_b32_e32 v4, 0x7c, v4, vcc_lo
; %bb.3719:
	s_or_b32 exec_lo, exec_lo, s7
	global_store_b8 v[2:3], v4, off
.LBB30_3720:
	s_mov_b32 s7, 0
	s_mov_b32 s8, -1
.LBB30_3721:
	s_and_not1_b32 vcc_lo, exec_lo, s7
	s_mov_b32 s7, 0
	s_cbranch_vccnz .LBB30_3728
; %bb.3722:
	s_cmp_gt_i32 s6, 14
	s_mov_b32 s7, -1
	s_cbranch_scc0 .LBB30_3726
; %bb.3723:
	s_cmp_eq_u32 s6, 15
	s_mov_b32 s0, -1
	s_cbranch_scc0 .LBB30_3725
; %bb.3724:
	s_wait_xcnt 0x0
	v_cvt_f32_ubyte0_e32 v4, v1
	s_mov_b32 s0, 0
	s_mov_b32 s8, -1
	s_delay_alu instid0(VALU_DEP_1) | instskip(NEXT) | instid1(VALU_DEP_1)
	v_bfe_u32 v5, v4, 16, 1
	v_add3_u32 v4, v4, v5, 0x7fff
	global_store_d16_hi_b16 v[2:3], v4, off
.LBB30_3725:
	s_mov_b32 s7, 0
.LBB30_3726:
	s_delay_alu instid0(SALU_CYCLE_1)
	s_and_b32 vcc_lo, exec_lo, s7
	s_mov_b32 s7, 0
	s_cbranch_vccz .LBB30_3728
; %bb.3727:
	s_cmp_lg_u32 s6, 11
	s_mov_b32 s7, -1
	s_cselect_b32 s0, -1, 0
.LBB30_3728:
	s_delay_alu instid0(SALU_CYCLE_1)
	s_and_b32 vcc_lo, exec_lo, s0
	s_cbranch_vccnz .LBB30_4022
; %bb.3729:
	s_and_not1_b32 vcc_lo, exec_lo, s7
	s_cbranch_vccnz .LBB30_3731
.LBB30_3730:
	s_wait_xcnt 0x0
	v_and_b32_e32 v4, 0xff, v1
	s_mov_b32 s8, -1
	s_delay_alu instid0(VALU_DEP_1)
	v_cmp_ne_u16_e32 vcc_lo, 0, v4
	v_cndmask_b32_e64 v4, 0, 1, vcc_lo
	global_store_b8 v[2:3], v4, off
.LBB30_3731:
	s_mov_b32 s0, 0
	s_branch .LBB30_3733
.LBB30_3732:
	s_mov_b32 s0, -1
	s_mov_b32 s8, 0
.LBB30_3733:
	s_and_b32 vcc_lo, exec_lo, s0
	s_cbranch_vccz .LBB30_3772
; %bb.3734:
	s_and_b32 s0, 0xffff, s22
	s_mov_b32 s6, -1
	s_cmp_lt_i32 s0, 5
	s_cbranch_scc1 .LBB30_3755
; %bb.3735:
	s_cmp_lt_i32 s0, 8
	s_cbranch_scc1 .LBB30_3745
; %bb.3736:
	;; [unrolled: 3-line block ×3, first 2 shown]
	s_cmp_gt_i32 s0, 9
	s_cbranch_scc0 .LBB30_3739
; %bb.3738:
	s_wait_xcnt 0x0
	v_and_b32_e32 v4, 0xff, v1
	v_mov_b32_e32 v6, 0
	s_mov_b32 s6, 0
	s_delay_alu instid0(VALU_DEP_2) | instskip(NEXT) | instid1(VALU_DEP_2)
	v_and_b32_e32 v4, 0xffff, v4
	v_mov_b32_e32 v7, v6
	s_delay_alu instid0(VALU_DEP_2)
	v_cvt_f64_u32_e32 v[4:5], v4
	global_store_b128 v[2:3], v[4:7], off
.LBB30_3739:
	s_and_not1_b32 vcc_lo, exec_lo, s6
	s_cbranch_vccnz .LBB30_3741
; %bb.3740:
	s_wait_xcnt 0x0
	v_cvt_f32_ubyte0_e32 v4, v1
	v_mov_b32_e32 v5, 0
	global_store_b64 v[2:3], v[4:5], off
.LBB30_3741:
	s_mov_b32 s6, 0
.LBB30_3742:
	s_delay_alu instid0(SALU_CYCLE_1)
	s_and_not1_b32 vcc_lo, exec_lo, s6
	s_cbranch_vccnz .LBB30_3744
; %bb.3743:
	s_wait_xcnt 0x0
	v_and_b32_e32 v4, 0xff, v1
	s_delay_alu instid0(VALU_DEP_1) | instskip(NEXT) | instid1(VALU_DEP_1)
	v_cvt_f16_u16_e32 v4, v4
	v_and_b32_e32 v4, 0xffff, v4
	global_store_b32 v[2:3], v4, off
.LBB30_3744:
	s_mov_b32 s6, 0
.LBB30_3745:
	s_delay_alu instid0(SALU_CYCLE_1)
	s_and_not1_b32 vcc_lo, exec_lo, s6
	s_cbranch_vccnz .LBB30_3754
; %bb.3746:
	s_cmp_lt_i32 s0, 6
	s_mov_b32 s6, -1
	s_cbranch_scc1 .LBB30_3752
; %bb.3747:
	s_cmp_gt_i32 s0, 6
	s_cbranch_scc0 .LBB30_3749
; %bb.3748:
	s_wait_xcnt 0x0
	v_and_b32_e32 v4, 0xff, v1
	s_mov_b32 s6, 0
	s_delay_alu instid0(VALU_DEP_1) | instskip(NEXT) | instid1(VALU_DEP_1)
	v_and_b32_e32 v4, 0xffff, v4
	v_cvt_f64_u32_e32 v[4:5], v4
	global_store_b64 v[2:3], v[4:5], off
.LBB30_3749:
	s_and_not1_b32 vcc_lo, exec_lo, s6
	s_cbranch_vccnz .LBB30_3751
; %bb.3750:
	s_wait_xcnt 0x0
	v_cvt_f32_ubyte0_e32 v4, v1
	global_store_b32 v[2:3], v4, off
.LBB30_3751:
	s_mov_b32 s6, 0
.LBB30_3752:
	s_delay_alu instid0(SALU_CYCLE_1)
	s_and_not1_b32 vcc_lo, exec_lo, s6
	s_cbranch_vccnz .LBB30_3754
; %bb.3753:
	s_wait_xcnt 0x0
	v_and_b32_e32 v4, 0xff, v1
	s_delay_alu instid0(VALU_DEP_1)
	v_cvt_f16_u16_e32 v4, v4
	global_store_b16 v[2:3], v4, off
.LBB30_3754:
	s_mov_b32 s6, 0
.LBB30_3755:
	s_delay_alu instid0(SALU_CYCLE_1)
	s_and_not1_b32 vcc_lo, exec_lo, s6
	s_cbranch_vccnz .LBB30_3771
; %bb.3756:
	s_cmp_lt_i32 s0, 2
	s_mov_b32 s6, -1
	s_cbranch_scc1 .LBB30_3766
; %bb.3757:
	s_cmp_lt_i32 s0, 3
	s_cbranch_scc1 .LBB30_3763
; %bb.3758:
	s_cmp_gt_i32 s0, 3
	s_cbranch_scc0 .LBB30_3760
; %bb.3759:
	s_wait_xcnt 0x0
	v_and_b32_e32 v4, 0xff, v1
	v_mov_b32_e32 v5, 0
	s_mov_b32 s6, 0
	global_store_b64 v[2:3], v[4:5], off
.LBB30_3760:
	s_and_not1_b32 vcc_lo, exec_lo, s6
	s_cbranch_vccnz .LBB30_3762
; %bb.3761:
	s_wait_xcnt 0x0
	v_and_b32_e32 v4, 0xff, v1
	global_store_b32 v[2:3], v4, off
.LBB30_3762:
	s_mov_b32 s6, 0
.LBB30_3763:
	s_delay_alu instid0(SALU_CYCLE_1)
	s_and_not1_b32 vcc_lo, exec_lo, s6
	s_cbranch_vccnz .LBB30_3765
; %bb.3764:
	s_wait_xcnt 0x0
	v_and_b32_e32 v4, 0xff, v1
	global_store_b16 v[2:3], v4, off
.LBB30_3765:
	s_mov_b32 s6, 0
.LBB30_3766:
	s_delay_alu instid0(SALU_CYCLE_1)
	s_and_not1_b32 vcc_lo, exec_lo, s6
	s_cbranch_vccnz .LBB30_3771
; %bb.3767:
	s_cmp_gt_i32 s0, 0
	s_mov_b32 s0, -1
	s_cbranch_scc0 .LBB30_3769
; %bb.3768:
	s_mov_b32 s0, 0
	global_store_b8 v[2:3], v1, off
.LBB30_3769:
	s_and_not1_b32 vcc_lo, exec_lo, s0
	s_cbranch_vccnz .LBB30_3771
; %bb.3770:
	global_store_b8 v[2:3], v1, off
.LBB30_3771:
	s_mov_b32 s8, -1
.LBB30_3772:
	s_delay_alu instid0(SALU_CYCLE_1)
	s_and_not1_b32 vcc_lo, exec_lo, s8
	s_cbranch_vccnz .LBB30_3968
; %bb.3773:
	v_add_nc_u32_e32 v0, s3, v0
	s_wait_xcnt 0x0
	v_mul_lo_u16 v4, v12, s2
	v_mul_lo_u16 v5, v14, s1
	s_cmp_lt_i32 s22, 11
	v_ashrrev_i32_e32 v1, 31, v0
	s_delay_alu instid0(VALU_DEP_1) | instskip(NEXT) | instid1(VALU_DEP_3)
	v_add_nc_u64_e32 v[2:3], s[4:5], v[0:1]
	v_mad_u16 v1, v5, v16, v4
	s_cbranch_scc1 .LBB30_3851
; %bb.3774:
	s_and_b32 s6, 0xffff, s22
	s_mov_b32 s9, -1
	s_mov_b32 s7, 0
	s_cmp_gt_i32 s6, 25
	s_mov_b32 s8, 0
	s_mov_b32 s0, 0
	s_cbranch_scc0 .LBB30_3807
; %bb.3775:
	s_cmp_gt_i32 s6, 28
	s_cbranch_scc0 .LBB30_3790
; %bb.3776:
	s_cmp_gt_i32 s6, 43
	;; [unrolled: 3-line block ×3, first 2 shown]
	s_cbranch_scc0 .LBB30_3780
; %bb.3778:
	s_mov_b32 s0, -1
	s_mov_b32 s9, 0
	s_cmp_eq_u32 s6, 46
	s_cbranch_scc0 .LBB30_3780
; %bb.3779:
	v_cvt_f32_ubyte0_e32 v4, v1
	s_mov_b32 s0, 0
	s_mov_b32 s8, -1
	s_delay_alu instid0(VALU_DEP_1) | instskip(NEXT) | instid1(VALU_DEP_1)
	v_bfe_u32 v5, v4, 16, 1
	v_add3_u32 v4, v4, v5, 0x7fff
	s_delay_alu instid0(VALU_DEP_1)
	v_lshrrev_b32_e32 v4, 16, v4
	global_store_b32 v[2:3], v4, off
.LBB30_3780:
	s_and_b32 vcc_lo, exec_lo, s9
	s_cbranch_vccz .LBB30_3785
; %bb.3781:
	s_cmp_eq_u32 s6, 44
	s_mov_b32 s0, -1
	s_cbranch_scc0 .LBB30_3785
; %bb.3782:
	v_cvt_f32_ubyte0_e32 v6, v1
	s_mov_b32 s8, exec_lo
	s_wait_xcnt 0x0
	s_delay_alu instid0(VALU_DEP_1) | instskip(NEXT) | instid1(VALU_DEP_1)
	v_dual_mov_b32 v5, 0xff :: v_dual_lshrrev_b32 v4, 23, v6
	v_cmpx_ne_u32_e32 0xff, v4
; %bb.3783:
	v_and_b32_e32 v5, 0x400000, v6
	v_and_or_b32 v6, 0x3fffff, v6, v4
	s_delay_alu instid0(VALU_DEP_2) | instskip(NEXT) | instid1(VALU_DEP_2)
	v_cmp_ne_u32_e32 vcc_lo, 0, v5
	v_cmp_ne_u32_e64 s0, 0, v6
	s_and_b32 s0, vcc_lo, s0
	s_delay_alu instid0(SALU_CYCLE_1) | instskip(NEXT) | instid1(VALU_DEP_1)
	v_cndmask_b32_e64 v5, 0, 1, s0
	v_add_nc_u32_e32 v5, v4, v5
; %bb.3784:
	s_or_b32 exec_lo, exec_lo, s8
	s_mov_b32 s0, 0
	s_mov_b32 s8, -1
	global_store_b8 v[2:3], v5, off
.LBB30_3785:
	s_mov_b32 s9, 0
.LBB30_3786:
	s_delay_alu instid0(SALU_CYCLE_1)
	s_and_b32 vcc_lo, exec_lo, s9
	s_cbranch_vccz .LBB30_3789
; %bb.3787:
	s_cmp_eq_u32 s6, 29
	s_mov_b32 s0, -1
	s_cbranch_scc0 .LBB30_3789
; %bb.3788:
	s_wait_xcnt 0x0
	v_and_b32_e32 v4, 0xff, v1
	v_mov_b32_e32 v5, 0
	s_mov_b32 s0, 0
	s_mov_b32 s8, -1
	global_store_b64 v[2:3], v[4:5], off
.LBB30_3789:
	s_mov_b32 s9, 0
.LBB30_3790:
	s_delay_alu instid0(SALU_CYCLE_1)
	s_and_b32 vcc_lo, exec_lo, s9
	s_cbranch_vccz .LBB30_3806
; %bb.3791:
	s_cmp_lt_i32 s6, 27
	s_mov_b32 s8, -1
	s_cbranch_scc1 .LBB30_3797
; %bb.3792:
	s_cmp_gt_i32 s6, 27
	s_cbranch_scc0 .LBB30_3794
; %bb.3793:
	s_wait_xcnt 0x0
	v_and_b32_e32 v4, 0xff, v1
	s_mov_b32 s8, 0
	global_store_b32 v[2:3], v4, off
.LBB30_3794:
	s_and_not1_b32 vcc_lo, exec_lo, s8
	s_cbranch_vccnz .LBB30_3796
; %bb.3795:
	s_wait_xcnt 0x0
	v_and_b32_e32 v4, 0xff, v1
	global_store_b16 v[2:3], v4, off
.LBB30_3796:
	s_mov_b32 s8, 0
.LBB30_3797:
	s_delay_alu instid0(SALU_CYCLE_1)
	s_and_not1_b32 vcc_lo, exec_lo, s8
	s_cbranch_vccnz .LBB30_3805
; %bb.3798:
	s_wait_xcnt 0x0
	v_cvt_f32_ubyte0_e32 v5, v1
	v_mov_b32_e32 v6, 0x80
	s_mov_b32 s8, exec_lo
	s_delay_alu instid0(VALU_DEP_2)
	v_cmpx_gt_u32_e32 0x43800000, v5
	s_cbranch_execz .LBB30_3804
; %bb.3799:
	s_mov_b32 s9, 0
	s_mov_b32 s10, exec_lo
                                        ; implicit-def: $vgpr4
	v_cmpx_lt_u32_e32 0x3bffffff, v5
	s_xor_b32 s10, exec_lo, s10
	s_cbranch_execz .LBB30_4025
; %bb.3800:
	v_bfe_u32 v4, v5, 20, 1
	s_mov_b32 s9, exec_lo
	s_delay_alu instid0(VALU_DEP_1) | instskip(NEXT) | instid1(VALU_DEP_1)
	v_add3_u32 v4, v5, v4, 0x487ffff
                                        ; implicit-def: $vgpr5
	v_lshrrev_b32_e32 v4, 20, v4
	s_and_not1_saveexec_b32 s10, s10
	s_cbranch_execnz .LBB30_4026
.LBB30_3801:
	s_or_b32 exec_lo, exec_lo, s10
	v_mov_b32_e32 v6, 0
	s_and_saveexec_b32 s10, s9
.LBB30_3802:
	v_mov_b32_e32 v6, v4
.LBB30_3803:
	s_or_b32 exec_lo, exec_lo, s10
.LBB30_3804:
	s_delay_alu instid0(SALU_CYCLE_1)
	s_or_b32 exec_lo, exec_lo, s8
	global_store_b8 v[2:3], v6, off
.LBB30_3805:
	s_mov_b32 s8, -1
.LBB30_3806:
	s_mov_b32 s9, 0
.LBB30_3807:
	s_delay_alu instid0(SALU_CYCLE_1)
	s_and_b32 vcc_lo, exec_lo, s9
	s_cbranch_vccz .LBB30_3847
; %bb.3808:
	s_cmp_gt_i32 s6, 22
	s_mov_b32 s7, -1
	s_cbranch_scc0 .LBB30_3840
; %bb.3809:
	s_cmp_lt_i32 s6, 24
	s_cbranch_scc1 .LBB30_3829
; %bb.3810:
	s_cmp_gt_i32 s6, 24
	s_cbranch_scc0 .LBB30_3818
; %bb.3811:
	s_wait_xcnt 0x0
	v_cvt_f32_ubyte0_e32 v5, v1
	v_mov_b32_e32 v6, 0x80
	s_mov_b32 s7, exec_lo
	s_delay_alu instid0(VALU_DEP_2)
	v_cmpx_gt_u32_e32 0x47800000, v5
	s_cbranch_execz .LBB30_3817
; %bb.3812:
	s_mov_b32 s8, 0
	s_mov_b32 s9, exec_lo
                                        ; implicit-def: $vgpr4
	v_cmpx_lt_u32_e32 0x37ffffff, v5
	s_xor_b32 s9, exec_lo, s9
	s_cbranch_execz .LBB30_4028
; %bb.3813:
	v_bfe_u32 v4, v5, 21, 1
	s_mov_b32 s8, exec_lo
	s_delay_alu instid0(VALU_DEP_1) | instskip(NEXT) | instid1(VALU_DEP_1)
	v_add3_u32 v4, v5, v4, 0x88fffff
                                        ; implicit-def: $vgpr5
	v_lshrrev_b32_e32 v4, 21, v4
	s_and_not1_saveexec_b32 s9, s9
	s_cbranch_execnz .LBB30_4029
.LBB30_3814:
	s_or_b32 exec_lo, exec_lo, s9
	v_mov_b32_e32 v6, 0
	s_and_saveexec_b32 s9, s8
.LBB30_3815:
	v_mov_b32_e32 v6, v4
.LBB30_3816:
	s_or_b32 exec_lo, exec_lo, s9
.LBB30_3817:
	s_delay_alu instid0(SALU_CYCLE_1)
	s_or_b32 exec_lo, exec_lo, s7
	s_mov_b32 s7, 0
	global_store_b8 v[2:3], v6, off
.LBB30_3818:
	s_and_b32 vcc_lo, exec_lo, s7
	s_cbranch_vccz .LBB30_3828
; %bb.3819:
	s_wait_xcnt 0x0
	v_cvt_f32_ubyte0_e32 v5, v1
	s_mov_b32 s7, exec_lo
                                        ; implicit-def: $vgpr4
	s_delay_alu instid0(VALU_DEP_1)
	v_cmpx_gt_u32_e32 0x43f00000, v5
	s_xor_b32 s7, exec_lo, s7
	s_cbranch_execz .LBB30_3825
; %bb.3820:
	s_mov_b32 s8, exec_lo
                                        ; implicit-def: $vgpr4
	v_cmpx_lt_u32_e32 0x3c7fffff, v5
	s_xor_b32 s8, exec_lo, s8
; %bb.3821:
	v_bfe_u32 v4, v5, 20, 1
	s_delay_alu instid0(VALU_DEP_1) | instskip(NEXT) | instid1(VALU_DEP_1)
	v_add3_u32 v4, v5, v4, 0x407ffff
	v_and_b32_e32 v5, 0xff00000, v4
	v_lshrrev_b32_e32 v4, 20, v4
	s_delay_alu instid0(VALU_DEP_2) | instskip(NEXT) | instid1(VALU_DEP_2)
	v_cmp_ne_u32_e32 vcc_lo, 0x7f00000, v5
                                        ; implicit-def: $vgpr5
	v_cndmask_b32_e32 v4, 0x7e, v4, vcc_lo
; %bb.3822:
	s_and_not1_saveexec_b32 s8, s8
; %bb.3823:
	v_add_f32_e32 v4, 0x46800000, v5
; %bb.3824:
	s_or_b32 exec_lo, exec_lo, s8
                                        ; implicit-def: $vgpr5
.LBB30_3825:
	s_and_not1_saveexec_b32 s7, s7
; %bb.3826:
	v_mov_b32_e32 v4, 0x7f
	v_cmp_lt_u32_e32 vcc_lo, 0x7f800000, v5
	s_delay_alu instid0(VALU_DEP_2)
	v_cndmask_b32_e32 v4, 0x7e, v4, vcc_lo
; %bb.3827:
	s_or_b32 exec_lo, exec_lo, s7
	global_store_b8 v[2:3], v4, off
.LBB30_3828:
	s_mov_b32 s7, 0
.LBB30_3829:
	s_delay_alu instid0(SALU_CYCLE_1)
	s_and_not1_b32 vcc_lo, exec_lo, s7
	s_cbranch_vccnz .LBB30_3839
; %bb.3830:
	s_wait_xcnt 0x0
	v_cvt_f32_ubyte0_e32 v5, v1
	s_mov_b32 s7, exec_lo
                                        ; implicit-def: $vgpr4
	s_delay_alu instid0(VALU_DEP_1)
	v_cmpx_gt_u32_e32 0x47800000, v5
	s_xor_b32 s7, exec_lo, s7
	s_cbranch_execz .LBB30_3836
; %bb.3831:
	s_mov_b32 s8, exec_lo
                                        ; implicit-def: $vgpr4
	v_cmpx_lt_u32_e32 0x387fffff, v5
	s_xor_b32 s8, exec_lo, s8
; %bb.3832:
	v_bfe_u32 v4, v5, 21, 1
	s_delay_alu instid0(VALU_DEP_1) | instskip(NEXT) | instid1(VALU_DEP_1)
	v_add3_u32 v4, v5, v4, 0x80fffff
                                        ; implicit-def: $vgpr5
	v_lshrrev_b32_e32 v4, 21, v4
; %bb.3833:
	s_and_not1_saveexec_b32 s8, s8
; %bb.3834:
	v_add_f32_e32 v4, 0x43000000, v5
; %bb.3835:
	s_or_b32 exec_lo, exec_lo, s8
                                        ; implicit-def: $vgpr5
.LBB30_3836:
	s_and_not1_saveexec_b32 s7, s7
; %bb.3837:
	v_mov_b32_e32 v4, 0x7f
	v_cmp_lt_u32_e32 vcc_lo, 0x7f800000, v5
	s_delay_alu instid0(VALU_DEP_2)
	v_cndmask_b32_e32 v4, 0x7c, v4, vcc_lo
; %bb.3838:
	s_or_b32 exec_lo, exec_lo, s7
	global_store_b8 v[2:3], v4, off
.LBB30_3839:
	s_mov_b32 s7, 0
	s_mov_b32 s8, -1
.LBB30_3840:
	s_and_not1_b32 vcc_lo, exec_lo, s7
	s_mov_b32 s7, 0
	s_cbranch_vccnz .LBB30_3847
; %bb.3841:
	s_cmp_gt_i32 s6, 14
	s_mov_b32 s7, -1
	s_cbranch_scc0 .LBB30_3845
; %bb.3842:
	s_cmp_eq_u32 s6, 15
	s_mov_b32 s0, -1
	s_cbranch_scc0 .LBB30_3844
; %bb.3843:
	s_wait_xcnt 0x0
	v_cvt_f32_ubyte0_e32 v4, v1
	s_mov_b32 s0, 0
	s_mov_b32 s8, -1
	s_delay_alu instid0(VALU_DEP_1) | instskip(NEXT) | instid1(VALU_DEP_1)
	v_bfe_u32 v5, v4, 16, 1
	v_add3_u32 v4, v4, v5, 0x7fff
	global_store_d16_hi_b16 v[2:3], v4, off
.LBB30_3844:
	s_mov_b32 s7, 0
.LBB30_3845:
	s_delay_alu instid0(SALU_CYCLE_1)
	s_and_b32 vcc_lo, exec_lo, s7
	s_mov_b32 s7, 0
	s_cbranch_vccz .LBB30_3847
; %bb.3846:
	s_cmp_lg_u32 s6, 11
	s_mov_b32 s7, -1
	s_cselect_b32 s0, -1, 0
.LBB30_3847:
	s_delay_alu instid0(SALU_CYCLE_1)
	s_and_b32 vcc_lo, exec_lo, s0
	s_cbranch_vccnz .LBB30_4027
; %bb.3848:
	s_and_not1_b32 vcc_lo, exec_lo, s7
	s_cbranch_vccnz .LBB30_3850
.LBB30_3849:
	s_wait_xcnt 0x0
	v_and_b32_e32 v4, 0xff, v1
	s_mov_b32 s8, -1
	s_delay_alu instid0(VALU_DEP_1)
	v_cmp_ne_u16_e32 vcc_lo, 0, v4
	v_cndmask_b32_e64 v4, 0, 1, vcc_lo
	global_store_b8 v[2:3], v4, off
.LBB30_3850:
	s_mov_b32 s0, 0
	s_branch .LBB30_3852
.LBB30_3851:
	s_mov_b32 s0, -1
	s_mov_b32 s8, 0
.LBB30_3852:
	s_and_b32 vcc_lo, exec_lo, s0
	s_cbranch_vccz .LBB30_3891
; %bb.3853:
	s_and_b32 s0, 0xffff, s22
	s_mov_b32 s6, -1
	s_cmp_lt_i32 s0, 5
	s_cbranch_scc1 .LBB30_3874
; %bb.3854:
	s_cmp_lt_i32 s0, 8
	s_cbranch_scc1 .LBB30_3864
; %bb.3855:
	;; [unrolled: 3-line block ×3, first 2 shown]
	s_cmp_gt_i32 s0, 9
	s_cbranch_scc0 .LBB30_3858
; %bb.3857:
	s_wait_xcnt 0x0
	v_and_b32_e32 v4, 0xff, v1
	v_mov_b32_e32 v6, 0
	s_mov_b32 s6, 0
	s_delay_alu instid0(VALU_DEP_2) | instskip(NEXT) | instid1(VALU_DEP_2)
	v_and_b32_e32 v4, 0xffff, v4
	v_mov_b32_e32 v7, v6
	s_delay_alu instid0(VALU_DEP_2)
	v_cvt_f64_u32_e32 v[4:5], v4
	global_store_b128 v[2:3], v[4:7], off
.LBB30_3858:
	s_and_not1_b32 vcc_lo, exec_lo, s6
	s_cbranch_vccnz .LBB30_3860
; %bb.3859:
	s_wait_xcnt 0x0
	v_cvt_f32_ubyte0_e32 v4, v1
	v_mov_b32_e32 v5, 0
	global_store_b64 v[2:3], v[4:5], off
.LBB30_3860:
	s_mov_b32 s6, 0
.LBB30_3861:
	s_delay_alu instid0(SALU_CYCLE_1)
	s_and_not1_b32 vcc_lo, exec_lo, s6
	s_cbranch_vccnz .LBB30_3863
; %bb.3862:
	s_wait_xcnt 0x0
	v_and_b32_e32 v4, 0xff, v1
	s_delay_alu instid0(VALU_DEP_1) | instskip(NEXT) | instid1(VALU_DEP_1)
	v_cvt_f16_u16_e32 v4, v4
	v_and_b32_e32 v4, 0xffff, v4
	global_store_b32 v[2:3], v4, off
.LBB30_3863:
	s_mov_b32 s6, 0
.LBB30_3864:
	s_delay_alu instid0(SALU_CYCLE_1)
	s_and_not1_b32 vcc_lo, exec_lo, s6
	s_cbranch_vccnz .LBB30_3873
; %bb.3865:
	s_cmp_lt_i32 s0, 6
	s_mov_b32 s6, -1
	s_cbranch_scc1 .LBB30_3871
; %bb.3866:
	s_cmp_gt_i32 s0, 6
	s_cbranch_scc0 .LBB30_3868
; %bb.3867:
	s_wait_xcnt 0x0
	v_and_b32_e32 v4, 0xff, v1
	s_mov_b32 s6, 0
	s_delay_alu instid0(VALU_DEP_1) | instskip(NEXT) | instid1(VALU_DEP_1)
	v_and_b32_e32 v4, 0xffff, v4
	v_cvt_f64_u32_e32 v[4:5], v4
	global_store_b64 v[2:3], v[4:5], off
.LBB30_3868:
	s_and_not1_b32 vcc_lo, exec_lo, s6
	s_cbranch_vccnz .LBB30_3870
; %bb.3869:
	s_wait_xcnt 0x0
	v_cvt_f32_ubyte0_e32 v4, v1
	global_store_b32 v[2:3], v4, off
.LBB30_3870:
	s_mov_b32 s6, 0
.LBB30_3871:
	s_delay_alu instid0(SALU_CYCLE_1)
	s_and_not1_b32 vcc_lo, exec_lo, s6
	s_cbranch_vccnz .LBB30_3873
; %bb.3872:
	s_wait_xcnt 0x0
	v_and_b32_e32 v4, 0xff, v1
	s_delay_alu instid0(VALU_DEP_1)
	v_cvt_f16_u16_e32 v4, v4
	global_store_b16 v[2:3], v4, off
.LBB30_3873:
	s_mov_b32 s6, 0
.LBB30_3874:
	s_delay_alu instid0(SALU_CYCLE_1)
	s_and_not1_b32 vcc_lo, exec_lo, s6
	s_cbranch_vccnz .LBB30_3890
; %bb.3875:
	s_cmp_lt_i32 s0, 2
	s_mov_b32 s6, -1
	s_cbranch_scc1 .LBB30_3885
; %bb.3876:
	s_cmp_lt_i32 s0, 3
	s_cbranch_scc1 .LBB30_3882
; %bb.3877:
	s_cmp_gt_i32 s0, 3
	s_cbranch_scc0 .LBB30_3879
; %bb.3878:
	s_wait_xcnt 0x0
	v_and_b32_e32 v4, 0xff, v1
	v_mov_b32_e32 v5, 0
	s_mov_b32 s6, 0
	global_store_b64 v[2:3], v[4:5], off
.LBB30_3879:
	s_and_not1_b32 vcc_lo, exec_lo, s6
	s_cbranch_vccnz .LBB30_3881
; %bb.3880:
	s_wait_xcnt 0x0
	v_and_b32_e32 v4, 0xff, v1
	global_store_b32 v[2:3], v4, off
.LBB30_3881:
	s_mov_b32 s6, 0
.LBB30_3882:
	s_delay_alu instid0(SALU_CYCLE_1)
	s_and_not1_b32 vcc_lo, exec_lo, s6
	s_cbranch_vccnz .LBB30_3884
; %bb.3883:
	s_wait_xcnt 0x0
	v_and_b32_e32 v4, 0xff, v1
	global_store_b16 v[2:3], v4, off
.LBB30_3884:
	s_mov_b32 s6, 0
.LBB30_3885:
	s_delay_alu instid0(SALU_CYCLE_1)
	s_and_not1_b32 vcc_lo, exec_lo, s6
	s_cbranch_vccnz .LBB30_3890
; %bb.3886:
	s_cmp_gt_i32 s0, 0
	s_mov_b32 s0, -1
	s_cbranch_scc0 .LBB30_3888
; %bb.3887:
	s_mov_b32 s0, 0
	global_store_b8 v[2:3], v1, off
.LBB30_3888:
	s_and_not1_b32 vcc_lo, exec_lo, s0
	s_cbranch_vccnz .LBB30_3890
; %bb.3889:
	global_store_b8 v[2:3], v1, off
.LBB30_3890:
	s_mov_b32 s8, -1
.LBB30_3891:
	s_delay_alu instid0(SALU_CYCLE_1)
	s_and_not1_b32 vcc_lo, exec_lo, s8
	s_cbranch_vccnz .LBB30_3968
; %bb.3892:
	v_add_nc_u32_e32 v0, s3, v0
	s_wait_xcnt 0x0
	v_mul_lo_u16 v2, v18, s2
	v_mul_lo_u16 v3, v20, s1
	s_cmp_lt_i32 s22, 11
	v_ashrrev_i32_e32 v1, 31, v0
	s_delay_alu instid0(VALU_DEP_2) | instskip(NEXT) | instid1(VALU_DEP_2)
	v_mad_u16 v4, v3, v22, v2
	v_add_nc_u64_e32 v[0:1], s[4:5], v[0:1]
	s_cbranch_scc1 .LBB30_4013
; %bb.3893:
	s_and_b32 s2, 0xffff, s22
	s_mov_b32 s3, -1
	s_mov_b32 s1, 0
	s_cmp_gt_i32 s2, 25
	s_mov_b32 s0, 0
	s_cbranch_scc0 .LBB30_3926
; %bb.3894:
	s_cmp_gt_i32 s2, 28
	s_cbranch_scc0 .LBB30_3910
; %bb.3895:
	s_cmp_gt_i32 s2, 43
	;; [unrolled: 3-line block ×3, first 2 shown]
	s_cbranch_scc0 .LBB30_3900
; %bb.3897:
	s_cmp_eq_u32 s2, 46
	s_mov_b32 s0, -1
	s_cbranch_scc0 .LBB30_3899
; %bb.3898:
	v_cvt_f32_ubyte0_e32 v2, v4
	s_mov_b32 s0, 0
	s_delay_alu instid0(VALU_DEP_1) | instskip(NEXT) | instid1(VALU_DEP_1)
	v_bfe_u32 v3, v2, 16, 1
	v_add3_u32 v2, v2, v3, 0x7fff
	s_delay_alu instid0(VALU_DEP_1)
	v_lshrrev_b32_e32 v2, 16, v2
	global_store_b32 v[0:1], v2, off
.LBB30_3899:
	s_mov_b32 s3, 0
.LBB30_3900:
	s_delay_alu instid0(SALU_CYCLE_1)
	s_and_b32 vcc_lo, exec_lo, s3
	s_cbranch_vccz .LBB30_3905
; %bb.3901:
	s_cmp_eq_u32 s2, 44
	s_mov_b32 s0, -1
	s_cbranch_scc0 .LBB30_3905
; %bb.3902:
	v_cvt_f32_ubyte0_e32 v5, v4
	s_mov_b32 s3, exec_lo
	s_wait_xcnt 0x0
	s_delay_alu instid0(VALU_DEP_1) | instskip(NEXT) | instid1(VALU_DEP_1)
	v_dual_mov_b32 v3, 0xff :: v_dual_lshrrev_b32 v2, 23, v5
	v_cmpx_ne_u32_e32 0xff, v2
; %bb.3903:
	v_and_b32_e32 v3, 0x400000, v5
	v_and_or_b32 v5, 0x3fffff, v5, v2
	s_delay_alu instid0(VALU_DEP_2) | instskip(NEXT) | instid1(VALU_DEP_2)
	v_cmp_ne_u32_e32 vcc_lo, 0, v3
	v_cmp_ne_u32_e64 s0, 0, v5
	s_and_b32 s0, vcc_lo, s0
	s_delay_alu instid0(SALU_CYCLE_1) | instskip(NEXT) | instid1(VALU_DEP_1)
	v_cndmask_b32_e64 v3, 0, 1, s0
	v_add_nc_u32_e32 v3, v2, v3
; %bb.3904:
	s_or_b32 exec_lo, exec_lo, s3
	s_mov_b32 s0, 0
	global_store_b8 v[0:1], v3, off
.LBB30_3905:
	s_mov_b32 s3, 0
.LBB30_3906:
	s_delay_alu instid0(SALU_CYCLE_1)
	s_and_b32 vcc_lo, exec_lo, s3
	s_cbranch_vccz .LBB30_3909
; %bb.3907:
	s_cmp_eq_u32 s2, 29
	s_mov_b32 s0, -1
	s_cbranch_scc0 .LBB30_3909
; %bb.3908:
	s_wait_xcnt 0x0
	v_and_b32_e32 v2, 0xff, v4
	v_mov_b32_e32 v3, 0
	s_mov_b32 s0, 0
	global_store_b64 v[0:1], v[2:3], off
.LBB30_3909:
	s_mov_b32 s3, 0
.LBB30_3910:
	s_delay_alu instid0(SALU_CYCLE_1)
	s_and_b32 vcc_lo, exec_lo, s3
	s_cbranch_vccz .LBB30_3925
; %bb.3911:
	s_cmp_lt_i32 s2, 27
	s_mov_b32 s3, -1
	s_cbranch_scc1 .LBB30_3917
; %bb.3912:
	s_wait_xcnt 0x0
	v_and_b32_e32 v2, 0xff, v4
	s_cmp_gt_i32 s2, 27
	s_cbranch_scc0 .LBB30_3914
; %bb.3913:
	s_mov_b32 s3, 0
	global_store_b32 v[0:1], v2, off
.LBB30_3914:
	s_and_not1_b32 vcc_lo, exec_lo, s3
	s_cbranch_vccnz .LBB30_3916
; %bb.3915:
	global_store_b16 v[0:1], v2, off
.LBB30_3916:
	s_mov_b32 s3, 0
.LBB30_3917:
	s_delay_alu instid0(SALU_CYCLE_1)
	s_and_not1_b32 vcc_lo, exec_lo, s3
	s_cbranch_vccnz .LBB30_3925
; %bb.3918:
	s_wait_xcnt 0x0
	v_cvt_f32_ubyte0_e32 v3, v4
	v_mov_b32_e32 v5, 0x80
	s_mov_b32 s3, exec_lo
	s_delay_alu instid0(VALU_DEP_2)
	v_cmpx_gt_u32_e32 0x43800000, v3
	s_cbranch_execz .LBB30_3924
; %bb.3919:
	s_mov_b32 s4, 0
	s_mov_b32 s5, exec_lo
                                        ; implicit-def: $vgpr2
	v_cmpx_lt_u32_e32 0x3bffffff, v3
	s_xor_b32 s5, exec_lo, s5
	s_cbranch_execz .LBB30_4030
; %bb.3920:
	v_bfe_u32 v2, v3, 20, 1
	s_mov_b32 s4, exec_lo
	s_delay_alu instid0(VALU_DEP_1) | instskip(NEXT) | instid1(VALU_DEP_1)
	v_add3_u32 v2, v3, v2, 0x487ffff
                                        ; implicit-def: $vgpr3
	v_lshrrev_b32_e32 v2, 20, v2
	s_and_not1_saveexec_b32 s5, s5
	s_cbranch_execnz .LBB30_4031
.LBB30_3921:
	s_or_b32 exec_lo, exec_lo, s5
	v_mov_b32_e32 v5, 0
	s_and_saveexec_b32 s5, s4
.LBB30_3922:
	v_mov_b32_e32 v5, v2
.LBB30_3923:
	s_or_b32 exec_lo, exec_lo, s5
.LBB30_3924:
	s_delay_alu instid0(SALU_CYCLE_1)
	s_or_b32 exec_lo, exec_lo, s3
	global_store_b8 v[0:1], v5, off
.LBB30_3925:
	s_mov_b32 s3, 0
.LBB30_3926:
	s_delay_alu instid0(SALU_CYCLE_1)
	s_and_b32 vcc_lo, exec_lo, s3
	s_cbranch_vccz .LBB30_3966
; %bb.3927:
	s_cmp_gt_i32 s2, 22
	s_mov_b32 s1, -1
	s_cbranch_scc0 .LBB30_3959
; %bb.3928:
	s_cmp_lt_i32 s2, 24
	s_cbranch_scc1 .LBB30_3948
; %bb.3929:
	s_cmp_gt_i32 s2, 24
	s_cbranch_scc0 .LBB30_3937
; %bb.3930:
	s_wait_xcnt 0x0
	v_cvt_f32_ubyte0_e32 v3, v4
	v_mov_b32_e32 v5, 0x80
	s_mov_b32 s1, exec_lo
	s_delay_alu instid0(VALU_DEP_2)
	v_cmpx_gt_u32_e32 0x47800000, v3
	s_cbranch_execz .LBB30_3936
; %bb.3931:
	s_mov_b32 s3, 0
	s_mov_b32 s4, exec_lo
                                        ; implicit-def: $vgpr2
	v_cmpx_lt_u32_e32 0x37ffffff, v3
	s_xor_b32 s4, exec_lo, s4
	s_cbranch_execz .LBB30_4033
; %bb.3932:
	v_bfe_u32 v2, v3, 21, 1
	s_mov_b32 s3, exec_lo
	s_delay_alu instid0(VALU_DEP_1) | instskip(NEXT) | instid1(VALU_DEP_1)
	v_add3_u32 v2, v3, v2, 0x88fffff
                                        ; implicit-def: $vgpr3
	v_lshrrev_b32_e32 v2, 21, v2
	s_and_not1_saveexec_b32 s4, s4
	s_cbranch_execnz .LBB30_4034
.LBB30_3933:
	s_or_b32 exec_lo, exec_lo, s4
	v_mov_b32_e32 v5, 0
	s_and_saveexec_b32 s4, s3
.LBB30_3934:
	v_mov_b32_e32 v5, v2
.LBB30_3935:
	s_or_b32 exec_lo, exec_lo, s4
.LBB30_3936:
	s_delay_alu instid0(SALU_CYCLE_1)
	s_or_b32 exec_lo, exec_lo, s1
	s_mov_b32 s1, 0
	global_store_b8 v[0:1], v5, off
.LBB30_3937:
	s_and_b32 vcc_lo, exec_lo, s1
	s_cbranch_vccz .LBB30_3947
; %bb.3938:
	s_wait_xcnt 0x0
	v_cvt_f32_ubyte0_e32 v3, v4
	s_mov_b32 s1, exec_lo
                                        ; implicit-def: $vgpr2
	s_delay_alu instid0(VALU_DEP_1)
	v_cmpx_gt_u32_e32 0x43f00000, v3
	s_xor_b32 s1, exec_lo, s1
	s_cbranch_execz .LBB30_3944
; %bb.3939:
	s_mov_b32 s3, exec_lo
                                        ; implicit-def: $vgpr2
	v_cmpx_lt_u32_e32 0x3c7fffff, v3
	s_xor_b32 s3, exec_lo, s3
; %bb.3940:
	v_bfe_u32 v2, v3, 20, 1
	s_delay_alu instid0(VALU_DEP_1) | instskip(NEXT) | instid1(VALU_DEP_1)
	v_add3_u32 v2, v3, v2, 0x407ffff
	v_and_b32_e32 v3, 0xff00000, v2
	v_lshrrev_b32_e32 v2, 20, v2
	s_delay_alu instid0(VALU_DEP_2) | instskip(NEXT) | instid1(VALU_DEP_2)
	v_cmp_ne_u32_e32 vcc_lo, 0x7f00000, v3
                                        ; implicit-def: $vgpr3
	v_cndmask_b32_e32 v2, 0x7e, v2, vcc_lo
; %bb.3941:
	s_and_not1_saveexec_b32 s3, s3
; %bb.3942:
	v_add_f32_e32 v2, 0x46800000, v3
; %bb.3943:
	s_or_b32 exec_lo, exec_lo, s3
                                        ; implicit-def: $vgpr3
.LBB30_3944:
	s_and_not1_saveexec_b32 s1, s1
; %bb.3945:
	v_mov_b32_e32 v2, 0x7f
	v_cmp_lt_u32_e32 vcc_lo, 0x7f800000, v3
	s_delay_alu instid0(VALU_DEP_2)
	v_cndmask_b32_e32 v2, 0x7e, v2, vcc_lo
; %bb.3946:
	s_or_b32 exec_lo, exec_lo, s1
	global_store_b8 v[0:1], v2, off
.LBB30_3947:
	s_mov_b32 s1, 0
.LBB30_3948:
	s_delay_alu instid0(SALU_CYCLE_1)
	s_and_not1_b32 vcc_lo, exec_lo, s1
	s_cbranch_vccnz .LBB30_3958
; %bb.3949:
	s_wait_xcnt 0x0
	v_cvt_f32_ubyte0_e32 v3, v4
	s_mov_b32 s1, exec_lo
                                        ; implicit-def: $vgpr2
	s_delay_alu instid0(VALU_DEP_1)
	v_cmpx_gt_u32_e32 0x47800000, v3
	s_xor_b32 s1, exec_lo, s1
	s_cbranch_execz .LBB30_3955
; %bb.3950:
	s_mov_b32 s3, exec_lo
                                        ; implicit-def: $vgpr2
	v_cmpx_lt_u32_e32 0x387fffff, v3
	s_xor_b32 s3, exec_lo, s3
; %bb.3951:
	v_bfe_u32 v2, v3, 21, 1
	s_delay_alu instid0(VALU_DEP_1) | instskip(NEXT) | instid1(VALU_DEP_1)
	v_add3_u32 v2, v3, v2, 0x80fffff
                                        ; implicit-def: $vgpr3
	v_lshrrev_b32_e32 v2, 21, v2
; %bb.3952:
	s_and_not1_saveexec_b32 s3, s3
; %bb.3953:
	v_add_f32_e32 v2, 0x43000000, v3
; %bb.3954:
	s_or_b32 exec_lo, exec_lo, s3
                                        ; implicit-def: $vgpr3
.LBB30_3955:
	s_and_not1_saveexec_b32 s1, s1
; %bb.3956:
	v_mov_b32_e32 v2, 0x7f
	v_cmp_lt_u32_e32 vcc_lo, 0x7f800000, v3
	s_delay_alu instid0(VALU_DEP_2)
	v_cndmask_b32_e32 v2, 0x7c, v2, vcc_lo
; %bb.3957:
	s_or_b32 exec_lo, exec_lo, s1
	global_store_b8 v[0:1], v2, off
.LBB30_3958:
	s_mov_b32 s1, 0
.LBB30_3959:
	s_delay_alu instid0(SALU_CYCLE_1)
	s_and_not1_b32 vcc_lo, exec_lo, s1
	s_mov_b32 s1, 0
	s_cbranch_vccnz .LBB30_3966
; %bb.3960:
	s_cmp_gt_i32 s2, 14
	s_mov_b32 s1, -1
	s_cbranch_scc0 .LBB30_3964
; %bb.3961:
	s_cmp_eq_u32 s2, 15
	s_mov_b32 s0, -1
	s_cbranch_scc0 .LBB30_3963
; %bb.3962:
	s_wait_xcnt 0x0
	v_cvt_f32_ubyte0_e32 v2, v4
	s_mov_b32 s0, 0
	s_delay_alu instid0(VALU_DEP_1) | instskip(NEXT) | instid1(VALU_DEP_1)
	v_bfe_u32 v3, v2, 16, 1
	v_add3_u32 v2, v2, v3, 0x7fff
	global_store_d16_hi_b16 v[0:1], v2, off
.LBB30_3963:
	s_mov_b32 s1, 0
.LBB30_3964:
	s_delay_alu instid0(SALU_CYCLE_1)
	s_and_b32 vcc_lo, exec_lo, s1
	s_mov_b32 s1, 0
	s_cbranch_vccz .LBB30_3966
; %bb.3965:
	s_cmp_lg_u32 s2, 11
	s_mov_b32 s1, -1
	s_cselect_b32 s0, -1, 0
.LBB30_3966:
	s_delay_alu instid0(SALU_CYCLE_1)
	s_and_b32 vcc_lo, exec_lo, s0
	s_cbranch_vccnz .LBB30_4032
.LBB30_3967:
	s_mov_b32 s0, 0
	s_branch .LBB30_3969
.LBB30_3968:
	s_mov_b32 s0, 0
	s_mov_b32 s1, 0
                                        ; implicit-def: $sgpr22
                                        ; implicit-def: $vgpr0_vgpr1
                                        ; implicit-def: $vgpr4
.LBB30_3969:
	s_and_not1_b32 s2, s21, exec_lo
	s_and_b32 s3, s16, exec_lo
	s_and_b32 s0, s0, exec_lo
	;; [unrolled: 1-line block ×3, first 2 shown]
	s_or_b32 s21, s2, s3
.LBB30_3970:
	s_wait_xcnt 0x0
	s_or_b32 exec_lo, exec_lo, s20
	s_and_saveexec_b32 s1, s21
	s_cbranch_execz .LBB30_3973
; %bb.3971:
	; divergent unreachable
	s_or_b32 exec_lo, exec_lo, s1
	s_and_saveexec_b32 s1, s19
	s_delay_alu instid0(SALU_CYCLE_1)
	s_xor_b32 s1, exec_lo, s1
	s_cbranch_execnz .LBB30_3974
.LBB30_3972:
	s_or_b32 exec_lo, exec_lo, s1
	s_and_saveexec_b32 s1, s0
	s_cbranch_execnz .LBB30_3975
	s_branch .LBB30_4012
.LBB30_3973:
	s_or_b32 exec_lo, exec_lo, s1
	s_and_saveexec_b32 s1, s19
	s_delay_alu instid0(SALU_CYCLE_1)
	s_xor_b32 s1, exec_lo, s1
	s_cbranch_execz .LBB30_3972
.LBB30_3974:
	s_wait_loadcnt 0x0
	v_and_b32_e32 v2, 0xff, v4
	s_delay_alu instid0(VALU_DEP_1)
	v_cmp_ne_u16_e32 vcc_lo, 0, v2
	v_cndmask_b32_e64 v2, 0, 1, vcc_lo
	global_store_b8 v[0:1], v2, off
	s_wait_xcnt 0x0
	s_or_b32 exec_lo, exec_lo, s1
	s_and_saveexec_b32 s1, s0
	s_cbranch_execz .LBB30_4012
.LBB30_3975:
	s_sext_i32_i16 s1, s22
	s_mov_b32 s0, -1
	s_cmp_lt_i32 s1, 5
	s_cbranch_scc1 .LBB30_3996
; %bb.3976:
	s_cmp_lt_i32 s1, 8
	s_cbranch_scc1 .LBB30_3986
; %bb.3977:
	;; [unrolled: 3-line block ×3, first 2 shown]
	s_cmp_gt_i32 s1, 9
	s_cbranch_scc0 .LBB30_3980
; %bb.3979:
	s_wait_loadcnt 0x0
	v_and_b32_e32 v2, 0xff, v4
	v_mov_b32_e32 v8, 0
	s_mov_b32 s0, 0
	s_delay_alu instid0(VALU_DEP_2) | instskip(NEXT) | instid1(VALU_DEP_2)
	v_and_b32_e32 v2, 0xffff, v2
	v_mov_b32_e32 v9, v8
	s_delay_alu instid0(VALU_DEP_2)
	v_cvt_f64_u32_e32 v[6:7], v2
	global_store_b128 v[0:1], v[6:9], off
.LBB30_3980:
	s_and_not1_b32 vcc_lo, exec_lo, s0
	s_cbranch_vccnz .LBB30_3982
; %bb.3981:
	s_wait_loadcnt 0x0
	v_cvt_f32_ubyte0_e32 v2, v4
	v_mov_b32_e32 v3, 0
	global_store_b64 v[0:1], v[2:3], off
.LBB30_3982:
	s_mov_b32 s0, 0
.LBB30_3983:
	s_delay_alu instid0(SALU_CYCLE_1)
	s_and_not1_b32 vcc_lo, exec_lo, s0
	s_cbranch_vccnz .LBB30_3985
; %bb.3984:
	s_wait_loadcnt 0x0
	v_and_b32_e32 v2, 0xff, v4
	s_delay_alu instid0(VALU_DEP_1) | instskip(NEXT) | instid1(VALU_DEP_1)
	v_cvt_f16_u16_e32 v2, v2
	v_and_b32_e32 v2, 0xffff, v2
	global_store_b32 v[0:1], v2, off
.LBB30_3985:
	s_mov_b32 s0, 0
.LBB30_3986:
	s_delay_alu instid0(SALU_CYCLE_1)
	s_and_not1_b32 vcc_lo, exec_lo, s0
	s_cbranch_vccnz .LBB30_3995
; %bb.3987:
	s_sext_i32_i16 s1, s22
	s_mov_b32 s0, -1
	s_cmp_lt_i32 s1, 6
	s_cbranch_scc1 .LBB30_3993
; %bb.3988:
	s_cmp_gt_i32 s1, 6
	s_cbranch_scc0 .LBB30_3990
; %bb.3989:
	s_wait_loadcnt 0x0
	v_and_b32_e32 v2, 0xff, v4
	s_mov_b32 s0, 0
	s_delay_alu instid0(VALU_DEP_1) | instskip(NEXT) | instid1(VALU_DEP_1)
	v_and_b32_e32 v2, 0xffff, v2
	v_cvt_f64_u32_e32 v[2:3], v2
	global_store_b64 v[0:1], v[2:3], off
.LBB30_3990:
	s_and_not1_b32 vcc_lo, exec_lo, s0
	s_cbranch_vccnz .LBB30_3992
; %bb.3991:
	s_wait_loadcnt 0x0
	v_cvt_f32_ubyte0_e32 v2, v4
	global_store_b32 v[0:1], v2, off
.LBB30_3992:
	s_mov_b32 s0, 0
.LBB30_3993:
	s_delay_alu instid0(SALU_CYCLE_1)
	s_and_not1_b32 vcc_lo, exec_lo, s0
	s_cbranch_vccnz .LBB30_3995
; %bb.3994:
	s_wait_loadcnt 0x0
	v_and_b32_e32 v2, 0xff, v4
	s_delay_alu instid0(VALU_DEP_1)
	v_cvt_f16_u16_e32 v2, v2
	global_store_b16 v[0:1], v2, off
.LBB30_3995:
	s_mov_b32 s0, 0
.LBB30_3996:
	s_delay_alu instid0(SALU_CYCLE_1)
	s_and_not1_b32 vcc_lo, exec_lo, s0
	s_cbranch_vccnz .LBB30_4012
; %bb.3997:
	s_sext_i32_i16 s1, s22
	s_mov_b32 s0, -1
	s_cmp_lt_i32 s1, 2
	s_cbranch_scc1 .LBB30_4007
; %bb.3998:
	s_cmp_lt_i32 s1, 3
	s_cbranch_scc1 .LBB30_4004
; %bb.3999:
	s_wait_loadcnt 0x0
	v_and_b32_e32 v2, 0xff, v4
	s_cmp_gt_i32 s1, 3
	s_cbranch_scc0 .LBB30_4001
; %bb.4000:
	v_mov_b32_e32 v3, 0
	s_mov_b32 s0, 0
	global_store_b64 v[0:1], v[2:3], off
.LBB30_4001:
	s_and_not1_b32 vcc_lo, exec_lo, s0
	s_cbranch_vccnz .LBB30_4003
; %bb.4002:
	global_store_b32 v[0:1], v2, off
.LBB30_4003:
	s_mov_b32 s0, 0
.LBB30_4004:
	s_delay_alu instid0(SALU_CYCLE_1)
	s_and_not1_b32 vcc_lo, exec_lo, s0
	s_cbranch_vccnz .LBB30_4006
; %bb.4005:
	s_wait_loadcnt 0x0
	v_and_b32_e32 v2, 0xff, v4
	global_store_b16 v[0:1], v2, off
.LBB30_4006:
	s_mov_b32 s0, 0
.LBB30_4007:
	s_delay_alu instid0(SALU_CYCLE_1)
	s_and_not1_b32 vcc_lo, exec_lo, s0
	s_cbranch_vccnz .LBB30_4012
; %bb.4008:
	s_sext_i32_i16 s0, s22
	s_delay_alu instid0(SALU_CYCLE_1)
	s_cmp_gt_i32 s0, 0
	s_mov_b32 s0, -1
	s_cbranch_scc0 .LBB30_4010
; %bb.4009:
	s_mov_b32 s0, 0
	s_wait_loadcnt 0x0
	global_store_b8 v[0:1], v4, off
.LBB30_4010:
	s_and_not1_b32 vcc_lo, exec_lo, s0
	s_cbranch_vccnz .LBB30_4012
; %bb.4011:
	s_wait_loadcnt 0x0
	global_store_b8 v[0:1], v4, off
	s_endpgm
.LBB30_4012:
	s_endpgm
.LBB30_4013:
	s_mov_b32 s1, 0
	s_mov_b32 s0, -1
	s_branch .LBB30_3969
.LBB30_4014:
	s_or_b32 s16, s16, exec_lo
	s_trap 2
	s_cbranch_execz .LBB30_3483
	s_branch .LBB30_3484
.LBB30_4015:
	s_and_not1_saveexec_b32 s9, s9
	s_cbranch_execz .LBB30_3563
.LBB30_4016:
	v_add_f32_e32 v3, 0x46000000, v4
	s_and_not1_b32 s8, s8, exec_lo
	s_delay_alu instid0(VALU_DEP_1) | instskip(NEXT) | instid1(VALU_DEP_1)
	v_and_b32_e32 v3, 0xff, v3
	v_cmp_ne_u32_e32 vcc_lo, 0, v3
	s_and_b32 s10, vcc_lo, exec_lo
	s_delay_alu instid0(SALU_CYCLE_1)
	s_or_b32 s8, s8, s10
	s_or_b32 exec_lo, exec_lo, s9
	v_mov_b32_e32 v5, 0
	s_and_saveexec_b32 s9, s8
	s_cbranch_execnz .LBB30_3564
	s_branch .LBB30_3565
.LBB30_4017:
	s_or_b32 s16, s16, exec_lo
	s_trap 2
	s_cbranch_execz .LBB30_3611
	s_branch .LBB30_3612
.LBB30_4018:
	s_and_not1_saveexec_b32 s8, s8
	s_cbranch_execz .LBB30_3576
.LBB30_4019:
	v_add_f32_e32 v3, 0x42800000, v4
	s_and_not1_b32 s7, s7, exec_lo
	s_delay_alu instid0(VALU_DEP_1) | instskip(NEXT) | instid1(VALU_DEP_1)
	v_and_b32_e32 v3, 0xff, v3
	v_cmp_ne_u32_e32 vcc_lo, 0, v3
	s_and_b32 s9, vcc_lo, exec_lo
	s_delay_alu instid0(SALU_CYCLE_1)
	s_or_b32 s7, s7, s9
	s_or_b32 exec_lo, exec_lo, s8
	v_mov_b32_e32 v5, 0
	s_and_saveexec_b32 s8, s7
	s_cbranch_execnz .LBB30_3577
	s_branch .LBB30_3578
.LBB30_4020:
	s_and_not1_saveexec_b32 s10, s10
	s_cbranch_execz .LBB30_3682
.LBB30_4021:
	v_add_f32_e32 v4, 0x46000000, v5
	s_and_not1_b32 s9, s9, exec_lo
	s_delay_alu instid0(VALU_DEP_1) | instskip(NEXT) | instid1(VALU_DEP_1)
	v_and_b32_e32 v4, 0xff, v4
	v_cmp_ne_u32_e32 vcc_lo, 0, v4
	s_and_b32 s11, vcc_lo, exec_lo
	s_delay_alu instid0(SALU_CYCLE_1)
	s_or_b32 s9, s9, s11
	s_or_b32 exec_lo, exec_lo, s10
	v_mov_b32_e32 v6, 0
	s_and_saveexec_b32 s10, s9
	s_cbranch_execnz .LBB30_3683
	s_branch .LBB30_3684
.LBB30_4022:
	s_or_b32 s16, s16, exec_lo
	s_trap 2
	s_cbranch_execz .LBB30_3730
	s_branch .LBB30_3731
.LBB30_4023:
	s_and_not1_saveexec_b32 s9, s9
	s_cbranch_execz .LBB30_3695
.LBB30_4024:
	v_add_f32_e32 v4, 0x42800000, v5
	s_and_not1_b32 s8, s8, exec_lo
	s_delay_alu instid0(VALU_DEP_1) | instskip(NEXT) | instid1(VALU_DEP_1)
	v_and_b32_e32 v4, 0xff, v4
	v_cmp_ne_u32_e32 vcc_lo, 0, v4
	s_and_b32 s10, vcc_lo, exec_lo
	s_delay_alu instid0(SALU_CYCLE_1)
	s_or_b32 s8, s8, s10
	s_or_b32 exec_lo, exec_lo, s9
	v_mov_b32_e32 v6, 0
	s_and_saveexec_b32 s9, s8
	s_cbranch_execnz .LBB30_3696
	s_branch .LBB30_3697
.LBB30_4025:
	s_and_not1_saveexec_b32 s10, s10
	s_cbranch_execz .LBB30_3801
.LBB30_4026:
	v_add_f32_e32 v4, 0x46000000, v5
	s_and_not1_b32 s9, s9, exec_lo
	s_delay_alu instid0(VALU_DEP_1) | instskip(NEXT) | instid1(VALU_DEP_1)
	v_and_b32_e32 v4, 0xff, v4
	v_cmp_ne_u32_e32 vcc_lo, 0, v4
	s_and_b32 s11, vcc_lo, exec_lo
	s_delay_alu instid0(SALU_CYCLE_1)
	s_or_b32 s9, s9, s11
	s_or_b32 exec_lo, exec_lo, s10
	v_mov_b32_e32 v6, 0
	s_and_saveexec_b32 s10, s9
	s_cbranch_execnz .LBB30_3802
	s_branch .LBB30_3803
.LBB30_4027:
	s_or_b32 s16, s16, exec_lo
	s_trap 2
	s_cbranch_execz .LBB30_3849
	s_branch .LBB30_3850
.LBB30_4028:
	s_and_not1_saveexec_b32 s9, s9
	s_cbranch_execz .LBB30_3814
.LBB30_4029:
	v_add_f32_e32 v4, 0x42800000, v5
	s_and_not1_b32 s8, s8, exec_lo
	s_delay_alu instid0(VALU_DEP_1) | instskip(NEXT) | instid1(VALU_DEP_1)
	v_and_b32_e32 v4, 0xff, v4
	v_cmp_ne_u32_e32 vcc_lo, 0, v4
	s_and_b32 s10, vcc_lo, exec_lo
	s_delay_alu instid0(SALU_CYCLE_1)
	s_or_b32 s8, s8, s10
	s_or_b32 exec_lo, exec_lo, s9
	v_mov_b32_e32 v6, 0
	s_and_saveexec_b32 s9, s8
	s_cbranch_execnz .LBB30_3815
	s_branch .LBB30_3816
.LBB30_4030:
	s_and_not1_saveexec_b32 s5, s5
	s_cbranch_execz .LBB30_3921
.LBB30_4031:
	v_add_f32_e32 v2, 0x46000000, v3
	s_and_not1_b32 s4, s4, exec_lo
	s_delay_alu instid0(VALU_DEP_1) | instskip(NEXT) | instid1(VALU_DEP_1)
	v_and_b32_e32 v2, 0xff, v2
	v_cmp_ne_u32_e32 vcc_lo, 0, v2
	s_and_b32 s6, vcc_lo, exec_lo
	s_delay_alu instid0(SALU_CYCLE_1)
	s_or_b32 s4, s4, s6
	s_or_b32 exec_lo, exec_lo, s5
	v_mov_b32_e32 v5, 0
	s_and_saveexec_b32 s5, s4
	s_cbranch_execnz .LBB30_3922
	s_branch .LBB30_3923
.LBB30_4032:
	s_mov_b32 s1, 0
	s_or_b32 s16, s16, exec_lo
	s_trap 2
	s_branch .LBB30_3967
.LBB30_4033:
	s_and_not1_saveexec_b32 s4, s4
	s_cbranch_execz .LBB30_3933
.LBB30_4034:
	v_add_f32_e32 v2, 0x42800000, v3
	s_and_not1_b32 s3, s3, exec_lo
	s_delay_alu instid0(VALU_DEP_1) | instskip(NEXT) | instid1(VALU_DEP_1)
	v_and_b32_e32 v2, 0xff, v2
	v_cmp_ne_u32_e32 vcc_lo, 0, v2
	s_and_b32 s5, vcc_lo, exec_lo
	s_delay_alu instid0(SALU_CYCLE_1)
	s_or_b32 s3, s3, s5
	s_or_b32 exec_lo, exec_lo, s4
	v_mov_b32_e32 v5, 0
	s_and_saveexec_b32 s4, s3
	s_cbranch_execnz .LBB30_3934
	s_branch .LBB30_3935
	.section	.rodata,"a",@progbits
	.p2align	6, 0x0
	.amdhsa_kernel _ZN2at6native32elementwise_kernel_manual_unrollILi128ELi4EZNS0_15gpu_kernel_implIZZZNS0_12_GLOBAL__N_116addr_kernel_cudaERNS_14TensorIteratorERKN3c106ScalarES9_ENKUlvE_clEvENKUlvE_clEvEUlhhhE0_EEvRNS_18TensorIteratorBaseERKT_EUlibE_EEviT1_
		.amdhsa_group_segment_fixed_size 0
		.amdhsa_private_segment_fixed_size 0
		.amdhsa_kernarg_size 64
		.amdhsa_user_sgpr_count 2
		.amdhsa_user_sgpr_dispatch_ptr 0
		.amdhsa_user_sgpr_queue_ptr 0
		.amdhsa_user_sgpr_kernarg_segment_ptr 1
		.amdhsa_user_sgpr_dispatch_id 0
		.amdhsa_user_sgpr_kernarg_preload_length 0
		.amdhsa_user_sgpr_kernarg_preload_offset 0
		.amdhsa_user_sgpr_private_segment_size 0
		.amdhsa_wavefront_size32 1
		.amdhsa_uses_dynamic_stack 0
		.amdhsa_enable_private_segment 0
		.amdhsa_system_sgpr_workgroup_id_x 1
		.amdhsa_system_sgpr_workgroup_id_y 0
		.amdhsa_system_sgpr_workgroup_id_z 0
		.amdhsa_system_sgpr_workgroup_info 0
		.amdhsa_system_vgpr_workitem_id 0
		.amdhsa_next_free_vgpr 30
		.amdhsa_next_free_sgpr 44
		.amdhsa_named_barrier_count 0
		.amdhsa_reserve_vcc 1
		.amdhsa_float_round_mode_32 0
		.amdhsa_float_round_mode_16_64 0
		.amdhsa_float_denorm_mode_32 3
		.amdhsa_float_denorm_mode_16_64 3
		.amdhsa_fp16_overflow 0
		.amdhsa_memory_ordered 1
		.amdhsa_forward_progress 1
		.amdhsa_inst_pref_size 255
		.amdhsa_round_robin_scheduling 0
		.amdhsa_exception_fp_ieee_invalid_op 0
		.amdhsa_exception_fp_denorm_src 0
		.amdhsa_exception_fp_ieee_div_zero 0
		.amdhsa_exception_fp_ieee_overflow 0
		.amdhsa_exception_fp_ieee_underflow 0
		.amdhsa_exception_fp_ieee_inexact 0
		.amdhsa_exception_int_div_zero 0
	.end_amdhsa_kernel
	.section	.text._ZN2at6native32elementwise_kernel_manual_unrollILi128ELi4EZNS0_15gpu_kernel_implIZZZNS0_12_GLOBAL__N_116addr_kernel_cudaERNS_14TensorIteratorERKN3c106ScalarES9_ENKUlvE_clEvENKUlvE_clEvEUlhhhE0_EEvRNS_18TensorIteratorBaseERKT_EUlibE_EEviT1_,"axG",@progbits,_ZN2at6native32elementwise_kernel_manual_unrollILi128ELi4EZNS0_15gpu_kernel_implIZZZNS0_12_GLOBAL__N_116addr_kernel_cudaERNS_14TensorIteratorERKN3c106ScalarES9_ENKUlvE_clEvENKUlvE_clEvEUlhhhE0_EEvRNS_18TensorIteratorBaseERKT_EUlibE_EEviT1_,comdat
.Lfunc_end30:
	.size	_ZN2at6native32elementwise_kernel_manual_unrollILi128ELi4EZNS0_15gpu_kernel_implIZZZNS0_12_GLOBAL__N_116addr_kernel_cudaERNS_14TensorIteratorERKN3c106ScalarES9_ENKUlvE_clEvENKUlvE_clEvEUlhhhE0_EEvRNS_18TensorIteratorBaseERKT_EUlibE_EEviT1_, .Lfunc_end30-_ZN2at6native32elementwise_kernel_manual_unrollILi128ELi4EZNS0_15gpu_kernel_implIZZZNS0_12_GLOBAL__N_116addr_kernel_cudaERNS_14TensorIteratorERKN3c106ScalarES9_ENKUlvE_clEvENKUlvE_clEvEUlhhhE0_EEvRNS_18TensorIteratorBaseERKT_EUlibE_EEviT1_
                                        ; -- End function
	.set _ZN2at6native32elementwise_kernel_manual_unrollILi128ELi4EZNS0_15gpu_kernel_implIZZZNS0_12_GLOBAL__N_116addr_kernel_cudaERNS_14TensorIteratorERKN3c106ScalarES9_ENKUlvE_clEvENKUlvE_clEvEUlhhhE0_EEvRNS_18TensorIteratorBaseERKT_EUlibE_EEviT1_.num_vgpr, 30
	.set _ZN2at6native32elementwise_kernel_manual_unrollILi128ELi4EZNS0_15gpu_kernel_implIZZZNS0_12_GLOBAL__N_116addr_kernel_cudaERNS_14TensorIteratorERKN3c106ScalarES9_ENKUlvE_clEvENKUlvE_clEvEUlhhhE0_EEvRNS_18TensorIteratorBaseERKT_EUlibE_EEviT1_.num_agpr, 0
	.set _ZN2at6native32elementwise_kernel_manual_unrollILi128ELi4EZNS0_15gpu_kernel_implIZZZNS0_12_GLOBAL__N_116addr_kernel_cudaERNS_14TensorIteratorERKN3c106ScalarES9_ENKUlvE_clEvENKUlvE_clEvEUlhhhE0_EEvRNS_18TensorIteratorBaseERKT_EUlibE_EEviT1_.numbered_sgpr, 44
	.set _ZN2at6native32elementwise_kernel_manual_unrollILi128ELi4EZNS0_15gpu_kernel_implIZZZNS0_12_GLOBAL__N_116addr_kernel_cudaERNS_14TensorIteratorERKN3c106ScalarES9_ENKUlvE_clEvENKUlvE_clEvEUlhhhE0_EEvRNS_18TensorIteratorBaseERKT_EUlibE_EEviT1_.num_named_barrier, 0
	.set _ZN2at6native32elementwise_kernel_manual_unrollILi128ELi4EZNS0_15gpu_kernel_implIZZZNS0_12_GLOBAL__N_116addr_kernel_cudaERNS_14TensorIteratorERKN3c106ScalarES9_ENKUlvE_clEvENKUlvE_clEvEUlhhhE0_EEvRNS_18TensorIteratorBaseERKT_EUlibE_EEviT1_.private_seg_size, 0
	.set _ZN2at6native32elementwise_kernel_manual_unrollILi128ELi4EZNS0_15gpu_kernel_implIZZZNS0_12_GLOBAL__N_116addr_kernel_cudaERNS_14TensorIteratorERKN3c106ScalarES9_ENKUlvE_clEvENKUlvE_clEvEUlhhhE0_EEvRNS_18TensorIteratorBaseERKT_EUlibE_EEviT1_.uses_vcc, 1
	.set _ZN2at6native32elementwise_kernel_manual_unrollILi128ELi4EZNS0_15gpu_kernel_implIZZZNS0_12_GLOBAL__N_116addr_kernel_cudaERNS_14TensorIteratorERKN3c106ScalarES9_ENKUlvE_clEvENKUlvE_clEvEUlhhhE0_EEvRNS_18TensorIteratorBaseERKT_EUlibE_EEviT1_.uses_flat_scratch, 0
	.set _ZN2at6native32elementwise_kernel_manual_unrollILi128ELi4EZNS0_15gpu_kernel_implIZZZNS0_12_GLOBAL__N_116addr_kernel_cudaERNS_14TensorIteratorERKN3c106ScalarES9_ENKUlvE_clEvENKUlvE_clEvEUlhhhE0_EEvRNS_18TensorIteratorBaseERKT_EUlibE_EEviT1_.has_dyn_sized_stack, 0
	.set _ZN2at6native32elementwise_kernel_manual_unrollILi128ELi4EZNS0_15gpu_kernel_implIZZZNS0_12_GLOBAL__N_116addr_kernel_cudaERNS_14TensorIteratorERKN3c106ScalarES9_ENKUlvE_clEvENKUlvE_clEvEUlhhhE0_EEvRNS_18TensorIteratorBaseERKT_EUlibE_EEviT1_.has_recursion, 0
	.set _ZN2at6native32elementwise_kernel_manual_unrollILi128ELi4EZNS0_15gpu_kernel_implIZZZNS0_12_GLOBAL__N_116addr_kernel_cudaERNS_14TensorIteratorERKN3c106ScalarES9_ENKUlvE_clEvENKUlvE_clEvEUlhhhE0_EEvRNS_18TensorIteratorBaseERKT_EUlibE_EEviT1_.has_indirect_call, 0
	.section	.AMDGPU.csdata,"",@progbits
; Kernel info:
; codeLenInByte = 83144
; TotalNumSgprs: 46
; NumVgprs: 30
; ScratchSize: 0
; MemoryBound: 1
; FloatMode: 240
; IeeeMode: 1
; LDSByteSize: 0 bytes/workgroup (compile time only)
; SGPRBlocks: 0
; VGPRBlocks: 1
; NumSGPRsForWavesPerEU: 46
; NumVGPRsForWavesPerEU: 30
; NamedBarCnt: 0
; Occupancy: 16
; WaveLimiterHint : 0
; COMPUTE_PGM_RSRC2:SCRATCH_EN: 0
; COMPUTE_PGM_RSRC2:USER_SGPR: 2
; COMPUTE_PGM_RSRC2:TRAP_HANDLER: 0
; COMPUTE_PGM_RSRC2:TGID_X_EN: 1
; COMPUTE_PGM_RSRC2:TGID_Y_EN: 0
; COMPUTE_PGM_RSRC2:TGID_Z_EN: 0
; COMPUTE_PGM_RSRC2:TIDIG_COMP_CNT: 0
	.section	.text._ZN2at6native32elementwise_kernel_manual_unrollILi128ELi4EZNS0_15gpu_kernel_implIZZZNS0_12_GLOBAL__N_116addr_kernel_cudaERNS_14TensorIteratorERKN3c106ScalarES9_ENKUlvE_clEvENKUlvE_clEvEUlhhhE0_EEvRNS_18TensorIteratorBaseERKT_EUlibE0_EEviT1_,"axG",@progbits,_ZN2at6native32elementwise_kernel_manual_unrollILi128ELi4EZNS0_15gpu_kernel_implIZZZNS0_12_GLOBAL__N_116addr_kernel_cudaERNS_14TensorIteratorERKN3c106ScalarES9_ENKUlvE_clEvENKUlvE_clEvEUlhhhE0_EEvRNS_18TensorIteratorBaseERKT_EUlibE0_EEviT1_,comdat
	.globl	_ZN2at6native32elementwise_kernel_manual_unrollILi128ELi4EZNS0_15gpu_kernel_implIZZZNS0_12_GLOBAL__N_116addr_kernel_cudaERNS_14TensorIteratorERKN3c106ScalarES9_ENKUlvE_clEvENKUlvE_clEvEUlhhhE0_EEvRNS_18TensorIteratorBaseERKT_EUlibE0_EEviT1_ ; -- Begin function _ZN2at6native32elementwise_kernel_manual_unrollILi128ELi4EZNS0_15gpu_kernel_implIZZZNS0_12_GLOBAL__N_116addr_kernel_cudaERNS_14TensorIteratorERKN3c106ScalarES9_ENKUlvE_clEvENKUlvE_clEvEUlhhhE0_EEvRNS_18TensorIteratorBaseERKT_EUlibE0_EEviT1_
	.p2align	8
	.type	_ZN2at6native32elementwise_kernel_manual_unrollILi128ELi4EZNS0_15gpu_kernel_implIZZZNS0_12_GLOBAL__N_116addr_kernel_cudaERNS_14TensorIteratorERKN3c106ScalarES9_ENKUlvE_clEvENKUlvE_clEvEUlhhhE0_EEvRNS_18TensorIteratorBaseERKT_EUlibE0_EEviT1_,@function
_ZN2at6native32elementwise_kernel_manual_unrollILi128ELi4EZNS0_15gpu_kernel_implIZZZNS0_12_GLOBAL__N_116addr_kernel_cudaERNS_14TensorIteratorERKN3c106ScalarES9_ENKUlvE_clEvENKUlvE_clEvEUlhhhE0_EEvRNS_18TensorIteratorBaseERKT_EUlibE0_EEviT1_: ; @_ZN2at6native32elementwise_kernel_manual_unrollILi128ELi4EZNS0_15gpu_kernel_implIZZZNS0_12_GLOBAL__N_116addr_kernel_cudaERNS_14TensorIteratorERKN3c106ScalarES9_ENKUlvE_clEvENKUlvE_clEvEUlhhhE0_EEvRNS_18TensorIteratorBaseERKT_EUlibE0_EEviT1_
; %bb.0:
	s_clause 0x1
	s_load_b32 s33, s[0:1], 0x8
	s_load_b32 s46, s[0:1], 0x0
	s_bfe_u32 s2, ttmp6, 0x4000c
	s_and_b32 s3, ttmp6, 15
	s_add_co_i32 s2, s2, 1
	s_getreg_b32 s4, hwreg(HW_REG_IB_STS2, 6, 4)
	s_mul_i32 s2, ttmp9, s2
	s_mov_b32 s39, 0
	s_add_co_i32 s3, s3, s2
	s_cmp_eq_u32 s4, 0
	s_mov_b32 s35, -1
	s_cselect_b32 s2, ttmp9, s3
	s_mov_b32 s10, 0
	v_lshl_or_b32 v0, s2, 9, v0
	s_add_nc_u64 s[2:3], s[0:1], 8
	s_wait_xcnt 0x0
	s_mov_b32 s0, exec_lo
	s_delay_alu instid0(VALU_DEP_1) | instskip(SKIP_2) | instid1(SALU_CYCLE_1)
	v_or_b32_e32 v5, 0x180, v0
	s_wait_kmcnt 0x0
	s_add_co_i32 s38, s33, -1
	s_cmp_gt_u32 s38, 1
	s_cselect_b32 s40, -1, 0
	v_cmpx_le_i32_e64 s46, v5
	s_xor_b32 s41, exec_lo, s0
	s_cbranch_execz .LBB31_2061
; %bb.1:
	s_clause 0x4
	s_load_b128 s[20:23], s[2:3], 0x4
	s_load_b64 s[0:1], s[2:3], 0x14
	s_load_b64 s[24:25], s[2:3], 0x1e8
	s_load_b256 s[12:19], s[2:3], 0xc4
	s_load_b256 s[4:11], s[2:3], 0x1c8
	s_cmp_lg_u32 s33, 0
	s_mov_b32 s27, 0
	s_cselect_b32 s47, -1, 0
	s_min_u32 s44, s38, 15
	s_cmp_gt_u32 s33, 1
	s_mov_b32 s31, s27
	s_cselect_b32 s43, -1, 0
	s_mov_b32 s50, s27
	s_mov_b32 s49, s27
	;; [unrolled: 1-line block ×4, first 2 shown]
	s_mov_b32 s51, exec_lo
	s_wait_kmcnt 0x0
	s_mov_b32 s26, s21
	s_mov_b32 s30, s0
	s_lshr_b64 s[28:29], s[24:25], 24
	s_lshr_b32 s42, s24, 8
	s_lshr_b32 s21, s24, 16
	;; [unrolled: 1-line block ×3, first 2 shown]
	v_cmpx_gt_i32_e64 s46, v0
	s_cbranch_execz .LBB31_511
; %bb.2:
	s_and_not1_b32 vcc_lo, exec_lo, s40
	s_cbranch_vccnz .LBB31_8
; %bb.3:
	s_and_not1_b32 vcc_lo, exec_lo, s47
	s_cbranch_vccnz .LBB31_9
; %bb.4:
	v_dual_mov_b32 v8, 0 :: v_dual_mov_b32 v1, v0
	v_dual_mov_b32 v6, 0 :: v_dual_mov_b32 v2, 0
	v_mov_b32_e32 v4, 0
	s_add_co_i32 s0, s44, 1
	s_mov_b64 s[34:35], 0xffffffffffffffe0
	s_and_b32 s0, s0, 30
	s_add_nc_u64 s[34:35], s[2:3], s[34:35]
	s_mov_b64 s[36:37], s[2:3]
.LBB31_5:                               ; =>This Inner Loop Header: Depth=1
	s_clause 0x1
	s_load_b128 s[60:63], s[36:37], 0x4
	s_load_b64 s[48:49], s[36:37], 0x14
	s_load_b256 s[52:59], s[34:35], 0xe4
	s_add_co_i32 s0, s0, -2
	s_wait_xcnt 0x0
	s_add_nc_u64 s[36:37], s[36:37], 24
	s_cmp_lg_u32 s0, 0
	s_add_nc_u64 s[34:35], s[34:35], 32
	s_wait_kmcnt 0x0
	v_mul_hi_u32 v3, s61, v1
	s_delay_alu instid0(VALU_DEP_1) | instskip(NEXT) | instid1(VALU_DEP_1)
	v_add_nc_u32_e32 v3, v1, v3
	v_lshrrev_b32_e32 v3, s62, v3
	s_delay_alu instid0(VALU_DEP_1) | instskip(SKIP_1) | instid1(VALU_DEP_1)
	v_mul_hi_u32 v5, s48, v3
	v_mul_lo_u32 v7, v3, s60
	v_dual_add_nc_u32 v5, v3, v5 :: v_dual_sub_nc_u32 v7, v1, v7
	s_delay_alu instid0(VALU_DEP_1) | instskip(NEXT) | instid1(VALU_DEP_2)
	v_lshrrev_b32_e32 v1, s49, v5
	v_mad_u32 v4, v7, s53, v4
	v_mad_u32 v2, v7, s52, v2
	;; [unrolled: 1-line block ×4, first 2 shown]
	v_mul_lo_u32 v5, v1, s63
	s_delay_alu instid0(VALU_DEP_1) | instskip(NEXT) | instid1(VALU_DEP_1)
	v_sub_nc_u32_e32 v3, v3, v5
	v_mad_u32 v4, v3, s57, v4
	v_mad_u32 v2, v3, s56, v2
	;; [unrolled: 1-line block ×4, first 2 shown]
	s_cbranch_scc1 .LBB31_5
; %bb.6:
	s_bitcmp1_b32 s44, 0
	s_cselect_b32 s0, -1, 0
	s_delay_alu instid0(SALU_CYCLE_1)
	s_and_b32 vcc_lo, exec_lo, s0
	s_cbranch_vccnz .LBB31_10
; %bb.7:
	s_load_b96 s[48:50], s[36:37], 0x4
	s_load_b128 s[52:55], s[34:35], 0xe4
	s_wait_kmcnt 0x0
	v_mul_hi_u32 v3, s49, v1
	s_delay_alu instid0(VALU_DEP_1) | instskip(NEXT) | instid1(VALU_DEP_1)
	v_add_nc_u32_e32 v3, v1, v3
	v_lshrrev_b32_e32 v3, s50, v3
	s_delay_alu instid0(VALU_DEP_1) | instskip(NEXT) | instid1(VALU_DEP_1)
	v_mul_lo_u32 v3, v3, s48
	v_sub_nc_u32_e32 v1, v1, v3
	s_delay_alu instid0(VALU_DEP_1)
	v_mad_u32 v2, v1, s52, v2
	v_mad_u32 v4, v1, s53, v4
	v_mad_u32 v8, v1, s54, v8
	v_mad_u32 v6, v1, s55, v6
	s_cbranch_execz .LBB31_11
	s_branch .LBB31_13
.LBB31_8:
                                        ; implicit-def: $vgpr4
                                        ; implicit-def: $vgpr2
                                        ; implicit-def: $vgpr6
                                        ; implicit-def: $vgpr8
	s_branch .LBB31_11
.LBB31_9:
	v_dual_mov_b32 v4, 0 :: v_dual_mov_b32 v2, 0
	v_dual_mov_b32 v6, 0 :: v_dual_mov_b32 v8, 0
.LBB31_10:
	s_cbranch_execnz .LBB31_13
.LBB31_11:
	v_mov_b32_e32 v1, 0
	s_and_not1_b32 vcc_lo, exec_lo, s43
	s_delay_alu instid0(VALU_DEP_1) | instskip(NEXT) | instid1(VALU_DEP_1)
	v_mul_u64_e32 v[2:3], s[26:27], v[0:1]
	v_add_nc_u32_e32 v2, v0, v3
	s_delay_alu instid0(VALU_DEP_1) | instskip(NEXT) | instid1(VALU_DEP_1)
	v_lshrrev_b32_e32 v10, s22, v2
	v_mul_lo_u32 v2, v10, s20
	s_delay_alu instid0(VALU_DEP_1) | instskip(NEXT) | instid1(VALU_DEP_1)
	v_sub_nc_u32_e32 v3, v0, v2
	v_mul_lo_u32 v4, v3, s13
	v_mul_lo_u32 v2, v3, s12
	;; [unrolled: 1-line block ×4, first 2 shown]
	s_cbranch_vccnz .LBB31_13
; %bb.12:
	v_mov_b32_e32 v11, v1
	s_delay_alu instid0(VALU_DEP_1) | instskip(NEXT) | instid1(VALU_DEP_1)
	v_mul_u64_e32 v[12:13], s[30:31], v[10:11]
	v_add_nc_u32_e32 v1, v10, v13
	s_delay_alu instid0(VALU_DEP_1) | instskip(NEXT) | instid1(VALU_DEP_1)
	v_lshrrev_b32_e32 v1, s1, v1
	v_mul_lo_u32 v1, v1, s23
	s_delay_alu instid0(VALU_DEP_1) | instskip(NEXT) | instid1(VALU_DEP_1)
	v_sub_nc_u32_e32 v1, v10, v1
	v_mad_u32 v2, v1, s16, v2
	v_mad_u32 v4, v1, s17, v4
	;; [unrolled: 1-line block ×4, first 2 shown]
.LBB31_13:
	v_mov_b32_e32 v5, 0
	s_and_b32 s0, s28, 0xff
	s_delay_alu instid0(SALU_CYCLE_1) | instskip(NEXT) | instid1(VALU_DEP_1)
	s_cmp_lt_i32 s0, 11
	v_add_nc_u64_e32 v[10:11], s[6:7], v[4:5]
	s_cbranch_scc1 .LBB31_20
; %bb.14:
	s_and_b32 s35, 0xffff, s0
	s_delay_alu instid0(SALU_CYCLE_1)
	s_cmp_gt_i32 s35, 25
	s_cbranch_scc0 .LBB31_29
; %bb.15:
	s_cmp_gt_i32 s35, 28
	s_cbranch_scc0 .LBB31_39
; %bb.16:
	;; [unrolled: 3-line block ×4, first 2 shown]
	s_cmp_eq_u32 s35, 46
	s_mov_b32 s37, 0
	s_cbranch_scc0 .LBB31_48
; %bb.19:
	global_load_b32 v1, v[10:11], off
	s_mov_b32 s36, -1
	s_mov_b32 s34, 0
	s_wait_loadcnt 0x0
	v_lshlrev_b32_e32 v1, 16, v1
	s_delay_alu instid0(VALU_DEP_1) | instskip(NEXT) | instid1(VALU_DEP_1)
	v_trunc_f32_e32 v1, v1
	v_mul_f32_e64 v3, 0x2f800000, |v1|
	s_delay_alu instid0(VALU_DEP_1) | instskip(NEXT) | instid1(VALU_DEP_1)
	v_floor_f32_e32 v3, v3
	v_fma_f32 v3, 0xcf800000, v3, |v1|
	v_ashrrev_i32_e32 v1, 31, v1
	s_delay_alu instid0(VALU_DEP_2) | instskip(NEXT) | instid1(VALU_DEP_1)
	v_cvt_u32_f32_e32 v3, v3
	v_xor_b32_e32 v3, v3, v1
	s_delay_alu instid0(VALU_DEP_1)
	v_sub_nc_u32_e32 v4, v3, v1
	s_branch .LBB31_50
.LBB31_20:
	s_mov_b32 s34, 0
	s_mov_b32 s36, 0
                                        ; implicit-def: $vgpr4
	s_cbranch_execnz .LBB31_112
.LBB31_21:
	s_and_not1_b32 vcc_lo, exec_lo, s36
	s_cbranch_vccnz .LBB31_159
.LBB31_22:
	v_mov_b32_e32 v9, 0
	s_and_b32 s0, s25, 0xff
	s_delay_alu instid0(SALU_CYCLE_1) | instskip(SKIP_1) | instid1(VALU_DEP_1)
	s_cmp_lt_i32 s0, 11
	s_wait_xcnt 0x0
	v_add_nc_u64_e32 v[10:11], s[8:9], v[8:9]
	s_cbranch_scc1 .LBB31_30
; %bb.23:
	s_and_b32 s36, 0xffff, s0
	s_delay_alu instid0(SALU_CYCLE_1)
	s_cmp_gt_i32 s36, 25
	s_cbranch_scc0 .LBB31_40
; %bb.24:
	s_cmp_gt_i32 s36, 28
	s_cbranch_scc0 .LBB31_43
; %bb.25:
	s_cmp_gt_i32 s36, 43
	s_cbranch_scc0 .LBB31_46
; %bb.26:
	s_cmp_gt_i32 s36, 45
	s_cbranch_scc0 .LBB31_53
; %bb.27:
	s_cmp_eq_u32 s36, 46
	s_mov_b32 s45, 0
	s_cbranch_scc0 .LBB31_160
; %bb.28:
	global_load_b32 v1, v[10:11], off
	s_mov_b32 s37, -1
	s_mov_b32 s35, 0
	s_wait_loadcnt 0x0
	v_lshlrev_b32_e32 v1, 16, v1
	s_delay_alu instid0(VALU_DEP_1) | instskip(NEXT) | instid1(VALU_DEP_1)
	v_trunc_f32_e32 v1, v1
	v_mul_f32_e64 v3, 0x2f800000, |v1|
	s_delay_alu instid0(VALU_DEP_1) | instskip(NEXT) | instid1(VALU_DEP_1)
	v_floor_f32_e32 v3, v3
	v_fma_f32 v3, 0xcf800000, v3, |v1|
	v_ashrrev_i32_e32 v1, 31, v1
	s_delay_alu instid0(VALU_DEP_2) | instskip(NEXT) | instid1(VALU_DEP_1)
	v_cvt_u32_f32_e32 v3, v3
	v_xor_b32_e32 v3, v3, v1
	s_delay_alu instid0(VALU_DEP_1)
	v_sub_nc_u32_e32 v8, v3, v1
	s_branch .LBB31_162
.LBB31_29:
	s_mov_b32 s34, 0
	s_mov_b32 s36, 0
                                        ; implicit-def: $vgpr4
	s_cbranch_execnz .LBB31_79
	s_branch .LBB31_111
.LBB31_30:
	s_mov_b32 s35, 0
	s_mov_b32 s37, 0
                                        ; implicit-def: $vgpr8
	s_cbranch_execnz .LBB31_224
.LBB31_31:
	s_and_not1_b32 vcc_lo, exec_lo, s37
	s_cbranch_vccnz .LBB31_272
.LBB31_32:
	v_mov_b32_e32 v7, 0
	s_and_b32 s0, s29, 0xff
	s_delay_alu instid0(SALU_CYCLE_1) | instskip(NEXT) | instid1(VALU_DEP_1)
	s_cmp_lt_i32 s0, 11
	v_add_nc_u64_e32 v[6:7], s[10:11], v[6:7]
	s_cbranch_scc1 .LBB31_41
; %bb.33:
	s_and_b32 s37, 0xffff, s0
	s_delay_alu instid0(SALU_CYCLE_1)
	s_cmp_gt_i32 s37, 25
	s_cbranch_scc0 .LBB31_44
; %bb.34:
	s_cmp_gt_i32 s37, 28
	s_cbranch_scc0 .LBB31_47
; %bb.35:
	;; [unrolled: 3-line block ×4, first 2 shown]
	s_cmp_eq_u32 s37, 46
	s_mov_b32 s48, 0
	s_cbranch_scc0 .LBB31_273
; %bb.38:
	global_load_b32 v1, v[6:7], off
	s_mov_b32 s45, -1
	s_mov_b32 s36, 0
	s_wait_loadcnt 0x0
	v_lshlrev_b32_e32 v1, 16, v1
	s_delay_alu instid0(VALU_DEP_1) | instskip(NEXT) | instid1(VALU_DEP_1)
	v_trunc_f32_e32 v1, v1
	v_mul_f32_e64 v3, 0x2f800000, |v1|
	s_delay_alu instid0(VALU_DEP_1) | instskip(NEXT) | instid1(VALU_DEP_1)
	v_floor_f32_e32 v3, v3
	v_fma_f32 v3, 0xcf800000, v3, |v1|
	v_ashrrev_i32_e32 v1, 31, v1
	s_delay_alu instid0(VALU_DEP_2) | instskip(NEXT) | instid1(VALU_DEP_1)
	v_cvt_u32_f32_e32 v3, v3
	v_xor_b32_e32 v3, v3, v1
	s_delay_alu instid0(VALU_DEP_1)
	v_sub_nc_u32_e32 v10, v3, v1
	s_branch .LBB31_275
.LBB31_39:
	s_mov_b32 s37, -1
	s_mov_b32 s34, 0
	s_mov_b32 s36, 0
                                        ; implicit-def: $vgpr4
	s_branch .LBB31_62
.LBB31_40:
	s_mov_b32 s45, -1
	s_mov_b32 s35, 0
	s_mov_b32 s37, 0
                                        ; implicit-def: $vgpr8
	s_branch .LBB31_190
.LBB31_41:
	s_mov_b32 s37, -1
	s_mov_b32 s36, 0
	s_mov_b32 s45, 0
                                        ; implicit-def: $vgpr10
	s_branch .LBB31_336
.LBB31_42:
	s_mov_b32 s37, -1
	s_mov_b32 s34, 0
	s_mov_b32 s36, 0
                                        ; implicit-def: $vgpr4
	s_branch .LBB31_57
.LBB31_43:
	s_mov_b32 s45, -1
	s_mov_b32 s35, 0
	s_mov_b32 s37, 0
                                        ; implicit-def: $vgpr8
	s_branch .LBB31_173
.LBB31_44:
	s_mov_b32 s48, -1
	s_mov_b32 s36, 0
	s_mov_b32 s45, 0
                                        ; implicit-def: $vgpr10
	s_branch .LBB31_302
.LBB31_45:
	s_mov_b32 s37, -1
	s_mov_b32 s34, 0
	s_branch .LBB31_49
.LBB31_46:
	s_mov_b32 s45, -1
	s_mov_b32 s35, 0
	s_mov_b32 s37, 0
                                        ; implicit-def: $vgpr8
	s_branch .LBB31_168
.LBB31_47:
	s_mov_b32 s48, -1
	s_mov_b32 s36, 0
	s_mov_b32 s45, 0
                                        ; implicit-def: $vgpr10
	s_branch .LBB31_285
.LBB31_48:
	s_mov_b32 s34, -1
.LBB31_49:
	s_mov_b32 s36, 0
                                        ; implicit-def: $vgpr4
.LBB31_50:
	s_and_b32 vcc_lo, exec_lo, s37
	s_cbranch_vccz .LBB31_56
; %bb.51:
	s_cmp_eq_u32 s35, 44
	s_cbranch_scc0 .LBB31_55
; %bb.52:
	global_load_u8 v1, v[10:11], off
	s_mov_b32 s34, 0
	s_mov_b32 s36, -1
	s_wait_loadcnt 0x0
	v_lshlrev_b32_e32 v3, 23, v1
	v_cmp_ne_u32_e32 vcc_lo, 0, v1
	s_delay_alu instid0(VALU_DEP_2) | instskip(NEXT) | instid1(VALU_DEP_1)
	v_trunc_f32_e32 v3, v3
	v_mul_f32_e64 v4, 0x2f800000, |v3|
	s_delay_alu instid0(VALU_DEP_1) | instskip(NEXT) | instid1(VALU_DEP_1)
	v_floor_f32_e32 v4, v4
	v_fma_f32 v4, 0xcf800000, v4, |v3|
	v_ashrrev_i32_e32 v3, 31, v3
	s_delay_alu instid0(VALU_DEP_2) | instskip(NEXT) | instid1(VALU_DEP_1)
	v_cvt_u32_f32_e32 v4, v4
	v_xor_b32_e32 v4, v4, v3
	s_delay_alu instid0(VALU_DEP_1) | instskip(NEXT) | instid1(VALU_DEP_1)
	v_sub_nc_u32_e32 v3, v4, v3
	v_cndmask_b32_e32 v4, 0, v3, vcc_lo
	s_branch .LBB31_56
.LBB31_53:
	s_mov_b32 s45, -1
	s_mov_b32 s35, 0
	s_branch .LBB31_161
.LBB31_54:
	s_mov_b32 s48, -1
	s_mov_b32 s36, 0
	s_mov_b32 s45, 0
                                        ; implicit-def: $vgpr10
	s_branch .LBB31_280
.LBB31_55:
	s_mov_b32 s34, -1
                                        ; implicit-def: $vgpr4
.LBB31_56:
	s_mov_b32 s37, 0
.LBB31_57:
	s_delay_alu instid0(SALU_CYCLE_1)
	s_and_b32 vcc_lo, exec_lo, s37
	s_cbranch_vccz .LBB31_61
; %bb.58:
	s_cmp_eq_u32 s35, 29
	s_cbranch_scc0 .LBB31_60
; %bb.59:
	global_load_b64 v[4:5], v[10:11], off
	s_mov_b32 s36, -1
	s_mov_b32 s34, 0
	s_branch .LBB31_61
.LBB31_60:
	s_mov_b32 s34, -1
                                        ; implicit-def: $vgpr4
.LBB31_61:
	s_mov_b32 s37, 0
.LBB31_62:
	s_delay_alu instid0(SALU_CYCLE_1)
	s_and_b32 vcc_lo, exec_lo, s37
	s_cbranch_vccz .LBB31_78
; %bb.63:
	s_cmp_lt_i32 s35, 27
	s_cbranch_scc1 .LBB31_66
; %bb.64:
	s_cmp_gt_i32 s35, 27
	s_cbranch_scc0 .LBB31_67
; %bb.65:
	s_wait_loadcnt 0x0
	global_load_b32 v4, v[10:11], off
	s_mov_b32 s36, 0
	s_branch .LBB31_68
.LBB31_66:
	s_mov_b32 s36, -1
                                        ; implicit-def: $vgpr4
	s_branch .LBB31_71
.LBB31_67:
	s_mov_b32 s36, -1
                                        ; implicit-def: $vgpr4
.LBB31_68:
	s_delay_alu instid0(SALU_CYCLE_1)
	s_and_not1_b32 vcc_lo, exec_lo, s36
	s_cbranch_vccnz .LBB31_70
; %bb.69:
	s_wait_loadcnt 0x0
	global_load_u16 v4, v[10:11], off
.LBB31_70:
	s_mov_b32 s36, 0
.LBB31_71:
	s_delay_alu instid0(SALU_CYCLE_1)
	s_and_not1_b32 vcc_lo, exec_lo, s36
	s_cbranch_vccnz .LBB31_77
; %bb.72:
	global_load_u8 v1, v[10:11], off
	s_mov_b32 s37, 0
	s_mov_b32 s36, exec_lo
	s_wait_loadcnt 0x0
	v_cmpx_lt_i16_e32 0x7f, v1
	s_xor_b32 s36, exec_lo, s36
	s_cbranch_execz .LBB31_88
; %bb.73:
	v_cmp_ne_u16_e32 vcc_lo, 0x80, v1
	s_and_b32 s37, vcc_lo, exec_lo
	s_and_not1_saveexec_b32 s36, s36
	s_cbranch_execnz .LBB31_89
.LBB31_74:
	s_or_b32 exec_lo, exec_lo, s36
	v_mov_b32_e32 v4, 0
	s_and_saveexec_b32 s36, s37
	s_cbranch_execz .LBB31_76
.LBB31_75:
	v_and_b32_e32 v3, 0xffff, v1
	s_delay_alu instid0(VALU_DEP_1) | instskip(SKIP_1) | instid1(VALU_DEP_2)
	v_and_b32_e32 v4, 7, v3
	v_bfe_u32 v9, v3, 3, 4
	v_clz_i32_u32_e32 v5, v4
	s_delay_alu instid0(VALU_DEP_2) | instskip(NEXT) | instid1(VALU_DEP_2)
	v_cmp_eq_u32_e32 vcc_lo, 0, v9
	v_min_u32_e32 v5, 32, v5
	s_delay_alu instid0(VALU_DEP_1) | instskip(NEXT) | instid1(VALU_DEP_1)
	v_subrev_nc_u32_e32 v7, 28, v5
	v_dual_lshlrev_b32 v3, v7, v3 :: v_dual_sub_nc_u32 v5, 29, v5
	s_delay_alu instid0(VALU_DEP_1) | instskip(NEXT) | instid1(VALU_DEP_1)
	v_dual_lshlrev_b32 v1, 24, v1 :: v_dual_bitop2_b32 v3, 7, v3 bitop3:0x40
	v_dual_cndmask_b32 v3, v4, v3, vcc_lo :: v_dual_cndmask_b32 v5, v9, v5, vcc_lo
	s_delay_alu instid0(VALU_DEP_2) | instskip(NEXT) | instid1(VALU_DEP_2)
	v_and_b32_e32 v1, 0x80000000, v1
	v_lshlrev_b32_e32 v3, 20, v3
	s_delay_alu instid0(VALU_DEP_3) | instskip(NEXT) | instid1(VALU_DEP_1)
	v_lshl_add_u32 v4, v5, 23, 0x3b800000
	v_or3_b32 v1, v1, v4, v3
	s_delay_alu instid0(VALU_DEP_1) | instskip(NEXT) | instid1(VALU_DEP_1)
	v_trunc_f32_e32 v1, v1
	v_mul_f32_e64 v3, 0x2f800000, |v1|
	s_delay_alu instid0(VALU_DEP_1) | instskip(NEXT) | instid1(VALU_DEP_1)
	v_floor_f32_e32 v3, v3
	v_fma_f32 v3, 0xcf800000, v3, |v1|
	v_ashrrev_i32_e32 v1, 31, v1
	s_delay_alu instid0(VALU_DEP_2) | instskip(NEXT) | instid1(VALU_DEP_1)
	v_cvt_u32_f32_e32 v3, v3
	v_xor_b32_e32 v3, v3, v1
	s_delay_alu instid0(VALU_DEP_1)
	v_sub_nc_u32_e32 v4, v3, v1
.LBB31_76:
	s_or_b32 exec_lo, exec_lo, s36
.LBB31_77:
	s_mov_b32 s36, -1
.LBB31_78:
	s_branch .LBB31_111
.LBB31_79:
	s_cmp_gt_i32 s35, 22
	s_cbranch_scc0 .LBB31_87
; %bb.80:
	s_cmp_lt_i32 s35, 24
	s_cbranch_scc1 .LBB31_90
; %bb.81:
	s_cmp_gt_i32 s35, 24
	s_cbranch_scc0 .LBB31_91
; %bb.82:
	global_load_u8 v1, v[10:11], off
	s_mov_b32 s37, 0
	s_mov_b32 s36, exec_lo
	s_wait_loadcnt 0x0
	v_cmpx_lt_i16_e32 0x7f, v1
	s_xor_b32 s36, exec_lo, s36
	s_cbranch_execz .LBB31_103
; %bb.83:
	v_cmp_ne_u16_e32 vcc_lo, 0x80, v1
	s_and_b32 s37, vcc_lo, exec_lo
	s_and_not1_saveexec_b32 s36, s36
	s_cbranch_execnz .LBB31_104
.LBB31_84:
	s_or_b32 exec_lo, exec_lo, s36
	v_mov_b32_e32 v4, 0
	s_and_saveexec_b32 s36, s37
	s_cbranch_execz .LBB31_86
.LBB31_85:
	v_and_b32_e32 v3, 0xffff, v1
	s_delay_alu instid0(VALU_DEP_1) | instskip(SKIP_1) | instid1(VALU_DEP_2)
	v_and_b32_e32 v4, 3, v3
	v_bfe_u32 v9, v3, 2, 5
	v_clz_i32_u32_e32 v5, v4
	s_delay_alu instid0(VALU_DEP_2) | instskip(NEXT) | instid1(VALU_DEP_2)
	v_cmp_eq_u32_e32 vcc_lo, 0, v9
	v_min_u32_e32 v5, 32, v5
	s_delay_alu instid0(VALU_DEP_1) | instskip(NEXT) | instid1(VALU_DEP_1)
	v_subrev_nc_u32_e32 v7, 29, v5
	v_dual_lshlrev_b32 v3, v7, v3 :: v_dual_sub_nc_u32 v5, 30, v5
	s_delay_alu instid0(VALU_DEP_1) | instskip(NEXT) | instid1(VALU_DEP_1)
	v_dual_lshlrev_b32 v1, 24, v1 :: v_dual_bitop2_b32 v3, 3, v3 bitop3:0x40
	v_dual_cndmask_b32 v3, v4, v3, vcc_lo :: v_dual_cndmask_b32 v5, v9, v5, vcc_lo
	s_delay_alu instid0(VALU_DEP_2) | instskip(NEXT) | instid1(VALU_DEP_2)
	v_and_b32_e32 v1, 0x80000000, v1
	v_lshlrev_b32_e32 v3, 21, v3
	s_delay_alu instid0(VALU_DEP_3) | instskip(NEXT) | instid1(VALU_DEP_1)
	v_lshl_add_u32 v4, v5, 23, 0x37800000
	v_or3_b32 v1, v1, v4, v3
	s_delay_alu instid0(VALU_DEP_1) | instskip(NEXT) | instid1(VALU_DEP_1)
	v_trunc_f32_e32 v1, v1
	v_mul_f32_e64 v3, 0x2f800000, |v1|
	s_delay_alu instid0(VALU_DEP_1) | instskip(NEXT) | instid1(VALU_DEP_1)
	v_floor_f32_e32 v3, v3
	v_fma_f32 v3, 0xcf800000, v3, |v1|
	v_ashrrev_i32_e32 v1, 31, v1
	s_delay_alu instid0(VALU_DEP_2) | instskip(NEXT) | instid1(VALU_DEP_1)
	v_cvt_u32_f32_e32 v3, v3
	v_xor_b32_e32 v3, v3, v1
	s_delay_alu instid0(VALU_DEP_1)
	v_sub_nc_u32_e32 v4, v3, v1
.LBB31_86:
	s_or_b32 exec_lo, exec_lo, s36
	s_mov_b32 s36, 0
	s_branch .LBB31_92
.LBB31_87:
	s_mov_b32 s37, -1
                                        ; implicit-def: $vgpr4
	s_branch .LBB31_98
.LBB31_88:
	s_and_not1_saveexec_b32 s36, s36
	s_cbranch_execz .LBB31_74
.LBB31_89:
	v_cmp_ne_u16_e32 vcc_lo, 0, v1
	s_and_not1_b32 s37, s37, exec_lo
	s_and_b32 s45, vcc_lo, exec_lo
	s_delay_alu instid0(SALU_CYCLE_1)
	s_or_b32 s37, s37, s45
	s_or_b32 exec_lo, exec_lo, s36
	v_mov_b32_e32 v4, 0
	s_and_saveexec_b32 s36, s37
	s_cbranch_execnz .LBB31_75
	s_branch .LBB31_76
.LBB31_90:
	s_mov_b32 s36, -1
                                        ; implicit-def: $vgpr4
	s_branch .LBB31_95
.LBB31_91:
	s_mov_b32 s36, -1
                                        ; implicit-def: $vgpr4
.LBB31_92:
	s_delay_alu instid0(SALU_CYCLE_1)
	s_and_b32 vcc_lo, exec_lo, s36
	s_cbranch_vccz .LBB31_94
; %bb.93:
	global_load_u8 v1, v[10:11], off
	s_wait_loadcnt 0x0
	v_lshlrev_b32_e32 v1, 24, v1
	s_delay_alu instid0(VALU_DEP_1) | instskip(NEXT) | instid1(VALU_DEP_1)
	v_and_b32_e32 v3, 0x7f000000, v1
	v_clz_i32_u32_e32 v4, v3
	v_add_nc_u32_e32 v7, 0x1000000, v3
	v_cmp_ne_u32_e32 vcc_lo, 0, v3
	s_delay_alu instid0(VALU_DEP_3) | instskip(NEXT) | instid1(VALU_DEP_1)
	v_min_u32_e32 v4, 32, v4
	v_sub_nc_u32_e64 v4, v4, 4 clamp
	s_delay_alu instid0(VALU_DEP_1) | instskip(NEXT) | instid1(VALU_DEP_1)
	v_dual_lshlrev_b32 v5, v4, v3 :: v_dual_lshlrev_b32 v4, 23, v4
	v_lshrrev_b32_e32 v5, 4, v5
	s_delay_alu instid0(VALU_DEP_1) | instskip(NEXT) | instid1(VALU_DEP_1)
	v_dual_sub_nc_u32 v4, v5, v4 :: v_dual_ashrrev_i32 v5, 8, v7
	v_add_nc_u32_e32 v4, 0x3c000000, v4
	s_delay_alu instid0(VALU_DEP_1) | instskip(NEXT) | instid1(VALU_DEP_1)
	v_and_or_b32 v4, 0x7f800000, v5, v4
	v_cndmask_b32_e32 v3, 0, v4, vcc_lo
	s_delay_alu instid0(VALU_DEP_1) | instskip(NEXT) | instid1(VALU_DEP_1)
	v_and_or_b32 v1, 0x80000000, v1, v3
	v_trunc_f32_e32 v1, v1
	s_delay_alu instid0(VALU_DEP_1) | instskip(NEXT) | instid1(VALU_DEP_1)
	v_mul_f32_e64 v3, 0x2f800000, |v1|
	v_floor_f32_e32 v3, v3
	s_delay_alu instid0(VALU_DEP_1) | instskip(SKIP_1) | instid1(VALU_DEP_2)
	v_fma_f32 v3, 0xcf800000, v3, |v1|
	v_ashrrev_i32_e32 v1, 31, v1
	v_cvt_u32_f32_e32 v3, v3
	s_delay_alu instid0(VALU_DEP_1) | instskip(NEXT) | instid1(VALU_DEP_1)
	v_xor_b32_e32 v3, v3, v1
	v_sub_nc_u32_e32 v4, v3, v1
.LBB31_94:
	s_mov_b32 s36, 0
.LBB31_95:
	s_delay_alu instid0(SALU_CYCLE_1)
	s_and_not1_b32 vcc_lo, exec_lo, s36
	s_cbranch_vccnz .LBB31_97
; %bb.96:
	global_load_u8 v1, v[10:11], off
	s_wait_loadcnt 0x0
	v_lshlrev_b32_e32 v3, 25, v1
	v_lshlrev_b16 v1, 8, v1
	s_delay_alu instid0(VALU_DEP_1) | instskip(NEXT) | instid1(VALU_DEP_3)
	v_and_or_b32 v5, 0x7f00, v1, 0.5
	v_lshrrev_b32_e32 v4, 4, v3
	v_bfe_i32 v1, v1, 0, 16
	s_delay_alu instid0(VALU_DEP_3) | instskip(NEXT) | instid1(VALU_DEP_3)
	v_add_f32_e32 v5, -0.5, v5
	v_or_b32_e32 v4, 0x70000000, v4
	s_delay_alu instid0(VALU_DEP_1) | instskip(SKIP_1) | instid1(VALU_DEP_2)
	v_mul_f32_e32 v4, 0x7800000, v4
	v_cmp_gt_u32_e32 vcc_lo, 0x8000000, v3
	v_cndmask_b32_e32 v3, v4, v5, vcc_lo
	s_delay_alu instid0(VALU_DEP_1) | instskip(NEXT) | instid1(VALU_DEP_1)
	v_and_or_b32 v1, 0x80000000, v1, v3
	v_trunc_f32_e32 v1, v1
	s_delay_alu instid0(VALU_DEP_1) | instskip(NEXT) | instid1(VALU_DEP_1)
	v_mul_f32_e64 v3, 0x2f800000, |v1|
	v_floor_f32_e32 v3, v3
	s_delay_alu instid0(VALU_DEP_1) | instskip(SKIP_1) | instid1(VALU_DEP_2)
	v_fma_f32 v3, 0xcf800000, v3, |v1|
	v_ashrrev_i32_e32 v1, 31, v1
	v_cvt_u32_f32_e32 v3, v3
	s_delay_alu instid0(VALU_DEP_1) | instskip(NEXT) | instid1(VALU_DEP_1)
	v_xor_b32_e32 v3, v3, v1
	v_sub_nc_u32_e32 v4, v3, v1
.LBB31_97:
	s_mov_b32 s37, 0
	s_mov_b32 s36, -1
.LBB31_98:
	s_and_not1_b32 vcc_lo, exec_lo, s37
	s_cbranch_vccnz .LBB31_111
; %bb.99:
	s_cmp_gt_i32 s35, 14
	s_cbranch_scc0 .LBB31_102
; %bb.100:
	s_cmp_eq_u32 s35, 15
	s_cbranch_scc0 .LBB31_105
; %bb.101:
	global_load_u16 v1, v[10:11], off
	s_mov_b32 s36, -1
	s_mov_b32 s34, 0
	s_wait_loadcnt 0x0
	v_lshlrev_b32_e32 v1, 16, v1
	s_delay_alu instid0(VALU_DEP_1) | instskip(NEXT) | instid1(VALU_DEP_1)
	v_trunc_f32_e32 v1, v1
	v_mul_f32_e64 v3, 0x2f800000, |v1|
	s_delay_alu instid0(VALU_DEP_1) | instskip(NEXT) | instid1(VALU_DEP_1)
	v_floor_f32_e32 v3, v3
	v_fma_f32 v3, 0xcf800000, v3, |v1|
	v_ashrrev_i32_e32 v1, 31, v1
	s_delay_alu instid0(VALU_DEP_2) | instskip(NEXT) | instid1(VALU_DEP_1)
	v_cvt_u32_f32_e32 v3, v3
	v_xor_b32_e32 v3, v3, v1
	s_delay_alu instid0(VALU_DEP_1)
	v_sub_nc_u32_e32 v4, v3, v1
	s_branch .LBB31_106
.LBB31_102:
	s_mov_b32 s37, -1
                                        ; implicit-def: $vgpr4
	s_branch .LBB31_107
.LBB31_103:
	s_and_not1_saveexec_b32 s36, s36
	s_cbranch_execz .LBB31_84
.LBB31_104:
	v_cmp_ne_u16_e32 vcc_lo, 0, v1
	s_and_not1_b32 s37, s37, exec_lo
	s_and_b32 s45, vcc_lo, exec_lo
	s_delay_alu instid0(SALU_CYCLE_1)
	s_or_b32 s37, s37, s45
	s_or_b32 exec_lo, exec_lo, s36
	v_mov_b32_e32 v4, 0
	s_and_saveexec_b32 s36, s37
	s_cbranch_execnz .LBB31_85
	s_branch .LBB31_86
.LBB31_105:
	s_mov_b32 s34, -1
                                        ; implicit-def: $vgpr4
.LBB31_106:
	s_mov_b32 s37, 0
.LBB31_107:
	s_delay_alu instid0(SALU_CYCLE_1)
	s_and_b32 vcc_lo, exec_lo, s37
	s_cbranch_vccz .LBB31_111
; %bb.108:
	s_cmp_eq_u32 s35, 11
	s_cbranch_scc0 .LBB31_110
; %bb.109:
	global_load_u8 v1, v[10:11], off
	s_mov_b32 s34, 0
	s_mov_b32 s36, -1
	s_wait_loadcnt 0x0
	v_cmp_ne_u16_e32 vcc_lo, 0, v1
	v_cndmask_b32_e64 v4, 0, 1, vcc_lo
	s_branch .LBB31_111
.LBB31_110:
	s_mov_b32 s34, -1
                                        ; implicit-def: $vgpr4
.LBB31_111:
	s_branch .LBB31_21
.LBB31_112:
	s_and_b32 s0, 0xffff, s0
	s_delay_alu instid0(SALU_CYCLE_1)
	s_cmp_lt_i32 s0, 5
	s_cbranch_scc1 .LBB31_117
; %bb.113:
	s_cmp_lt_i32 s0, 8
	s_cbranch_scc1 .LBB31_118
; %bb.114:
	;; [unrolled: 3-line block ×3, first 2 shown]
	s_cmp_gt_i32 s0, 9
	s_cbranch_scc0 .LBB31_120
; %bb.116:
	s_wait_loadcnt 0x0
	global_load_b64 v[4:5], v[10:11], off
	s_mov_b32 s35, 0
	s_wait_loadcnt 0x0
	v_trunc_f64_e32 v[4:5], v[4:5]
	s_delay_alu instid0(VALU_DEP_1) | instskip(NEXT) | instid1(VALU_DEP_1)
	v_ldexp_f64 v[12:13], v[4:5], 0xffffffe0
	v_floor_f64_e32 v[12:13], v[12:13]
	s_delay_alu instid0(VALU_DEP_1) | instskip(NEXT) | instid1(VALU_DEP_1)
	v_fmamk_f64 v[4:5], v[12:13], 0xc1f00000, v[4:5]
	v_cvt_u32_f64_e32 v4, v[4:5]
	s_branch .LBB31_121
.LBB31_117:
                                        ; implicit-def: $vgpr4
	s_branch .LBB31_139
.LBB31_118:
	s_mov_b32 s35, -1
                                        ; implicit-def: $vgpr4
	s_branch .LBB31_127
.LBB31_119:
	s_mov_b32 s35, -1
                                        ; implicit-def: $vgpr4
	s_branch .LBB31_124
.LBB31_120:
	s_mov_b32 s35, -1
                                        ; implicit-def: $vgpr4
.LBB31_121:
	s_delay_alu instid0(SALU_CYCLE_1)
	s_and_not1_b32 vcc_lo, exec_lo, s35
	s_cbranch_vccnz .LBB31_123
; %bb.122:
	global_load_b32 v1, v[10:11], off
	s_wait_loadcnt 0x0
	v_trunc_f32_e32 v1, v1
	s_delay_alu instid0(VALU_DEP_1) | instskip(NEXT) | instid1(VALU_DEP_1)
	v_mul_f32_e64 v3, 0x2f800000, |v1|
	v_floor_f32_e32 v3, v3
	s_delay_alu instid0(VALU_DEP_1) | instskip(SKIP_1) | instid1(VALU_DEP_2)
	v_fma_f32 v3, 0xcf800000, v3, |v1|
	v_ashrrev_i32_e32 v1, 31, v1
	v_cvt_u32_f32_e32 v3, v3
	s_delay_alu instid0(VALU_DEP_1) | instskip(NEXT) | instid1(VALU_DEP_1)
	v_xor_b32_e32 v3, v3, v1
	v_sub_nc_u32_e32 v4, v3, v1
.LBB31_123:
	s_mov_b32 s35, 0
.LBB31_124:
	s_delay_alu instid0(SALU_CYCLE_1)
	s_and_not1_b32 vcc_lo, exec_lo, s35
	s_cbranch_vccnz .LBB31_126
; %bb.125:
	global_load_b32 v1, v[10:11], off
	s_wait_loadcnt 0x0
	v_cvt_f32_f16_e32 v1, v1
	s_delay_alu instid0(VALU_DEP_1)
	v_cvt_i32_f32_e32 v4, v1
.LBB31_126:
	s_mov_b32 s35, 0
.LBB31_127:
	s_delay_alu instid0(SALU_CYCLE_1)
	s_and_not1_b32 vcc_lo, exec_lo, s35
	s_cbranch_vccnz .LBB31_138
; %bb.128:
	s_cmp_lt_i32 s0, 6
	s_cbranch_scc1 .LBB31_131
; %bb.129:
	s_cmp_gt_i32 s0, 6
	s_cbranch_scc0 .LBB31_132
; %bb.130:
	s_wait_loadcnt 0x0
	global_load_b64 v[4:5], v[10:11], off
	s_mov_b32 s35, 0
	s_wait_loadcnt 0x0
	v_trunc_f64_e32 v[4:5], v[4:5]
	s_delay_alu instid0(VALU_DEP_1) | instskip(NEXT) | instid1(VALU_DEP_1)
	v_ldexp_f64 v[12:13], v[4:5], 0xffffffe0
	v_floor_f64_e32 v[12:13], v[12:13]
	s_delay_alu instid0(VALU_DEP_1) | instskip(NEXT) | instid1(VALU_DEP_1)
	v_fmamk_f64 v[4:5], v[12:13], 0xc1f00000, v[4:5]
	v_cvt_u32_f64_e32 v4, v[4:5]
	s_branch .LBB31_133
.LBB31_131:
	s_mov_b32 s35, -1
                                        ; implicit-def: $vgpr4
	s_branch .LBB31_136
.LBB31_132:
	s_mov_b32 s35, -1
                                        ; implicit-def: $vgpr4
.LBB31_133:
	s_delay_alu instid0(SALU_CYCLE_1)
	s_and_not1_b32 vcc_lo, exec_lo, s35
	s_cbranch_vccnz .LBB31_135
; %bb.134:
	global_load_b32 v1, v[10:11], off
	s_wait_loadcnt 0x0
	v_trunc_f32_e32 v1, v1
	s_delay_alu instid0(VALU_DEP_1) | instskip(NEXT) | instid1(VALU_DEP_1)
	v_mul_f32_e64 v3, 0x2f800000, |v1|
	v_floor_f32_e32 v3, v3
	s_delay_alu instid0(VALU_DEP_1) | instskip(SKIP_1) | instid1(VALU_DEP_2)
	v_fma_f32 v3, 0xcf800000, v3, |v1|
	v_ashrrev_i32_e32 v1, 31, v1
	v_cvt_u32_f32_e32 v3, v3
	s_delay_alu instid0(VALU_DEP_1) | instskip(NEXT) | instid1(VALU_DEP_1)
	v_xor_b32_e32 v3, v3, v1
	v_sub_nc_u32_e32 v4, v3, v1
.LBB31_135:
	s_mov_b32 s35, 0
.LBB31_136:
	s_delay_alu instid0(SALU_CYCLE_1)
	s_and_not1_b32 vcc_lo, exec_lo, s35
	s_cbranch_vccnz .LBB31_138
; %bb.137:
	global_load_u16 v1, v[10:11], off
	s_wait_loadcnt 0x0
	v_cvt_f32_f16_e32 v1, v1
	s_delay_alu instid0(VALU_DEP_1)
	v_cvt_i32_f32_e32 v4, v1
.LBB31_138:
	s_cbranch_execnz .LBB31_158
.LBB31_139:
	s_cmp_lt_i32 s0, 2
	s_cbranch_scc1 .LBB31_143
; %bb.140:
	s_cmp_lt_i32 s0, 3
	s_cbranch_scc1 .LBB31_144
; %bb.141:
	s_cmp_gt_i32 s0, 3
	s_cbranch_scc0 .LBB31_145
; %bb.142:
	s_wait_loadcnt 0x0
	global_load_b64 v[4:5], v[10:11], off
	s_mov_b32 s35, 0
	s_branch .LBB31_146
.LBB31_143:
	s_mov_b32 s35, -1
                                        ; implicit-def: $vgpr4
	s_branch .LBB31_152
.LBB31_144:
	s_mov_b32 s35, -1
                                        ; implicit-def: $vgpr4
	s_branch .LBB31_149
.LBB31_145:
	s_mov_b32 s35, -1
                                        ; implicit-def: $vgpr4
.LBB31_146:
	s_delay_alu instid0(SALU_CYCLE_1)
	s_and_not1_b32 vcc_lo, exec_lo, s35
	s_cbranch_vccnz .LBB31_148
; %bb.147:
	s_wait_loadcnt 0x0
	global_load_b32 v4, v[10:11], off
.LBB31_148:
	s_mov_b32 s35, 0
.LBB31_149:
	s_delay_alu instid0(SALU_CYCLE_1)
	s_and_not1_b32 vcc_lo, exec_lo, s35
	s_cbranch_vccnz .LBB31_151
; %bb.150:
	s_wait_loadcnt 0x0
	global_load_u16 v4, v[10:11], off
.LBB31_151:
	s_mov_b32 s35, 0
.LBB31_152:
	s_delay_alu instid0(SALU_CYCLE_1)
	s_and_not1_b32 vcc_lo, exec_lo, s35
	s_cbranch_vccnz .LBB31_158
; %bb.153:
	s_cmp_gt_i32 s0, 0
	s_mov_b32 s0, 0
	s_cbranch_scc0 .LBB31_155
; %bb.154:
	s_wait_loadcnt 0x0
	global_load_u8 v4, v[10:11], off
	s_branch .LBB31_156
.LBB31_155:
	s_mov_b32 s0, -1
                                        ; implicit-def: $vgpr4
.LBB31_156:
	s_delay_alu instid0(SALU_CYCLE_1)
	s_and_not1_b32 vcc_lo, exec_lo, s0
	s_cbranch_vccnz .LBB31_158
; %bb.157:
	s_wait_loadcnt 0x0
	global_load_u8 v4, v[10:11], off
.LBB31_158:
	s_branch .LBB31_22
.LBB31_159:
	s_mov_b32 s0, 0
	s_mov_b32 s36, 0
	s_mov_b32 s35, 0
	s_branch .LBB31_509
.LBB31_160:
	s_mov_b32 s35, -1
.LBB31_161:
	s_mov_b32 s37, 0
                                        ; implicit-def: $vgpr8
.LBB31_162:
	s_and_b32 vcc_lo, exec_lo, s45
	s_cbranch_vccz .LBB31_167
; %bb.163:
	s_cmp_eq_u32 s36, 44
	s_cbranch_scc0 .LBB31_166
; %bb.164:
	global_load_u8 v1, v[10:11], off
	s_mov_b32 s35, 0
	s_mov_b32 s37, -1
	s_wait_loadcnt 0x0
	v_lshlrev_b32_e32 v3, 23, v1
	v_cmp_ne_u32_e32 vcc_lo, 0, v1
	s_delay_alu instid0(VALU_DEP_2) | instskip(NEXT) | instid1(VALU_DEP_1)
	v_trunc_f32_e32 v3, v3
	v_mul_f32_e64 v5, 0x2f800000, |v3|
	s_delay_alu instid0(VALU_DEP_1) | instskip(NEXT) | instid1(VALU_DEP_1)
	v_floor_f32_e32 v5, v5
	v_fma_f32 v5, 0xcf800000, v5, |v3|
	v_ashrrev_i32_e32 v3, 31, v3
	s_delay_alu instid0(VALU_DEP_2) | instskip(NEXT) | instid1(VALU_DEP_1)
	v_cvt_u32_f32_e32 v5, v5
	v_xor_b32_e32 v5, v5, v3
	s_delay_alu instid0(VALU_DEP_1) | instskip(NEXT) | instid1(VALU_DEP_1)
	v_sub_nc_u32_e32 v3, v5, v3
	v_cndmask_b32_e32 v8, 0, v3, vcc_lo
	s_branch .LBB31_167
.LBB31_165:
	s_mov_b32 s48, -1
	s_mov_b32 s36, 0
	s_branch .LBB31_274
.LBB31_166:
	s_mov_b32 s35, -1
                                        ; implicit-def: $vgpr8
.LBB31_167:
	s_mov_b32 s45, 0
.LBB31_168:
	s_delay_alu instid0(SALU_CYCLE_1)
	s_and_b32 vcc_lo, exec_lo, s45
	s_cbranch_vccz .LBB31_172
; %bb.169:
	s_cmp_eq_u32 s36, 29
	s_cbranch_scc0 .LBB31_171
; %bb.170:
	global_load_b64 v[8:9], v[10:11], off
	s_mov_b32 s37, -1
	s_mov_b32 s35, 0
	s_branch .LBB31_172
.LBB31_171:
	s_mov_b32 s35, -1
                                        ; implicit-def: $vgpr8
.LBB31_172:
	s_mov_b32 s45, 0
.LBB31_173:
	s_delay_alu instid0(SALU_CYCLE_1)
	s_and_b32 vcc_lo, exec_lo, s45
	s_cbranch_vccz .LBB31_189
; %bb.174:
	s_cmp_lt_i32 s36, 27
	s_cbranch_scc1 .LBB31_177
; %bb.175:
	s_cmp_gt_i32 s36, 27
	s_cbranch_scc0 .LBB31_178
; %bb.176:
	s_wait_loadcnt 0x0
	global_load_b32 v8, v[10:11], off
	s_mov_b32 s37, 0
	s_branch .LBB31_179
.LBB31_177:
	s_mov_b32 s37, -1
                                        ; implicit-def: $vgpr8
	s_branch .LBB31_182
.LBB31_178:
	s_mov_b32 s37, -1
                                        ; implicit-def: $vgpr8
.LBB31_179:
	s_delay_alu instid0(SALU_CYCLE_1)
	s_and_not1_b32 vcc_lo, exec_lo, s37
	s_cbranch_vccnz .LBB31_181
; %bb.180:
	s_wait_loadcnt 0x0
	global_load_u16 v8, v[10:11], off
.LBB31_181:
	s_mov_b32 s37, 0
.LBB31_182:
	s_delay_alu instid0(SALU_CYCLE_1)
	s_and_not1_b32 vcc_lo, exec_lo, s37
	s_cbranch_vccnz .LBB31_188
; %bb.183:
	global_load_u8 v1, v[10:11], off
	s_mov_b32 s45, 0
	s_mov_b32 s37, exec_lo
	s_wait_loadcnt 0x0
	v_cmpx_lt_i16_e32 0x7f, v1
	s_xor_b32 s37, exec_lo, s37
	s_cbranch_execz .LBB31_200
; %bb.184:
	v_cmp_ne_u16_e32 vcc_lo, 0x80, v1
	s_and_b32 s45, vcc_lo, exec_lo
	s_and_not1_saveexec_b32 s37, s37
	s_cbranch_execnz .LBB31_201
.LBB31_185:
	s_or_b32 exec_lo, exec_lo, s37
	v_mov_b32_e32 v8, 0
	s_and_saveexec_b32 s37, s45
	s_cbranch_execz .LBB31_187
.LBB31_186:
	v_and_b32_e32 v3, 0xffff, v1
	s_delay_alu instid0(VALU_DEP_1) | instskip(SKIP_1) | instid1(VALU_DEP_2)
	v_dual_lshlrev_b32 v1, 24, v1 :: v_dual_bitop2_b32 v5, 7, v3 bitop3:0x40
	v_bfe_u32 v9, v3, 3, 4
	v_and_b32_e32 v1, 0x80000000, v1
	s_delay_alu instid0(VALU_DEP_3) | instskip(NEXT) | instid1(VALU_DEP_3)
	v_clz_i32_u32_e32 v7, v5
	v_cmp_eq_u32_e32 vcc_lo, 0, v9
	s_delay_alu instid0(VALU_DEP_2) | instskip(NEXT) | instid1(VALU_DEP_1)
	v_min_u32_e32 v7, 32, v7
	v_subrev_nc_u32_e32 v8, 28, v7
	v_sub_nc_u32_e32 v7, 29, v7
	s_delay_alu instid0(VALU_DEP_2) | instskip(NEXT) | instid1(VALU_DEP_2)
	v_lshlrev_b32_e32 v3, v8, v3
	v_cndmask_b32_e32 v7, v9, v7, vcc_lo
	s_delay_alu instid0(VALU_DEP_2) | instskip(NEXT) | instid1(VALU_DEP_1)
	v_and_b32_e32 v3, 7, v3
	v_cndmask_b32_e32 v3, v5, v3, vcc_lo
	s_delay_alu instid0(VALU_DEP_3) | instskip(NEXT) | instid1(VALU_DEP_2)
	v_lshl_add_u32 v5, v7, 23, 0x3b800000
	v_lshlrev_b32_e32 v3, 20, v3
	s_delay_alu instid0(VALU_DEP_1) | instskip(NEXT) | instid1(VALU_DEP_1)
	v_or3_b32 v1, v1, v5, v3
	v_trunc_f32_e32 v1, v1
	s_delay_alu instid0(VALU_DEP_1) | instskip(NEXT) | instid1(VALU_DEP_1)
	v_mul_f32_e64 v3, 0x2f800000, |v1|
	v_floor_f32_e32 v3, v3
	s_delay_alu instid0(VALU_DEP_1) | instskip(SKIP_1) | instid1(VALU_DEP_2)
	v_fma_f32 v3, 0xcf800000, v3, |v1|
	v_ashrrev_i32_e32 v1, 31, v1
	v_cvt_u32_f32_e32 v3, v3
	s_delay_alu instid0(VALU_DEP_1) | instskip(NEXT) | instid1(VALU_DEP_1)
	v_xor_b32_e32 v3, v3, v1
	v_sub_nc_u32_e32 v8, v3, v1
.LBB31_187:
	s_or_b32 exec_lo, exec_lo, s37
.LBB31_188:
	s_mov_b32 s37, -1
.LBB31_189:
	s_mov_b32 s45, 0
.LBB31_190:
	s_delay_alu instid0(SALU_CYCLE_1)
	s_and_b32 vcc_lo, exec_lo, s45
	s_cbranch_vccz .LBB31_223
; %bb.191:
	s_cmp_gt_i32 s36, 22
	s_cbranch_scc0 .LBB31_199
; %bb.192:
	s_cmp_lt_i32 s36, 24
	s_cbranch_scc1 .LBB31_202
; %bb.193:
	s_cmp_gt_i32 s36, 24
	s_cbranch_scc0 .LBB31_203
; %bb.194:
	global_load_u8 v1, v[10:11], off
	s_mov_b32 s45, 0
	s_mov_b32 s37, exec_lo
	s_wait_loadcnt 0x0
	v_cmpx_lt_i16_e32 0x7f, v1
	s_xor_b32 s37, exec_lo, s37
	s_cbranch_execz .LBB31_215
; %bb.195:
	v_cmp_ne_u16_e32 vcc_lo, 0x80, v1
	s_and_b32 s45, vcc_lo, exec_lo
	s_and_not1_saveexec_b32 s37, s37
	s_cbranch_execnz .LBB31_216
.LBB31_196:
	s_or_b32 exec_lo, exec_lo, s37
	v_mov_b32_e32 v8, 0
	s_and_saveexec_b32 s37, s45
	s_cbranch_execz .LBB31_198
.LBB31_197:
	v_and_b32_e32 v3, 0xffff, v1
	s_delay_alu instid0(VALU_DEP_1) | instskip(SKIP_1) | instid1(VALU_DEP_2)
	v_dual_lshlrev_b32 v1, 24, v1 :: v_dual_bitop2_b32 v5, 3, v3 bitop3:0x40
	v_bfe_u32 v9, v3, 2, 5
	v_and_b32_e32 v1, 0x80000000, v1
	s_delay_alu instid0(VALU_DEP_3) | instskip(NEXT) | instid1(VALU_DEP_3)
	v_clz_i32_u32_e32 v7, v5
	v_cmp_eq_u32_e32 vcc_lo, 0, v9
	s_delay_alu instid0(VALU_DEP_2) | instskip(NEXT) | instid1(VALU_DEP_1)
	v_min_u32_e32 v7, 32, v7
	v_subrev_nc_u32_e32 v8, 29, v7
	v_sub_nc_u32_e32 v7, 30, v7
	s_delay_alu instid0(VALU_DEP_2) | instskip(NEXT) | instid1(VALU_DEP_2)
	v_lshlrev_b32_e32 v3, v8, v3
	v_cndmask_b32_e32 v7, v9, v7, vcc_lo
	s_delay_alu instid0(VALU_DEP_2) | instskip(NEXT) | instid1(VALU_DEP_1)
	v_and_b32_e32 v3, 3, v3
	v_cndmask_b32_e32 v3, v5, v3, vcc_lo
	s_delay_alu instid0(VALU_DEP_3) | instskip(NEXT) | instid1(VALU_DEP_2)
	v_lshl_add_u32 v5, v7, 23, 0x37800000
	v_lshlrev_b32_e32 v3, 21, v3
	s_delay_alu instid0(VALU_DEP_1) | instskip(NEXT) | instid1(VALU_DEP_1)
	v_or3_b32 v1, v1, v5, v3
	v_trunc_f32_e32 v1, v1
	s_delay_alu instid0(VALU_DEP_1) | instskip(NEXT) | instid1(VALU_DEP_1)
	v_mul_f32_e64 v3, 0x2f800000, |v1|
	v_floor_f32_e32 v3, v3
	s_delay_alu instid0(VALU_DEP_1) | instskip(SKIP_1) | instid1(VALU_DEP_2)
	v_fma_f32 v3, 0xcf800000, v3, |v1|
	v_ashrrev_i32_e32 v1, 31, v1
	v_cvt_u32_f32_e32 v3, v3
	s_delay_alu instid0(VALU_DEP_1) | instskip(NEXT) | instid1(VALU_DEP_1)
	v_xor_b32_e32 v3, v3, v1
	v_sub_nc_u32_e32 v8, v3, v1
.LBB31_198:
	s_or_b32 exec_lo, exec_lo, s37
	s_mov_b32 s37, 0
	s_branch .LBB31_204
.LBB31_199:
	s_mov_b32 s45, -1
                                        ; implicit-def: $vgpr8
	s_branch .LBB31_210
.LBB31_200:
	s_and_not1_saveexec_b32 s37, s37
	s_cbranch_execz .LBB31_185
.LBB31_201:
	v_cmp_ne_u16_e32 vcc_lo, 0, v1
	s_and_not1_b32 s45, s45, exec_lo
	s_and_b32 s48, vcc_lo, exec_lo
	s_delay_alu instid0(SALU_CYCLE_1)
	s_or_b32 s45, s45, s48
	s_or_b32 exec_lo, exec_lo, s37
	v_mov_b32_e32 v8, 0
	s_and_saveexec_b32 s37, s45
	s_cbranch_execnz .LBB31_186
	s_branch .LBB31_187
.LBB31_202:
	s_mov_b32 s37, -1
                                        ; implicit-def: $vgpr8
	s_branch .LBB31_207
.LBB31_203:
	s_mov_b32 s37, -1
                                        ; implicit-def: $vgpr8
.LBB31_204:
	s_delay_alu instid0(SALU_CYCLE_1)
	s_and_b32 vcc_lo, exec_lo, s37
	s_cbranch_vccz .LBB31_206
; %bb.205:
	global_load_u8 v1, v[10:11], off
	s_wait_loadcnt 0x0
	v_lshlrev_b32_e32 v1, 24, v1
	s_delay_alu instid0(VALU_DEP_1) | instskip(NEXT) | instid1(VALU_DEP_1)
	v_and_b32_e32 v3, 0x7f000000, v1
	v_clz_i32_u32_e32 v5, v3
	v_cmp_ne_u32_e32 vcc_lo, 0, v3
	v_add_nc_u32_e32 v8, 0x1000000, v3
	s_delay_alu instid0(VALU_DEP_3) | instskip(NEXT) | instid1(VALU_DEP_1)
	v_min_u32_e32 v5, 32, v5
	v_sub_nc_u32_e64 v5, v5, 4 clamp
	s_delay_alu instid0(VALU_DEP_1) | instskip(NEXT) | instid1(VALU_DEP_1)
	v_dual_lshlrev_b32 v7, v5, v3 :: v_dual_lshlrev_b32 v5, 23, v5
	v_lshrrev_b32_e32 v7, 4, v7
	s_delay_alu instid0(VALU_DEP_1) | instskip(NEXT) | instid1(VALU_DEP_1)
	v_dual_sub_nc_u32 v5, v7, v5 :: v_dual_ashrrev_i32 v7, 8, v8
	v_add_nc_u32_e32 v5, 0x3c000000, v5
	s_delay_alu instid0(VALU_DEP_1) | instskip(NEXT) | instid1(VALU_DEP_1)
	v_and_or_b32 v5, 0x7f800000, v7, v5
	v_cndmask_b32_e32 v3, 0, v5, vcc_lo
	s_delay_alu instid0(VALU_DEP_1) | instskip(NEXT) | instid1(VALU_DEP_1)
	v_and_or_b32 v1, 0x80000000, v1, v3
	v_trunc_f32_e32 v1, v1
	s_delay_alu instid0(VALU_DEP_1) | instskip(NEXT) | instid1(VALU_DEP_1)
	v_mul_f32_e64 v3, 0x2f800000, |v1|
	v_floor_f32_e32 v3, v3
	s_delay_alu instid0(VALU_DEP_1) | instskip(SKIP_1) | instid1(VALU_DEP_2)
	v_fma_f32 v3, 0xcf800000, v3, |v1|
	v_ashrrev_i32_e32 v1, 31, v1
	v_cvt_u32_f32_e32 v3, v3
	s_delay_alu instid0(VALU_DEP_1) | instskip(NEXT) | instid1(VALU_DEP_1)
	v_xor_b32_e32 v3, v3, v1
	v_sub_nc_u32_e32 v8, v3, v1
.LBB31_206:
	s_mov_b32 s37, 0
.LBB31_207:
	s_delay_alu instid0(SALU_CYCLE_1)
	s_and_not1_b32 vcc_lo, exec_lo, s37
	s_cbranch_vccnz .LBB31_209
; %bb.208:
	global_load_u8 v1, v[10:11], off
	s_wait_loadcnt 0x0
	v_lshlrev_b32_e32 v3, 25, v1
	v_lshlrev_b16 v1, 8, v1
	s_delay_alu instid0(VALU_DEP_1) | instskip(SKIP_1) | instid1(VALU_DEP_2)
	v_and_or_b32 v7, 0x7f00, v1, 0.5
	v_bfe_i32 v1, v1, 0, 16
	v_add_f32_e32 v7, -0.5, v7
	v_lshrrev_b32_e32 v5, 4, v3
	v_cmp_gt_u32_e32 vcc_lo, 0x8000000, v3
	s_delay_alu instid0(VALU_DEP_2) | instskip(NEXT) | instid1(VALU_DEP_1)
	v_or_b32_e32 v5, 0x70000000, v5
	v_mul_f32_e32 v5, 0x7800000, v5
	s_delay_alu instid0(VALU_DEP_1) | instskip(NEXT) | instid1(VALU_DEP_1)
	v_cndmask_b32_e32 v3, v5, v7, vcc_lo
	v_and_or_b32 v1, 0x80000000, v1, v3
	s_delay_alu instid0(VALU_DEP_1) | instskip(NEXT) | instid1(VALU_DEP_1)
	v_trunc_f32_e32 v1, v1
	v_mul_f32_e64 v3, 0x2f800000, |v1|
	s_delay_alu instid0(VALU_DEP_1) | instskip(NEXT) | instid1(VALU_DEP_1)
	v_floor_f32_e32 v3, v3
	v_fma_f32 v3, 0xcf800000, v3, |v1|
	v_ashrrev_i32_e32 v1, 31, v1
	s_delay_alu instid0(VALU_DEP_2) | instskip(NEXT) | instid1(VALU_DEP_1)
	v_cvt_u32_f32_e32 v3, v3
	v_xor_b32_e32 v3, v3, v1
	s_delay_alu instid0(VALU_DEP_1)
	v_sub_nc_u32_e32 v8, v3, v1
.LBB31_209:
	s_mov_b32 s45, 0
	s_mov_b32 s37, -1
.LBB31_210:
	s_and_not1_b32 vcc_lo, exec_lo, s45
	s_cbranch_vccnz .LBB31_223
; %bb.211:
	s_cmp_gt_i32 s36, 14
	s_cbranch_scc0 .LBB31_214
; %bb.212:
	s_cmp_eq_u32 s36, 15
	s_cbranch_scc0 .LBB31_217
; %bb.213:
	global_load_u16 v1, v[10:11], off
	s_mov_b32 s37, -1
	s_mov_b32 s35, 0
	s_wait_loadcnt 0x0
	v_lshlrev_b32_e32 v1, 16, v1
	s_delay_alu instid0(VALU_DEP_1) | instskip(NEXT) | instid1(VALU_DEP_1)
	v_trunc_f32_e32 v1, v1
	v_mul_f32_e64 v3, 0x2f800000, |v1|
	s_delay_alu instid0(VALU_DEP_1) | instskip(NEXT) | instid1(VALU_DEP_1)
	v_floor_f32_e32 v3, v3
	v_fma_f32 v3, 0xcf800000, v3, |v1|
	v_ashrrev_i32_e32 v1, 31, v1
	s_delay_alu instid0(VALU_DEP_2) | instskip(NEXT) | instid1(VALU_DEP_1)
	v_cvt_u32_f32_e32 v3, v3
	v_xor_b32_e32 v3, v3, v1
	s_delay_alu instid0(VALU_DEP_1)
	v_sub_nc_u32_e32 v8, v3, v1
	s_branch .LBB31_218
.LBB31_214:
	s_mov_b32 s45, -1
                                        ; implicit-def: $vgpr8
	s_branch .LBB31_219
.LBB31_215:
	s_and_not1_saveexec_b32 s37, s37
	s_cbranch_execz .LBB31_196
.LBB31_216:
	v_cmp_ne_u16_e32 vcc_lo, 0, v1
	s_and_not1_b32 s45, s45, exec_lo
	s_and_b32 s48, vcc_lo, exec_lo
	s_delay_alu instid0(SALU_CYCLE_1)
	s_or_b32 s45, s45, s48
	s_or_b32 exec_lo, exec_lo, s37
	v_mov_b32_e32 v8, 0
	s_and_saveexec_b32 s37, s45
	s_cbranch_execnz .LBB31_197
	s_branch .LBB31_198
.LBB31_217:
	s_mov_b32 s35, -1
                                        ; implicit-def: $vgpr8
.LBB31_218:
	s_mov_b32 s45, 0
.LBB31_219:
	s_delay_alu instid0(SALU_CYCLE_1)
	s_and_b32 vcc_lo, exec_lo, s45
	s_cbranch_vccz .LBB31_223
; %bb.220:
	s_cmp_eq_u32 s36, 11
	s_cbranch_scc0 .LBB31_222
; %bb.221:
	global_load_u8 v1, v[10:11], off
	s_mov_b32 s35, 0
	s_mov_b32 s37, -1
	s_wait_loadcnt 0x0
	v_cmp_ne_u16_e32 vcc_lo, 0, v1
	v_cndmask_b32_e64 v8, 0, 1, vcc_lo
	s_branch .LBB31_223
.LBB31_222:
	s_mov_b32 s35, -1
                                        ; implicit-def: $vgpr8
.LBB31_223:
	s_branch .LBB31_31
.LBB31_224:
	s_and_b32 s0, 0xffff, s0
	s_delay_alu instid0(SALU_CYCLE_1)
	s_cmp_lt_i32 s0, 5
	s_cbranch_scc1 .LBB31_229
; %bb.225:
	s_cmp_lt_i32 s0, 8
	s_cbranch_scc1 .LBB31_230
; %bb.226:
	;; [unrolled: 3-line block ×3, first 2 shown]
	s_cmp_gt_i32 s0, 9
	s_cbranch_scc0 .LBB31_232
; %bb.228:
	s_wait_loadcnt 0x0
	global_load_b64 v[8:9], v[10:11], off
	s_mov_b32 s36, 0
	s_wait_loadcnt 0x0
	v_trunc_f64_e32 v[8:9], v[8:9]
	s_delay_alu instid0(VALU_DEP_1) | instskip(NEXT) | instid1(VALU_DEP_1)
	v_ldexp_f64 v[12:13], v[8:9], 0xffffffe0
	v_floor_f64_e32 v[12:13], v[12:13]
	s_delay_alu instid0(VALU_DEP_1) | instskip(NEXT) | instid1(VALU_DEP_1)
	v_fmamk_f64 v[8:9], v[12:13], 0xc1f00000, v[8:9]
	v_cvt_u32_f64_e32 v8, v[8:9]
	s_branch .LBB31_233
.LBB31_229:
	s_mov_b32 s36, -1
                                        ; implicit-def: $vgpr8
	s_branch .LBB31_251
.LBB31_230:
	s_mov_b32 s36, -1
                                        ; implicit-def: $vgpr8
	s_branch .LBB31_239
.LBB31_231:
	s_mov_b32 s36, -1
                                        ; implicit-def: $vgpr8
	s_branch .LBB31_236
.LBB31_232:
	s_mov_b32 s36, -1
                                        ; implicit-def: $vgpr8
.LBB31_233:
	s_delay_alu instid0(SALU_CYCLE_1)
	s_and_not1_b32 vcc_lo, exec_lo, s36
	s_cbranch_vccnz .LBB31_235
; %bb.234:
	global_load_b32 v1, v[10:11], off
	s_wait_loadcnt 0x0
	v_trunc_f32_e32 v1, v1
	s_delay_alu instid0(VALU_DEP_1) | instskip(NEXT) | instid1(VALU_DEP_1)
	v_mul_f32_e64 v3, 0x2f800000, |v1|
	v_floor_f32_e32 v3, v3
	s_delay_alu instid0(VALU_DEP_1) | instskip(SKIP_1) | instid1(VALU_DEP_2)
	v_fma_f32 v3, 0xcf800000, v3, |v1|
	v_ashrrev_i32_e32 v1, 31, v1
	v_cvt_u32_f32_e32 v3, v3
	s_delay_alu instid0(VALU_DEP_1) | instskip(NEXT) | instid1(VALU_DEP_1)
	v_xor_b32_e32 v3, v3, v1
	v_sub_nc_u32_e32 v8, v3, v1
.LBB31_235:
	s_mov_b32 s36, 0
.LBB31_236:
	s_delay_alu instid0(SALU_CYCLE_1)
	s_and_not1_b32 vcc_lo, exec_lo, s36
	s_cbranch_vccnz .LBB31_238
; %bb.237:
	global_load_b32 v1, v[10:11], off
	s_wait_loadcnt 0x0
	v_cvt_f32_f16_e32 v1, v1
	s_delay_alu instid0(VALU_DEP_1)
	v_cvt_i32_f32_e32 v8, v1
.LBB31_238:
	s_mov_b32 s36, 0
.LBB31_239:
	s_delay_alu instid0(SALU_CYCLE_1)
	s_and_not1_b32 vcc_lo, exec_lo, s36
	s_cbranch_vccnz .LBB31_250
; %bb.240:
	s_cmp_lt_i32 s0, 6
	s_cbranch_scc1 .LBB31_243
; %bb.241:
	s_cmp_gt_i32 s0, 6
	s_cbranch_scc0 .LBB31_244
; %bb.242:
	s_wait_loadcnt 0x0
	global_load_b64 v[8:9], v[10:11], off
	s_mov_b32 s36, 0
	s_wait_loadcnt 0x0
	v_trunc_f64_e32 v[8:9], v[8:9]
	s_delay_alu instid0(VALU_DEP_1) | instskip(NEXT) | instid1(VALU_DEP_1)
	v_ldexp_f64 v[12:13], v[8:9], 0xffffffe0
	v_floor_f64_e32 v[12:13], v[12:13]
	s_delay_alu instid0(VALU_DEP_1) | instskip(NEXT) | instid1(VALU_DEP_1)
	v_fmamk_f64 v[8:9], v[12:13], 0xc1f00000, v[8:9]
	v_cvt_u32_f64_e32 v8, v[8:9]
	s_branch .LBB31_245
.LBB31_243:
	s_mov_b32 s36, -1
                                        ; implicit-def: $vgpr8
	s_branch .LBB31_248
.LBB31_244:
	s_mov_b32 s36, -1
                                        ; implicit-def: $vgpr8
.LBB31_245:
	s_delay_alu instid0(SALU_CYCLE_1)
	s_and_not1_b32 vcc_lo, exec_lo, s36
	s_cbranch_vccnz .LBB31_247
; %bb.246:
	global_load_b32 v1, v[10:11], off
	s_wait_loadcnt 0x0
	v_trunc_f32_e32 v1, v1
	s_delay_alu instid0(VALU_DEP_1) | instskip(NEXT) | instid1(VALU_DEP_1)
	v_mul_f32_e64 v3, 0x2f800000, |v1|
	v_floor_f32_e32 v3, v3
	s_delay_alu instid0(VALU_DEP_1) | instskip(SKIP_1) | instid1(VALU_DEP_2)
	v_fma_f32 v3, 0xcf800000, v3, |v1|
	v_ashrrev_i32_e32 v1, 31, v1
	v_cvt_u32_f32_e32 v3, v3
	s_delay_alu instid0(VALU_DEP_1) | instskip(NEXT) | instid1(VALU_DEP_1)
	v_xor_b32_e32 v3, v3, v1
	v_sub_nc_u32_e32 v8, v3, v1
.LBB31_247:
	s_mov_b32 s36, 0
.LBB31_248:
	s_delay_alu instid0(SALU_CYCLE_1)
	s_and_not1_b32 vcc_lo, exec_lo, s36
	s_cbranch_vccnz .LBB31_250
; %bb.249:
	global_load_u16 v1, v[10:11], off
	s_wait_loadcnt 0x0
	v_cvt_f32_f16_e32 v1, v1
	s_delay_alu instid0(VALU_DEP_1)
	v_cvt_i32_f32_e32 v8, v1
.LBB31_250:
	s_mov_b32 s36, 0
.LBB31_251:
	s_delay_alu instid0(SALU_CYCLE_1)
	s_and_not1_b32 vcc_lo, exec_lo, s36
	s_cbranch_vccnz .LBB31_271
; %bb.252:
	s_cmp_lt_i32 s0, 2
	s_cbranch_scc1 .LBB31_256
; %bb.253:
	s_cmp_lt_i32 s0, 3
	s_cbranch_scc1 .LBB31_257
; %bb.254:
	s_cmp_gt_i32 s0, 3
	s_cbranch_scc0 .LBB31_258
; %bb.255:
	s_wait_loadcnt 0x0
	global_load_b64 v[8:9], v[10:11], off
	s_mov_b32 s36, 0
	s_branch .LBB31_259
.LBB31_256:
	s_mov_b32 s36, -1
                                        ; implicit-def: $vgpr8
	s_branch .LBB31_265
.LBB31_257:
	s_mov_b32 s36, -1
                                        ; implicit-def: $vgpr8
	s_branch .LBB31_262
.LBB31_258:
	s_mov_b32 s36, -1
                                        ; implicit-def: $vgpr8
.LBB31_259:
	s_delay_alu instid0(SALU_CYCLE_1)
	s_and_not1_b32 vcc_lo, exec_lo, s36
	s_cbranch_vccnz .LBB31_261
; %bb.260:
	s_wait_loadcnt 0x0
	global_load_b32 v8, v[10:11], off
.LBB31_261:
	s_mov_b32 s36, 0
.LBB31_262:
	s_delay_alu instid0(SALU_CYCLE_1)
	s_and_not1_b32 vcc_lo, exec_lo, s36
	s_cbranch_vccnz .LBB31_264
; %bb.263:
	s_wait_loadcnt 0x0
	global_load_u16 v8, v[10:11], off
.LBB31_264:
	s_mov_b32 s36, 0
.LBB31_265:
	s_delay_alu instid0(SALU_CYCLE_1)
	s_and_not1_b32 vcc_lo, exec_lo, s36
	s_cbranch_vccnz .LBB31_271
; %bb.266:
	s_cmp_gt_i32 s0, 0
	s_mov_b32 s0, 0
	s_cbranch_scc0 .LBB31_268
; %bb.267:
	s_wait_loadcnt 0x0
	global_load_u8 v8, v[10:11], off
	s_branch .LBB31_269
.LBB31_268:
	s_mov_b32 s0, -1
                                        ; implicit-def: $vgpr8
.LBB31_269:
	s_delay_alu instid0(SALU_CYCLE_1)
	s_and_not1_b32 vcc_lo, exec_lo, s0
	s_cbranch_vccnz .LBB31_271
; %bb.270:
	s_wait_loadcnt 0x0
	global_load_u8 v8, v[10:11], off
.LBB31_271:
	s_branch .LBB31_32
.LBB31_272:
	s_mov_b32 s0, 0
	s_mov_b32 s36, 0
	s_branch .LBB31_509
.LBB31_273:
	s_mov_b32 s36, -1
.LBB31_274:
	s_mov_b32 s45, 0
                                        ; implicit-def: $vgpr10
.LBB31_275:
	s_and_b32 vcc_lo, exec_lo, s48
	s_cbranch_vccz .LBB31_279
; %bb.276:
	s_cmp_eq_u32 s37, 44
	s_cbranch_scc0 .LBB31_278
; %bb.277:
	global_load_u8 v1, v[6:7], off
	s_mov_b32 s36, 0
	s_mov_b32 s45, -1
	s_wait_loadcnt 0x0
	v_lshlrev_b32_e32 v3, 23, v1
	v_cmp_ne_u32_e32 vcc_lo, 0, v1
	s_delay_alu instid0(VALU_DEP_2) | instskip(NEXT) | instid1(VALU_DEP_1)
	v_trunc_f32_e32 v3, v3
	v_mul_f32_e64 v5, 0x2f800000, |v3|
	s_delay_alu instid0(VALU_DEP_1) | instskip(NEXT) | instid1(VALU_DEP_1)
	v_floor_f32_e32 v5, v5
	v_fma_f32 v5, 0xcf800000, v5, |v3|
	v_ashrrev_i32_e32 v3, 31, v3
	s_delay_alu instid0(VALU_DEP_2) | instskip(NEXT) | instid1(VALU_DEP_1)
	v_cvt_u32_f32_e32 v5, v5
	v_xor_b32_e32 v5, v5, v3
	s_delay_alu instid0(VALU_DEP_1) | instskip(NEXT) | instid1(VALU_DEP_1)
	v_sub_nc_u32_e32 v3, v5, v3
	v_cndmask_b32_e32 v10, 0, v3, vcc_lo
	s_branch .LBB31_279
.LBB31_278:
	s_mov_b32 s36, -1
                                        ; implicit-def: $vgpr10
.LBB31_279:
	s_mov_b32 s48, 0
.LBB31_280:
	s_delay_alu instid0(SALU_CYCLE_1)
	s_and_b32 vcc_lo, exec_lo, s48
	s_cbranch_vccz .LBB31_284
; %bb.281:
	s_cmp_eq_u32 s37, 29
	s_cbranch_scc0 .LBB31_283
; %bb.282:
	global_load_b64 v[10:11], v[6:7], off
	s_mov_b32 s45, -1
	s_mov_b32 s36, 0
	s_branch .LBB31_284
.LBB31_283:
	s_mov_b32 s36, -1
                                        ; implicit-def: $vgpr10
.LBB31_284:
	s_mov_b32 s48, 0
.LBB31_285:
	s_delay_alu instid0(SALU_CYCLE_1)
	s_and_b32 vcc_lo, exec_lo, s48
	s_cbranch_vccz .LBB31_301
; %bb.286:
	s_cmp_lt_i32 s37, 27
	s_cbranch_scc1 .LBB31_289
; %bb.287:
	s_cmp_gt_i32 s37, 27
	s_cbranch_scc0 .LBB31_290
; %bb.288:
	s_wait_loadcnt 0x0
	global_load_b32 v10, v[6:7], off
	s_mov_b32 s45, 0
	s_branch .LBB31_291
.LBB31_289:
	s_mov_b32 s45, -1
                                        ; implicit-def: $vgpr10
	s_branch .LBB31_294
.LBB31_290:
	s_mov_b32 s45, -1
                                        ; implicit-def: $vgpr10
.LBB31_291:
	s_delay_alu instid0(SALU_CYCLE_1)
	s_and_not1_b32 vcc_lo, exec_lo, s45
	s_cbranch_vccnz .LBB31_293
; %bb.292:
	s_wait_loadcnt 0x0
	global_load_u16 v10, v[6:7], off
.LBB31_293:
	s_mov_b32 s45, 0
.LBB31_294:
	s_delay_alu instid0(SALU_CYCLE_1)
	s_and_not1_b32 vcc_lo, exec_lo, s45
	s_cbranch_vccnz .LBB31_300
; %bb.295:
	global_load_u8 v1, v[6:7], off
	s_mov_b32 s48, 0
	s_mov_b32 s45, exec_lo
	s_wait_loadcnt 0x0
	v_cmpx_lt_i16_e32 0x7f, v1
	s_xor_b32 s45, exec_lo, s45
	s_cbranch_execz .LBB31_312
; %bb.296:
	v_cmp_ne_u16_e32 vcc_lo, 0x80, v1
	s_and_b32 s48, vcc_lo, exec_lo
	s_and_not1_saveexec_b32 s45, s45
	s_cbranch_execnz .LBB31_313
.LBB31_297:
	s_or_b32 exec_lo, exec_lo, s45
	v_mov_b32_e32 v10, 0
	s_and_saveexec_b32 s45, s48
	s_cbranch_execz .LBB31_299
.LBB31_298:
	v_and_b32_e32 v3, 0xffff, v1
	s_delay_alu instid0(VALU_DEP_1) | instskip(SKIP_1) | instid1(VALU_DEP_2)
	v_and_b32_e32 v5, 7, v3
	v_bfe_u32 v11, v3, 3, 4
	v_clz_i32_u32_e32 v9, v5
	s_delay_alu instid0(VALU_DEP_2) | instskip(NEXT) | instid1(VALU_DEP_2)
	v_cmp_eq_u32_e32 vcc_lo, 0, v11
	v_min_u32_e32 v9, 32, v9
	s_delay_alu instid0(VALU_DEP_1) | instskip(NEXT) | instid1(VALU_DEP_1)
	v_subrev_nc_u32_e32 v10, 28, v9
	v_dual_lshlrev_b32 v3, v10, v3 :: v_dual_sub_nc_u32 v9, 29, v9
	s_delay_alu instid0(VALU_DEP_1) | instskip(NEXT) | instid1(VALU_DEP_1)
	v_dual_lshlrev_b32 v1, 24, v1 :: v_dual_bitop2_b32 v3, 7, v3 bitop3:0x40
	v_dual_cndmask_b32 v3, v5, v3, vcc_lo :: v_dual_cndmask_b32 v9, v11, v9, vcc_lo
	s_delay_alu instid0(VALU_DEP_2) | instskip(NEXT) | instid1(VALU_DEP_2)
	v_and_b32_e32 v1, 0x80000000, v1
	v_lshlrev_b32_e32 v3, 20, v3
	s_delay_alu instid0(VALU_DEP_3) | instskip(NEXT) | instid1(VALU_DEP_1)
	v_lshl_add_u32 v5, v9, 23, 0x3b800000
	v_or3_b32 v1, v1, v5, v3
	s_delay_alu instid0(VALU_DEP_1) | instskip(NEXT) | instid1(VALU_DEP_1)
	v_trunc_f32_e32 v1, v1
	v_mul_f32_e64 v3, 0x2f800000, |v1|
	s_delay_alu instid0(VALU_DEP_1) | instskip(NEXT) | instid1(VALU_DEP_1)
	v_floor_f32_e32 v3, v3
	v_fma_f32 v3, 0xcf800000, v3, |v1|
	v_ashrrev_i32_e32 v1, 31, v1
	s_delay_alu instid0(VALU_DEP_2) | instskip(NEXT) | instid1(VALU_DEP_1)
	v_cvt_u32_f32_e32 v3, v3
	v_xor_b32_e32 v3, v3, v1
	s_delay_alu instid0(VALU_DEP_1)
	v_sub_nc_u32_e32 v10, v3, v1
.LBB31_299:
	s_or_b32 exec_lo, exec_lo, s45
.LBB31_300:
	s_mov_b32 s45, -1
.LBB31_301:
	s_mov_b32 s48, 0
.LBB31_302:
	s_delay_alu instid0(SALU_CYCLE_1)
	s_and_b32 vcc_lo, exec_lo, s48
	s_cbranch_vccz .LBB31_335
; %bb.303:
	s_cmp_gt_i32 s37, 22
	s_cbranch_scc0 .LBB31_311
; %bb.304:
	s_cmp_lt_i32 s37, 24
	s_cbranch_scc1 .LBB31_314
; %bb.305:
	s_cmp_gt_i32 s37, 24
	s_cbranch_scc0 .LBB31_315
; %bb.306:
	global_load_u8 v1, v[6:7], off
	s_mov_b32 s48, 0
	s_mov_b32 s45, exec_lo
	s_wait_loadcnt 0x0
	v_cmpx_lt_i16_e32 0x7f, v1
	s_xor_b32 s45, exec_lo, s45
	s_cbranch_execz .LBB31_327
; %bb.307:
	v_cmp_ne_u16_e32 vcc_lo, 0x80, v1
	s_and_b32 s48, vcc_lo, exec_lo
	s_and_not1_saveexec_b32 s45, s45
	s_cbranch_execnz .LBB31_328
.LBB31_308:
	s_or_b32 exec_lo, exec_lo, s45
	v_mov_b32_e32 v10, 0
	s_and_saveexec_b32 s45, s48
	s_cbranch_execz .LBB31_310
.LBB31_309:
	v_and_b32_e32 v3, 0xffff, v1
	s_delay_alu instid0(VALU_DEP_1) | instskip(SKIP_1) | instid1(VALU_DEP_2)
	v_and_b32_e32 v5, 3, v3
	v_bfe_u32 v11, v3, 2, 5
	v_clz_i32_u32_e32 v9, v5
	s_delay_alu instid0(VALU_DEP_2) | instskip(NEXT) | instid1(VALU_DEP_2)
	v_cmp_eq_u32_e32 vcc_lo, 0, v11
	v_min_u32_e32 v9, 32, v9
	s_delay_alu instid0(VALU_DEP_1) | instskip(NEXT) | instid1(VALU_DEP_1)
	v_subrev_nc_u32_e32 v10, 29, v9
	v_dual_lshlrev_b32 v3, v10, v3 :: v_dual_sub_nc_u32 v9, 30, v9
	s_delay_alu instid0(VALU_DEP_1) | instskip(NEXT) | instid1(VALU_DEP_1)
	v_dual_lshlrev_b32 v1, 24, v1 :: v_dual_bitop2_b32 v3, 3, v3 bitop3:0x40
	v_dual_cndmask_b32 v3, v5, v3, vcc_lo :: v_dual_cndmask_b32 v9, v11, v9, vcc_lo
	s_delay_alu instid0(VALU_DEP_2) | instskip(NEXT) | instid1(VALU_DEP_2)
	v_and_b32_e32 v1, 0x80000000, v1
	v_lshlrev_b32_e32 v3, 21, v3
	s_delay_alu instid0(VALU_DEP_3) | instskip(NEXT) | instid1(VALU_DEP_1)
	v_lshl_add_u32 v5, v9, 23, 0x37800000
	v_or3_b32 v1, v1, v5, v3
	s_delay_alu instid0(VALU_DEP_1) | instskip(NEXT) | instid1(VALU_DEP_1)
	v_trunc_f32_e32 v1, v1
	v_mul_f32_e64 v3, 0x2f800000, |v1|
	s_delay_alu instid0(VALU_DEP_1) | instskip(NEXT) | instid1(VALU_DEP_1)
	v_floor_f32_e32 v3, v3
	v_fma_f32 v3, 0xcf800000, v3, |v1|
	v_ashrrev_i32_e32 v1, 31, v1
	s_delay_alu instid0(VALU_DEP_2) | instskip(NEXT) | instid1(VALU_DEP_1)
	v_cvt_u32_f32_e32 v3, v3
	v_xor_b32_e32 v3, v3, v1
	s_delay_alu instid0(VALU_DEP_1)
	v_sub_nc_u32_e32 v10, v3, v1
.LBB31_310:
	s_or_b32 exec_lo, exec_lo, s45
	s_mov_b32 s45, 0
	s_branch .LBB31_316
.LBB31_311:
	s_mov_b32 s48, -1
                                        ; implicit-def: $vgpr10
	s_branch .LBB31_322
.LBB31_312:
	s_and_not1_saveexec_b32 s45, s45
	s_cbranch_execz .LBB31_297
.LBB31_313:
	v_cmp_ne_u16_e32 vcc_lo, 0, v1
	s_and_not1_b32 s48, s48, exec_lo
	s_and_b32 s49, vcc_lo, exec_lo
	s_delay_alu instid0(SALU_CYCLE_1)
	s_or_b32 s48, s48, s49
	s_or_b32 exec_lo, exec_lo, s45
	v_mov_b32_e32 v10, 0
	s_and_saveexec_b32 s45, s48
	s_cbranch_execnz .LBB31_298
	s_branch .LBB31_299
.LBB31_314:
	s_mov_b32 s45, -1
                                        ; implicit-def: $vgpr10
	s_branch .LBB31_319
.LBB31_315:
	s_mov_b32 s45, -1
                                        ; implicit-def: $vgpr10
.LBB31_316:
	s_delay_alu instid0(SALU_CYCLE_1)
	s_and_b32 vcc_lo, exec_lo, s45
	s_cbranch_vccz .LBB31_318
; %bb.317:
	global_load_u8 v1, v[6:7], off
	s_wait_loadcnt 0x0
	v_lshlrev_b32_e32 v1, 24, v1
	s_delay_alu instid0(VALU_DEP_1) | instskip(NEXT) | instid1(VALU_DEP_1)
	v_and_b32_e32 v3, 0x7f000000, v1
	v_clz_i32_u32_e32 v5, v3
	v_cmp_ne_u32_e32 vcc_lo, 0, v3
	v_add_nc_u32_e32 v10, 0x1000000, v3
	s_delay_alu instid0(VALU_DEP_3) | instskip(NEXT) | instid1(VALU_DEP_1)
	v_min_u32_e32 v5, 32, v5
	v_sub_nc_u32_e64 v5, v5, 4 clamp
	s_delay_alu instid0(VALU_DEP_1) | instskip(NEXT) | instid1(VALU_DEP_1)
	v_dual_lshlrev_b32 v9, v5, v3 :: v_dual_lshlrev_b32 v5, 23, v5
	v_lshrrev_b32_e32 v9, 4, v9
	s_delay_alu instid0(VALU_DEP_1) | instskip(NEXT) | instid1(VALU_DEP_1)
	v_dual_sub_nc_u32 v5, v9, v5 :: v_dual_ashrrev_i32 v9, 8, v10
	v_add_nc_u32_e32 v5, 0x3c000000, v5
	s_delay_alu instid0(VALU_DEP_1) | instskip(NEXT) | instid1(VALU_DEP_1)
	v_and_or_b32 v5, 0x7f800000, v9, v5
	v_cndmask_b32_e32 v3, 0, v5, vcc_lo
	s_delay_alu instid0(VALU_DEP_1) | instskip(NEXT) | instid1(VALU_DEP_1)
	v_and_or_b32 v1, 0x80000000, v1, v3
	v_trunc_f32_e32 v1, v1
	s_delay_alu instid0(VALU_DEP_1) | instskip(NEXT) | instid1(VALU_DEP_1)
	v_mul_f32_e64 v3, 0x2f800000, |v1|
	v_floor_f32_e32 v3, v3
	s_delay_alu instid0(VALU_DEP_1) | instskip(SKIP_1) | instid1(VALU_DEP_2)
	v_fma_f32 v3, 0xcf800000, v3, |v1|
	v_ashrrev_i32_e32 v1, 31, v1
	v_cvt_u32_f32_e32 v3, v3
	s_delay_alu instid0(VALU_DEP_1) | instskip(NEXT) | instid1(VALU_DEP_1)
	v_xor_b32_e32 v3, v3, v1
	v_sub_nc_u32_e32 v10, v3, v1
.LBB31_318:
	s_mov_b32 s45, 0
.LBB31_319:
	s_delay_alu instid0(SALU_CYCLE_1)
	s_and_not1_b32 vcc_lo, exec_lo, s45
	s_cbranch_vccnz .LBB31_321
; %bb.320:
	global_load_u8 v1, v[6:7], off
	s_wait_loadcnt 0x0
	v_lshlrev_b32_e32 v3, 25, v1
	v_lshlrev_b16 v1, 8, v1
	s_delay_alu instid0(VALU_DEP_2) | instskip(NEXT) | instid1(VALU_DEP_2)
	v_cmp_gt_u32_e32 vcc_lo, 0x8000000, v3
	v_and_or_b32 v9, 0x7f00, v1, 0.5
	v_lshrrev_b32_e32 v5, 4, v3
	v_bfe_i32 v1, v1, 0, 16
	s_delay_alu instid0(VALU_DEP_3) | instskip(NEXT) | instid1(VALU_DEP_3)
	v_add_f32_e32 v9, -0.5, v9
	v_or_b32_e32 v5, 0x70000000, v5
	s_delay_alu instid0(VALU_DEP_1) | instskip(NEXT) | instid1(VALU_DEP_1)
	v_mul_f32_e32 v5, 0x7800000, v5
	v_cndmask_b32_e32 v3, v5, v9, vcc_lo
	s_delay_alu instid0(VALU_DEP_1) | instskip(NEXT) | instid1(VALU_DEP_1)
	v_and_or_b32 v1, 0x80000000, v1, v3
	v_trunc_f32_e32 v1, v1
	s_delay_alu instid0(VALU_DEP_1) | instskip(NEXT) | instid1(VALU_DEP_1)
	v_mul_f32_e64 v3, 0x2f800000, |v1|
	v_floor_f32_e32 v3, v3
	s_delay_alu instid0(VALU_DEP_1) | instskip(SKIP_1) | instid1(VALU_DEP_2)
	v_fma_f32 v3, 0xcf800000, v3, |v1|
	v_ashrrev_i32_e32 v1, 31, v1
	v_cvt_u32_f32_e32 v3, v3
	s_delay_alu instid0(VALU_DEP_1) | instskip(NEXT) | instid1(VALU_DEP_1)
	v_xor_b32_e32 v3, v3, v1
	v_sub_nc_u32_e32 v10, v3, v1
.LBB31_321:
	s_mov_b32 s48, 0
	s_mov_b32 s45, -1
.LBB31_322:
	s_and_not1_b32 vcc_lo, exec_lo, s48
	s_cbranch_vccnz .LBB31_335
; %bb.323:
	s_cmp_gt_i32 s37, 14
	s_cbranch_scc0 .LBB31_326
; %bb.324:
	s_cmp_eq_u32 s37, 15
	s_cbranch_scc0 .LBB31_329
; %bb.325:
	global_load_u16 v1, v[6:7], off
	s_mov_b32 s45, -1
	s_mov_b32 s36, 0
	s_wait_loadcnt 0x0
	v_lshlrev_b32_e32 v1, 16, v1
	s_delay_alu instid0(VALU_DEP_1) | instskip(NEXT) | instid1(VALU_DEP_1)
	v_trunc_f32_e32 v1, v1
	v_mul_f32_e64 v3, 0x2f800000, |v1|
	s_delay_alu instid0(VALU_DEP_1) | instskip(NEXT) | instid1(VALU_DEP_1)
	v_floor_f32_e32 v3, v3
	v_fma_f32 v3, 0xcf800000, v3, |v1|
	v_ashrrev_i32_e32 v1, 31, v1
	s_delay_alu instid0(VALU_DEP_2) | instskip(NEXT) | instid1(VALU_DEP_1)
	v_cvt_u32_f32_e32 v3, v3
	v_xor_b32_e32 v3, v3, v1
	s_delay_alu instid0(VALU_DEP_1)
	v_sub_nc_u32_e32 v10, v3, v1
	s_branch .LBB31_330
.LBB31_326:
	s_mov_b32 s48, -1
                                        ; implicit-def: $vgpr10
	s_branch .LBB31_331
.LBB31_327:
	s_and_not1_saveexec_b32 s45, s45
	s_cbranch_execz .LBB31_308
.LBB31_328:
	v_cmp_ne_u16_e32 vcc_lo, 0, v1
	s_and_not1_b32 s48, s48, exec_lo
	s_and_b32 s49, vcc_lo, exec_lo
	s_delay_alu instid0(SALU_CYCLE_1)
	s_or_b32 s48, s48, s49
	s_or_b32 exec_lo, exec_lo, s45
	v_mov_b32_e32 v10, 0
	s_and_saveexec_b32 s45, s48
	s_cbranch_execnz .LBB31_309
	s_branch .LBB31_310
.LBB31_329:
	s_mov_b32 s36, -1
                                        ; implicit-def: $vgpr10
.LBB31_330:
	s_mov_b32 s48, 0
.LBB31_331:
	s_delay_alu instid0(SALU_CYCLE_1)
	s_and_b32 vcc_lo, exec_lo, s48
	s_cbranch_vccz .LBB31_335
; %bb.332:
	s_cmp_eq_u32 s37, 11
	s_cbranch_scc0 .LBB31_334
; %bb.333:
	global_load_u8 v1, v[6:7], off
	s_mov_b32 s36, 0
	s_mov_b32 s45, -1
	s_wait_loadcnt 0x0
	v_cmp_ne_u16_e32 vcc_lo, 0, v1
	v_cndmask_b32_e64 v10, 0, 1, vcc_lo
	s_branch .LBB31_335
.LBB31_334:
	s_mov_b32 s36, -1
                                        ; implicit-def: $vgpr10
.LBB31_335:
	s_mov_b32 s37, 0
.LBB31_336:
	s_delay_alu instid0(SALU_CYCLE_1)
	s_and_b32 vcc_lo, exec_lo, s37
	s_cbranch_vccz .LBB31_385
; %bb.337:
	s_and_b32 s0, 0xffff, s0
	s_delay_alu instid0(SALU_CYCLE_1)
	s_cmp_lt_i32 s0, 5
	s_cbranch_scc1 .LBB31_342
; %bb.338:
	s_cmp_lt_i32 s0, 8
	s_cbranch_scc1 .LBB31_343
; %bb.339:
	s_cmp_lt_i32 s0, 9
	s_cbranch_scc1 .LBB31_344
; %bb.340:
	s_cmp_gt_i32 s0, 9
	s_cbranch_scc0 .LBB31_345
; %bb.341:
	s_wait_loadcnt 0x0
	global_load_b64 v[10:11], v[6:7], off
	s_mov_b32 s37, 0
	s_wait_loadcnt 0x0
	v_trunc_f64_e32 v[10:11], v[10:11]
	s_delay_alu instid0(VALU_DEP_1) | instskip(NEXT) | instid1(VALU_DEP_1)
	v_ldexp_f64 v[12:13], v[10:11], 0xffffffe0
	v_floor_f64_e32 v[12:13], v[12:13]
	s_delay_alu instid0(VALU_DEP_1) | instskip(NEXT) | instid1(VALU_DEP_1)
	v_fmamk_f64 v[10:11], v[12:13], 0xc1f00000, v[10:11]
	v_cvt_u32_f64_e32 v10, v[10:11]
	s_branch .LBB31_346
.LBB31_342:
	s_mov_b32 s37, -1
                                        ; implicit-def: $vgpr10
	s_branch .LBB31_364
.LBB31_343:
	s_mov_b32 s37, -1
                                        ; implicit-def: $vgpr10
	s_branch .LBB31_352
.LBB31_344:
	s_mov_b32 s37, -1
                                        ; implicit-def: $vgpr10
	s_branch .LBB31_349
.LBB31_345:
	s_mov_b32 s37, -1
                                        ; implicit-def: $vgpr10
.LBB31_346:
	s_delay_alu instid0(SALU_CYCLE_1)
	s_and_not1_b32 vcc_lo, exec_lo, s37
	s_cbranch_vccnz .LBB31_348
; %bb.347:
	global_load_b32 v1, v[6:7], off
	s_wait_loadcnt 0x0
	v_trunc_f32_e32 v1, v1
	s_delay_alu instid0(VALU_DEP_1) | instskip(NEXT) | instid1(VALU_DEP_1)
	v_mul_f32_e64 v3, 0x2f800000, |v1|
	v_floor_f32_e32 v3, v3
	s_delay_alu instid0(VALU_DEP_1) | instskip(SKIP_1) | instid1(VALU_DEP_2)
	v_fma_f32 v3, 0xcf800000, v3, |v1|
	v_ashrrev_i32_e32 v1, 31, v1
	v_cvt_u32_f32_e32 v3, v3
	s_delay_alu instid0(VALU_DEP_1) | instskip(NEXT) | instid1(VALU_DEP_1)
	v_xor_b32_e32 v3, v3, v1
	v_sub_nc_u32_e32 v10, v3, v1
.LBB31_348:
	s_mov_b32 s37, 0
.LBB31_349:
	s_delay_alu instid0(SALU_CYCLE_1)
	s_and_not1_b32 vcc_lo, exec_lo, s37
	s_cbranch_vccnz .LBB31_351
; %bb.350:
	global_load_b32 v1, v[6:7], off
	s_wait_loadcnt 0x0
	v_cvt_f32_f16_e32 v1, v1
	s_delay_alu instid0(VALU_DEP_1)
	v_cvt_i32_f32_e32 v10, v1
.LBB31_351:
	s_mov_b32 s37, 0
.LBB31_352:
	s_delay_alu instid0(SALU_CYCLE_1)
	s_and_not1_b32 vcc_lo, exec_lo, s37
	s_cbranch_vccnz .LBB31_363
; %bb.353:
	s_cmp_lt_i32 s0, 6
	s_cbranch_scc1 .LBB31_356
; %bb.354:
	s_cmp_gt_i32 s0, 6
	s_cbranch_scc0 .LBB31_357
; %bb.355:
	s_wait_loadcnt 0x0
	global_load_b64 v[10:11], v[6:7], off
	s_mov_b32 s37, 0
	s_wait_loadcnt 0x0
	v_trunc_f64_e32 v[10:11], v[10:11]
	s_delay_alu instid0(VALU_DEP_1) | instskip(NEXT) | instid1(VALU_DEP_1)
	v_ldexp_f64 v[12:13], v[10:11], 0xffffffe0
	v_floor_f64_e32 v[12:13], v[12:13]
	s_delay_alu instid0(VALU_DEP_1) | instskip(NEXT) | instid1(VALU_DEP_1)
	v_fmamk_f64 v[10:11], v[12:13], 0xc1f00000, v[10:11]
	v_cvt_u32_f64_e32 v10, v[10:11]
	s_branch .LBB31_358
.LBB31_356:
	s_mov_b32 s37, -1
                                        ; implicit-def: $vgpr10
	s_branch .LBB31_361
.LBB31_357:
	s_mov_b32 s37, -1
                                        ; implicit-def: $vgpr10
.LBB31_358:
	s_delay_alu instid0(SALU_CYCLE_1)
	s_and_not1_b32 vcc_lo, exec_lo, s37
	s_cbranch_vccnz .LBB31_360
; %bb.359:
	global_load_b32 v1, v[6:7], off
	s_wait_loadcnt 0x0
	v_trunc_f32_e32 v1, v1
	s_delay_alu instid0(VALU_DEP_1) | instskip(NEXT) | instid1(VALU_DEP_1)
	v_mul_f32_e64 v3, 0x2f800000, |v1|
	v_floor_f32_e32 v3, v3
	s_delay_alu instid0(VALU_DEP_1) | instskip(SKIP_1) | instid1(VALU_DEP_2)
	v_fma_f32 v3, 0xcf800000, v3, |v1|
	v_ashrrev_i32_e32 v1, 31, v1
	v_cvt_u32_f32_e32 v3, v3
	s_delay_alu instid0(VALU_DEP_1) | instskip(NEXT) | instid1(VALU_DEP_1)
	v_xor_b32_e32 v3, v3, v1
	v_sub_nc_u32_e32 v10, v3, v1
.LBB31_360:
	s_mov_b32 s37, 0
.LBB31_361:
	s_delay_alu instid0(SALU_CYCLE_1)
	s_and_not1_b32 vcc_lo, exec_lo, s37
	s_cbranch_vccnz .LBB31_363
; %bb.362:
	global_load_u16 v1, v[6:7], off
	s_wait_loadcnt 0x0
	v_cvt_f32_f16_e32 v1, v1
	s_delay_alu instid0(VALU_DEP_1)
	v_cvt_i32_f32_e32 v10, v1
.LBB31_363:
	s_mov_b32 s37, 0
.LBB31_364:
	s_delay_alu instid0(SALU_CYCLE_1)
	s_and_not1_b32 vcc_lo, exec_lo, s37
	s_cbranch_vccnz .LBB31_384
; %bb.365:
	s_cmp_lt_i32 s0, 2
	s_cbranch_scc1 .LBB31_369
; %bb.366:
	s_cmp_lt_i32 s0, 3
	s_cbranch_scc1 .LBB31_370
; %bb.367:
	s_cmp_gt_i32 s0, 3
	s_cbranch_scc0 .LBB31_371
; %bb.368:
	s_wait_loadcnt 0x0
	global_load_b64 v[10:11], v[6:7], off
	s_mov_b32 s37, 0
	s_branch .LBB31_372
.LBB31_369:
	s_mov_b32 s37, -1
                                        ; implicit-def: $vgpr10
	s_branch .LBB31_378
.LBB31_370:
	s_mov_b32 s37, -1
                                        ; implicit-def: $vgpr10
	s_branch .LBB31_375
.LBB31_371:
	s_mov_b32 s37, -1
                                        ; implicit-def: $vgpr10
.LBB31_372:
	s_delay_alu instid0(SALU_CYCLE_1)
	s_and_not1_b32 vcc_lo, exec_lo, s37
	s_cbranch_vccnz .LBB31_374
; %bb.373:
	s_wait_loadcnt 0x0
	global_load_b32 v10, v[6:7], off
.LBB31_374:
	s_mov_b32 s37, 0
.LBB31_375:
	s_delay_alu instid0(SALU_CYCLE_1)
	s_and_not1_b32 vcc_lo, exec_lo, s37
	s_cbranch_vccnz .LBB31_377
; %bb.376:
	s_wait_loadcnt 0x0
	global_load_u16 v10, v[6:7], off
.LBB31_377:
	s_mov_b32 s37, 0
.LBB31_378:
	s_delay_alu instid0(SALU_CYCLE_1)
	s_and_not1_b32 vcc_lo, exec_lo, s37
	s_cbranch_vccnz .LBB31_384
; %bb.379:
	s_cmp_gt_i32 s0, 0
	s_mov_b32 s0, 0
	s_cbranch_scc0 .LBB31_381
; %bb.380:
	s_wait_loadcnt 0x0
	global_load_u8 v10, v[6:7], off
	s_branch .LBB31_382
.LBB31_381:
	s_mov_b32 s0, -1
                                        ; implicit-def: $vgpr10
.LBB31_382:
	s_delay_alu instid0(SALU_CYCLE_1)
	s_and_not1_b32 vcc_lo, exec_lo, s0
	s_cbranch_vccnz .LBB31_384
; %bb.383:
	s_wait_loadcnt 0x0
	global_load_u8 v10, v[6:7], off
.LBB31_384:
	s_mov_b32 s45, -1
.LBB31_385:
	s_delay_alu instid0(SALU_CYCLE_1)
	s_and_not1_b32 vcc_lo, exec_lo, s45
	s_cbranch_vccnz .LBB31_393
; %bb.386:
	v_mov_b32_e32 v3, 0
	s_wait_loadcnt 0x0
	v_mul_lo_u16 v1, v4, s24
	v_mul_lo_u16 v4, v8, s42
	s_and_b32 s37, s21, 0xff
	s_delay_alu instid0(SALU_CYCLE_1) | instskip(SKIP_1) | instid1(VALU_DEP_2)
	s_cmp_lt_i32 s37, 11
	v_add_nc_u64_e32 v[2:3], s[4:5], v[2:3]
	v_mad_u16 v1, v4, v10, v1
	s_cbranch_scc1 .LBB31_394
; %bb.387:
	s_and_b32 s45, 0xffff, s37
	s_delay_alu instid0(SALU_CYCLE_1)
	s_cmp_gt_i32 s45, 25
	s_cbranch_scc0 .LBB31_395
; %bb.388:
	s_cmp_gt_i32 s45, 28
	s_cbranch_scc0 .LBB31_396
; %bb.389:
	;; [unrolled: 3-line block ×4, first 2 shown]
	s_mov_b32 s49, 0
	s_mov_b32 s0, -1
	s_cmp_eq_u32 s45, 46
	s_mov_b32 s48, 0
	s_cbranch_scc0 .LBB31_399
; %bb.392:
	v_cvt_f32_ubyte0_e32 v4, v1
	s_mov_b32 s48, -1
	s_mov_b32 s0, 0
	s_delay_alu instid0(VALU_DEP_1) | instskip(NEXT) | instid1(VALU_DEP_1)
	v_bfe_u32 v5, v4, 16, 1
	v_add3_u32 v4, v4, v5, 0x7fff
	s_delay_alu instid0(VALU_DEP_1)
	v_lshrrev_b32_e32 v4, 16, v4
	global_store_b32 v[2:3], v4, off
	s_branch .LBB31_399
.LBB31_393:
	s_mov_b32 s0, 0
	s_branch .LBB31_509
.LBB31_394:
	s_mov_b32 s45, -1
	s_mov_b32 s0, 0
	s_mov_b32 s48, 0
	s_branch .LBB31_468
.LBB31_395:
	s_mov_b32 s49, -1
	s_mov_b32 s0, 0
	s_mov_b32 s48, 0
	s_branch .LBB31_426
.LBB31_396:
	s_mov_b32 s49, -1
	s_mov_b32 s0, 0
	s_mov_b32 s48, 0
	s_branch .LBB31_409
.LBB31_397:
	s_mov_b32 s49, -1
	s_mov_b32 s0, 0
	s_mov_b32 s48, 0
	s_branch .LBB31_405
.LBB31_398:
	s_mov_b32 s49, -1
	s_mov_b32 s0, 0
	s_mov_b32 s48, 0
.LBB31_399:
	s_and_b32 vcc_lo, exec_lo, s49
	s_cbranch_vccz .LBB31_404
; %bb.400:
	s_cmp_eq_u32 s45, 44
	s_mov_b32 s0, -1
	s_cbranch_scc0 .LBB31_404
; %bb.401:
	v_cvt_f32_ubyte0_e32 v6, v1
	s_mov_b32 s48, exec_lo
	s_wait_xcnt 0x0
	s_delay_alu instid0(VALU_DEP_1) | instskip(NEXT) | instid1(VALU_DEP_1)
	v_dual_mov_b32 v5, 0xff :: v_dual_lshrrev_b32 v4, 23, v6
	v_cmpx_ne_u32_e32 0xff, v4
; %bb.402:
	v_and_b32_e32 v5, 0x400000, v6
	v_and_or_b32 v6, 0x3fffff, v6, v4
	s_delay_alu instid0(VALU_DEP_2) | instskip(NEXT) | instid1(VALU_DEP_2)
	v_cmp_ne_u32_e32 vcc_lo, 0, v5
	v_cmp_ne_u32_e64 s0, 0, v6
	s_and_b32 s0, vcc_lo, s0
	s_delay_alu instid0(SALU_CYCLE_1) | instskip(NEXT) | instid1(VALU_DEP_1)
	v_cndmask_b32_e64 v5, 0, 1, s0
	v_add_nc_u32_e32 v5, v4, v5
; %bb.403:
	s_or_b32 exec_lo, exec_lo, s48
	s_mov_b32 s48, -1
	s_mov_b32 s0, 0
	global_store_b8 v[2:3], v5, off
.LBB31_404:
	s_mov_b32 s49, 0
.LBB31_405:
	s_delay_alu instid0(SALU_CYCLE_1)
	s_and_b32 vcc_lo, exec_lo, s49
	s_cbranch_vccz .LBB31_408
; %bb.406:
	s_cmp_eq_u32 s45, 29
	s_mov_b32 s0, -1
	s_cbranch_scc0 .LBB31_408
; %bb.407:
	s_wait_xcnt 0x0
	v_and_b32_e32 v4, 0xff, v1
	v_mov_b32_e32 v5, 0
	s_mov_b32 s48, -1
	s_mov_b32 s0, 0
	s_mov_b32 s49, 0
	global_store_b64 v[2:3], v[4:5], off
	s_branch .LBB31_409
.LBB31_408:
	s_mov_b32 s49, 0
.LBB31_409:
	s_delay_alu instid0(SALU_CYCLE_1)
	s_and_b32 vcc_lo, exec_lo, s49
	s_cbranch_vccz .LBB31_425
; %bb.410:
	s_cmp_lt_i32 s45, 27
	s_mov_b32 s48, -1
	s_cbranch_scc1 .LBB31_416
; %bb.411:
	s_cmp_gt_i32 s45, 27
	s_cbranch_scc0 .LBB31_413
; %bb.412:
	s_wait_xcnt 0x0
	v_and_b32_e32 v4, 0xff, v1
	s_mov_b32 s48, 0
	global_store_b32 v[2:3], v4, off
.LBB31_413:
	s_and_not1_b32 vcc_lo, exec_lo, s48
	s_cbranch_vccnz .LBB31_415
; %bb.414:
	s_wait_xcnt 0x0
	v_and_b32_e32 v4, 0xff, v1
	global_store_b16 v[2:3], v4, off
.LBB31_415:
	s_mov_b32 s48, 0
.LBB31_416:
	s_delay_alu instid0(SALU_CYCLE_1)
	s_and_not1_b32 vcc_lo, exec_lo, s48
	s_cbranch_vccnz .LBB31_424
; %bb.417:
	s_wait_xcnt 0x0
	v_cvt_f32_ubyte0_e32 v5, v1
	v_mov_b32_e32 v6, 0x80
	s_mov_b32 s48, exec_lo
	s_delay_alu instid0(VALU_DEP_2)
	v_cmpx_gt_u32_e32 0x43800000, v5
	s_cbranch_execz .LBB31_423
; %bb.418:
	s_mov_b32 s49, 0
	s_mov_b32 s50, exec_lo
                                        ; implicit-def: $vgpr4
	v_cmpx_lt_u32_e32 0x3bffffff, v5
	s_xor_b32 s50, exec_lo, s50
	s_cbranch_execz .LBB31_664
; %bb.419:
	v_bfe_u32 v4, v5, 20, 1
	s_mov_b32 s49, exec_lo
	s_delay_alu instid0(VALU_DEP_1) | instskip(NEXT) | instid1(VALU_DEP_1)
	v_add3_u32 v4, v5, v4, 0x487ffff
                                        ; implicit-def: $vgpr5
	v_lshrrev_b32_e32 v4, 20, v4
	s_and_not1_saveexec_b32 s50, s50
	s_cbranch_execnz .LBB31_665
.LBB31_420:
	s_or_b32 exec_lo, exec_lo, s50
	v_mov_b32_e32 v6, 0
	s_and_saveexec_b32 s50, s49
.LBB31_421:
	v_mov_b32_e32 v6, v4
.LBB31_422:
	s_or_b32 exec_lo, exec_lo, s50
.LBB31_423:
	s_delay_alu instid0(SALU_CYCLE_1)
	s_or_b32 exec_lo, exec_lo, s48
	global_store_b8 v[2:3], v6, off
.LBB31_424:
	s_mov_b32 s48, -1
.LBB31_425:
	s_mov_b32 s49, 0
.LBB31_426:
	s_delay_alu instid0(SALU_CYCLE_1)
	s_and_b32 vcc_lo, exec_lo, s49
	s_cbranch_vccz .LBB31_467
; %bb.427:
	s_cmp_gt_i32 s45, 22
	s_mov_b32 s49, -1
	s_cbranch_scc0 .LBB31_459
; %bb.428:
	s_cmp_lt_i32 s45, 24
	s_mov_b32 s48, -1
	s_cbranch_scc1 .LBB31_448
; %bb.429:
	s_cmp_gt_i32 s45, 24
	s_cbranch_scc0 .LBB31_437
; %bb.430:
	s_wait_xcnt 0x0
	v_cvt_f32_ubyte0_e32 v5, v1
	v_mov_b32_e32 v6, 0x80
	s_mov_b32 s48, exec_lo
	s_delay_alu instid0(VALU_DEP_2)
	v_cmpx_gt_u32_e32 0x47800000, v5
	s_cbranch_execz .LBB31_436
; %bb.431:
	s_mov_b32 s49, 0
	s_mov_b32 s50, exec_lo
                                        ; implicit-def: $vgpr4
	v_cmpx_lt_u32_e32 0x37ffffff, v5
	s_xor_b32 s50, exec_lo, s50
	s_cbranch_execz .LBB31_792
; %bb.432:
	v_bfe_u32 v4, v5, 21, 1
	s_mov_b32 s49, exec_lo
	s_delay_alu instid0(VALU_DEP_1) | instskip(NEXT) | instid1(VALU_DEP_1)
	v_add3_u32 v4, v5, v4, 0x88fffff
                                        ; implicit-def: $vgpr5
	v_lshrrev_b32_e32 v4, 21, v4
	s_and_not1_saveexec_b32 s50, s50
	s_cbranch_execnz .LBB31_793
.LBB31_433:
	s_or_b32 exec_lo, exec_lo, s50
	v_mov_b32_e32 v6, 0
	s_and_saveexec_b32 s50, s49
.LBB31_434:
	v_mov_b32_e32 v6, v4
.LBB31_435:
	s_or_b32 exec_lo, exec_lo, s50
.LBB31_436:
	s_delay_alu instid0(SALU_CYCLE_1)
	s_or_b32 exec_lo, exec_lo, s48
	s_mov_b32 s48, 0
	global_store_b8 v[2:3], v6, off
.LBB31_437:
	s_and_b32 vcc_lo, exec_lo, s48
	s_cbranch_vccz .LBB31_447
; %bb.438:
	s_wait_xcnt 0x0
	v_cvt_f32_ubyte0_e32 v5, v1
	s_mov_b32 s48, exec_lo
                                        ; implicit-def: $vgpr4
	s_delay_alu instid0(VALU_DEP_1)
	v_cmpx_gt_u32_e32 0x43f00000, v5
	s_xor_b32 s48, exec_lo, s48
	s_cbranch_execz .LBB31_444
; %bb.439:
	s_mov_b32 s49, exec_lo
                                        ; implicit-def: $vgpr4
	v_cmpx_lt_u32_e32 0x3c7fffff, v5
	s_xor_b32 s49, exec_lo, s49
; %bb.440:
	v_bfe_u32 v4, v5, 20, 1
	s_delay_alu instid0(VALU_DEP_1) | instskip(NEXT) | instid1(VALU_DEP_1)
	v_add3_u32 v4, v5, v4, 0x407ffff
	v_and_b32_e32 v5, 0xff00000, v4
	v_lshrrev_b32_e32 v4, 20, v4
	s_delay_alu instid0(VALU_DEP_2) | instskip(NEXT) | instid1(VALU_DEP_2)
	v_cmp_ne_u32_e32 vcc_lo, 0x7f00000, v5
                                        ; implicit-def: $vgpr5
	v_cndmask_b32_e32 v4, 0x7e, v4, vcc_lo
; %bb.441:
	s_and_not1_saveexec_b32 s49, s49
; %bb.442:
	v_add_f32_e32 v4, 0x46800000, v5
; %bb.443:
	s_or_b32 exec_lo, exec_lo, s49
                                        ; implicit-def: $vgpr5
.LBB31_444:
	s_and_not1_saveexec_b32 s48, s48
; %bb.445:
	v_mov_b32_e32 v4, 0x7f
	v_cmp_lt_u32_e32 vcc_lo, 0x7f800000, v5
	s_delay_alu instid0(VALU_DEP_2)
	v_cndmask_b32_e32 v4, 0x7e, v4, vcc_lo
; %bb.446:
	s_or_b32 exec_lo, exec_lo, s48
	global_store_b8 v[2:3], v4, off
.LBB31_447:
	s_mov_b32 s48, 0
.LBB31_448:
	s_delay_alu instid0(SALU_CYCLE_1)
	s_and_not1_b32 vcc_lo, exec_lo, s48
	s_cbranch_vccnz .LBB31_458
; %bb.449:
	s_wait_xcnt 0x0
	v_cvt_f32_ubyte0_e32 v5, v1
	s_mov_b32 s48, exec_lo
                                        ; implicit-def: $vgpr4
	s_delay_alu instid0(VALU_DEP_1)
	v_cmpx_gt_u32_e32 0x47800000, v5
	s_xor_b32 s48, exec_lo, s48
	s_cbranch_execz .LBB31_455
; %bb.450:
	s_mov_b32 s49, exec_lo
                                        ; implicit-def: $vgpr4
	v_cmpx_lt_u32_e32 0x387fffff, v5
	s_xor_b32 s49, exec_lo, s49
; %bb.451:
	v_bfe_u32 v4, v5, 21, 1
	s_delay_alu instid0(VALU_DEP_1) | instskip(NEXT) | instid1(VALU_DEP_1)
	v_add3_u32 v4, v5, v4, 0x80fffff
                                        ; implicit-def: $vgpr5
	v_lshrrev_b32_e32 v4, 21, v4
; %bb.452:
	s_and_not1_saveexec_b32 s49, s49
; %bb.453:
	v_add_f32_e32 v4, 0x43000000, v5
; %bb.454:
	s_or_b32 exec_lo, exec_lo, s49
                                        ; implicit-def: $vgpr5
.LBB31_455:
	s_and_not1_saveexec_b32 s48, s48
; %bb.456:
	v_mov_b32_e32 v4, 0x7f
	v_cmp_lt_u32_e32 vcc_lo, 0x7f800000, v5
	s_delay_alu instid0(VALU_DEP_2)
	v_cndmask_b32_e32 v4, 0x7c, v4, vcc_lo
; %bb.457:
	s_or_b32 exec_lo, exec_lo, s48
	global_store_b8 v[2:3], v4, off
.LBB31_458:
	s_mov_b32 s49, 0
	s_mov_b32 s48, -1
.LBB31_459:
	s_and_not1_b32 vcc_lo, exec_lo, s49
	s_cbranch_vccnz .LBB31_467
; %bb.460:
	s_cmp_gt_i32 s45, 14
	s_mov_b32 s49, -1
	s_cbranch_scc0 .LBB31_464
; %bb.461:
	s_cmp_eq_u32 s45, 15
	s_mov_b32 s0, -1
	s_cbranch_scc0 .LBB31_463
; %bb.462:
	s_wait_xcnt 0x0
	v_cvt_f32_ubyte0_e32 v4, v1
	s_mov_b32 s48, -1
	s_mov_b32 s0, 0
	s_delay_alu instid0(VALU_DEP_1) | instskip(NEXT) | instid1(VALU_DEP_1)
	v_bfe_u32 v5, v4, 16, 1
	v_add3_u32 v4, v4, v5, 0x7fff
	global_store_d16_hi_b16 v[2:3], v4, off
.LBB31_463:
	s_mov_b32 s49, 0
.LBB31_464:
	s_delay_alu instid0(SALU_CYCLE_1)
	s_and_b32 vcc_lo, exec_lo, s49
	s_cbranch_vccz .LBB31_467
; %bb.465:
	s_cmp_eq_u32 s45, 11
	s_mov_b32 s0, -1
	s_cbranch_scc0 .LBB31_467
; %bb.466:
	s_wait_xcnt 0x0
	v_and_b32_e32 v4, 0xff, v1
	s_mov_b32 s0, 0
	s_mov_b32 s48, -1
	s_delay_alu instid0(VALU_DEP_1)
	v_cmp_ne_u16_e32 vcc_lo, 0, v4
	v_cndmask_b32_e64 v4, 0, 1, vcc_lo
	global_store_b8 v[2:3], v4, off
.LBB31_467:
	s_mov_b32 s45, 0
.LBB31_468:
	s_delay_alu instid0(SALU_CYCLE_1)
	s_and_b32 vcc_lo, exec_lo, s45
	s_cbranch_vccz .LBB31_507
; %bb.469:
	s_and_b32 s37, 0xffff, s37
	s_mov_b32 s45, -1
	s_cmp_lt_i32 s37, 5
	s_cbranch_scc1 .LBB31_490
; %bb.470:
	s_cmp_lt_i32 s37, 8
	s_cbranch_scc1 .LBB31_480
; %bb.471:
	;; [unrolled: 3-line block ×3, first 2 shown]
	s_cmp_gt_i32 s37, 9
	s_cbranch_scc0 .LBB31_474
; %bb.473:
	s_wait_xcnt 0x0
	v_and_b32_e32 v4, 0xff, v1
	v_mov_b32_e32 v6, 0
	s_mov_b32 s45, 0
	s_delay_alu instid0(VALU_DEP_2) | instskip(NEXT) | instid1(VALU_DEP_2)
	v_and_b32_e32 v4, 0xffff, v4
	v_mov_b32_e32 v7, v6
	s_delay_alu instid0(VALU_DEP_2)
	v_cvt_f64_u32_e32 v[4:5], v4
	global_store_b128 v[2:3], v[4:7], off
.LBB31_474:
	s_and_not1_b32 vcc_lo, exec_lo, s45
	s_cbranch_vccnz .LBB31_476
; %bb.475:
	s_wait_xcnt 0x0
	v_cvt_f32_ubyte0_e32 v4, v1
	v_mov_b32_e32 v5, 0
	global_store_b64 v[2:3], v[4:5], off
.LBB31_476:
	s_mov_b32 s45, 0
.LBB31_477:
	s_delay_alu instid0(SALU_CYCLE_1)
	s_and_not1_b32 vcc_lo, exec_lo, s45
	s_cbranch_vccnz .LBB31_479
; %bb.478:
	s_wait_xcnt 0x0
	v_and_b32_e32 v4, 0xff, v1
	s_delay_alu instid0(VALU_DEP_1) | instskip(NEXT) | instid1(VALU_DEP_1)
	v_cvt_f16_u16_e32 v4, v4
	v_and_b32_e32 v4, 0xffff, v4
	global_store_b32 v[2:3], v4, off
.LBB31_479:
	s_mov_b32 s45, 0
.LBB31_480:
	s_delay_alu instid0(SALU_CYCLE_1)
	s_and_not1_b32 vcc_lo, exec_lo, s45
	s_cbranch_vccnz .LBB31_489
; %bb.481:
	s_cmp_lt_i32 s37, 6
	s_mov_b32 s45, -1
	s_cbranch_scc1 .LBB31_487
; %bb.482:
	s_cmp_gt_i32 s37, 6
	s_cbranch_scc0 .LBB31_484
; %bb.483:
	s_wait_xcnt 0x0
	v_and_b32_e32 v4, 0xff, v1
	s_mov_b32 s45, 0
	s_delay_alu instid0(VALU_DEP_1) | instskip(NEXT) | instid1(VALU_DEP_1)
	v_and_b32_e32 v4, 0xffff, v4
	v_cvt_f64_u32_e32 v[4:5], v4
	global_store_b64 v[2:3], v[4:5], off
.LBB31_484:
	s_and_not1_b32 vcc_lo, exec_lo, s45
	s_cbranch_vccnz .LBB31_486
; %bb.485:
	s_wait_xcnt 0x0
	v_cvt_f32_ubyte0_e32 v4, v1
	global_store_b32 v[2:3], v4, off
.LBB31_486:
	s_mov_b32 s45, 0
.LBB31_487:
	s_delay_alu instid0(SALU_CYCLE_1)
	s_and_not1_b32 vcc_lo, exec_lo, s45
	s_cbranch_vccnz .LBB31_489
; %bb.488:
	s_wait_xcnt 0x0
	v_and_b32_e32 v4, 0xff, v1
	s_delay_alu instid0(VALU_DEP_1)
	v_cvt_f16_u16_e32 v4, v4
	global_store_b16 v[2:3], v4, off
.LBB31_489:
	s_mov_b32 s45, 0
.LBB31_490:
	s_delay_alu instid0(SALU_CYCLE_1)
	s_and_not1_b32 vcc_lo, exec_lo, s45
	s_cbranch_vccnz .LBB31_506
; %bb.491:
	s_cmp_lt_i32 s37, 2
	s_mov_b32 s45, -1
	s_cbranch_scc1 .LBB31_501
; %bb.492:
	s_cmp_lt_i32 s37, 3
	s_cbranch_scc1 .LBB31_498
; %bb.493:
	s_cmp_gt_i32 s37, 3
	s_cbranch_scc0 .LBB31_495
; %bb.494:
	s_wait_xcnt 0x0
	v_and_b32_e32 v4, 0xff, v1
	v_mov_b32_e32 v5, 0
	s_mov_b32 s45, 0
	global_store_b64 v[2:3], v[4:5], off
.LBB31_495:
	s_and_not1_b32 vcc_lo, exec_lo, s45
	s_cbranch_vccnz .LBB31_497
; %bb.496:
	s_wait_xcnt 0x0
	v_and_b32_e32 v4, 0xff, v1
	global_store_b32 v[2:3], v4, off
.LBB31_497:
	s_mov_b32 s45, 0
.LBB31_498:
	s_delay_alu instid0(SALU_CYCLE_1)
	s_and_not1_b32 vcc_lo, exec_lo, s45
	s_cbranch_vccnz .LBB31_500
; %bb.499:
	s_wait_xcnt 0x0
	v_and_b32_e32 v4, 0xff, v1
	global_store_b16 v[2:3], v4, off
.LBB31_500:
	s_mov_b32 s45, 0
.LBB31_501:
	s_delay_alu instid0(SALU_CYCLE_1)
	s_and_not1_b32 vcc_lo, exec_lo, s45
	s_cbranch_vccnz .LBB31_506
; %bb.502:
	s_cmp_gt_i32 s37, 0
	s_mov_b32 s37, -1
	s_cbranch_scc0 .LBB31_504
; %bb.503:
	s_mov_b32 s37, 0
	global_store_b8 v[2:3], v1, off
.LBB31_504:
	s_and_not1_b32 vcc_lo, exec_lo, s37
	s_cbranch_vccnz .LBB31_506
; %bb.505:
	global_store_b8 v[2:3], v1, off
.LBB31_506:
	s_mov_b32 s48, -1
.LBB31_507:
	s_delay_alu instid0(SALU_CYCLE_1)
	s_and_not1_b32 vcc_lo, exec_lo, s48
	s_cbranch_vccnz .LBB31_509
; %bb.508:
	v_add_nc_u32_e32 v0, 0x80, v0
	s_mov_b32 s37, -1
	s_branch .LBB31_510
.LBB31_509:
	s_mov_b32 s37, 0
                                        ; implicit-def: $vgpr0
.LBB31_510:
	s_and_b32 s45, s0, exec_lo
	s_and_b32 s48, s36, exec_lo
	;; [unrolled: 1-line block ×4, first 2 shown]
	s_or_not1_b32 s35, s37, exec_lo
.LBB31_511:
	s_wait_xcnt 0x0
	s_or_b32 exec_lo, exec_lo, s51
	s_mov_b32 s36, 0
	s_mov_b32 s34, 0
                                        ; implicit-def: $sgpr0
                                        ; implicit-def: $vgpr10_vgpr11
                                        ; implicit-def: $vgpr2
                                        ; implicit-def: $vgpr6
                                        ; implicit-def: $vgpr8
                                        ; implicit-def: $vgpr4
	s_and_saveexec_b32 s51, s35
	s_cbranch_execz .LBB31_519
; %bb.512:
	s_mov_b32 s37, -1
	s_mov_b32 s52, s50
	s_mov_b32 s55, s49
	;; [unrolled: 1-line block ×4, first 2 shown]
	s_mov_b32 s56, exec_lo
	v_cmpx_gt_i32_e64 s46, v0
	s_cbranch_execz .LBB31_1033
; %bb.513:
	s_and_not1_b32 vcc_lo, exec_lo, s40
	s_cbranch_vccnz .LBB31_522
; %bb.514:
	s_and_not1_b32 vcc_lo, exec_lo, s47
	s_cbranch_vccnz .LBB31_523
; %bb.515:
	s_wait_loadcnt 0x0
	v_dual_mov_b32 v8, 0 :: v_dual_mov_b32 v1, v0
	v_dual_mov_b32 v6, 0 :: v_dual_mov_b32 v2, 0
	v_mov_b32_e32 v4, 0
	s_add_co_i32 s0, s44, 1
	s_mov_b64 s[34:35], 0xffffffffffffffe0
	s_and_b32 s0, s0, 30
	s_add_nc_u64 s[34:35], s[2:3], s[34:35]
	s_mov_b64 s[36:37], s[2:3]
.LBB31_516:                             ; =>This Inner Loop Header: Depth=1
	s_clause 0x1
	s_load_b128 s[52:55], s[36:37], 0x4
	s_load_b64 s[58:59], s[36:37], 0x14
	s_load_b256 s[60:67], s[34:35], 0xe4
	s_add_co_i32 s0, s0, -2
	s_wait_xcnt 0x0
	s_add_nc_u64 s[36:37], s[36:37], 24
	s_cmp_eq_u32 s0, 0
	s_add_nc_u64 s[34:35], s[34:35], 32
	s_wait_kmcnt 0x0
	v_mul_hi_u32 v3, s53, v1
	s_delay_alu instid0(VALU_DEP_1) | instskip(NEXT) | instid1(VALU_DEP_1)
	v_add_nc_u32_e32 v3, v1, v3
	v_lshrrev_b32_e32 v3, s54, v3
	s_delay_alu instid0(VALU_DEP_1) | instskip(SKIP_1) | instid1(VALU_DEP_1)
	v_mul_hi_u32 v5, s58, v3
	v_mul_lo_u32 v7, v3, s52
	v_dual_add_nc_u32 v5, v3, v5 :: v_dual_sub_nc_u32 v7, v1, v7
	s_delay_alu instid0(VALU_DEP_1) | instskip(NEXT) | instid1(VALU_DEP_2)
	v_lshrrev_b32_e32 v1, s59, v5
	v_mad_u32 v4, v7, s61, v4
	v_mad_u32 v2, v7, s60, v2
	;; [unrolled: 1-line block ×4, first 2 shown]
	v_mul_lo_u32 v5, v1, s55
	s_delay_alu instid0(VALU_DEP_1) | instskip(NEXT) | instid1(VALU_DEP_1)
	v_sub_nc_u32_e32 v3, v3, v5
	v_mad_u32 v4, v3, s65, v4
	v_mad_u32 v2, v3, s64, v2
	;; [unrolled: 1-line block ×4, first 2 shown]
	s_cbranch_scc0 .LBB31_516
; %bb.517:
	s_bitcmp1_b32 s44, 0
	s_cselect_b32 s0, -1, 0
	s_delay_alu instid0(SALU_CYCLE_1)
	s_and_b32 vcc_lo, exec_lo, s0
	s_cbranch_vccnz .LBB31_524
; %bb.518:
	s_load_b96 s[60:62], s[36:37], 0x4
	s_load_b128 s[52:55], s[34:35], 0xe4
	s_wait_kmcnt 0x0
	v_mul_hi_u32 v3, s61, v1
	s_delay_alu instid0(VALU_DEP_1) | instskip(NEXT) | instid1(VALU_DEP_1)
	v_add_nc_u32_e32 v3, v1, v3
	v_lshrrev_b32_e32 v3, s62, v3
	s_delay_alu instid0(VALU_DEP_1) | instskip(NEXT) | instid1(VALU_DEP_1)
	v_mul_lo_u32 v3, v3, s60
	v_sub_nc_u32_e32 v1, v1, v3
	s_delay_alu instid0(VALU_DEP_1)
	v_mad_u32 v2, v1, s52, v2
	v_mad_u32 v4, v1, s53, v4
	;; [unrolled: 1-line block ×4, first 2 shown]
	s_branch .LBB31_524
.LBB31_519:
	s_or_b32 exec_lo, exec_lo, s51
	s_mov_b32 s1, 0
	s_and_saveexec_b32 s6, s50
	s_cbranch_execnz .LBB31_1645
.LBB31_520:
	s_or_b32 exec_lo, exec_lo, s6
	s_and_saveexec_b32 s6, s27
	s_delay_alu instid0(SALU_CYCLE_1)
	s_xor_b32 s6, exec_lo, s6
	s_cbranch_execz .LBB31_1646
.LBB31_521:
	s_wait_loadcnt 0x0
	global_load_u8 v0, v[10:11], off
	s_or_b32 s34, s34, exec_lo
	s_wait_loadcnt 0x0
	v_cmp_ne_u16_e32 vcc_lo, 0, v0
	v_cndmask_b32_e64 v4, 0, 1, vcc_lo
	s_wait_xcnt 0x0
	s_or_b32 exec_lo, exec_lo, s6
	s_and_saveexec_b32 s6, s36
	s_cbranch_execz .LBB31_1692
	s_branch .LBB31_1647
.LBB31_522:
                                        ; implicit-def: $vgpr4
                                        ; implicit-def: $vgpr2
                                        ; implicit-def: $vgpr6
                                        ; implicit-def: $vgpr8
	s_branch .LBB31_525
.LBB31_523:
	s_wait_loadcnt 0x0
	v_dual_mov_b32 v4, 0 :: v_dual_mov_b32 v2, 0
	v_dual_mov_b32 v6, 0 :: v_dual_mov_b32 v8, 0
.LBB31_524:
	s_cbranch_execnz .LBB31_527
.LBB31_525:
	v_mov_b32_e32 v1, 0
	s_and_not1_b32 vcc_lo, exec_lo, s43
	s_delay_alu instid0(VALU_DEP_1) | instskip(NEXT) | instid1(VALU_DEP_1)
	v_mul_u64_e32 v[2:3], s[26:27], v[0:1]
	v_add_nc_u32_e32 v2, v0, v3
	s_wait_loadcnt 0x0
	s_delay_alu instid0(VALU_DEP_1) | instskip(NEXT) | instid1(VALU_DEP_1)
	v_lshrrev_b32_e32 v10, s22, v2
	v_mul_lo_u32 v2, v10, s20
	s_delay_alu instid0(VALU_DEP_1) | instskip(NEXT) | instid1(VALU_DEP_1)
	v_sub_nc_u32_e32 v3, v0, v2
	v_mul_lo_u32 v4, v3, s13
	v_mul_lo_u32 v2, v3, s12
	;; [unrolled: 1-line block ×4, first 2 shown]
	s_cbranch_vccnz .LBB31_527
; %bb.526:
	v_mov_b32_e32 v11, v1
	s_delay_alu instid0(VALU_DEP_1) | instskip(NEXT) | instid1(VALU_DEP_1)
	v_mul_u64_e32 v[12:13], s[30:31], v[10:11]
	v_add_nc_u32_e32 v1, v10, v13
	s_delay_alu instid0(VALU_DEP_1) | instskip(NEXT) | instid1(VALU_DEP_1)
	v_lshrrev_b32_e32 v1, s1, v1
	v_mul_lo_u32 v1, v1, s23
	s_delay_alu instid0(VALU_DEP_1) | instskip(NEXT) | instid1(VALU_DEP_1)
	v_sub_nc_u32_e32 v1, v10, v1
	v_mad_u32 v2, v1, s16, v2
	v_mad_u32 v4, v1, s17, v4
	;; [unrolled: 1-line block ×4, first 2 shown]
.LBB31_527:
	s_wait_loadcnt 0x0
	v_mov_b32_e32 v5, 0
	s_and_b32 s0, s28, 0xff
	s_delay_alu instid0(SALU_CYCLE_1) | instskip(NEXT) | instid1(VALU_DEP_1)
	s_cmp_lt_i32 s0, 11
	v_add_nc_u64_e32 v[10:11], s[6:7], v[4:5]
	s_cbranch_scc1 .LBB31_534
; %bb.528:
	s_and_b32 s35, 0xffff, s0
	s_delay_alu instid0(SALU_CYCLE_1)
	s_cmp_gt_i32 s35, 25
	s_cbranch_scc0 .LBB31_543
; %bb.529:
	s_cmp_gt_i32 s35, 28
	s_cbranch_scc0 .LBB31_545
; %bb.530:
	;; [unrolled: 3-line block ×4, first 2 shown]
	s_cmp_eq_u32 s35, 46
	s_mov_b32 s37, 0
	s_cbranch_scc0 .LBB31_551
; %bb.533:
	global_load_b32 v1, v[10:11], off
	s_mov_b32 s36, -1
	s_mov_b32 s34, 0
	s_wait_loadcnt 0x0
	v_lshlrev_b32_e32 v1, 16, v1
	s_delay_alu instid0(VALU_DEP_1) | instskip(NEXT) | instid1(VALU_DEP_1)
	v_trunc_f32_e32 v1, v1
	v_mul_f32_e64 v3, 0x2f800000, |v1|
	s_delay_alu instid0(VALU_DEP_1) | instskip(NEXT) | instid1(VALU_DEP_1)
	v_floor_f32_e32 v3, v3
	v_fma_f32 v3, 0xcf800000, v3, |v1|
	v_ashrrev_i32_e32 v1, 31, v1
	s_delay_alu instid0(VALU_DEP_2) | instskip(NEXT) | instid1(VALU_DEP_1)
	v_cvt_u32_f32_e32 v3, v3
	v_xor_b32_e32 v3, v3, v1
	s_delay_alu instid0(VALU_DEP_1)
	v_sub_nc_u32_e32 v4, v3, v1
	s_branch .LBB31_553
.LBB31_534:
	s_mov_b32 s36, 0
	s_mov_b32 s34, s50
                                        ; implicit-def: $vgpr4
	s_cbranch_execnz .LBB31_615
.LBB31_535:
	s_and_not1_b32 vcc_lo, exec_lo, s36
	s_cbranch_vccnz .LBB31_663
.LBB31_536:
	v_mov_b32_e32 v9, 0
	s_and_b32 s0, s25, 0xff
	s_delay_alu instid0(SALU_CYCLE_1) | instskip(SKIP_1) | instid1(VALU_DEP_1)
	s_cmp_lt_i32 s0, 11
	s_wait_xcnt 0x0
	v_add_nc_u64_e32 v[10:11], s[8:9], v[8:9]
	s_cbranch_scc1 .LBB31_544
; %bb.537:
	s_and_b32 s36, 0xffff, s0
	s_delay_alu instid0(SALU_CYCLE_1)
	s_cmp_gt_i32 s36, 25
	s_cbranch_scc0 .LBB31_546
; %bb.538:
	s_cmp_gt_i32 s36, 28
	s_cbranch_scc0 .LBB31_548
; %bb.539:
	s_cmp_gt_i32 s36, 43
	s_cbranch_scc0 .LBB31_550
; %bb.540:
	s_cmp_gt_i32 s36, 45
	s_cbranch_scc0 .LBB31_556
; %bb.541:
	s_cmp_eq_u32 s36, 46
	s_mov_b32 s52, 0
	s_cbranch_scc0 .LBB31_666
; %bb.542:
	global_load_b32 v1, v[10:11], off
	s_mov_b32 s37, -1
	s_mov_b32 s35, 0
	s_wait_loadcnt 0x0
	v_lshlrev_b32_e32 v1, 16, v1
	s_delay_alu instid0(VALU_DEP_1) | instskip(NEXT) | instid1(VALU_DEP_1)
	v_trunc_f32_e32 v1, v1
	v_mul_f32_e64 v3, 0x2f800000, |v1|
	s_delay_alu instid0(VALU_DEP_1) | instskip(NEXT) | instid1(VALU_DEP_1)
	v_floor_f32_e32 v3, v3
	v_fma_f32 v3, 0xcf800000, v3, |v1|
	v_ashrrev_i32_e32 v1, 31, v1
	s_delay_alu instid0(VALU_DEP_2) | instskip(NEXT) | instid1(VALU_DEP_1)
	v_cvt_u32_f32_e32 v3, v3
	v_xor_b32_e32 v3, v3, v1
	s_delay_alu instid0(VALU_DEP_1)
	v_sub_nc_u32_e32 v8, v3, v1
	s_branch .LBB31_668
.LBB31_543:
	s_mov_b32 s37, -1
	s_mov_b32 s36, 0
	s_mov_b32 s34, s50
                                        ; implicit-def: $vgpr4
	s_branch .LBB31_581
.LBB31_544:
	s_mov_b32 s36, -1
	s_mov_b32 s37, 0
	s_mov_b32 s35, s49
                                        ; implicit-def: $vgpr8
	s_branch .LBB31_729
.LBB31_545:
	s_mov_b32 s37, -1
	s_mov_b32 s36, 0
	s_mov_b32 s34, s50
                                        ; implicit-def: $vgpr4
	s_branch .LBB31_564
.LBB31_546:
	s_mov_b32 s52, -1
	s_mov_b32 s37, 0
	s_mov_b32 s35, s49
                                        ; implicit-def: $vgpr8
	s_branch .LBB31_695
.LBB31_547:
	s_mov_b32 s37, -1
	s_mov_b32 s36, 0
	s_mov_b32 s34, s50
                                        ; implicit-def: $vgpr4
	s_branch .LBB31_559
.LBB31_548:
	s_mov_b32 s52, -1
	s_mov_b32 s37, 0
	s_mov_b32 s35, s49
                                        ; implicit-def: $vgpr8
	s_branch .LBB31_678
.LBB31_549:
	s_mov_b32 s37, -1
	s_mov_b32 s36, 0
	s_mov_b32 s34, s50
	s_branch .LBB31_552
.LBB31_550:
	s_mov_b32 s52, -1
	s_mov_b32 s37, 0
	s_mov_b32 s35, s49
                                        ; implicit-def: $vgpr8
	s_branch .LBB31_673
.LBB31_551:
	s_mov_b32 s34, -1
	s_mov_b32 s36, 0
.LBB31_552:
                                        ; implicit-def: $vgpr4
.LBB31_553:
	s_and_b32 vcc_lo, exec_lo, s37
	s_cbranch_vccz .LBB31_558
; %bb.554:
	s_cmp_eq_u32 s35, 44
	s_cbranch_scc0 .LBB31_557
; %bb.555:
	global_load_u8 v1, v[10:11], off
	s_mov_b32 s34, 0
	s_mov_b32 s36, -1
	s_wait_loadcnt 0x0
	v_lshlrev_b32_e32 v3, 23, v1
	v_cmp_ne_u32_e32 vcc_lo, 0, v1
	s_delay_alu instid0(VALU_DEP_2) | instskip(NEXT) | instid1(VALU_DEP_1)
	v_trunc_f32_e32 v3, v3
	v_mul_f32_e64 v4, 0x2f800000, |v3|
	s_delay_alu instid0(VALU_DEP_1) | instskip(NEXT) | instid1(VALU_DEP_1)
	v_floor_f32_e32 v4, v4
	v_fma_f32 v4, 0xcf800000, v4, |v3|
	v_ashrrev_i32_e32 v3, 31, v3
	s_delay_alu instid0(VALU_DEP_2) | instskip(NEXT) | instid1(VALU_DEP_1)
	v_cvt_u32_f32_e32 v4, v4
	v_xor_b32_e32 v4, v4, v3
	s_delay_alu instid0(VALU_DEP_1) | instskip(NEXT) | instid1(VALU_DEP_1)
	v_sub_nc_u32_e32 v3, v4, v3
	v_cndmask_b32_e32 v4, 0, v3, vcc_lo
	s_branch .LBB31_558
.LBB31_556:
	s_mov_b32 s52, -1
	s_mov_b32 s37, 0
	s_mov_b32 s35, s49
	s_branch .LBB31_667
.LBB31_557:
	s_mov_b32 s34, -1
                                        ; implicit-def: $vgpr4
.LBB31_558:
	s_mov_b32 s37, 0
.LBB31_559:
	s_delay_alu instid0(SALU_CYCLE_1)
	s_and_b32 vcc_lo, exec_lo, s37
	s_cbranch_vccz .LBB31_563
; %bb.560:
	s_cmp_eq_u32 s35, 29
	s_cbranch_scc0 .LBB31_562
; %bb.561:
	global_load_b64 v[4:5], v[10:11], off
	s_mov_b32 s36, -1
	s_mov_b32 s34, 0
	s_branch .LBB31_563
.LBB31_562:
	s_mov_b32 s34, -1
                                        ; implicit-def: $vgpr4
.LBB31_563:
	s_mov_b32 s37, 0
.LBB31_564:
	s_delay_alu instid0(SALU_CYCLE_1)
	s_and_b32 vcc_lo, exec_lo, s37
	s_cbranch_vccz .LBB31_580
; %bb.565:
	s_cmp_lt_i32 s35, 27
	s_cbranch_scc1 .LBB31_568
; %bb.566:
	s_cmp_gt_i32 s35, 27
	s_cbranch_scc0 .LBB31_569
; %bb.567:
	s_wait_loadcnt 0x0
	global_load_b32 v4, v[10:11], off
	s_mov_b32 s36, 0
	s_branch .LBB31_570
.LBB31_568:
	s_mov_b32 s36, -1
                                        ; implicit-def: $vgpr4
	s_branch .LBB31_573
.LBB31_569:
	s_mov_b32 s36, -1
                                        ; implicit-def: $vgpr4
.LBB31_570:
	s_delay_alu instid0(SALU_CYCLE_1)
	s_and_not1_b32 vcc_lo, exec_lo, s36
	s_cbranch_vccnz .LBB31_572
; %bb.571:
	s_wait_loadcnt 0x0
	global_load_u16 v4, v[10:11], off
.LBB31_572:
	s_mov_b32 s36, 0
.LBB31_573:
	s_delay_alu instid0(SALU_CYCLE_1)
	s_and_not1_b32 vcc_lo, exec_lo, s36
	s_cbranch_vccnz .LBB31_579
; %bb.574:
	global_load_u8 v1, v[10:11], off
	s_mov_b32 s37, 0
	s_mov_b32 s36, exec_lo
	s_wait_loadcnt 0x0
	v_cmpx_lt_i16_e32 0x7f, v1
	s_xor_b32 s36, exec_lo, s36
	s_cbranch_execz .LBB31_591
; %bb.575:
	v_cmp_ne_u16_e32 vcc_lo, 0x80, v1
	s_and_b32 s37, vcc_lo, exec_lo
	s_and_not1_saveexec_b32 s36, s36
	s_cbranch_execnz .LBB31_592
.LBB31_576:
	s_or_b32 exec_lo, exec_lo, s36
	v_mov_b32_e32 v4, 0
	s_and_saveexec_b32 s36, s37
	s_cbranch_execz .LBB31_578
.LBB31_577:
	v_and_b32_e32 v3, 0xffff, v1
	s_delay_alu instid0(VALU_DEP_1) | instskip(SKIP_1) | instid1(VALU_DEP_2)
	v_and_b32_e32 v4, 7, v3
	v_bfe_u32 v9, v3, 3, 4
	v_clz_i32_u32_e32 v5, v4
	s_delay_alu instid0(VALU_DEP_2) | instskip(NEXT) | instid1(VALU_DEP_2)
	v_cmp_eq_u32_e32 vcc_lo, 0, v9
	v_min_u32_e32 v5, 32, v5
	s_delay_alu instid0(VALU_DEP_1) | instskip(NEXT) | instid1(VALU_DEP_1)
	v_subrev_nc_u32_e32 v7, 28, v5
	v_dual_lshlrev_b32 v3, v7, v3 :: v_dual_sub_nc_u32 v5, 29, v5
	s_delay_alu instid0(VALU_DEP_1) | instskip(NEXT) | instid1(VALU_DEP_1)
	v_dual_lshlrev_b32 v1, 24, v1 :: v_dual_bitop2_b32 v3, 7, v3 bitop3:0x40
	v_dual_cndmask_b32 v3, v4, v3, vcc_lo :: v_dual_cndmask_b32 v5, v9, v5, vcc_lo
	s_delay_alu instid0(VALU_DEP_2) | instskip(NEXT) | instid1(VALU_DEP_2)
	v_and_b32_e32 v1, 0x80000000, v1
	v_lshlrev_b32_e32 v3, 20, v3
	s_delay_alu instid0(VALU_DEP_3) | instskip(NEXT) | instid1(VALU_DEP_1)
	v_lshl_add_u32 v4, v5, 23, 0x3b800000
	v_or3_b32 v1, v1, v4, v3
	s_delay_alu instid0(VALU_DEP_1) | instskip(NEXT) | instid1(VALU_DEP_1)
	v_trunc_f32_e32 v1, v1
	v_mul_f32_e64 v3, 0x2f800000, |v1|
	s_delay_alu instid0(VALU_DEP_1) | instskip(NEXT) | instid1(VALU_DEP_1)
	v_floor_f32_e32 v3, v3
	v_fma_f32 v3, 0xcf800000, v3, |v1|
	v_ashrrev_i32_e32 v1, 31, v1
	s_delay_alu instid0(VALU_DEP_2) | instskip(NEXT) | instid1(VALU_DEP_1)
	v_cvt_u32_f32_e32 v3, v3
	v_xor_b32_e32 v3, v3, v1
	s_delay_alu instid0(VALU_DEP_1)
	v_sub_nc_u32_e32 v4, v3, v1
.LBB31_578:
	s_or_b32 exec_lo, exec_lo, s36
.LBB31_579:
	s_mov_b32 s36, -1
.LBB31_580:
	s_mov_b32 s37, 0
.LBB31_581:
	s_delay_alu instid0(SALU_CYCLE_1)
	s_and_b32 vcc_lo, exec_lo, s37
	s_cbranch_vccz .LBB31_614
; %bb.582:
	s_cmp_gt_i32 s35, 22
	s_cbranch_scc0 .LBB31_590
; %bb.583:
	s_cmp_lt_i32 s35, 24
	s_cbranch_scc1 .LBB31_593
; %bb.584:
	s_cmp_gt_i32 s35, 24
	s_cbranch_scc0 .LBB31_594
; %bb.585:
	global_load_u8 v1, v[10:11], off
	s_mov_b32 s37, 0
	s_mov_b32 s36, exec_lo
	s_wait_loadcnt 0x0
	v_cmpx_lt_i16_e32 0x7f, v1
	s_xor_b32 s36, exec_lo, s36
	s_cbranch_execz .LBB31_606
; %bb.586:
	v_cmp_ne_u16_e32 vcc_lo, 0x80, v1
	s_and_b32 s37, vcc_lo, exec_lo
	s_and_not1_saveexec_b32 s36, s36
	s_cbranch_execnz .LBB31_607
.LBB31_587:
	s_or_b32 exec_lo, exec_lo, s36
	v_mov_b32_e32 v4, 0
	s_and_saveexec_b32 s36, s37
	s_cbranch_execz .LBB31_589
.LBB31_588:
	v_and_b32_e32 v3, 0xffff, v1
	s_delay_alu instid0(VALU_DEP_1) | instskip(SKIP_1) | instid1(VALU_DEP_2)
	v_and_b32_e32 v4, 3, v3
	v_bfe_u32 v9, v3, 2, 5
	v_clz_i32_u32_e32 v5, v4
	s_delay_alu instid0(VALU_DEP_2) | instskip(NEXT) | instid1(VALU_DEP_2)
	v_cmp_eq_u32_e32 vcc_lo, 0, v9
	v_min_u32_e32 v5, 32, v5
	s_delay_alu instid0(VALU_DEP_1) | instskip(NEXT) | instid1(VALU_DEP_1)
	v_subrev_nc_u32_e32 v7, 29, v5
	v_dual_lshlrev_b32 v3, v7, v3 :: v_dual_sub_nc_u32 v5, 30, v5
	s_delay_alu instid0(VALU_DEP_1) | instskip(NEXT) | instid1(VALU_DEP_1)
	v_dual_lshlrev_b32 v1, 24, v1 :: v_dual_bitop2_b32 v3, 3, v3 bitop3:0x40
	v_dual_cndmask_b32 v3, v4, v3, vcc_lo :: v_dual_cndmask_b32 v5, v9, v5, vcc_lo
	s_delay_alu instid0(VALU_DEP_2) | instskip(NEXT) | instid1(VALU_DEP_2)
	v_and_b32_e32 v1, 0x80000000, v1
	v_lshlrev_b32_e32 v3, 21, v3
	s_delay_alu instid0(VALU_DEP_3) | instskip(NEXT) | instid1(VALU_DEP_1)
	v_lshl_add_u32 v4, v5, 23, 0x37800000
	v_or3_b32 v1, v1, v4, v3
	s_delay_alu instid0(VALU_DEP_1) | instskip(NEXT) | instid1(VALU_DEP_1)
	v_trunc_f32_e32 v1, v1
	v_mul_f32_e64 v3, 0x2f800000, |v1|
	s_delay_alu instid0(VALU_DEP_1) | instskip(NEXT) | instid1(VALU_DEP_1)
	v_floor_f32_e32 v3, v3
	v_fma_f32 v3, 0xcf800000, v3, |v1|
	v_ashrrev_i32_e32 v1, 31, v1
	s_delay_alu instid0(VALU_DEP_2) | instskip(NEXT) | instid1(VALU_DEP_1)
	v_cvt_u32_f32_e32 v3, v3
	v_xor_b32_e32 v3, v3, v1
	s_delay_alu instid0(VALU_DEP_1)
	v_sub_nc_u32_e32 v4, v3, v1
.LBB31_589:
	s_or_b32 exec_lo, exec_lo, s36
	s_mov_b32 s36, 0
	s_branch .LBB31_595
.LBB31_590:
	s_mov_b32 s37, -1
                                        ; implicit-def: $vgpr4
	s_branch .LBB31_601
.LBB31_591:
	s_and_not1_saveexec_b32 s36, s36
	s_cbranch_execz .LBB31_576
.LBB31_592:
	v_cmp_ne_u16_e32 vcc_lo, 0, v1
	s_and_not1_b32 s37, s37, exec_lo
	s_and_b32 s52, vcc_lo, exec_lo
	s_delay_alu instid0(SALU_CYCLE_1)
	s_or_b32 s37, s37, s52
	s_or_b32 exec_lo, exec_lo, s36
	v_mov_b32_e32 v4, 0
	s_and_saveexec_b32 s36, s37
	s_cbranch_execnz .LBB31_577
	s_branch .LBB31_578
.LBB31_593:
	s_mov_b32 s36, -1
                                        ; implicit-def: $vgpr4
	s_branch .LBB31_598
.LBB31_594:
	s_mov_b32 s36, -1
                                        ; implicit-def: $vgpr4
.LBB31_595:
	s_delay_alu instid0(SALU_CYCLE_1)
	s_and_b32 vcc_lo, exec_lo, s36
	s_cbranch_vccz .LBB31_597
; %bb.596:
	global_load_u8 v1, v[10:11], off
	s_wait_loadcnt 0x0
	v_lshlrev_b32_e32 v1, 24, v1
	s_delay_alu instid0(VALU_DEP_1) | instskip(NEXT) | instid1(VALU_DEP_1)
	v_and_b32_e32 v3, 0x7f000000, v1
	v_clz_i32_u32_e32 v4, v3
	v_add_nc_u32_e32 v7, 0x1000000, v3
	v_cmp_ne_u32_e32 vcc_lo, 0, v3
	s_delay_alu instid0(VALU_DEP_3) | instskip(NEXT) | instid1(VALU_DEP_1)
	v_min_u32_e32 v4, 32, v4
	v_sub_nc_u32_e64 v4, v4, 4 clamp
	s_delay_alu instid0(VALU_DEP_1) | instskip(NEXT) | instid1(VALU_DEP_1)
	v_dual_lshlrev_b32 v5, v4, v3 :: v_dual_lshlrev_b32 v4, 23, v4
	v_lshrrev_b32_e32 v5, 4, v5
	s_delay_alu instid0(VALU_DEP_1) | instskip(NEXT) | instid1(VALU_DEP_1)
	v_dual_sub_nc_u32 v4, v5, v4 :: v_dual_ashrrev_i32 v5, 8, v7
	v_add_nc_u32_e32 v4, 0x3c000000, v4
	s_delay_alu instid0(VALU_DEP_1) | instskip(NEXT) | instid1(VALU_DEP_1)
	v_and_or_b32 v4, 0x7f800000, v5, v4
	v_cndmask_b32_e32 v3, 0, v4, vcc_lo
	s_delay_alu instid0(VALU_DEP_1) | instskip(NEXT) | instid1(VALU_DEP_1)
	v_and_or_b32 v1, 0x80000000, v1, v3
	v_trunc_f32_e32 v1, v1
	s_delay_alu instid0(VALU_DEP_1) | instskip(NEXT) | instid1(VALU_DEP_1)
	v_mul_f32_e64 v3, 0x2f800000, |v1|
	v_floor_f32_e32 v3, v3
	s_delay_alu instid0(VALU_DEP_1) | instskip(SKIP_1) | instid1(VALU_DEP_2)
	v_fma_f32 v3, 0xcf800000, v3, |v1|
	v_ashrrev_i32_e32 v1, 31, v1
	v_cvt_u32_f32_e32 v3, v3
	s_delay_alu instid0(VALU_DEP_1) | instskip(NEXT) | instid1(VALU_DEP_1)
	v_xor_b32_e32 v3, v3, v1
	v_sub_nc_u32_e32 v4, v3, v1
.LBB31_597:
	s_mov_b32 s36, 0
.LBB31_598:
	s_delay_alu instid0(SALU_CYCLE_1)
	s_and_not1_b32 vcc_lo, exec_lo, s36
	s_cbranch_vccnz .LBB31_600
; %bb.599:
	global_load_u8 v1, v[10:11], off
	s_wait_loadcnt 0x0
	v_lshlrev_b32_e32 v3, 25, v1
	v_lshlrev_b16 v1, 8, v1
	s_delay_alu instid0(VALU_DEP_1) | instskip(NEXT) | instid1(VALU_DEP_3)
	v_and_or_b32 v5, 0x7f00, v1, 0.5
	v_lshrrev_b32_e32 v4, 4, v3
	v_bfe_i32 v1, v1, 0, 16
	s_delay_alu instid0(VALU_DEP_3) | instskip(NEXT) | instid1(VALU_DEP_3)
	v_add_f32_e32 v5, -0.5, v5
	v_or_b32_e32 v4, 0x70000000, v4
	s_delay_alu instid0(VALU_DEP_1) | instskip(SKIP_1) | instid1(VALU_DEP_2)
	v_mul_f32_e32 v4, 0x7800000, v4
	v_cmp_gt_u32_e32 vcc_lo, 0x8000000, v3
	v_cndmask_b32_e32 v3, v4, v5, vcc_lo
	s_delay_alu instid0(VALU_DEP_1) | instskip(NEXT) | instid1(VALU_DEP_1)
	v_and_or_b32 v1, 0x80000000, v1, v3
	v_trunc_f32_e32 v1, v1
	s_delay_alu instid0(VALU_DEP_1) | instskip(NEXT) | instid1(VALU_DEP_1)
	v_mul_f32_e64 v3, 0x2f800000, |v1|
	v_floor_f32_e32 v3, v3
	s_delay_alu instid0(VALU_DEP_1) | instskip(SKIP_1) | instid1(VALU_DEP_2)
	v_fma_f32 v3, 0xcf800000, v3, |v1|
	v_ashrrev_i32_e32 v1, 31, v1
	v_cvt_u32_f32_e32 v3, v3
	s_delay_alu instid0(VALU_DEP_1) | instskip(NEXT) | instid1(VALU_DEP_1)
	v_xor_b32_e32 v3, v3, v1
	v_sub_nc_u32_e32 v4, v3, v1
.LBB31_600:
	s_mov_b32 s37, 0
	s_mov_b32 s36, -1
.LBB31_601:
	s_and_not1_b32 vcc_lo, exec_lo, s37
	s_cbranch_vccnz .LBB31_614
; %bb.602:
	s_cmp_gt_i32 s35, 14
	s_cbranch_scc0 .LBB31_605
; %bb.603:
	s_cmp_eq_u32 s35, 15
	s_cbranch_scc0 .LBB31_608
; %bb.604:
	global_load_u16 v1, v[10:11], off
	s_mov_b32 s36, -1
	s_mov_b32 s34, 0
	s_wait_loadcnt 0x0
	v_lshlrev_b32_e32 v1, 16, v1
	s_delay_alu instid0(VALU_DEP_1) | instskip(NEXT) | instid1(VALU_DEP_1)
	v_trunc_f32_e32 v1, v1
	v_mul_f32_e64 v3, 0x2f800000, |v1|
	s_delay_alu instid0(VALU_DEP_1) | instskip(NEXT) | instid1(VALU_DEP_1)
	v_floor_f32_e32 v3, v3
	v_fma_f32 v3, 0xcf800000, v3, |v1|
	v_ashrrev_i32_e32 v1, 31, v1
	s_delay_alu instid0(VALU_DEP_2) | instskip(NEXT) | instid1(VALU_DEP_1)
	v_cvt_u32_f32_e32 v3, v3
	v_xor_b32_e32 v3, v3, v1
	s_delay_alu instid0(VALU_DEP_1)
	v_sub_nc_u32_e32 v4, v3, v1
	s_branch .LBB31_609
.LBB31_605:
	s_mov_b32 s37, -1
                                        ; implicit-def: $vgpr4
	s_branch .LBB31_610
.LBB31_606:
	s_and_not1_saveexec_b32 s36, s36
	s_cbranch_execz .LBB31_587
.LBB31_607:
	v_cmp_ne_u16_e32 vcc_lo, 0, v1
	s_and_not1_b32 s37, s37, exec_lo
	s_and_b32 s52, vcc_lo, exec_lo
	s_delay_alu instid0(SALU_CYCLE_1)
	s_or_b32 s37, s37, s52
	s_or_b32 exec_lo, exec_lo, s36
	v_mov_b32_e32 v4, 0
	s_and_saveexec_b32 s36, s37
	s_cbranch_execnz .LBB31_588
	s_branch .LBB31_589
.LBB31_608:
	s_mov_b32 s34, -1
                                        ; implicit-def: $vgpr4
.LBB31_609:
	s_mov_b32 s37, 0
.LBB31_610:
	s_delay_alu instid0(SALU_CYCLE_1)
	s_and_b32 vcc_lo, exec_lo, s37
	s_cbranch_vccz .LBB31_614
; %bb.611:
	s_cmp_eq_u32 s35, 11
	s_cbranch_scc0 .LBB31_613
; %bb.612:
	global_load_u8 v1, v[10:11], off
	s_mov_b32 s34, 0
	s_mov_b32 s36, -1
	s_wait_loadcnt 0x0
	v_cmp_ne_u16_e32 vcc_lo, 0, v1
	v_cndmask_b32_e64 v4, 0, 1, vcc_lo
	s_branch .LBB31_614
.LBB31_613:
	s_mov_b32 s34, -1
                                        ; implicit-def: $vgpr4
.LBB31_614:
	s_branch .LBB31_535
.LBB31_615:
	s_and_b32 s0, 0xffff, s0
	s_delay_alu instid0(SALU_CYCLE_1)
	s_cmp_lt_i32 s0, 5
	s_cbranch_scc1 .LBB31_620
; %bb.616:
	s_cmp_lt_i32 s0, 8
	s_cbranch_scc1 .LBB31_621
; %bb.617:
	;; [unrolled: 3-line block ×3, first 2 shown]
	s_cmp_gt_i32 s0, 9
	s_cbranch_scc0 .LBB31_623
; %bb.619:
	s_wait_loadcnt 0x0
	global_load_b64 v[4:5], v[10:11], off
	s_mov_b32 s35, 0
	s_wait_loadcnt 0x0
	v_trunc_f64_e32 v[4:5], v[4:5]
	s_delay_alu instid0(VALU_DEP_1) | instskip(NEXT) | instid1(VALU_DEP_1)
	v_ldexp_f64 v[12:13], v[4:5], 0xffffffe0
	v_floor_f64_e32 v[12:13], v[12:13]
	s_delay_alu instid0(VALU_DEP_1) | instskip(NEXT) | instid1(VALU_DEP_1)
	v_fmamk_f64 v[4:5], v[12:13], 0xc1f00000, v[4:5]
	v_cvt_u32_f64_e32 v4, v[4:5]
	s_branch .LBB31_624
.LBB31_620:
	s_mov_b32 s35, -1
                                        ; implicit-def: $vgpr4
	s_branch .LBB31_642
.LBB31_621:
	s_mov_b32 s35, -1
                                        ; implicit-def: $vgpr4
	s_branch .LBB31_630
.LBB31_622:
	s_mov_b32 s35, -1
                                        ; implicit-def: $vgpr4
	s_branch .LBB31_627
.LBB31_623:
	s_mov_b32 s35, -1
                                        ; implicit-def: $vgpr4
.LBB31_624:
	s_delay_alu instid0(SALU_CYCLE_1)
	s_and_not1_b32 vcc_lo, exec_lo, s35
	s_cbranch_vccnz .LBB31_626
; %bb.625:
	global_load_b32 v1, v[10:11], off
	s_wait_loadcnt 0x0
	v_trunc_f32_e32 v1, v1
	s_delay_alu instid0(VALU_DEP_1) | instskip(NEXT) | instid1(VALU_DEP_1)
	v_mul_f32_e64 v3, 0x2f800000, |v1|
	v_floor_f32_e32 v3, v3
	s_delay_alu instid0(VALU_DEP_1) | instskip(SKIP_1) | instid1(VALU_DEP_2)
	v_fma_f32 v3, 0xcf800000, v3, |v1|
	v_ashrrev_i32_e32 v1, 31, v1
	v_cvt_u32_f32_e32 v3, v3
	s_delay_alu instid0(VALU_DEP_1) | instskip(NEXT) | instid1(VALU_DEP_1)
	v_xor_b32_e32 v3, v3, v1
	v_sub_nc_u32_e32 v4, v3, v1
.LBB31_626:
	s_mov_b32 s35, 0
.LBB31_627:
	s_delay_alu instid0(SALU_CYCLE_1)
	s_and_not1_b32 vcc_lo, exec_lo, s35
	s_cbranch_vccnz .LBB31_629
; %bb.628:
	global_load_b32 v1, v[10:11], off
	s_wait_loadcnt 0x0
	v_cvt_f32_f16_e32 v1, v1
	s_delay_alu instid0(VALU_DEP_1)
	v_cvt_i32_f32_e32 v4, v1
.LBB31_629:
	s_mov_b32 s35, 0
.LBB31_630:
	s_delay_alu instid0(SALU_CYCLE_1)
	s_and_not1_b32 vcc_lo, exec_lo, s35
	s_cbranch_vccnz .LBB31_641
; %bb.631:
	s_cmp_lt_i32 s0, 6
	s_cbranch_scc1 .LBB31_634
; %bb.632:
	s_cmp_gt_i32 s0, 6
	s_cbranch_scc0 .LBB31_635
; %bb.633:
	s_wait_loadcnt 0x0
	global_load_b64 v[4:5], v[10:11], off
	s_mov_b32 s35, 0
	s_wait_loadcnt 0x0
	v_trunc_f64_e32 v[4:5], v[4:5]
	s_delay_alu instid0(VALU_DEP_1) | instskip(NEXT) | instid1(VALU_DEP_1)
	v_ldexp_f64 v[12:13], v[4:5], 0xffffffe0
	v_floor_f64_e32 v[12:13], v[12:13]
	s_delay_alu instid0(VALU_DEP_1) | instskip(NEXT) | instid1(VALU_DEP_1)
	v_fmamk_f64 v[4:5], v[12:13], 0xc1f00000, v[4:5]
	v_cvt_u32_f64_e32 v4, v[4:5]
	s_branch .LBB31_636
.LBB31_634:
	s_mov_b32 s35, -1
                                        ; implicit-def: $vgpr4
	s_branch .LBB31_639
.LBB31_635:
	s_mov_b32 s35, -1
                                        ; implicit-def: $vgpr4
.LBB31_636:
	s_delay_alu instid0(SALU_CYCLE_1)
	s_and_not1_b32 vcc_lo, exec_lo, s35
	s_cbranch_vccnz .LBB31_638
; %bb.637:
	global_load_b32 v1, v[10:11], off
	s_wait_loadcnt 0x0
	v_trunc_f32_e32 v1, v1
	s_delay_alu instid0(VALU_DEP_1) | instskip(NEXT) | instid1(VALU_DEP_1)
	v_mul_f32_e64 v3, 0x2f800000, |v1|
	v_floor_f32_e32 v3, v3
	s_delay_alu instid0(VALU_DEP_1) | instskip(SKIP_1) | instid1(VALU_DEP_2)
	v_fma_f32 v3, 0xcf800000, v3, |v1|
	v_ashrrev_i32_e32 v1, 31, v1
	v_cvt_u32_f32_e32 v3, v3
	s_delay_alu instid0(VALU_DEP_1) | instskip(NEXT) | instid1(VALU_DEP_1)
	v_xor_b32_e32 v3, v3, v1
	v_sub_nc_u32_e32 v4, v3, v1
.LBB31_638:
	s_mov_b32 s35, 0
.LBB31_639:
	s_delay_alu instid0(SALU_CYCLE_1)
	s_and_not1_b32 vcc_lo, exec_lo, s35
	s_cbranch_vccnz .LBB31_641
; %bb.640:
	global_load_u16 v1, v[10:11], off
	s_wait_loadcnt 0x0
	v_cvt_f32_f16_e32 v1, v1
	s_delay_alu instid0(VALU_DEP_1)
	v_cvt_i32_f32_e32 v4, v1
.LBB31_641:
	s_mov_b32 s35, 0
.LBB31_642:
	s_delay_alu instid0(SALU_CYCLE_1)
	s_and_not1_b32 vcc_lo, exec_lo, s35
	s_cbranch_vccnz .LBB31_662
; %bb.643:
	s_cmp_lt_i32 s0, 2
	s_cbranch_scc1 .LBB31_647
; %bb.644:
	s_cmp_lt_i32 s0, 3
	s_cbranch_scc1 .LBB31_648
; %bb.645:
	s_cmp_gt_i32 s0, 3
	s_cbranch_scc0 .LBB31_649
; %bb.646:
	s_wait_loadcnt 0x0
	global_load_b64 v[4:5], v[10:11], off
	s_mov_b32 s35, 0
	s_branch .LBB31_650
.LBB31_647:
	s_mov_b32 s35, -1
                                        ; implicit-def: $vgpr4
	s_branch .LBB31_656
.LBB31_648:
	s_mov_b32 s35, -1
                                        ; implicit-def: $vgpr4
	s_branch .LBB31_653
.LBB31_649:
	s_mov_b32 s35, -1
                                        ; implicit-def: $vgpr4
.LBB31_650:
	s_delay_alu instid0(SALU_CYCLE_1)
	s_and_not1_b32 vcc_lo, exec_lo, s35
	s_cbranch_vccnz .LBB31_652
; %bb.651:
	s_wait_loadcnt 0x0
	global_load_b32 v4, v[10:11], off
.LBB31_652:
	s_mov_b32 s35, 0
.LBB31_653:
	s_delay_alu instid0(SALU_CYCLE_1)
	s_and_not1_b32 vcc_lo, exec_lo, s35
	s_cbranch_vccnz .LBB31_655
; %bb.654:
	s_wait_loadcnt 0x0
	global_load_u16 v4, v[10:11], off
.LBB31_655:
	s_mov_b32 s35, 0
.LBB31_656:
	s_delay_alu instid0(SALU_CYCLE_1)
	s_and_not1_b32 vcc_lo, exec_lo, s35
	s_cbranch_vccnz .LBB31_662
; %bb.657:
	s_cmp_gt_i32 s0, 0
	s_mov_b32 s0, 0
	s_cbranch_scc0 .LBB31_659
; %bb.658:
	s_wait_loadcnt 0x0
	global_load_u8 v4, v[10:11], off
	s_branch .LBB31_660
.LBB31_659:
	s_mov_b32 s0, -1
                                        ; implicit-def: $vgpr4
.LBB31_660:
	s_delay_alu instid0(SALU_CYCLE_1)
	s_and_not1_b32 vcc_lo, exec_lo, s0
	s_cbranch_vccnz .LBB31_662
; %bb.661:
	s_wait_loadcnt 0x0
	global_load_u8 v4, v[10:11], off
.LBB31_662:
	s_branch .LBB31_536
.LBB31_663:
	s_mov_b32 s37, 0
	s_mov_b32 s0, s45
	;; [unrolled: 1-line block ×4, first 2 shown]
	s_branch .LBB31_1031
.LBB31_664:
	s_and_not1_saveexec_b32 s50, s50
	s_cbranch_execz .LBB31_420
.LBB31_665:
	v_add_f32_e32 v4, 0x46000000, v5
	s_and_not1_b32 s49, s49, exec_lo
	s_delay_alu instid0(VALU_DEP_1) | instskip(NEXT) | instid1(VALU_DEP_1)
	v_and_b32_e32 v4, 0xff, v4
	v_cmp_ne_u32_e32 vcc_lo, 0, v4
	s_and_b32 s52, vcc_lo, exec_lo
	s_delay_alu instid0(SALU_CYCLE_1)
	s_or_b32 s49, s49, s52
	s_or_b32 exec_lo, exec_lo, s50
	v_mov_b32_e32 v6, 0
	s_and_saveexec_b32 s50, s49
	s_cbranch_execnz .LBB31_421
	s_branch .LBB31_422
.LBB31_666:
	s_mov_b32 s35, -1
	s_mov_b32 s37, 0
.LBB31_667:
                                        ; implicit-def: $vgpr8
.LBB31_668:
	s_and_b32 vcc_lo, exec_lo, s52
	s_cbranch_vccz .LBB31_672
; %bb.669:
	s_cmp_eq_u32 s36, 44
	s_cbranch_scc0 .LBB31_671
; %bb.670:
	global_load_u8 v1, v[10:11], off
	s_mov_b32 s35, 0
	s_mov_b32 s37, -1
	s_wait_loadcnt 0x0
	v_lshlrev_b32_e32 v3, 23, v1
	v_cmp_ne_u32_e32 vcc_lo, 0, v1
	s_delay_alu instid0(VALU_DEP_2) | instskip(NEXT) | instid1(VALU_DEP_1)
	v_trunc_f32_e32 v3, v3
	v_mul_f32_e64 v5, 0x2f800000, |v3|
	s_delay_alu instid0(VALU_DEP_1) | instskip(NEXT) | instid1(VALU_DEP_1)
	v_floor_f32_e32 v5, v5
	v_fma_f32 v5, 0xcf800000, v5, |v3|
	v_ashrrev_i32_e32 v3, 31, v3
	s_delay_alu instid0(VALU_DEP_2) | instskip(NEXT) | instid1(VALU_DEP_1)
	v_cvt_u32_f32_e32 v5, v5
	v_xor_b32_e32 v5, v5, v3
	s_delay_alu instid0(VALU_DEP_1) | instskip(NEXT) | instid1(VALU_DEP_1)
	v_sub_nc_u32_e32 v3, v5, v3
	v_cndmask_b32_e32 v8, 0, v3, vcc_lo
	s_branch .LBB31_672
.LBB31_671:
	s_mov_b32 s35, -1
                                        ; implicit-def: $vgpr8
.LBB31_672:
	s_mov_b32 s52, 0
.LBB31_673:
	s_delay_alu instid0(SALU_CYCLE_1)
	s_and_b32 vcc_lo, exec_lo, s52
	s_cbranch_vccz .LBB31_677
; %bb.674:
	s_cmp_eq_u32 s36, 29
	s_cbranch_scc0 .LBB31_676
; %bb.675:
	global_load_b64 v[8:9], v[10:11], off
	s_mov_b32 s37, -1
	s_mov_b32 s35, 0
	s_branch .LBB31_677
.LBB31_676:
	s_mov_b32 s35, -1
                                        ; implicit-def: $vgpr8
.LBB31_677:
	s_mov_b32 s52, 0
.LBB31_678:
	s_delay_alu instid0(SALU_CYCLE_1)
	s_and_b32 vcc_lo, exec_lo, s52
	s_cbranch_vccz .LBB31_694
; %bb.679:
	s_cmp_lt_i32 s36, 27
	s_cbranch_scc1 .LBB31_682
; %bb.680:
	s_cmp_gt_i32 s36, 27
	s_cbranch_scc0 .LBB31_683
; %bb.681:
	s_wait_loadcnt 0x0
	global_load_b32 v8, v[10:11], off
	s_mov_b32 s37, 0
	s_branch .LBB31_684
.LBB31_682:
	s_mov_b32 s37, -1
                                        ; implicit-def: $vgpr8
	s_branch .LBB31_687
.LBB31_683:
	s_mov_b32 s37, -1
                                        ; implicit-def: $vgpr8
.LBB31_684:
	s_delay_alu instid0(SALU_CYCLE_1)
	s_and_not1_b32 vcc_lo, exec_lo, s37
	s_cbranch_vccnz .LBB31_686
; %bb.685:
	s_wait_loadcnt 0x0
	global_load_u16 v8, v[10:11], off
.LBB31_686:
	s_mov_b32 s37, 0
.LBB31_687:
	s_delay_alu instid0(SALU_CYCLE_1)
	s_and_not1_b32 vcc_lo, exec_lo, s37
	s_cbranch_vccnz .LBB31_693
; %bb.688:
	global_load_u8 v1, v[10:11], off
	s_mov_b32 s52, 0
	s_mov_b32 s37, exec_lo
	s_wait_loadcnt 0x0
	v_cmpx_lt_i16_e32 0x7f, v1
	s_xor_b32 s37, exec_lo, s37
	s_cbranch_execz .LBB31_705
; %bb.689:
	v_cmp_ne_u16_e32 vcc_lo, 0x80, v1
	s_and_b32 s52, vcc_lo, exec_lo
	s_and_not1_saveexec_b32 s37, s37
	s_cbranch_execnz .LBB31_706
.LBB31_690:
	s_or_b32 exec_lo, exec_lo, s37
	v_mov_b32_e32 v8, 0
	s_and_saveexec_b32 s37, s52
	s_cbranch_execz .LBB31_692
.LBB31_691:
	v_and_b32_e32 v3, 0xffff, v1
	s_delay_alu instid0(VALU_DEP_1) | instskip(SKIP_1) | instid1(VALU_DEP_2)
	v_dual_lshlrev_b32 v1, 24, v1 :: v_dual_bitop2_b32 v5, 7, v3 bitop3:0x40
	v_bfe_u32 v9, v3, 3, 4
	v_and_b32_e32 v1, 0x80000000, v1
	s_delay_alu instid0(VALU_DEP_3) | instskip(NEXT) | instid1(VALU_DEP_3)
	v_clz_i32_u32_e32 v7, v5
	v_cmp_eq_u32_e32 vcc_lo, 0, v9
	s_delay_alu instid0(VALU_DEP_2) | instskip(NEXT) | instid1(VALU_DEP_1)
	v_min_u32_e32 v7, 32, v7
	v_subrev_nc_u32_e32 v8, 28, v7
	v_sub_nc_u32_e32 v7, 29, v7
	s_delay_alu instid0(VALU_DEP_2) | instskip(NEXT) | instid1(VALU_DEP_2)
	v_lshlrev_b32_e32 v3, v8, v3
	v_cndmask_b32_e32 v7, v9, v7, vcc_lo
	s_delay_alu instid0(VALU_DEP_2) | instskip(NEXT) | instid1(VALU_DEP_1)
	v_and_b32_e32 v3, 7, v3
	v_cndmask_b32_e32 v3, v5, v3, vcc_lo
	s_delay_alu instid0(VALU_DEP_3) | instskip(NEXT) | instid1(VALU_DEP_2)
	v_lshl_add_u32 v5, v7, 23, 0x3b800000
	v_lshlrev_b32_e32 v3, 20, v3
	s_delay_alu instid0(VALU_DEP_1) | instskip(NEXT) | instid1(VALU_DEP_1)
	v_or3_b32 v1, v1, v5, v3
	v_trunc_f32_e32 v1, v1
	s_delay_alu instid0(VALU_DEP_1) | instskip(NEXT) | instid1(VALU_DEP_1)
	v_mul_f32_e64 v3, 0x2f800000, |v1|
	v_floor_f32_e32 v3, v3
	s_delay_alu instid0(VALU_DEP_1) | instskip(SKIP_1) | instid1(VALU_DEP_2)
	v_fma_f32 v3, 0xcf800000, v3, |v1|
	v_ashrrev_i32_e32 v1, 31, v1
	v_cvt_u32_f32_e32 v3, v3
	s_delay_alu instid0(VALU_DEP_1) | instskip(NEXT) | instid1(VALU_DEP_1)
	v_xor_b32_e32 v3, v3, v1
	v_sub_nc_u32_e32 v8, v3, v1
.LBB31_692:
	s_or_b32 exec_lo, exec_lo, s37
.LBB31_693:
	s_mov_b32 s37, -1
.LBB31_694:
	s_mov_b32 s52, 0
.LBB31_695:
	s_delay_alu instid0(SALU_CYCLE_1)
	s_and_b32 vcc_lo, exec_lo, s52
	s_cbranch_vccz .LBB31_728
; %bb.696:
	s_cmp_gt_i32 s36, 22
	s_cbranch_scc0 .LBB31_704
; %bb.697:
	s_cmp_lt_i32 s36, 24
	s_cbranch_scc1 .LBB31_707
; %bb.698:
	s_cmp_gt_i32 s36, 24
	s_cbranch_scc0 .LBB31_708
; %bb.699:
	global_load_u8 v1, v[10:11], off
	s_mov_b32 s52, 0
	s_mov_b32 s37, exec_lo
	s_wait_loadcnt 0x0
	v_cmpx_lt_i16_e32 0x7f, v1
	s_xor_b32 s37, exec_lo, s37
	s_cbranch_execz .LBB31_720
; %bb.700:
	v_cmp_ne_u16_e32 vcc_lo, 0x80, v1
	s_and_b32 s52, vcc_lo, exec_lo
	s_and_not1_saveexec_b32 s37, s37
	s_cbranch_execnz .LBB31_721
.LBB31_701:
	s_or_b32 exec_lo, exec_lo, s37
	v_mov_b32_e32 v8, 0
	s_and_saveexec_b32 s37, s52
	s_cbranch_execz .LBB31_703
.LBB31_702:
	v_and_b32_e32 v3, 0xffff, v1
	s_delay_alu instid0(VALU_DEP_1) | instskip(SKIP_1) | instid1(VALU_DEP_2)
	v_dual_lshlrev_b32 v1, 24, v1 :: v_dual_bitop2_b32 v5, 3, v3 bitop3:0x40
	v_bfe_u32 v9, v3, 2, 5
	v_and_b32_e32 v1, 0x80000000, v1
	s_delay_alu instid0(VALU_DEP_3) | instskip(NEXT) | instid1(VALU_DEP_3)
	v_clz_i32_u32_e32 v7, v5
	v_cmp_eq_u32_e32 vcc_lo, 0, v9
	s_delay_alu instid0(VALU_DEP_2) | instskip(NEXT) | instid1(VALU_DEP_1)
	v_min_u32_e32 v7, 32, v7
	v_subrev_nc_u32_e32 v8, 29, v7
	v_sub_nc_u32_e32 v7, 30, v7
	s_delay_alu instid0(VALU_DEP_2) | instskip(NEXT) | instid1(VALU_DEP_2)
	v_lshlrev_b32_e32 v3, v8, v3
	v_cndmask_b32_e32 v7, v9, v7, vcc_lo
	s_delay_alu instid0(VALU_DEP_2) | instskip(NEXT) | instid1(VALU_DEP_1)
	v_and_b32_e32 v3, 3, v3
	v_cndmask_b32_e32 v3, v5, v3, vcc_lo
	s_delay_alu instid0(VALU_DEP_3) | instskip(NEXT) | instid1(VALU_DEP_2)
	v_lshl_add_u32 v5, v7, 23, 0x37800000
	v_lshlrev_b32_e32 v3, 21, v3
	s_delay_alu instid0(VALU_DEP_1) | instskip(NEXT) | instid1(VALU_DEP_1)
	v_or3_b32 v1, v1, v5, v3
	v_trunc_f32_e32 v1, v1
	s_delay_alu instid0(VALU_DEP_1) | instskip(NEXT) | instid1(VALU_DEP_1)
	v_mul_f32_e64 v3, 0x2f800000, |v1|
	v_floor_f32_e32 v3, v3
	s_delay_alu instid0(VALU_DEP_1) | instskip(SKIP_1) | instid1(VALU_DEP_2)
	v_fma_f32 v3, 0xcf800000, v3, |v1|
	v_ashrrev_i32_e32 v1, 31, v1
	v_cvt_u32_f32_e32 v3, v3
	s_delay_alu instid0(VALU_DEP_1) | instskip(NEXT) | instid1(VALU_DEP_1)
	v_xor_b32_e32 v3, v3, v1
	v_sub_nc_u32_e32 v8, v3, v1
.LBB31_703:
	s_or_b32 exec_lo, exec_lo, s37
	s_mov_b32 s37, 0
	s_branch .LBB31_709
.LBB31_704:
	s_mov_b32 s52, -1
                                        ; implicit-def: $vgpr8
	s_branch .LBB31_715
.LBB31_705:
	s_and_not1_saveexec_b32 s37, s37
	s_cbranch_execz .LBB31_690
.LBB31_706:
	v_cmp_ne_u16_e32 vcc_lo, 0, v1
	s_and_not1_b32 s52, s52, exec_lo
	s_and_b32 s53, vcc_lo, exec_lo
	s_delay_alu instid0(SALU_CYCLE_1)
	s_or_b32 s52, s52, s53
	s_or_b32 exec_lo, exec_lo, s37
	v_mov_b32_e32 v8, 0
	s_and_saveexec_b32 s37, s52
	s_cbranch_execnz .LBB31_691
	s_branch .LBB31_692
.LBB31_707:
	s_mov_b32 s37, -1
                                        ; implicit-def: $vgpr8
	s_branch .LBB31_712
.LBB31_708:
	s_mov_b32 s37, -1
                                        ; implicit-def: $vgpr8
.LBB31_709:
	s_delay_alu instid0(SALU_CYCLE_1)
	s_and_b32 vcc_lo, exec_lo, s37
	s_cbranch_vccz .LBB31_711
; %bb.710:
	global_load_u8 v1, v[10:11], off
	s_wait_loadcnt 0x0
	v_lshlrev_b32_e32 v1, 24, v1
	s_delay_alu instid0(VALU_DEP_1) | instskip(NEXT) | instid1(VALU_DEP_1)
	v_and_b32_e32 v3, 0x7f000000, v1
	v_clz_i32_u32_e32 v5, v3
	v_cmp_ne_u32_e32 vcc_lo, 0, v3
	v_add_nc_u32_e32 v8, 0x1000000, v3
	s_delay_alu instid0(VALU_DEP_3) | instskip(NEXT) | instid1(VALU_DEP_1)
	v_min_u32_e32 v5, 32, v5
	v_sub_nc_u32_e64 v5, v5, 4 clamp
	s_delay_alu instid0(VALU_DEP_1) | instskip(NEXT) | instid1(VALU_DEP_1)
	v_dual_lshlrev_b32 v7, v5, v3 :: v_dual_lshlrev_b32 v5, 23, v5
	v_lshrrev_b32_e32 v7, 4, v7
	s_delay_alu instid0(VALU_DEP_1) | instskip(NEXT) | instid1(VALU_DEP_1)
	v_dual_sub_nc_u32 v5, v7, v5 :: v_dual_ashrrev_i32 v7, 8, v8
	v_add_nc_u32_e32 v5, 0x3c000000, v5
	s_delay_alu instid0(VALU_DEP_1) | instskip(NEXT) | instid1(VALU_DEP_1)
	v_and_or_b32 v5, 0x7f800000, v7, v5
	v_cndmask_b32_e32 v3, 0, v5, vcc_lo
	s_delay_alu instid0(VALU_DEP_1) | instskip(NEXT) | instid1(VALU_DEP_1)
	v_and_or_b32 v1, 0x80000000, v1, v3
	v_trunc_f32_e32 v1, v1
	s_delay_alu instid0(VALU_DEP_1) | instskip(NEXT) | instid1(VALU_DEP_1)
	v_mul_f32_e64 v3, 0x2f800000, |v1|
	v_floor_f32_e32 v3, v3
	s_delay_alu instid0(VALU_DEP_1) | instskip(SKIP_1) | instid1(VALU_DEP_2)
	v_fma_f32 v3, 0xcf800000, v3, |v1|
	v_ashrrev_i32_e32 v1, 31, v1
	v_cvt_u32_f32_e32 v3, v3
	s_delay_alu instid0(VALU_DEP_1) | instskip(NEXT) | instid1(VALU_DEP_1)
	v_xor_b32_e32 v3, v3, v1
	v_sub_nc_u32_e32 v8, v3, v1
.LBB31_711:
	s_mov_b32 s37, 0
.LBB31_712:
	s_delay_alu instid0(SALU_CYCLE_1)
	s_and_not1_b32 vcc_lo, exec_lo, s37
	s_cbranch_vccnz .LBB31_714
; %bb.713:
	global_load_u8 v1, v[10:11], off
	s_wait_loadcnt 0x0
	v_lshlrev_b32_e32 v3, 25, v1
	v_lshlrev_b16 v1, 8, v1
	s_delay_alu instid0(VALU_DEP_1) | instskip(SKIP_1) | instid1(VALU_DEP_2)
	v_and_or_b32 v7, 0x7f00, v1, 0.5
	v_bfe_i32 v1, v1, 0, 16
	v_add_f32_e32 v7, -0.5, v7
	v_lshrrev_b32_e32 v5, 4, v3
	v_cmp_gt_u32_e32 vcc_lo, 0x8000000, v3
	s_delay_alu instid0(VALU_DEP_2) | instskip(NEXT) | instid1(VALU_DEP_1)
	v_or_b32_e32 v5, 0x70000000, v5
	v_mul_f32_e32 v5, 0x7800000, v5
	s_delay_alu instid0(VALU_DEP_1) | instskip(NEXT) | instid1(VALU_DEP_1)
	v_cndmask_b32_e32 v3, v5, v7, vcc_lo
	v_and_or_b32 v1, 0x80000000, v1, v3
	s_delay_alu instid0(VALU_DEP_1) | instskip(NEXT) | instid1(VALU_DEP_1)
	v_trunc_f32_e32 v1, v1
	v_mul_f32_e64 v3, 0x2f800000, |v1|
	s_delay_alu instid0(VALU_DEP_1) | instskip(NEXT) | instid1(VALU_DEP_1)
	v_floor_f32_e32 v3, v3
	v_fma_f32 v3, 0xcf800000, v3, |v1|
	v_ashrrev_i32_e32 v1, 31, v1
	s_delay_alu instid0(VALU_DEP_2) | instskip(NEXT) | instid1(VALU_DEP_1)
	v_cvt_u32_f32_e32 v3, v3
	v_xor_b32_e32 v3, v3, v1
	s_delay_alu instid0(VALU_DEP_1)
	v_sub_nc_u32_e32 v8, v3, v1
.LBB31_714:
	s_mov_b32 s52, 0
	s_mov_b32 s37, -1
.LBB31_715:
	s_and_not1_b32 vcc_lo, exec_lo, s52
	s_cbranch_vccnz .LBB31_728
; %bb.716:
	s_cmp_gt_i32 s36, 14
	s_cbranch_scc0 .LBB31_719
; %bb.717:
	s_cmp_eq_u32 s36, 15
	s_cbranch_scc0 .LBB31_722
; %bb.718:
	global_load_u16 v1, v[10:11], off
	s_mov_b32 s37, -1
	s_mov_b32 s35, 0
	s_wait_loadcnt 0x0
	v_lshlrev_b32_e32 v1, 16, v1
	s_delay_alu instid0(VALU_DEP_1) | instskip(NEXT) | instid1(VALU_DEP_1)
	v_trunc_f32_e32 v1, v1
	v_mul_f32_e64 v3, 0x2f800000, |v1|
	s_delay_alu instid0(VALU_DEP_1) | instskip(NEXT) | instid1(VALU_DEP_1)
	v_floor_f32_e32 v3, v3
	v_fma_f32 v3, 0xcf800000, v3, |v1|
	v_ashrrev_i32_e32 v1, 31, v1
	s_delay_alu instid0(VALU_DEP_2) | instskip(NEXT) | instid1(VALU_DEP_1)
	v_cvt_u32_f32_e32 v3, v3
	v_xor_b32_e32 v3, v3, v1
	s_delay_alu instid0(VALU_DEP_1)
	v_sub_nc_u32_e32 v8, v3, v1
	s_branch .LBB31_723
.LBB31_719:
	s_mov_b32 s52, -1
                                        ; implicit-def: $vgpr8
	s_branch .LBB31_724
.LBB31_720:
	s_and_not1_saveexec_b32 s37, s37
	s_cbranch_execz .LBB31_701
.LBB31_721:
	v_cmp_ne_u16_e32 vcc_lo, 0, v1
	s_and_not1_b32 s52, s52, exec_lo
	s_and_b32 s53, vcc_lo, exec_lo
	s_delay_alu instid0(SALU_CYCLE_1)
	s_or_b32 s52, s52, s53
	s_or_b32 exec_lo, exec_lo, s37
	v_mov_b32_e32 v8, 0
	s_and_saveexec_b32 s37, s52
	s_cbranch_execnz .LBB31_702
	s_branch .LBB31_703
.LBB31_722:
	s_mov_b32 s35, -1
                                        ; implicit-def: $vgpr8
.LBB31_723:
	s_mov_b32 s52, 0
.LBB31_724:
	s_delay_alu instid0(SALU_CYCLE_1)
	s_and_b32 vcc_lo, exec_lo, s52
	s_cbranch_vccz .LBB31_728
; %bb.725:
	s_cmp_eq_u32 s36, 11
	s_cbranch_scc0 .LBB31_727
; %bb.726:
	global_load_u8 v1, v[10:11], off
	s_mov_b32 s35, 0
	s_mov_b32 s37, -1
	s_wait_loadcnt 0x0
	v_cmp_ne_u16_e32 vcc_lo, 0, v1
	v_cndmask_b32_e64 v8, 0, 1, vcc_lo
	s_branch .LBB31_728
.LBB31_727:
	s_mov_b32 s35, -1
                                        ; implicit-def: $vgpr8
.LBB31_728:
	s_mov_b32 s36, 0
.LBB31_729:
	s_delay_alu instid0(SALU_CYCLE_1)
	s_and_b32 vcc_lo, exec_lo, s36
	s_cbranch_vccz .LBB31_778
; %bb.730:
	s_and_b32 s0, 0xffff, s0
	s_delay_alu instid0(SALU_CYCLE_1)
	s_cmp_lt_i32 s0, 5
	s_cbranch_scc1 .LBB31_735
; %bb.731:
	s_cmp_lt_i32 s0, 8
	s_cbranch_scc1 .LBB31_736
; %bb.732:
	;; [unrolled: 3-line block ×3, first 2 shown]
	s_cmp_gt_i32 s0, 9
	s_cbranch_scc0 .LBB31_738
; %bb.734:
	s_wait_loadcnt 0x0
	global_load_b64 v[8:9], v[10:11], off
	s_mov_b32 s36, 0
	s_wait_loadcnt 0x0
	v_trunc_f64_e32 v[8:9], v[8:9]
	s_delay_alu instid0(VALU_DEP_1) | instskip(NEXT) | instid1(VALU_DEP_1)
	v_ldexp_f64 v[12:13], v[8:9], 0xffffffe0
	v_floor_f64_e32 v[12:13], v[12:13]
	s_delay_alu instid0(VALU_DEP_1) | instskip(NEXT) | instid1(VALU_DEP_1)
	v_fmamk_f64 v[8:9], v[12:13], 0xc1f00000, v[8:9]
	v_cvt_u32_f64_e32 v8, v[8:9]
	s_branch .LBB31_739
.LBB31_735:
	s_mov_b32 s36, -1
                                        ; implicit-def: $vgpr8
	s_branch .LBB31_757
.LBB31_736:
	s_mov_b32 s36, -1
                                        ; implicit-def: $vgpr8
	s_branch .LBB31_745
.LBB31_737:
	s_mov_b32 s36, -1
                                        ; implicit-def: $vgpr8
	s_branch .LBB31_742
.LBB31_738:
	s_mov_b32 s36, -1
                                        ; implicit-def: $vgpr8
.LBB31_739:
	s_delay_alu instid0(SALU_CYCLE_1)
	s_and_not1_b32 vcc_lo, exec_lo, s36
	s_cbranch_vccnz .LBB31_741
; %bb.740:
	global_load_b32 v1, v[10:11], off
	s_wait_loadcnt 0x0
	v_trunc_f32_e32 v1, v1
	s_delay_alu instid0(VALU_DEP_1) | instskip(NEXT) | instid1(VALU_DEP_1)
	v_mul_f32_e64 v3, 0x2f800000, |v1|
	v_floor_f32_e32 v3, v3
	s_delay_alu instid0(VALU_DEP_1) | instskip(SKIP_1) | instid1(VALU_DEP_2)
	v_fma_f32 v3, 0xcf800000, v3, |v1|
	v_ashrrev_i32_e32 v1, 31, v1
	v_cvt_u32_f32_e32 v3, v3
	s_delay_alu instid0(VALU_DEP_1) | instskip(NEXT) | instid1(VALU_DEP_1)
	v_xor_b32_e32 v3, v3, v1
	v_sub_nc_u32_e32 v8, v3, v1
.LBB31_741:
	s_mov_b32 s36, 0
.LBB31_742:
	s_delay_alu instid0(SALU_CYCLE_1)
	s_and_not1_b32 vcc_lo, exec_lo, s36
	s_cbranch_vccnz .LBB31_744
; %bb.743:
	global_load_b32 v1, v[10:11], off
	s_wait_loadcnt 0x0
	v_cvt_f32_f16_e32 v1, v1
	s_delay_alu instid0(VALU_DEP_1)
	v_cvt_i32_f32_e32 v8, v1
.LBB31_744:
	s_mov_b32 s36, 0
.LBB31_745:
	s_delay_alu instid0(SALU_CYCLE_1)
	s_and_not1_b32 vcc_lo, exec_lo, s36
	s_cbranch_vccnz .LBB31_756
; %bb.746:
	s_cmp_lt_i32 s0, 6
	s_cbranch_scc1 .LBB31_749
; %bb.747:
	s_cmp_gt_i32 s0, 6
	s_cbranch_scc0 .LBB31_750
; %bb.748:
	s_wait_loadcnt 0x0
	global_load_b64 v[8:9], v[10:11], off
	s_mov_b32 s36, 0
	s_wait_loadcnt 0x0
	v_trunc_f64_e32 v[8:9], v[8:9]
	s_delay_alu instid0(VALU_DEP_1) | instskip(NEXT) | instid1(VALU_DEP_1)
	v_ldexp_f64 v[12:13], v[8:9], 0xffffffe0
	v_floor_f64_e32 v[12:13], v[12:13]
	s_delay_alu instid0(VALU_DEP_1) | instskip(NEXT) | instid1(VALU_DEP_1)
	v_fmamk_f64 v[8:9], v[12:13], 0xc1f00000, v[8:9]
	v_cvt_u32_f64_e32 v8, v[8:9]
	s_branch .LBB31_751
.LBB31_749:
	s_mov_b32 s36, -1
                                        ; implicit-def: $vgpr8
	s_branch .LBB31_754
.LBB31_750:
	s_mov_b32 s36, -1
                                        ; implicit-def: $vgpr8
.LBB31_751:
	s_delay_alu instid0(SALU_CYCLE_1)
	s_and_not1_b32 vcc_lo, exec_lo, s36
	s_cbranch_vccnz .LBB31_753
; %bb.752:
	global_load_b32 v1, v[10:11], off
	s_wait_loadcnt 0x0
	v_trunc_f32_e32 v1, v1
	s_delay_alu instid0(VALU_DEP_1) | instskip(NEXT) | instid1(VALU_DEP_1)
	v_mul_f32_e64 v3, 0x2f800000, |v1|
	v_floor_f32_e32 v3, v3
	s_delay_alu instid0(VALU_DEP_1) | instskip(SKIP_1) | instid1(VALU_DEP_2)
	v_fma_f32 v3, 0xcf800000, v3, |v1|
	v_ashrrev_i32_e32 v1, 31, v1
	v_cvt_u32_f32_e32 v3, v3
	s_delay_alu instid0(VALU_DEP_1) | instskip(NEXT) | instid1(VALU_DEP_1)
	v_xor_b32_e32 v3, v3, v1
	v_sub_nc_u32_e32 v8, v3, v1
.LBB31_753:
	s_mov_b32 s36, 0
.LBB31_754:
	s_delay_alu instid0(SALU_CYCLE_1)
	s_and_not1_b32 vcc_lo, exec_lo, s36
	s_cbranch_vccnz .LBB31_756
; %bb.755:
	global_load_u16 v1, v[10:11], off
	s_wait_loadcnt 0x0
	v_cvt_f32_f16_e32 v1, v1
	s_delay_alu instid0(VALU_DEP_1)
	v_cvt_i32_f32_e32 v8, v1
.LBB31_756:
	s_mov_b32 s36, 0
.LBB31_757:
	s_delay_alu instid0(SALU_CYCLE_1)
	s_and_not1_b32 vcc_lo, exec_lo, s36
	s_cbranch_vccnz .LBB31_777
; %bb.758:
	s_cmp_lt_i32 s0, 2
	s_cbranch_scc1 .LBB31_762
; %bb.759:
	s_cmp_lt_i32 s0, 3
	s_cbranch_scc1 .LBB31_763
; %bb.760:
	s_cmp_gt_i32 s0, 3
	s_cbranch_scc0 .LBB31_764
; %bb.761:
	s_wait_loadcnt 0x0
	global_load_b64 v[8:9], v[10:11], off
	s_mov_b32 s36, 0
	s_branch .LBB31_765
.LBB31_762:
	s_mov_b32 s36, -1
                                        ; implicit-def: $vgpr8
	s_branch .LBB31_771
.LBB31_763:
	s_mov_b32 s36, -1
                                        ; implicit-def: $vgpr8
	s_branch .LBB31_768
.LBB31_764:
	s_mov_b32 s36, -1
                                        ; implicit-def: $vgpr8
.LBB31_765:
	s_delay_alu instid0(SALU_CYCLE_1)
	s_and_not1_b32 vcc_lo, exec_lo, s36
	s_cbranch_vccnz .LBB31_767
; %bb.766:
	s_wait_loadcnt 0x0
	global_load_b32 v8, v[10:11], off
.LBB31_767:
	s_mov_b32 s36, 0
.LBB31_768:
	s_delay_alu instid0(SALU_CYCLE_1)
	s_and_not1_b32 vcc_lo, exec_lo, s36
	s_cbranch_vccnz .LBB31_770
; %bb.769:
	s_wait_loadcnt 0x0
	global_load_u16 v8, v[10:11], off
.LBB31_770:
	s_mov_b32 s36, 0
.LBB31_771:
	s_delay_alu instid0(SALU_CYCLE_1)
	s_and_not1_b32 vcc_lo, exec_lo, s36
	s_cbranch_vccnz .LBB31_777
; %bb.772:
	s_cmp_gt_i32 s0, 0
	s_mov_b32 s0, 0
	s_cbranch_scc0 .LBB31_774
; %bb.773:
	s_wait_loadcnt 0x0
	global_load_u8 v8, v[10:11], off
	s_branch .LBB31_775
.LBB31_774:
	s_mov_b32 s0, -1
                                        ; implicit-def: $vgpr8
.LBB31_775:
	s_delay_alu instid0(SALU_CYCLE_1)
	s_and_not1_b32 vcc_lo, exec_lo, s0
	s_cbranch_vccnz .LBB31_777
; %bb.776:
	s_wait_loadcnt 0x0
	global_load_u8 v8, v[10:11], off
.LBB31_777:
	s_mov_b32 s37, -1
.LBB31_778:
	s_delay_alu instid0(SALU_CYCLE_1)
	s_and_not1_b32 vcc_lo, exec_lo, s37
	s_cbranch_vccnz .LBB31_786
; %bb.779:
	v_mov_b32_e32 v7, 0
	s_and_b32 s0, s29, 0xff
	s_delay_alu instid0(SALU_CYCLE_1) | instskip(NEXT) | instid1(VALU_DEP_1)
	s_cmp_lt_i32 s0, 11
	v_add_nc_u64_e32 v[6:7], s[10:11], v[6:7]
	s_cbranch_scc1 .LBB31_787
; %bb.780:
	s_and_b32 s37, 0xffff, s0
	s_delay_alu instid0(SALU_CYCLE_1)
	s_cmp_gt_i32 s37, 25
	s_cbranch_scc0 .LBB31_788
; %bb.781:
	s_cmp_gt_i32 s37, 28
	s_cbranch_scc0 .LBB31_789
; %bb.782:
	;; [unrolled: 3-line block ×4, first 2 shown]
	s_cmp_eq_u32 s37, 46
	s_mov_b32 s53, 0
	s_cbranch_scc0 .LBB31_794
; %bb.785:
	global_load_b32 v1, v[6:7], off
	s_mov_b32 s52, -1
	s_mov_b32 s36, 0
	s_wait_loadcnt 0x0
	v_lshlrev_b32_e32 v1, 16, v1
	s_delay_alu instid0(VALU_DEP_1) | instskip(NEXT) | instid1(VALU_DEP_1)
	v_trunc_f32_e32 v1, v1
	v_mul_f32_e64 v3, 0x2f800000, |v1|
	s_delay_alu instid0(VALU_DEP_1) | instskip(NEXT) | instid1(VALU_DEP_1)
	v_floor_f32_e32 v3, v3
	v_fma_f32 v3, 0xcf800000, v3, |v1|
	v_ashrrev_i32_e32 v1, 31, v1
	s_delay_alu instid0(VALU_DEP_2) | instskip(NEXT) | instid1(VALU_DEP_1)
	v_cvt_u32_f32_e32 v3, v3
	v_xor_b32_e32 v3, v3, v1
	s_wait_xcnt 0x1
	s_delay_alu instid0(VALU_DEP_1)
	v_sub_nc_u32_e32 v10, v3, v1
	s_branch .LBB31_796
.LBB31_786:
	s_mov_b32 s37, 0
	s_mov_b32 s0, s45
	;; [unrolled: 1-line block ×3, first 2 shown]
	s_branch .LBB31_1031
.LBB31_787:
	s_mov_b32 s37, -1
	s_mov_b32 s52, 0
	s_mov_b32 s36, s48
                                        ; implicit-def: $vgpr10
	s_branch .LBB31_857
.LBB31_788:
	s_mov_b32 s53, -1
	s_mov_b32 s52, 0
	s_mov_b32 s36, s48
                                        ; implicit-def: $vgpr10
	s_branch .LBB31_823
.LBB31_789:
	s_mov_b32 s53, -1
	s_mov_b32 s52, 0
	s_mov_b32 s36, s48
                                        ; implicit-def: $vgpr10
	s_branch .LBB31_806
.LBB31_790:
	s_mov_b32 s53, -1
	s_mov_b32 s52, 0
	s_mov_b32 s36, s48
                                        ; implicit-def: $vgpr10
	s_branch .LBB31_801
.LBB31_791:
	s_mov_b32 s53, -1
	s_mov_b32 s52, 0
	s_mov_b32 s36, s48
	s_branch .LBB31_795
.LBB31_792:
	s_and_not1_saveexec_b32 s50, s50
	s_cbranch_execz .LBB31_433
.LBB31_793:
	v_add_f32_e32 v4, 0x42800000, v5
	s_and_not1_b32 s49, s49, exec_lo
	s_delay_alu instid0(VALU_DEP_1) | instskip(NEXT) | instid1(VALU_DEP_1)
	v_and_b32_e32 v4, 0xff, v4
	v_cmp_ne_u32_e32 vcc_lo, 0, v4
	s_and_b32 s52, vcc_lo, exec_lo
	s_delay_alu instid0(SALU_CYCLE_1)
	s_or_b32 s49, s49, s52
	s_or_b32 exec_lo, exec_lo, s50
	v_mov_b32_e32 v6, 0
	s_and_saveexec_b32 s50, s49
	s_cbranch_execnz .LBB31_434
	s_branch .LBB31_435
.LBB31_794:
	s_mov_b32 s36, -1
	s_mov_b32 s52, 0
.LBB31_795:
                                        ; implicit-def: $vgpr10
.LBB31_796:
	s_and_b32 vcc_lo, exec_lo, s53
	s_cbranch_vccz .LBB31_800
; %bb.797:
	s_cmp_eq_u32 s37, 44
	s_cbranch_scc0 .LBB31_799
; %bb.798:
	global_load_u8 v1, v[6:7], off
	s_mov_b32 s36, 0
	s_mov_b32 s52, -1
	s_wait_loadcnt 0x0
	v_lshlrev_b32_e32 v3, 23, v1
	v_cmp_ne_u32_e32 vcc_lo, 0, v1
	s_delay_alu instid0(VALU_DEP_2) | instskip(NEXT) | instid1(VALU_DEP_1)
	v_trunc_f32_e32 v3, v3
	v_mul_f32_e64 v5, 0x2f800000, |v3|
	s_delay_alu instid0(VALU_DEP_1) | instskip(NEXT) | instid1(VALU_DEP_1)
	v_floor_f32_e32 v5, v5
	v_fma_f32 v5, 0xcf800000, v5, |v3|
	v_ashrrev_i32_e32 v3, 31, v3
	s_delay_alu instid0(VALU_DEP_2) | instskip(NEXT) | instid1(VALU_DEP_1)
	v_cvt_u32_f32_e32 v5, v5
	v_xor_b32_e32 v5, v5, v3
	s_delay_alu instid0(VALU_DEP_1) | instskip(SKIP_1) | instid1(VALU_DEP_1)
	v_sub_nc_u32_e32 v3, v5, v3
	s_wait_xcnt 0x1
	v_cndmask_b32_e32 v10, 0, v3, vcc_lo
	s_branch .LBB31_800
.LBB31_799:
	s_mov_b32 s36, -1
                                        ; implicit-def: $vgpr10
.LBB31_800:
	s_mov_b32 s53, 0
.LBB31_801:
	s_delay_alu instid0(SALU_CYCLE_1)
	s_and_b32 vcc_lo, exec_lo, s53
	s_cbranch_vccz .LBB31_805
; %bb.802:
	s_cmp_eq_u32 s37, 29
	s_cbranch_scc0 .LBB31_804
; %bb.803:
	global_load_b64 v[10:11], v[6:7], off
	s_mov_b32 s52, -1
	s_mov_b32 s36, 0
	s_branch .LBB31_805
.LBB31_804:
	s_mov_b32 s36, -1
                                        ; implicit-def: $vgpr10
.LBB31_805:
	s_mov_b32 s53, 0
.LBB31_806:
	s_delay_alu instid0(SALU_CYCLE_1)
	s_and_b32 vcc_lo, exec_lo, s53
	s_cbranch_vccz .LBB31_822
; %bb.807:
	s_cmp_lt_i32 s37, 27
	s_cbranch_scc1 .LBB31_810
; %bb.808:
	s_cmp_gt_i32 s37, 27
	s_cbranch_scc0 .LBB31_811
; %bb.809:
	s_wait_loadcnt 0x0
	global_load_b32 v10, v[6:7], off
	s_mov_b32 s52, 0
	s_branch .LBB31_812
.LBB31_810:
	s_mov_b32 s52, -1
                                        ; implicit-def: $vgpr10
	s_branch .LBB31_815
.LBB31_811:
	s_mov_b32 s52, -1
                                        ; implicit-def: $vgpr10
.LBB31_812:
	s_delay_alu instid0(SALU_CYCLE_1)
	s_and_not1_b32 vcc_lo, exec_lo, s52
	s_cbranch_vccnz .LBB31_814
; %bb.813:
	s_wait_loadcnt 0x0
	global_load_u16 v10, v[6:7], off
.LBB31_814:
	s_mov_b32 s52, 0
.LBB31_815:
	s_delay_alu instid0(SALU_CYCLE_1)
	s_and_not1_b32 vcc_lo, exec_lo, s52
	s_cbranch_vccnz .LBB31_821
; %bb.816:
	global_load_u8 v1, v[6:7], off
	s_mov_b32 s53, 0
	s_mov_b32 s52, exec_lo
	s_wait_loadcnt 0x0
	v_cmpx_lt_i16_e32 0x7f, v1
	s_xor_b32 s52, exec_lo, s52
	s_cbranch_execz .LBB31_833
; %bb.817:
	v_cmp_ne_u16_e32 vcc_lo, 0x80, v1
	s_and_b32 s53, vcc_lo, exec_lo
	s_and_not1_saveexec_b32 s52, s52
	s_cbranch_execnz .LBB31_834
.LBB31_818:
	s_or_b32 exec_lo, exec_lo, s52
	v_mov_b32_e32 v10, 0
	s_and_saveexec_b32 s52, s53
	s_cbranch_execz .LBB31_820
.LBB31_819:
	v_and_b32_e32 v3, 0xffff, v1
	s_delay_alu instid0(VALU_DEP_1) | instskip(SKIP_1) | instid1(VALU_DEP_2)
	v_and_b32_e32 v5, 7, v3
	v_bfe_u32 v11, v3, 3, 4
	v_clz_i32_u32_e32 v9, v5
	s_delay_alu instid0(VALU_DEP_2) | instskip(NEXT) | instid1(VALU_DEP_2)
	v_cmp_eq_u32_e32 vcc_lo, 0, v11
	v_min_u32_e32 v9, 32, v9
	s_delay_alu instid0(VALU_DEP_1) | instskip(NEXT) | instid1(VALU_DEP_1)
	v_subrev_nc_u32_e32 v10, 28, v9
	v_dual_lshlrev_b32 v3, v10, v3 :: v_dual_sub_nc_u32 v9, 29, v9
	s_delay_alu instid0(VALU_DEP_1) | instskip(NEXT) | instid1(VALU_DEP_1)
	v_dual_lshlrev_b32 v1, 24, v1 :: v_dual_bitop2_b32 v3, 7, v3 bitop3:0x40
	v_dual_cndmask_b32 v3, v5, v3, vcc_lo :: v_dual_cndmask_b32 v9, v11, v9, vcc_lo
	s_delay_alu instid0(VALU_DEP_2) | instskip(NEXT) | instid1(VALU_DEP_2)
	v_and_b32_e32 v1, 0x80000000, v1
	v_lshlrev_b32_e32 v3, 20, v3
	s_delay_alu instid0(VALU_DEP_3) | instskip(NEXT) | instid1(VALU_DEP_1)
	v_lshl_add_u32 v5, v9, 23, 0x3b800000
	v_or3_b32 v1, v1, v5, v3
	s_delay_alu instid0(VALU_DEP_1) | instskip(NEXT) | instid1(VALU_DEP_1)
	v_trunc_f32_e32 v1, v1
	v_mul_f32_e64 v3, 0x2f800000, |v1|
	s_delay_alu instid0(VALU_DEP_1) | instskip(NEXT) | instid1(VALU_DEP_1)
	v_floor_f32_e32 v3, v3
	v_fma_f32 v3, 0xcf800000, v3, |v1|
	v_ashrrev_i32_e32 v1, 31, v1
	s_delay_alu instid0(VALU_DEP_2) | instskip(NEXT) | instid1(VALU_DEP_1)
	v_cvt_u32_f32_e32 v3, v3
	v_xor_b32_e32 v3, v3, v1
	s_delay_alu instid0(VALU_DEP_1)
	v_sub_nc_u32_e32 v10, v3, v1
.LBB31_820:
	s_or_b32 exec_lo, exec_lo, s52
.LBB31_821:
	s_mov_b32 s52, -1
.LBB31_822:
	s_mov_b32 s53, 0
.LBB31_823:
	s_delay_alu instid0(SALU_CYCLE_1)
	s_and_b32 vcc_lo, exec_lo, s53
	s_cbranch_vccz .LBB31_856
; %bb.824:
	s_cmp_gt_i32 s37, 22
	s_cbranch_scc0 .LBB31_832
; %bb.825:
	s_cmp_lt_i32 s37, 24
	s_cbranch_scc1 .LBB31_835
; %bb.826:
	s_cmp_gt_i32 s37, 24
	s_cbranch_scc0 .LBB31_836
; %bb.827:
	global_load_u8 v1, v[6:7], off
	s_mov_b32 s53, 0
	s_mov_b32 s52, exec_lo
	s_wait_loadcnt 0x0
	v_cmpx_lt_i16_e32 0x7f, v1
	s_xor_b32 s52, exec_lo, s52
	s_cbranch_execz .LBB31_848
; %bb.828:
	v_cmp_ne_u16_e32 vcc_lo, 0x80, v1
	s_and_b32 s53, vcc_lo, exec_lo
	s_and_not1_saveexec_b32 s52, s52
	s_cbranch_execnz .LBB31_849
.LBB31_829:
	s_or_b32 exec_lo, exec_lo, s52
	v_mov_b32_e32 v10, 0
	s_and_saveexec_b32 s52, s53
	s_cbranch_execz .LBB31_831
.LBB31_830:
	v_and_b32_e32 v3, 0xffff, v1
	s_delay_alu instid0(VALU_DEP_1) | instskip(SKIP_1) | instid1(VALU_DEP_2)
	v_and_b32_e32 v5, 3, v3
	v_bfe_u32 v11, v3, 2, 5
	v_clz_i32_u32_e32 v9, v5
	s_delay_alu instid0(VALU_DEP_2) | instskip(NEXT) | instid1(VALU_DEP_2)
	v_cmp_eq_u32_e32 vcc_lo, 0, v11
	v_min_u32_e32 v9, 32, v9
	s_delay_alu instid0(VALU_DEP_1) | instskip(NEXT) | instid1(VALU_DEP_1)
	v_subrev_nc_u32_e32 v10, 29, v9
	v_dual_lshlrev_b32 v3, v10, v3 :: v_dual_sub_nc_u32 v9, 30, v9
	s_delay_alu instid0(VALU_DEP_1) | instskip(NEXT) | instid1(VALU_DEP_1)
	v_dual_lshlrev_b32 v1, 24, v1 :: v_dual_bitop2_b32 v3, 3, v3 bitop3:0x40
	v_dual_cndmask_b32 v3, v5, v3, vcc_lo :: v_dual_cndmask_b32 v9, v11, v9, vcc_lo
	s_delay_alu instid0(VALU_DEP_2) | instskip(NEXT) | instid1(VALU_DEP_2)
	v_and_b32_e32 v1, 0x80000000, v1
	v_lshlrev_b32_e32 v3, 21, v3
	s_delay_alu instid0(VALU_DEP_3) | instskip(NEXT) | instid1(VALU_DEP_1)
	v_lshl_add_u32 v5, v9, 23, 0x37800000
	v_or3_b32 v1, v1, v5, v3
	s_delay_alu instid0(VALU_DEP_1) | instskip(NEXT) | instid1(VALU_DEP_1)
	v_trunc_f32_e32 v1, v1
	v_mul_f32_e64 v3, 0x2f800000, |v1|
	s_delay_alu instid0(VALU_DEP_1) | instskip(NEXT) | instid1(VALU_DEP_1)
	v_floor_f32_e32 v3, v3
	v_fma_f32 v3, 0xcf800000, v3, |v1|
	v_ashrrev_i32_e32 v1, 31, v1
	s_delay_alu instid0(VALU_DEP_2) | instskip(NEXT) | instid1(VALU_DEP_1)
	v_cvt_u32_f32_e32 v3, v3
	v_xor_b32_e32 v3, v3, v1
	s_delay_alu instid0(VALU_DEP_1)
	v_sub_nc_u32_e32 v10, v3, v1
.LBB31_831:
	s_or_b32 exec_lo, exec_lo, s52
	s_mov_b32 s52, 0
	s_branch .LBB31_837
.LBB31_832:
	s_mov_b32 s53, -1
                                        ; implicit-def: $vgpr10
	s_branch .LBB31_843
.LBB31_833:
	s_and_not1_saveexec_b32 s52, s52
	s_cbranch_execz .LBB31_818
.LBB31_834:
	v_cmp_ne_u16_e32 vcc_lo, 0, v1
	s_and_not1_b32 s53, s53, exec_lo
	s_and_b32 s54, vcc_lo, exec_lo
	s_delay_alu instid0(SALU_CYCLE_1)
	s_or_b32 s53, s53, s54
	s_or_b32 exec_lo, exec_lo, s52
	v_mov_b32_e32 v10, 0
	s_and_saveexec_b32 s52, s53
	s_cbranch_execnz .LBB31_819
	s_branch .LBB31_820
.LBB31_835:
	s_mov_b32 s52, -1
                                        ; implicit-def: $vgpr10
	s_branch .LBB31_840
.LBB31_836:
	s_mov_b32 s52, -1
                                        ; implicit-def: $vgpr10
.LBB31_837:
	s_delay_alu instid0(SALU_CYCLE_1)
	s_and_b32 vcc_lo, exec_lo, s52
	s_cbranch_vccz .LBB31_839
; %bb.838:
	global_load_u8 v1, v[6:7], off
	s_wait_loadcnt 0x0
	v_lshlrev_b32_e32 v1, 24, v1
	s_delay_alu instid0(VALU_DEP_1) | instskip(NEXT) | instid1(VALU_DEP_1)
	v_and_b32_e32 v3, 0x7f000000, v1
	v_clz_i32_u32_e32 v5, v3
	v_cmp_ne_u32_e32 vcc_lo, 0, v3
	s_wait_xcnt 0x1
	v_add_nc_u32_e32 v10, 0x1000000, v3
	s_delay_alu instid0(VALU_DEP_3) | instskip(NEXT) | instid1(VALU_DEP_1)
	v_min_u32_e32 v5, 32, v5
	v_sub_nc_u32_e64 v5, v5, 4 clamp
	s_delay_alu instid0(VALU_DEP_1) | instskip(NEXT) | instid1(VALU_DEP_1)
	v_dual_lshlrev_b32 v9, v5, v3 :: v_dual_lshlrev_b32 v5, 23, v5
	v_lshrrev_b32_e32 v9, 4, v9
	s_delay_alu instid0(VALU_DEP_1) | instskip(NEXT) | instid1(VALU_DEP_1)
	v_dual_sub_nc_u32 v5, v9, v5 :: v_dual_ashrrev_i32 v9, 8, v10
	v_add_nc_u32_e32 v5, 0x3c000000, v5
	s_delay_alu instid0(VALU_DEP_1) | instskip(NEXT) | instid1(VALU_DEP_1)
	v_and_or_b32 v5, 0x7f800000, v9, v5
	v_cndmask_b32_e32 v3, 0, v5, vcc_lo
	s_delay_alu instid0(VALU_DEP_1) | instskip(NEXT) | instid1(VALU_DEP_1)
	v_and_or_b32 v1, 0x80000000, v1, v3
	v_trunc_f32_e32 v1, v1
	s_delay_alu instid0(VALU_DEP_1) | instskip(NEXT) | instid1(VALU_DEP_1)
	v_mul_f32_e64 v3, 0x2f800000, |v1|
	v_floor_f32_e32 v3, v3
	s_delay_alu instid0(VALU_DEP_1) | instskip(SKIP_1) | instid1(VALU_DEP_2)
	v_fma_f32 v3, 0xcf800000, v3, |v1|
	v_ashrrev_i32_e32 v1, 31, v1
	v_cvt_u32_f32_e32 v3, v3
	s_delay_alu instid0(VALU_DEP_1) | instskip(NEXT) | instid1(VALU_DEP_1)
	v_xor_b32_e32 v3, v3, v1
	v_sub_nc_u32_e32 v10, v3, v1
.LBB31_839:
	s_mov_b32 s52, 0
.LBB31_840:
	s_delay_alu instid0(SALU_CYCLE_1)
	s_and_not1_b32 vcc_lo, exec_lo, s52
	s_cbranch_vccnz .LBB31_842
; %bb.841:
	global_load_u8 v1, v[6:7], off
	s_wait_loadcnt 0x0
	v_lshlrev_b32_e32 v3, 25, v1
	v_lshlrev_b16 v1, 8, v1
	s_delay_alu instid0(VALU_DEP_2) | instskip(NEXT) | instid1(VALU_DEP_2)
	v_cmp_gt_u32_e32 vcc_lo, 0x8000000, v3
	v_and_or_b32 v9, 0x7f00, v1, 0.5
	v_lshrrev_b32_e32 v5, 4, v3
	v_bfe_i32 v1, v1, 0, 16
	s_delay_alu instid0(VALU_DEP_3) | instskip(NEXT) | instid1(VALU_DEP_3)
	v_add_f32_e32 v9, -0.5, v9
	v_or_b32_e32 v5, 0x70000000, v5
	s_delay_alu instid0(VALU_DEP_1) | instskip(NEXT) | instid1(VALU_DEP_1)
	v_mul_f32_e32 v5, 0x7800000, v5
	v_cndmask_b32_e32 v3, v5, v9, vcc_lo
	s_delay_alu instid0(VALU_DEP_1) | instskip(NEXT) | instid1(VALU_DEP_1)
	v_and_or_b32 v1, 0x80000000, v1, v3
	v_trunc_f32_e32 v1, v1
	s_delay_alu instid0(VALU_DEP_1) | instskip(NEXT) | instid1(VALU_DEP_1)
	v_mul_f32_e64 v3, 0x2f800000, |v1|
	v_floor_f32_e32 v3, v3
	s_delay_alu instid0(VALU_DEP_1) | instskip(SKIP_1) | instid1(VALU_DEP_2)
	v_fma_f32 v3, 0xcf800000, v3, |v1|
	v_ashrrev_i32_e32 v1, 31, v1
	v_cvt_u32_f32_e32 v3, v3
	s_delay_alu instid0(VALU_DEP_1) | instskip(SKIP_1) | instid1(VALU_DEP_1)
	v_xor_b32_e32 v3, v3, v1
	s_wait_xcnt 0x1
	v_sub_nc_u32_e32 v10, v3, v1
.LBB31_842:
	s_mov_b32 s53, 0
	s_mov_b32 s52, -1
.LBB31_843:
	s_and_not1_b32 vcc_lo, exec_lo, s53
	s_cbranch_vccnz .LBB31_856
; %bb.844:
	s_cmp_gt_i32 s37, 14
	s_cbranch_scc0 .LBB31_847
; %bb.845:
	s_cmp_eq_u32 s37, 15
	s_cbranch_scc0 .LBB31_850
; %bb.846:
	global_load_u16 v1, v[6:7], off
	s_mov_b32 s52, -1
	s_mov_b32 s36, 0
	s_wait_loadcnt 0x0
	v_lshlrev_b32_e32 v1, 16, v1
	s_delay_alu instid0(VALU_DEP_1) | instskip(NEXT) | instid1(VALU_DEP_1)
	v_trunc_f32_e32 v1, v1
	v_mul_f32_e64 v3, 0x2f800000, |v1|
	s_delay_alu instid0(VALU_DEP_1) | instskip(NEXT) | instid1(VALU_DEP_1)
	v_floor_f32_e32 v3, v3
	v_fma_f32 v3, 0xcf800000, v3, |v1|
	v_ashrrev_i32_e32 v1, 31, v1
	s_delay_alu instid0(VALU_DEP_2) | instskip(NEXT) | instid1(VALU_DEP_1)
	v_cvt_u32_f32_e32 v3, v3
	v_xor_b32_e32 v3, v3, v1
	s_wait_xcnt 0x1
	s_delay_alu instid0(VALU_DEP_1)
	v_sub_nc_u32_e32 v10, v3, v1
	s_branch .LBB31_851
.LBB31_847:
	s_mov_b32 s53, -1
                                        ; implicit-def: $vgpr10
	s_branch .LBB31_852
.LBB31_848:
	s_and_not1_saveexec_b32 s52, s52
	s_cbranch_execz .LBB31_829
.LBB31_849:
	v_cmp_ne_u16_e32 vcc_lo, 0, v1
	s_and_not1_b32 s53, s53, exec_lo
	s_and_b32 s54, vcc_lo, exec_lo
	s_delay_alu instid0(SALU_CYCLE_1)
	s_or_b32 s53, s53, s54
	s_or_b32 exec_lo, exec_lo, s52
	v_mov_b32_e32 v10, 0
	s_and_saveexec_b32 s52, s53
	s_cbranch_execnz .LBB31_830
	s_branch .LBB31_831
.LBB31_850:
	s_mov_b32 s36, -1
                                        ; implicit-def: $vgpr10
.LBB31_851:
	s_mov_b32 s53, 0
.LBB31_852:
	s_delay_alu instid0(SALU_CYCLE_1)
	s_and_b32 vcc_lo, exec_lo, s53
	s_cbranch_vccz .LBB31_856
; %bb.853:
	s_cmp_eq_u32 s37, 11
	s_cbranch_scc0 .LBB31_855
; %bb.854:
	global_load_u8 v1, v[6:7], off
	s_mov_b32 s36, 0
	s_mov_b32 s52, -1
	s_wait_loadcnt 0x0
	v_cmp_ne_u16_e32 vcc_lo, 0, v1
	s_wait_xcnt 0x1
	v_cndmask_b32_e64 v10, 0, 1, vcc_lo
	s_branch .LBB31_856
.LBB31_855:
	s_mov_b32 s36, -1
                                        ; implicit-def: $vgpr10
.LBB31_856:
	s_mov_b32 s37, 0
.LBB31_857:
	s_delay_alu instid0(SALU_CYCLE_1)
	s_and_b32 vcc_lo, exec_lo, s37
	s_cbranch_vccz .LBB31_906
; %bb.858:
	s_and_b32 s0, 0xffff, s0
	s_delay_alu instid0(SALU_CYCLE_1)
	s_cmp_lt_i32 s0, 5
	s_cbranch_scc1 .LBB31_863
; %bb.859:
	s_cmp_lt_i32 s0, 8
	s_cbranch_scc1 .LBB31_864
; %bb.860:
	;; [unrolled: 3-line block ×3, first 2 shown]
	s_cmp_gt_i32 s0, 9
	s_cbranch_scc0 .LBB31_866
; %bb.862:
	s_wait_loadcnt 0x0
	global_load_b64 v[10:11], v[6:7], off
	s_mov_b32 s37, 0
	s_wait_loadcnt 0x0
	v_trunc_f64_e32 v[10:11], v[10:11]
	s_delay_alu instid0(VALU_DEP_1) | instskip(NEXT) | instid1(VALU_DEP_1)
	v_ldexp_f64 v[12:13], v[10:11], 0xffffffe0
	v_floor_f64_e32 v[12:13], v[12:13]
	s_delay_alu instid0(VALU_DEP_1) | instskip(NEXT) | instid1(VALU_DEP_1)
	v_fmamk_f64 v[10:11], v[12:13], 0xc1f00000, v[10:11]
	v_cvt_u32_f64_e32 v10, v[10:11]
	s_branch .LBB31_867
.LBB31_863:
	s_mov_b32 s37, -1
                                        ; implicit-def: $vgpr10
	s_branch .LBB31_885
.LBB31_864:
	s_mov_b32 s37, -1
                                        ; implicit-def: $vgpr10
	s_branch .LBB31_873
.LBB31_865:
	s_mov_b32 s37, -1
                                        ; implicit-def: $vgpr10
	s_branch .LBB31_870
.LBB31_866:
	s_mov_b32 s37, -1
                                        ; implicit-def: $vgpr10
.LBB31_867:
	s_delay_alu instid0(SALU_CYCLE_1)
	s_and_not1_b32 vcc_lo, exec_lo, s37
	s_cbranch_vccnz .LBB31_869
; %bb.868:
	global_load_b32 v1, v[6:7], off
	s_wait_loadcnt 0x0
	v_trunc_f32_e32 v1, v1
	s_delay_alu instid0(VALU_DEP_1) | instskip(NEXT) | instid1(VALU_DEP_1)
	v_mul_f32_e64 v3, 0x2f800000, |v1|
	v_floor_f32_e32 v3, v3
	s_delay_alu instid0(VALU_DEP_1) | instskip(SKIP_1) | instid1(VALU_DEP_2)
	v_fma_f32 v3, 0xcf800000, v3, |v1|
	v_ashrrev_i32_e32 v1, 31, v1
	v_cvt_u32_f32_e32 v3, v3
	s_delay_alu instid0(VALU_DEP_1) | instskip(SKIP_1) | instid1(VALU_DEP_1)
	v_xor_b32_e32 v3, v3, v1
	s_wait_xcnt 0x1
	v_sub_nc_u32_e32 v10, v3, v1
.LBB31_869:
	s_mov_b32 s37, 0
.LBB31_870:
	s_delay_alu instid0(SALU_CYCLE_1)
	s_and_not1_b32 vcc_lo, exec_lo, s37
	s_cbranch_vccnz .LBB31_872
; %bb.871:
	global_load_b32 v1, v[6:7], off
	s_wait_loadcnt 0x0
	v_cvt_f32_f16_e32 v1, v1
	s_wait_xcnt 0x1
	s_delay_alu instid0(VALU_DEP_1)
	v_cvt_i32_f32_e32 v10, v1
.LBB31_872:
	s_mov_b32 s37, 0
.LBB31_873:
	s_delay_alu instid0(SALU_CYCLE_1)
	s_and_not1_b32 vcc_lo, exec_lo, s37
	s_cbranch_vccnz .LBB31_884
; %bb.874:
	s_cmp_lt_i32 s0, 6
	s_cbranch_scc1 .LBB31_877
; %bb.875:
	s_cmp_gt_i32 s0, 6
	s_cbranch_scc0 .LBB31_878
; %bb.876:
	s_wait_loadcnt 0x0
	global_load_b64 v[10:11], v[6:7], off
	s_mov_b32 s37, 0
	s_wait_loadcnt 0x0
	v_trunc_f64_e32 v[10:11], v[10:11]
	s_delay_alu instid0(VALU_DEP_1) | instskip(NEXT) | instid1(VALU_DEP_1)
	v_ldexp_f64 v[12:13], v[10:11], 0xffffffe0
	v_floor_f64_e32 v[12:13], v[12:13]
	s_delay_alu instid0(VALU_DEP_1) | instskip(NEXT) | instid1(VALU_DEP_1)
	v_fmamk_f64 v[10:11], v[12:13], 0xc1f00000, v[10:11]
	v_cvt_u32_f64_e32 v10, v[10:11]
	s_branch .LBB31_879
.LBB31_877:
	s_mov_b32 s37, -1
                                        ; implicit-def: $vgpr10
	s_branch .LBB31_882
.LBB31_878:
	s_mov_b32 s37, -1
                                        ; implicit-def: $vgpr10
.LBB31_879:
	s_delay_alu instid0(SALU_CYCLE_1)
	s_and_not1_b32 vcc_lo, exec_lo, s37
	s_cbranch_vccnz .LBB31_881
; %bb.880:
	global_load_b32 v1, v[6:7], off
	s_wait_loadcnt 0x0
	v_trunc_f32_e32 v1, v1
	s_delay_alu instid0(VALU_DEP_1) | instskip(NEXT) | instid1(VALU_DEP_1)
	v_mul_f32_e64 v3, 0x2f800000, |v1|
	v_floor_f32_e32 v3, v3
	s_delay_alu instid0(VALU_DEP_1) | instskip(SKIP_1) | instid1(VALU_DEP_2)
	v_fma_f32 v3, 0xcf800000, v3, |v1|
	v_ashrrev_i32_e32 v1, 31, v1
	v_cvt_u32_f32_e32 v3, v3
	s_delay_alu instid0(VALU_DEP_1) | instskip(SKIP_1) | instid1(VALU_DEP_1)
	v_xor_b32_e32 v3, v3, v1
	s_wait_xcnt 0x1
	v_sub_nc_u32_e32 v10, v3, v1
.LBB31_881:
	s_mov_b32 s37, 0
.LBB31_882:
	s_delay_alu instid0(SALU_CYCLE_1)
	s_and_not1_b32 vcc_lo, exec_lo, s37
	s_cbranch_vccnz .LBB31_884
; %bb.883:
	global_load_u16 v1, v[6:7], off
	s_wait_loadcnt 0x0
	v_cvt_f32_f16_e32 v1, v1
	s_wait_xcnt 0x1
	s_delay_alu instid0(VALU_DEP_1)
	v_cvt_i32_f32_e32 v10, v1
.LBB31_884:
	s_mov_b32 s37, 0
.LBB31_885:
	s_delay_alu instid0(SALU_CYCLE_1)
	s_and_not1_b32 vcc_lo, exec_lo, s37
	s_cbranch_vccnz .LBB31_905
; %bb.886:
	s_cmp_lt_i32 s0, 2
	s_cbranch_scc1 .LBB31_890
; %bb.887:
	s_cmp_lt_i32 s0, 3
	s_cbranch_scc1 .LBB31_891
; %bb.888:
	s_cmp_gt_i32 s0, 3
	s_cbranch_scc0 .LBB31_892
; %bb.889:
	s_wait_loadcnt 0x0
	global_load_b64 v[10:11], v[6:7], off
	s_mov_b32 s37, 0
	s_branch .LBB31_893
.LBB31_890:
	s_mov_b32 s37, -1
                                        ; implicit-def: $vgpr10
	s_branch .LBB31_899
.LBB31_891:
	s_mov_b32 s37, -1
                                        ; implicit-def: $vgpr10
	s_branch .LBB31_896
.LBB31_892:
	s_mov_b32 s37, -1
                                        ; implicit-def: $vgpr10
.LBB31_893:
	s_delay_alu instid0(SALU_CYCLE_1)
	s_and_not1_b32 vcc_lo, exec_lo, s37
	s_cbranch_vccnz .LBB31_895
; %bb.894:
	s_wait_loadcnt 0x0
	global_load_b32 v10, v[6:7], off
.LBB31_895:
	s_mov_b32 s37, 0
.LBB31_896:
	s_delay_alu instid0(SALU_CYCLE_1)
	s_and_not1_b32 vcc_lo, exec_lo, s37
	s_cbranch_vccnz .LBB31_898
; %bb.897:
	s_wait_loadcnt 0x0
	global_load_u16 v10, v[6:7], off
.LBB31_898:
	s_mov_b32 s37, 0
.LBB31_899:
	s_delay_alu instid0(SALU_CYCLE_1)
	s_and_not1_b32 vcc_lo, exec_lo, s37
	s_cbranch_vccnz .LBB31_905
; %bb.900:
	s_cmp_gt_i32 s0, 0
	s_mov_b32 s0, 0
	s_cbranch_scc0 .LBB31_902
; %bb.901:
	s_wait_loadcnt 0x0
	global_load_u8 v10, v[6:7], off
	s_branch .LBB31_903
.LBB31_902:
	s_mov_b32 s0, -1
                                        ; implicit-def: $vgpr10
.LBB31_903:
	s_delay_alu instid0(SALU_CYCLE_1)
	s_and_not1_b32 vcc_lo, exec_lo, s0
	s_cbranch_vccnz .LBB31_905
; %bb.904:
	s_wait_loadcnt 0x0
	global_load_u8 v10, v[6:7], off
.LBB31_905:
	s_mov_b32 s52, -1
.LBB31_906:
	s_delay_alu instid0(SALU_CYCLE_1)
	s_and_not1_b32 vcc_lo, exec_lo, s52
	s_cbranch_vccnz .LBB31_914
; %bb.907:
	v_mov_b32_e32 v3, 0
	s_wait_loadcnt 0x0
	v_mul_lo_u16 v1, v4, s24
	v_mul_lo_u16 v4, v8, s42
	s_and_b32 s37, s21, 0xff
	s_delay_alu instid0(SALU_CYCLE_1) | instskip(SKIP_1) | instid1(VALU_DEP_2)
	s_cmp_lt_i32 s37, 11
	v_add_nc_u64_e32 v[2:3], s[4:5], v[2:3]
	v_mad_u16 v1, v4, v10, v1
	s_cbranch_scc1 .LBB31_915
; %bb.908:
	s_and_b32 s52, 0xffff, s37
	s_delay_alu instid0(SALU_CYCLE_1)
	s_cmp_gt_i32 s52, 25
	s_cbranch_scc0 .LBB31_916
; %bb.909:
	s_cmp_gt_i32 s52, 28
	s_cbranch_scc0 .LBB31_917
; %bb.910:
	;; [unrolled: 3-line block ×4, first 2 shown]
	s_mov_b32 s54, 0
	s_mov_b32 s0, -1
	s_cmp_eq_u32 s52, 46
	s_mov_b32 s53, 0
	s_cbranch_scc0 .LBB31_920
; %bb.913:
	v_cvt_f32_ubyte0_e32 v4, v1
	s_mov_b32 s53, -1
	s_mov_b32 s0, 0
	s_delay_alu instid0(VALU_DEP_1) | instskip(NEXT) | instid1(VALU_DEP_1)
	v_bfe_u32 v5, v4, 16, 1
	v_add3_u32 v4, v4, v5, 0x7fff
	s_delay_alu instid0(VALU_DEP_1)
	v_lshrrev_b32_e32 v4, 16, v4
	global_store_b32 v[2:3], v4, off
	s_branch .LBB31_920
.LBB31_914:
	s_mov_b32 s37, 0
	s_mov_b32 s0, s45
	s_branch .LBB31_1031
.LBB31_915:
	s_mov_b32 s52, -1
	s_mov_b32 s53, 0
	s_mov_b32 s0, s45
	s_branch .LBB31_989
.LBB31_916:
	s_mov_b32 s54, -1
	s_mov_b32 s53, 0
	s_mov_b32 s0, s45
	s_branch .LBB31_947
.LBB31_917:
	s_mov_b32 s54, -1
	s_mov_b32 s53, 0
	s_mov_b32 s0, s45
	s_branch .LBB31_930
.LBB31_918:
	s_mov_b32 s54, -1
	s_mov_b32 s53, 0
	s_mov_b32 s0, s45
	s_branch .LBB31_926
.LBB31_919:
	s_mov_b32 s54, -1
	s_mov_b32 s53, 0
	s_mov_b32 s0, s45
.LBB31_920:
	s_and_b32 vcc_lo, exec_lo, s54
	s_cbranch_vccz .LBB31_925
; %bb.921:
	s_cmp_eq_u32 s52, 44
	s_mov_b32 s0, -1
	s_cbranch_scc0 .LBB31_925
; %bb.922:
	s_wait_xcnt 0x0
	v_cvt_f32_ubyte0_e32 v6, v1
	s_mov_b32 s53, exec_lo
	s_delay_alu instid0(VALU_DEP_1) | instskip(NEXT) | instid1(VALU_DEP_1)
	v_dual_mov_b32 v5, 0xff :: v_dual_lshrrev_b32 v4, 23, v6
	v_cmpx_ne_u32_e32 0xff, v4
; %bb.923:
	v_and_b32_e32 v5, 0x400000, v6
	v_and_or_b32 v6, 0x3fffff, v6, v4
	s_delay_alu instid0(VALU_DEP_2) | instskip(NEXT) | instid1(VALU_DEP_2)
	v_cmp_ne_u32_e32 vcc_lo, 0, v5
	v_cmp_ne_u32_e64 s0, 0, v6
	s_and_b32 s0, vcc_lo, s0
	s_delay_alu instid0(SALU_CYCLE_1) | instskip(NEXT) | instid1(VALU_DEP_1)
	v_cndmask_b32_e64 v5, 0, 1, s0
	v_add_nc_u32_e32 v5, v4, v5
; %bb.924:
	s_or_b32 exec_lo, exec_lo, s53
	s_mov_b32 s53, -1
	s_mov_b32 s0, 0
	global_store_b8 v[2:3], v5, off
.LBB31_925:
	s_mov_b32 s54, 0
.LBB31_926:
	s_delay_alu instid0(SALU_CYCLE_1)
	s_and_b32 vcc_lo, exec_lo, s54
	s_cbranch_vccz .LBB31_929
; %bb.927:
	s_cmp_eq_u32 s52, 29
	s_mov_b32 s0, -1
	s_cbranch_scc0 .LBB31_929
; %bb.928:
	s_wait_xcnt 0x0
	v_and_b32_e32 v4, 0xff, v1
	v_mov_b32_e32 v5, 0
	s_mov_b32 s53, -1
	s_mov_b32 s0, 0
	s_mov_b32 s54, 0
	global_store_b64 v[2:3], v[4:5], off
	s_branch .LBB31_930
.LBB31_929:
	s_mov_b32 s54, 0
.LBB31_930:
	s_delay_alu instid0(SALU_CYCLE_1)
	s_and_b32 vcc_lo, exec_lo, s54
	s_cbranch_vccz .LBB31_946
; %bb.931:
	s_cmp_lt_i32 s52, 27
	s_mov_b32 s53, -1
	s_cbranch_scc1 .LBB31_937
; %bb.932:
	s_cmp_gt_i32 s52, 27
	s_cbranch_scc0 .LBB31_934
; %bb.933:
	s_wait_xcnt 0x0
	v_and_b32_e32 v4, 0xff, v1
	s_mov_b32 s53, 0
	global_store_b32 v[2:3], v4, off
.LBB31_934:
	s_and_not1_b32 vcc_lo, exec_lo, s53
	s_cbranch_vccnz .LBB31_936
; %bb.935:
	s_wait_xcnt 0x0
	v_and_b32_e32 v4, 0xff, v1
	global_store_b16 v[2:3], v4, off
.LBB31_936:
	s_mov_b32 s53, 0
.LBB31_937:
	s_delay_alu instid0(SALU_CYCLE_1)
	s_and_not1_b32 vcc_lo, exec_lo, s53
	s_cbranch_vccnz .LBB31_945
; %bb.938:
	s_wait_xcnt 0x0
	v_cvt_f32_ubyte0_e32 v5, v1
	v_mov_b32_e32 v6, 0x80
	s_mov_b32 s53, exec_lo
	s_delay_alu instid0(VALU_DEP_2)
	v_cmpx_gt_u32_e32 0x43800000, v5
	s_cbranch_execz .LBB31_944
; %bb.939:
	s_mov_b32 s54, 0
	s_mov_b32 s55, exec_lo
                                        ; implicit-def: $vgpr4
	v_cmpx_lt_u32_e32 0x3bffffff, v5
	s_xor_b32 s55, exec_lo, s55
	s_cbranch_execz .LBB31_1185
; %bb.940:
	v_bfe_u32 v4, v5, 20, 1
	s_mov_b32 s54, exec_lo
	s_delay_alu instid0(VALU_DEP_1) | instskip(NEXT) | instid1(VALU_DEP_1)
	v_add3_u32 v4, v5, v4, 0x487ffff
                                        ; implicit-def: $vgpr5
	v_lshrrev_b32_e32 v4, 20, v4
	s_and_not1_saveexec_b32 s55, s55
	s_cbranch_execnz .LBB31_1186
.LBB31_941:
	s_or_b32 exec_lo, exec_lo, s55
	v_mov_b32_e32 v6, 0
	s_and_saveexec_b32 s55, s54
.LBB31_942:
	v_mov_b32_e32 v6, v4
.LBB31_943:
	s_or_b32 exec_lo, exec_lo, s55
.LBB31_944:
	s_delay_alu instid0(SALU_CYCLE_1)
	s_or_b32 exec_lo, exec_lo, s53
	global_store_b8 v[2:3], v6, off
.LBB31_945:
	s_mov_b32 s53, -1
.LBB31_946:
	s_mov_b32 s54, 0
.LBB31_947:
	s_delay_alu instid0(SALU_CYCLE_1)
	s_and_b32 vcc_lo, exec_lo, s54
	s_cbranch_vccz .LBB31_988
; %bb.948:
	s_cmp_gt_i32 s52, 22
	s_mov_b32 s54, -1
	s_cbranch_scc0 .LBB31_980
; %bb.949:
	s_cmp_lt_i32 s52, 24
	s_mov_b32 s53, -1
	s_cbranch_scc1 .LBB31_969
; %bb.950:
	s_cmp_gt_i32 s52, 24
	s_cbranch_scc0 .LBB31_958
; %bb.951:
	s_wait_xcnt 0x0
	v_cvt_f32_ubyte0_e32 v5, v1
	v_mov_b32_e32 v6, 0x80
	s_mov_b32 s53, exec_lo
	s_delay_alu instid0(VALU_DEP_2)
	v_cmpx_gt_u32_e32 0x47800000, v5
	s_cbranch_execz .LBB31_957
; %bb.952:
	s_mov_b32 s54, 0
	s_mov_b32 s55, exec_lo
                                        ; implicit-def: $vgpr4
	v_cmpx_lt_u32_e32 0x37ffffff, v5
	s_xor_b32 s55, exec_lo, s55
	s_cbranch_execz .LBB31_1313
; %bb.953:
	v_bfe_u32 v4, v5, 21, 1
	s_mov_b32 s54, exec_lo
	s_delay_alu instid0(VALU_DEP_1) | instskip(NEXT) | instid1(VALU_DEP_1)
	v_add3_u32 v4, v5, v4, 0x88fffff
                                        ; implicit-def: $vgpr5
	v_lshrrev_b32_e32 v4, 21, v4
	s_and_not1_saveexec_b32 s55, s55
	s_cbranch_execnz .LBB31_1314
.LBB31_954:
	s_or_b32 exec_lo, exec_lo, s55
	v_mov_b32_e32 v6, 0
	s_and_saveexec_b32 s55, s54
.LBB31_955:
	v_mov_b32_e32 v6, v4
.LBB31_956:
	s_or_b32 exec_lo, exec_lo, s55
.LBB31_957:
	s_delay_alu instid0(SALU_CYCLE_1)
	s_or_b32 exec_lo, exec_lo, s53
	s_mov_b32 s53, 0
	global_store_b8 v[2:3], v6, off
.LBB31_958:
	s_and_b32 vcc_lo, exec_lo, s53
	s_cbranch_vccz .LBB31_968
; %bb.959:
	s_wait_xcnt 0x0
	v_cvt_f32_ubyte0_e32 v5, v1
	s_mov_b32 s53, exec_lo
                                        ; implicit-def: $vgpr4
	s_delay_alu instid0(VALU_DEP_1)
	v_cmpx_gt_u32_e32 0x43f00000, v5
	s_xor_b32 s53, exec_lo, s53
	s_cbranch_execz .LBB31_965
; %bb.960:
	s_mov_b32 s54, exec_lo
                                        ; implicit-def: $vgpr4
	v_cmpx_lt_u32_e32 0x3c7fffff, v5
	s_xor_b32 s54, exec_lo, s54
; %bb.961:
	v_bfe_u32 v4, v5, 20, 1
	s_delay_alu instid0(VALU_DEP_1) | instskip(NEXT) | instid1(VALU_DEP_1)
	v_add3_u32 v4, v5, v4, 0x407ffff
	v_and_b32_e32 v5, 0xff00000, v4
	v_lshrrev_b32_e32 v4, 20, v4
	s_delay_alu instid0(VALU_DEP_2) | instskip(NEXT) | instid1(VALU_DEP_2)
	v_cmp_ne_u32_e32 vcc_lo, 0x7f00000, v5
                                        ; implicit-def: $vgpr5
	v_cndmask_b32_e32 v4, 0x7e, v4, vcc_lo
; %bb.962:
	s_and_not1_saveexec_b32 s54, s54
; %bb.963:
	v_add_f32_e32 v4, 0x46800000, v5
; %bb.964:
	s_or_b32 exec_lo, exec_lo, s54
                                        ; implicit-def: $vgpr5
.LBB31_965:
	s_and_not1_saveexec_b32 s53, s53
; %bb.966:
	v_mov_b32_e32 v4, 0x7f
	v_cmp_lt_u32_e32 vcc_lo, 0x7f800000, v5
	s_delay_alu instid0(VALU_DEP_2)
	v_cndmask_b32_e32 v4, 0x7e, v4, vcc_lo
; %bb.967:
	s_or_b32 exec_lo, exec_lo, s53
	global_store_b8 v[2:3], v4, off
.LBB31_968:
	s_mov_b32 s53, 0
.LBB31_969:
	s_delay_alu instid0(SALU_CYCLE_1)
	s_and_not1_b32 vcc_lo, exec_lo, s53
	s_cbranch_vccnz .LBB31_979
; %bb.970:
	s_wait_xcnt 0x0
	v_cvt_f32_ubyte0_e32 v5, v1
	s_mov_b32 s53, exec_lo
                                        ; implicit-def: $vgpr4
	s_delay_alu instid0(VALU_DEP_1)
	v_cmpx_gt_u32_e32 0x47800000, v5
	s_xor_b32 s53, exec_lo, s53
	s_cbranch_execz .LBB31_976
; %bb.971:
	s_mov_b32 s54, exec_lo
                                        ; implicit-def: $vgpr4
	v_cmpx_lt_u32_e32 0x387fffff, v5
	s_xor_b32 s54, exec_lo, s54
; %bb.972:
	v_bfe_u32 v4, v5, 21, 1
	s_delay_alu instid0(VALU_DEP_1) | instskip(NEXT) | instid1(VALU_DEP_1)
	v_add3_u32 v4, v5, v4, 0x80fffff
                                        ; implicit-def: $vgpr5
	v_lshrrev_b32_e32 v4, 21, v4
; %bb.973:
	s_and_not1_saveexec_b32 s54, s54
; %bb.974:
	v_add_f32_e32 v4, 0x43000000, v5
; %bb.975:
	s_or_b32 exec_lo, exec_lo, s54
                                        ; implicit-def: $vgpr5
.LBB31_976:
	s_and_not1_saveexec_b32 s53, s53
; %bb.977:
	v_mov_b32_e32 v4, 0x7f
	v_cmp_lt_u32_e32 vcc_lo, 0x7f800000, v5
	s_delay_alu instid0(VALU_DEP_2)
	v_cndmask_b32_e32 v4, 0x7c, v4, vcc_lo
; %bb.978:
	s_or_b32 exec_lo, exec_lo, s53
	global_store_b8 v[2:3], v4, off
.LBB31_979:
	s_mov_b32 s54, 0
	s_mov_b32 s53, -1
.LBB31_980:
	s_and_not1_b32 vcc_lo, exec_lo, s54
	s_cbranch_vccnz .LBB31_988
; %bb.981:
	s_cmp_gt_i32 s52, 14
	s_mov_b32 s54, -1
	s_cbranch_scc0 .LBB31_985
; %bb.982:
	s_cmp_eq_u32 s52, 15
	s_mov_b32 s0, -1
	s_cbranch_scc0 .LBB31_984
; %bb.983:
	s_wait_xcnt 0x0
	v_cvt_f32_ubyte0_e32 v4, v1
	s_mov_b32 s53, -1
	s_mov_b32 s0, 0
	s_delay_alu instid0(VALU_DEP_1) | instskip(NEXT) | instid1(VALU_DEP_1)
	v_bfe_u32 v5, v4, 16, 1
	v_add3_u32 v4, v4, v5, 0x7fff
	global_store_d16_hi_b16 v[2:3], v4, off
.LBB31_984:
	s_mov_b32 s54, 0
.LBB31_985:
	s_delay_alu instid0(SALU_CYCLE_1)
	s_and_b32 vcc_lo, exec_lo, s54
	s_cbranch_vccz .LBB31_988
; %bb.986:
	s_cmp_eq_u32 s52, 11
	s_mov_b32 s0, -1
	s_cbranch_scc0 .LBB31_988
; %bb.987:
	s_wait_xcnt 0x0
	v_and_b32_e32 v4, 0xff, v1
	s_mov_b32 s0, 0
	s_mov_b32 s53, -1
	s_delay_alu instid0(VALU_DEP_1)
	v_cmp_ne_u16_e32 vcc_lo, 0, v4
	v_cndmask_b32_e64 v4, 0, 1, vcc_lo
	global_store_b8 v[2:3], v4, off
.LBB31_988:
	s_mov_b32 s52, 0
.LBB31_989:
	s_delay_alu instid0(SALU_CYCLE_1)
	s_and_b32 vcc_lo, exec_lo, s52
	s_cbranch_vccz .LBB31_1028
; %bb.990:
	s_and_b32 s37, 0xffff, s37
	s_mov_b32 s52, -1
	s_cmp_lt_i32 s37, 5
	s_cbranch_scc1 .LBB31_1011
; %bb.991:
	s_cmp_lt_i32 s37, 8
	s_cbranch_scc1 .LBB31_1001
; %bb.992:
	;; [unrolled: 3-line block ×3, first 2 shown]
	s_cmp_gt_i32 s37, 9
	s_cbranch_scc0 .LBB31_995
; %bb.994:
	s_wait_xcnt 0x0
	v_and_b32_e32 v4, 0xff, v1
	v_mov_b32_e32 v6, 0
	s_mov_b32 s52, 0
	s_delay_alu instid0(VALU_DEP_2) | instskip(NEXT) | instid1(VALU_DEP_2)
	v_and_b32_e32 v4, 0xffff, v4
	v_mov_b32_e32 v7, v6
	s_delay_alu instid0(VALU_DEP_2)
	v_cvt_f64_u32_e32 v[4:5], v4
	global_store_b128 v[2:3], v[4:7], off
.LBB31_995:
	s_and_not1_b32 vcc_lo, exec_lo, s52
	s_cbranch_vccnz .LBB31_997
; %bb.996:
	s_wait_xcnt 0x0
	v_cvt_f32_ubyte0_e32 v4, v1
	v_mov_b32_e32 v5, 0
	global_store_b64 v[2:3], v[4:5], off
.LBB31_997:
	s_mov_b32 s52, 0
.LBB31_998:
	s_delay_alu instid0(SALU_CYCLE_1)
	s_and_not1_b32 vcc_lo, exec_lo, s52
	s_cbranch_vccnz .LBB31_1000
; %bb.999:
	s_wait_xcnt 0x0
	v_and_b32_e32 v4, 0xff, v1
	s_delay_alu instid0(VALU_DEP_1) | instskip(NEXT) | instid1(VALU_DEP_1)
	v_cvt_f16_u16_e32 v4, v4
	v_and_b32_e32 v4, 0xffff, v4
	global_store_b32 v[2:3], v4, off
.LBB31_1000:
	s_mov_b32 s52, 0
.LBB31_1001:
	s_delay_alu instid0(SALU_CYCLE_1)
	s_and_not1_b32 vcc_lo, exec_lo, s52
	s_cbranch_vccnz .LBB31_1010
; %bb.1002:
	s_cmp_lt_i32 s37, 6
	s_mov_b32 s52, -1
	s_cbranch_scc1 .LBB31_1008
; %bb.1003:
	s_cmp_gt_i32 s37, 6
	s_cbranch_scc0 .LBB31_1005
; %bb.1004:
	s_wait_xcnt 0x0
	v_and_b32_e32 v4, 0xff, v1
	s_mov_b32 s52, 0
	s_delay_alu instid0(VALU_DEP_1) | instskip(NEXT) | instid1(VALU_DEP_1)
	v_and_b32_e32 v4, 0xffff, v4
	v_cvt_f64_u32_e32 v[4:5], v4
	global_store_b64 v[2:3], v[4:5], off
.LBB31_1005:
	s_and_not1_b32 vcc_lo, exec_lo, s52
	s_cbranch_vccnz .LBB31_1007
; %bb.1006:
	s_wait_xcnt 0x0
	v_cvt_f32_ubyte0_e32 v4, v1
	global_store_b32 v[2:3], v4, off
.LBB31_1007:
	s_mov_b32 s52, 0
.LBB31_1008:
	s_delay_alu instid0(SALU_CYCLE_1)
	s_and_not1_b32 vcc_lo, exec_lo, s52
	s_cbranch_vccnz .LBB31_1010
; %bb.1009:
	s_wait_xcnt 0x0
	v_and_b32_e32 v4, 0xff, v1
	s_delay_alu instid0(VALU_DEP_1)
	v_cvt_f16_u16_e32 v4, v4
	global_store_b16 v[2:3], v4, off
.LBB31_1010:
	s_mov_b32 s52, 0
.LBB31_1011:
	s_delay_alu instid0(SALU_CYCLE_1)
	s_and_not1_b32 vcc_lo, exec_lo, s52
	s_cbranch_vccnz .LBB31_1027
; %bb.1012:
	s_cmp_lt_i32 s37, 2
	s_mov_b32 s52, -1
	s_cbranch_scc1 .LBB31_1022
; %bb.1013:
	s_cmp_lt_i32 s37, 3
	s_cbranch_scc1 .LBB31_1019
; %bb.1014:
	s_cmp_gt_i32 s37, 3
	s_cbranch_scc0 .LBB31_1016
; %bb.1015:
	s_wait_xcnt 0x0
	v_and_b32_e32 v4, 0xff, v1
	v_mov_b32_e32 v5, 0
	s_mov_b32 s52, 0
	global_store_b64 v[2:3], v[4:5], off
.LBB31_1016:
	s_and_not1_b32 vcc_lo, exec_lo, s52
	s_cbranch_vccnz .LBB31_1018
; %bb.1017:
	s_wait_xcnt 0x0
	v_and_b32_e32 v4, 0xff, v1
	global_store_b32 v[2:3], v4, off
.LBB31_1018:
	s_mov_b32 s52, 0
.LBB31_1019:
	s_delay_alu instid0(SALU_CYCLE_1)
	s_and_not1_b32 vcc_lo, exec_lo, s52
	s_cbranch_vccnz .LBB31_1021
; %bb.1020:
	s_wait_xcnt 0x0
	v_and_b32_e32 v4, 0xff, v1
	global_store_b16 v[2:3], v4, off
.LBB31_1021:
	s_mov_b32 s52, 0
.LBB31_1022:
	s_delay_alu instid0(SALU_CYCLE_1)
	s_and_not1_b32 vcc_lo, exec_lo, s52
	s_cbranch_vccnz .LBB31_1027
; %bb.1023:
	s_cmp_gt_i32 s37, 0
	s_mov_b32 s37, -1
	s_cbranch_scc0 .LBB31_1025
; %bb.1024:
	s_mov_b32 s37, 0
	global_store_b8 v[2:3], v1, off
.LBB31_1025:
	s_and_not1_b32 vcc_lo, exec_lo, s37
	s_cbranch_vccnz .LBB31_1027
; %bb.1026:
	global_store_b8 v[2:3], v1, off
.LBB31_1027:
	s_mov_b32 s53, -1
.LBB31_1028:
	s_delay_alu instid0(SALU_CYCLE_1)
	s_and_not1_b32 vcc_lo, exec_lo, s53
	s_cbranch_vccnz .LBB31_1030
; %bb.1029:
	v_add_nc_u32_e32 v0, 0x80, v0
	s_mov_b32 s37, -1
	s_branch .LBB31_1032
.LBB31_1030:
	s_mov_b32 s37, 0
.LBB31_1031:
                                        ; implicit-def: $vgpr0
.LBB31_1032:
	s_and_not1_b32 s52, s45, exec_lo
	s_and_b32 s0, s0, exec_lo
	s_and_not1_b32 s54, s48, exec_lo
	s_and_b32 s36, s36, exec_lo
	s_or_b32 s53, s52, s0
	s_or_b32 s54, s54, s36
	s_and_not1_b32 s0, s49, exec_lo
	s_and_b32 s35, s35, exec_lo
	s_and_not1_b32 s36, s50, exec_lo
	s_and_b32 s34, s34, exec_lo
	s_or_b32 s55, s0, s35
	s_or_b32 s52, s36, s34
	s_or_not1_b32 s37, s37, exec_lo
.LBB31_1033:
	s_wait_xcnt 0x0
	s_or_b32 exec_lo, exec_lo, s56
	s_mov_b32 s35, 0
	s_mov_b32 s36, 0
	;; [unrolled: 1-line block ×3, first 2 shown]
                                        ; implicit-def: $sgpr0
                                        ; implicit-def: $vgpr10_vgpr11
                                        ; implicit-def: $vgpr2
                                        ; implicit-def: $vgpr6
                                        ; implicit-def: $vgpr8
                                        ; implicit-def: $vgpr4
	s_and_saveexec_b32 s56, s37
	s_cbranch_execz .LBB31_1644
; %bb.1034:
	s_mov_b32 s37, -1
	s_mov_b32 s58, s52
	s_mov_b32 s60, s55
	;; [unrolled: 1-line block ×4, first 2 shown]
	s_mov_b32 s57, exec_lo
	v_cmpx_gt_i32_e64 s46, v0
	s_cbranch_execz .LBB31_1554
; %bb.1035:
	s_and_not1_b32 vcc_lo, exec_lo, s40
	s_cbranch_vccnz .LBB31_1041
; %bb.1036:
	s_and_not1_b32 vcc_lo, exec_lo, s47
	s_cbranch_vccnz .LBB31_1042
; %bb.1037:
	s_wait_loadcnt 0x0
	v_dual_mov_b32 v8, 0 :: v_dual_mov_b32 v1, v0
	v_dual_mov_b32 v6, 0 :: v_dual_mov_b32 v2, 0
	v_mov_b32_e32 v4, 0
	s_add_co_i32 s0, s44, 1
	s_mov_b64 s[34:35], 0xffffffffffffffe0
	s_and_b32 s0, s0, 30
	s_add_nc_u64 s[34:35], s[2:3], s[34:35]
	s_mov_b64 s[36:37], s[2:3]
.LBB31_1038:                            ; =>This Inner Loop Header: Depth=1
	s_clause 0x1
	s_load_b128 s[68:71], s[36:37], 0x4
	s_load_b64 s[58:59], s[36:37], 0x14
	s_load_b256 s[60:67], s[34:35], 0xe4
	s_add_co_i32 s0, s0, -2
	s_wait_xcnt 0x0
	s_add_nc_u64 s[36:37], s[36:37], 24
	s_cmp_eq_u32 s0, 0
	s_add_nc_u64 s[34:35], s[34:35], 32
	s_wait_kmcnt 0x0
	v_mul_hi_u32 v3, s69, v1
	s_delay_alu instid0(VALU_DEP_1) | instskip(NEXT) | instid1(VALU_DEP_1)
	v_add_nc_u32_e32 v3, v1, v3
	v_lshrrev_b32_e32 v3, s70, v3
	s_delay_alu instid0(VALU_DEP_1) | instskip(SKIP_1) | instid1(VALU_DEP_1)
	v_mul_hi_u32 v5, s58, v3
	v_mul_lo_u32 v7, v3, s68
	v_dual_add_nc_u32 v5, v3, v5 :: v_dual_sub_nc_u32 v7, v1, v7
	s_delay_alu instid0(VALU_DEP_1) | instskip(NEXT) | instid1(VALU_DEP_2)
	v_lshrrev_b32_e32 v1, s59, v5
	v_mad_u32 v4, v7, s61, v4
	v_mad_u32 v2, v7, s60, v2
	;; [unrolled: 1-line block ×4, first 2 shown]
	v_mul_lo_u32 v5, v1, s71
	s_delay_alu instid0(VALU_DEP_1) | instskip(NEXT) | instid1(VALU_DEP_1)
	v_sub_nc_u32_e32 v3, v3, v5
	v_mad_u32 v4, v3, s65, v4
	v_mad_u32 v2, v3, s64, v2
	;; [unrolled: 1-line block ×4, first 2 shown]
	s_cbranch_scc0 .LBB31_1038
; %bb.1039:
	s_bitcmp1_b32 s44, 0
	s_cselect_b32 s0, -1, 0
	s_delay_alu instid0(SALU_CYCLE_1)
	s_and_b32 vcc_lo, exec_lo, s0
	s_cbranch_vccnz .LBB31_1043
; %bb.1040:
	s_load_b96 s[64:66], s[36:37], 0x4
	s_load_b128 s[60:63], s[34:35], 0xe4
	s_wait_kmcnt 0x0
	v_mul_hi_u32 v3, s65, v1
	s_delay_alu instid0(VALU_DEP_1) | instskip(NEXT) | instid1(VALU_DEP_1)
	v_add_nc_u32_e32 v3, v1, v3
	v_lshrrev_b32_e32 v3, s66, v3
	s_delay_alu instid0(VALU_DEP_1) | instskip(NEXT) | instid1(VALU_DEP_1)
	v_mul_lo_u32 v3, v3, s64
	v_sub_nc_u32_e32 v1, v1, v3
	s_delay_alu instid0(VALU_DEP_1)
	v_mad_u32 v2, v1, s60, v2
	v_mad_u32 v4, v1, s61, v4
	;; [unrolled: 1-line block ×4, first 2 shown]
	s_branch .LBB31_1043
.LBB31_1041:
	s_mov_b32 s0, -1
                                        ; implicit-def: $vgpr4
                                        ; implicit-def: $vgpr2
                                        ; implicit-def: $vgpr6
                                        ; implicit-def: $vgpr8
	s_branch .LBB31_1044
.LBB31_1042:
	s_wait_loadcnt 0x0
	v_dual_mov_b32 v4, 0 :: v_dual_mov_b32 v2, 0
	v_dual_mov_b32 v6, 0 :: v_dual_mov_b32 v8, 0
.LBB31_1043:
	s_mov_b32 s0, 0
.LBB31_1044:
	s_delay_alu instid0(SALU_CYCLE_1)
	s_and_not1_b32 vcc_lo, exec_lo, s0
	s_cbranch_vccnz .LBB31_1047
; %bb.1045:
	v_mov_b32_e32 v1, 0
	s_and_not1_b32 vcc_lo, exec_lo, s43
	s_delay_alu instid0(VALU_DEP_1) | instskip(NEXT) | instid1(VALU_DEP_1)
	v_mul_u64_e32 v[2:3], s[26:27], v[0:1]
	v_add_nc_u32_e32 v2, v0, v3
	s_wait_loadcnt 0x0
	s_delay_alu instid0(VALU_DEP_1) | instskip(NEXT) | instid1(VALU_DEP_1)
	v_lshrrev_b32_e32 v10, s22, v2
	v_mul_lo_u32 v2, v10, s20
	s_delay_alu instid0(VALU_DEP_1) | instskip(NEXT) | instid1(VALU_DEP_1)
	v_sub_nc_u32_e32 v3, v0, v2
	v_mul_lo_u32 v4, v3, s13
	v_mul_lo_u32 v2, v3, s12
	;; [unrolled: 1-line block ×4, first 2 shown]
	s_cbranch_vccnz .LBB31_1047
; %bb.1046:
	v_mov_b32_e32 v11, v1
	s_delay_alu instid0(VALU_DEP_1) | instskip(NEXT) | instid1(VALU_DEP_1)
	v_mul_u64_e32 v[12:13], s[30:31], v[10:11]
	v_add_nc_u32_e32 v1, v10, v13
	s_delay_alu instid0(VALU_DEP_1) | instskip(NEXT) | instid1(VALU_DEP_1)
	v_lshrrev_b32_e32 v1, s1, v1
	v_mul_lo_u32 v1, v1, s23
	s_delay_alu instid0(VALU_DEP_1) | instskip(NEXT) | instid1(VALU_DEP_1)
	v_sub_nc_u32_e32 v1, v10, v1
	v_mad_u32 v2, v1, s16, v2
	v_mad_u32 v4, v1, s17, v4
	;; [unrolled: 1-line block ×4, first 2 shown]
.LBB31_1047:
	s_wait_loadcnt 0x0
	v_mov_b32_e32 v5, 0
	s_and_b32 s0, s28, 0xff
	s_delay_alu instid0(SALU_CYCLE_1) | instskip(NEXT) | instid1(VALU_DEP_1)
	s_cmp_lt_i32 s0, 11
	v_add_nc_u64_e32 v[10:11], s[6:7], v[4:5]
	s_cbranch_scc1 .LBB31_1054
; %bb.1048:
	s_and_b32 s35, 0xffff, s0
	s_delay_alu instid0(SALU_CYCLE_1)
	s_cmp_gt_i32 s35, 25
	s_cbranch_scc0 .LBB31_1055
; %bb.1049:
	s_cmp_gt_i32 s35, 28
	s_cbranch_scc0 .LBB31_1056
; %bb.1050:
	;; [unrolled: 3-line block ×4, first 2 shown]
	s_cmp_eq_u32 s35, 46
	s_mov_b32 s37, 0
	s_cbranch_scc0 .LBB31_1059
; %bb.1053:
	global_load_b32 v1, v[10:11], off
	s_mov_b32 s36, -1
	s_mov_b32 s34, 0
	s_wait_loadcnt 0x0
	v_lshlrev_b32_e32 v1, 16, v1
	s_delay_alu instid0(VALU_DEP_1) | instskip(NEXT) | instid1(VALU_DEP_1)
	v_trunc_f32_e32 v1, v1
	v_mul_f32_e64 v3, 0x2f800000, |v1|
	s_delay_alu instid0(VALU_DEP_1) | instskip(NEXT) | instid1(VALU_DEP_1)
	v_floor_f32_e32 v3, v3
	v_fma_f32 v3, 0xcf800000, v3, |v1|
	v_ashrrev_i32_e32 v1, 31, v1
	s_delay_alu instid0(VALU_DEP_2) | instskip(NEXT) | instid1(VALU_DEP_1)
	v_cvt_u32_f32_e32 v3, v3
	v_xor_b32_e32 v3, v3, v1
	s_delay_alu instid0(VALU_DEP_1)
	v_sub_nc_u32_e32 v4, v3, v1
	s_branch .LBB31_1061
.LBB31_1054:
	s_mov_b32 s35, -1
	s_mov_b32 s36, 0
	s_mov_b32 s34, s52
                                        ; implicit-def: $vgpr4
	s_branch .LBB31_1122
.LBB31_1055:
	s_mov_b32 s37, -1
	s_mov_b32 s36, 0
	s_mov_b32 s34, s52
                                        ; implicit-def: $vgpr4
	s_branch .LBB31_1088
.LBB31_1056:
	s_mov_b32 s37, -1
	s_mov_b32 s36, 0
	s_mov_b32 s34, s52
                                        ; implicit-def: $vgpr4
	s_branch .LBB31_1071
.LBB31_1057:
	s_mov_b32 s37, -1
	s_mov_b32 s36, 0
	s_mov_b32 s34, s52
                                        ; implicit-def: $vgpr4
	s_branch .LBB31_1066
.LBB31_1058:
	s_mov_b32 s37, -1
	s_mov_b32 s36, 0
	s_mov_b32 s34, s52
	s_branch .LBB31_1060
.LBB31_1059:
	s_mov_b32 s34, -1
	s_mov_b32 s36, 0
.LBB31_1060:
                                        ; implicit-def: $vgpr4
.LBB31_1061:
	s_and_b32 vcc_lo, exec_lo, s37
	s_cbranch_vccz .LBB31_1065
; %bb.1062:
	s_cmp_eq_u32 s35, 44
	s_cbranch_scc0 .LBB31_1064
; %bb.1063:
	global_load_u8 v1, v[10:11], off
	s_mov_b32 s34, 0
	s_mov_b32 s36, -1
	s_wait_loadcnt 0x0
	v_lshlrev_b32_e32 v3, 23, v1
	v_cmp_ne_u32_e32 vcc_lo, 0, v1
	s_delay_alu instid0(VALU_DEP_2) | instskip(NEXT) | instid1(VALU_DEP_1)
	v_trunc_f32_e32 v3, v3
	v_mul_f32_e64 v4, 0x2f800000, |v3|
	s_delay_alu instid0(VALU_DEP_1) | instskip(NEXT) | instid1(VALU_DEP_1)
	v_floor_f32_e32 v4, v4
	v_fma_f32 v4, 0xcf800000, v4, |v3|
	v_ashrrev_i32_e32 v3, 31, v3
	s_delay_alu instid0(VALU_DEP_2) | instskip(NEXT) | instid1(VALU_DEP_1)
	v_cvt_u32_f32_e32 v4, v4
	v_xor_b32_e32 v4, v4, v3
	s_delay_alu instid0(VALU_DEP_1) | instskip(NEXT) | instid1(VALU_DEP_1)
	v_sub_nc_u32_e32 v3, v4, v3
	v_cndmask_b32_e32 v4, 0, v3, vcc_lo
	s_branch .LBB31_1065
.LBB31_1064:
	s_mov_b32 s34, -1
                                        ; implicit-def: $vgpr4
.LBB31_1065:
	s_mov_b32 s37, 0
.LBB31_1066:
	s_delay_alu instid0(SALU_CYCLE_1)
	s_and_b32 vcc_lo, exec_lo, s37
	s_cbranch_vccz .LBB31_1070
; %bb.1067:
	s_cmp_eq_u32 s35, 29
	s_cbranch_scc0 .LBB31_1069
; %bb.1068:
	global_load_b64 v[4:5], v[10:11], off
	s_mov_b32 s36, -1
	s_mov_b32 s34, 0
	s_branch .LBB31_1070
.LBB31_1069:
	s_mov_b32 s34, -1
                                        ; implicit-def: $vgpr4
.LBB31_1070:
	s_mov_b32 s37, 0
.LBB31_1071:
	s_delay_alu instid0(SALU_CYCLE_1)
	s_and_b32 vcc_lo, exec_lo, s37
	s_cbranch_vccz .LBB31_1087
; %bb.1072:
	s_cmp_lt_i32 s35, 27
	s_cbranch_scc1 .LBB31_1075
; %bb.1073:
	s_cmp_gt_i32 s35, 27
	s_cbranch_scc0 .LBB31_1076
; %bb.1074:
	s_wait_loadcnt 0x0
	global_load_b32 v4, v[10:11], off
	s_mov_b32 s36, 0
	s_branch .LBB31_1077
.LBB31_1075:
	s_mov_b32 s36, -1
                                        ; implicit-def: $vgpr4
	s_branch .LBB31_1080
.LBB31_1076:
	s_mov_b32 s36, -1
                                        ; implicit-def: $vgpr4
.LBB31_1077:
	s_delay_alu instid0(SALU_CYCLE_1)
	s_and_not1_b32 vcc_lo, exec_lo, s36
	s_cbranch_vccnz .LBB31_1079
; %bb.1078:
	s_wait_loadcnt 0x0
	global_load_u16 v4, v[10:11], off
.LBB31_1079:
	s_mov_b32 s36, 0
.LBB31_1080:
	s_delay_alu instid0(SALU_CYCLE_1)
	s_and_not1_b32 vcc_lo, exec_lo, s36
	s_cbranch_vccnz .LBB31_1086
; %bb.1081:
	global_load_u8 v1, v[10:11], off
	s_mov_b32 s37, 0
	s_mov_b32 s36, exec_lo
	s_wait_loadcnt 0x0
	v_cmpx_lt_i16_e32 0x7f, v1
	s_xor_b32 s36, exec_lo, s36
	s_cbranch_execz .LBB31_1098
; %bb.1082:
	v_cmp_ne_u16_e32 vcc_lo, 0x80, v1
	s_and_b32 s37, vcc_lo, exec_lo
	s_and_not1_saveexec_b32 s36, s36
	s_cbranch_execnz .LBB31_1099
.LBB31_1083:
	s_or_b32 exec_lo, exec_lo, s36
	v_mov_b32_e32 v4, 0
	s_and_saveexec_b32 s36, s37
	s_cbranch_execz .LBB31_1085
.LBB31_1084:
	v_and_b32_e32 v3, 0xffff, v1
	s_delay_alu instid0(VALU_DEP_1) | instskip(SKIP_1) | instid1(VALU_DEP_2)
	v_and_b32_e32 v4, 7, v3
	v_bfe_u32 v9, v3, 3, 4
	v_clz_i32_u32_e32 v5, v4
	s_delay_alu instid0(VALU_DEP_2) | instskip(NEXT) | instid1(VALU_DEP_2)
	v_cmp_eq_u32_e32 vcc_lo, 0, v9
	v_min_u32_e32 v5, 32, v5
	s_delay_alu instid0(VALU_DEP_1) | instskip(NEXT) | instid1(VALU_DEP_1)
	v_subrev_nc_u32_e32 v7, 28, v5
	v_dual_lshlrev_b32 v3, v7, v3 :: v_dual_sub_nc_u32 v5, 29, v5
	s_delay_alu instid0(VALU_DEP_1) | instskip(NEXT) | instid1(VALU_DEP_1)
	v_dual_lshlrev_b32 v1, 24, v1 :: v_dual_bitop2_b32 v3, 7, v3 bitop3:0x40
	v_dual_cndmask_b32 v3, v4, v3, vcc_lo :: v_dual_cndmask_b32 v5, v9, v5, vcc_lo
	s_delay_alu instid0(VALU_DEP_2) | instskip(NEXT) | instid1(VALU_DEP_2)
	v_and_b32_e32 v1, 0x80000000, v1
	v_lshlrev_b32_e32 v3, 20, v3
	s_delay_alu instid0(VALU_DEP_3) | instskip(NEXT) | instid1(VALU_DEP_1)
	v_lshl_add_u32 v4, v5, 23, 0x3b800000
	v_or3_b32 v1, v1, v4, v3
	s_delay_alu instid0(VALU_DEP_1) | instskip(NEXT) | instid1(VALU_DEP_1)
	v_trunc_f32_e32 v1, v1
	v_mul_f32_e64 v3, 0x2f800000, |v1|
	s_delay_alu instid0(VALU_DEP_1) | instskip(NEXT) | instid1(VALU_DEP_1)
	v_floor_f32_e32 v3, v3
	v_fma_f32 v3, 0xcf800000, v3, |v1|
	v_ashrrev_i32_e32 v1, 31, v1
	s_delay_alu instid0(VALU_DEP_2) | instskip(NEXT) | instid1(VALU_DEP_1)
	v_cvt_u32_f32_e32 v3, v3
	v_xor_b32_e32 v3, v3, v1
	s_delay_alu instid0(VALU_DEP_1)
	v_sub_nc_u32_e32 v4, v3, v1
.LBB31_1085:
	s_or_b32 exec_lo, exec_lo, s36
.LBB31_1086:
	s_mov_b32 s36, -1
.LBB31_1087:
	s_mov_b32 s37, 0
.LBB31_1088:
	s_delay_alu instid0(SALU_CYCLE_1)
	s_and_b32 vcc_lo, exec_lo, s37
	s_cbranch_vccz .LBB31_1121
; %bb.1089:
	s_cmp_gt_i32 s35, 22
	s_cbranch_scc0 .LBB31_1097
; %bb.1090:
	s_cmp_lt_i32 s35, 24
	s_cbranch_scc1 .LBB31_1100
; %bb.1091:
	s_cmp_gt_i32 s35, 24
	s_cbranch_scc0 .LBB31_1101
; %bb.1092:
	global_load_u8 v1, v[10:11], off
	s_mov_b32 s37, 0
	s_mov_b32 s36, exec_lo
	s_wait_loadcnt 0x0
	v_cmpx_lt_i16_e32 0x7f, v1
	s_xor_b32 s36, exec_lo, s36
	s_cbranch_execz .LBB31_1113
; %bb.1093:
	v_cmp_ne_u16_e32 vcc_lo, 0x80, v1
	s_and_b32 s37, vcc_lo, exec_lo
	s_and_not1_saveexec_b32 s36, s36
	s_cbranch_execnz .LBB31_1114
.LBB31_1094:
	s_or_b32 exec_lo, exec_lo, s36
	v_mov_b32_e32 v4, 0
	s_and_saveexec_b32 s36, s37
	s_cbranch_execz .LBB31_1096
.LBB31_1095:
	v_and_b32_e32 v3, 0xffff, v1
	s_delay_alu instid0(VALU_DEP_1) | instskip(SKIP_1) | instid1(VALU_DEP_2)
	v_and_b32_e32 v4, 3, v3
	v_bfe_u32 v9, v3, 2, 5
	v_clz_i32_u32_e32 v5, v4
	s_delay_alu instid0(VALU_DEP_2) | instskip(NEXT) | instid1(VALU_DEP_2)
	v_cmp_eq_u32_e32 vcc_lo, 0, v9
	v_min_u32_e32 v5, 32, v5
	s_delay_alu instid0(VALU_DEP_1) | instskip(NEXT) | instid1(VALU_DEP_1)
	v_subrev_nc_u32_e32 v7, 29, v5
	v_dual_lshlrev_b32 v3, v7, v3 :: v_dual_sub_nc_u32 v5, 30, v5
	s_delay_alu instid0(VALU_DEP_1) | instskip(NEXT) | instid1(VALU_DEP_1)
	v_dual_lshlrev_b32 v1, 24, v1 :: v_dual_bitop2_b32 v3, 3, v3 bitop3:0x40
	v_dual_cndmask_b32 v3, v4, v3, vcc_lo :: v_dual_cndmask_b32 v5, v9, v5, vcc_lo
	s_delay_alu instid0(VALU_DEP_2) | instskip(NEXT) | instid1(VALU_DEP_2)
	v_and_b32_e32 v1, 0x80000000, v1
	v_lshlrev_b32_e32 v3, 21, v3
	s_delay_alu instid0(VALU_DEP_3) | instskip(NEXT) | instid1(VALU_DEP_1)
	v_lshl_add_u32 v4, v5, 23, 0x37800000
	v_or3_b32 v1, v1, v4, v3
	s_delay_alu instid0(VALU_DEP_1) | instskip(NEXT) | instid1(VALU_DEP_1)
	v_trunc_f32_e32 v1, v1
	v_mul_f32_e64 v3, 0x2f800000, |v1|
	s_delay_alu instid0(VALU_DEP_1) | instskip(NEXT) | instid1(VALU_DEP_1)
	v_floor_f32_e32 v3, v3
	v_fma_f32 v3, 0xcf800000, v3, |v1|
	v_ashrrev_i32_e32 v1, 31, v1
	s_delay_alu instid0(VALU_DEP_2) | instskip(NEXT) | instid1(VALU_DEP_1)
	v_cvt_u32_f32_e32 v3, v3
	v_xor_b32_e32 v3, v3, v1
	s_delay_alu instid0(VALU_DEP_1)
	v_sub_nc_u32_e32 v4, v3, v1
.LBB31_1096:
	s_or_b32 exec_lo, exec_lo, s36
	s_mov_b32 s36, 0
	s_branch .LBB31_1102
.LBB31_1097:
	s_mov_b32 s37, -1
                                        ; implicit-def: $vgpr4
	s_branch .LBB31_1108
.LBB31_1098:
	s_and_not1_saveexec_b32 s36, s36
	s_cbranch_execz .LBB31_1083
.LBB31_1099:
	v_cmp_ne_u16_e32 vcc_lo, 0, v1
	s_and_not1_b32 s37, s37, exec_lo
	s_and_b32 s58, vcc_lo, exec_lo
	s_delay_alu instid0(SALU_CYCLE_1)
	s_or_b32 s37, s37, s58
	s_or_b32 exec_lo, exec_lo, s36
	v_mov_b32_e32 v4, 0
	s_and_saveexec_b32 s36, s37
	s_cbranch_execnz .LBB31_1084
	s_branch .LBB31_1085
.LBB31_1100:
	s_mov_b32 s36, -1
                                        ; implicit-def: $vgpr4
	s_branch .LBB31_1105
.LBB31_1101:
	s_mov_b32 s36, -1
                                        ; implicit-def: $vgpr4
.LBB31_1102:
	s_delay_alu instid0(SALU_CYCLE_1)
	s_and_b32 vcc_lo, exec_lo, s36
	s_cbranch_vccz .LBB31_1104
; %bb.1103:
	global_load_u8 v1, v[10:11], off
	s_wait_loadcnt 0x0
	v_lshlrev_b32_e32 v1, 24, v1
	s_delay_alu instid0(VALU_DEP_1) | instskip(NEXT) | instid1(VALU_DEP_1)
	v_and_b32_e32 v3, 0x7f000000, v1
	v_clz_i32_u32_e32 v4, v3
	v_add_nc_u32_e32 v7, 0x1000000, v3
	v_cmp_ne_u32_e32 vcc_lo, 0, v3
	s_delay_alu instid0(VALU_DEP_3) | instskip(NEXT) | instid1(VALU_DEP_1)
	v_min_u32_e32 v4, 32, v4
	v_sub_nc_u32_e64 v4, v4, 4 clamp
	s_delay_alu instid0(VALU_DEP_1) | instskip(NEXT) | instid1(VALU_DEP_1)
	v_dual_lshlrev_b32 v5, v4, v3 :: v_dual_lshlrev_b32 v4, 23, v4
	v_lshrrev_b32_e32 v5, 4, v5
	s_delay_alu instid0(VALU_DEP_1) | instskip(NEXT) | instid1(VALU_DEP_1)
	v_dual_sub_nc_u32 v4, v5, v4 :: v_dual_ashrrev_i32 v5, 8, v7
	v_add_nc_u32_e32 v4, 0x3c000000, v4
	s_delay_alu instid0(VALU_DEP_1) | instskip(NEXT) | instid1(VALU_DEP_1)
	v_and_or_b32 v4, 0x7f800000, v5, v4
	v_cndmask_b32_e32 v3, 0, v4, vcc_lo
	s_delay_alu instid0(VALU_DEP_1) | instskip(NEXT) | instid1(VALU_DEP_1)
	v_and_or_b32 v1, 0x80000000, v1, v3
	v_trunc_f32_e32 v1, v1
	s_delay_alu instid0(VALU_DEP_1) | instskip(NEXT) | instid1(VALU_DEP_1)
	v_mul_f32_e64 v3, 0x2f800000, |v1|
	v_floor_f32_e32 v3, v3
	s_delay_alu instid0(VALU_DEP_1) | instskip(SKIP_1) | instid1(VALU_DEP_2)
	v_fma_f32 v3, 0xcf800000, v3, |v1|
	v_ashrrev_i32_e32 v1, 31, v1
	v_cvt_u32_f32_e32 v3, v3
	s_delay_alu instid0(VALU_DEP_1) | instskip(NEXT) | instid1(VALU_DEP_1)
	v_xor_b32_e32 v3, v3, v1
	v_sub_nc_u32_e32 v4, v3, v1
.LBB31_1104:
	s_mov_b32 s36, 0
.LBB31_1105:
	s_delay_alu instid0(SALU_CYCLE_1)
	s_and_not1_b32 vcc_lo, exec_lo, s36
	s_cbranch_vccnz .LBB31_1107
; %bb.1106:
	global_load_u8 v1, v[10:11], off
	s_wait_loadcnt 0x0
	v_lshlrev_b32_e32 v3, 25, v1
	v_lshlrev_b16 v1, 8, v1
	s_delay_alu instid0(VALU_DEP_1) | instskip(NEXT) | instid1(VALU_DEP_3)
	v_and_or_b32 v5, 0x7f00, v1, 0.5
	v_lshrrev_b32_e32 v4, 4, v3
	v_bfe_i32 v1, v1, 0, 16
	s_delay_alu instid0(VALU_DEP_3) | instskip(NEXT) | instid1(VALU_DEP_3)
	v_add_f32_e32 v5, -0.5, v5
	v_or_b32_e32 v4, 0x70000000, v4
	s_delay_alu instid0(VALU_DEP_1) | instskip(SKIP_1) | instid1(VALU_DEP_2)
	v_mul_f32_e32 v4, 0x7800000, v4
	v_cmp_gt_u32_e32 vcc_lo, 0x8000000, v3
	v_cndmask_b32_e32 v3, v4, v5, vcc_lo
	s_delay_alu instid0(VALU_DEP_1) | instskip(NEXT) | instid1(VALU_DEP_1)
	v_and_or_b32 v1, 0x80000000, v1, v3
	v_trunc_f32_e32 v1, v1
	s_delay_alu instid0(VALU_DEP_1) | instskip(NEXT) | instid1(VALU_DEP_1)
	v_mul_f32_e64 v3, 0x2f800000, |v1|
	v_floor_f32_e32 v3, v3
	s_delay_alu instid0(VALU_DEP_1) | instskip(SKIP_1) | instid1(VALU_DEP_2)
	v_fma_f32 v3, 0xcf800000, v3, |v1|
	v_ashrrev_i32_e32 v1, 31, v1
	v_cvt_u32_f32_e32 v3, v3
	s_delay_alu instid0(VALU_DEP_1) | instskip(NEXT) | instid1(VALU_DEP_1)
	v_xor_b32_e32 v3, v3, v1
	v_sub_nc_u32_e32 v4, v3, v1
.LBB31_1107:
	s_mov_b32 s37, 0
	s_mov_b32 s36, -1
.LBB31_1108:
	s_and_not1_b32 vcc_lo, exec_lo, s37
	s_cbranch_vccnz .LBB31_1121
; %bb.1109:
	s_cmp_gt_i32 s35, 14
	s_cbranch_scc0 .LBB31_1112
; %bb.1110:
	s_cmp_eq_u32 s35, 15
	s_cbranch_scc0 .LBB31_1115
; %bb.1111:
	global_load_u16 v1, v[10:11], off
	s_mov_b32 s36, -1
	s_mov_b32 s34, 0
	s_wait_loadcnt 0x0
	v_lshlrev_b32_e32 v1, 16, v1
	s_delay_alu instid0(VALU_DEP_1) | instskip(NEXT) | instid1(VALU_DEP_1)
	v_trunc_f32_e32 v1, v1
	v_mul_f32_e64 v3, 0x2f800000, |v1|
	s_delay_alu instid0(VALU_DEP_1) | instskip(NEXT) | instid1(VALU_DEP_1)
	v_floor_f32_e32 v3, v3
	v_fma_f32 v3, 0xcf800000, v3, |v1|
	v_ashrrev_i32_e32 v1, 31, v1
	s_delay_alu instid0(VALU_DEP_2) | instskip(NEXT) | instid1(VALU_DEP_1)
	v_cvt_u32_f32_e32 v3, v3
	v_xor_b32_e32 v3, v3, v1
	s_delay_alu instid0(VALU_DEP_1)
	v_sub_nc_u32_e32 v4, v3, v1
	s_branch .LBB31_1116
.LBB31_1112:
	s_mov_b32 s37, -1
                                        ; implicit-def: $vgpr4
	s_branch .LBB31_1117
.LBB31_1113:
	s_and_not1_saveexec_b32 s36, s36
	s_cbranch_execz .LBB31_1094
.LBB31_1114:
	v_cmp_ne_u16_e32 vcc_lo, 0, v1
	s_and_not1_b32 s37, s37, exec_lo
	s_and_b32 s58, vcc_lo, exec_lo
	s_delay_alu instid0(SALU_CYCLE_1)
	s_or_b32 s37, s37, s58
	s_or_b32 exec_lo, exec_lo, s36
	v_mov_b32_e32 v4, 0
	s_and_saveexec_b32 s36, s37
	s_cbranch_execnz .LBB31_1095
	s_branch .LBB31_1096
.LBB31_1115:
	s_mov_b32 s34, -1
                                        ; implicit-def: $vgpr4
.LBB31_1116:
	s_mov_b32 s37, 0
.LBB31_1117:
	s_delay_alu instid0(SALU_CYCLE_1)
	s_and_b32 vcc_lo, exec_lo, s37
	s_cbranch_vccz .LBB31_1121
; %bb.1118:
	s_cmp_eq_u32 s35, 11
	s_cbranch_scc0 .LBB31_1120
; %bb.1119:
	global_load_u8 v1, v[10:11], off
	s_mov_b32 s34, 0
	s_mov_b32 s36, -1
	s_wait_loadcnt 0x0
	v_cmp_ne_u16_e32 vcc_lo, 0, v1
	v_cndmask_b32_e64 v4, 0, 1, vcc_lo
	s_branch .LBB31_1121
.LBB31_1120:
	s_mov_b32 s34, -1
                                        ; implicit-def: $vgpr4
.LBB31_1121:
	s_mov_b32 s35, 0
.LBB31_1122:
	s_delay_alu instid0(SALU_CYCLE_1)
	s_and_b32 vcc_lo, exec_lo, s35
	s_cbranch_vccz .LBB31_1171
; %bb.1123:
	s_and_b32 s0, 0xffff, s0
	s_delay_alu instid0(SALU_CYCLE_1)
	s_cmp_lt_i32 s0, 5
	s_cbranch_scc1 .LBB31_1128
; %bb.1124:
	s_cmp_lt_i32 s0, 8
	s_cbranch_scc1 .LBB31_1129
; %bb.1125:
	;; [unrolled: 3-line block ×3, first 2 shown]
	s_cmp_gt_i32 s0, 9
	s_cbranch_scc0 .LBB31_1131
; %bb.1127:
	s_wait_loadcnt 0x0
	global_load_b64 v[4:5], v[10:11], off
	s_mov_b32 s35, 0
	s_wait_loadcnt 0x0
	v_trunc_f64_e32 v[4:5], v[4:5]
	s_delay_alu instid0(VALU_DEP_1) | instskip(NEXT) | instid1(VALU_DEP_1)
	v_ldexp_f64 v[12:13], v[4:5], 0xffffffe0
	v_floor_f64_e32 v[12:13], v[12:13]
	s_delay_alu instid0(VALU_DEP_1) | instskip(NEXT) | instid1(VALU_DEP_1)
	v_fmamk_f64 v[4:5], v[12:13], 0xc1f00000, v[4:5]
	v_cvt_u32_f64_e32 v4, v[4:5]
	s_branch .LBB31_1132
.LBB31_1128:
	s_mov_b32 s35, -1
                                        ; implicit-def: $vgpr4
	s_branch .LBB31_1150
.LBB31_1129:
	s_mov_b32 s35, -1
                                        ; implicit-def: $vgpr4
	s_branch .LBB31_1138
.LBB31_1130:
	s_mov_b32 s35, -1
                                        ; implicit-def: $vgpr4
	s_branch .LBB31_1135
.LBB31_1131:
	s_mov_b32 s35, -1
                                        ; implicit-def: $vgpr4
.LBB31_1132:
	s_delay_alu instid0(SALU_CYCLE_1)
	s_and_not1_b32 vcc_lo, exec_lo, s35
	s_cbranch_vccnz .LBB31_1134
; %bb.1133:
	global_load_b32 v1, v[10:11], off
	s_wait_loadcnt 0x0
	v_trunc_f32_e32 v1, v1
	s_delay_alu instid0(VALU_DEP_1) | instskip(NEXT) | instid1(VALU_DEP_1)
	v_mul_f32_e64 v3, 0x2f800000, |v1|
	v_floor_f32_e32 v3, v3
	s_delay_alu instid0(VALU_DEP_1) | instskip(SKIP_1) | instid1(VALU_DEP_2)
	v_fma_f32 v3, 0xcf800000, v3, |v1|
	v_ashrrev_i32_e32 v1, 31, v1
	v_cvt_u32_f32_e32 v3, v3
	s_delay_alu instid0(VALU_DEP_1) | instskip(NEXT) | instid1(VALU_DEP_1)
	v_xor_b32_e32 v3, v3, v1
	v_sub_nc_u32_e32 v4, v3, v1
.LBB31_1134:
	s_mov_b32 s35, 0
.LBB31_1135:
	s_delay_alu instid0(SALU_CYCLE_1)
	s_and_not1_b32 vcc_lo, exec_lo, s35
	s_cbranch_vccnz .LBB31_1137
; %bb.1136:
	global_load_b32 v1, v[10:11], off
	s_wait_loadcnt 0x0
	v_cvt_f32_f16_e32 v1, v1
	s_delay_alu instid0(VALU_DEP_1)
	v_cvt_i32_f32_e32 v4, v1
.LBB31_1137:
	s_mov_b32 s35, 0
.LBB31_1138:
	s_delay_alu instid0(SALU_CYCLE_1)
	s_and_not1_b32 vcc_lo, exec_lo, s35
	s_cbranch_vccnz .LBB31_1149
; %bb.1139:
	s_cmp_lt_i32 s0, 6
	s_cbranch_scc1 .LBB31_1142
; %bb.1140:
	s_cmp_gt_i32 s0, 6
	s_cbranch_scc0 .LBB31_1143
; %bb.1141:
	s_wait_loadcnt 0x0
	global_load_b64 v[4:5], v[10:11], off
	s_mov_b32 s35, 0
	s_wait_loadcnt 0x0
	v_trunc_f64_e32 v[4:5], v[4:5]
	s_delay_alu instid0(VALU_DEP_1) | instskip(NEXT) | instid1(VALU_DEP_1)
	v_ldexp_f64 v[12:13], v[4:5], 0xffffffe0
	v_floor_f64_e32 v[12:13], v[12:13]
	s_delay_alu instid0(VALU_DEP_1) | instskip(NEXT) | instid1(VALU_DEP_1)
	v_fmamk_f64 v[4:5], v[12:13], 0xc1f00000, v[4:5]
	v_cvt_u32_f64_e32 v4, v[4:5]
	s_branch .LBB31_1144
.LBB31_1142:
	s_mov_b32 s35, -1
                                        ; implicit-def: $vgpr4
	s_branch .LBB31_1147
.LBB31_1143:
	s_mov_b32 s35, -1
                                        ; implicit-def: $vgpr4
.LBB31_1144:
	s_delay_alu instid0(SALU_CYCLE_1)
	s_and_not1_b32 vcc_lo, exec_lo, s35
	s_cbranch_vccnz .LBB31_1146
; %bb.1145:
	global_load_b32 v1, v[10:11], off
	s_wait_loadcnt 0x0
	v_trunc_f32_e32 v1, v1
	s_delay_alu instid0(VALU_DEP_1) | instskip(NEXT) | instid1(VALU_DEP_1)
	v_mul_f32_e64 v3, 0x2f800000, |v1|
	v_floor_f32_e32 v3, v3
	s_delay_alu instid0(VALU_DEP_1) | instskip(SKIP_1) | instid1(VALU_DEP_2)
	v_fma_f32 v3, 0xcf800000, v3, |v1|
	v_ashrrev_i32_e32 v1, 31, v1
	v_cvt_u32_f32_e32 v3, v3
	s_delay_alu instid0(VALU_DEP_1) | instskip(NEXT) | instid1(VALU_DEP_1)
	v_xor_b32_e32 v3, v3, v1
	v_sub_nc_u32_e32 v4, v3, v1
.LBB31_1146:
	s_mov_b32 s35, 0
.LBB31_1147:
	s_delay_alu instid0(SALU_CYCLE_1)
	s_and_not1_b32 vcc_lo, exec_lo, s35
	s_cbranch_vccnz .LBB31_1149
; %bb.1148:
	global_load_u16 v1, v[10:11], off
	s_wait_loadcnt 0x0
	v_cvt_f32_f16_e32 v1, v1
	s_delay_alu instid0(VALU_DEP_1)
	v_cvt_i32_f32_e32 v4, v1
.LBB31_1149:
	s_mov_b32 s35, 0
.LBB31_1150:
	s_delay_alu instid0(SALU_CYCLE_1)
	s_and_not1_b32 vcc_lo, exec_lo, s35
	s_cbranch_vccnz .LBB31_1170
; %bb.1151:
	s_cmp_lt_i32 s0, 2
	s_cbranch_scc1 .LBB31_1155
; %bb.1152:
	s_cmp_lt_i32 s0, 3
	s_cbranch_scc1 .LBB31_1156
; %bb.1153:
	s_cmp_gt_i32 s0, 3
	s_cbranch_scc0 .LBB31_1157
; %bb.1154:
	s_wait_loadcnt 0x0
	global_load_b64 v[4:5], v[10:11], off
	s_mov_b32 s35, 0
	s_branch .LBB31_1158
.LBB31_1155:
	s_mov_b32 s35, -1
                                        ; implicit-def: $vgpr4
	s_branch .LBB31_1164
.LBB31_1156:
	s_mov_b32 s35, -1
                                        ; implicit-def: $vgpr4
	s_branch .LBB31_1161
.LBB31_1157:
	s_mov_b32 s35, -1
                                        ; implicit-def: $vgpr4
.LBB31_1158:
	s_delay_alu instid0(SALU_CYCLE_1)
	s_and_not1_b32 vcc_lo, exec_lo, s35
	s_cbranch_vccnz .LBB31_1160
; %bb.1159:
	s_wait_loadcnt 0x0
	global_load_b32 v4, v[10:11], off
.LBB31_1160:
	s_mov_b32 s35, 0
.LBB31_1161:
	s_delay_alu instid0(SALU_CYCLE_1)
	s_and_not1_b32 vcc_lo, exec_lo, s35
	s_cbranch_vccnz .LBB31_1163
; %bb.1162:
	s_wait_loadcnt 0x0
	global_load_u16 v4, v[10:11], off
.LBB31_1163:
	s_mov_b32 s35, 0
.LBB31_1164:
	s_delay_alu instid0(SALU_CYCLE_1)
	s_and_not1_b32 vcc_lo, exec_lo, s35
	s_cbranch_vccnz .LBB31_1170
; %bb.1165:
	s_cmp_gt_i32 s0, 0
	s_mov_b32 s0, 0
	s_cbranch_scc0 .LBB31_1167
; %bb.1166:
	s_wait_loadcnt 0x0
	global_load_u8 v4, v[10:11], off
	s_branch .LBB31_1168
.LBB31_1167:
	s_mov_b32 s0, -1
                                        ; implicit-def: $vgpr4
.LBB31_1168:
	s_delay_alu instid0(SALU_CYCLE_1)
	s_and_not1_b32 vcc_lo, exec_lo, s0
	s_cbranch_vccnz .LBB31_1170
; %bb.1169:
	s_wait_loadcnt 0x0
	global_load_u8 v4, v[10:11], off
.LBB31_1170:
	s_mov_b32 s36, -1
.LBB31_1171:
	s_delay_alu instid0(SALU_CYCLE_1)
	s_and_not1_b32 vcc_lo, exec_lo, s36
	s_cbranch_vccnz .LBB31_1179
; %bb.1172:
	v_mov_b32_e32 v9, 0
	s_and_b32 s0, s25, 0xff
	s_delay_alu instid0(SALU_CYCLE_1) | instskip(SKIP_1) | instid1(VALU_DEP_1)
	s_cmp_lt_i32 s0, 11
	s_wait_xcnt 0x0
	v_add_nc_u64_e32 v[10:11], s[8:9], v[8:9]
	s_cbranch_scc1 .LBB31_1180
; %bb.1173:
	s_and_b32 s36, 0xffff, s0
	s_delay_alu instid0(SALU_CYCLE_1)
	s_cmp_gt_i32 s36, 25
	s_cbranch_scc0 .LBB31_1181
; %bb.1174:
	s_cmp_gt_i32 s36, 28
	s_cbranch_scc0 .LBB31_1182
; %bb.1175:
	;; [unrolled: 3-line block ×4, first 2 shown]
	s_cmp_eq_u32 s36, 46
	s_mov_b32 s58, 0
	s_cbranch_scc0 .LBB31_1187
; %bb.1178:
	global_load_b32 v1, v[10:11], off
	s_mov_b32 s37, -1
	s_mov_b32 s35, 0
	s_wait_loadcnt 0x0
	v_lshlrev_b32_e32 v1, 16, v1
	s_delay_alu instid0(VALU_DEP_1) | instskip(NEXT) | instid1(VALU_DEP_1)
	v_trunc_f32_e32 v1, v1
	v_mul_f32_e64 v3, 0x2f800000, |v1|
	s_delay_alu instid0(VALU_DEP_1) | instskip(NEXT) | instid1(VALU_DEP_1)
	v_floor_f32_e32 v3, v3
	v_fma_f32 v3, 0xcf800000, v3, |v1|
	v_ashrrev_i32_e32 v1, 31, v1
	s_delay_alu instid0(VALU_DEP_2) | instskip(NEXT) | instid1(VALU_DEP_1)
	v_cvt_u32_f32_e32 v3, v3
	v_xor_b32_e32 v3, v3, v1
	s_delay_alu instid0(VALU_DEP_1)
	v_sub_nc_u32_e32 v8, v3, v1
	s_branch .LBB31_1189
.LBB31_1179:
	s_mov_b32 s37, 0
	s_mov_b32 s0, s53
	;; [unrolled: 1-line block ×4, first 2 shown]
	s_branch .LBB31_1552
.LBB31_1180:
	s_mov_b32 s36, -1
	s_mov_b32 s37, 0
	s_mov_b32 s35, s55
                                        ; implicit-def: $vgpr8
	s_branch .LBB31_1250
.LBB31_1181:
	s_mov_b32 s58, -1
	s_mov_b32 s37, 0
	s_mov_b32 s35, s55
                                        ; implicit-def: $vgpr8
	s_branch .LBB31_1216
.LBB31_1182:
	s_mov_b32 s58, -1
	s_mov_b32 s37, 0
	s_mov_b32 s35, s55
                                        ; implicit-def: $vgpr8
	s_branch .LBB31_1199
.LBB31_1183:
	s_mov_b32 s58, -1
	s_mov_b32 s37, 0
	s_mov_b32 s35, s55
                                        ; implicit-def: $vgpr8
	s_branch .LBB31_1194
.LBB31_1184:
	s_mov_b32 s58, -1
	s_mov_b32 s37, 0
	s_mov_b32 s35, s55
	s_branch .LBB31_1188
.LBB31_1185:
	s_and_not1_saveexec_b32 s55, s55
	s_cbranch_execz .LBB31_941
.LBB31_1186:
	v_add_f32_e32 v4, 0x46000000, v5
	s_and_not1_b32 s54, s54, exec_lo
	s_delay_alu instid0(VALU_DEP_1) | instskip(NEXT) | instid1(VALU_DEP_1)
	v_and_b32_e32 v4, 0xff, v4
	v_cmp_ne_u32_e32 vcc_lo, 0, v4
	s_and_b32 s57, vcc_lo, exec_lo
	s_delay_alu instid0(SALU_CYCLE_1)
	s_or_b32 s54, s54, s57
	s_or_b32 exec_lo, exec_lo, s55
	v_mov_b32_e32 v6, 0
	s_and_saveexec_b32 s55, s54
	s_cbranch_execnz .LBB31_942
	s_branch .LBB31_943
.LBB31_1187:
	s_mov_b32 s35, -1
	s_mov_b32 s37, 0
.LBB31_1188:
                                        ; implicit-def: $vgpr8
.LBB31_1189:
	s_and_b32 vcc_lo, exec_lo, s58
	s_cbranch_vccz .LBB31_1193
; %bb.1190:
	s_cmp_eq_u32 s36, 44
	s_cbranch_scc0 .LBB31_1192
; %bb.1191:
	global_load_u8 v1, v[10:11], off
	s_mov_b32 s35, 0
	s_mov_b32 s37, -1
	s_wait_loadcnt 0x0
	v_lshlrev_b32_e32 v3, 23, v1
	v_cmp_ne_u32_e32 vcc_lo, 0, v1
	s_delay_alu instid0(VALU_DEP_2) | instskip(NEXT) | instid1(VALU_DEP_1)
	v_trunc_f32_e32 v3, v3
	v_mul_f32_e64 v5, 0x2f800000, |v3|
	s_delay_alu instid0(VALU_DEP_1) | instskip(NEXT) | instid1(VALU_DEP_1)
	v_floor_f32_e32 v5, v5
	v_fma_f32 v5, 0xcf800000, v5, |v3|
	v_ashrrev_i32_e32 v3, 31, v3
	s_delay_alu instid0(VALU_DEP_2) | instskip(NEXT) | instid1(VALU_DEP_1)
	v_cvt_u32_f32_e32 v5, v5
	v_xor_b32_e32 v5, v5, v3
	s_delay_alu instid0(VALU_DEP_1) | instskip(NEXT) | instid1(VALU_DEP_1)
	v_sub_nc_u32_e32 v3, v5, v3
	v_cndmask_b32_e32 v8, 0, v3, vcc_lo
	s_branch .LBB31_1193
.LBB31_1192:
	s_mov_b32 s35, -1
                                        ; implicit-def: $vgpr8
.LBB31_1193:
	s_mov_b32 s58, 0
.LBB31_1194:
	s_delay_alu instid0(SALU_CYCLE_1)
	s_and_b32 vcc_lo, exec_lo, s58
	s_cbranch_vccz .LBB31_1198
; %bb.1195:
	s_cmp_eq_u32 s36, 29
	s_cbranch_scc0 .LBB31_1197
; %bb.1196:
	global_load_b64 v[8:9], v[10:11], off
	s_mov_b32 s37, -1
	s_mov_b32 s35, 0
	s_branch .LBB31_1198
.LBB31_1197:
	s_mov_b32 s35, -1
                                        ; implicit-def: $vgpr8
.LBB31_1198:
	s_mov_b32 s58, 0
.LBB31_1199:
	s_delay_alu instid0(SALU_CYCLE_1)
	s_and_b32 vcc_lo, exec_lo, s58
	s_cbranch_vccz .LBB31_1215
; %bb.1200:
	s_cmp_lt_i32 s36, 27
	s_cbranch_scc1 .LBB31_1203
; %bb.1201:
	s_cmp_gt_i32 s36, 27
	s_cbranch_scc0 .LBB31_1204
; %bb.1202:
	s_wait_loadcnt 0x0
	global_load_b32 v8, v[10:11], off
	s_mov_b32 s37, 0
	s_branch .LBB31_1205
.LBB31_1203:
	s_mov_b32 s37, -1
                                        ; implicit-def: $vgpr8
	s_branch .LBB31_1208
.LBB31_1204:
	s_mov_b32 s37, -1
                                        ; implicit-def: $vgpr8
.LBB31_1205:
	s_delay_alu instid0(SALU_CYCLE_1)
	s_and_not1_b32 vcc_lo, exec_lo, s37
	s_cbranch_vccnz .LBB31_1207
; %bb.1206:
	s_wait_loadcnt 0x0
	global_load_u16 v8, v[10:11], off
.LBB31_1207:
	s_mov_b32 s37, 0
.LBB31_1208:
	s_delay_alu instid0(SALU_CYCLE_1)
	s_and_not1_b32 vcc_lo, exec_lo, s37
	s_cbranch_vccnz .LBB31_1214
; %bb.1209:
	global_load_u8 v1, v[10:11], off
	s_mov_b32 s58, 0
	s_mov_b32 s37, exec_lo
	s_wait_loadcnt 0x0
	v_cmpx_lt_i16_e32 0x7f, v1
	s_xor_b32 s37, exec_lo, s37
	s_cbranch_execz .LBB31_1226
; %bb.1210:
	v_cmp_ne_u16_e32 vcc_lo, 0x80, v1
	s_and_b32 s58, vcc_lo, exec_lo
	s_and_not1_saveexec_b32 s37, s37
	s_cbranch_execnz .LBB31_1227
.LBB31_1211:
	s_or_b32 exec_lo, exec_lo, s37
	v_mov_b32_e32 v8, 0
	s_and_saveexec_b32 s37, s58
	s_cbranch_execz .LBB31_1213
.LBB31_1212:
	v_and_b32_e32 v3, 0xffff, v1
	s_delay_alu instid0(VALU_DEP_1) | instskip(SKIP_1) | instid1(VALU_DEP_2)
	v_dual_lshlrev_b32 v1, 24, v1 :: v_dual_bitop2_b32 v5, 7, v3 bitop3:0x40
	v_bfe_u32 v9, v3, 3, 4
	v_and_b32_e32 v1, 0x80000000, v1
	s_delay_alu instid0(VALU_DEP_3) | instskip(NEXT) | instid1(VALU_DEP_3)
	v_clz_i32_u32_e32 v7, v5
	v_cmp_eq_u32_e32 vcc_lo, 0, v9
	s_delay_alu instid0(VALU_DEP_2) | instskip(NEXT) | instid1(VALU_DEP_1)
	v_min_u32_e32 v7, 32, v7
	v_subrev_nc_u32_e32 v8, 28, v7
	v_sub_nc_u32_e32 v7, 29, v7
	s_delay_alu instid0(VALU_DEP_2) | instskip(NEXT) | instid1(VALU_DEP_2)
	v_lshlrev_b32_e32 v3, v8, v3
	v_cndmask_b32_e32 v7, v9, v7, vcc_lo
	s_delay_alu instid0(VALU_DEP_2) | instskip(NEXT) | instid1(VALU_DEP_1)
	v_and_b32_e32 v3, 7, v3
	v_cndmask_b32_e32 v3, v5, v3, vcc_lo
	s_delay_alu instid0(VALU_DEP_3) | instskip(NEXT) | instid1(VALU_DEP_2)
	v_lshl_add_u32 v5, v7, 23, 0x3b800000
	v_lshlrev_b32_e32 v3, 20, v3
	s_delay_alu instid0(VALU_DEP_1) | instskip(NEXT) | instid1(VALU_DEP_1)
	v_or3_b32 v1, v1, v5, v3
	v_trunc_f32_e32 v1, v1
	s_delay_alu instid0(VALU_DEP_1) | instskip(NEXT) | instid1(VALU_DEP_1)
	v_mul_f32_e64 v3, 0x2f800000, |v1|
	v_floor_f32_e32 v3, v3
	s_delay_alu instid0(VALU_DEP_1) | instskip(SKIP_1) | instid1(VALU_DEP_2)
	v_fma_f32 v3, 0xcf800000, v3, |v1|
	v_ashrrev_i32_e32 v1, 31, v1
	v_cvt_u32_f32_e32 v3, v3
	s_delay_alu instid0(VALU_DEP_1) | instskip(NEXT) | instid1(VALU_DEP_1)
	v_xor_b32_e32 v3, v3, v1
	v_sub_nc_u32_e32 v8, v3, v1
.LBB31_1213:
	s_or_b32 exec_lo, exec_lo, s37
.LBB31_1214:
	s_mov_b32 s37, -1
.LBB31_1215:
	s_mov_b32 s58, 0
.LBB31_1216:
	s_delay_alu instid0(SALU_CYCLE_1)
	s_and_b32 vcc_lo, exec_lo, s58
	s_cbranch_vccz .LBB31_1249
; %bb.1217:
	s_cmp_gt_i32 s36, 22
	s_cbranch_scc0 .LBB31_1225
; %bb.1218:
	s_cmp_lt_i32 s36, 24
	s_cbranch_scc1 .LBB31_1228
; %bb.1219:
	s_cmp_gt_i32 s36, 24
	s_cbranch_scc0 .LBB31_1229
; %bb.1220:
	global_load_u8 v1, v[10:11], off
	s_mov_b32 s58, 0
	s_mov_b32 s37, exec_lo
	s_wait_loadcnt 0x0
	v_cmpx_lt_i16_e32 0x7f, v1
	s_xor_b32 s37, exec_lo, s37
	s_cbranch_execz .LBB31_1241
; %bb.1221:
	v_cmp_ne_u16_e32 vcc_lo, 0x80, v1
	s_and_b32 s58, vcc_lo, exec_lo
	s_and_not1_saveexec_b32 s37, s37
	s_cbranch_execnz .LBB31_1242
.LBB31_1222:
	s_or_b32 exec_lo, exec_lo, s37
	v_mov_b32_e32 v8, 0
	s_and_saveexec_b32 s37, s58
	s_cbranch_execz .LBB31_1224
.LBB31_1223:
	v_and_b32_e32 v3, 0xffff, v1
	s_delay_alu instid0(VALU_DEP_1) | instskip(SKIP_1) | instid1(VALU_DEP_2)
	v_dual_lshlrev_b32 v1, 24, v1 :: v_dual_bitop2_b32 v5, 3, v3 bitop3:0x40
	v_bfe_u32 v9, v3, 2, 5
	v_and_b32_e32 v1, 0x80000000, v1
	s_delay_alu instid0(VALU_DEP_3) | instskip(NEXT) | instid1(VALU_DEP_3)
	v_clz_i32_u32_e32 v7, v5
	v_cmp_eq_u32_e32 vcc_lo, 0, v9
	s_delay_alu instid0(VALU_DEP_2) | instskip(NEXT) | instid1(VALU_DEP_1)
	v_min_u32_e32 v7, 32, v7
	v_subrev_nc_u32_e32 v8, 29, v7
	v_sub_nc_u32_e32 v7, 30, v7
	s_delay_alu instid0(VALU_DEP_2) | instskip(NEXT) | instid1(VALU_DEP_2)
	v_lshlrev_b32_e32 v3, v8, v3
	v_cndmask_b32_e32 v7, v9, v7, vcc_lo
	s_delay_alu instid0(VALU_DEP_2) | instskip(NEXT) | instid1(VALU_DEP_1)
	v_and_b32_e32 v3, 3, v3
	v_cndmask_b32_e32 v3, v5, v3, vcc_lo
	s_delay_alu instid0(VALU_DEP_3) | instskip(NEXT) | instid1(VALU_DEP_2)
	v_lshl_add_u32 v5, v7, 23, 0x37800000
	v_lshlrev_b32_e32 v3, 21, v3
	s_delay_alu instid0(VALU_DEP_1) | instskip(NEXT) | instid1(VALU_DEP_1)
	v_or3_b32 v1, v1, v5, v3
	v_trunc_f32_e32 v1, v1
	s_delay_alu instid0(VALU_DEP_1) | instskip(NEXT) | instid1(VALU_DEP_1)
	v_mul_f32_e64 v3, 0x2f800000, |v1|
	v_floor_f32_e32 v3, v3
	s_delay_alu instid0(VALU_DEP_1) | instskip(SKIP_1) | instid1(VALU_DEP_2)
	v_fma_f32 v3, 0xcf800000, v3, |v1|
	v_ashrrev_i32_e32 v1, 31, v1
	v_cvt_u32_f32_e32 v3, v3
	s_delay_alu instid0(VALU_DEP_1) | instskip(NEXT) | instid1(VALU_DEP_1)
	v_xor_b32_e32 v3, v3, v1
	v_sub_nc_u32_e32 v8, v3, v1
.LBB31_1224:
	s_or_b32 exec_lo, exec_lo, s37
	s_mov_b32 s37, 0
	s_branch .LBB31_1230
.LBB31_1225:
	s_mov_b32 s58, -1
                                        ; implicit-def: $vgpr8
	s_branch .LBB31_1236
.LBB31_1226:
	s_and_not1_saveexec_b32 s37, s37
	s_cbranch_execz .LBB31_1211
.LBB31_1227:
	v_cmp_ne_u16_e32 vcc_lo, 0, v1
	s_and_not1_b32 s58, s58, exec_lo
	s_and_b32 s59, vcc_lo, exec_lo
	s_delay_alu instid0(SALU_CYCLE_1)
	s_or_b32 s58, s58, s59
	s_or_b32 exec_lo, exec_lo, s37
	v_mov_b32_e32 v8, 0
	s_and_saveexec_b32 s37, s58
	s_cbranch_execnz .LBB31_1212
	s_branch .LBB31_1213
.LBB31_1228:
	s_mov_b32 s37, -1
                                        ; implicit-def: $vgpr8
	s_branch .LBB31_1233
.LBB31_1229:
	s_mov_b32 s37, -1
                                        ; implicit-def: $vgpr8
.LBB31_1230:
	s_delay_alu instid0(SALU_CYCLE_1)
	s_and_b32 vcc_lo, exec_lo, s37
	s_cbranch_vccz .LBB31_1232
; %bb.1231:
	global_load_u8 v1, v[10:11], off
	s_wait_loadcnt 0x0
	v_lshlrev_b32_e32 v1, 24, v1
	s_delay_alu instid0(VALU_DEP_1) | instskip(NEXT) | instid1(VALU_DEP_1)
	v_and_b32_e32 v3, 0x7f000000, v1
	v_clz_i32_u32_e32 v5, v3
	v_cmp_ne_u32_e32 vcc_lo, 0, v3
	v_add_nc_u32_e32 v8, 0x1000000, v3
	s_delay_alu instid0(VALU_DEP_3) | instskip(NEXT) | instid1(VALU_DEP_1)
	v_min_u32_e32 v5, 32, v5
	v_sub_nc_u32_e64 v5, v5, 4 clamp
	s_delay_alu instid0(VALU_DEP_1) | instskip(NEXT) | instid1(VALU_DEP_1)
	v_dual_lshlrev_b32 v7, v5, v3 :: v_dual_lshlrev_b32 v5, 23, v5
	v_lshrrev_b32_e32 v7, 4, v7
	s_delay_alu instid0(VALU_DEP_1) | instskip(NEXT) | instid1(VALU_DEP_1)
	v_dual_sub_nc_u32 v5, v7, v5 :: v_dual_ashrrev_i32 v7, 8, v8
	v_add_nc_u32_e32 v5, 0x3c000000, v5
	s_delay_alu instid0(VALU_DEP_1) | instskip(NEXT) | instid1(VALU_DEP_1)
	v_and_or_b32 v5, 0x7f800000, v7, v5
	v_cndmask_b32_e32 v3, 0, v5, vcc_lo
	s_delay_alu instid0(VALU_DEP_1) | instskip(NEXT) | instid1(VALU_DEP_1)
	v_and_or_b32 v1, 0x80000000, v1, v3
	v_trunc_f32_e32 v1, v1
	s_delay_alu instid0(VALU_DEP_1) | instskip(NEXT) | instid1(VALU_DEP_1)
	v_mul_f32_e64 v3, 0x2f800000, |v1|
	v_floor_f32_e32 v3, v3
	s_delay_alu instid0(VALU_DEP_1) | instskip(SKIP_1) | instid1(VALU_DEP_2)
	v_fma_f32 v3, 0xcf800000, v3, |v1|
	v_ashrrev_i32_e32 v1, 31, v1
	v_cvt_u32_f32_e32 v3, v3
	s_delay_alu instid0(VALU_DEP_1) | instskip(NEXT) | instid1(VALU_DEP_1)
	v_xor_b32_e32 v3, v3, v1
	v_sub_nc_u32_e32 v8, v3, v1
.LBB31_1232:
	s_mov_b32 s37, 0
.LBB31_1233:
	s_delay_alu instid0(SALU_CYCLE_1)
	s_and_not1_b32 vcc_lo, exec_lo, s37
	s_cbranch_vccnz .LBB31_1235
; %bb.1234:
	global_load_u8 v1, v[10:11], off
	s_wait_loadcnt 0x0
	v_lshlrev_b32_e32 v3, 25, v1
	v_lshlrev_b16 v1, 8, v1
	s_delay_alu instid0(VALU_DEP_1) | instskip(SKIP_1) | instid1(VALU_DEP_2)
	v_and_or_b32 v7, 0x7f00, v1, 0.5
	v_bfe_i32 v1, v1, 0, 16
	v_add_f32_e32 v7, -0.5, v7
	v_lshrrev_b32_e32 v5, 4, v3
	v_cmp_gt_u32_e32 vcc_lo, 0x8000000, v3
	s_delay_alu instid0(VALU_DEP_2) | instskip(NEXT) | instid1(VALU_DEP_1)
	v_or_b32_e32 v5, 0x70000000, v5
	v_mul_f32_e32 v5, 0x7800000, v5
	s_delay_alu instid0(VALU_DEP_1) | instskip(NEXT) | instid1(VALU_DEP_1)
	v_cndmask_b32_e32 v3, v5, v7, vcc_lo
	v_and_or_b32 v1, 0x80000000, v1, v3
	s_delay_alu instid0(VALU_DEP_1) | instskip(NEXT) | instid1(VALU_DEP_1)
	v_trunc_f32_e32 v1, v1
	v_mul_f32_e64 v3, 0x2f800000, |v1|
	s_delay_alu instid0(VALU_DEP_1) | instskip(NEXT) | instid1(VALU_DEP_1)
	v_floor_f32_e32 v3, v3
	v_fma_f32 v3, 0xcf800000, v3, |v1|
	v_ashrrev_i32_e32 v1, 31, v1
	s_delay_alu instid0(VALU_DEP_2) | instskip(NEXT) | instid1(VALU_DEP_1)
	v_cvt_u32_f32_e32 v3, v3
	v_xor_b32_e32 v3, v3, v1
	s_delay_alu instid0(VALU_DEP_1)
	v_sub_nc_u32_e32 v8, v3, v1
.LBB31_1235:
	s_mov_b32 s58, 0
	s_mov_b32 s37, -1
.LBB31_1236:
	s_and_not1_b32 vcc_lo, exec_lo, s58
	s_cbranch_vccnz .LBB31_1249
; %bb.1237:
	s_cmp_gt_i32 s36, 14
	s_cbranch_scc0 .LBB31_1240
; %bb.1238:
	s_cmp_eq_u32 s36, 15
	s_cbranch_scc0 .LBB31_1243
; %bb.1239:
	global_load_u16 v1, v[10:11], off
	s_mov_b32 s37, -1
	s_mov_b32 s35, 0
	s_wait_loadcnt 0x0
	v_lshlrev_b32_e32 v1, 16, v1
	s_delay_alu instid0(VALU_DEP_1) | instskip(NEXT) | instid1(VALU_DEP_1)
	v_trunc_f32_e32 v1, v1
	v_mul_f32_e64 v3, 0x2f800000, |v1|
	s_delay_alu instid0(VALU_DEP_1) | instskip(NEXT) | instid1(VALU_DEP_1)
	v_floor_f32_e32 v3, v3
	v_fma_f32 v3, 0xcf800000, v3, |v1|
	v_ashrrev_i32_e32 v1, 31, v1
	s_delay_alu instid0(VALU_DEP_2) | instskip(NEXT) | instid1(VALU_DEP_1)
	v_cvt_u32_f32_e32 v3, v3
	v_xor_b32_e32 v3, v3, v1
	s_delay_alu instid0(VALU_DEP_1)
	v_sub_nc_u32_e32 v8, v3, v1
	s_branch .LBB31_1244
.LBB31_1240:
	s_mov_b32 s58, -1
                                        ; implicit-def: $vgpr8
	s_branch .LBB31_1245
.LBB31_1241:
	s_and_not1_saveexec_b32 s37, s37
	s_cbranch_execz .LBB31_1222
.LBB31_1242:
	v_cmp_ne_u16_e32 vcc_lo, 0, v1
	s_and_not1_b32 s58, s58, exec_lo
	s_and_b32 s59, vcc_lo, exec_lo
	s_delay_alu instid0(SALU_CYCLE_1)
	s_or_b32 s58, s58, s59
	s_or_b32 exec_lo, exec_lo, s37
	v_mov_b32_e32 v8, 0
	s_and_saveexec_b32 s37, s58
	s_cbranch_execnz .LBB31_1223
	s_branch .LBB31_1224
.LBB31_1243:
	s_mov_b32 s35, -1
                                        ; implicit-def: $vgpr8
.LBB31_1244:
	s_mov_b32 s58, 0
.LBB31_1245:
	s_delay_alu instid0(SALU_CYCLE_1)
	s_and_b32 vcc_lo, exec_lo, s58
	s_cbranch_vccz .LBB31_1249
; %bb.1246:
	s_cmp_eq_u32 s36, 11
	s_cbranch_scc0 .LBB31_1248
; %bb.1247:
	global_load_u8 v1, v[10:11], off
	s_mov_b32 s35, 0
	s_mov_b32 s37, -1
	s_wait_loadcnt 0x0
	v_cmp_ne_u16_e32 vcc_lo, 0, v1
	v_cndmask_b32_e64 v8, 0, 1, vcc_lo
	s_branch .LBB31_1249
.LBB31_1248:
	s_mov_b32 s35, -1
                                        ; implicit-def: $vgpr8
.LBB31_1249:
	s_mov_b32 s36, 0
.LBB31_1250:
	s_delay_alu instid0(SALU_CYCLE_1)
	s_and_b32 vcc_lo, exec_lo, s36
	s_cbranch_vccz .LBB31_1299
; %bb.1251:
	s_and_b32 s0, 0xffff, s0
	s_delay_alu instid0(SALU_CYCLE_1)
	s_cmp_lt_i32 s0, 5
	s_cbranch_scc1 .LBB31_1256
; %bb.1252:
	s_cmp_lt_i32 s0, 8
	s_cbranch_scc1 .LBB31_1257
; %bb.1253:
	;; [unrolled: 3-line block ×3, first 2 shown]
	s_cmp_gt_i32 s0, 9
	s_cbranch_scc0 .LBB31_1259
; %bb.1255:
	s_wait_loadcnt 0x0
	global_load_b64 v[8:9], v[10:11], off
	s_mov_b32 s36, 0
	s_wait_loadcnt 0x0
	v_trunc_f64_e32 v[8:9], v[8:9]
	s_delay_alu instid0(VALU_DEP_1) | instskip(NEXT) | instid1(VALU_DEP_1)
	v_ldexp_f64 v[12:13], v[8:9], 0xffffffe0
	v_floor_f64_e32 v[12:13], v[12:13]
	s_delay_alu instid0(VALU_DEP_1) | instskip(NEXT) | instid1(VALU_DEP_1)
	v_fmamk_f64 v[8:9], v[12:13], 0xc1f00000, v[8:9]
	v_cvt_u32_f64_e32 v8, v[8:9]
	s_branch .LBB31_1260
.LBB31_1256:
	s_mov_b32 s36, -1
                                        ; implicit-def: $vgpr8
	s_branch .LBB31_1278
.LBB31_1257:
	s_mov_b32 s36, -1
                                        ; implicit-def: $vgpr8
	s_branch .LBB31_1266
.LBB31_1258:
	s_mov_b32 s36, -1
                                        ; implicit-def: $vgpr8
	s_branch .LBB31_1263
.LBB31_1259:
	s_mov_b32 s36, -1
                                        ; implicit-def: $vgpr8
.LBB31_1260:
	s_delay_alu instid0(SALU_CYCLE_1)
	s_and_not1_b32 vcc_lo, exec_lo, s36
	s_cbranch_vccnz .LBB31_1262
; %bb.1261:
	global_load_b32 v1, v[10:11], off
	s_wait_loadcnt 0x0
	v_trunc_f32_e32 v1, v1
	s_delay_alu instid0(VALU_DEP_1) | instskip(NEXT) | instid1(VALU_DEP_1)
	v_mul_f32_e64 v3, 0x2f800000, |v1|
	v_floor_f32_e32 v3, v3
	s_delay_alu instid0(VALU_DEP_1) | instskip(SKIP_1) | instid1(VALU_DEP_2)
	v_fma_f32 v3, 0xcf800000, v3, |v1|
	v_ashrrev_i32_e32 v1, 31, v1
	v_cvt_u32_f32_e32 v3, v3
	s_delay_alu instid0(VALU_DEP_1) | instskip(NEXT) | instid1(VALU_DEP_1)
	v_xor_b32_e32 v3, v3, v1
	v_sub_nc_u32_e32 v8, v3, v1
.LBB31_1262:
	s_mov_b32 s36, 0
.LBB31_1263:
	s_delay_alu instid0(SALU_CYCLE_1)
	s_and_not1_b32 vcc_lo, exec_lo, s36
	s_cbranch_vccnz .LBB31_1265
; %bb.1264:
	global_load_b32 v1, v[10:11], off
	s_wait_loadcnt 0x0
	v_cvt_f32_f16_e32 v1, v1
	s_delay_alu instid0(VALU_DEP_1)
	v_cvt_i32_f32_e32 v8, v1
.LBB31_1265:
	s_mov_b32 s36, 0
.LBB31_1266:
	s_delay_alu instid0(SALU_CYCLE_1)
	s_and_not1_b32 vcc_lo, exec_lo, s36
	s_cbranch_vccnz .LBB31_1277
; %bb.1267:
	s_cmp_lt_i32 s0, 6
	s_cbranch_scc1 .LBB31_1270
; %bb.1268:
	s_cmp_gt_i32 s0, 6
	s_cbranch_scc0 .LBB31_1271
; %bb.1269:
	s_wait_loadcnt 0x0
	global_load_b64 v[8:9], v[10:11], off
	s_mov_b32 s36, 0
	s_wait_loadcnt 0x0
	v_trunc_f64_e32 v[8:9], v[8:9]
	s_delay_alu instid0(VALU_DEP_1) | instskip(NEXT) | instid1(VALU_DEP_1)
	v_ldexp_f64 v[12:13], v[8:9], 0xffffffe0
	v_floor_f64_e32 v[12:13], v[12:13]
	s_delay_alu instid0(VALU_DEP_1) | instskip(NEXT) | instid1(VALU_DEP_1)
	v_fmamk_f64 v[8:9], v[12:13], 0xc1f00000, v[8:9]
	v_cvt_u32_f64_e32 v8, v[8:9]
	s_branch .LBB31_1272
.LBB31_1270:
	s_mov_b32 s36, -1
                                        ; implicit-def: $vgpr8
	s_branch .LBB31_1275
.LBB31_1271:
	s_mov_b32 s36, -1
                                        ; implicit-def: $vgpr8
.LBB31_1272:
	s_delay_alu instid0(SALU_CYCLE_1)
	s_and_not1_b32 vcc_lo, exec_lo, s36
	s_cbranch_vccnz .LBB31_1274
; %bb.1273:
	global_load_b32 v1, v[10:11], off
	s_wait_loadcnt 0x0
	v_trunc_f32_e32 v1, v1
	s_delay_alu instid0(VALU_DEP_1) | instskip(NEXT) | instid1(VALU_DEP_1)
	v_mul_f32_e64 v3, 0x2f800000, |v1|
	v_floor_f32_e32 v3, v3
	s_delay_alu instid0(VALU_DEP_1) | instskip(SKIP_1) | instid1(VALU_DEP_2)
	v_fma_f32 v3, 0xcf800000, v3, |v1|
	v_ashrrev_i32_e32 v1, 31, v1
	v_cvt_u32_f32_e32 v3, v3
	s_delay_alu instid0(VALU_DEP_1) | instskip(NEXT) | instid1(VALU_DEP_1)
	v_xor_b32_e32 v3, v3, v1
	v_sub_nc_u32_e32 v8, v3, v1
.LBB31_1274:
	s_mov_b32 s36, 0
.LBB31_1275:
	s_delay_alu instid0(SALU_CYCLE_1)
	s_and_not1_b32 vcc_lo, exec_lo, s36
	s_cbranch_vccnz .LBB31_1277
; %bb.1276:
	global_load_u16 v1, v[10:11], off
	s_wait_loadcnt 0x0
	v_cvt_f32_f16_e32 v1, v1
	s_delay_alu instid0(VALU_DEP_1)
	v_cvt_i32_f32_e32 v8, v1
.LBB31_1277:
	s_mov_b32 s36, 0
.LBB31_1278:
	s_delay_alu instid0(SALU_CYCLE_1)
	s_and_not1_b32 vcc_lo, exec_lo, s36
	s_cbranch_vccnz .LBB31_1298
; %bb.1279:
	s_cmp_lt_i32 s0, 2
	s_cbranch_scc1 .LBB31_1283
; %bb.1280:
	s_cmp_lt_i32 s0, 3
	s_cbranch_scc1 .LBB31_1284
; %bb.1281:
	s_cmp_gt_i32 s0, 3
	s_cbranch_scc0 .LBB31_1285
; %bb.1282:
	s_wait_loadcnt 0x0
	global_load_b64 v[8:9], v[10:11], off
	s_mov_b32 s36, 0
	s_branch .LBB31_1286
.LBB31_1283:
	s_mov_b32 s36, -1
                                        ; implicit-def: $vgpr8
	s_branch .LBB31_1292
.LBB31_1284:
	s_mov_b32 s36, -1
                                        ; implicit-def: $vgpr8
	s_branch .LBB31_1289
.LBB31_1285:
	s_mov_b32 s36, -1
                                        ; implicit-def: $vgpr8
.LBB31_1286:
	s_delay_alu instid0(SALU_CYCLE_1)
	s_and_not1_b32 vcc_lo, exec_lo, s36
	s_cbranch_vccnz .LBB31_1288
; %bb.1287:
	s_wait_loadcnt 0x0
	global_load_b32 v8, v[10:11], off
.LBB31_1288:
	s_mov_b32 s36, 0
.LBB31_1289:
	s_delay_alu instid0(SALU_CYCLE_1)
	s_and_not1_b32 vcc_lo, exec_lo, s36
	s_cbranch_vccnz .LBB31_1291
; %bb.1290:
	s_wait_loadcnt 0x0
	global_load_u16 v8, v[10:11], off
.LBB31_1291:
	s_mov_b32 s36, 0
.LBB31_1292:
	s_delay_alu instid0(SALU_CYCLE_1)
	s_and_not1_b32 vcc_lo, exec_lo, s36
	s_cbranch_vccnz .LBB31_1298
; %bb.1293:
	s_cmp_gt_i32 s0, 0
	s_mov_b32 s0, 0
	s_cbranch_scc0 .LBB31_1295
; %bb.1294:
	s_wait_loadcnt 0x0
	global_load_u8 v8, v[10:11], off
	s_branch .LBB31_1296
.LBB31_1295:
	s_mov_b32 s0, -1
                                        ; implicit-def: $vgpr8
.LBB31_1296:
	s_delay_alu instid0(SALU_CYCLE_1)
	s_and_not1_b32 vcc_lo, exec_lo, s0
	s_cbranch_vccnz .LBB31_1298
; %bb.1297:
	s_wait_loadcnt 0x0
	global_load_u8 v8, v[10:11], off
.LBB31_1298:
	s_mov_b32 s37, -1
.LBB31_1299:
	s_delay_alu instid0(SALU_CYCLE_1)
	s_and_not1_b32 vcc_lo, exec_lo, s37
	s_cbranch_vccnz .LBB31_1307
; %bb.1300:
	v_mov_b32_e32 v7, 0
	s_and_b32 s0, s29, 0xff
	s_delay_alu instid0(SALU_CYCLE_1) | instskip(NEXT) | instid1(VALU_DEP_1)
	s_cmp_lt_i32 s0, 11
	v_add_nc_u64_e32 v[6:7], s[10:11], v[6:7]
	s_cbranch_scc1 .LBB31_1308
; %bb.1301:
	s_and_b32 s37, 0xffff, s0
	s_delay_alu instid0(SALU_CYCLE_1)
	s_cmp_gt_i32 s37, 25
	s_cbranch_scc0 .LBB31_1309
; %bb.1302:
	s_cmp_gt_i32 s37, 28
	s_cbranch_scc0 .LBB31_1310
; %bb.1303:
	;; [unrolled: 3-line block ×4, first 2 shown]
	s_cmp_eq_u32 s37, 46
	s_mov_b32 s59, 0
	s_cbranch_scc0 .LBB31_1315
; %bb.1306:
	global_load_b32 v1, v[6:7], off
	s_mov_b32 s58, -1
	s_mov_b32 s36, 0
	s_wait_loadcnt 0x0
	v_lshlrev_b32_e32 v1, 16, v1
	s_delay_alu instid0(VALU_DEP_1) | instskip(NEXT) | instid1(VALU_DEP_1)
	v_trunc_f32_e32 v1, v1
	v_mul_f32_e64 v3, 0x2f800000, |v1|
	s_delay_alu instid0(VALU_DEP_1) | instskip(NEXT) | instid1(VALU_DEP_1)
	v_floor_f32_e32 v3, v3
	v_fma_f32 v3, 0xcf800000, v3, |v1|
	v_ashrrev_i32_e32 v1, 31, v1
	s_delay_alu instid0(VALU_DEP_2) | instskip(NEXT) | instid1(VALU_DEP_1)
	v_cvt_u32_f32_e32 v3, v3
	v_xor_b32_e32 v3, v3, v1
	s_wait_xcnt 0x1
	s_delay_alu instid0(VALU_DEP_1)
	v_sub_nc_u32_e32 v10, v3, v1
	s_branch .LBB31_1317
.LBB31_1307:
	s_mov_b32 s37, 0
	s_mov_b32 s0, s53
	;; [unrolled: 1-line block ×3, first 2 shown]
	s_branch .LBB31_1552
.LBB31_1308:
	s_mov_b32 s37, -1
	s_mov_b32 s58, 0
	s_mov_b32 s36, s54
                                        ; implicit-def: $vgpr10
	s_branch .LBB31_1378
.LBB31_1309:
	s_mov_b32 s59, -1
	s_mov_b32 s58, 0
	s_mov_b32 s36, s54
                                        ; implicit-def: $vgpr10
	s_branch .LBB31_1344
.LBB31_1310:
	s_mov_b32 s59, -1
	s_mov_b32 s58, 0
	s_mov_b32 s36, s54
                                        ; implicit-def: $vgpr10
	s_branch .LBB31_1327
.LBB31_1311:
	s_mov_b32 s59, -1
	s_mov_b32 s58, 0
	s_mov_b32 s36, s54
                                        ; implicit-def: $vgpr10
	s_branch .LBB31_1322
.LBB31_1312:
	s_mov_b32 s59, -1
	s_mov_b32 s58, 0
	s_mov_b32 s36, s54
	s_branch .LBB31_1316
.LBB31_1313:
	s_and_not1_saveexec_b32 s55, s55
	s_cbranch_execz .LBB31_954
.LBB31_1314:
	v_add_f32_e32 v4, 0x42800000, v5
	s_and_not1_b32 s54, s54, exec_lo
	s_delay_alu instid0(VALU_DEP_1) | instskip(NEXT) | instid1(VALU_DEP_1)
	v_and_b32_e32 v4, 0xff, v4
	v_cmp_ne_u32_e32 vcc_lo, 0, v4
	s_and_b32 s57, vcc_lo, exec_lo
	s_delay_alu instid0(SALU_CYCLE_1)
	s_or_b32 s54, s54, s57
	s_or_b32 exec_lo, exec_lo, s55
	v_mov_b32_e32 v6, 0
	s_and_saveexec_b32 s55, s54
	s_cbranch_execnz .LBB31_955
	s_branch .LBB31_956
.LBB31_1315:
	s_mov_b32 s36, -1
	s_mov_b32 s58, 0
.LBB31_1316:
                                        ; implicit-def: $vgpr10
.LBB31_1317:
	s_and_b32 vcc_lo, exec_lo, s59
	s_cbranch_vccz .LBB31_1321
; %bb.1318:
	s_cmp_eq_u32 s37, 44
	s_cbranch_scc0 .LBB31_1320
; %bb.1319:
	global_load_u8 v1, v[6:7], off
	s_mov_b32 s36, 0
	s_mov_b32 s58, -1
	s_wait_loadcnt 0x0
	v_lshlrev_b32_e32 v3, 23, v1
	v_cmp_ne_u32_e32 vcc_lo, 0, v1
	s_delay_alu instid0(VALU_DEP_2) | instskip(NEXT) | instid1(VALU_DEP_1)
	v_trunc_f32_e32 v3, v3
	v_mul_f32_e64 v5, 0x2f800000, |v3|
	s_delay_alu instid0(VALU_DEP_1) | instskip(NEXT) | instid1(VALU_DEP_1)
	v_floor_f32_e32 v5, v5
	v_fma_f32 v5, 0xcf800000, v5, |v3|
	v_ashrrev_i32_e32 v3, 31, v3
	s_delay_alu instid0(VALU_DEP_2) | instskip(NEXT) | instid1(VALU_DEP_1)
	v_cvt_u32_f32_e32 v5, v5
	v_xor_b32_e32 v5, v5, v3
	s_delay_alu instid0(VALU_DEP_1) | instskip(SKIP_1) | instid1(VALU_DEP_1)
	v_sub_nc_u32_e32 v3, v5, v3
	s_wait_xcnt 0x1
	v_cndmask_b32_e32 v10, 0, v3, vcc_lo
	s_branch .LBB31_1321
.LBB31_1320:
	s_mov_b32 s36, -1
                                        ; implicit-def: $vgpr10
.LBB31_1321:
	s_mov_b32 s59, 0
.LBB31_1322:
	s_delay_alu instid0(SALU_CYCLE_1)
	s_and_b32 vcc_lo, exec_lo, s59
	s_cbranch_vccz .LBB31_1326
; %bb.1323:
	s_cmp_eq_u32 s37, 29
	s_cbranch_scc0 .LBB31_1325
; %bb.1324:
	global_load_b64 v[10:11], v[6:7], off
	s_mov_b32 s58, -1
	s_mov_b32 s36, 0
	s_branch .LBB31_1326
.LBB31_1325:
	s_mov_b32 s36, -1
                                        ; implicit-def: $vgpr10
.LBB31_1326:
	s_mov_b32 s59, 0
.LBB31_1327:
	s_delay_alu instid0(SALU_CYCLE_1)
	s_and_b32 vcc_lo, exec_lo, s59
	s_cbranch_vccz .LBB31_1343
; %bb.1328:
	s_cmp_lt_i32 s37, 27
	s_cbranch_scc1 .LBB31_1331
; %bb.1329:
	s_cmp_gt_i32 s37, 27
	s_cbranch_scc0 .LBB31_1332
; %bb.1330:
	s_wait_loadcnt 0x0
	global_load_b32 v10, v[6:7], off
	s_mov_b32 s58, 0
	s_branch .LBB31_1333
.LBB31_1331:
	s_mov_b32 s58, -1
                                        ; implicit-def: $vgpr10
	s_branch .LBB31_1336
.LBB31_1332:
	s_mov_b32 s58, -1
                                        ; implicit-def: $vgpr10
.LBB31_1333:
	s_delay_alu instid0(SALU_CYCLE_1)
	s_and_not1_b32 vcc_lo, exec_lo, s58
	s_cbranch_vccnz .LBB31_1335
; %bb.1334:
	s_wait_loadcnt 0x0
	global_load_u16 v10, v[6:7], off
.LBB31_1335:
	s_mov_b32 s58, 0
.LBB31_1336:
	s_delay_alu instid0(SALU_CYCLE_1)
	s_and_not1_b32 vcc_lo, exec_lo, s58
	s_cbranch_vccnz .LBB31_1342
; %bb.1337:
	global_load_u8 v1, v[6:7], off
	s_mov_b32 s59, 0
	s_mov_b32 s58, exec_lo
	s_wait_loadcnt 0x0
	v_cmpx_lt_i16_e32 0x7f, v1
	s_xor_b32 s58, exec_lo, s58
	s_cbranch_execz .LBB31_1354
; %bb.1338:
	v_cmp_ne_u16_e32 vcc_lo, 0x80, v1
	s_and_b32 s59, vcc_lo, exec_lo
	s_and_not1_saveexec_b32 s58, s58
	s_cbranch_execnz .LBB31_1355
.LBB31_1339:
	s_or_b32 exec_lo, exec_lo, s58
	v_mov_b32_e32 v10, 0
	s_and_saveexec_b32 s58, s59
	s_cbranch_execz .LBB31_1341
.LBB31_1340:
	v_and_b32_e32 v3, 0xffff, v1
	s_delay_alu instid0(VALU_DEP_1) | instskip(SKIP_1) | instid1(VALU_DEP_2)
	v_and_b32_e32 v5, 7, v3
	v_bfe_u32 v11, v3, 3, 4
	v_clz_i32_u32_e32 v9, v5
	s_delay_alu instid0(VALU_DEP_2) | instskip(NEXT) | instid1(VALU_DEP_2)
	v_cmp_eq_u32_e32 vcc_lo, 0, v11
	v_min_u32_e32 v9, 32, v9
	s_delay_alu instid0(VALU_DEP_1) | instskip(NEXT) | instid1(VALU_DEP_1)
	v_subrev_nc_u32_e32 v10, 28, v9
	v_dual_lshlrev_b32 v3, v10, v3 :: v_dual_sub_nc_u32 v9, 29, v9
	s_delay_alu instid0(VALU_DEP_1) | instskip(NEXT) | instid1(VALU_DEP_1)
	v_dual_lshlrev_b32 v1, 24, v1 :: v_dual_bitop2_b32 v3, 7, v3 bitop3:0x40
	v_dual_cndmask_b32 v3, v5, v3, vcc_lo :: v_dual_cndmask_b32 v9, v11, v9, vcc_lo
	s_delay_alu instid0(VALU_DEP_2) | instskip(NEXT) | instid1(VALU_DEP_2)
	v_and_b32_e32 v1, 0x80000000, v1
	v_lshlrev_b32_e32 v3, 20, v3
	s_delay_alu instid0(VALU_DEP_3) | instskip(NEXT) | instid1(VALU_DEP_1)
	v_lshl_add_u32 v5, v9, 23, 0x3b800000
	v_or3_b32 v1, v1, v5, v3
	s_delay_alu instid0(VALU_DEP_1) | instskip(NEXT) | instid1(VALU_DEP_1)
	v_trunc_f32_e32 v1, v1
	v_mul_f32_e64 v3, 0x2f800000, |v1|
	s_delay_alu instid0(VALU_DEP_1) | instskip(NEXT) | instid1(VALU_DEP_1)
	v_floor_f32_e32 v3, v3
	v_fma_f32 v3, 0xcf800000, v3, |v1|
	v_ashrrev_i32_e32 v1, 31, v1
	s_delay_alu instid0(VALU_DEP_2) | instskip(NEXT) | instid1(VALU_DEP_1)
	v_cvt_u32_f32_e32 v3, v3
	v_xor_b32_e32 v3, v3, v1
	s_delay_alu instid0(VALU_DEP_1)
	v_sub_nc_u32_e32 v10, v3, v1
.LBB31_1341:
	s_or_b32 exec_lo, exec_lo, s58
.LBB31_1342:
	s_mov_b32 s58, -1
.LBB31_1343:
	s_mov_b32 s59, 0
.LBB31_1344:
	s_delay_alu instid0(SALU_CYCLE_1)
	s_and_b32 vcc_lo, exec_lo, s59
	s_cbranch_vccz .LBB31_1377
; %bb.1345:
	s_cmp_gt_i32 s37, 22
	s_cbranch_scc0 .LBB31_1353
; %bb.1346:
	s_cmp_lt_i32 s37, 24
	s_cbranch_scc1 .LBB31_1356
; %bb.1347:
	s_cmp_gt_i32 s37, 24
	s_cbranch_scc0 .LBB31_1357
; %bb.1348:
	global_load_u8 v1, v[6:7], off
	s_mov_b32 s59, 0
	s_mov_b32 s58, exec_lo
	s_wait_loadcnt 0x0
	v_cmpx_lt_i16_e32 0x7f, v1
	s_xor_b32 s58, exec_lo, s58
	s_cbranch_execz .LBB31_1369
; %bb.1349:
	v_cmp_ne_u16_e32 vcc_lo, 0x80, v1
	s_and_b32 s59, vcc_lo, exec_lo
	s_and_not1_saveexec_b32 s58, s58
	s_cbranch_execnz .LBB31_1370
.LBB31_1350:
	s_or_b32 exec_lo, exec_lo, s58
	v_mov_b32_e32 v10, 0
	s_and_saveexec_b32 s58, s59
	s_cbranch_execz .LBB31_1352
.LBB31_1351:
	v_and_b32_e32 v3, 0xffff, v1
	s_delay_alu instid0(VALU_DEP_1) | instskip(SKIP_1) | instid1(VALU_DEP_2)
	v_and_b32_e32 v5, 3, v3
	v_bfe_u32 v11, v3, 2, 5
	v_clz_i32_u32_e32 v9, v5
	s_delay_alu instid0(VALU_DEP_2) | instskip(NEXT) | instid1(VALU_DEP_2)
	v_cmp_eq_u32_e32 vcc_lo, 0, v11
	v_min_u32_e32 v9, 32, v9
	s_delay_alu instid0(VALU_DEP_1) | instskip(NEXT) | instid1(VALU_DEP_1)
	v_subrev_nc_u32_e32 v10, 29, v9
	v_dual_lshlrev_b32 v3, v10, v3 :: v_dual_sub_nc_u32 v9, 30, v9
	s_delay_alu instid0(VALU_DEP_1) | instskip(NEXT) | instid1(VALU_DEP_1)
	v_dual_lshlrev_b32 v1, 24, v1 :: v_dual_bitop2_b32 v3, 3, v3 bitop3:0x40
	v_dual_cndmask_b32 v3, v5, v3, vcc_lo :: v_dual_cndmask_b32 v9, v11, v9, vcc_lo
	s_delay_alu instid0(VALU_DEP_2) | instskip(NEXT) | instid1(VALU_DEP_2)
	v_and_b32_e32 v1, 0x80000000, v1
	v_lshlrev_b32_e32 v3, 21, v3
	s_delay_alu instid0(VALU_DEP_3) | instskip(NEXT) | instid1(VALU_DEP_1)
	v_lshl_add_u32 v5, v9, 23, 0x37800000
	v_or3_b32 v1, v1, v5, v3
	s_delay_alu instid0(VALU_DEP_1) | instskip(NEXT) | instid1(VALU_DEP_1)
	v_trunc_f32_e32 v1, v1
	v_mul_f32_e64 v3, 0x2f800000, |v1|
	s_delay_alu instid0(VALU_DEP_1) | instskip(NEXT) | instid1(VALU_DEP_1)
	v_floor_f32_e32 v3, v3
	v_fma_f32 v3, 0xcf800000, v3, |v1|
	v_ashrrev_i32_e32 v1, 31, v1
	s_delay_alu instid0(VALU_DEP_2) | instskip(NEXT) | instid1(VALU_DEP_1)
	v_cvt_u32_f32_e32 v3, v3
	v_xor_b32_e32 v3, v3, v1
	s_delay_alu instid0(VALU_DEP_1)
	v_sub_nc_u32_e32 v10, v3, v1
.LBB31_1352:
	s_or_b32 exec_lo, exec_lo, s58
	s_mov_b32 s58, 0
	s_branch .LBB31_1358
.LBB31_1353:
	s_mov_b32 s59, -1
                                        ; implicit-def: $vgpr10
	s_branch .LBB31_1364
.LBB31_1354:
	s_and_not1_saveexec_b32 s58, s58
	s_cbranch_execz .LBB31_1339
.LBB31_1355:
	v_cmp_ne_u16_e32 vcc_lo, 0, v1
	s_and_not1_b32 s59, s59, exec_lo
	s_and_b32 s60, vcc_lo, exec_lo
	s_delay_alu instid0(SALU_CYCLE_1)
	s_or_b32 s59, s59, s60
	s_or_b32 exec_lo, exec_lo, s58
	v_mov_b32_e32 v10, 0
	s_and_saveexec_b32 s58, s59
	s_cbranch_execnz .LBB31_1340
	s_branch .LBB31_1341
.LBB31_1356:
	s_mov_b32 s58, -1
                                        ; implicit-def: $vgpr10
	s_branch .LBB31_1361
.LBB31_1357:
	s_mov_b32 s58, -1
                                        ; implicit-def: $vgpr10
.LBB31_1358:
	s_delay_alu instid0(SALU_CYCLE_1)
	s_and_b32 vcc_lo, exec_lo, s58
	s_cbranch_vccz .LBB31_1360
; %bb.1359:
	global_load_u8 v1, v[6:7], off
	s_wait_loadcnt 0x0
	v_lshlrev_b32_e32 v1, 24, v1
	s_delay_alu instid0(VALU_DEP_1) | instskip(NEXT) | instid1(VALU_DEP_1)
	v_and_b32_e32 v3, 0x7f000000, v1
	v_clz_i32_u32_e32 v5, v3
	v_cmp_ne_u32_e32 vcc_lo, 0, v3
	s_wait_xcnt 0x1
	v_add_nc_u32_e32 v10, 0x1000000, v3
	s_delay_alu instid0(VALU_DEP_3) | instskip(NEXT) | instid1(VALU_DEP_1)
	v_min_u32_e32 v5, 32, v5
	v_sub_nc_u32_e64 v5, v5, 4 clamp
	s_delay_alu instid0(VALU_DEP_1) | instskip(NEXT) | instid1(VALU_DEP_1)
	v_dual_lshlrev_b32 v9, v5, v3 :: v_dual_lshlrev_b32 v5, 23, v5
	v_lshrrev_b32_e32 v9, 4, v9
	s_delay_alu instid0(VALU_DEP_1) | instskip(NEXT) | instid1(VALU_DEP_1)
	v_dual_sub_nc_u32 v5, v9, v5 :: v_dual_ashrrev_i32 v9, 8, v10
	v_add_nc_u32_e32 v5, 0x3c000000, v5
	s_delay_alu instid0(VALU_DEP_1) | instskip(NEXT) | instid1(VALU_DEP_1)
	v_and_or_b32 v5, 0x7f800000, v9, v5
	v_cndmask_b32_e32 v3, 0, v5, vcc_lo
	s_delay_alu instid0(VALU_DEP_1) | instskip(NEXT) | instid1(VALU_DEP_1)
	v_and_or_b32 v1, 0x80000000, v1, v3
	v_trunc_f32_e32 v1, v1
	s_delay_alu instid0(VALU_DEP_1) | instskip(NEXT) | instid1(VALU_DEP_1)
	v_mul_f32_e64 v3, 0x2f800000, |v1|
	v_floor_f32_e32 v3, v3
	s_delay_alu instid0(VALU_DEP_1) | instskip(SKIP_1) | instid1(VALU_DEP_2)
	v_fma_f32 v3, 0xcf800000, v3, |v1|
	v_ashrrev_i32_e32 v1, 31, v1
	v_cvt_u32_f32_e32 v3, v3
	s_delay_alu instid0(VALU_DEP_1) | instskip(NEXT) | instid1(VALU_DEP_1)
	v_xor_b32_e32 v3, v3, v1
	v_sub_nc_u32_e32 v10, v3, v1
.LBB31_1360:
	s_mov_b32 s58, 0
.LBB31_1361:
	s_delay_alu instid0(SALU_CYCLE_1)
	s_and_not1_b32 vcc_lo, exec_lo, s58
	s_cbranch_vccnz .LBB31_1363
; %bb.1362:
	global_load_u8 v1, v[6:7], off
	s_wait_loadcnt 0x0
	v_lshlrev_b32_e32 v3, 25, v1
	v_lshlrev_b16 v1, 8, v1
	s_delay_alu instid0(VALU_DEP_2) | instskip(NEXT) | instid1(VALU_DEP_2)
	v_cmp_gt_u32_e32 vcc_lo, 0x8000000, v3
	v_and_or_b32 v9, 0x7f00, v1, 0.5
	v_lshrrev_b32_e32 v5, 4, v3
	v_bfe_i32 v1, v1, 0, 16
	s_delay_alu instid0(VALU_DEP_3) | instskip(NEXT) | instid1(VALU_DEP_3)
	v_add_f32_e32 v9, -0.5, v9
	v_or_b32_e32 v5, 0x70000000, v5
	s_delay_alu instid0(VALU_DEP_1) | instskip(NEXT) | instid1(VALU_DEP_1)
	v_mul_f32_e32 v5, 0x7800000, v5
	v_cndmask_b32_e32 v3, v5, v9, vcc_lo
	s_delay_alu instid0(VALU_DEP_1) | instskip(NEXT) | instid1(VALU_DEP_1)
	v_and_or_b32 v1, 0x80000000, v1, v3
	v_trunc_f32_e32 v1, v1
	s_delay_alu instid0(VALU_DEP_1) | instskip(NEXT) | instid1(VALU_DEP_1)
	v_mul_f32_e64 v3, 0x2f800000, |v1|
	v_floor_f32_e32 v3, v3
	s_delay_alu instid0(VALU_DEP_1) | instskip(SKIP_1) | instid1(VALU_DEP_2)
	v_fma_f32 v3, 0xcf800000, v3, |v1|
	v_ashrrev_i32_e32 v1, 31, v1
	v_cvt_u32_f32_e32 v3, v3
	s_delay_alu instid0(VALU_DEP_1) | instskip(SKIP_1) | instid1(VALU_DEP_1)
	v_xor_b32_e32 v3, v3, v1
	s_wait_xcnt 0x1
	v_sub_nc_u32_e32 v10, v3, v1
.LBB31_1363:
	s_mov_b32 s59, 0
	s_mov_b32 s58, -1
.LBB31_1364:
	s_and_not1_b32 vcc_lo, exec_lo, s59
	s_cbranch_vccnz .LBB31_1377
; %bb.1365:
	s_cmp_gt_i32 s37, 14
	s_cbranch_scc0 .LBB31_1368
; %bb.1366:
	s_cmp_eq_u32 s37, 15
	s_cbranch_scc0 .LBB31_1371
; %bb.1367:
	global_load_u16 v1, v[6:7], off
	s_mov_b32 s58, -1
	s_mov_b32 s36, 0
	s_wait_loadcnt 0x0
	v_lshlrev_b32_e32 v1, 16, v1
	s_delay_alu instid0(VALU_DEP_1) | instskip(NEXT) | instid1(VALU_DEP_1)
	v_trunc_f32_e32 v1, v1
	v_mul_f32_e64 v3, 0x2f800000, |v1|
	s_delay_alu instid0(VALU_DEP_1) | instskip(NEXT) | instid1(VALU_DEP_1)
	v_floor_f32_e32 v3, v3
	v_fma_f32 v3, 0xcf800000, v3, |v1|
	v_ashrrev_i32_e32 v1, 31, v1
	s_delay_alu instid0(VALU_DEP_2) | instskip(NEXT) | instid1(VALU_DEP_1)
	v_cvt_u32_f32_e32 v3, v3
	v_xor_b32_e32 v3, v3, v1
	s_wait_xcnt 0x1
	s_delay_alu instid0(VALU_DEP_1)
	v_sub_nc_u32_e32 v10, v3, v1
	s_branch .LBB31_1372
.LBB31_1368:
	s_mov_b32 s59, -1
                                        ; implicit-def: $vgpr10
	s_branch .LBB31_1373
.LBB31_1369:
	s_and_not1_saveexec_b32 s58, s58
	s_cbranch_execz .LBB31_1350
.LBB31_1370:
	v_cmp_ne_u16_e32 vcc_lo, 0, v1
	s_and_not1_b32 s59, s59, exec_lo
	s_and_b32 s60, vcc_lo, exec_lo
	s_delay_alu instid0(SALU_CYCLE_1)
	s_or_b32 s59, s59, s60
	s_or_b32 exec_lo, exec_lo, s58
	v_mov_b32_e32 v10, 0
	s_and_saveexec_b32 s58, s59
	s_cbranch_execnz .LBB31_1351
	s_branch .LBB31_1352
.LBB31_1371:
	s_mov_b32 s36, -1
                                        ; implicit-def: $vgpr10
.LBB31_1372:
	s_mov_b32 s59, 0
.LBB31_1373:
	s_delay_alu instid0(SALU_CYCLE_1)
	s_and_b32 vcc_lo, exec_lo, s59
	s_cbranch_vccz .LBB31_1377
; %bb.1374:
	s_cmp_eq_u32 s37, 11
	s_cbranch_scc0 .LBB31_1376
; %bb.1375:
	global_load_u8 v1, v[6:7], off
	s_mov_b32 s36, 0
	s_mov_b32 s58, -1
	s_wait_loadcnt 0x0
	v_cmp_ne_u16_e32 vcc_lo, 0, v1
	s_wait_xcnt 0x1
	v_cndmask_b32_e64 v10, 0, 1, vcc_lo
	s_branch .LBB31_1377
.LBB31_1376:
	s_mov_b32 s36, -1
                                        ; implicit-def: $vgpr10
.LBB31_1377:
	s_mov_b32 s37, 0
.LBB31_1378:
	s_delay_alu instid0(SALU_CYCLE_1)
	s_and_b32 vcc_lo, exec_lo, s37
	s_cbranch_vccz .LBB31_1427
; %bb.1379:
	s_and_b32 s0, 0xffff, s0
	s_delay_alu instid0(SALU_CYCLE_1)
	s_cmp_lt_i32 s0, 5
	s_cbranch_scc1 .LBB31_1384
; %bb.1380:
	s_cmp_lt_i32 s0, 8
	s_cbranch_scc1 .LBB31_1385
; %bb.1381:
	;; [unrolled: 3-line block ×3, first 2 shown]
	s_cmp_gt_i32 s0, 9
	s_cbranch_scc0 .LBB31_1387
; %bb.1383:
	s_wait_loadcnt 0x0
	global_load_b64 v[10:11], v[6:7], off
	s_mov_b32 s37, 0
	s_wait_loadcnt 0x0
	v_trunc_f64_e32 v[10:11], v[10:11]
	s_delay_alu instid0(VALU_DEP_1) | instskip(NEXT) | instid1(VALU_DEP_1)
	v_ldexp_f64 v[12:13], v[10:11], 0xffffffe0
	v_floor_f64_e32 v[12:13], v[12:13]
	s_delay_alu instid0(VALU_DEP_1) | instskip(NEXT) | instid1(VALU_DEP_1)
	v_fmamk_f64 v[10:11], v[12:13], 0xc1f00000, v[10:11]
	v_cvt_u32_f64_e32 v10, v[10:11]
	s_branch .LBB31_1388
.LBB31_1384:
	s_mov_b32 s37, -1
                                        ; implicit-def: $vgpr10
	s_branch .LBB31_1406
.LBB31_1385:
	s_mov_b32 s37, -1
                                        ; implicit-def: $vgpr10
	s_branch .LBB31_1394
.LBB31_1386:
	s_mov_b32 s37, -1
                                        ; implicit-def: $vgpr10
	s_branch .LBB31_1391
.LBB31_1387:
	s_mov_b32 s37, -1
                                        ; implicit-def: $vgpr10
.LBB31_1388:
	s_delay_alu instid0(SALU_CYCLE_1)
	s_and_not1_b32 vcc_lo, exec_lo, s37
	s_cbranch_vccnz .LBB31_1390
; %bb.1389:
	global_load_b32 v1, v[6:7], off
	s_wait_loadcnt 0x0
	v_trunc_f32_e32 v1, v1
	s_delay_alu instid0(VALU_DEP_1) | instskip(NEXT) | instid1(VALU_DEP_1)
	v_mul_f32_e64 v3, 0x2f800000, |v1|
	v_floor_f32_e32 v3, v3
	s_delay_alu instid0(VALU_DEP_1) | instskip(SKIP_1) | instid1(VALU_DEP_2)
	v_fma_f32 v3, 0xcf800000, v3, |v1|
	v_ashrrev_i32_e32 v1, 31, v1
	v_cvt_u32_f32_e32 v3, v3
	s_delay_alu instid0(VALU_DEP_1) | instskip(SKIP_1) | instid1(VALU_DEP_1)
	v_xor_b32_e32 v3, v3, v1
	s_wait_xcnt 0x1
	v_sub_nc_u32_e32 v10, v3, v1
.LBB31_1390:
	s_mov_b32 s37, 0
.LBB31_1391:
	s_delay_alu instid0(SALU_CYCLE_1)
	s_and_not1_b32 vcc_lo, exec_lo, s37
	s_cbranch_vccnz .LBB31_1393
; %bb.1392:
	global_load_b32 v1, v[6:7], off
	s_wait_loadcnt 0x0
	v_cvt_f32_f16_e32 v1, v1
	s_wait_xcnt 0x1
	s_delay_alu instid0(VALU_DEP_1)
	v_cvt_i32_f32_e32 v10, v1
.LBB31_1393:
	s_mov_b32 s37, 0
.LBB31_1394:
	s_delay_alu instid0(SALU_CYCLE_1)
	s_and_not1_b32 vcc_lo, exec_lo, s37
	s_cbranch_vccnz .LBB31_1405
; %bb.1395:
	s_cmp_lt_i32 s0, 6
	s_cbranch_scc1 .LBB31_1398
; %bb.1396:
	s_cmp_gt_i32 s0, 6
	s_cbranch_scc0 .LBB31_1399
; %bb.1397:
	s_wait_loadcnt 0x0
	global_load_b64 v[10:11], v[6:7], off
	s_mov_b32 s37, 0
	s_wait_loadcnt 0x0
	v_trunc_f64_e32 v[10:11], v[10:11]
	s_delay_alu instid0(VALU_DEP_1) | instskip(NEXT) | instid1(VALU_DEP_1)
	v_ldexp_f64 v[12:13], v[10:11], 0xffffffe0
	v_floor_f64_e32 v[12:13], v[12:13]
	s_delay_alu instid0(VALU_DEP_1) | instskip(NEXT) | instid1(VALU_DEP_1)
	v_fmamk_f64 v[10:11], v[12:13], 0xc1f00000, v[10:11]
	v_cvt_u32_f64_e32 v10, v[10:11]
	s_branch .LBB31_1400
.LBB31_1398:
	s_mov_b32 s37, -1
                                        ; implicit-def: $vgpr10
	s_branch .LBB31_1403
.LBB31_1399:
	s_mov_b32 s37, -1
                                        ; implicit-def: $vgpr10
.LBB31_1400:
	s_delay_alu instid0(SALU_CYCLE_1)
	s_and_not1_b32 vcc_lo, exec_lo, s37
	s_cbranch_vccnz .LBB31_1402
; %bb.1401:
	global_load_b32 v1, v[6:7], off
	s_wait_loadcnt 0x0
	v_trunc_f32_e32 v1, v1
	s_delay_alu instid0(VALU_DEP_1) | instskip(NEXT) | instid1(VALU_DEP_1)
	v_mul_f32_e64 v3, 0x2f800000, |v1|
	v_floor_f32_e32 v3, v3
	s_delay_alu instid0(VALU_DEP_1) | instskip(SKIP_1) | instid1(VALU_DEP_2)
	v_fma_f32 v3, 0xcf800000, v3, |v1|
	v_ashrrev_i32_e32 v1, 31, v1
	v_cvt_u32_f32_e32 v3, v3
	s_delay_alu instid0(VALU_DEP_1) | instskip(SKIP_1) | instid1(VALU_DEP_1)
	v_xor_b32_e32 v3, v3, v1
	s_wait_xcnt 0x1
	v_sub_nc_u32_e32 v10, v3, v1
.LBB31_1402:
	s_mov_b32 s37, 0
.LBB31_1403:
	s_delay_alu instid0(SALU_CYCLE_1)
	s_and_not1_b32 vcc_lo, exec_lo, s37
	s_cbranch_vccnz .LBB31_1405
; %bb.1404:
	global_load_u16 v1, v[6:7], off
	s_wait_loadcnt 0x0
	v_cvt_f32_f16_e32 v1, v1
	s_wait_xcnt 0x1
	s_delay_alu instid0(VALU_DEP_1)
	v_cvt_i32_f32_e32 v10, v1
.LBB31_1405:
	s_mov_b32 s37, 0
.LBB31_1406:
	s_delay_alu instid0(SALU_CYCLE_1)
	s_and_not1_b32 vcc_lo, exec_lo, s37
	s_cbranch_vccnz .LBB31_1426
; %bb.1407:
	s_cmp_lt_i32 s0, 2
	s_cbranch_scc1 .LBB31_1411
; %bb.1408:
	s_cmp_lt_i32 s0, 3
	s_cbranch_scc1 .LBB31_1412
; %bb.1409:
	s_cmp_gt_i32 s0, 3
	s_cbranch_scc0 .LBB31_1413
; %bb.1410:
	s_wait_loadcnt 0x0
	global_load_b64 v[10:11], v[6:7], off
	s_mov_b32 s37, 0
	s_branch .LBB31_1414
.LBB31_1411:
	s_mov_b32 s37, -1
                                        ; implicit-def: $vgpr10
	s_branch .LBB31_1420
.LBB31_1412:
	s_mov_b32 s37, -1
                                        ; implicit-def: $vgpr10
	s_branch .LBB31_1417
.LBB31_1413:
	s_mov_b32 s37, -1
                                        ; implicit-def: $vgpr10
.LBB31_1414:
	s_delay_alu instid0(SALU_CYCLE_1)
	s_and_not1_b32 vcc_lo, exec_lo, s37
	s_cbranch_vccnz .LBB31_1416
; %bb.1415:
	s_wait_loadcnt 0x0
	global_load_b32 v10, v[6:7], off
.LBB31_1416:
	s_mov_b32 s37, 0
.LBB31_1417:
	s_delay_alu instid0(SALU_CYCLE_1)
	s_and_not1_b32 vcc_lo, exec_lo, s37
	s_cbranch_vccnz .LBB31_1419
; %bb.1418:
	s_wait_loadcnt 0x0
	global_load_u16 v10, v[6:7], off
.LBB31_1419:
	s_mov_b32 s37, 0
.LBB31_1420:
	s_delay_alu instid0(SALU_CYCLE_1)
	s_and_not1_b32 vcc_lo, exec_lo, s37
	s_cbranch_vccnz .LBB31_1426
; %bb.1421:
	s_cmp_gt_i32 s0, 0
	s_mov_b32 s0, 0
	s_cbranch_scc0 .LBB31_1423
; %bb.1422:
	s_wait_loadcnt 0x0
	global_load_u8 v10, v[6:7], off
	s_branch .LBB31_1424
.LBB31_1423:
	s_mov_b32 s0, -1
                                        ; implicit-def: $vgpr10
.LBB31_1424:
	s_delay_alu instid0(SALU_CYCLE_1)
	s_and_not1_b32 vcc_lo, exec_lo, s0
	s_cbranch_vccnz .LBB31_1426
; %bb.1425:
	s_wait_loadcnt 0x0
	global_load_u8 v10, v[6:7], off
.LBB31_1426:
	s_mov_b32 s58, -1
.LBB31_1427:
	s_delay_alu instid0(SALU_CYCLE_1)
	s_and_not1_b32 vcc_lo, exec_lo, s58
	s_cbranch_vccnz .LBB31_1435
; %bb.1428:
	v_mov_b32_e32 v3, 0
	s_wait_loadcnt 0x0
	v_mul_lo_u16 v1, v4, s24
	v_mul_lo_u16 v4, v8, s42
	s_and_b32 s37, s21, 0xff
	s_delay_alu instid0(SALU_CYCLE_1) | instskip(SKIP_1) | instid1(VALU_DEP_2)
	s_cmp_lt_i32 s37, 11
	v_add_nc_u64_e32 v[2:3], s[4:5], v[2:3]
	v_mad_u16 v1, v4, v10, v1
	s_cbranch_scc1 .LBB31_1436
; %bb.1429:
	s_and_b32 s58, 0xffff, s37
	s_delay_alu instid0(SALU_CYCLE_1)
	s_cmp_gt_i32 s58, 25
	s_cbranch_scc0 .LBB31_1437
; %bb.1430:
	s_cmp_gt_i32 s58, 28
	s_cbranch_scc0 .LBB31_1438
; %bb.1431:
	;; [unrolled: 3-line block ×4, first 2 shown]
	s_mov_b32 s60, 0
	s_mov_b32 s0, -1
	s_cmp_eq_u32 s58, 46
	s_mov_b32 s59, 0
	s_cbranch_scc0 .LBB31_1441
; %bb.1434:
	v_cvt_f32_ubyte0_e32 v4, v1
	s_mov_b32 s59, -1
	s_mov_b32 s0, 0
	s_delay_alu instid0(VALU_DEP_1) | instskip(NEXT) | instid1(VALU_DEP_1)
	v_bfe_u32 v5, v4, 16, 1
	v_add3_u32 v4, v4, v5, 0x7fff
	s_delay_alu instid0(VALU_DEP_1)
	v_lshrrev_b32_e32 v4, 16, v4
	global_store_b32 v[2:3], v4, off
	s_branch .LBB31_1441
.LBB31_1435:
	s_mov_b32 s37, 0
	s_mov_b32 s0, s53
	s_branch .LBB31_1552
.LBB31_1436:
	s_mov_b32 s58, -1
	s_mov_b32 s59, 0
	s_mov_b32 s0, s53
	s_branch .LBB31_1510
.LBB31_1437:
	s_mov_b32 s60, -1
	s_mov_b32 s59, 0
	s_mov_b32 s0, s53
	s_branch .LBB31_1468
.LBB31_1438:
	s_mov_b32 s60, -1
	s_mov_b32 s59, 0
	s_mov_b32 s0, s53
	s_branch .LBB31_1451
.LBB31_1439:
	s_mov_b32 s60, -1
	s_mov_b32 s59, 0
	s_mov_b32 s0, s53
	s_branch .LBB31_1447
.LBB31_1440:
	s_mov_b32 s60, -1
	s_mov_b32 s59, 0
	s_mov_b32 s0, s53
.LBB31_1441:
	s_and_b32 vcc_lo, exec_lo, s60
	s_cbranch_vccz .LBB31_1446
; %bb.1442:
	s_cmp_eq_u32 s58, 44
	s_mov_b32 s0, -1
	s_cbranch_scc0 .LBB31_1446
; %bb.1443:
	s_wait_xcnt 0x0
	v_cvt_f32_ubyte0_e32 v6, v1
	s_mov_b32 s59, exec_lo
	s_delay_alu instid0(VALU_DEP_1) | instskip(NEXT) | instid1(VALU_DEP_1)
	v_dual_mov_b32 v5, 0xff :: v_dual_lshrrev_b32 v4, 23, v6
	v_cmpx_ne_u32_e32 0xff, v4
; %bb.1444:
	v_and_b32_e32 v5, 0x400000, v6
	v_and_or_b32 v6, 0x3fffff, v6, v4
	s_delay_alu instid0(VALU_DEP_2) | instskip(NEXT) | instid1(VALU_DEP_2)
	v_cmp_ne_u32_e32 vcc_lo, 0, v5
	v_cmp_ne_u32_e64 s0, 0, v6
	s_and_b32 s0, vcc_lo, s0
	s_delay_alu instid0(SALU_CYCLE_1) | instskip(NEXT) | instid1(VALU_DEP_1)
	v_cndmask_b32_e64 v5, 0, 1, s0
	v_add_nc_u32_e32 v5, v4, v5
; %bb.1445:
	s_or_b32 exec_lo, exec_lo, s59
	s_mov_b32 s59, -1
	s_mov_b32 s0, 0
	global_store_b8 v[2:3], v5, off
.LBB31_1446:
	s_mov_b32 s60, 0
.LBB31_1447:
	s_delay_alu instid0(SALU_CYCLE_1)
	s_and_b32 vcc_lo, exec_lo, s60
	s_cbranch_vccz .LBB31_1450
; %bb.1448:
	s_cmp_eq_u32 s58, 29
	s_mov_b32 s0, -1
	s_cbranch_scc0 .LBB31_1450
; %bb.1449:
	s_wait_xcnt 0x0
	v_and_b32_e32 v4, 0xff, v1
	v_mov_b32_e32 v5, 0
	s_mov_b32 s59, -1
	s_mov_b32 s0, 0
	s_mov_b32 s60, 0
	global_store_b64 v[2:3], v[4:5], off
	s_branch .LBB31_1451
.LBB31_1450:
	s_mov_b32 s60, 0
.LBB31_1451:
	s_delay_alu instid0(SALU_CYCLE_1)
	s_and_b32 vcc_lo, exec_lo, s60
	s_cbranch_vccz .LBB31_1467
; %bb.1452:
	s_cmp_lt_i32 s58, 27
	s_mov_b32 s59, -1
	s_cbranch_scc1 .LBB31_1458
; %bb.1453:
	s_cmp_gt_i32 s58, 27
	s_cbranch_scc0 .LBB31_1455
; %bb.1454:
	s_wait_xcnt 0x0
	v_and_b32_e32 v4, 0xff, v1
	s_mov_b32 s59, 0
	global_store_b32 v[2:3], v4, off
.LBB31_1455:
	s_and_not1_b32 vcc_lo, exec_lo, s59
	s_cbranch_vccnz .LBB31_1457
; %bb.1456:
	s_wait_xcnt 0x0
	v_and_b32_e32 v4, 0xff, v1
	global_store_b16 v[2:3], v4, off
.LBB31_1457:
	s_mov_b32 s59, 0
.LBB31_1458:
	s_delay_alu instid0(SALU_CYCLE_1)
	s_and_not1_b32 vcc_lo, exec_lo, s59
	s_cbranch_vccnz .LBB31_1466
; %bb.1459:
	s_wait_xcnt 0x0
	v_cvt_f32_ubyte0_e32 v5, v1
	v_mov_b32_e32 v6, 0x80
	s_mov_b32 s59, exec_lo
	s_delay_alu instid0(VALU_DEP_2)
	v_cmpx_gt_u32_e32 0x43800000, v5
	s_cbranch_execz .LBB31_1465
; %bb.1460:
	s_mov_b32 s60, 0
	s_mov_b32 s61, exec_lo
                                        ; implicit-def: $vgpr4
	v_cmpx_lt_u32_e32 0x3bffffff, v5
	s_xor_b32 s61, exec_lo, s61
	s_cbranch_execz .LBB31_2745
; %bb.1461:
	v_bfe_u32 v4, v5, 20, 1
	s_mov_b32 s60, exec_lo
	s_delay_alu instid0(VALU_DEP_1) | instskip(NEXT) | instid1(VALU_DEP_1)
	v_add3_u32 v4, v5, v4, 0x487ffff
                                        ; implicit-def: $vgpr5
	v_lshrrev_b32_e32 v4, 20, v4
	s_and_not1_saveexec_b32 s61, s61
	s_cbranch_execnz .LBB31_2746
.LBB31_1462:
	s_or_b32 exec_lo, exec_lo, s61
	v_mov_b32_e32 v6, 0
	s_and_saveexec_b32 s61, s60
.LBB31_1463:
	v_mov_b32_e32 v6, v4
.LBB31_1464:
	s_or_b32 exec_lo, exec_lo, s61
.LBB31_1465:
	s_delay_alu instid0(SALU_CYCLE_1)
	s_or_b32 exec_lo, exec_lo, s59
	global_store_b8 v[2:3], v6, off
.LBB31_1466:
	s_mov_b32 s59, -1
.LBB31_1467:
	s_mov_b32 s60, 0
.LBB31_1468:
	s_delay_alu instid0(SALU_CYCLE_1)
	s_and_b32 vcc_lo, exec_lo, s60
	s_cbranch_vccz .LBB31_1509
; %bb.1469:
	s_cmp_gt_i32 s58, 22
	s_mov_b32 s60, -1
	s_cbranch_scc0 .LBB31_1501
; %bb.1470:
	s_cmp_lt_i32 s58, 24
	s_mov_b32 s59, -1
	s_cbranch_scc1 .LBB31_1490
; %bb.1471:
	s_cmp_gt_i32 s58, 24
	s_cbranch_scc0 .LBB31_1479
; %bb.1472:
	s_wait_xcnt 0x0
	v_cvt_f32_ubyte0_e32 v5, v1
	v_mov_b32_e32 v6, 0x80
	s_mov_b32 s59, exec_lo
	s_delay_alu instid0(VALU_DEP_2)
	v_cmpx_gt_u32_e32 0x47800000, v5
	s_cbranch_execz .LBB31_1478
; %bb.1473:
	s_mov_b32 s60, 0
	s_mov_b32 s61, exec_lo
                                        ; implicit-def: $vgpr4
	v_cmpx_lt_u32_e32 0x37ffffff, v5
	s_xor_b32 s61, exec_lo, s61
	s_cbranch_execz .LBB31_2874
; %bb.1474:
	v_bfe_u32 v4, v5, 21, 1
	s_mov_b32 s60, exec_lo
	s_delay_alu instid0(VALU_DEP_1) | instskip(NEXT) | instid1(VALU_DEP_1)
	v_add3_u32 v4, v5, v4, 0x88fffff
                                        ; implicit-def: $vgpr5
	v_lshrrev_b32_e32 v4, 21, v4
	s_and_not1_saveexec_b32 s61, s61
	s_cbranch_execnz .LBB31_2875
.LBB31_1475:
	s_or_b32 exec_lo, exec_lo, s61
	v_mov_b32_e32 v6, 0
	s_and_saveexec_b32 s61, s60
.LBB31_1476:
	v_mov_b32_e32 v6, v4
.LBB31_1477:
	s_or_b32 exec_lo, exec_lo, s61
.LBB31_1478:
	s_delay_alu instid0(SALU_CYCLE_1)
	s_or_b32 exec_lo, exec_lo, s59
	s_mov_b32 s59, 0
	global_store_b8 v[2:3], v6, off
.LBB31_1479:
	s_and_b32 vcc_lo, exec_lo, s59
	s_cbranch_vccz .LBB31_1489
; %bb.1480:
	s_wait_xcnt 0x0
	v_cvt_f32_ubyte0_e32 v5, v1
	s_mov_b32 s59, exec_lo
                                        ; implicit-def: $vgpr4
	s_delay_alu instid0(VALU_DEP_1)
	v_cmpx_gt_u32_e32 0x43f00000, v5
	s_xor_b32 s59, exec_lo, s59
	s_cbranch_execz .LBB31_1486
; %bb.1481:
	s_mov_b32 s60, exec_lo
                                        ; implicit-def: $vgpr4
	v_cmpx_lt_u32_e32 0x3c7fffff, v5
	s_xor_b32 s60, exec_lo, s60
; %bb.1482:
	v_bfe_u32 v4, v5, 20, 1
	s_delay_alu instid0(VALU_DEP_1) | instskip(NEXT) | instid1(VALU_DEP_1)
	v_add3_u32 v4, v5, v4, 0x407ffff
	v_and_b32_e32 v5, 0xff00000, v4
	v_lshrrev_b32_e32 v4, 20, v4
	s_delay_alu instid0(VALU_DEP_2) | instskip(NEXT) | instid1(VALU_DEP_2)
	v_cmp_ne_u32_e32 vcc_lo, 0x7f00000, v5
                                        ; implicit-def: $vgpr5
	v_cndmask_b32_e32 v4, 0x7e, v4, vcc_lo
; %bb.1483:
	s_and_not1_saveexec_b32 s60, s60
; %bb.1484:
	v_add_f32_e32 v4, 0x46800000, v5
; %bb.1485:
	s_or_b32 exec_lo, exec_lo, s60
                                        ; implicit-def: $vgpr5
.LBB31_1486:
	s_and_not1_saveexec_b32 s59, s59
; %bb.1487:
	v_mov_b32_e32 v4, 0x7f
	v_cmp_lt_u32_e32 vcc_lo, 0x7f800000, v5
	s_delay_alu instid0(VALU_DEP_2)
	v_cndmask_b32_e32 v4, 0x7e, v4, vcc_lo
; %bb.1488:
	s_or_b32 exec_lo, exec_lo, s59
	global_store_b8 v[2:3], v4, off
.LBB31_1489:
	s_mov_b32 s59, 0
.LBB31_1490:
	s_delay_alu instid0(SALU_CYCLE_1)
	s_and_not1_b32 vcc_lo, exec_lo, s59
	s_cbranch_vccnz .LBB31_1500
; %bb.1491:
	s_wait_xcnt 0x0
	v_cvt_f32_ubyte0_e32 v5, v1
	s_mov_b32 s59, exec_lo
                                        ; implicit-def: $vgpr4
	s_delay_alu instid0(VALU_DEP_1)
	v_cmpx_gt_u32_e32 0x47800000, v5
	s_xor_b32 s59, exec_lo, s59
	s_cbranch_execz .LBB31_1497
; %bb.1492:
	s_mov_b32 s60, exec_lo
                                        ; implicit-def: $vgpr4
	v_cmpx_lt_u32_e32 0x387fffff, v5
	s_xor_b32 s60, exec_lo, s60
; %bb.1493:
	v_bfe_u32 v4, v5, 21, 1
	s_delay_alu instid0(VALU_DEP_1) | instskip(NEXT) | instid1(VALU_DEP_1)
	v_add3_u32 v4, v5, v4, 0x80fffff
                                        ; implicit-def: $vgpr5
	v_lshrrev_b32_e32 v4, 21, v4
; %bb.1494:
	s_and_not1_saveexec_b32 s60, s60
; %bb.1495:
	v_add_f32_e32 v4, 0x43000000, v5
; %bb.1496:
	s_or_b32 exec_lo, exec_lo, s60
                                        ; implicit-def: $vgpr5
.LBB31_1497:
	s_and_not1_saveexec_b32 s59, s59
; %bb.1498:
	v_mov_b32_e32 v4, 0x7f
	v_cmp_lt_u32_e32 vcc_lo, 0x7f800000, v5
	s_delay_alu instid0(VALU_DEP_2)
	v_cndmask_b32_e32 v4, 0x7c, v4, vcc_lo
; %bb.1499:
	s_or_b32 exec_lo, exec_lo, s59
	global_store_b8 v[2:3], v4, off
.LBB31_1500:
	s_mov_b32 s60, 0
	s_mov_b32 s59, -1
.LBB31_1501:
	s_and_not1_b32 vcc_lo, exec_lo, s60
	s_cbranch_vccnz .LBB31_1509
; %bb.1502:
	s_cmp_gt_i32 s58, 14
	s_mov_b32 s60, -1
	s_cbranch_scc0 .LBB31_1506
; %bb.1503:
	s_cmp_eq_u32 s58, 15
	s_mov_b32 s0, -1
	s_cbranch_scc0 .LBB31_1505
; %bb.1504:
	s_wait_xcnt 0x0
	v_cvt_f32_ubyte0_e32 v4, v1
	s_mov_b32 s59, -1
	s_mov_b32 s0, 0
	s_delay_alu instid0(VALU_DEP_1) | instskip(NEXT) | instid1(VALU_DEP_1)
	v_bfe_u32 v5, v4, 16, 1
	v_add3_u32 v4, v4, v5, 0x7fff
	global_store_d16_hi_b16 v[2:3], v4, off
.LBB31_1505:
	s_mov_b32 s60, 0
.LBB31_1506:
	s_delay_alu instid0(SALU_CYCLE_1)
	s_and_b32 vcc_lo, exec_lo, s60
	s_cbranch_vccz .LBB31_1509
; %bb.1507:
	s_cmp_eq_u32 s58, 11
	s_mov_b32 s0, -1
	s_cbranch_scc0 .LBB31_1509
; %bb.1508:
	s_wait_xcnt 0x0
	v_and_b32_e32 v4, 0xff, v1
	s_mov_b32 s0, 0
	s_mov_b32 s59, -1
	s_delay_alu instid0(VALU_DEP_1)
	v_cmp_ne_u16_e32 vcc_lo, 0, v4
	v_cndmask_b32_e64 v4, 0, 1, vcc_lo
	global_store_b8 v[2:3], v4, off
.LBB31_1509:
	s_mov_b32 s58, 0
.LBB31_1510:
	s_delay_alu instid0(SALU_CYCLE_1)
	s_and_b32 vcc_lo, exec_lo, s58
	s_cbranch_vccz .LBB31_1549
; %bb.1511:
	s_and_b32 s37, 0xffff, s37
	s_mov_b32 s58, -1
	s_cmp_lt_i32 s37, 5
	s_cbranch_scc1 .LBB31_1532
; %bb.1512:
	s_cmp_lt_i32 s37, 8
	s_cbranch_scc1 .LBB31_1522
; %bb.1513:
	;; [unrolled: 3-line block ×3, first 2 shown]
	s_cmp_gt_i32 s37, 9
	s_cbranch_scc0 .LBB31_1516
; %bb.1515:
	s_wait_xcnt 0x0
	v_and_b32_e32 v4, 0xff, v1
	v_mov_b32_e32 v6, 0
	s_mov_b32 s58, 0
	s_delay_alu instid0(VALU_DEP_2) | instskip(NEXT) | instid1(VALU_DEP_2)
	v_and_b32_e32 v4, 0xffff, v4
	v_mov_b32_e32 v7, v6
	s_delay_alu instid0(VALU_DEP_2)
	v_cvt_f64_u32_e32 v[4:5], v4
	global_store_b128 v[2:3], v[4:7], off
.LBB31_1516:
	s_and_not1_b32 vcc_lo, exec_lo, s58
	s_cbranch_vccnz .LBB31_1518
; %bb.1517:
	s_wait_xcnt 0x0
	v_cvt_f32_ubyte0_e32 v4, v1
	v_mov_b32_e32 v5, 0
	global_store_b64 v[2:3], v[4:5], off
.LBB31_1518:
	s_mov_b32 s58, 0
.LBB31_1519:
	s_delay_alu instid0(SALU_CYCLE_1)
	s_and_not1_b32 vcc_lo, exec_lo, s58
	s_cbranch_vccnz .LBB31_1521
; %bb.1520:
	s_wait_xcnt 0x0
	v_and_b32_e32 v4, 0xff, v1
	s_delay_alu instid0(VALU_DEP_1) | instskip(NEXT) | instid1(VALU_DEP_1)
	v_cvt_f16_u16_e32 v4, v4
	v_and_b32_e32 v4, 0xffff, v4
	global_store_b32 v[2:3], v4, off
.LBB31_1521:
	s_mov_b32 s58, 0
.LBB31_1522:
	s_delay_alu instid0(SALU_CYCLE_1)
	s_and_not1_b32 vcc_lo, exec_lo, s58
	s_cbranch_vccnz .LBB31_1531
; %bb.1523:
	s_cmp_lt_i32 s37, 6
	s_mov_b32 s58, -1
	s_cbranch_scc1 .LBB31_1529
; %bb.1524:
	s_cmp_gt_i32 s37, 6
	s_cbranch_scc0 .LBB31_1526
; %bb.1525:
	s_wait_xcnt 0x0
	v_and_b32_e32 v4, 0xff, v1
	s_mov_b32 s58, 0
	s_delay_alu instid0(VALU_DEP_1) | instskip(NEXT) | instid1(VALU_DEP_1)
	v_and_b32_e32 v4, 0xffff, v4
	v_cvt_f64_u32_e32 v[4:5], v4
	global_store_b64 v[2:3], v[4:5], off
.LBB31_1526:
	s_and_not1_b32 vcc_lo, exec_lo, s58
	s_cbranch_vccnz .LBB31_1528
; %bb.1527:
	s_wait_xcnt 0x0
	v_cvt_f32_ubyte0_e32 v4, v1
	global_store_b32 v[2:3], v4, off
.LBB31_1528:
	s_mov_b32 s58, 0
.LBB31_1529:
	s_delay_alu instid0(SALU_CYCLE_1)
	s_and_not1_b32 vcc_lo, exec_lo, s58
	s_cbranch_vccnz .LBB31_1531
; %bb.1530:
	s_wait_xcnt 0x0
	v_and_b32_e32 v4, 0xff, v1
	s_delay_alu instid0(VALU_DEP_1)
	v_cvt_f16_u16_e32 v4, v4
	global_store_b16 v[2:3], v4, off
.LBB31_1531:
	s_mov_b32 s58, 0
.LBB31_1532:
	s_delay_alu instid0(SALU_CYCLE_1)
	s_and_not1_b32 vcc_lo, exec_lo, s58
	s_cbranch_vccnz .LBB31_1548
; %bb.1533:
	s_cmp_lt_i32 s37, 2
	s_mov_b32 s58, -1
	s_cbranch_scc1 .LBB31_1543
; %bb.1534:
	s_cmp_lt_i32 s37, 3
	s_cbranch_scc1 .LBB31_1540
; %bb.1535:
	s_cmp_gt_i32 s37, 3
	s_cbranch_scc0 .LBB31_1537
; %bb.1536:
	s_wait_xcnt 0x0
	v_and_b32_e32 v4, 0xff, v1
	v_mov_b32_e32 v5, 0
	s_mov_b32 s58, 0
	global_store_b64 v[2:3], v[4:5], off
.LBB31_1537:
	s_and_not1_b32 vcc_lo, exec_lo, s58
	s_cbranch_vccnz .LBB31_1539
; %bb.1538:
	s_wait_xcnt 0x0
	v_and_b32_e32 v4, 0xff, v1
	global_store_b32 v[2:3], v4, off
.LBB31_1539:
	s_mov_b32 s58, 0
.LBB31_1540:
	s_delay_alu instid0(SALU_CYCLE_1)
	s_and_not1_b32 vcc_lo, exec_lo, s58
	s_cbranch_vccnz .LBB31_1542
; %bb.1541:
	s_wait_xcnt 0x0
	v_and_b32_e32 v4, 0xff, v1
	global_store_b16 v[2:3], v4, off
.LBB31_1542:
	s_mov_b32 s58, 0
.LBB31_1543:
	s_delay_alu instid0(SALU_CYCLE_1)
	s_and_not1_b32 vcc_lo, exec_lo, s58
	s_cbranch_vccnz .LBB31_1548
; %bb.1544:
	s_cmp_gt_i32 s37, 0
	s_mov_b32 s37, -1
	s_cbranch_scc0 .LBB31_1546
; %bb.1545:
	s_mov_b32 s37, 0
	global_store_b8 v[2:3], v1, off
.LBB31_1546:
	s_and_not1_b32 vcc_lo, exec_lo, s37
	s_cbranch_vccnz .LBB31_1548
; %bb.1547:
	global_store_b8 v[2:3], v1, off
.LBB31_1548:
	s_mov_b32 s59, -1
.LBB31_1549:
	s_delay_alu instid0(SALU_CYCLE_1)
	s_and_not1_b32 vcc_lo, exec_lo, s59
	s_cbranch_vccnz .LBB31_1551
; %bb.1550:
	v_add_nc_u32_e32 v0, 0x80, v0
	s_mov_b32 s37, -1
	s_branch .LBB31_1553
.LBB31_1551:
	s_mov_b32 s37, 0
.LBB31_1552:
                                        ; implicit-def: $vgpr0
.LBB31_1553:
	s_and_not1_b32 s58, s53, exec_lo
	s_and_b32 s0, s0, exec_lo
	s_and_not1_b32 s59, s54, exec_lo
	s_and_b32 s36, s36, exec_lo
	s_or_b32 s61, s58, s0
	s_or_b32 s59, s59, s36
	s_and_not1_b32 s0, s55, exec_lo
	s_and_b32 s35, s35, exec_lo
	s_and_not1_b32 s36, s52, exec_lo
	s_and_b32 s34, s34, exec_lo
	s_or_b32 s60, s0, s35
	s_or_b32 s58, s36, s34
	s_or_not1_b32 s37, s37, exec_lo
.LBB31_1554:
	s_wait_xcnt 0x0
	s_or_b32 exec_lo, exec_lo, s57
	s_mov_b32 s35, 0
	s_mov_b32 s36, 0
	;; [unrolled: 1-line block ×3, first 2 shown]
                                        ; implicit-def: $sgpr0
                                        ; implicit-def: $vgpr10_vgpr11
                                        ; implicit-def: $vgpr2
                                        ; implicit-def: $vgpr6
                                        ; implicit-def: $vgpr8
                                        ; implicit-def: $vgpr4
	s_and_saveexec_b32 s57, s37
	s_cbranch_execz .LBB31_1643
; %bb.1555:
	v_cmp_gt_i32_e32 vcc_lo, s46, v0
	s_mov_b32 s37, s58
                                        ; implicit-def: $sgpr0
                                        ; implicit-def: $vgpr10_vgpr11
                                        ; implicit-def: $vgpr2
                                        ; implicit-def: $vgpr6
                                        ; implicit-def: $vgpr8
                                        ; implicit-def: $vgpr4
	s_and_saveexec_b32 s46, vcc_lo
	s_cbranch_execz .LBB31_1642
; %bb.1556:
	s_and_not1_b32 vcc_lo, exec_lo, s40
	s_cbranch_vccnz .LBB31_1562
; %bb.1557:
	s_and_not1_b32 vcc_lo, exec_lo, s47
	s_cbranch_vccnz .LBB31_1563
; %bb.1558:
	s_wait_loadcnt 0x0
	v_dual_mov_b32 v8, 0 :: v_dual_mov_b32 v1, v0
	v_dual_mov_b32 v6, 0 :: v_dual_mov_b32 v2, 0
	v_mov_b32_e32 v4, 0
	s_add_co_i32 s0, s44, 1
	s_mov_b64 s[34:35], 0xffffffffffffffe0
	s_and_b32 s0, s0, 30
	s_add_nc_u64 s[34:35], s[2:3], s[34:35]
	s_mov_b64 s[36:37], s[2:3]
.LBB31_1559:                            ; =>This Inner Loop Header: Depth=1
	s_clause 0x1
	s_load_b128 s[72:75], s[36:37], 0x4
	s_load_b64 s[62:63], s[36:37], 0x14
	s_load_b256 s[64:71], s[34:35], 0xe4
	s_add_co_i32 s0, s0, -2
	s_wait_xcnt 0x0
	s_add_nc_u64 s[36:37], s[36:37], 24
	s_cmp_eq_u32 s0, 0
	s_add_nc_u64 s[34:35], s[34:35], 32
	s_wait_kmcnt 0x0
	v_mul_hi_u32 v3, s73, v1
	s_delay_alu instid0(VALU_DEP_1) | instskip(NEXT) | instid1(VALU_DEP_1)
	v_add_nc_u32_e32 v3, v1, v3
	v_lshrrev_b32_e32 v3, s74, v3
	s_delay_alu instid0(VALU_DEP_1) | instskip(SKIP_1) | instid1(VALU_DEP_1)
	v_mul_hi_u32 v5, s62, v3
	v_mul_lo_u32 v7, v3, s72
	v_dual_add_nc_u32 v5, v3, v5 :: v_dual_sub_nc_u32 v7, v1, v7
	s_delay_alu instid0(VALU_DEP_1) | instskip(NEXT) | instid1(VALU_DEP_2)
	v_lshrrev_b32_e32 v1, s63, v5
	v_mad_u32 v4, v7, s65, v4
	v_mad_u32 v2, v7, s64, v2
	;; [unrolled: 1-line block ×4, first 2 shown]
	v_mul_lo_u32 v5, v1, s75
	s_delay_alu instid0(VALU_DEP_1) | instskip(NEXT) | instid1(VALU_DEP_1)
	v_sub_nc_u32_e32 v3, v3, v5
	v_mad_u32 v4, v3, s69, v4
	v_mad_u32 v2, v3, s68, v2
	;; [unrolled: 1-line block ×4, first 2 shown]
	s_cbranch_scc0 .LBB31_1559
; %bb.1560:
	s_bitcmp1_b32 s44, 0
	s_cselect_b32 s0, -1, 0
	s_delay_alu instid0(SALU_CYCLE_1)
	s_and_b32 vcc_lo, exec_lo, s0
	s_cbranch_vccnz .LBB31_1564
; %bb.1561:
	s_load_b96 s[68:70], s[36:37], 0x4
	s_load_b128 s[64:67], s[34:35], 0xe4
	s_wait_kmcnt 0x0
	v_mul_hi_u32 v3, s69, v1
	s_delay_alu instid0(VALU_DEP_1) | instskip(NEXT) | instid1(VALU_DEP_1)
	v_add_nc_u32_e32 v3, v1, v3
	v_lshrrev_b32_e32 v3, s70, v3
	s_delay_alu instid0(VALU_DEP_1) | instskip(NEXT) | instid1(VALU_DEP_1)
	v_mul_lo_u32 v3, v3, s68
	v_sub_nc_u32_e32 v1, v1, v3
	s_delay_alu instid0(VALU_DEP_1)
	v_mad_u32 v2, v1, s64, v2
	v_mad_u32 v4, v1, s65, v4
	v_mad_u32 v8, v1, s66, v8
	v_mad_u32 v6, v1, s67, v6
	s_branch .LBB31_1564
.LBB31_1562:
	s_mov_b32 s0, -1
                                        ; implicit-def: $vgpr4
                                        ; implicit-def: $vgpr2
                                        ; implicit-def: $vgpr6
                                        ; implicit-def: $vgpr8
	s_branch .LBB31_1565
.LBB31_1563:
	s_wait_loadcnt 0x0
	v_dual_mov_b32 v4, 0 :: v_dual_mov_b32 v2, 0
	v_dual_mov_b32 v6, 0 :: v_dual_mov_b32 v8, 0
.LBB31_1564:
	s_mov_b32 s0, 0
.LBB31_1565:
	s_delay_alu instid0(SALU_CYCLE_1)
	s_and_not1_b32 vcc_lo, exec_lo, s0
	s_cbranch_vccnz .LBB31_1568
; %bb.1566:
	v_mov_b32_e32 v1, 0
	s_and_not1_b32 vcc_lo, exec_lo, s43
	s_delay_alu instid0(VALU_DEP_1) | instskip(NEXT) | instid1(VALU_DEP_1)
	v_mul_u64_e32 v[2:3], s[26:27], v[0:1]
	v_add_nc_u32_e32 v2, v0, v3
	s_wait_loadcnt 0x0
	s_delay_alu instid0(VALU_DEP_1) | instskip(NEXT) | instid1(VALU_DEP_1)
	v_lshrrev_b32_e32 v10, s22, v2
	v_mul_lo_u32 v2, v10, s20
	s_delay_alu instid0(VALU_DEP_1) | instskip(NEXT) | instid1(VALU_DEP_1)
	v_sub_nc_u32_e32 v0, v0, v2
	v_mul_lo_u32 v4, v0, s13
	v_mul_lo_u32 v2, v0, s12
	;; [unrolled: 1-line block ×4, first 2 shown]
	s_cbranch_vccnz .LBB31_1568
; %bb.1567:
	v_mov_b32_e32 v11, v1
	s_delay_alu instid0(VALU_DEP_1) | instskip(NEXT) | instid1(VALU_DEP_1)
	v_mul_u64_e32 v[0:1], s[30:31], v[10:11]
	v_add_nc_u32_e32 v0, v10, v1
	s_delay_alu instid0(VALU_DEP_1) | instskip(NEXT) | instid1(VALU_DEP_1)
	v_lshrrev_b32_e32 v0, s1, v0
	v_mul_lo_u32 v0, v0, s23
	s_delay_alu instid0(VALU_DEP_1) | instskip(NEXT) | instid1(VALU_DEP_1)
	v_sub_nc_u32_e32 v0, v10, v0
	v_mad_u32 v2, v0, s16, v2
	v_mad_u32 v4, v0, s17, v4
	;; [unrolled: 1-line block ×4, first 2 shown]
.LBB31_1568:
	s_wait_loadcnt 0x0
	v_mov_b32_e32 v5, 0
	s_and_b32 s0, s28, 0xff
	s_delay_alu instid0(SALU_CYCLE_1) | instskip(NEXT) | instid1(VALU_DEP_1)
	s_cmp_lt_i32 s0, 11
	v_add_nc_u64_e32 v[10:11], s[6:7], v[4:5]
	s_cbranch_scc1 .LBB31_1575
; %bb.1569:
	s_and_b32 s1, 0xffff, s0
	s_mov_b32 s7, 0
	s_cmp_gt_i32 s1, 25
	s_cbranch_scc0 .LBB31_1576
; %bb.1570:
	s_cmp_gt_i32 s1, 28
	s_cbranch_scc0 .LBB31_1577
; %bb.1571:
	;; [unrolled: 3-line block ×4, first 2 shown]
	s_cmp_eq_u32 s1, 46
	s_mov_b32 s13, 0
	s_cbranch_scc0 .LBB31_1580
; %bb.1574:
	global_load_b32 v0, v[10:11], off
	s_mov_b32 s6, 0
	s_mov_b32 s12, -1
	s_wait_loadcnt 0x0
	v_lshlrev_b32_e32 v0, 16, v0
	s_delay_alu instid0(VALU_DEP_1) | instskip(NEXT) | instid1(VALU_DEP_1)
	v_trunc_f32_e32 v0, v0
	v_mul_f32_e64 v1, 0x2f800000, |v0|
	s_delay_alu instid0(VALU_DEP_1) | instskip(NEXT) | instid1(VALU_DEP_1)
	v_floor_f32_e32 v1, v1
	v_fma_f32 v1, 0xcf800000, v1, |v0|
	v_ashrrev_i32_e32 v0, 31, v0
	s_delay_alu instid0(VALU_DEP_2) | instskip(NEXT) | instid1(VALU_DEP_1)
	v_cvt_u32_f32_e32 v1, v1
	v_xor_b32_e32 v1, v1, v0
	s_delay_alu instid0(VALU_DEP_1)
	v_sub_nc_u32_e32 v4, v1, v0
	s_branch .LBB31_1582
.LBB31_1575:
	s_mov_b32 s1, -1
	s_mov_b32 s12, 0
	s_mov_b32 s7, 0
	;; [unrolled: 1-line block ×3, first 2 shown]
                                        ; implicit-def: $vgpr4
	s_branch .LBB31_1641
.LBB31_1576:
	s_mov_b32 s13, -1
	s_mov_b32 s12, 0
	s_mov_b32 s6, s58
                                        ; implicit-def: $vgpr4
	s_branch .LBB31_1609
.LBB31_1577:
	s_mov_b32 s13, -1
	s_mov_b32 s12, 0
	s_mov_b32 s6, s58
                                        ; implicit-def: $vgpr4
	s_branch .LBB31_1592
.LBB31_1578:
	s_mov_b32 s13, -1
	s_mov_b32 s12, 0
	s_mov_b32 s6, s58
                                        ; implicit-def: $vgpr4
	s_branch .LBB31_1587
.LBB31_1579:
	s_mov_b32 s13, -1
	s_mov_b32 s12, 0
	s_mov_b32 s6, s58
	s_branch .LBB31_1581
.LBB31_1580:
	s_mov_b32 s6, -1
	s_mov_b32 s12, 0
.LBB31_1581:
                                        ; implicit-def: $vgpr4
.LBB31_1582:
	s_and_b32 vcc_lo, exec_lo, s13
	s_cbranch_vccz .LBB31_1586
; %bb.1583:
	s_cmp_eq_u32 s1, 44
	s_cbranch_scc0 .LBB31_1585
; %bb.1584:
	global_load_u8 v0, v[10:11], off
	s_mov_b32 s6, 0
	s_mov_b32 s12, -1
	s_wait_loadcnt 0x0
	v_lshlrev_b32_e32 v1, 23, v0
	v_cmp_ne_u32_e32 vcc_lo, 0, v0
	s_delay_alu instid0(VALU_DEP_2) | instskip(NEXT) | instid1(VALU_DEP_1)
	v_trunc_f32_e32 v1, v1
	v_mul_f32_e64 v3, 0x2f800000, |v1|
	s_delay_alu instid0(VALU_DEP_1) | instskip(NEXT) | instid1(VALU_DEP_1)
	v_floor_f32_e32 v3, v3
	v_fma_f32 v3, 0xcf800000, v3, |v1|
	v_ashrrev_i32_e32 v1, 31, v1
	s_delay_alu instid0(VALU_DEP_2) | instskip(NEXT) | instid1(VALU_DEP_1)
	v_cvt_u32_f32_e32 v3, v3
	v_xor_b32_e32 v3, v3, v1
	s_delay_alu instid0(VALU_DEP_1) | instskip(NEXT) | instid1(VALU_DEP_1)
	v_sub_nc_u32_e32 v1, v3, v1
	v_cndmask_b32_e32 v4, 0, v1, vcc_lo
	s_branch .LBB31_1586
.LBB31_1585:
	s_mov_b32 s6, -1
                                        ; implicit-def: $vgpr4
.LBB31_1586:
	s_mov_b32 s13, 0
.LBB31_1587:
	s_delay_alu instid0(SALU_CYCLE_1)
	s_and_b32 vcc_lo, exec_lo, s13
	s_cbranch_vccz .LBB31_1591
; %bb.1588:
	s_cmp_eq_u32 s1, 29
	s_cbranch_scc0 .LBB31_1590
; %bb.1589:
	global_load_b64 v[4:5], v[10:11], off
	s_mov_b32 s6, 0
	s_mov_b32 s12, -1
	s_branch .LBB31_1591
.LBB31_1590:
	s_mov_b32 s6, -1
                                        ; implicit-def: $vgpr4
.LBB31_1591:
	s_mov_b32 s13, 0
.LBB31_1592:
	s_delay_alu instid0(SALU_CYCLE_1)
	s_and_b32 vcc_lo, exec_lo, s13
	s_cbranch_vccz .LBB31_1608
; %bb.1593:
	s_cmp_lt_i32 s1, 27
	s_cbranch_scc1 .LBB31_1596
; %bb.1594:
	s_cmp_gt_i32 s1, 27
	s_cbranch_scc0 .LBB31_1597
; %bb.1595:
	s_wait_loadcnt 0x0
	global_load_b32 v4, v[10:11], off
	s_mov_b32 s12, 0
	s_branch .LBB31_1598
.LBB31_1596:
	s_mov_b32 s12, -1
                                        ; implicit-def: $vgpr4
	s_branch .LBB31_1601
.LBB31_1597:
	s_mov_b32 s12, -1
                                        ; implicit-def: $vgpr4
.LBB31_1598:
	s_delay_alu instid0(SALU_CYCLE_1)
	s_and_not1_b32 vcc_lo, exec_lo, s12
	s_cbranch_vccnz .LBB31_1600
; %bb.1599:
	s_wait_loadcnt 0x0
	global_load_u16 v4, v[10:11], off
.LBB31_1600:
	s_mov_b32 s12, 0
.LBB31_1601:
	s_delay_alu instid0(SALU_CYCLE_1)
	s_and_not1_b32 vcc_lo, exec_lo, s12
	s_cbranch_vccnz .LBB31_1607
; %bb.1602:
	global_load_u8 v0, v[10:11], off
	s_mov_b32 s13, 0
	s_mov_b32 s12, exec_lo
	s_wait_loadcnt 0x0
	v_cmpx_lt_i16_e32 0x7f, v0
	s_xor_b32 s12, exec_lo, s12
	s_cbranch_execz .LBB31_1619
; %bb.1603:
	v_cmp_ne_u16_e32 vcc_lo, 0x80, v0
	s_and_b32 s13, vcc_lo, exec_lo
	s_and_not1_saveexec_b32 s12, s12
	s_cbranch_execnz .LBB31_1620
.LBB31_1604:
	s_or_b32 exec_lo, exec_lo, s12
	v_mov_b32_e32 v4, 0
	s_and_saveexec_b32 s12, s13
	s_cbranch_execz .LBB31_1606
.LBB31_1605:
	v_and_b32_e32 v1, 0xffff, v0
	s_delay_alu instid0(VALU_DEP_1) | instskip(SKIP_1) | instid1(VALU_DEP_2)
	v_and_b32_e32 v3, 7, v1
	v_bfe_u32 v7, v1, 3, 4
	v_clz_i32_u32_e32 v4, v3
	s_delay_alu instid0(VALU_DEP_2) | instskip(NEXT) | instid1(VALU_DEP_2)
	v_cmp_eq_u32_e32 vcc_lo, 0, v7
	v_min_u32_e32 v4, 32, v4
	s_delay_alu instid0(VALU_DEP_1) | instskip(NEXT) | instid1(VALU_DEP_1)
	v_subrev_nc_u32_e32 v5, 28, v4
	v_dual_lshlrev_b32 v1, v5, v1 :: v_dual_sub_nc_u32 v4, 29, v4
	s_delay_alu instid0(VALU_DEP_1) | instskip(NEXT) | instid1(VALU_DEP_1)
	v_dual_lshlrev_b32 v0, 24, v0 :: v_dual_bitop2_b32 v1, 7, v1 bitop3:0x40
	v_cndmask_b32_e32 v1, v3, v1, vcc_lo
	s_delay_alu instid0(VALU_DEP_3) | instskip(NEXT) | instid1(VALU_DEP_3)
	v_cndmask_b32_e32 v4, v7, v4, vcc_lo
	v_and_b32_e32 v0, 0x80000000, v0
	s_delay_alu instid0(VALU_DEP_3) | instskip(NEXT) | instid1(VALU_DEP_3)
	v_lshlrev_b32_e32 v1, 20, v1
	v_lshl_add_u32 v3, v4, 23, 0x3b800000
	s_delay_alu instid0(VALU_DEP_1) | instskip(NEXT) | instid1(VALU_DEP_1)
	v_or3_b32 v0, v0, v3, v1
	v_trunc_f32_e32 v0, v0
	s_delay_alu instid0(VALU_DEP_1) | instskip(NEXT) | instid1(VALU_DEP_1)
	v_mul_f32_e64 v1, 0x2f800000, |v0|
	v_floor_f32_e32 v1, v1
	s_delay_alu instid0(VALU_DEP_1) | instskip(SKIP_1) | instid1(VALU_DEP_2)
	v_fma_f32 v1, 0xcf800000, v1, |v0|
	v_ashrrev_i32_e32 v0, 31, v0
	v_cvt_u32_f32_e32 v1, v1
	s_delay_alu instid0(VALU_DEP_1) | instskip(NEXT) | instid1(VALU_DEP_1)
	v_xor_b32_e32 v1, v1, v0
	v_sub_nc_u32_e32 v4, v1, v0
.LBB31_1606:
	s_or_b32 exec_lo, exec_lo, s12
.LBB31_1607:
	s_mov_b32 s12, -1
.LBB31_1608:
	s_mov_b32 s13, 0
.LBB31_1609:
	s_delay_alu instid0(SALU_CYCLE_1)
	s_and_b32 vcc_lo, exec_lo, s13
	s_cbranch_vccz .LBB31_1640
; %bb.1610:
	s_cmp_gt_i32 s1, 22
	s_cbranch_scc0 .LBB31_1618
; %bb.1611:
	s_cmp_lt_i32 s1, 24
	s_cbranch_scc1 .LBB31_1621
; %bb.1612:
	s_cmp_gt_i32 s1, 24
	s_cbranch_scc0 .LBB31_1622
; %bb.1613:
	global_load_u8 v0, v[10:11], off
	s_mov_b32 s12, 0
	s_mov_b32 s7, exec_lo
	s_wait_loadcnt 0x0
	v_cmpx_lt_i16_e32 0x7f, v0
	s_xor_b32 s7, exec_lo, s7
	s_cbranch_execz .LBB31_1634
; %bb.1614:
	v_cmp_ne_u16_e32 vcc_lo, 0x80, v0
	s_and_b32 s12, vcc_lo, exec_lo
	s_and_not1_saveexec_b32 s7, s7
	s_cbranch_execnz .LBB31_1635
.LBB31_1615:
	s_or_b32 exec_lo, exec_lo, s7
	v_mov_b32_e32 v4, 0
	s_and_saveexec_b32 s7, s12
	s_cbranch_execz .LBB31_1617
.LBB31_1616:
	v_and_b32_e32 v1, 0xffff, v0
	s_delay_alu instid0(VALU_DEP_1) | instskip(SKIP_1) | instid1(VALU_DEP_2)
	v_and_b32_e32 v3, 3, v1
	v_bfe_u32 v7, v1, 2, 5
	v_clz_i32_u32_e32 v4, v3
	s_delay_alu instid0(VALU_DEP_2) | instskip(NEXT) | instid1(VALU_DEP_2)
	v_cmp_eq_u32_e32 vcc_lo, 0, v7
	v_min_u32_e32 v4, 32, v4
	s_delay_alu instid0(VALU_DEP_1) | instskip(NEXT) | instid1(VALU_DEP_1)
	v_subrev_nc_u32_e32 v5, 29, v4
	v_dual_lshlrev_b32 v1, v5, v1 :: v_dual_sub_nc_u32 v4, 30, v4
	s_delay_alu instid0(VALU_DEP_1) | instskip(NEXT) | instid1(VALU_DEP_1)
	v_dual_lshlrev_b32 v0, 24, v0 :: v_dual_bitop2_b32 v1, 3, v1 bitop3:0x40
	v_cndmask_b32_e32 v1, v3, v1, vcc_lo
	s_delay_alu instid0(VALU_DEP_3) | instskip(NEXT) | instid1(VALU_DEP_3)
	v_cndmask_b32_e32 v4, v7, v4, vcc_lo
	v_and_b32_e32 v0, 0x80000000, v0
	s_delay_alu instid0(VALU_DEP_3) | instskip(NEXT) | instid1(VALU_DEP_3)
	v_lshlrev_b32_e32 v1, 21, v1
	v_lshl_add_u32 v3, v4, 23, 0x37800000
	s_delay_alu instid0(VALU_DEP_1) | instskip(NEXT) | instid1(VALU_DEP_1)
	v_or3_b32 v0, v0, v3, v1
	v_trunc_f32_e32 v0, v0
	s_delay_alu instid0(VALU_DEP_1) | instskip(NEXT) | instid1(VALU_DEP_1)
	v_mul_f32_e64 v1, 0x2f800000, |v0|
	v_floor_f32_e32 v1, v1
	s_delay_alu instid0(VALU_DEP_1) | instskip(SKIP_1) | instid1(VALU_DEP_2)
	v_fma_f32 v1, 0xcf800000, v1, |v0|
	v_ashrrev_i32_e32 v0, 31, v0
	v_cvt_u32_f32_e32 v1, v1
	s_delay_alu instid0(VALU_DEP_1) | instskip(NEXT) | instid1(VALU_DEP_1)
	v_xor_b32_e32 v1, v1, v0
	v_sub_nc_u32_e32 v4, v1, v0
.LBB31_1617:
	s_or_b32 exec_lo, exec_lo, s7
	s_mov_b32 s7, 0
	s_branch .LBB31_1623
.LBB31_1618:
	s_mov_b32 s7, -1
                                        ; implicit-def: $vgpr4
	s_branch .LBB31_1629
.LBB31_1619:
	s_and_not1_saveexec_b32 s12, s12
	s_cbranch_execz .LBB31_1604
.LBB31_1620:
	v_cmp_ne_u16_e32 vcc_lo, 0, v0
	s_and_not1_b32 s13, s13, exec_lo
	s_and_b32 s14, vcc_lo, exec_lo
	s_delay_alu instid0(SALU_CYCLE_1)
	s_or_b32 s13, s13, s14
	s_or_b32 exec_lo, exec_lo, s12
	v_mov_b32_e32 v4, 0
	s_and_saveexec_b32 s12, s13
	s_cbranch_execnz .LBB31_1605
	s_branch .LBB31_1606
.LBB31_1621:
	s_mov_b32 s7, -1
                                        ; implicit-def: $vgpr4
	s_branch .LBB31_1626
.LBB31_1622:
	s_mov_b32 s7, -1
                                        ; implicit-def: $vgpr4
.LBB31_1623:
	s_delay_alu instid0(SALU_CYCLE_1)
	s_and_b32 vcc_lo, exec_lo, s7
	s_cbranch_vccz .LBB31_1625
; %bb.1624:
	global_load_u8 v0, v[10:11], off
	s_wait_loadcnt 0x0
	v_lshlrev_b32_e32 v0, 24, v0
	s_delay_alu instid0(VALU_DEP_1) | instskip(NEXT) | instid1(VALU_DEP_1)
	v_and_b32_e32 v1, 0x7f000000, v0
	v_clz_i32_u32_e32 v3, v1
	v_add_nc_u32_e32 v5, 0x1000000, v1
	v_cmp_ne_u32_e32 vcc_lo, 0, v1
	s_delay_alu instid0(VALU_DEP_3) | instskip(NEXT) | instid1(VALU_DEP_1)
	v_min_u32_e32 v3, 32, v3
	v_sub_nc_u32_e64 v3, v3, 4 clamp
	s_delay_alu instid0(VALU_DEP_1) | instskip(NEXT) | instid1(VALU_DEP_1)
	v_dual_lshlrev_b32 v4, v3, v1 :: v_dual_lshlrev_b32 v3, 23, v3
	v_lshrrev_b32_e32 v4, 4, v4
	s_delay_alu instid0(VALU_DEP_1) | instskip(NEXT) | instid1(VALU_DEP_1)
	v_dual_sub_nc_u32 v3, v4, v3 :: v_dual_ashrrev_i32 v4, 8, v5
	v_add_nc_u32_e32 v3, 0x3c000000, v3
	s_delay_alu instid0(VALU_DEP_1) | instskip(NEXT) | instid1(VALU_DEP_1)
	v_and_or_b32 v3, 0x7f800000, v4, v3
	v_cndmask_b32_e32 v1, 0, v3, vcc_lo
	s_delay_alu instid0(VALU_DEP_1) | instskip(NEXT) | instid1(VALU_DEP_1)
	v_and_or_b32 v0, 0x80000000, v0, v1
	v_trunc_f32_e32 v0, v0
	s_delay_alu instid0(VALU_DEP_1) | instskip(NEXT) | instid1(VALU_DEP_1)
	v_mul_f32_e64 v1, 0x2f800000, |v0|
	v_floor_f32_e32 v1, v1
	s_delay_alu instid0(VALU_DEP_1) | instskip(SKIP_1) | instid1(VALU_DEP_2)
	v_fma_f32 v1, 0xcf800000, v1, |v0|
	v_ashrrev_i32_e32 v0, 31, v0
	v_cvt_u32_f32_e32 v1, v1
	s_delay_alu instid0(VALU_DEP_1) | instskip(NEXT) | instid1(VALU_DEP_1)
	v_xor_b32_e32 v1, v1, v0
	v_sub_nc_u32_e32 v4, v1, v0
.LBB31_1625:
	s_mov_b32 s7, 0
.LBB31_1626:
	s_delay_alu instid0(SALU_CYCLE_1)
	s_and_not1_b32 vcc_lo, exec_lo, s7
	s_cbranch_vccnz .LBB31_1628
; %bb.1627:
	global_load_u8 v0, v[10:11], off
	s_wait_loadcnt 0x0
	v_lshlrev_b32_e32 v1, 25, v0
	v_lshlrev_b16 v0, 8, v0
	s_delay_alu instid0(VALU_DEP_2) | instskip(NEXT) | instid1(VALU_DEP_2)
	v_cmp_gt_u32_e32 vcc_lo, 0x8000000, v1
	v_and_or_b32 v4, 0x7f00, v0, 0.5
	v_lshrrev_b32_e32 v3, 4, v1
	v_bfe_i32 v0, v0, 0, 16
	s_delay_alu instid0(VALU_DEP_3) | instskip(NEXT) | instid1(VALU_DEP_3)
	v_add_f32_e32 v4, -0.5, v4
	v_or_b32_e32 v3, 0x70000000, v3
	s_delay_alu instid0(VALU_DEP_1) | instskip(NEXT) | instid1(VALU_DEP_1)
	v_mul_f32_e32 v3, 0x7800000, v3
	v_cndmask_b32_e32 v1, v3, v4, vcc_lo
	s_delay_alu instid0(VALU_DEP_1) | instskip(NEXT) | instid1(VALU_DEP_1)
	v_and_or_b32 v0, 0x80000000, v0, v1
	v_trunc_f32_e32 v0, v0
	s_delay_alu instid0(VALU_DEP_1) | instskip(NEXT) | instid1(VALU_DEP_1)
	v_mul_f32_e64 v1, 0x2f800000, |v0|
	v_floor_f32_e32 v1, v1
	s_delay_alu instid0(VALU_DEP_1) | instskip(SKIP_1) | instid1(VALU_DEP_2)
	v_fma_f32 v1, 0xcf800000, v1, |v0|
	v_ashrrev_i32_e32 v0, 31, v0
	v_cvt_u32_f32_e32 v1, v1
	s_delay_alu instid0(VALU_DEP_1) | instskip(NEXT) | instid1(VALU_DEP_1)
	v_xor_b32_e32 v1, v1, v0
	v_sub_nc_u32_e32 v4, v1, v0
.LBB31_1628:
	s_mov_b32 s7, 0
	s_mov_b32 s12, -1
.LBB31_1629:
	s_and_not1_b32 vcc_lo, exec_lo, s7
	s_mov_b32 s7, 0
	s_cbranch_vccnz .LBB31_1640
; %bb.1630:
	s_cmp_gt_i32 s1, 14
	s_cbranch_scc0 .LBB31_1633
; %bb.1631:
	s_cmp_eq_u32 s1, 15
	s_cbranch_scc0 .LBB31_1636
; %bb.1632:
	global_load_u16 v0, v[10:11], off
	s_mov_b32 s6, 0
	s_mov_b32 s12, -1
	s_wait_loadcnt 0x0
	v_lshlrev_b32_e32 v0, 16, v0
	s_delay_alu instid0(VALU_DEP_1) | instskip(NEXT) | instid1(VALU_DEP_1)
	v_trunc_f32_e32 v0, v0
	v_mul_f32_e64 v1, 0x2f800000, |v0|
	s_delay_alu instid0(VALU_DEP_1) | instskip(NEXT) | instid1(VALU_DEP_1)
	v_floor_f32_e32 v1, v1
	v_fma_f32 v1, 0xcf800000, v1, |v0|
	v_ashrrev_i32_e32 v0, 31, v0
	s_delay_alu instid0(VALU_DEP_2) | instskip(NEXT) | instid1(VALU_DEP_1)
	v_cvt_u32_f32_e32 v1, v1
	v_xor_b32_e32 v1, v1, v0
	s_delay_alu instid0(VALU_DEP_1)
	v_sub_nc_u32_e32 v4, v1, v0
	s_branch .LBB31_1638
.LBB31_1633:
	s_mov_b32 s7, -1
	s_branch .LBB31_1637
.LBB31_1634:
	s_and_not1_saveexec_b32 s7, s7
	s_cbranch_execz .LBB31_1615
.LBB31_1635:
	v_cmp_ne_u16_e32 vcc_lo, 0, v0
	s_and_not1_b32 s12, s12, exec_lo
	s_and_b32 s13, vcc_lo, exec_lo
	s_delay_alu instid0(SALU_CYCLE_1)
	s_or_b32 s12, s12, s13
	s_or_b32 exec_lo, exec_lo, s7
	v_mov_b32_e32 v4, 0
	s_and_saveexec_b32 s7, s12
	s_cbranch_execnz .LBB31_1616
	s_branch .LBB31_1617
.LBB31_1636:
	s_mov_b32 s6, -1
.LBB31_1637:
                                        ; implicit-def: $vgpr4
.LBB31_1638:
	s_and_b32 vcc_lo, exec_lo, s7
	s_mov_b32 s7, 0
	s_cbranch_vccz .LBB31_1640
; %bb.1639:
	s_cmp_lg_u32 s1, 11
	s_mov_b32 s7, -1
	s_cselect_b32 s1, -1, 0
	s_and_not1_b32 s6, s6, exec_lo
	s_and_b32 s1, s1, exec_lo
	s_delay_alu instid0(SALU_CYCLE_1)
	s_or_b32 s6, s6, s1
.LBB31_1640:
	s_mov_b32 s1, 0
.LBB31_1641:
	s_delay_alu instid0(SALU_CYCLE_1)
	s_and_b32 s36, s1, exec_lo
	s_and_not1_b32 s1, s58, exec_lo
	s_and_b32 s6, s6, exec_lo
	s_and_b32 s34, s12, exec_lo
	;; [unrolled: 1-line block ×3, first 2 shown]
	s_or_b32 s37, s1, s6
.LBB31_1642:
	s_wait_xcnt 0x0
	s_or_b32 exec_lo, exec_lo, s46
	s_delay_alu instid0(SALU_CYCLE_1)
	s_and_not1_b32 s1, s58, exec_lo
	s_and_b32 s6, s37, exec_lo
	s_and_b32 s34, s34, exec_lo
	;; [unrolled: 1-line block ×4, first 2 shown]
	s_or_b32 s58, s1, s6
.LBB31_1643:
	s_or_b32 exec_lo, exec_lo, s57
	s_delay_alu instid0(SALU_CYCLE_1)
	s_and_not1_b32 s1, s53, exec_lo
	s_and_b32 s6, s61, exec_lo
	s_and_not1_b32 s7, s55, exec_lo
	s_or_b32 s53, s1, s6
	s_and_not1_b32 s1, s54, exec_lo
	s_and_b32 s6, s59, exec_lo
	s_and_b32 s12, s60, exec_lo
	s_or_b32 s54, s1, s6
	s_and_not1_b32 s1, s52, exec_lo
	s_and_b32 s6, s58, exec_lo
	s_or_b32 s55, s7, s12
	s_and_b32 s34, s34, exec_lo
	s_and_b32 s36, s36, exec_lo
	;; [unrolled: 1-line block ×3, first 2 shown]
	s_or_b32 s52, s1, s6
.LBB31_1644:
	s_or_b32 exec_lo, exec_lo, s56
	s_delay_alu instid0(SALU_CYCLE_1)
	s_and_not1_b32 s1, s45, exec_lo
	s_and_b32 s6, s53, exec_lo
	s_and_not1_b32 s7, s49, exec_lo
	s_or_b32 s45, s1, s6
	s_and_not1_b32 s1, s48, exec_lo
	s_and_b32 s6, s54, exec_lo
	s_and_b32 s12, s55, exec_lo
	s_or_b32 s48, s1, s6
	s_and_not1_b32 s1, s50, exec_lo
	s_and_b32 s6, s52, exec_lo
	s_or_b32 s49, s7, s12
	s_and_b32 s34, s34, exec_lo
	s_and_b32 s36, s36, exec_lo
	s_and_b32 s27, s35, exec_lo
	s_or_b32 s50, s1, s6
	s_or_b32 exec_lo, exec_lo, s51
	s_mov_b32 s1, 0
	s_and_saveexec_b32 s6, s50
	s_cbranch_execz .LBB31_520
.LBB31_1645:
	s_mov_b32 s1, exec_lo
	s_and_not1_b32 s27, s27, exec_lo
	s_trap 2
	s_or_b32 exec_lo, exec_lo, s6
	s_and_saveexec_b32 s6, s27
	s_delay_alu instid0(SALU_CYCLE_1)
	s_xor_b32 s6, exec_lo, s6
	s_cbranch_execnz .LBB31_521
.LBB31_1646:
	s_or_b32 exec_lo, exec_lo, s6
	s_and_saveexec_b32 s6, s36
	s_cbranch_execz .LBB31_1692
.LBB31_1647:
	s_sext_i32_i16 s7, s0
	s_delay_alu instid0(SALU_CYCLE_1)
	s_cmp_lt_i32 s7, 5
	s_cbranch_scc1 .LBB31_1652
; %bb.1648:
	s_cmp_lt_i32 s7, 8
	s_cbranch_scc1 .LBB31_1653
; %bb.1649:
	s_cmp_lt_i32 s7, 9
	s_cbranch_scc1 .LBB31_1654
; %bb.1650:
	s_cmp_gt_i32 s7, 9
	s_cbranch_scc0 .LBB31_1655
; %bb.1651:
	s_wait_loadcnt 0x0
	global_load_b64 v[0:1], v[10:11], off
	s_mov_b32 s7, 0
	s_wait_loadcnt 0x0
	v_trunc_f64_e32 v[0:1], v[0:1]
	s_delay_alu instid0(VALU_DEP_1) | instskip(NEXT) | instid1(VALU_DEP_1)
	v_ldexp_f64 v[4:5], v[0:1], 0xffffffe0
	v_floor_f64_e32 v[4:5], v[4:5]
	s_delay_alu instid0(VALU_DEP_1) | instskip(NEXT) | instid1(VALU_DEP_1)
	v_fmamk_f64 v[0:1], v[4:5], 0xc1f00000, v[0:1]
	v_cvt_u32_f64_e32 v4, v[0:1]
	s_branch .LBB31_1656
.LBB31_1652:
                                        ; implicit-def: $vgpr4
	s_branch .LBB31_1673
.LBB31_1653:
                                        ; implicit-def: $vgpr4
	s_branch .LBB31_1662
.LBB31_1654:
	s_mov_b32 s7, -1
                                        ; implicit-def: $vgpr4
	s_branch .LBB31_1659
.LBB31_1655:
	s_mov_b32 s7, -1
                                        ; implicit-def: $vgpr4
.LBB31_1656:
	s_delay_alu instid0(SALU_CYCLE_1)
	s_and_not1_b32 vcc_lo, exec_lo, s7
	s_cbranch_vccnz .LBB31_1658
; %bb.1657:
	s_wait_loadcnt 0x0
	global_load_b32 v0, v[10:11], off
	s_wait_loadcnt 0x0
	v_trunc_f32_e32 v0, v0
	s_delay_alu instid0(VALU_DEP_1) | instskip(NEXT) | instid1(VALU_DEP_1)
	v_mul_f32_e64 v1, 0x2f800000, |v0|
	v_floor_f32_e32 v1, v1
	s_delay_alu instid0(VALU_DEP_1) | instskip(SKIP_1) | instid1(VALU_DEP_2)
	v_fma_f32 v1, 0xcf800000, v1, |v0|
	v_ashrrev_i32_e32 v0, 31, v0
	v_cvt_u32_f32_e32 v1, v1
	s_delay_alu instid0(VALU_DEP_1) | instskip(NEXT) | instid1(VALU_DEP_1)
	v_xor_b32_e32 v1, v1, v0
	v_sub_nc_u32_e32 v4, v1, v0
.LBB31_1658:
	s_mov_b32 s7, 0
.LBB31_1659:
	s_delay_alu instid0(SALU_CYCLE_1)
	s_and_not1_b32 vcc_lo, exec_lo, s7
	s_cbranch_vccnz .LBB31_1661
; %bb.1660:
	s_wait_loadcnt 0x0
	global_load_b32 v0, v[10:11], off
	s_wait_loadcnt 0x0
	v_cvt_f32_f16_e32 v0, v0
	s_delay_alu instid0(VALU_DEP_1)
	v_cvt_i32_f32_e32 v4, v0
.LBB31_1661:
	s_cbranch_execnz .LBB31_1672
.LBB31_1662:
	s_sext_i32_i16 s7, s0
	s_delay_alu instid0(SALU_CYCLE_1)
	s_cmp_lt_i32 s7, 6
	s_cbranch_scc1 .LBB31_1665
; %bb.1663:
	s_cmp_gt_i32 s7, 6
	s_cbranch_scc0 .LBB31_1666
; %bb.1664:
	s_wait_loadcnt 0x0
	global_load_b64 v[0:1], v[10:11], off
	s_mov_b32 s7, 0
	s_wait_loadcnt 0x0
	v_trunc_f64_e32 v[0:1], v[0:1]
	s_delay_alu instid0(VALU_DEP_1) | instskip(NEXT) | instid1(VALU_DEP_1)
	v_ldexp_f64 v[4:5], v[0:1], 0xffffffe0
	v_floor_f64_e32 v[4:5], v[4:5]
	s_delay_alu instid0(VALU_DEP_1) | instskip(NEXT) | instid1(VALU_DEP_1)
	v_fmamk_f64 v[0:1], v[4:5], 0xc1f00000, v[0:1]
	v_cvt_u32_f64_e32 v4, v[0:1]
	s_branch .LBB31_1667
.LBB31_1665:
	s_mov_b32 s7, -1
                                        ; implicit-def: $vgpr4
	s_branch .LBB31_1670
.LBB31_1666:
	s_mov_b32 s7, -1
                                        ; implicit-def: $vgpr4
.LBB31_1667:
	s_delay_alu instid0(SALU_CYCLE_1)
	s_and_not1_b32 vcc_lo, exec_lo, s7
	s_cbranch_vccnz .LBB31_1669
; %bb.1668:
	s_wait_loadcnt 0x0
	global_load_b32 v0, v[10:11], off
	s_wait_loadcnt 0x0
	v_trunc_f32_e32 v0, v0
	s_delay_alu instid0(VALU_DEP_1) | instskip(NEXT) | instid1(VALU_DEP_1)
	v_mul_f32_e64 v1, 0x2f800000, |v0|
	v_floor_f32_e32 v1, v1
	s_delay_alu instid0(VALU_DEP_1) | instskip(SKIP_1) | instid1(VALU_DEP_2)
	v_fma_f32 v1, 0xcf800000, v1, |v0|
	v_ashrrev_i32_e32 v0, 31, v0
	v_cvt_u32_f32_e32 v1, v1
	s_delay_alu instid0(VALU_DEP_1) | instskip(NEXT) | instid1(VALU_DEP_1)
	v_xor_b32_e32 v1, v1, v0
	v_sub_nc_u32_e32 v4, v1, v0
.LBB31_1669:
	s_mov_b32 s7, 0
.LBB31_1670:
	s_delay_alu instid0(SALU_CYCLE_1)
	s_and_not1_b32 vcc_lo, exec_lo, s7
	s_cbranch_vccnz .LBB31_1672
; %bb.1671:
	s_wait_loadcnt 0x0
	global_load_u16 v0, v[10:11], off
	s_wait_loadcnt 0x0
	v_cvt_f32_f16_e32 v0, v0
	s_delay_alu instid0(VALU_DEP_1)
	v_cvt_i32_f32_e32 v4, v0
.LBB31_1672:
	s_cbranch_execnz .LBB31_1691
.LBB31_1673:
	s_sext_i32_i16 s7, s0
	s_delay_alu instid0(SALU_CYCLE_1)
	s_cmp_lt_i32 s7, 2
	s_cbranch_scc1 .LBB31_1677
; %bb.1674:
	s_cmp_lt_i32 s7, 3
	s_cbranch_scc1 .LBB31_1678
; %bb.1675:
	s_cmp_gt_i32 s7, 3
	s_cbranch_scc0 .LBB31_1679
; %bb.1676:
	s_wait_loadcnt 0x0
	global_load_b64 v[4:5], v[10:11], off
	s_mov_b32 s7, 0
	s_branch .LBB31_1680
.LBB31_1677:
                                        ; implicit-def: $vgpr4
	s_branch .LBB31_1686
.LBB31_1678:
	s_mov_b32 s7, -1
                                        ; implicit-def: $vgpr4
	s_branch .LBB31_1683
.LBB31_1679:
	s_mov_b32 s7, -1
                                        ; implicit-def: $vgpr4
.LBB31_1680:
	s_delay_alu instid0(SALU_CYCLE_1)
	s_and_not1_b32 vcc_lo, exec_lo, s7
	s_cbranch_vccnz .LBB31_1682
; %bb.1681:
	s_wait_loadcnt 0x0
	global_load_b32 v4, v[10:11], off
.LBB31_1682:
	s_mov_b32 s7, 0
.LBB31_1683:
	s_delay_alu instid0(SALU_CYCLE_1)
	s_and_not1_b32 vcc_lo, exec_lo, s7
	s_cbranch_vccnz .LBB31_1685
; %bb.1684:
	s_wait_loadcnt 0x0
	global_load_u16 v4, v[10:11], off
.LBB31_1685:
	s_cbranch_execnz .LBB31_1691
.LBB31_1686:
	s_sext_i32_i16 s0, s0
	s_delay_alu instid0(SALU_CYCLE_1)
	s_cmp_gt_i32 s0, 0
	s_mov_b32 s0, 0
	s_cbranch_scc0 .LBB31_1688
; %bb.1687:
	s_wait_loadcnt 0x0
	global_load_u8 v4, v[10:11], off
	s_branch .LBB31_1689
.LBB31_1688:
	s_mov_b32 s0, -1
                                        ; implicit-def: $vgpr4
.LBB31_1689:
	s_delay_alu instid0(SALU_CYCLE_1)
	s_and_not1_b32 vcc_lo, exec_lo, s0
	s_cbranch_vccnz .LBB31_1691
; %bb.1690:
	s_wait_loadcnt 0x0
	global_load_u8 v4, v[10:11], off
.LBB31_1691:
	s_or_b32 s34, s34, exec_lo
.LBB31_1692:
	s_wait_xcnt 0x0
	s_or_b32 exec_lo, exec_lo, s6
	s_mov_b32 s13, 0
	s_mov_b32 s12, 0
	;; [unrolled: 1-line block ×3, first 2 shown]
                                        ; implicit-def: $sgpr0
                                        ; implicit-def: $vgpr10_vgpr11
                                        ; implicit-def: $vgpr0
	s_and_saveexec_b32 s6, s34
	s_cbranch_execz .LBB31_1700
; %bb.1693:
	s_wait_loadcnt 0x0
	v_mov_b32_e32 v9, 0
	s_and_b32 s0, s25, 0xff
	s_delay_alu instid0(SALU_CYCLE_1) | instskip(NEXT) | instid1(VALU_DEP_1)
	s_cmp_lt_i32 s0, 11
	v_add_nc_u64_e32 v[10:11], s[8:9], v[8:9]
	s_cbranch_scc1 .LBB31_1703
; %bb.1694:
	s_and_b32 s7, 0xffff, s0
	s_mov_b32 s9, 0
	s_cmp_gt_i32 s7, 25
	s_cbranch_scc0 .LBB31_1704
; %bb.1695:
	s_cmp_gt_i32 s7, 28
	s_cbranch_scc0 .LBB31_1705
; %bb.1696:
	s_cmp_gt_i32 s7, 43
	s_cbranch_scc0 .LBB31_1706
; %bb.1697:
	s_cmp_gt_i32 s7, 45
	s_cbranch_scc0 .LBB31_1707
; %bb.1698:
	s_cmp_eq_u32 s7, 46
	s_cbranch_scc0 .LBB31_1708
; %bb.1699:
	global_load_b32 v0, v[10:11], off
	s_mov_b32 s8, 0
	s_mov_b32 s12, -1
	s_wait_loadcnt 0x0
	v_lshlrev_b32_e32 v0, 16, v0
	s_delay_alu instid0(VALU_DEP_1) | instskip(NEXT) | instid1(VALU_DEP_1)
	v_trunc_f32_e32 v0, v0
	v_mul_f32_e64 v1, 0x2f800000, |v0|
	s_delay_alu instid0(VALU_DEP_1) | instskip(NEXT) | instid1(VALU_DEP_1)
	v_floor_f32_e32 v1, v1
	v_fma_f32 v1, 0xcf800000, v1, |v0|
	v_ashrrev_i32_e32 v0, 31, v0
	s_delay_alu instid0(VALU_DEP_2) | instskip(NEXT) | instid1(VALU_DEP_1)
	v_cvt_u32_f32_e32 v1, v1
	v_xor_b32_e32 v1, v1, v0
	s_delay_alu instid0(VALU_DEP_1)
	v_sub_nc_u32_e32 v0, v1, v0
	s_branch .LBB31_1710
.LBB31_1700:
	s_or_b32 exec_lo, exec_lo, s6
	s_and_saveexec_b32 s6, s49
	s_cbranch_execnz .LBB31_1769
.LBB31_1701:
	s_or_b32 exec_lo, exec_lo, s6
	s_and_saveexec_b32 s6, s13
	s_delay_alu instid0(SALU_CYCLE_1)
	s_xor_b32 s6, exec_lo, s6
	s_cbranch_execz .LBB31_1770
.LBB31_1702:
	s_wait_loadcnt 0x0
	global_load_u8 v0, v[10:11], off
	s_or_b32 s7, s7, exec_lo
	s_wait_loadcnt 0x0
	v_cmp_ne_u16_e32 vcc_lo, 0, v0
	v_cndmask_b32_e64 v0, 0, 1, vcc_lo
	s_wait_xcnt 0x0
	s_or_b32 exec_lo, exec_lo, s6
	s_and_saveexec_b32 s6, s12
	s_cbranch_execz .LBB31_1816
	s_branch .LBB31_1771
.LBB31_1703:
	s_mov_b32 s13, -1
	s_mov_b32 s9, 0
	s_mov_b32 s8, s49
                                        ; implicit-def: $vgpr0
	s_branch .LBB31_1768
.LBB31_1704:
	s_mov_b32 s8, s49
                                        ; implicit-def: $vgpr0
	s_cbranch_execnz .LBB31_1737
	s_branch .LBB31_1767
.LBB31_1705:
	s_mov_b32 s13, -1
	s_mov_b32 s8, s49
                                        ; implicit-def: $vgpr0
	s_branch .LBB31_1720
.LBB31_1706:
	s_mov_b32 s13, -1
	s_mov_b32 s8, s49
                                        ; implicit-def: $vgpr0
	s_branch .LBB31_1715
.LBB31_1707:
	s_mov_b32 s13, -1
	s_mov_b32 s8, s49
	s_branch .LBB31_1709
.LBB31_1708:
	s_mov_b32 s8, -1
.LBB31_1709:
                                        ; implicit-def: $vgpr0
.LBB31_1710:
	s_and_b32 vcc_lo, exec_lo, s13
	s_cbranch_vccz .LBB31_1714
; %bb.1711:
	s_cmp_eq_u32 s7, 44
	s_cbranch_scc0 .LBB31_1713
; %bb.1712:
	global_load_u8 v0, v[10:11], off
	s_mov_b32 s8, 0
	s_mov_b32 s12, -1
	s_wait_loadcnt 0x0
	v_lshlrev_b32_e32 v1, 23, v0
	v_cmp_ne_u32_e32 vcc_lo, 0, v0
	s_delay_alu instid0(VALU_DEP_2) | instskip(NEXT) | instid1(VALU_DEP_1)
	v_trunc_f32_e32 v1, v1
	v_mul_f32_e64 v3, 0x2f800000, |v1|
	s_delay_alu instid0(VALU_DEP_1) | instskip(NEXT) | instid1(VALU_DEP_1)
	v_floor_f32_e32 v3, v3
	v_fma_f32 v3, 0xcf800000, v3, |v1|
	v_ashrrev_i32_e32 v1, 31, v1
	s_delay_alu instid0(VALU_DEP_2) | instskip(NEXT) | instid1(VALU_DEP_1)
	v_cvt_u32_f32_e32 v3, v3
	v_xor_b32_e32 v3, v3, v1
	s_delay_alu instid0(VALU_DEP_1) | instskip(NEXT) | instid1(VALU_DEP_1)
	v_sub_nc_u32_e32 v1, v3, v1
	v_cndmask_b32_e32 v0, 0, v1, vcc_lo
	s_branch .LBB31_1714
.LBB31_1713:
	s_mov_b32 s8, -1
                                        ; implicit-def: $vgpr0
.LBB31_1714:
	s_mov_b32 s13, 0
.LBB31_1715:
	s_delay_alu instid0(SALU_CYCLE_1)
	s_and_b32 vcc_lo, exec_lo, s13
	s_cbranch_vccz .LBB31_1719
; %bb.1716:
	s_cmp_eq_u32 s7, 29
	s_cbranch_scc0 .LBB31_1718
; %bb.1717:
	global_load_b64 v[0:1], v[10:11], off
	s_mov_b32 s8, 0
	s_mov_b32 s12, -1
	s_branch .LBB31_1719
.LBB31_1718:
	s_mov_b32 s8, -1
                                        ; implicit-def: $vgpr0
.LBB31_1719:
	s_mov_b32 s13, 0
.LBB31_1720:
	s_delay_alu instid0(SALU_CYCLE_1)
	s_and_b32 vcc_lo, exec_lo, s13
	s_cbranch_vccz .LBB31_1736
; %bb.1721:
	s_cmp_lt_i32 s7, 27
	s_cbranch_scc1 .LBB31_1724
; %bb.1722:
	s_cmp_gt_i32 s7, 27
	s_cbranch_scc0 .LBB31_1725
; %bb.1723:
	s_wait_loadcnt 0x0
	global_load_b32 v0, v[10:11], off
	s_mov_b32 s12, 0
	s_branch .LBB31_1726
.LBB31_1724:
	s_mov_b32 s12, -1
                                        ; implicit-def: $vgpr0
	s_branch .LBB31_1729
.LBB31_1725:
	s_mov_b32 s12, -1
                                        ; implicit-def: $vgpr0
.LBB31_1726:
	s_delay_alu instid0(SALU_CYCLE_1)
	s_and_not1_b32 vcc_lo, exec_lo, s12
	s_cbranch_vccnz .LBB31_1728
; %bb.1727:
	s_wait_loadcnt 0x0
	global_load_u16 v0, v[10:11], off
.LBB31_1728:
	s_mov_b32 s12, 0
.LBB31_1729:
	s_delay_alu instid0(SALU_CYCLE_1)
	s_and_not1_b32 vcc_lo, exec_lo, s12
	s_cbranch_vccnz .LBB31_1735
; %bb.1730:
	s_wait_loadcnt 0x0
	global_load_u8 v1, v[10:11], off
	s_mov_b32 s13, 0
	s_mov_b32 s12, exec_lo
	s_wait_loadcnt 0x0
	v_cmpx_lt_i16_e32 0x7f, v1
	s_xor_b32 s12, exec_lo, s12
	s_cbranch_execz .LBB31_1746
; %bb.1731:
	v_cmp_ne_u16_e32 vcc_lo, 0x80, v1
	s_and_b32 s13, vcc_lo, exec_lo
	s_and_not1_saveexec_b32 s12, s12
	s_cbranch_execnz .LBB31_1747
.LBB31_1732:
	s_or_b32 exec_lo, exec_lo, s12
	v_mov_b32_e32 v0, 0
	s_and_saveexec_b32 s12, s13
	s_cbranch_execz .LBB31_1734
.LBB31_1733:
	v_and_b32_e32 v0, 0xffff, v1
	s_delay_alu instid0(VALU_DEP_1) | instskip(SKIP_1) | instid1(VALU_DEP_2)
	v_and_b32_e32 v3, 7, v0
	v_bfe_u32 v8, v0, 3, 4
	v_clz_i32_u32_e32 v5, v3
	s_delay_alu instid0(VALU_DEP_2) | instskip(NEXT) | instid1(VALU_DEP_2)
	v_cmp_eq_u32_e32 vcc_lo, 0, v8
	v_min_u32_e32 v5, 32, v5
	s_delay_alu instid0(VALU_DEP_1) | instskip(NEXT) | instid1(VALU_DEP_1)
	v_subrev_nc_u32_e32 v7, 28, v5
	v_dual_lshlrev_b32 v0, v7, v0 :: v_dual_sub_nc_u32 v5, 29, v5
	s_delay_alu instid0(VALU_DEP_1) | instskip(NEXT) | instid1(VALU_DEP_1)
	v_dual_lshlrev_b32 v1, 24, v1 :: v_dual_bitop2_b32 v0, 7, v0 bitop3:0x40
	v_dual_cndmask_b32 v0, v3, v0 :: v_dual_cndmask_b32 v5, v8, v5
	s_delay_alu instid0(VALU_DEP_2) | instskip(NEXT) | instid1(VALU_DEP_2)
	v_and_b32_e32 v1, 0x80000000, v1
	v_lshlrev_b32_e32 v0, 20, v0
	s_delay_alu instid0(VALU_DEP_3) | instskip(NEXT) | instid1(VALU_DEP_1)
	v_lshl_add_u32 v3, v5, 23, 0x3b800000
	v_or3_b32 v0, v1, v3, v0
	s_delay_alu instid0(VALU_DEP_1) | instskip(NEXT) | instid1(VALU_DEP_1)
	v_trunc_f32_e32 v0, v0
	v_mul_f32_e64 v1, 0x2f800000, |v0|
	s_delay_alu instid0(VALU_DEP_1) | instskip(NEXT) | instid1(VALU_DEP_1)
	v_floor_f32_e32 v1, v1
	v_fma_f32 v1, 0xcf800000, v1, |v0|
	v_ashrrev_i32_e32 v0, 31, v0
	s_delay_alu instid0(VALU_DEP_2) | instskip(NEXT) | instid1(VALU_DEP_1)
	v_cvt_u32_f32_e32 v1, v1
	v_xor_b32_e32 v1, v1, v0
	s_delay_alu instid0(VALU_DEP_1)
	v_sub_nc_u32_e32 v0, v1, v0
.LBB31_1734:
	s_or_b32 exec_lo, exec_lo, s12
.LBB31_1735:
	s_mov_b32 s12, -1
.LBB31_1736:
	s_branch .LBB31_1767
.LBB31_1737:
	s_cmp_gt_i32 s7, 22
	s_cbranch_scc0 .LBB31_1745
; %bb.1738:
	s_cmp_lt_i32 s7, 24
	s_cbranch_scc1 .LBB31_1748
; %bb.1739:
	s_cmp_gt_i32 s7, 24
	s_cbranch_scc0 .LBB31_1749
; %bb.1740:
	s_wait_loadcnt 0x0
	global_load_u8 v1, v[10:11], off
	s_mov_b32 s12, 0
	s_mov_b32 s9, exec_lo
	s_wait_loadcnt 0x0
	v_cmpx_lt_i16_e32 0x7f, v1
	s_xor_b32 s9, exec_lo, s9
	s_cbranch_execz .LBB31_1761
; %bb.1741:
	v_cmp_ne_u16_e32 vcc_lo, 0x80, v1
	s_and_b32 s12, vcc_lo, exec_lo
	s_and_not1_saveexec_b32 s9, s9
	s_cbranch_execnz .LBB31_1762
.LBB31_1742:
	s_or_b32 exec_lo, exec_lo, s9
	v_mov_b32_e32 v0, 0
	s_and_saveexec_b32 s9, s12
	s_cbranch_execz .LBB31_1744
.LBB31_1743:
	v_and_b32_e32 v0, 0xffff, v1
	s_delay_alu instid0(VALU_DEP_1) | instskip(SKIP_1) | instid1(VALU_DEP_2)
	v_and_b32_e32 v3, 3, v0
	v_bfe_u32 v8, v0, 2, 5
	v_clz_i32_u32_e32 v5, v3
	s_delay_alu instid0(VALU_DEP_2) | instskip(NEXT) | instid1(VALU_DEP_2)
	v_cmp_eq_u32_e32 vcc_lo, 0, v8
	v_min_u32_e32 v5, 32, v5
	s_delay_alu instid0(VALU_DEP_1) | instskip(NEXT) | instid1(VALU_DEP_1)
	v_subrev_nc_u32_e32 v7, 29, v5
	v_dual_lshlrev_b32 v0, v7, v0 :: v_dual_sub_nc_u32 v5, 30, v5
	s_delay_alu instid0(VALU_DEP_1) | instskip(NEXT) | instid1(VALU_DEP_1)
	v_dual_lshlrev_b32 v1, 24, v1 :: v_dual_bitop2_b32 v0, 3, v0 bitop3:0x40
	v_dual_cndmask_b32 v0, v3, v0 :: v_dual_cndmask_b32 v5, v8, v5
	s_delay_alu instid0(VALU_DEP_2) | instskip(NEXT) | instid1(VALU_DEP_2)
	v_and_b32_e32 v1, 0x80000000, v1
	v_lshlrev_b32_e32 v0, 21, v0
	s_delay_alu instid0(VALU_DEP_3) | instskip(NEXT) | instid1(VALU_DEP_1)
	v_lshl_add_u32 v3, v5, 23, 0x37800000
	v_or3_b32 v0, v1, v3, v0
	s_delay_alu instid0(VALU_DEP_1) | instskip(NEXT) | instid1(VALU_DEP_1)
	v_trunc_f32_e32 v0, v0
	v_mul_f32_e64 v1, 0x2f800000, |v0|
	s_delay_alu instid0(VALU_DEP_1) | instskip(NEXT) | instid1(VALU_DEP_1)
	v_floor_f32_e32 v1, v1
	v_fma_f32 v1, 0xcf800000, v1, |v0|
	v_ashrrev_i32_e32 v0, 31, v0
	s_delay_alu instid0(VALU_DEP_2) | instskip(NEXT) | instid1(VALU_DEP_1)
	v_cvt_u32_f32_e32 v1, v1
	v_xor_b32_e32 v1, v1, v0
	s_delay_alu instid0(VALU_DEP_1)
	v_sub_nc_u32_e32 v0, v1, v0
.LBB31_1744:
	s_or_b32 exec_lo, exec_lo, s9
	s_mov_b32 s9, 0
	s_branch .LBB31_1750
.LBB31_1745:
	s_mov_b32 s9, -1
                                        ; implicit-def: $vgpr0
	s_branch .LBB31_1756
.LBB31_1746:
	s_and_not1_saveexec_b32 s12, s12
	s_cbranch_execz .LBB31_1732
.LBB31_1747:
	v_cmp_ne_u16_e32 vcc_lo, 0, v1
	s_and_not1_b32 s13, s13, exec_lo
	s_and_b32 s14, vcc_lo, exec_lo
	s_delay_alu instid0(SALU_CYCLE_1)
	s_or_b32 s13, s13, s14
	s_or_b32 exec_lo, exec_lo, s12
	v_mov_b32_e32 v0, 0
	s_and_saveexec_b32 s12, s13
	s_cbranch_execnz .LBB31_1733
	s_branch .LBB31_1734
.LBB31_1748:
	s_mov_b32 s9, -1
                                        ; implicit-def: $vgpr0
	s_branch .LBB31_1753
.LBB31_1749:
	s_mov_b32 s9, -1
                                        ; implicit-def: $vgpr0
.LBB31_1750:
	s_delay_alu instid0(SALU_CYCLE_1)
	s_and_b32 vcc_lo, exec_lo, s9
	s_cbranch_vccz .LBB31_1752
; %bb.1751:
	s_wait_loadcnt 0x0
	global_load_u8 v0, v[10:11], off
	s_wait_loadcnt 0x0
	v_lshlrev_b32_e32 v0, 24, v0
	s_delay_alu instid0(VALU_DEP_1) | instskip(NEXT) | instid1(VALU_DEP_1)
	v_and_b32_e32 v1, 0x7f000000, v0
	v_clz_i32_u32_e32 v3, v1
	v_add_nc_u32_e32 v7, 0x1000000, v1
	v_cmp_ne_u32_e32 vcc_lo, 0, v1
	s_delay_alu instid0(VALU_DEP_3) | instskip(NEXT) | instid1(VALU_DEP_1)
	v_min_u32_e32 v3, 32, v3
	v_sub_nc_u32_e64 v3, v3, 4 clamp
	s_delay_alu instid0(VALU_DEP_1) | instskip(NEXT) | instid1(VALU_DEP_1)
	v_dual_lshlrev_b32 v5, v3, v1 :: v_dual_lshlrev_b32 v3, 23, v3
	v_lshrrev_b32_e32 v5, 4, v5
	s_delay_alu instid0(VALU_DEP_1) | instskip(SKIP_1) | instid1(VALU_DEP_2)
	v_sub_nc_u32_e32 v3, v5, v3
	v_ashrrev_i32_e32 v5, 8, v7
	v_add_nc_u32_e32 v3, 0x3c000000, v3
	s_delay_alu instid0(VALU_DEP_1) | instskip(NEXT) | instid1(VALU_DEP_1)
	v_and_or_b32 v3, 0x7f800000, v5, v3
	v_cndmask_b32_e32 v1, 0, v3, vcc_lo
	s_delay_alu instid0(VALU_DEP_1) | instskip(NEXT) | instid1(VALU_DEP_1)
	v_and_or_b32 v0, 0x80000000, v0, v1
	v_trunc_f32_e32 v0, v0
	s_delay_alu instid0(VALU_DEP_1) | instskip(NEXT) | instid1(VALU_DEP_1)
	v_mul_f32_e64 v1, 0x2f800000, |v0|
	v_floor_f32_e32 v1, v1
	s_delay_alu instid0(VALU_DEP_1) | instskip(SKIP_1) | instid1(VALU_DEP_2)
	v_fma_f32 v1, 0xcf800000, v1, |v0|
	v_ashrrev_i32_e32 v0, 31, v0
	v_cvt_u32_f32_e32 v1, v1
	s_delay_alu instid0(VALU_DEP_1) | instskip(NEXT) | instid1(VALU_DEP_1)
	v_xor_b32_e32 v1, v1, v0
	v_sub_nc_u32_e32 v0, v1, v0
.LBB31_1752:
	s_mov_b32 s9, 0
.LBB31_1753:
	s_delay_alu instid0(SALU_CYCLE_1)
	s_and_not1_b32 vcc_lo, exec_lo, s9
	s_cbranch_vccnz .LBB31_1755
; %bb.1754:
	s_wait_loadcnt 0x0
	global_load_u8 v0, v[10:11], off
	s_wait_loadcnt 0x0
	v_lshlrev_b32_e32 v1, 25, v0
	v_lshlrev_b16 v0, 8, v0
	s_delay_alu instid0(VALU_DEP_1) | instskip(SKIP_1) | instid1(VALU_DEP_2)
	v_and_or_b32 v5, 0x7f00, v0, 0.5
	v_bfe_i32 v0, v0, 0, 16
	v_add_f32_e32 v5, -0.5, v5
	v_lshrrev_b32_e32 v3, 4, v1
	v_cmp_gt_u32_e32 vcc_lo, 0x8000000, v1
	s_delay_alu instid0(VALU_DEP_2) | instskip(NEXT) | instid1(VALU_DEP_1)
	v_or_b32_e32 v3, 0x70000000, v3
	v_mul_f32_e32 v3, 0x7800000, v3
	s_delay_alu instid0(VALU_DEP_1) | instskip(NEXT) | instid1(VALU_DEP_1)
	v_cndmask_b32_e32 v1, v3, v5, vcc_lo
	v_and_or_b32 v0, 0x80000000, v0, v1
	s_delay_alu instid0(VALU_DEP_1) | instskip(NEXT) | instid1(VALU_DEP_1)
	v_trunc_f32_e32 v0, v0
	v_mul_f32_e64 v1, 0x2f800000, |v0|
	s_delay_alu instid0(VALU_DEP_1) | instskip(NEXT) | instid1(VALU_DEP_1)
	v_floor_f32_e32 v1, v1
	v_fma_f32 v1, 0xcf800000, v1, |v0|
	v_ashrrev_i32_e32 v0, 31, v0
	s_delay_alu instid0(VALU_DEP_2) | instskip(NEXT) | instid1(VALU_DEP_1)
	v_cvt_u32_f32_e32 v1, v1
	v_xor_b32_e32 v1, v1, v0
	s_delay_alu instid0(VALU_DEP_1)
	v_sub_nc_u32_e32 v0, v1, v0
.LBB31_1755:
	s_mov_b32 s9, 0
	s_mov_b32 s12, -1
.LBB31_1756:
	s_and_not1_b32 vcc_lo, exec_lo, s9
	s_mov_b32 s9, 0
	s_cbranch_vccnz .LBB31_1767
; %bb.1757:
	s_cmp_gt_i32 s7, 14
	s_cbranch_scc0 .LBB31_1760
; %bb.1758:
	s_cmp_eq_u32 s7, 15
	s_cbranch_scc0 .LBB31_1763
; %bb.1759:
	s_wait_loadcnt 0x0
	global_load_u16 v0, v[10:11], off
	s_mov_b32 s8, 0
	s_mov_b32 s12, -1
	s_wait_loadcnt 0x0
	v_lshlrev_b32_e32 v0, 16, v0
	s_delay_alu instid0(VALU_DEP_1) | instskip(NEXT) | instid1(VALU_DEP_1)
	v_trunc_f32_e32 v0, v0
	v_mul_f32_e64 v1, 0x2f800000, |v0|
	s_delay_alu instid0(VALU_DEP_1) | instskip(NEXT) | instid1(VALU_DEP_1)
	v_floor_f32_e32 v1, v1
	v_fma_f32 v1, 0xcf800000, v1, |v0|
	v_ashrrev_i32_e32 v0, 31, v0
	s_delay_alu instid0(VALU_DEP_2) | instskip(NEXT) | instid1(VALU_DEP_1)
	v_cvt_u32_f32_e32 v1, v1
	v_xor_b32_e32 v1, v1, v0
	s_delay_alu instid0(VALU_DEP_1)
	v_sub_nc_u32_e32 v0, v1, v0
	s_branch .LBB31_1765
.LBB31_1760:
	s_mov_b32 s9, -1
	s_branch .LBB31_1764
.LBB31_1761:
	s_and_not1_saveexec_b32 s9, s9
	s_cbranch_execz .LBB31_1742
.LBB31_1762:
	v_cmp_ne_u16_e32 vcc_lo, 0, v1
	s_and_not1_b32 s12, s12, exec_lo
	s_and_b32 s13, vcc_lo, exec_lo
	s_delay_alu instid0(SALU_CYCLE_1)
	s_or_b32 s12, s12, s13
	s_or_b32 exec_lo, exec_lo, s9
	v_mov_b32_e32 v0, 0
	s_and_saveexec_b32 s9, s12
	s_cbranch_execnz .LBB31_1743
	s_branch .LBB31_1744
.LBB31_1763:
	s_mov_b32 s8, -1
.LBB31_1764:
                                        ; implicit-def: $vgpr0
.LBB31_1765:
	s_and_b32 vcc_lo, exec_lo, s9
	s_mov_b32 s9, 0
	s_cbranch_vccz .LBB31_1767
; %bb.1766:
	s_cmp_lg_u32 s7, 11
	s_mov_b32 s9, -1
	s_cselect_b32 s7, -1, 0
	s_and_not1_b32 s8, s8, exec_lo
	s_and_b32 s7, s7, exec_lo
	s_delay_alu instid0(SALU_CYCLE_1)
	s_or_b32 s8, s8, s7
.LBB31_1767:
	s_mov_b32 s13, 0
.LBB31_1768:
	s_and_not1_b32 s14, s49, exec_lo
	s_and_b32 s8, s8, exec_lo
	s_and_b32 s7, s12, exec_lo
	s_and_b32 s12, s13, exec_lo
	s_and_b32 s13, s9, exec_lo
	s_or_b32 s49, s14, s8
	s_wait_xcnt 0x0
	s_or_b32 exec_lo, exec_lo, s6
	s_and_saveexec_b32 s6, s49
	s_cbranch_execz .LBB31_1701
.LBB31_1769:
	s_or_b32 s1, s1, exec_lo
	s_and_not1_b32 s13, s13, exec_lo
	s_trap 2
	s_or_b32 exec_lo, exec_lo, s6
	s_and_saveexec_b32 s6, s13
	s_delay_alu instid0(SALU_CYCLE_1)
	s_xor_b32 s6, exec_lo, s6
	s_cbranch_execnz .LBB31_1702
.LBB31_1770:
	s_or_b32 exec_lo, exec_lo, s6
	s_and_saveexec_b32 s6, s12
	s_cbranch_execz .LBB31_1816
.LBB31_1771:
	s_sext_i32_i16 s8, s0
	s_delay_alu instid0(SALU_CYCLE_1)
	s_cmp_lt_i32 s8, 5
	s_cbranch_scc1 .LBB31_1776
; %bb.1772:
	s_cmp_lt_i32 s8, 8
	s_cbranch_scc1 .LBB31_1777
; %bb.1773:
	;; [unrolled: 3-line block ×3, first 2 shown]
	s_cmp_gt_i32 s8, 9
	s_cbranch_scc0 .LBB31_1779
; %bb.1775:
	s_wait_loadcnt 0x0
	global_load_b64 v[0:1], v[10:11], off
	s_mov_b32 s8, 0
	s_wait_loadcnt 0x0
	v_trunc_f64_e32 v[0:1], v[0:1]
	s_delay_alu instid0(VALU_DEP_1) | instskip(NEXT) | instid1(VALU_DEP_1)
	v_ldexp_f64 v[8:9], v[0:1], 0xffffffe0
	v_floor_f64_e32 v[8:9], v[8:9]
	s_delay_alu instid0(VALU_DEP_1) | instskip(NEXT) | instid1(VALU_DEP_1)
	v_fmamk_f64 v[0:1], v[8:9], 0xc1f00000, v[0:1]
	v_cvt_u32_f64_e32 v0, v[0:1]
	s_branch .LBB31_1780
.LBB31_1776:
                                        ; implicit-def: $vgpr0
	s_branch .LBB31_1797
.LBB31_1777:
                                        ; implicit-def: $vgpr0
	s_branch .LBB31_1786
.LBB31_1778:
	s_mov_b32 s8, -1
                                        ; implicit-def: $vgpr0
	s_branch .LBB31_1783
.LBB31_1779:
	s_mov_b32 s8, -1
                                        ; implicit-def: $vgpr0
.LBB31_1780:
	s_delay_alu instid0(SALU_CYCLE_1)
	s_and_not1_b32 vcc_lo, exec_lo, s8
	s_cbranch_vccnz .LBB31_1782
; %bb.1781:
	s_wait_loadcnt 0x0
	global_load_b32 v0, v[10:11], off
	s_wait_loadcnt 0x0
	v_trunc_f32_e32 v0, v0
	s_delay_alu instid0(VALU_DEP_1) | instskip(NEXT) | instid1(VALU_DEP_1)
	v_mul_f32_e64 v1, 0x2f800000, |v0|
	v_floor_f32_e32 v1, v1
	s_delay_alu instid0(VALU_DEP_1) | instskip(SKIP_1) | instid1(VALU_DEP_2)
	v_fma_f32 v1, 0xcf800000, v1, |v0|
	v_ashrrev_i32_e32 v0, 31, v0
	v_cvt_u32_f32_e32 v1, v1
	s_delay_alu instid0(VALU_DEP_1) | instskip(NEXT) | instid1(VALU_DEP_1)
	v_xor_b32_e32 v1, v1, v0
	v_sub_nc_u32_e32 v0, v1, v0
.LBB31_1782:
	s_mov_b32 s8, 0
.LBB31_1783:
	s_delay_alu instid0(SALU_CYCLE_1)
	s_and_not1_b32 vcc_lo, exec_lo, s8
	s_cbranch_vccnz .LBB31_1785
; %bb.1784:
	s_wait_loadcnt 0x0
	global_load_b32 v0, v[10:11], off
	s_wait_loadcnt 0x0
	v_cvt_f32_f16_e32 v0, v0
	s_delay_alu instid0(VALU_DEP_1)
	v_cvt_i32_f32_e32 v0, v0
.LBB31_1785:
	s_cbranch_execnz .LBB31_1796
.LBB31_1786:
	s_sext_i32_i16 s8, s0
	s_delay_alu instid0(SALU_CYCLE_1)
	s_cmp_lt_i32 s8, 6
	s_cbranch_scc1 .LBB31_1789
; %bb.1787:
	s_cmp_gt_i32 s8, 6
	s_cbranch_scc0 .LBB31_1790
; %bb.1788:
	s_wait_loadcnt 0x0
	global_load_b64 v[0:1], v[10:11], off
	s_mov_b32 s8, 0
	s_wait_loadcnt 0x0
	v_trunc_f64_e32 v[0:1], v[0:1]
	s_delay_alu instid0(VALU_DEP_1) | instskip(NEXT) | instid1(VALU_DEP_1)
	v_ldexp_f64 v[8:9], v[0:1], 0xffffffe0
	v_floor_f64_e32 v[8:9], v[8:9]
	s_delay_alu instid0(VALU_DEP_1) | instskip(NEXT) | instid1(VALU_DEP_1)
	v_fmamk_f64 v[0:1], v[8:9], 0xc1f00000, v[0:1]
	v_cvt_u32_f64_e32 v0, v[0:1]
	s_branch .LBB31_1791
.LBB31_1789:
	s_mov_b32 s8, -1
                                        ; implicit-def: $vgpr0
	s_branch .LBB31_1794
.LBB31_1790:
	s_mov_b32 s8, -1
                                        ; implicit-def: $vgpr0
.LBB31_1791:
	s_delay_alu instid0(SALU_CYCLE_1)
	s_and_not1_b32 vcc_lo, exec_lo, s8
	s_cbranch_vccnz .LBB31_1793
; %bb.1792:
	s_wait_loadcnt 0x0
	global_load_b32 v0, v[10:11], off
	s_wait_loadcnt 0x0
	v_trunc_f32_e32 v0, v0
	s_delay_alu instid0(VALU_DEP_1) | instskip(NEXT) | instid1(VALU_DEP_1)
	v_mul_f32_e64 v1, 0x2f800000, |v0|
	v_floor_f32_e32 v1, v1
	s_delay_alu instid0(VALU_DEP_1) | instskip(SKIP_1) | instid1(VALU_DEP_2)
	v_fma_f32 v1, 0xcf800000, v1, |v0|
	v_ashrrev_i32_e32 v0, 31, v0
	v_cvt_u32_f32_e32 v1, v1
	s_delay_alu instid0(VALU_DEP_1) | instskip(NEXT) | instid1(VALU_DEP_1)
	v_xor_b32_e32 v1, v1, v0
	v_sub_nc_u32_e32 v0, v1, v0
.LBB31_1793:
	s_mov_b32 s8, 0
.LBB31_1794:
	s_delay_alu instid0(SALU_CYCLE_1)
	s_and_not1_b32 vcc_lo, exec_lo, s8
	s_cbranch_vccnz .LBB31_1796
; %bb.1795:
	s_wait_loadcnt 0x0
	global_load_u16 v0, v[10:11], off
	s_wait_loadcnt 0x0
	v_cvt_f32_f16_e32 v0, v0
	s_delay_alu instid0(VALU_DEP_1)
	v_cvt_i32_f32_e32 v0, v0
.LBB31_1796:
	s_cbranch_execnz .LBB31_1815
.LBB31_1797:
	s_sext_i32_i16 s8, s0
	s_delay_alu instid0(SALU_CYCLE_1)
	s_cmp_lt_i32 s8, 2
	s_cbranch_scc1 .LBB31_1801
; %bb.1798:
	s_cmp_lt_i32 s8, 3
	s_cbranch_scc1 .LBB31_1802
; %bb.1799:
	s_cmp_gt_i32 s8, 3
	s_cbranch_scc0 .LBB31_1803
; %bb.1800:
	s_wait_loadcnt 0x0
	global_load_b64 v[0:1], v[10:11], off
	s_mov_b32 s8, 0
	s_branch .LBB31_1804
.LBB31_1801:
                                        ; implicit-def: $vgpr0
	s_branch .LBB31_1810
.LBB31_1802:
	s_mov_b32 s8, -1
                                        ; implicit-def: $vgpr0
	s_branch .LBB31_1807
.LBB31_1803:
	s_mov_b32 s8, -1
                                        ; implicit-def: $vgpr0
.LBB31_1804:
	s_delay_alu instid0(SALU_CYCLE_1)
	s_and_not1_b32 vcc_lo, exec_lo, s8
	s_cbranch_vccnz .LBB31_1806
; %bb.1805:
	s_wait_loadcnt 0x0
	global_load_b32 v0, v[10:11], off
.LBB31_1806:
	s_mov_b32 s8, 0
.LBB31_1807:
	s_delay_alu instid0(SALU_CYCLE_1)
	s_and_not1_b32 vcc_lo, exec_lo, s8
	s_cbranch_vccnz .LBB31_1809
; %bb.1808:
	s_wait_loadcnt 0x0
	global_load_u16 v0, v[10:11], off
.LBB31_1809:
	s_cbranch_execnz .LBB31_1815
.LBB31_1810:
	s_sext_i32_i16 s0, s0
	s_delay_alu instid0(SALU_CYCLE_1)
	s_cmp_gt_i32 s0, 0
	s_mov_b32 s0, 0
	s_cbranch_scc0 .LBB31_1812
; %bb.1811:
	s_wait_loadcnt 0x0
	global_load_u8 v0, v[10:11], off
	s_branch .LBB31_1813
.LBB31_1812:
	s_mov_b32 s0, -1
                                        ; implicit-def: $vgpr0
.LBB31_1813:
	s_delay_alu instid0(SALU_CYCLE_1)
	s_and_not1_b32 vcc_lo, exec_lo, s0
	s_cbranch_vccnz .LBB31_1815
; %bb.1814:
	s_wait_loadcnt 0x0
	global_load_u8 v0, v[10:11], off
.LBB31_1815:
	s_or_b32 s7, s7, exec_lo
.LBB31_1816:
	s_wait_xcnt 0x0
	s_or_b32 exec_lo, exec_lo, s6
	s_mov_b32 s8, 0
	s_mov_b32 s12, 0
	;; [unrolled: 1-line block ×3, first 2 shown]
                                        ; implicit-def: $sgpr0
                                        ; implicit-def: $vgpr8_vgpr9
                                        ; implicit-def: $vgpr10
	s_and_saveexec_b32 s6, s7
	s_cbranch_execz .LBB31_1824
; %bb.1817:
	v_mov_b32_e32 v7, 0
	s_and_b32 s0, s29, 0xff
	s_delay_alu instid0(SALU_CYCLE_1) | instskip(SKIP_1) | instid1(VALU_DEP_1)
	s_cmp_lt_i32 s0, 11
	s_wait_loadcnt 0x0
	v_add_nc_u64_e32 v[8:9], s[10:11], v[6:7]
	s_cbranch_scc1 .LBB31_1827
; %bb.1818:
	s_and_b32 s7, 0xffff, s0
	s_mov_b32 s10, 0
	s_cmp_gt_i32 s7, 25
	s_cbranch_scc0 .LBB31_1828
; %bb.1819:
	s_cmp_gt_i32 s7, 28
	s_cbranch_scc0 .LBB31_1829
; %bb.1820:
	;; [unrolled: 3-line block ×4, first 2 shown]
	s_cmp_eq_u32 s7, 46
	s_mov_b32 s11, 0
	s_cbranch_scc0 .LBB31_1832
; %bb.1823:
	global_load_b32 v1, v[8:9], off
	s_mov_b32 s9, -1
	s_wait_loadcnt 0x0
	v_lshlrev_b32_e32 v1, 16, v1
	s_delay_alu instid0(VALU_DEP_1) | instskip(NEXT) | instid1(VALU_DEP_1)
	v_trunc_f32_e32 v1, v1
	v_mul_f32_e64 v3, 0x2f800000, |v1|
	s_delay_alu instid0(VALU_DEP_1) | instskip(NEXT) | instid1(VALU_DEP_1)
	v_floor_f32_e32 v3, v3
	v_fma_f32 v3, 0xcf800000, v3, |v1|
	v_ashrrev_i32_e32 v1, 31, v1
	s_delay_alu instid0(VALU_DEP_2) | instskip(NEXT) | instid1(VALU_DEP_1)
	v_cvt_u32_f32_e32 v3, v3
	v_xor_b32_e32 v3, v3, v1
	s_delay_alu instid0(VALU_DEP_1)
	v_sub_nc_u32_e32 v10, v3, v1
	s_branch .LBB31_1834
.LBB31_1824:
	s_or_b32 exec_lo, exec_lo, s6
	s_and_saveexec_b32 s6, s48
	s_cbranch_execnz .LBB31_1893
.LBB31_1825:
	s_or_b32 exec_lo, exec_lo, s6
	s_and_saveexec_b32 s6, s8
	s_delay_alu instid0(SALU_CYCLE_1)
	s_xor_b32 s6, exec_lo, s6
	s_cbranch_execz .LBB31_1894
.LBB31_1826:
	s_wait_loadcnt 0x0
	global_load_u8 v1, v[8:9], off
	s_or_b32 s9, s9, exec_lo
	s_wait_loadcnt 0x0
	v_cmp_ne_u16_e32 vcc_lo, 0, v1
	v_cndmask_b32_e64 v10, 0, 1, vcc_lo
	s_wait_xcnt 0x0
	s_or_b32 exec_lo, exec_lo, s6
	s_and_saveexec_b32 s6, s12
	s_cbranch_execz .LBB31_1940
	s_branch .LBB31_1895
.LBB31_1827:
	s_mov_b32 s7, -1
	s_mov_b32 s10, 0
	s_mov_b32 s8, s48
                                        ; implicit-def: $vgpr10
	s_branch .LBB31_1892
.LBB31_1828:
	s_mov_b32 s8, s48
                                        ; implicit-def: $vgpr10
	s_cbranch_execnz .LBB31_1861
	s_branch .LBB31_1891
.LBB31_1829:
	s_mov_b32 s11, -1
	s_mov_b32 s8, s48
                                        ; implicit-def: $vgpr10
	s_branch .LBB31_1844
.LBB31_1830:
	s_mov_b32 s11, -1
	s_mov_b32 s8, s48
                                        ; implicit-def: $vgpr10
	s_branch .LBB31_1839
.LBB31_1831:
	s_mov_b32 s11, -1
	s_mov_b32 s8, s48
	s_branch .LBB31_1833
.LBB31_1832:
	s_mov_b32 s8, -1
.LBB31_1833:
                                        ; implicit-def: $vgpr10
.LBB31_1834:
	s_and_b32 vcc_lo, exec_lo, s11
	s_cbranch_vccz .LBB31_1838
; %bb.1835:
	s_cmp_eq_u32 s7, 44
	s_cbranch_scc0 .LBB31_1837
; %bb.1836:
	global_load_u8 v1, v[8:9], off
	s_mov_b32 s8, 0
	s_mov_b32 s9, -1
	s_wait_loadcnt 0x0
	v_lshlrev_b32_e32 v3, 23, v1
	v_cmp_ne_u32_e32 vcc_lo, 0, v1
	s_delay_alu instid0(VALU_DEP_2) | instskip(NEXT) | instid1(VALU_DEP_1)
	v_trunc_f32_e32 v3, v3
	v_mul_f32_e64 v5, 0x2f800000, |v3|
	s_delay_alu instid0(VALU_DEP_1) | instskip(NEXT) | instid1(VALU_DEP_1)
	v_floor_f32_e32 v5, v5
	v_fma_f32 v5, 0xcf800000, v5, |v3|
	v_ashrrev_i32_e32 v3, 31, v3
	s_delay_alu instid0(VALU_DEP_2) | instskip(NEXT) | instid1(VALU_DEP_1)
	v_cvt_u32_f32_e32 v5, v5
	v_xor_b32_e32 v5, v5, v3
	s_delay_alu instid0(VALU_DEP_1) | instskip(NEXT) | instid1(VALU_DEP_1)
	v_sub_nc_u32_e32 v3, v5, v3
	v_cndmask_b32_e32 v10, 0, v3, vcc_lo
	s_branch .LBB31_1838
.LBB31_1837:
	s_mov_b32 s8, -1
                                        ; implicit-def: $vgpr10
.LBB31_1838:
	s_mov_b32 s11, 0
.LBB31_1839:
	s_delay_alu instid0(SALU_CYCLE_1)
	s_and_b32 vcc_lo, exec_lo, s11
	s_cbranch_vccz .LBB31_1843
; %bb.1840:
	s_cmp_eq_u32 s7, 29
	s_cbranch_scc0 .LBB31_1842
; %bb.1841:
	global_load_b64 v[10:11], v[8:9], off
	s_mov_b32 s8, 0
	s_mov_b32 s9, -1
	s_branch .LBB31_1843
.LBB31_1842:
	s_mov_b32 s8, -1
                                        ; implicit-def: $vgpr10
.LBB31_1843:
	s_mov_b32 s11, 0
.LBB31_1844:
	s_delay_alu instid0(SALU_CYCLE_1)
	s_and_b32 vcc_lo, exec_lo, s11
	s_cbranch_vccz .LBB31_1860
; %bb.1845:
	s_cmp_lt_i32 s7, 27
	s_cbranch_scc1 .LBB31_1848
; %bb.1846:
	s_cmp_gt_i32 s7, 27
	s_cbranch_scc0 .LBB31_1849
; %bb.1847:
	s_wait_loadcnt 0x0
	global_load_b32 v10, v[8:9], off
	s_mov_b32 s9, 0
	s_branch .LBB31_1850
.LBB31_1848:
	s_mov_b32 s9, -1
                                        ; implicit-def: $vgpr10
	s_branch .LBB31_1853
.LBB31_1849:
	s_mov_b32 s9, -1
                                        ; implicit-def: $vgpr10
.LBB31_1850:
	s_delay_alu instid0(SALU_CYCLE_1)
	s_and_not1_b32 vcc_lo, exec_lo, s9
	s_cbranch_vccnz .LBB31_1852
; %bb.1851:
	s_wait_loadcnt 0x0
	global_load_u16 v10, v[8:9], off
.LBB31_1852:
	s_mov_b32 s9, 0
.LBB31_1853:
	s_delay_alu instid0(SALU_CYCLE_1)
	s_and_not1_b32 vcc_lo, exec_lo, s9
	s_cbranch_vccnz .LBB31_1859
; %bb.1854:
	global_load_u8 v1, v[8:9], off
	s_mov_b32 s11, 0
	s_mov_b32 s9, exec_lo
	s_wait_loadcnt 0x0
	v_cmpx_lt_i16_e32 0x7f, v1
	s_xor_b32 s9, exec_lo, s9
	s_cbranch_execz .LBB31_1870
; %bb.1855:
	v_cmp_ne_u16_e32 vcc_lo, 0x80, v1
	s_and_b32 s11, vcc_lo, exec_lo
	s_and_not1_saveexec_b32 s9, s9
	s_cbranch_execnz .LBB31_1871
.LBB31_1856:
	s_or_b32 exec_lo, exec_lo, s9
	v_mov_b32_e32 v10, 0
	s_and_saveexec_b32 s9, s11
	s_cbranch_execz .LBB31_1858
.LBB31_1857:
	v_and_b32_e32 v3, 0xffff, v1
	s_delay_alu instid0(VALU_DEP_1) | instskip(SKIP_1) | instid1(VALU_DEP_2)
	v_and_b32_e32 v5, 7, v3
	v_bfe_u32 v10, v3, 3, 4
	v_clz_i32_u32_e32 v6, v5
	s_delay_alu instid0(VALU_DEP_2) | instskip(NEXT) | instid1(VALU_DEP_2)
	v_cmp_eq_u32_e32 vcc_lo, 0, v10
	v_min_u32_e32 v6, 32, v6
	s_delay_alu instid0(VALU_DEP_1) | instskip(NEXT) | instid1(VALU_DEP_1)
	v_subrev_nc_u32_e32 v7, 28, v6
	v_dual_lshlrev_b32 v3, v7, v3 :: v_dual_sub_nc_u32 v6, 29, v6
	s_delay_alu instid0(VALU_DEP_1) | instskip(NEXT) | instid1(VALU_DEP_1)
	v_dual_lshlrev_b32 v1, 24, v1 :: v_dual_bitop2_b32 v3, 7, v3 bitop3:0x40
	v_dual_cndmask_b32 v6, v10, v6 :: v_dual_cndmask_b32 v3, v5, v3
	s_delay_alu instid0(VALU_DEP_2) | instskip(NEXT) | instid1(VALU_DEP_2)
	v_and_b32_e32 v1, 0x80000000, v1
	v_lshl_add_u32 v5, v6, 23, 0x3b800000
	s_delay_alu instid0(VALU_DEP_3) | instskip(NEXT) | instid1(VALU_DEP_1)
	v_lshlrev_b32_e32 v3, 20, v3
	v_or3_b32 v1, v1, v5, v3
	s_delay_alu instid0(VALU_DEP_1) | instskip(NEXT) | instid1(VALU_DEP_1)
	v_trunc_f32_e32 v1, v1
	v_mul_f32_e64 v3, 0x2f800000, |v1|
	s_delay_alu instid0(VALU_DEP_1) | instskip(NEXT) | instid1(VALU_DEP_1)
	v_floor_f32_e32 v3, v3
	v_fma_f32 v3, 0xcf800000, v3, |v1|
	v_ashrrev_i32_e32 v1, 31, v1
	s_delay_alu instid0(VALU_DEP_2) | instskip(NEXT) | instid1(VALU_DEP_1)
	v_cvt_u32_f32_e32 v3, v3
	v_xor_b32_e32 v3, v3, v1
	s_delay_alu instid0(VALU_DEP_1)
	v_sub_nc_u32_e32 v10, v3, v1
.LBB31_1858:
	s_or_b32 exec_lo, exec_lo, s9
.LBB31_1859:
	s_mov_b32 s9, -1
.LBB31_1860:
	s_branch .LBB31_1891
.LBB31_1861:
	s_cmp_gt_i32 s7, 22
	s_cbranch_scc0 .LBB31_1869
; %bb.1862:
	s_cmp_lt_i32 s7, 24
	s_cbranch_scc1 .LBB31_1872
; %bb.1863:
	s_cmp_gt_i32 s7, 24
	s_cbranch_scc0 .LBB31_1873
; %bb.1864:
	global_load_u8 v1, v[8:9], off
	s_mov_b32 s9, exec_lo
	s_wait_loadcnt 0x0
	v_cmpx_lt_i16_e32 0x7f, v1
	s_xor_b32 s9, exec_lo, s9
	s_cbranch_execz .LBB31_1885
; %bb.1865:
	v_cmp_ne_u16_e32 vcc_lo, 0x80, v1
	s_and_b32 s10, vcc_lo, exec_lo
	s_and_not1_saveexec_b32 s9, s9
	s_cbranch_execnz .LBB31_1886
.LBB31_1866:
	s_or_b32 exec_lo, exec_lo, s9
	v_mov_b32_e32 v10, 0
	s_and_saveexec_b32 s9, s10
	s_cbranch_execz .LBB31_1868
.LBB31_1867:
	v_and_b32_e32 v3, 0xffff, v1
	s_delay_alu instid0(VALU_DEP_1) | instskip(SKIP_1) | instid1(VALU_DEP_2)
	v_and_b32_e32 v5, 3, v3
	v_bfe_u32 v10, v3, 2, 5
	v_clz_i32_u32_e32 v6, v5
	s_delay_alu instid0(VALU_DEP_2) | instskip(NEXT) | instid1(VALU_DEP_2)
	v_cmp_eq_u32_e32 vcc_lo, 0, v10
	v_min_u32_e32 v6, 32, v6
	s_delay_alu instid0(VALU_DEP_1) | instskip(NEXT) | instid1(VALU_DEP_1)
	v_subrev_nc_u32_e32 v7, 29, v6
	v_dual_lshlrev_b32 v3, v7, v3 :: v_dual_sub_nc_u32 v6, 30, v6
	s_delay_alu instid0(VALU_DEP_1) | instskip(NEXT) | instid1(VALU_DEP_1)
	v_dual_lshlrev_b32 v1, 24, v1 :: v_dual_bitop2_b32 v3, 3, v3 bitop3:0x40
	v_dual_cndmask_b32 v6, v10, v6 :: v_dual_cndmask_b32 v3, v5, v3
	s_delay_alu instid0(VALU_DEP_2) | instskip(NEXT) | instid1(VALU_DEP_2)
	v_and_b32_e32 v1, 0x80000000, v1
	v_lshl_add_u32 v5, v6, 23, 0x37800000
	s_delay_alu instid0(VALU_DEP_3) | instskip(NEXT) | instid1(VALU_DEP_1)
	v_lshlrev_b32_e32 v3, 21, v3
	v_or3_b32 v1, v1, v5, v3
	s_delay_alu instid0(VALU_DEP_1) | instskip(NEXT) | instid1(VALU_DEP_1)
	v_trunc_f32_e32 v1, v1
	v_mul_f32_e64 v3, 0x2f800000, |v1|
	s_delay_alu instid0(VALU_DEP_1) | instskip(NEXT) | instid1(VALU_DEP_1)
	v_floor_f32_e32 v3, v3
	v_fma_f32 v3, 0xcf800000, v3, |v1|
	v_ashrrev_i32_e32 v1, 31, v1
	s_delay_alu instid0(VALU_DEP_2) | instskip(NEXT) | instid1(VALU_DEP_1)
	v_cvt_u32_f32_e32 v3, v3
	v_xor_b32_e32 v3, v3, v1
	s_delay_alu instid0(VALU_DEP_1)
	v_sub_nc_u32_e32 v10, v3, v1
.LBB31_1868:
	s_or_b32 exec_lo, exec_lo, s9
	s_mov_b32 s9, 0
	s_branch .LBB31_1874
.LBB31_1869:
	s_mov_b32 s10, -1
                                        ; implicit-def: $vgpr10
	s_branch .LBB31_1880
.LBB31_1870:
	s_and_not1_saveexec_b32 s9, s9
	s_cbranch_execz .LBB31_1856
.LBB31_1871:
	v_cmp_ne_u16_e32 vcc_lo, 0, v1
	s_and_not1_b32 s11, s11, exec_lo
	s_and_b32 s12, vcc_lo, exec_lo
	s_delay_alu instid0(SALU_CYCLE_1)
	s_or_b32 s11, s11, s12
	s_or_b32 exec_lo, exec_lo, s9
	v_mov_b32_e32 v10, 0
	s_and_saveexec_b32 s9, s11
	s_cbranch_execnz .LBB31_1857
	s_branch .LBB31_1858
.LBB31_1872:
	s_mov_b32 s9, -1
                                        ; implicit-def: $vgpr10
	s_branch .LBB31_1877
.LBB31_1873:
	s_mov_b32 s9, -1
                                        ; implicit-def: $vgpr10
.LBB31_1874:
	s_delay_alu instid0(SALU_CYCLE_1)
	s_and_b32 vcc_lo, exec_lo, s9
	s_cbranch_vccz .LBB31_1876
; %bb.1875:
	global_load_u8 v1, v[8:9], off
	s_wait_loadcnt 0x0
	v_lshlrev_b32_e32 v1, 24, v1
	s_delay_alu instid0(VALU_DEP_1) | instskip(NEXT) | instid1(VALU_DEP_1)
	v_and_b32_e32 v3, 0x7f000000, v1
	v_clz_i32_u32_e32 v5, v3
	v_add_nc_u32_e32 v7, 0x1000000, v3
	v_cmp_ne_u32_e32 vcc_lo, 0, v3
	s_delay_alu instid0(VALU_DEP_3) | instskip(NEXT) | instid1(VALU_DEP_1)
	v_min_u32_e32 v5, 32, v5
	v_sub_nc_u32_e64 v5, v5, 4 clamp
	s_delay_alu instid0(VALU_DEP_1) | instskip(NEXT) | instid1(VALU_DEP_1)
	v_dual_lshlrev_b32 v6, v5, v3 :: v_dual_lshlrev_b32 v5, 23, v5
	v_lshrrev_b32_e32 v6, 4, v6
	s_delay_alu instid0(VALU_DEP_1) | instskip(NEXT) | instid1(VALU_DEP_1)
	v_dual_sub_nc_u32 v5, v6, v5 :: v_dual_ashrrev_i32 v6, 8, v7
	v_add_nc_u32_e32 v5, 0x3c000000, v5
	s_delay_alu instid0(VALU_DEP_1) | instskip(NEXT) | instid1(VALU_DEP_1)
	v_and_or_b32 v5, 0x7f800000, v6, v5
	v_cndmask_b32_e32 v3, 0, v5, vcc_lo
	s_delay_alu instid0(VALU_DEP_1) | instskip(NEXT) | instid1(VALU_DEP_1)
	v_and_or_b32 v1, 0x80000000, v1, v3
	v_trunc_f32_e32 v1, v1
	s_delay_alu instid0(VALU_DEP_1) | instskip(NEXT) | instid1(VALU_DEP_1)
	v_mul_f32_e64 v3, 0x2f800000, |v1|
	v_floor_f32_e32 v3, v3
	s_delay_alu instid0(VALU_DEP_1) | instskip(SKIP_1) | instid1(VALU_DEP_2)
	v_fma_f32 v3, 0xcf800000, v3, |v1|
	v_ashrrev_i32_e32 v1, 31, v1
	v_cvt_u32_f32_e32 v3, v3
	s_delay_alu instid0(VALU_DEP_1) | instskip(NEXT) | instid1(VALU_DEP_1)
	v_xor_b32_e32 v3, v3, v1
	v_sub_nc_u32_e32 v10, v3, v1
.LBB31_1876:
	s_mov_b32 s9, 0
.LBB31_1877:
	s_delay_alu instid0(SALU_CYCLE_1)
	s_and_not1_b32 vcc_lo, exec_lo, s9
	s_cbranch_vccnz .LBB31_1879
; %bb.1878:
	global_load_u8 v1, v[8:9], off
	s_wait_loadcnt 0x0
	v_lshlrev_b32_e32 v3, 25, v1
	v_lshlrev_b16 v1, 8, v1
	s_delay_alu instid0(VALU_DEP_1) | instskip(SKIP_1) | instid1(VALU_DEP_2)
	v_and_or_b32 v6, 0x7f00, v1, 0.5
	v_bfe_i32 v1, v1, 0, 16
	v_dual_add_f32 v6, -0.5, v6 :: v_dual_lshrrev_b32 v5, 4, v3
	v_cmp_gt_u32_e32 vcc_lo, 0x8000000, v3
	s_delay_alu instid0(VALU_DEP_2) | instskip(NEXT) | instid1(VALU_DEP_1)
	v_or_b32_e32 v5, 0x70000000, v5
	v_mul_f32_e32 v5, 0x7800000, v5
	s_delay_alu instid0(VALU_DEP_1) | instskip(NEXT) | instid1(VALU_DEP_1)
	v_cndmask_b32_e32 v3, v5, v6, vcc_lo
	v_and_or_b32 v1, 0x80000000, v1, v3
	s_delay_alu instid0(VALU_DEP_1) | instskip(NEXT) | instid1(VALU_DEP_1)
	v_trunc_f32_e32 v1, v1
	v_mul_f32_e64 v3, 0x2f800000, |v1|
	s_delay_alu instid0(VALU_DEP_1) | instskip(NEXT) | instid1(VALU_DEP_1)
	v_floor_f32_e32 v3, v3
	v_fma_f32 v3, 0xcf800000, v3, |v1|
	v_ashrrev_i32_e32 v1, 31, v1
	s_delay_alu instid0(VALU_DEP_2) | instskip(NEXT) | instid1(VALU_DEP_1)
	v_cvt_u32_f32_e32 v3, v3
	v_xor_b32_e32 v3, v3, v1
	s_delay_alu instid0(VALU_DEP_1)
	v_sub_nc_u32_e32 v10, v3, v1
.LBB31_1879:
	s_mov_b32 s10, 0
	s_mov_b32 s9, -1
.LBB31_1880:
	s_and_not1_b32 vcc_lo, exec_lo, s10
	s_mov_b32 s10, 0
	s_cbranch_vccnz .LBB31_1891
; %bb.1881:
	s_cmp_gt_i32 s7, 14
	s_cbranch_scc0 .LBB31_1884
; %bb.1882:
	s_cmp_eq_u32 s7, 15
	s_cbranch_scc0 .LBB31_1887
; %bb.1883:
	global_load_u16 v1, v[8:9], off
	s_mov_b32 s8, 0
	s_mov_b32 s9, -1
	s_wait_loadcnt 0x0
	v_lshlrev_b32_e32 v1, 16, v1
	s_delay_alu instid0(VALU_DEP_1) | instskip(NEXT) | instid1(VALU_DEP_1)
	v_trunc_f32_e32 v1, v1
	v_mul_f32_e64 v3, 0x2f800000, |v1|
	s_delay_alu instid0(VALU_DEP_1) | instskip(NEXT) | instid1(VALU_DEP_1)
	v_floor_f32_e32 v3, v3
	v_fma_f32 v3, 0xcf800000, v3, |v1|
	v_ashrrev_i32_e32 v1, 31, v1
	s_delay_alu instid0(VALU_DEP_2) | instskip(NEXT) | instid1(VALU_DEP_1)
	v_cvt_u32_f32_e32 v3, v3
	v_xor_b32_e32 v3, v3, v1
	s_delay_alu instid0(VALU_DEP_1)
	v_sub_nc_u32_e32 v10, v3, v1
	s_branch .LBB31_1889
.LBB31_1884:
	s_mov_b32 s10, -1
	s_branch .LBB31_1888
.LBB31_1885:
	s_and_not1_saveexec_b32 s9, s9
	s_cbranch_execz .LBB31_1866
.LBB31_1886:
	v_cmp_ne_u16_e32 vcc_lo, 0, v1
	s_and_not1_b32 s10, s10, exec_lo
	s_and_b32 s11, vcc_lo, exec_lo
	s_delay_alu instid0(SALU_CYCLE_1)
	s_or_b32 s10, s10, s11
	s_or_b32 exec_lo, exec_lo, s9
	v_mov_b32_e32 v10, 0
	s_and_saveexec_b32 s9, s10
	s_cbranch_execnz .LBB31_1867
	s_branch .LBB31_1868
.LBB31_1887:
	s_mov_b32 s8, -1
.LBB31_1888:
                                        ; implicit-def: $vgpr10
.LBB31_1889:
	s_and_b32 vcc_lo, exec_lo, s10
	s_mov_b32 s10, 0
	s_cbranch_vccz .LBB31_1891
; %bb.1890:
	s_cmp_lg_u32 s7, 11
	s_mov_b32 s10, -1
	s_cselect_b32 s7, -1, 0
	s_and_not1_b32 s8, s8, exec_lo
	s_and_b32 s7, s7, exec_lo
	s_delay_alu instid0(SALU_CYCLE_1)
	s_or_b32 s8, s8, s7
.LBB31_1891:
	s_mov_b32 s7, 0
.LBB31_1892:
	s_delay_alu instid0(SALU_CYCLE_1)
	s_and_b32 s12, s7, exec_lo
	s_and_not1_b32 s7, s48, exec_lo
	s_and_b32 s11, s8, exec_lo
	s_and_b32 s9, s9, exec_lo
	;; [unrolled: 1-line block ×3, first 2 shown]
	s_or_b32 s48, s7, s11
	s_wait_xcnt 0x0
	s_or_b32 exec_lo, exec_lo, s6
	s_and_saveexec_b32 s6, s48
	s_cbranch_execz .LBB31_1825
.LBB31_1893:
	s_or_b32 s1, s1, exec_lo
	s_and_not1_b32 s8, s8, exec_lo
	s_trap 2
	s_or_b32 exec_lo, exec_lo, s6
	s_and_saveexec_b32 s6, s8
	s_delay_alu instid0(SALU_CYCLE_1)
	s_xor_b32 s6, exec_lo, s6
	s_cbranch_execnz .LBB31_1826
.LBB31_1894:
	s_or_b32 exec_lo, exec_lo, s6
	s_and_saveexec_b32 s6, s12
	s_cbranch_execz .LBB31_1940
.LBB31_1895:
	s_sext_i32_i16 s7, s0
	s_delay_alu instid0(SALU_CYCLE_1)
	s_cmp_lt_i32 s7, 5
	s_cbranch_scc1 .LBB31_1900
; %bb.1896:
	s_cmp_lt_i32 s7, 8
	s_cbranch_scc1 .LBB31_1901
; %bb.1897:
	;; [unrolled: 3-line block ×3, first 2 shown]
	s_cmp_gt_i32 s7, 9
	s_cbranch_scc0 .LBB31_1903
; %bb.1899:
	s_wait_loadcnt 0x0
	global_load_b64 v[6:7], v[8:9], off
	s_mov_b32 s7, 0
	s_wait_loadcnt 0x0
	v_trunc_f64_e32 v[6:7], v[6:7]
	s_delay_alu instid0(VALU_DEP_1) | instskip(NEXT) | instid1(VALU_DEP_1)
	v_ldexp_f64 v[10:11], v[6:7], 0xffffffe0
	v_floor_f64_e32 v[10:11], v[10:11]
	s_delay_alu instid0(VALU_DEP_1) | instskip(NEXT) | instid1(VALU_DEP_1)
	v_fmamk_f64 v[6:7], v[10:11], 0xc1f00000, v[6:7]
	v_cvt_u32_f64_e32 v10, v[6:7]
	s_branch .LBB31_1904
.LBB31_1900:
                                        ; implicit-def: $vgpr10
	s_branch .LBB31_1921
.LBB31_1901:
                                        ; implicit-def: $vgpr10
	s_branch .LBB31_1910
.LBB31_1902:
	s_mov_b32 s7, -1
                                        ; implicit-def: $vgpr10
	s_branch .LBB31_1907
.LBB31_1903:
	s_mov_b32 s7, -1
                                        ; implicit-def: $vgpr10
.LBB31_1904:
	s_delay_alu instid0(SALU_CYCLE_1)
	s_and_not1_b32 vcc_lo, exec_lo, s7
	s_cbranch_vccnz .LBB31_1906
; %bb.1905:
	s_wait_loadcnt 0x0
	global_load_b32 v1, v[8:9], off
	s_wait_loadcnt 0x0
	v_trunc_f32_e32 v1, v1
	s_delay_alu instid0(VALU_DEP_1) | instskip(NEXT) | instid1(VALU_DEP_1)
	v_mul_f32_e64 v3, 0x2f800000, |v1|
	v_floor_f32_e32 v3, v3
	s_delay_alu instid0(VALU_DEP_1) | instskip(SKIP_1) | instid1(VALU_DEP_2)
	v_fma_f32 v3, 0xcf800000, v3, |v1|
	v_ashrrev_i32_e32 v1, 31, v1
	v_cvt_u32_f32_e32 v3, v3
	s_delay_alu instid0(VALU_DEP_1) | instskip(NEXT) | instid1(VALU_DEP_1)
	v_xor_b32_e32 v3, v3, v1
	v_sub_nc_u32_e32 v10, v3, v1
.LBB31_1906:
	s_mov_b32 s7, 0
.LBB31_1907:
	s_delay_alu instid0(SALU_CYCLE_1)
	s_and_not1_b32 vcc_lo, exec_lo, s7
	s_cbranch_vccnz .LBB31_1909
; %bb.1908:
	s_wait_loadcnt 0x0
	global_load_b32 v1, v[8:9], off
	s_wait_loadcnt 0x0
	v_cvt_f32_f16_e32 v1, v1
	s_delay_alu instid0(VALU_DEP_1)
	v_cvt_i32_f32_e32 v10, v1
.LBB31_1909:
	s_cbranch_execnz .LBB31_1920
.LBB31_1910:
	s_sext_i32_i16 s7, s0
	s_delay_alu instid0(SALU_CYCLE_1)
	s_cmp_lt_i32 s7, 6
	s_cbranch_scc1 .LBB31_1913
; %bb.1911:
	s_cmp_gt_i32 s7, 6
	s_cbranch_scc0 .LBB31_1914
; %bb.1912:
	s_wait_loadcnt 0x0
	global_load_b64 v[6:7], v[8:9], off
	s_mov_b32 s7, 0
	s_wait_loadcnt 0x0
	v_trunc_f64_e32 v[6:7], v[6:7]
	s_delay_alu instid0(VALU_DEP_1) | instskip(NEXT) | instid1(VALU_DEP_1)
	v_ldexp_f64 v[10:11], v[6:7], 0xffffffe0
	v_floor_f64_e32 v[10:11], v[10:11]
	s_delay_alu instid0(VALU_DEP_1) | instskip(NEXT) | instid1(VALU_DEP_1)
	v_fmamk_f64 v[6:7], v[10:11], 0xc1f00000, v[6:7]
	v_cvt_u32_f64_e32 v10, v[6:7]
	s_branch .LBB31_1915
.LBB31_1913:
	s_mov_b32 s7, -1
                                        ; implicit-def: $vgpr10
	s_branch .LBB31_1918
.LBB31_1914:
	s_mov_b32 s7, -1
                                        ; implicit-def: $vgpr10
.LBB31_1915:
	s_delay_alu instid0(SALU_CYCLE_1)
	s_and_not1_b32 vcc_lo, exec_lo, s7
	s_cbranch_vccnz .LBB31_1917
; %bb.1916:
	s_wait_loadcnt 0x0
	global_load_b32 v1, v[8:9], off
	s_wait_loadcnt 0x0
	v_trunc_f32_e32 v1, v1
	s_delay_alu instid0(VALU_DEP_1) | instskip(NEXT) | instid1(VALU_DEP_1)
	v_mul_f32_e64 v3, 0x2f800000, |v1|
	v_floor_f32_e32 v3, v3
	s_delay_alu instid0(VALU_DEP_1) | instskip(SKIP_1) | instid1(VALU_DEP_2)
	v_fma_f32 v3, 0xcf800000, v3, |v1|
	v_ashrrev_i32_e32 v1, 31, v1
	v_cvt_u32_f32_e32 v3, v3
	s_delay_alu instid0(VALU_DEP_1) | instskip(NEXT) | instid1(VALU_DEP_1)
	v_xor_b32_e32 v3, v3, v1
	v_sub_nc_u32_e32 v10, v3, v1
.LBB31_1917:
	s_mov_b32 s7, 0
.LBB31_1918:
	s_delay_alu instid0(SALU_CYCLE_1)
	s_and_not1_b32 vcc_lo, exec_lo, s7
	s_cbranch_vccnz .LBB31_1920
; %bb.1919:
	s_wait_loadcnt 0x0
	global_load_u16 v1, v[8:9], off
	s_wait_loadcnt 0x0
	v_cvt_f32_f16_e32 v1, v1
	s_delay_alu instid0(VALU_DEP_1)
	v_cvt_i32_f32_e32 v10, v1
.LBB31_1920:
	s_cbranch_execnz .LBB31_1939
.LBB31_1921:
	s_sext_i32_i16 s7, s0
	s_delay_alu instid0(SALU_CYCLE_1)
	s_cmp_lt_i32 s7, 2
	s_cbranch_scc1 .LBB31_1925
; %bb.1922:
	s_cmp_lt_i32 s7, 3
	s_cbranch_scc1 .LBB31_1926
; %bb.1923:
	s_cmp_gt_i32 s7, 3
	s_cbranch_scc0 .LBB31_1927
; %bb.1924:
	s_wait_loadcnt 0x0
	global_load_b64 v[10:11], v[8:9], off
	s_mov_b32 s7, 0
	s_branch .LBB31_1928
.LBB31_1925:
                                        ; implicit-def: $vgpr10
	s_branch .LBB31_1934
.LBB31_1926:
	s_mov_b32 s7, -1
                                        ; implicit-def: $vgpr10
	s_branch .LBB31_1931
.LBB31_1927:
	s_mov_b32 s7, -1
                                        ; implicit-def: $vgpr10
.LBB31_1928:
	s_delay_alu instid0(SALU_CYCLE_1)
	s_and_not1_b32 vcc_lo, exec_lo, s7
	s_cbranch_vccnz .LBB31_1930
; %bb.1929:
	s_wait_loadcnt 0x0
	global_load_b32 v10, v[8:9], off
.LBB31_1930:
	s_mov_b32 s7, 0
.LBB31_1931:
	s_delay_alu instid0(SALU_CYCLE_1)
	s_and_not1_b32 vcc_lo, exec_lo, s7
	s_cbranch_vccnz .LBB31_1933
; %bb.1932:
	s_wait_loadcnt 0x0
	global_load_u16 v10, v[8:9], off
.LBB31_1933:
	s_cbranch_execnz .LBB31_1939
.LBB31_1934:
	s_sext_i32_i16 s0, s0
	s_delay_alu instid0(SALU_CYCLE_1)
	s_cmp_gt_i32 s0, 0
	s_mov_b32 s0, 0
	s_cbranch_scc0 .LBB31_1936
; %bb.1935:
	s_wait_loadcnt 0x0
	global_load_u8 v10, v[8:9], off
	s_branch .LBB31_1937
.LBB31_1936:
	s_mov_b32 s0, -1
                                        ; implicit-def: $vgpr10
.LBB31_1937:
	s_delay_alu instid0(SALU_CYCLE_1)
	s_and_not1_b32 vcc_lo, exec_lo, s0
	s_cbranch_vccnz .LBB31_1939
; %bb.1938:
	s_wait_loadcnt 0x0
	global_load_u8 v10, v[8:9], off
.LBB31_1939:
	s_or_b32 s9, s9, exec_lo
.LBB31_1940:
	s_wait_xcnt 0x0
	s_or_b32 exec_lo, exec_lo, s6
	s_mov_b32 s0, 0
	s_mov_b32 s8, 0
                                        ; implicit-def: $sgpr6
                                        ; implicit-def: $vgpr6_vgpr7
                                        ; implicit-def: $vgpr1
	s_and_saveexec_b32 s7, s9
	s_cbranch_execz .LBB31_1948
; %bb.1941:
	v_mov_b32_e32 v3, 0
	s_wait_loadcnt 0x0
	v_mul_lo_u16 v1, v4, s24
	v_mul_lo_u16 v0, v0, s42
	s_and_b32 s6, s21, 0xff
	s_delay_alu instid0(SALU_CYCLE_1) | instskip(SKIP_1) | instid1(VALU_DEP_2)
	s_cmp_lt_i32 s6, 11
	v_add_nc_u64_e32 v[6:7], s[4:5], v[2:3]
	v_mad_u16 v1, v0, v10, v1
	s_cbranch_scc1 .LBB31_1951
; %bb.1942:
	s_and_b32 s4, 0xffff, s6
	s_mov_b32 s5, -1
	s_cmp_gt_i32 s4, 25
	s_mov_b32 s0, s45
	s_cbranch_scc0 .LBB31_1979
; %bb.1943:
	s_cmp_gt_i32 s4, 28
	s_mov_b32 s0, s45
	s_cbranch_scc0 .LBB31_1963
; %bb.1944:
	;; [unrolled: 4-line block ×4, first 2 shown]
	s_cmp_eq_u32 s4, 46
	s_mov_b32 s0, -1
	s_cbranch_scc0 .LBB31_1952
; %bb.1947:
	v_cvt_f32_ubyte0_e32 v0, v1
	s_mov_b32 s0, 0
	s_mov_b32 s5, 0
	s_delay_alu instid0(VALU_DEP_1) | instskip(NEXT) | instid1(VALU_DEP_1)
	v_bfe_u32 v2, v0, 16, 1
	v_add3_u32 v0, v0, v2, 0x7fff
	s_delay_alu instid0(VALU_DEP_1)
	v_lshrrev_b32_e32 v0, 16, v0
	global_store_b32 v[6:7], v0, off
	s_branch .LBB31_1953
.LBB31_1948:
	s_or_b32 exec_lo, exec_lo, s7
	s_and_saveexec_b32 s4, s45
	s_cbranch_execnz .LBB31_2021
.LBB31_1949:
	s_or_b32 exec_lo, exec_lo, s4
	s_and_saveexec_b32 s4, s0
	s_delay_alu instid0(SALU_CYCLE_1)
	s_xor_b32 s0, exec_lo, s4
	s_cbranch_execz .LBB31_2022
.LBB31_1950:
	s_wait_loadcnt 0x0
	v_and_b32_e32 v0, 0xff, v1
	s_delay_alu instid0(VALU_DEP_1)
	v_cmp_ne_u16_e32 vcc_lo, 0, v0
	v_cndmask_b32_e64 v0, 0, 1, vcc_lo
	global_store_b8 v[6:7], v0, off
	s_wait_xcnt 0x0
	s_or_b32 exec_lo, exec_lo, s0
	s_and_saveexec_b32 s0, s8
	s_delay_alu instid0(SALU_CYCLE_1)
	s_xor_b32 s0, exec_lo, s0
	s_cbranch_execz .LBB31_2060
	s_branch .LBB31_2023
.LBB31_1951:
	s_mov_b32 s9, 0
	s_mov_b32 s5, -1
	s_mov_b32 s0, s45
	s_branch .LBB31_2020
.LBB31_1952:
	s_mov_b32 s5, 0
.LBB31_1953:
	s_delay_alu instid0(SALU_CYCLE_1)
	s_and_b32 vcc_lo, exec_lo, s5
	s_cbranch_vccz .LBB31_1958
; %bb.1954:
	s_cmp_eq_u32 s4, 44
	s_mov_b32 s0, -1
	s_cbranch_scc0 .LBB31_1958
; %bb.1955:
	v_cvt_f32_ubyte0_e32 v3, v1
	v_mov_b32_e32 v2, 0xff
	s_mov_b32 s5, exec_lo
	s_wait_xcnt 0x0
	s_delay_alu instid0(VALU_DEP_2) | instskip(NEXT) | instid1(VALU_DEP_1)
	v_lshrrev_b32_e32 v0, 23, v3
	v_cmpx_ne_u32_e32 0xff, v0
; %bb.1956:
	v_and_b32_e32 v2, 0x400000, v3
	v_and_or_b32 v3, 0x3fffff, v3, v0
	s_delay_alu instid0(VALU_DEP_2) | instskip(NEXT) | instid1(VALU_DEP_2)
	v_cmp_ne_u32_e32 vcc_lo, 0, v2
	v_cmp_ne_u32_e64 s0, 0, v3
	s_and_b32 s0, vcc_lo, s0
	s_delay_alu instid0(SALU_CYCLE_1) | instskip(NEXT) | instid1(VALU_DEP_1)
	v_cndmask_b32_e64 v2, 0, 1, s0
	v_add_nc_u32_e32 v2, v0, v2
; %bb.1957:
	s_or_b32 exec_lo, exec_lo, s5
	s_mov_b32 s0, 0
	global_store_b8 v[6:7], v2, off
.LBB31_1958:
	s_mov_b32 s5, 0
.LBB31_1959:
	s_delay_alu instid0(SALU_CYCLE_1)
	s_and_b32 vcc_lo, exec_lo, s5
	s_cbranch_vccz .LBB31_1962
; %bb.1960:
	s_cmp_eq_u32 s4, 29
	s_mov_b32 s0, -1
	s_cbranch_scc0 .LBB31_1962
; %bb.1961:
	s_wait_xcnt 0x0
	v_and_b32_e32 v2, 0xff, v1
	v_mov_b32_e32 v3, 0
	s_mov_b32 s0, 0
	s_mov_b32 s5, 0
	global_store_b64 v[6:7], v[2:3], off
	s_branch .LBB31_1963
.LBB31_1962:
	s_mov_b32 s5, 0
.LBB31_1963:
	s_delay_alu instid0(SALU_CYCLE_1)
	s_and_b32 vcc_lo, exec_lo, s5
	s_cbranch_vccz .LBB31_1978
; %bb.1964:
	s_cmp_lt_i32 s4, 27
	s_mov_b32 s5, -1
	s_cbranch_scc1 .LBB31_1970
; %bb.1965:
	s_cmp_gt_i32 s4, 27
	s_cbranch_scc0 .LBB31_1967
; %bb.1966:
	s_wait_xcnt 0x0
	v_and_b32_e32 v0, 0xff, v1
	s_mov_b32 s5, 0
	global_store_b32 v[6:7], v0, off
.LBB31_1967:
	s_and_not1_b32 vcc_lo, exec_lo, s5
	s_cbranch_vccnz .LBB31_1969
; %bb.1968:
	s_wait_xcnt 0x0
	v_and_b32_e32 v0, 0xff, v1
	global_store_b16 v[6:7], v0, off
.LBB31_1969:
	s_mov_b32 s5, 0
.LBB31_1970:
	s_delay_alu instid0(SALU_CYCLE_1)
	s_and_not1_b32 vcc_lo, exec_lo, s5
	s_cbranch_vccnz .LBB31_1978
; %bb.1971:
	s_wait_xcnt 0x0
	v_cvt_f32_ubyte0_e32 v2, v1
	v_mov_b32_e32 v3, 0x80
	s_mov_b32 s5, exec_lo
	s_delay_alu instid0(VALU_DEP_2)
	v_cmpx_gt_u32_e32 0x43800000, v2
	s_cbranch_execz .LBB31_1977
; %bb.1972:
	s_mov_b32 s9, exec_lo
                                        ; implicit-def: $vgpr0
	v_cmpx_lt_u32_e32 0x3bffffff, v2
	s_xor_b32 s9, exec_lo, s9
	s_cbranch_execz .LBB31_2119
; %bb.1973:
	v_bfe_u32 v0, v2, 20, 1
	s_mov_b32 s8, exec_lo
	s_delay_alu instid0(VALU_DEP_1) | instskip(NEXT) | instid1(VALU_DEP_1)
	v_add3_u32 v0, v2, v0, 0x487ffff
                                        ; implicit-def: $vgpr2
	v_lshrrev_b32_e32 v0, 20, v0
	s_and_not1_saveexec_b32 s9, s9
	s_cbranch_execnz .LBB31_2120
.LBB31_1974:
	s_or_b32 exec_lo, exec_lo, s9
	v_mov_b32_e32 v3, 0
	s_and_saveexec_b32 s9, s8
.LBB31_1975:
	v_mov_b32_e32 v3, v0
.LBB31_1976:
	s_or_b32 exec_lo, exec_lo, s9
.LBB31_1977:
	s_delay_alu instid0(SALU_CYCLE_1)
	s_or_b32 exec_lo, exec_lo, s5
	global_store_b8 v[6:7], v3, off
.LBB31_1978:
	s_mov_b32 s5, 0
.LBB31_1979:
	s_delay_alu instid0(SALU_CYCLE_1)
	s_and_b32 vcc_lo, exec_lo, s5
	s_mov_b32 s5, 0
	s_cbranch_vccz .LBB31_2019
; %bb.1980:
	s_cmp_gt_i32 s4, 22
	s_mov_b32 s8, -1
	s_cbranch_scc0 .LBB31_2012
; %bb.1981:
	s_cmp_lt_i32 s4, 24
	s_cbranch_scc1 .LBB31_2001
; %bb.1982:
	s_cmp_gt_i32 s4, 24
	s_cbranch_scc0 .LBB31_1990
; %bb.1983:
	s_wait_xcnt 0x0
	v_cvt_f32_ubyte0_e32 v2, v1
	v_mov_b32_e32 v3, 0x80
	s_mov_b32 s8, exec_lo
	s_delay_alu instid0(VALU_DEP_2)
	v_cmpx_gt_u32_e32 0x47800000, v2
	s_cbranch_execz .LBB31_1989
; %bb.1984:
	s_mov_b32 s9, 0
	s_mov_b32 s10, exec_lo
                                        ; implicit-def: $vgpr0
	v_cmpx_lt_u32_e32 0x37ffffff, v2
	s_xor_b32 s10, exec_lo, s10
	s_cbranch_execz .LBB31_2240
; %bb.1985:
	v_bfe_u32 v0, v2, 21, 1
	s_mov_b32 s9, exec_lo
	s_delay_alu instid0(VALU_DEP_1) | instskip(NEXT) | instid1(VALU_DEP_1)
	v_add3_u32 v0, v2, v0, 0x88fffff
                                        ; implicit-def: $vgpr2
	v_lshrrev_b32_e32 v0, 21, v0
	s_and_not1_saveexec_b32 s10, s10
	s_cbranch_execnz .LBB31_2241
.LBB31_1986:
	s_or_b32 exec_lo, exec_lo, s10
	v_mov_b32_e32 v3, 0
	s_and_saveexec_b32 s10, s9
.LBB31_1987:
	v_mov_b32_e32 v3, v0
.LBB31_1988:
	s_or_b32 exec_lo, exec_lo, s10
.LBB31_1989:
	s_delay_alu instid0(SALU_CYCLE_1)
	s_or_b32 exec_lo, exec_lo, s8
	s_mov_b32 s8, 0
	global_store_b8 v[6:7], v3, off
.LBB31_1990:
	s_and_b32 vcc_lo, exec_lo, s8
	s_cbranch_vccz .LBB31_2000
; %bb.1991:
	s_wait_xcnt 0x0
	v_cvt_f32_ubyte0_e32 v2, v1
	s_mov_b32 s8, exec_lo
                                        ; implicit-def: $vgpr0
	s_delay_alu instid0(VALU_DEP_1)
	v_cmpx_gt_u32_e32 0x43f00000, v2
	s_xor_b32 s8, exec_lo, s8
	s_cbranch_execz .LBB31_1997
; %bb.1992:
	s_mov_b32 s9, exec_lo
                                        ; implicit-def: $vgpr0
	v_cmpx_lt_u32_e32 0x3c7fffff, v2
	s_xor_b32 s9, exec_lo, s9
; %bb.1993:
	v_bfe_u32 v0, v2, 20, 1
	s_delay_alu instid0(VALU_DEP_1) | instskip(NEXT) | instid1(VALU_DEP_1)
	v_add3_u32 v0, v2, v0, 0x407ffff
	v_and_b32_e32 v2, 0xff00000, v0
	v_lshrrev_b32_e32 v0, 20, v0
	s_delay_alu instid0(VALU_DEP_2) | instskip(NEXT) | instid1(VALU_DEP_2)
	v_cmp_ne_u32_e32 vcc_lo, 0x7f00000, v2
                                        ; implicit-def: $vgpr2
	v_cndmask_b32_e32 v0, 0x7e, v0, vcc_lo
; %bb.1994:
	s_and_not1_saveexec_b32 s9, s9
; %bb.1995:
	v_add_f32_e32 v0, 0x46800000, v2
; %bb.1996:
	s_or_b32 exec_lo, exec_lo, s9
                                        ; implicit-def: $vgpr2
.LBB31_1997:
	s_and_not1_saveexec_b32 s8, s8
; %bb.1998:
	v_mov_b32_e32 v0, 0x7f
	v_cmp_lt_u32_e32 vcc_lo, 0x7f800000, v2
	s_delay_alu instid0(VALU_DEP_2)
	v_cndmask_b32_e32 v0, 0x7e, v0, vcc_lo
; %bb.1999:
	s_or_b32 exec_lo, exec_lo, s8
	global_store_b8 v[6:7], v0, off
.LBB31_2000:
	s_mov_b32 s8, 0
.LBB31_2001:
	s_delay_alu instid0(SALU_CYCLE_1)
	s_and_not1_b32 vcc_lo, exec_lo, s8
	s_cbranch_vccnz .LBB31_2011
; %bb.2002:
	s_wait_xcnt 0x0
	v_cvt_f32_ubyte0_e32 v2, v1
	s_mov_b32 s8, exec_lo
                                        ; implicit-def: $vgpr0
	s_delay_alu instid0(VALU_DEP_1)
	v_cmpx_gt_u32_e32 0x47800000, v2
	s_xor_b32 s8, exec_lo, s8
	s_cbranch_execz .LBB31_2008
; %bb.2003:
	s_mov_b32 s9, exec_lo
                                        ; implicit-def: $vgpr0
	v_cmpx_lt_u32_e32 0x387fffff, v2
	s_xor_b32 s9, exec_lo, s9
; %bb.2004:
	v_bfe_u32 v0, v2, 21, 1
	s_delay_alu instid0(VALU_DEP_1) | instskip(NEXT) | instid1(VALU_DEP_1)
	v_add3_u32 v0, v2, v0, 0x80fffff
                                        ; implicit-def: $vgpr2
	v_lshrrev_b32_e32 v0, 21, v0
; %bb.2005:
	s_and_not1_saveexec_b32 s9, s9
; %bb.2006:
	v_add_f32_e32 v0, 0x43000000, v2
; %bb.2007:
	s_or_b32 exec_lo, exec_lo, s9
                                        ; implicit-def: $vgpr2
.LBB31_2008:
	s_and_not1_saveexec_b32 s8, s8
; %bb.2009:
	v_mov_b32_e32 v0, 0x7f
	v_cmp_lt_u32_e32 vcc_lo, 0x7f800000, v2
	s_delay_alu instid0(VALU_DEP_2)
	v_cndmask_b32_e32 v0, 0x7c, v0, vcc_lo
; %bb.2010:
	s_or_b32 exec_lo, exec_lo, s8
	global_store_b8 v[6:7], v0, off
.LBB31_2011:
	s_mov_b32 s8, 0
.LBB31_2012:
	s_delay_alu instid0(SALU_CYCLE_1)
	s_and_not1_b32 vcc_lo, exec_lo, s8
	s_mov_b32 s9, 0
	s_cbranch_vccnz .LBB31_2020
; %bb.2013:
	s_cmp_gt_i32 s4, 14
	s_mov_b32 s8, -1
	s_cbranch_scc0 .LBB31_2017
; %bb.2014:
	s_cmp_eq_u32 s4, 15
	s_mov_b32 s0, -1
	s_cbranch_scc0 .LBB31_2016
; %bb.2015:
	s_wait_xcnt 0x0
	v_cvt_f32_ubyte0_e32 v0, v1
	s_mov_b32 s0, 0
	s_delay_alu instid0(VALU_DEP_1) | instskip(NEXT) | instid1(VALU_DEP_1)
	v_bfe_u32 v2, v0, 16, 1
	v_add3_u32 v0, v0, v2, 0x7fff
	global_store_d16_hi_b16 v[6:7], v0, off
.LBB31_2016:
	s_mov_b32 s8, 0
.LBB31_2017:
	s_delay_alu instid0(SALU_CYCLE_1)
	s_and_b32 vcc_lo, exec_lo, s8
	s_cbranch_vccz .LBB31_2020
; %bb.2018:
	s_cmp_lg_u32 s4, 11
	s_mov_b32 s9, -1
	s_cselect_b32 s4, -1, 0
	s_and_not1_b32 s0, s0, exec_lo
	s_and_b32 s4, s4, exec_lo
	s_delay_alu instid0(SALU_CYCLE_1)
	s_or_b32 s0, s0, s4
	s_branch .LBB31_2020
.LBB31_2019:
	s_mov_b32 s9, 0
.LBB31_2020:
	s_and_b32 s8, s5, exec_lo
	s_and_not1_b32 s4, s45, exec_lo
	s_and_b32 s5, s0, exec_lo
	s_and_b32 s0, s9, exec_lo
	s_or_b32 s45, s4, s5
	s_wait_xcnt 0x0
	s_or_b32 exec_lo, exec_lo, s7
	s_and_saveexec_b32 s4, s45
	s_cbranch_execz .LBB31_1949
.LBB31_2021:
	s_or_b32 s1, s1, exec_lo
	s_and_not1_b32 s0, s0, exec_lo
	s_trap 2
	s_or_b32 exec_lo, exec_lo, s4
	s_and_saveexec_b32 s4, s0
	s_delay_alu instid0(SALU_CYCLE_1)
	s_xor_b32 s0, exec_lo, s4
	s_cbranch_execnz .LBB31_1950
.LBB31_2022:
	s_or_b32 exec_lo, exec_lo, s0
	s_and_saveexec_b32 s0, s8
	s_delay_alu instid0(SALU_CYCLE_1)
	s_xor_b32 s0, exec_lo, s0
	s_cbranch_execz .LBB31_2060
.LBB31_2023:
	s_sext_i32_i16 s5, s6
	s_mov_b32 s4, -1
	s_cmp_lt_i32 s5, 5
	s_cbranch_scc1 .LBB31_2044
; %bb.2024:
	s_cmp_lt_i32 s5, 8
	s_cbranch_scc1 .LBB31_2034
; %bb.2025:
	;; [unrolled: 3-line block ×3, first 2 shown]
	s_cmp_gt_i32 s5, 9
	s_cbranch_scc0 .LBB31_2028
; %bb.2027:
	s_wait_loadcnt 0x0
	v_and_b32_e32 v0, 0xff, v1
	v_mov_b32_e32 v4, 0
	s_mov_b32 s4, 0
	s_delay_alu instid0(VALU_DEP_2) | instskip(NEXT) | instid1(VALU_DEP_2)
	v_and_b32_e32 v0, 0xffff, v0
	v_mov_b32_e32 v5, v4
	s_delay_alu instid0(VALU_DEP_2)
	v_cvt_f64_u32_e32 v[2:3], v0
	global_store_b128 v[6:7], v[2:5], off
.LBB31_2028:
	s_and_not1_b32 vcc_lo, exec_lo, s4
	s_cbranch_vccnz .LBB31_2030
; %bb.2029:
	s_wait_loadcnt 0x0
	v_cvt_f32_ubyte0_e32 v2, v1
	v_mov_b32_e32 v3, 0
	global_store_b64 v[6:7], v[2:3], off
.LBB31_2030:
	s_mov_b32 s4, 0
.LBB31_2031:
	s_delay_alu instid0(SALU_CYCLE_1)
	s_and_not1_b32 vcc_lo, exec_lo, s4
	s_cbranch_vccnz .LBB31_2033
; %bb.2032:
	s_wait_loadcnt 0x0
	v_and_b32_e32 v0, 0xff, v1
	s_delay_alu instid0(VALU_DEP_1) | instskip(NEXT) | instid1(VALU_DEP_1)
	v_cvt_f16_u16_e32 v0, v0
	v_and_b32_e32 v0, 0xffff, v0
	global_store_b32 v[6:7], v0, off
.LBB31_2033:
	s_mov_b32 s4, 0
.LBB31_2034:
	s_delay_alu instid0(SALU_CYCLE_1)
	s_and_not1_b32 vcc_lo, exec_lo, s4
	s_cbranch_vccnz .LBB31_2043
; %bb.2035:
	s_sext_i32_i16 s5, s6
	s_mov_b32 s4, -1
	s_cmp_lt_i32 s5, 6
	s_cbranch_scc1 .LBB31_2041
; %bb.2036:
	s_cmp_gt_i32 s5, 6
	s_cbranch_scc0 .LBB31_2038
; %bb.2037:
	s_wait_loadcnt 0x0
	v_and_b32_e32 v0, 0xff, v1
	s_mov_b32 s4, 0
	s_delay_alu instid0(VALU_DEP_1) | instskip(NEXT) | instid1(VALU_DEP_1)
	v_and_b32_e32 v0, 0xffff, v0
	v_cvt_f64_u32_e32 v[2:3], v0
	global_store_b64 v[6:7], v[2:3], off
.LBB31_2038:
	s_and_not1_b32 vcc_lo, exec_lo, s4
	s_cbranch_vccnz .LBB31_2040
; %bb.2039:
	s_wait_loadcnt 0x0
	v_cvt_f32_ubyte0_e32 v0, v1
	global_store_b32 v[6:7], v0, off
.LBB31_2040:
	s_mov_b32 s4, 0
.LBB31_2041:
	s_delay_alu instid0(SALU_CYCLE_1)
	s_and_not1_b32 vcc_lo, exec_lo, s4
	s_cbranch_vccnz .LBB31_2043
; %bb.2042:
	s_wait_loadcnt 0x0
	v_and_b32_e32 v0, 0xff, v1
	s_delay_alu instid0(VALU_DEP_1)
	v_cvt_f16_u16_e32 v0, v0
	global_store_b16 v[6:7], v0, off
.LBB31_2043:
	s_mov_b32 s4, 0
.LBB31_2044:
	s_delay_alu instid0(SALU_CYCLE_1)
	s_and_not1_b32 vcc_lo, exec_lo, s4
	s_cbranch_vccnz .LBB31_2060
; %bb.2045:
	s_sext_i32_i16 s5, s6
	s_mov_b32 s4, -1
	s_cmp_lt_i32 s5, 2
	s_cbranch_scc1 .LBB31_2055
; %bb.2046:
	s_cmp_lt_i32 s5, 3
	s_cbranch_scc1 .LBB31_2052
; %bb.2047:
	s_cmp_gt_i32 s5, 3
	s_cbranch_scc0 .LBB31_2049
; %bb.2048:
	s_wait_loadcnt 0x0
	v_and_b32_e32 v2, 0xff, v1
	v_mov_b32_e32 v3, 0
	s_mov_b32 s4, 0
	global_store_b64 v[6:7], v[2:3], off
.LBB31_2049:
	s_and_not1_b32 vcc_lo, exec_lo, s4
	s_cbranch_vccnz .LBB31_2051
; %bb.2050:
	s_wait_loadcnt 0x0
	v_and_b32_e32 v0, 0xff, v1
	global_store_b32 v[6:7], v0, off
.LBB31_2051:
	s_mov_b32 s4, 0
.LBB31_2052:
	s_delay_alu instid0(SALU_CYCLE_1)
	s_and_not1_b32 vcc_lo, exec_lo, s4
	s_cbranch_vccnz .LBB31_2054
; %bb.2053:
	s_wait_loadcnt 0x0
	v_and_b32_e32 v0, 0xff, v1
	global_store_b16 v[6:7], v0, off
.LBB31_2054:
	s_mov_b32 s4, 0
.LBB31_2055:
	s_delay_alu instid0(SALU_CYCLE_1)
	s_and_not1_b32 vcc_lo, exec_lo, s4
	s_cbranch_vccnz .LBB31_2060
; %bb.2056:
	s_sext_i32_i16 s4, s6
	s_delay_alu instid0(SALU_CYCLE_1)
	s_cmp_gt_i32 s4, 0
	s_mov_b32 s4, -1
	s_cbranch_scc0 .LBB31_2058
; %bb.2057:
	s_mov_b32 s4, 0
	s_wait_loadcnt 0x0
	global_store_b8 v[6:7], v1, off
.LBB31_2058:
	s_and_not1_b32 vcc_lo, exec_lo, s4
	s_cbranch_vccnz .LBB31_2060
; %bb.2059:
	s_wait_loadcnt 0x0
	global_store_b8 v[6:7], v1, off
.LBB31_2060:
	s_wait_xcnt 0x0
	s_or_b32 exec_lo, exec_lo, s0
	s_delay_alu instid0(SALU_CYCLE_1)
	s_and_b32 s10, s1, exec_lo
                                        ; implicit-def: $vgpr5
                                        ; implicit-def: $vgpr0
.LBB31_2061:
	s_or_saveexec_b32 s11, s41
	s_mov_b32 s0, 0
                                        ; implicit-def: $vgpr2_vgpr3
                                        ; implicit-def: $sgpr1
                                        ; implicit-def: $vgpr1
	s_xor_b32 exec_lo, exec_lo, s11
	s_cbranch_execz .LBB31_4060
; %bb.2062:
	s_wait_loadcnt 0x0
	v_cndmask_b32_e64 v1, 0, 1, s40
	s_and_not1_b32 vcc_lo, exec_lo, s40
	s_cbranch_vccnz .LBB31_2068
; %bb.2063:
	s_cmp_lg_u32 s33, 0
	s_mov_b32 s6, 0
	s_cbranch_scc0 .LBB31_2072
; %bb.2064:
	s_min_u32 s7, s38, 15
	v_dual_mov_b32 v12, 0 :: v_dual_mov_b32 v2, v0
	v_dual_mov_b32 v16, 0 :: v_dual_mov_b32 v6, 0
	v_mov_b32_e32 v8, 0
	s_add_co_i32 s4, s7, 1
	s_mov_b64 s[0:1], 0xffffffffffffffe0
	s_and_b32 s8, s4, 30
	s_add_nc_u64 s[0:1], s[2:3], s[0:1]
	s_mov_b64 s[4:5], s[2:3]
.LBB31_2065:                            ; =>This Inner Loop Header: Depth=1
	s_clause 0x1
	s_load_b128 s[20:23], s[4:5], 0x4
	s_load_b64 s[24:25], s[4:5], 0x14
	s_load_b256 s[12:19], s[0:1], 0xe4
	s_add_co_i32 s8, s8, -2
	s_wait_xcnt 0x0
	s_add_nc_u64 s[4:5], s[4:5], 24
	s_cmp_lg_u32 s8, 0
	s_add_nc_u64 s[0:1], s[0:1], 32
	s_wait_kmcnt 0x0
	v_mul_hi_u32 v3, s21, v2
	s_delay_alu instid0(VALU_DEP_1) | instskip(NEXT) | instid1(VALU_DEP_1)
	v_add_nc_u32_e32 v3, v2, v3
	v_lshrrev_b32_e32 v3, s22, v3
	s_delay_alu instid0(VALU_DEP_1) | instskip(SKIP_1) | instid1(VALU_DEP_1)
	v_mul_hi_u32 v4, s24, v3
	v_mul_lo_u32 v7, v3, s20
	v_dual_add_nc_u32 v4, v3, v4 :: v_dual_sub_nc_u32 v7, v2, v7
	s_delay_alu instid0(VALU_DEP_1) | instskip(NEXT) | instid1(VALU_DEP_2)
	v_lshrrev_b32_e32 v2, s25, v4
	v_mad_u32 v8, v7, s13, v8
	v_mad_u32 v6, v7, s12, v6
	;; [unrolled: 1-line block ×4, first 2 shown]
	v_mul_lo_u32 v4, v2, s23
	s_delay_alu instid0(VALU_DEP_1) | instskip(NEXT) | instid1(VALU_DEP_1)
	v_sub_nc_u32_e32 v3, v3, v4
	v_mad_u32 v8, v3, s17, v8
	v_mad_u32 v6, v3, s16, v6
	;; [unrolled: 1-line block ×4, first 2 shown]
	s_cbranch_scc1 .LBB31_2065
; %bb.2066:
	s_bitcmp1_b32 s7, 0
	s_cselect_b32 s7, -1, 0
	s_delay_alu instid0(SALU_CYCLE_1)
	s_and_b32 vcc_lo, exec_lo, s7
	s_cbranch_vccnz .LBB31_2069
; %bb.2067:
	s_load_b96 s[16:18], s[4:5], 0x4
	s_load_b128 s[12:15], s[0:1], 0xe4
	s_wait_kmcnt 0x0
	v_mul_hi_u32 v3, s17, v2
	s_delay_alu instid0(VALU_DEP_1) | instskip(NEXT) | instid1(VALU_DEP_1)
	v_add_nc_u32_e32 v3, v2, v3
	v_lshrrev_b32_e32 v3, s18, v3
	s_delay_alu instid0(VALU_DEP_1) | instskip(NEXT) | instid1(VALU_DEP_1)
	v_mul_lo_u32 v3, v3, s16
	v_sub_nc_u32_e32 v2, v2, v3
	s_delay_alu instid0(VALU_DEP_1)
	v_mad_u32 v6, v2, s12, v6
	v_mad_u32 v8, v2, s13, v8
	;; [unrolled: 1-line block ×4, first 2 shown]
	s_and_not1_b32 vcc_lo, exec_lo, s6
	s_cbranch_vccz .LBB31_2070
	s_branch .LBB31_2073
.LBB31_2068:
	s_mov_b32 s6, -1
                                        ; implicit-def: $vgpr8
                                        ; implicit-def: $vgpr6
                                        ; implicit-def: $vgpr16
                                        ; implicit-def: $vgpr12
.LBB31_2069:
	s_delay_alu instid0(SALU_CYCLE_1)
	s_and_not1_b32 vcc_lo, exec_lo, s6
	s_cbranch_vccnz .LBB31_2073
.LBB31_2070:
	s_clause 0x1
	s_load_b96 s[12:14], s[2:3], 0x4
	s_load_b128 s[4:7], s[2:3], 0xc4
	s_cmp_lt_u32 s33, 2
	s_wait_kmcnt 0x0
	v_mul_hi_u32 v2, s13, v0
	s_delay_alu instid0(VALU_DEP_1) | instskip(NEXT) | instid1(VALU_DEP_1)
	v_add_nc_u32_e32 v2, v0, v2
	v_lshrrev_b32_e32 v2, s14, v2
	s_delay_alu instid0(VALU_DEP_1) | instskip(NEXT) | instid1(VALU_DEP_1)
	v_mul_lo_u32 v3, v2, s12
	v_sub_nc_u32_e32 v3, v0, v3
	s_delay_alu instid0(VALU_DEP_1)
	v_mul_lo_u32 v8, v3, s5
	v_mul_lo_u32 v6, v3, s4
	v_mul_lo_u32 v16, v3, s7
	v_mul_lo_u32 v12, v3, s6
	s_cbranch_scc1 .LBB31_2073
; %bb.2071:
	s_clause 0x1
	s_load_b96 s[12:14], s[2:3], 0x10
	s_load_b128 s[4:7], s[2:3], 0xd4
	s_wait_kmcnt 0x0
	v_mul_hi_u32 v3, s13, v2
	s_delay_alu instid0(VALU_DEP_1) | instskip(NEXT) | instid1(VALU_DEP_1)
	v_add_nc_u32_e32 v3, v2, v3
	v_lshrrev_b32_e32 v3, s14, v3
	s_delay_alu instid0(VALU_DEP_1) | instskip(NEXT) | instid1(VALU_DEP_1)
	v_mul_lo_u32 v3, v3, s12
	v_sub_nc_u32_e32 v2, v2, v3
	s_delay_alu instid0(VALU_DEP_1)
	v_mad_u32 v6, v2, s4, v6
	v_mad_u32 v8, v2, s5, v8
	;; [unrolled: 1-line block ×4, first 2 shown]
	s_branch .LBB31_2073
.LBB31_2072:
	v_dual_mov_b32 v8, 0 :: v_dual_mov_b32 v6, 0
	v_dual_mov_b32 v16, 0 :: v_dual_mov_b32 v12, 0
	s_and_not1_b32 vcc_lo, exec_lo, s6
	s_cbranch_vccz .LBB31_2070
.LBB31_2073:
	v_cmp_ne_u32_e32 vcc_lo, 1, v1
	v_add_nc_u32_e32 v2, 0x80, v0
	s_cbranch_vccnz .LBB31_2079
; %bb.2074:
	s_cmp_lg_u32 s33, 0
	s_mov_b32 s6, 0
	s_cbranch_scc0 .LBB31_2083
; %bb.2075:
	s_min_u32 s7, s38, 15
	v_dual_mov_b32 v22, 0 :: v_dual_mov_b32 v3, v2
	v_dual_mov_b32 v26, 0 :: v_dual_mov_b32 v4, 0
	v_mov_b32_e32 v18, 0
	s_add_co_i32 s4, s7, 1
	s_mov_b64 s[0:1], 0xffffffffffffffe0
	s_and_b32 s8, s4, 30
	s_add_nc_u64 s[0:1], s[2:3], s[0:1]
	s_mov_b64 s[4:5], s[2:3]
.LBB31_2076:                            ; =>This Inner Loop Header: Depth=1
	s_clause 0x1
	s_load_b128 s[20:23], s[4:5], 0x4
	s_load_b64 s[24:25], s[4:5], 0x14
	s_load_b256 s[12:19], s[0:1], 0xe4
	s_add_co_i32 s8, s8, -2
	s_wait_xcnt 0x0
	s_add_nc_u64 s[4:5], s[4:5], 24
	s_cmp_lg_u32 s8, 0
	s_add_nc_u64 s[0:1], s[0:1], 32
	s_wait_kmcnt 0x0
	v_mul_hi_u32 v7, s21, v3
	s_delay_alu instid0(VALU_DEP_1) | instskip(NEXT) | instid1(VALU_DEP_1)
	v_add_nc_u32_e32 v7, v3, v7
	v_lshrrev_b32_e32 v7, s22, v7
	s_delay_alu instid0(VALU_DEP_1) | instskip(SKIP_1) | instid1(VALU_DEP_2)
	v_mul_hi_u32 v9, s24, v7
	v_mul_lo_u32 v10, v7, s20
	v_add_nc_u32_e32 v9, v7, v9
	s_delay_alu instid0(VALU_DEP_1) | instskip(NEXT) | instid1(VALU_DEP_1)
	v_dual_sub_nc_u32 v10, v3, v10 :: v_dual_lshrrev_b32 v3, s25, v9
	v_mad_u32 v11, v10, s13, v18
	v_mad_u32 v4, v10, s12, v4
	;; [unrolled: 1-line block ×4, first 2 shown]
	v_mul_lo_u32 v9, v3, s23
	s_delay_alu instid0(VALU_DEP_1) | instskip(NEXT) | instid1(VALU_DEP_1)
	v_sub_nc_u32_e32 v7, v7, v9
	v_mad_u32 v18, v7, s17, v11
	v_mad_u32 v4, v7, s16, v4
	;; [unrolled: 1-line block ×4, first 2 shown]
	s_cbranch_scc1 .LBB31_2076
; %bb.2077:
	s_bitcmp1_b32 s7, 0
	s_cselect_b32 s7, -1, 0
	s_delay_alu instid0(SALU_CYCLE_1)
	s_and_b32 vcc_lo, exec_lo, s7
	s_cbranch_vccnz .LBB31_2080
; %bb.2078:
	s_load_b96 s[16:18], s[4:5], 0x4
	s_load_b128 s[12:15], s[0:1], 0xe4
	s_wait_kmcnt 0x0
	v_mul_hi_u32 v7, s17, v3
	s_delay_alu instid0(VALU_DEP_1) | instskip(NEXT) | instid1(VALU_DEP_1)
	v_add_nc_u32_e32 v7, v3, v7
	v_lshrrev_b32_e32 v7, s18, v7
	s_delay_alu instid0(VALU_DEP_1) | instskip(NEXT) | instid1(VALU_DEP_1)
	v_mul_lo_u32 v7, v7, s16
	v_sub_nc_u32_e32 v3, v3, v7
	s_delay_alu instid0(VALU_DEP_1)
	v_mad_u32 v4, v3, s12, v4
	v_mad_u32 v18, v3, s13, v18
	;; [unrolled: 1-line block ×4, first 2 shown]
	s_and_not1_b32 vcc_lo, exec_lo, s6
	s_cbranch_vccz .LBB31_2081
	s_branch .LBB31_2084
.LBB31_2079:
	s_mov_b32 s6, -1
                                        ; implicit-def: $vgpr18
                                        ; implicit-def: $vgpr4
                                        ; implicit-def: $vgpr26
                                        ; implicit-def: $vgpr22
.LBB31_2080:
	s_delay_alu instid0(SALU_CYCLE_1)
	s_and_not1_b32 vcc_lo, exec_lo, s6
	s_cbranch_vccnz .LBB31_2084
.LBB31_2081:
	s_clause 0x1
	s_load_b96 s[12:14], s[2:3], 0x4
	s_load_b128 s[4:7], s[2:3], 0xc4
	s_cmp_lt_u32 s33, 2
	s_wait_kmcnt 0x0
	v_mul_hi_u32 v3, s13, v2
	s_delay_alu instid0(VALU_DEP_1) | instskip(NEXT) | instid1(VALU_DEP_1)
	v_add_nc_u32_e32 v3, v2, v3
	v_lshrrev_b32_e32 v3, s14, v3
	s_delay_alu instid0(VALU_DEP_1) | instskip(NEXT) | instid1(VALU_DEP_1)
	v_mul_lo_u32 v4, v3, s12
	v_sub_nc_u32_e32 v2, v2, v4
	s_delay_alu instid0(VALU_DEP_1)
	v_mul_lo_u32 v18, v2, s5
	v_mul_lo_u32 v4, v2, s4
	;; [unrolled: 1-line block ×4, first 2 shown]
	s_cbranch_scc1 .LBB31_2084
; %bb.2082:
	s_clause 0x1
	s_load_b96 s[12:14], s[2:3], 0x10
	s_load_b128 s[4:7], s[2:3], 0xd4
	s_wait_kmcnt 0x0
	v_mul_hi_u32 v2, s13, v3
	s_delay_alu instid0(VALU_DEP_1) | instskip(NEXT) | instid1(VALU_DEP_1)
	v_add_nc_u32_e32 v2, v3, v2
	v_lshrrev_b32_e32 v2, s14, v2
	s_delay_alu instid0(VALU_DEP_1) | instskip(NEXT) | instid1(VALU_DEP_1)
	v_mul_lo_u32 v2, v2, s12
	v_sub_nc_u32_e32 v2, v3, v2
	s_delay_alu instid0(VALU_DEP_1)
	v_mad_u32 v4, v2, s4, v4
	v_mad_u32 v18, v2, s5, v18
	;; [unrolled: 1-line block ×4, first 2 shown]
	s_branch .LBB31_2084
.LBB31_2083:
	v_dual_mov_b32 v18, 0 :: v_dual_mov_b32 v4, 0
	v_dual_mov_b32 v26, 0 :: v_dual_mov_b32 v22, 0
	s_and_not1_b32 vcc_lo, exec_lo, s6
	s_cbranch_vccz .LBB31_2081
.LBB31_2084:
	v_cmp_ne_u32_e32 vcc_lo, 1, v1
	v_add_nc_u32_e32 v0, 0x100, v0
	s_cbranch_vccnz .LBB31_2090
; %bb.2085:
	s_cmp_lg_u32 s33, 0
	s_mov_b32 s6, 0
	s_cbranch_scc0 .LBB31_2094
; %bb.2086:
	s_min_u32 s7, s38, 15
	v_dual_mov_b32 v30, 0 :: v_dual_mov_b32 v3, v0
	v_dual_mov_b32 v24, 0 :: v_dual_mov_b32 v2, 0
	v_mov_b32_e32 v28, 0
	s_add_co_i32 s4, s7, 1
	s_mov_b64 s[0:1], 0xffffffffffffffe0
	s_and_b32 s8, s4, 30
	s_add_nc_u64 s[0:1], s[2:3], s[0:1]
	s_mov_b64 s[4:5], s[2:3]
.LBB31_2087:                            ; =>This Inner Loop Header: Depth=1
	s_clause 0x1
	s_load_b128 s[20:23], s[4:5], 0x4
	s_load_b64 s[24:25], s[4:5], 0x14
	s_load_b256 s[12:19], s[0:1], 0xe4
	s_add_co_i32 s8, s8, -2
	s_wait_xcnt 0x0
	s_add_nc_u64 s[4:5], s[4:5], 24
	s_cmp_lg_u32 s8, 0
	s_add_nc_u64 s[0:1], s[0:1], 32
	s_wait_kmcnt 0x0
	v_mul_hi_u32 v7, s21, v3
	s_delay_alu instid0(VALU_DEP_1) | instskip(NEXT) | instid1(VALU_DEP_1)
	v_add_nc_u32_e32 v7, v3, v7
	v_lshrrev_b32_e32 v7, s22, v7
	s_delay_alu instid0(VALU_DEP_1) | instskip(SKIP_1) | instid1(VALU_DEP_2)
	v_mul_hi_u32 v9, s24, v7
	v_mul_lo_u32 v10, v7, s20
	v_add_nc_u32_e32 v9, v7, v9
	s_delay_alu instid0(VALU_DEP_1) | instskip(NEXT) | instid1(VALU_DEP_1)
	v_dual_sub_nc_u32 v10, v3, v10 :: v_dual_lshrrev_b32 v3, s25, v9
	v_mad_u32 v11, v10, s13, v28
	v_mad_u32 v2, v10, s12, v2
	;; [unrolled: 1-line block ×4, first 2 shown]
	v_mul_lo_u32 v9, v3, s23
	s_delay_alu instid0(VALU_DEP_1) | instskip(NEXT) | instid1(VALU_DEP_1)
	v_sub_nc_u32_e32 v7, v7, v9
	v_mad_u32 v28, v7, s17, v11
	v_mad_u32 v2, v7, s16, v2
	;; [unrolled: 1-line block ×4, first 2 shown]
	s_cbranch_scc1 .LBB31_2087
; %bb.2088:
	s_bitcmp1_b32 s7, 0
	s_cselect_b32 s7, -1, 0
	s_delay_alu instid0(SALU_CYCLE_1)
	s_and_b32 vcc_lo, exec_lo, s7
	s_cbranch_vccnz .LBB31_2091
; %bb.2089:
	s_load_b96 s[16:18], s[4:5], 0x4
	s_load_b128 s[12:15], s[0:1], 0xe4
	s_wait_kmcnt 0x0
	v_mul_hi_u32 v7, s17, v3
	s_delay_alu instid0(VALU_DEP_1) | instskip(NEXT) | instid1(VALU_DEP_1)
	v_add_nc_u32_e32 v7, v3, v7
	v_lshrrev_b32_e32 v7, s18, v7
	s_delay_alu instid0(VALU_DEP_1) | instskip(NEXT) | instid1(VALU_DEP_1)
	v_mul_lo_u32 v7, v7, s16
	v_sub_nc_u32_e32 v3, v3, v7
	s_delay_alu instid0(VALU_DEP_1)
	v_mad_u32 v2, v3, s12, v2
	v_mad_u32 v28, v3, s13, v28
	;; [unrolled: 1-line block ×4, first 2 shown]
	s_and_not1_b32 vcc_lo, exec_lo, s6
	s_cbranch_vccz .LBB31_2092
	s_branch .LBB31_2095
.LBB31_2090:
	s_mov_b32 s6, -1
                                        ; implicit-def: $vgpr28
                                        ; implicit-def: $vgpr2
                                        ; implicit-def: $vgpr24
                                        ; implicit-def: $vgpr30
.LBB31_2091:
	s_delay_alu instid0(SALU_CYCLE_1)
	s_and_not1_b32 vcc_lo, exec_lo, s6
	s_cbranch_vccnz .LBB31_2095
.LBB31_2092:
	s_clause 0x1
	s_load_b96 s[12:14], s[2:3], 0x4
	s_load_b128 s[4:7], s[2:3], 0xc4
	s_cmp_lt_u32 s33, 2
	s_wait_kmcnt 0x0
	v_mul_hi_u32 v2, s13, v0
	s_delay_alu instid0(VALU_DEP_1) | instskip(NEXT) | instid1(VALU_DEP_1)
	v_add_nc_u32_e32 v2, v0, v2
	v_lshrrev_b32_e32 v3, s14, v2
	s_delay_alu instid0(VALU_DEP_1) | instskip(NEXT) | instid1(VALU_DEP_1)
	v_mul_lo_u32 v2, v3, s12
	v_sub_nc_u32_e32 v0, v0, v2
	s_delay_alu instid0(VALU_DEP_1)
	v_mul_lo_u32 v28, v0, s5
	v_mul_lo_u32 v2, v0, s4
	;; [unrolled: 1-line block ×4, first 2 shown]
	s_cbranch_scc1 .LBB31_2095
; %bb.2093:
	s_clause 0x1
	s_load_b96 s[12:14], s[2:3], 0x10
	s_load_b128 s[4:7], s[2:3], 0xd4
	s_wait_kmcnt 0x0
	v_mul_hi_u32 v0, s13, v3
	s_delay_alu instid0(VALU_DEP_1) | instskip(NEXT) | instid1(VALU_DEP_1)
	v_add_nc_u32_e32 v0, v3, v0
	v_lshrrev_b32_e32 v0, s14, v0
	s_delay_alu instid0(VALU_DEP_1) | instskip(NEXT) | instid1(VALU_DEP_1)
	v_mul_lo_u32 v0, v0, s12
	v_sub_nc_u32_e32 v0, v3, v0
	s_delay_alu instid0(VALU_DEP_1)
	v_mad_u32 v2, v0, s4, v2
	v_mad_u32 v28, v0, s5, v28
	;; [unrolled: 1-line block ×4, first 2 shown]
	s_branch .LBB31_2095
.LBB31_2094:
	v_dual_mov_b32 v28, 0 :: v_dual_mov_b32 v2, 0
	v_dual_mov_b32 v24, 0 :: v_dual_mov_b32 v30, 0
	s_and_not1_b32 vcc_lo, exec_lo, s6
	s_cbranch_vccz .LBB31_2092
.LBB31_2095:
	v_cmp_ne_u32_e32 vcc_lo, 1, v1
	s_cbranch_vccnz .LBB31_2101
; %bb.2096:
	s_cmp_lg_u32 s33, 0
	s_mov_b32 s6, 0
	s_cbranch_scc0 .LBB31_2105
; %bb.2097:
	s_min_u32 s7, s38, 15
	v_dual_mov_b32 v14, 0 :: v_dual_mov_b32 v1, v5
	v_dual_mov_b32 v10, 0 :: v_dual_mov_b32 v0, 0
	v_mov_b32_e32 v20, 0
	s_add_co_i32 s4, s7, 1
	s_mov_b64 s[0:1], 0xffffffffffffffe0
	s_and_b32 s8, s4, 30
	s_add_nc_u64 s[0:1], s[2:3], s[0:1]
	s_mov_b64 s[4:5], s[2:3]
.LBB31_2098:                            ; =>This Inner Loop Header: Depth=1
	s_clause 0x1
	s_load_b128 s[20:23], s[4:5], 0x4
	s_load_b64 s[24:25], s[4:5], 0x14
	s_load_b256 s[12:19], s[0:1], 0xe4
	s_add_co_i32 s8, s8, -2
	s_wait_xcnt 0x0
	s_add_nc_u64 s[4:5], s[4:5], 24
	s_cmp_lg_u32 s8, 0
	s_add_nc_u64 s[0:1], s[0:1], 32
	s_wait_kmcnt 0x0
	v_mul_hi_u32 v3, s21, v1
	s_delay_alu instid0(VALU_DEP_1) | instskip(NEXT) | instid1(VALU_DEP_1)
	v_add_nc_u32_e32 v3, v1, v3
	v_lshrrev_b32_e32 v3, s22, v3
	s_delay_alu instid0(VALU_DEP_1) | instskip(SKIP_1) | instid1(VALU_DEP_1)
	v_mul_hi_u32 v7, s24, v3
	v_mul_lo_u32 v9, v3, s20
	v_dual_add_nc_u32 v7, v3, v7 :: v_dual_sub_nc_u32 v9, v1, v9
	s_delay_alu instid0(VALU_DEP_1) | instskip(NEXT) | instid1(VALU_DEP_2)
	v_lshrrev_b32_e32 v1, s25, v7
	v_mad_u32 v11, v9, s13, v20
	v_mad_u32 v0, v9, s12, v0
	;; [unrolled: 1-line block ×4, first 2 shown]
	v_mul_lo_u32 v7, v1, s23
	s_delay_alu instid0(VALU_DEP_1) | instskip(NEXT) | instid1(VALU_DEP_1)
	v_sub_nc_u32_e32 v3, v3, v7
	v_mad_u32 v20, v3, s17, v11
	v_mad_u32 v0, v3, s16, v0
	;; [unrolled: 1-line block ×4, first 2 shown]
	s_cbranch_scc1 .LBB31_2098
; %bb.2099:
	s_bitcmp1_b32 s7, 0
	s_cselect_b32 s7, -1, 0
	s_delay_alu instid0(SALU_CYCLE_1)
	s_and_b32 vcc_lo, exec_lo, s7
	s_cbranch_vccnz .LBB31_2102
; %bb.2100:
	s_load_b96 s[16:18], s[4:5], 0x4
	s_load_b128 s[12:15], s[0:1], 0xe4
	s_wait_kmcnt 0x0
	v_mul_hi_u32 v3, s17, v1
	s_delay_alu instid0(VALU_DEP_1) | instskip(NEXT) | instid1(VALU_DEP_1)
	v_add_nc_u32_e32 v3, v1, v3
	v_lshrrev_b32_e32 v3, s18, v3
	s_delay_alu instid0(VALU_DEP_1) | instskip(NEXT) | instid1(VALU_DEP_1)
	v_mul_lo_u32 v3, v3, s16
	v_sub_nc_u32_e32 v1, v1, v3
	s_delay_alu instid0(VALU_DEP_1)
	v_mad_u32 v0, v1, s12, v0
	v_mad_u32 v20, v1, s13, v20
	;; [unrolled: 1-line block ×4, first 2 shown]
	s_and_not1_b32 vcc_lo, exec_lo, s6
	s_cbranch_vccz .LBB31_2103
	s_branch .LBB31_2106
.LBB31_2101:
	s_mov_b32 s6, -1
                                        ; implicit-def: $vgpr20
                                        ; implicit-def: $vgpr0
                                        ; implicit-def: $vgpr10
                                        ; implicit-def: $vgpr14
.LBB31_2102:
	s_delay_alu instid0(SALU_CYCLE_1)
	s_and_not1_b32 vcc_lo, exec_lo, s6
	s_cbranch_vccnz .LBB31_2106
.LBB31_2103:
	s_clause 0x1
	s_load_b96 s[12:14], s[2:3], 0x4
	s_load_b128 s[4:7], s[2:3], 0xc4
	s_cmp_lt_u32 s33, 2
	s_wait_kmcnt 0x0
	v_mul_hi_u32 v0, s13, v5
	s_delay_alu instid0(VALU_DEP_1) | instskip(NEXT) | instid1(VALU_DEP_1)
	v_add_nc_u32_e32 v0, v5, v0
	v_lshrrev_b32_e32 v1, s14, v0
	s_delay_alu instid0(VALU_DEP_1) | instskip(NEXT) | instid1(VALU_DEP_1)
	v_mul_lo_u32 v0, v1, s12
	v_sub_nc_u32_e32 v3, v5, v0
	s_delay_alu instid0(VALU_DEP_1)
	v_mul_lo_u32 v20, v3, s5
	v_mul_lo_u32 v0, v3, s4
	;; [unrolled: 1-line block ×4, first 2 shown]
	s_cbranch_scc1 .LBB31_2106
; %bb.2104:
	s_clause 0x1
	s_load_b96 s[12:14], s[2:3], 0x10
	s_load_b128 s[4:7], s[2:3], 0xd4
	s_wait_kmcnt 0x0
	v_mul_hi_u32 v3, s13, v1
	s_delay_alu instid0(VALU_DEP_1) | instskip(NEXT) | instid1(VALU_DEP_1)
	v_add_nc_u32_e32 v3, v1, v3
	v_lshrrev_b32_e32 v3, s14, v3
	s_delay_alu instid0(VALU_DEP_1) | instskip(NEXT) | instid1(VALU_DEP_1)
	v_mul_lo_u32 v3, v3, s12
	v_sub_nc_u32_e32 v1, v1, v3
	s_delay_alu instid0(VALU_DEP_1)
	v_mad_u32 v0, v1, s4, v0
	v_mad_u32 v20, v1, s5, v20
	;; [unrolled: 1-line block ×4, first 2 shown]
	s_branch .LBB31_2106
.LBB31_2105:
	v_dual_mov_b32 v20, 0 :: v_dual_mov_b32 v0, 0
	v_dual_mov_b32 v10, 0 :: v_dual_mov_b32 v14, 0
	s_and_not1_b32 vcc_lo, exec_lo, s6
	s_cbranch_vccz .LBB31_2103
.LBB31_2106:
	v_mov_b32_e32 v9, 0
	s_load_b128 s[4:7], s[2:3], 0x1c8
	global_load_u8 v1, v9, s[2:3] offset:491
	s_wait_kmcnt 0x0
	v_add_nc_u64_e32 v[32:33], s[6:7], v[8:9]
	s_wait_loadcnt 0x0
	v_and_b32_e32 v3, 0xffff, v1
	v_readfirstlane_b32 s13, v1
	s_delay_alu instid0(VALU_DEP_2)
	v_cmp_gt_i32_e32 vcc_lo, 11, v3
	s_cbranch_vccnz .LBB31_2113
; %bb.2107:
	s_and_b32 s0, 0xffff, s13
	s_mov_b32 s8, 0
	s_cmp_gt_i32 s0, 25
	s_cbranch_scc0 .LBB31_2115
; %bb.2108:
	s_cmp_gt_i32 s0, 28
	s_cbranch_scc0 .LBB31_2116
; %bb.2109:
	s_cmp_gt_i32 s0, 43
	s_cbranch_scc0 .LBB31_2117
; %bb.2110:
	s_cmp_gt_i32 s0, 45
	s_cbranch_scc0 .LBB31_2118
; %bb.2111:
	s_cmp_eq_u32 s0, 46
	s_mov_b32 s12, 0
	s_cbranch_scc0 .LBB31_2121
; %bb.2112:
	global_load_b32 v1, v[32:33], off
	s_mov_b32 s1, 0
	s_mov_b32 s9, -1
	s_wait_loadcnt 0x0
	v_lshlrev_b32_e32 v1, 16, v1
	s_delay_alu instid0(VALU_DEP_1) | instskip(NEXT) | instid1(VALU_DEP_1)
	v_trunc_f32_e32 v1, v1
	v_mul_f32_e64 v3, 0x2f800000, |v1|
	s_delay_alu instid0(VALU_DEP_1) | instskip(NEXT) | instid1(VALU_DEP_1)
	v_floor_f32_e32 v3, v3
	v_fma_f32 v3, 0xcf800000, v3, |v1|
	v_ashrrev_i32_e32 v1, 31, v1
	s_delay_alu instid0(VALU_DEP_2) | instskip(NEXT) | instid1(VALU_DEP_1)
	v_cvt_u32_f32_e32 v3, v3
	v_xor_b32_e32 v3, v3, v1
	s_delay_alu instid0(VALU_DEP_1)
	v_sub_nc_u32_e32 v8, v3, v1
	s_branch .LBB31_2123
.LBB31_2113:
	s_mov_b32 s9, 0
	s_mov_b32 s12, s10
                                        ; implicit-def: $vgpr8
	s_cbranch_execnz .LBB31_2181
.LBB31_2114:
	s_and_not1_b32 vcc_lo, exec_lo, s9
	s_cbranch_vccz .LBB31_2226
	s_branch .LBB31_4058
.LBB31_2115:
	s_mov_b32 s9, 0
	s_mov_b32 s1, 0
                                        ; implicit-def: $vgpr8
	s_cbranch_execnz .LBB31_2148
	s_branch .LBB31_2177
.LBB31_2116:
	s_mov_b32 s9, 0
	s_mov_b32 s1, 0
                                        ; implicit-def: $vgpr8
	s_cbranch_execz .LBB31_2147
	s_branch .LBB31_2132
.LBB31_2117:
	s_mov_b32 s9, 0
	s_mov_b32 s1, 0
                                        ; implicit-def: $vgpr8
	s_cbranch_execnz .LBB31_2128
	s_branch .LBB31_2131
.LBB31_2118:
	s_mov_b32 s12, -1
	s_mov_b32 s9, 0
	s_mov_b32 s1, 0
	s_branch .LBB31_2122
.LBB31_2119:
	s_and_not1_saveexec_b32 s9, s9
	s_cbranch_execz .LBB31_1974
.LBB31_2120:
	v_add_f32_e32 v0, 0x46000000, v2
	s_and_not1_b32 s8, s8, exec_lo
	s_delay_alu instid0(VALU_DEP_1) | instskip(NEXT) | instid1(VALU_DEP_1)
	v_and_b32_e32 v0, 0xff, v0
	v_cmp_ne_u32_e32 vcc_lo, 0, v0
	s_and_b32 s10, vcc_lo, exec_lo
	s_delay_alu instid0(SALU_CYCLE_1)
	s_or_b32 s8, s8, s10
	s_or_b32 exec_lo, exec_lo, s9
	v_mov_b32_e32 v3, 0
	s_and_saveexec_b32 s9, s8
	s_cbranch_execnz .LBB31_1975
	s_branch .LBB31_1976
.LBB31_2121:
	s_mov_b32 s1, -1
	s_mov_b32 s9, 0
.LBB31_2122:
                                        ; implicit-def: $vgpr8
.LBB31_2123:
	s_and_b32 vcc_lo, exec_lo, s12
	s_cbranch_vccz .LBB31_2126
; %bb.2124:
	s_cmp_eq_u32 s0, 44
	s_cbranch_scc0 .LBB31_2127
; %bb.2125:
	global_load_u8 v1, v[32:33], off
	s_mov_b32 s1, 0
	s_mov_b32 s9, -1
	s_wait_loadcnt 0x0
	v_lshlrev_b32_e32 v3, 23, v1
	v_cmp_ne_u32_e32 vcc_lo, 0, v1
	s_delay_alu instid0(VALU_DEP_2) | instskip(NEXT) | instid1(VALU_DEP_1)
	v_trunc_f32_e32 v3, v3
	v_mul_f32_e64 v5, 0x2f800000, |v3|
	s_delay_alu instid0(VALU_DEP_1) | instskip(NEXT) | instid1(VALU_DEP_1)
	v_floor_f32_e32 v5, v5
	v_fma_f32 v5, 0xcf800000, v5, |v3|
	v_ashrrev_i32_e32 v3, 31, v3
	s_delay_alu instid0(VALU_DEP_2) | instskip(NEXT) | instid1(VALU_DEP_1)
	v_cvt_u32_f32_e32 v5, v5
	v_xor_b32_e32 v5, v5, v3
	s_delay_alu instid0(VALU_DEP_1) | instskip(NEXT) | instid1(VALU_DEP_1)
	v_sub_nc_u32_e32 v3, v5, v3
	v_cndmask_b32_e32 v8, 0, v3, vcc_lo
.LBB31_2126:
	s_branch .LBB31_2131
.LBB31_2127:
	s_mov_b32 s1, -1
                                        ; implicit-def: $vgpr8
	s_branch .LBB31_2131
.LBB31_2128:
	s_cmp_eq_u32 s0, 29
	s_cbranch_scc0 .LBB31_2130
; %bb.2129:
	global_load_b64 v[8:9], v[32:33], off
	s_mov_b32 s1, 0
	s_mov_b32 s9, -1
	s_branch .LBB31_2131
.LBB31_2130:
	s_mov_b32 s1, -1
                                        ; implicit-def: $vgpr8
.LBB31_2131:
	s_branch .LBB31_2147
.LBB31_2132:
	s_cmp_lt_i32 s0, 27
	s_cbranch_scc1 .LBB31_2135
; %bb.2133:
	s_cmp_gt_i32 s0, 27
	s_cbranch_scc0 .LBB31_2136
; %bb.2134:
	s_wait_loadcnt 0x0
	global_load_b32 v8, v[32:33], off
	s_mov_b32 s9, 0
	s_branch .LBB31_2137
.LBB31_2135:
	s_mov_b32 s9, -1
                                        ; implicit-def: $vgpr8
	s_branch .LBB31_2140
.LBB31_2136:
	s_mov_b32 s9, -1
                                        ; implicit-def: $vgpr8
.LBB31_2137:
	s_delay_alu instid0(SALU_CYCLE_1)
	s_and_not1_b32 vcc_lo, exec_lo, s9
	s_cbranch_vccnz .LBB31_2139
; %bb.2138:
	s_wait_loadcnt 0x0
	global_load_u16 v8, v[32:33], off
.LBB31_2139:
	s_mov_b32 s9, 0
.LBB31_2140:
	s_delay_alu instid0(SALU_CYCLE_1)
	s_and_not1_b32 vcc_lo, exec_lo, s9
	s_cbranch_vccnz .LBB31_2146
; %bb.2141:
	global_load_u8 v1, v[32:33], off
	s_mov_b32 s12, 0
	s_mov_b32 s9, exec_lo
	s_wait_loadcnt 0x0
	v_cmpx_lt_i16_e32 0x7f, v1
	s_xor_b32 s9, exec_lo, s9
	s_cbranch_execz .LBB31_2157
; %bb.2142:
	v_cmp_ne_u16_e32 vcc_lo, 0x80, v1
	s_and_b32 s12, vcc_lo, exec_lo
	s_and_not1_saveexec_b32 s9, s9
	s_cbranch_execnz .LBB31_2158
.LBB31_2143:
	s_or_b32 exec_lo, exec_lo, s9
	v_mov_b32_e32 v8, 0
	s_and_saveexec_b32 s9, s12
	s_cbranch_execz .LBB31_2145
.LBB31_2144:
	v_and_b32_e32 v3, 0xffff, v1
	s_delay_alu instid0(VALU_DEP_1) | instskip(SKIP_1) | instid1(VALU_DEP_2)
	v_dual_lshlrev_b32 v1, 24, v1 :: v_dual_bitop2_b32 v5, 7, v3 bitop3:0x40
	v_bfe_u32 v9, v3, 3, 4
	v_and_b32_e32 v1, 0x80000000, v1
	s_delay_alu instid0(VALU_DEP_3) | instskip(NEXT) | instid1(VALU_DEP_3)
	v_clz_i32_u32_e32 v7, v5
	v_cmp_eq_u32_e32 vcc_lo, 0, v9
	s_delay_alu instid0(VALU_DEP_2) | instskip(NEXT) | instid1(VALU_DEP_1)
	v_min_u32_e32 v7, 32, v7
	v_subrev_nc_u32_e32 v8, 28, v7
	v_sub_nc_u32_e32 v7, 29, v7
	s_delay_alu instid0(VALU_DEP_2) | instskip(NEXT) | instid1(VALU_DEP_2)
	v_lshlrev_b32_e32 v3, v8, v3
	v_cndmask_b32_e32 v7, v9, v7, vcc_lo
	s_delay_alu instid0(VALU_DEP_2) | instskip(NEXT) | instid1(VALU_DEP_1)
	v_and_b32_e32 v3, 7, v3
	v_cndmask_b32_e32 v3, v5, v3, vcc_lo
	s_delay_alu instid0(VALU_DEP_3) | instskip(NEXT) | instid1(VALU_DEP_2)
	v_lshl_add_u32 v5, v7, 23, 0x3b800000
	v_lshlrev_b32_e32 v3, 20, v3
	s_delay_alu instid0(VALU_DEP_1) | instskip(NEXT) | instid1(VALU_DEP_1)
	v_or3_b32 v1, v1, v5, v3
	v_trunc_f32_e32 v1, v1
	s_delay_alu instid0(VALU_DEP_1) | instskip(NEXT) | instid1(VALU_DEP_1)
	v_mul_f32_e64 v3, 0x2f800000, |v1|
	v_floor_f32_e32 v3, v3
	s_delay_alu instid0(VALU_DEP_1) | instskip(SKIP_1) | instid1(VALU_DEP_2)
	v_fma_f32 v3, 0xcf800000, v3, |v1|
	v_ashrrev_i32_e32 v1, 31, v1
	v_cvt_u32_f32_e32 v3, v3
	s_delay_alu instid0(VALU_DEP_1) | instskip(NEXT) | instid1(VALU_DEP_1)
	v_xor_b32_e32 v3, v3, v1
	v_sub_nc_u32_e32 v8, v3, v1
.LBB31_2145:
	s_or_b32 exec_lo, exec_lo, s9
.LBB31_2146:
	s_mov_b32 s9, -1
.LBB31_2147:
	s_branch .LBB31_2177
.LBB31_2148:
	s_cmp_gt_i32 s0, 22
	s_cbranch_scc0 .LBB31_2156
; %bb.2149:
	s_cmp_lt_i32 s0, 24
	s_cbranch_scc1 .LBB31_2159
; %bb.2150:
	s_cmp_gt_i32 s0, 24
	s_cbranch_scc0 .LBB31_2160
; %bb.2151:
	global_load_u8 v1, v[32:33], off
	s_mov_b32 s9, 0
	s_mov_b32 s8, exec_lo
	s_wait_loadcnt 0x0
	v_cmpx_lt_i16_e32 0x7f, v1
	s_xor_b32 s8, exec_lo, s8
	s_cbranch_execz .LBB31_2171
; %bb.2152:
	v_cmp_ne_u16_e32 vcc_lo, 0x80, v1
	s_and_b32 s9, vcc_lo, exec_lo
	s_and_not1_saveexec_b32 s8, s8
	s_cbranch_execnz .LBB31_2172
.LBB31_2153:
	s_or_b32 exec_lo, exec_lo, s8
	v_mov_b32_e32 v8, 0
	s_and_saveexec_b32 s8, s9
	s_cbranch_execz .LBB31_2155
.LBB31_2154:
	v_and_b32_e32 v3, 0xffff, v1
	s_delay_alu instid0(VALU_DEP_1) | instskip(SKIP_1) | instid1(VALU_DEP_2)
	v_dual_lshlrev_b32 v1, 24, v1 :: v_dual_bitop2_b32 v5, 3, v3 bitop3:0x40
	v_bfe_u32 v9, v3, 2, 5
	v_and_b32_e32 v1, 0x80000000, v1
	s_delay_alu instid0(VALU_DEP_3) | instskip(NEXT) | instid1(VALU_DEP_3)
	v_clz_i32_u32_e32 v7, v5
	v_cmp_eq_u32_e32 vcc_lo, 0, v9
	s_delay_alu instid0(VALU_DEP_2) | instskip(NEXT) | instid1(VALU_DEP_1)
	v_min_u32_e32 v7, 32, v7
	v_subrev_nc_u32_e32 v8, 29, v7
	v_sub_nc_u32_e32 v7, 30, v7
	s_delay_alu instid0(VALU_DEP_2) | instskip(NEXT) | instid1(VALU_DEP_2)
	v_lshlrev_b32_e32 v3, v8, v3
	v_cndmask_b32_e32 v7, v9, v7, vcc_lo
	s_delay_alu instid0(VALU_DEP_2) | instskip(NEXT) | instid1(VALU_DEP_1)
	v_and_b32_e32 v3, 3, v3
	v_cndmask_b32_e32 v3, v5, v3, vcc_lo
	s_delay_alu instid0(VALU_DEP_3) | instskip(NEXT) | instid1(VALU_DEP_2)
	v_lshl_add_u32 v5, v7, 23, 0x37800000
	v_lshlrev_b32_e32 v3, 21, v3
	s_delay_alu instid0(VALU_DEP_1) | instskip(NEXT) | instid1(VALU_DEP_1)
	v_or3_b32 v1, v1, v5, v3
	v_trunc_f32_e32 v1, v1
	s_delay_alu instid0(VALU_DEP_1) | instskip(NEXT) | instid1(VALU_DEP_1)
	v_mul_f32_e64 v3, 0x2f800000, |v1|
	v_floor_f32_e32 v3, v3
	s_delay_alu instid0(VALU_DEP_1) | instskip(SKIP_1) | instid1(VALU_DEP_2)
	v_fma_f32 v3, 0xcf800000, v3, |v1|
	v_ashrrev_i32_e32 v1, 31, v1
	v_cvt_u32_f32_e32 v3, v3
	s_delay_alu instid0(VALU_DEP_1) | instskip(NEXT) | instid1(VALU_DEP_1)
	v_xor_b32_e32 v3, v3, v1
	v_sub_nc_u32_e32 v8, v3, v1
.LBB31_2155:
	s_or_b32 exec_lo, exec_lo, s8
	s_mov_b32 s8, 0
	s_branch .LBB31_2161
.LBB31_2156:
                                        ; implicit-def: $vgpr8
	s_mov_b32 s8, 0
	s_branch .LBB31_2167
.LBB31_2157:
	s_and_not1_saveexec_b32 s9, s9
	s_cbranch_execz .LBB31_2143
.LBB31_2158:
	v_cmp_ne_u16_e32 vcc_lo, 0, v1
	s_and_not1_b32 s12, s12, exec_lo
	s_and_b32 s14, vcc_lo, exec_lo
	s_delay_alu instid0(SALU_CYCLE_1)
	s_or_b32 s12, s12, s14
	s_or_b32 exec_lo, exec_lo, s9
	v_mov_b32_e32 v8, 0
	s_and_saveexec_b32 s9, s12
	s_cbranch_execnz .LBB31_2144
	s_branch .LBB31_2145
.LBB31_2159:
	s_mov_b32 s8, -1
                                        ; implicit-def: $vgpr8
	s_branch .LBB31_2164
.LBB31_2160:
	s_mov_b32 s8, -1
                                        ; implicit-def: $vgpr8
.LBB31_2161:
	s_delay_alu instid0(SALU_CYCLE_1)
	s_and_b32 vcc_lo, exec_lo, s8
	s_cbranch_vccz .LBB31_2163
; %bb.2162:
	global_load_u8 v1, v[32:33], off
	s_wait_loadcnt 0x0
	v_lshlrev_b32_e32 v1, 24, v1
	s_delay_alu instid0(VALU_DEP_1) | instskip(NEXT) | instid1(VALU_DEP_1)
	v_and_b32_e32 v3, 0x7f000000, v1
	v_clz_i32_u32_e32 v5, v3
	v_cmp_ne_u32_e32 vcc_lo, 0, v3
	v_add_nc_u32_e32 v8, 0x1000000, v3
	s_delay_alu instid0(VALU_DEP_3) | instskip(NEXT) | instid1(VALU_DEP_1)
	v_min_u32_e32 v5, 32, v5
	v_sub_nc_u32_e64 v5, v5, 4 clamp
	s_delay_alu instid0(VALU_DEP_1) | instskip(NEXT) | instid1(VALU_DEP_1)
	v_dual_lshlrev_b32 v7, v5, v3 :: v_dual_lshlrev_b32 v5, 23, v5
	v_lshrrev_b32_e32 v7, 4, v7
	s_delay_alu instid0(VALU_DEP_1) | instskip(NEXT) | instid1(VALU_DEP_1)
	v_dual_sub_nc_u32 v5, v7, v5 :: v_dual_ashrrev_i32 v7, 8, v8
	v_add_nc_u32_e32 v5, 0x3c000000, v5
	s_delay_alu instid0(VALU_DEP_1) | instskip(NEXT) | instid1(VALU_DEP_1)
	v_and_or_b32 v5, 0x7f800000, v7, v5
	v_cndmask_b32_e32 v3, 0, v5, vcc_lo
	s_delay_alu instid0(VALU_DEP_1) | instskip(NEXT) | instid1(VALU_DEP_1)
	v_and_or_b32 v1, 0x80000000, v1, v3
	v_trunc_f32_e32 v1, v1
	s_delay_alu instid0(VALU_DEP_1) | instskip(NEXT) | instid1(VALU_DEP_1)
	v_mul_f32_e64 v3, 0x2f800000, |v1|
	v_floor_f32_e32 v3, v3
	s_delay_alu instid0(VALU_DEP_1) | instskip(SKIP_1) | instid1(VALU_DEP_2)
	v_fma_f32 v3, 0xcf800000, v3, |v1|
	v_ashrrev_i32_e32 v1, 31, v1
	v_cvt_u32_f32_e32 v3, v3
	s_delay_alu instid0(VALU_DEP_1) | instskip(NEXT) | instid1(VALU_DEP_1)
	v_xor_b32_e32 v3, v3, v1
	v_sub_nc_u32_e32 v8, v3, v1
.LBB31_2163:
	s_mov_b32 s8, 0
.LBB31_2164:
	s_delay_alu instid0(SALU_CYCLE_1)
	s_and_not1_b32 vcc_lo, exec_lo, s8
	s_cbranch_vccnz .LBB31_2166
; %bb.2165:
	global_load_u8 v1, v[32:33], off
	s_wait_loadcnt 0x0
	v_lshlrev_b32_e32 v3, 25, v1
	v_lshlrev_b16 v1, 8, v1
	s_delay_alu instid0(VALU_DEP_1) | instskip(SKIP_1) | instid1(VALU_DEP_2)
	v_and_or_b32 v7, 0x7f00, v1, 0.5
	v_bfe_i32 v1, v1, 0, 16
	v_add_f32_e32 v7, -0.5, v7
	v_lshrrev_b32_e32 v5, 4, v3
	v_cmp_gt_u32_e32 vcc_lo, 0x8000000, v3
	s_delay_alu instid0(VALU_DEP_2) | instskip(NEXT) | instid1(VALU_DEP_1)
	v_or_b32_e32 v5, 0x70000000, v5
	v_mul_f32_e32 v5, 0x7800000, v5
	s_delay_alu instid0(VALU_DEP_1) | instskip(NEXT) | instid1(VALU_DEP_1)
	v_cndmask_b32_e32 v3, v5, v7, vcc_lo
	v_and_or_b32 v1, 0x80000000, v1, v3
	s_delay_alu instid0(VALU_DEP_1) | instskip(NEXT) | instid1(VALU_DEP_1)
	v_trunc_f32_e32 v1, v1
	v_mul_f32_e64 v3, 0x2f800000, |v1|
	s_delay_alu instid0(VALU_DEP_1) | instskip(NEXT) | instid1(VALU_DEP_1)
	v_floor_f32_e32 v3, v3
	v_fma_f32 v3, 0xcf800000, v3, |v1|
	v_ashrrev_i32_e32 v1, 31, v1
	s_delay_alu instid0(VALU_DEP_2) | instskip(NEXT) | instid1(VALU_DEP_1)
	v_cvt_u32_f32_e32 v3, v3
	v_xor_b32_e32 v3, v3, v1
	s_delay_alu instid0(VALU_DEP_1)
	v_sub_nc_u32_e32 v8, v3, v1
.LBB31_2166:
	s_mov_b32 s9, -1
	s_mov_b32 s8, 0
	s_cbranch_execnz .LBB31_2177
.LBB31_2167:
	s_cmp_gt_i32 s0, 14
	s_cbranch_scc0 .LBB31_2170
; %bb.2168:
	s_cmp_eq_u32 s0, 15
	s_cbranch_scc0 .LBB31_2173
; %bb.2169:
	global_load_u16 v1, v[32:33], off
	s_mov_b32 s1, 0
	s_mov_b32 s9, -1
	s_wait_loadcnt 0x0
	v_lshlrev_b32_e32 v1, 16, v1
	s_delay_alu instid0(VALU_DEP_1) | instskip(NEXT) | instid1(VALU_DEP_1)
	v_trunc_f32_e32 v1, v1
	v_mul_f32_e64 v3, 0x2f800000, |v1|
	s_delay_alu instid0(VALU_DEP_1) | instskip(NEXT) | instid1(VALU_DEP_1)
	v_floor_f32_e32 v3, v3
	v_fma_f32 v3, 0xcf800000, v3, |v1|
	v_ashrrev_i32_e32 v1, 31, v1
	s_delay_alu instid0(VALU_DEP_2) | instskip(NEXT) | instid1(VALU_DEP_1)
	v_cvt_u32_f32_e32 v3, v3
	v_xor_b32_e32 v3, v3, v1
	s_delay_alu instid0(VALU_DEP_1)
	v_sub_nc_u32_e32 v8, v3, v1
	s_branch .LBB31_2175
.LBB31_2170:
	s_mov_b32 s8, -1
	s_branch .LBB31_2174
.LBB31_2171:
	s_and_not1_saveexec_b32 s8, s8
	s_cbranch_execz .LBB31_2153
.LBB31_2172:
	v_cmp_ne_u16_e32 vcc_lo, 0, v1
	s_and_not1_b32 s9, s9, exec_lo
	s_and_b32 s12, vcc_lo, exec_lo
	s_delay_alu instid0(SALU_CYCLE_1)
	s_or_b32 s9, s9, s12
	s_or_b32 exec_lo, exec_lo, s8
	v_mov_b32_e32 v8, 0
	s_and_saveexec_b32 s8, s9
	s_cbranch_execnz .LBB31_2154
	s_branch .LBB31_2155
.LBB31_2173:
	s_mov_b32 s1, -1
.LBB31_2174:
                                        ; implicit-def: $vgpr8
.LBB31_2175:
	s_and_b32 vcc_lo, exec_lo, s8
	s_mov_b32 s8, 0
	s_cbranch_vccz .LBB31_2177
; %bb.2176:
	s_cmp_lg_u32 s0, 11
	s_mov_b32 s8, -1
	s_cselect_b32 s1, -1, 0
.LBB31_2177:
	s_delay_alu instid0(SALU_CYCLE_1)
	s_and_b32 vcc_lo, exec_lo, s1
	s_mov_b32 s12, s10
	s_cbranch_vccnz .LBB31_2238
; %bb.2178:
	s_and_not1_b32 vcc_lo, exec_lo, s8
	s_cbranch_vccnz .LBB31_2180
.LBB31_2179:
	global_load_u8 v1, v[32:33], off
	s_mov_b32 s9, -1
	s_wait_loadcnt 0x0
	v_cmp_ne_u16_e32 vcc_lo, 0, v1
	v_cndmask_b32_e64 v8, 0, 1, vcc_lo
.LBB31_2180:
	s_branch .LBB31_2114
.LBB31_2181:
	s_and_b32 s0, 0xffff, s13
	s_delay_alu instid0(SALU_CYCLE_1)
	s_cmp_lt_i32 s0, 5
	s_cbranch_scc1 .LBB31_2186
; %bb.2182:
	s_cmp_lt_i32 s0, 8
	s_cbranch_scc1 .LBB31_2187
; %bb.2183:
	;; [unrolled: 3-line block ×3, first 2 shown]
	s_cmp_gt_i32 s0, 9
	s_cbranch_scc0 .LBB31_2189
; %bb.2185:
	s_wait_loadcnt 0x0
	global_load_b64 v[8:9], v[32:33], off
	s_mov_b32 s1, 0
	s_wait_loadcnt 0x0
	v_trunc_f64_e32 v[8:9], v[8:9]
	s_delay_alu instid0(VALU_DEP_1) | instskip(NEXT) | instid1(VALU_DEP_1)
	v_ldexp_f64 v[34:35], v[8:9], 0xffffffe0
	v_floor_f64_e32 v[34:35], v[34:35]
	s_delay_alu instid0(VALU_DEP_1) | instskip(NEXT) | instid1(VALU_DEP_1)
	v_fmamk_f64 v[8:9], v[34:35], 0xc1f00000, v[8:9]
	v_cvt_u32_f64_e32 v8, v[8:9]
	s_branch .LBB31_2190
.LBB31_2186:
                                        ; implicit-def: $vgpr8
	s_branch .LBB31_2207
.LBB31_2187:
                                        ; implicit-def: $vgpr8
	s_branch .LBB31_2196
.LBB31_2188:
	s_mov_b32 s1, -1
                                        ; implicit-def: $vgpr8
	s_branch .LBB31_2193
.LBB31_2189:
	s_mov_b32 s1, -1
                                        ; implicit-def: $vgpr8
.LBB31_2190:
	s_delay_alu instid0(SALU_CYCLE_1)
	s_and_not1_b32 vcc_lo, exec_lo, s1
	s_cbranch_vccnz .LBB31_2192
; %bb.2191:
	global_load_b32 v1, v[32:33], off
	s_wait_loadcnt 0x0
	v_trunc_f32_e32 v1, v1
	s_delay_alu instid0(VALU_DEP_1) | instskip(NEXT) | instid1(VALU_DEP_1)
	v_mul_f32_e64 v3, 0x2f800000, |v1|
	v_floor_f32_e32 v3, v3
	s_delay_alu instid0(VALU_DEP_1) | instskip(SKIP_1) | instid1(VALU_DEP_2)
	v_fma_f32 v3, 0xcf800000, v3, |v1|
	v_ashrrev_i32_e32 v1, 31, v1
	v_cvt_u32_f32_e32 v3, v3
	s_delay_alu instid0(VALU_DEP_1) | instskip(NEXT) | instid1(VALU_DEP_1)
	v_xor_b32_e32 v3, v3, v1
	v_sub_nc_u32_e32 v8, v3, v1
.LBB31_2192:
	s_mov_b32 s1, 0
.LBB31_2193:
	s_delay_alu instid0(SALU_CYCLE_1)
	s_and_not1_b32 vcc_lo, exec_lo, s1
	s_cbranch_vccnz .LBB31_2195
; %bb.2194:
	global_load_b32 v1, v[32:33], off
	s_wait_loadcnt 0x0
	v_cvt_f32_f16_e32 v1, v1
	s_delay_alu instid0(VALU_DEP_1)
	v_cvt_i32_f32_e32 v8, v1
.LBB31_2195:
	s_cbranch_execnz .LBB31_2206
.LBB31_2196:
	s_cmp_lt_i32 s0, 6
	s_cbranch_scc1 .LBB31_2199
; %bb.2197:
	s_cmp_gt_i32 s0, 6
	s_cbranch_scc0 .LBB31_2200
; %bb.2198:
	s_wait_loadcnt 0x0
	global_load_b64 v[8:9], v[32:33], off
	s_mov_b32 s1, 0
	s_wait_loadcnt 0x0
	v_trunc_f64_e32 v[8:9], v[8:9]
	s_delay_alu instid0(VALU_DEP_1) | instskip(NEXT) | instid1(VALU_DEP_1)
	v_ldexp_f64 v[34:35], v[8:9], 0xffffffe0
	v_floor_f64_e32 v[34:35], v[34:35]
	s_delay_alu instid0(VALU_DEP_1) | instskip(NEXT) | instid1(VALU_DEP_1)
	v_fmamk_f64 v[8:9], v[34:35], 0xc1f00000, v[8:9]
	v_cvt_u32_f64_e32 v8, v[8:9]
	s_branch .LBB31_2201
.LBB31_2199:
	s_mov_b32 s1, -1
                                        ; implicit-def: $vgpr8
	s_branch .LBB31_2204
.LBB31_2200:
	s_mov_b32 s1, -1
                                        ; implicit-def: $vgpr8
.LBB31_2201:
	s_delay_alu instid0(SALU_CYCLE_1)
	s_and_not1_b32 vcc_lo, exec_lo, s1
	s_cbranch_vccnz .LBB31_2203
; %bb.2202:
	global_load_b32 v1, v[32:33], off
	s_wait_loadcnt 0x0
	v_trunc_f32_e32 v1, v1
	s_delay_alu instid0(VALU_DEP_1) | instskip(NEXT) | instid1(VALU_DEP_1)
	v_mul_f32_e64 v3, 0x2f800000, |v1|
	v_floor_f32_e32 v3, v3
	s_delay_alu instid0(VALU_DEP_1) | instskip(SKIP_1) | instid1(VALU_DEP_2)
	v_fma_f32 v3, 0xcf800000, v3, |v1|
	v_ashrrev_i32_e32 v1, 31, v1
	v_cvt_u32_f32_e32 v3, v3
	s_delay_alu instid0(VALU_DEP_1) | instskip(NEXT) | instid1(VALU_DEP_1)
	v_xor_b32_e32 v3, v3, v1
	v_sub_nc_u32_e32 v8, v3, v1
.LBB31_2203:
	s_mov_b32 s1, 0
.LBB31_2204:
	s_delay_alu instid0(SALU_CYCLE_1)
	s_and_not1_b32 vcc_lo, exec_lo, s1
	s_cbranch_vccnz .LBB31_2206
; %bb.2205:
	global_load_u16 v1, v[32:33], off
	s_wait_loadcnt 0x0
	v_cvt_f32_f16_e32 v1, v1
	s_delay_alu instid0(VALU_DEP_1)
	v_cvt_i32_f32_e32 v8, v1
.LBB31_2206:
	s_cbranch_execnz .LBB31_2225
.LBB31_2207:
	s_cmp_lt_i32 s0, 2
	s_cbranch_scc1 .LBB31_2211
; %bb.2208:
	s_cmp_lt_i32 s0, 3
	s_cbranch_scc1 .LBB31_2212
; %bb.2209:
	s_cmp_gt_i32 s0, 3
	s_cbranch_scc0 .LBB31_2213
; %bb.2210:
	s_wait_loadcnt 0x0
	global_load_b64 v[8:9], v[32:33], off
	s_mov_b32 s1, 0
	s_branch .LBB31_2214
.LBB31_2211:
                                        ; implicit-def: $vgpr8
	s_branch .LBB31_2220
.LBB31_2212:
	s_mov_b32 s1, -1
                                        ; implicit-def: $vgpr8
	s_branch .LBB31_2217
.LBB31_2213:
	s_mov_b32 s1, -1
                                        ; implicit-def: $vgpr8
.LBB31_2214:
	s_delay_alu instid0(SALU_CYCLE_1)
	s_and_not1_b32 vcc_lo, exec_lo, s1
	s_cbranch_vccnz .LBB31_2216
; %bb.2215:
	s_wait_loadcnt 0x0
	global_load_b32 v8, v[32:33], off
.LBB31_2216:
	s_mov_b32 s1, 0
.LBB31_2217:
	s_delay_alu instid0(SALU_CYCLE_1)
	s_and_not1_b32 vcc_lo, exec_lo, s1
	s_cbranch_vccnz .LBB31_2219
; %bb.2218:
	s_wait_loadcnt 0x0
	global_load_u16 v8, v[32:33], off
.LBB31_2219:
	s_cbranch_execnz .LBB31_2225
.LBB31_2220:
	s_cmp_gt_i32 s0, 0
	s_mov_b32 s0, 0
	s_cbranch_scc0 .LBB31_2222
; %bb.2221:
	s_wait_loadcnt 0x0
	global_load_u8 v8, v[32:33], off
	s_branch .LBB31_2223
.LBB31_2222:
	s_mov_b32 s0, -1
                                        ; implicit-def: $vgpr8
.LBB31_2223:
	s_delay_alu instid0(SALU_CYCLE_1)
	s_and_not1_b32 vcc_lo, exec_lo, s0
	s_cbranch_vccnz .LBB31_2225
; %bb.2224:
	s_wait_loadcnt 0x0
	global_load_u8 v8, v[32:33], off
.LBB31_2225:
.LBB31_2226:
	s_clause 0x1
	s_load_b64 s[0:1], s[2:3], 0x1d8
	s_load_b32 s8, s[2:3], 0x1ec
	v_mov_b32_e32 v13, 0
	s_wait_kmcnt 0x0
	s_delay_alu instid0(VALU_DEP_1) | instskip(SKIP_1) | instid1(SALU_CYCLE_1)
	v_add_nc_u64_e32 v[32:33], s[0:1], v[12:13]
	s_and_b32 s14, s8, 0xff
	s_cmp_lt_i32 s14, 11
	s_cbranch_scc1 .LBB31_2233
; %bb.2227:
	s_and_b32 s8, 0xffff, s14
	s_mov_b32 s15, 0
	s_cmp_gt_i32 s8, 25
	s_cbranch_scc0 .LBB31_2235
; %bb.2228:
	s_cmp_gt_i32 s8, 28
	s_cbranch_scc0 .LBB31_2236
; %bb.2229:
	;; [unrolled: 3-line block ×4, first 2 shown]
	s_cmp_eq_u32 s8, 46
	s_mov_b32 s17, 0
	s_cbranch_scc0 .LBB31_2242
; %bb.2232:
	global_load_b32 v1, v[32:33], off
	s_mov_b32 s9, 0
	s_mov_b32 s16, -1
	s_wait_loadcnt 0x0
	v_lshlrev_b32_e32 v1, 16, v1
	s_delay_alu instid0(VALU_DEP_1) | instskip(NEXT) | instid1(VALU_DEP_1)
	v_trunc_f32_e32 v1, v1
	v_mul_f32_e64 v3, 0x2f800000, |v1|
	s_delay_alu instid0(VALU_DEP_1) | instskip(NEXT) | instid1(VALU_DEP_1)
	v_floor_f32_e32 v3, v3
	v_fma_f32 v3, 0xcf800000, v3, |v1|
	v_ashrrev_i32_e32 v1, 31, v1
	s_delay_alu instid0(VALU_DEP_2) | instskip(NEXT) | instid1(VALU_DEP_1)
	v_cvt_u32_f32_e32 v3, v3
	v_xor_b32_e32 v3, v3, v1
	s_delay_alu instid0(VALU_DEP_1)
	v_sub_nc_u32_e32 v12, v3, v1
	s_branch .LBB31_2244
.LBB31_2233:
	s_mov_b32 s16, 0
                                        ; implicit-def: $vgpr12
	s_cbranch_execnz .LBB31_2305
.LBB31_2234:
	s_and_not1_b32 vcc_lo, exec_lo, s16
	s_cbranch_vccnz .LBB31_4058
	s_branch .LBB31_2352
.LBB31_2235:
	s_mov_b32 s16, 0
	s_mov_b32 s9, 0
                                        ; implicit-def: $vgpr12
	s_cbranch_execnz .LBB31_2271
	s_branch .LBB31_2301
.LBB31_2236:
	s_mov_b32 s17, -1
	s_mov_b32 s16, 0
	s_mov_b32 s9, 0
                                        ; implicit-def: $vgpr12
	s_branch .LBB31_2254
.LBB31_2237:
	s_mov_b32 s17, -1
	s_mov_b32 s16, 0
	s_mov_b32 s9, 0
                                        ; implicit-def: $vgpr12
	s_branch .LBB31_2249
.LBB31_2238:
	s_or_b32 s12, s10, exec_lo
	s_trap 2
	s_cbranch_execz .LBB31_2179
	s_branch .LBB31_2180
.LBB31_2239:
	s_mov_b32 s17, -1
	s_mov_b32 s16, 0
	s_mov_b32 s9, 0
	s_branch .LBB31_2243
.LBB31_2240:
	s_and_not1_saveexec_b32 s10, s10
	s_cbranch_execz .LBB31_1986
.LBB31_2241:
	v_add_f32_e32 v0, 0x42800000, v2
	s_and_not1_b32 s9, s9, exec_lo
	s_delay_alu instid0(VALU_DEP_1) | instskip(NEXT) | instid1(VALU_DEP_1)
	v_and_b32_e32 v0, 0xff, v0
	v_cmp_ne_u32_e32 vcc_lo, 0, v0
	s_and_b32 s11, vcc_lo, exec_lo
	s_delay_alu instid0(SALU_CYCLE_1)
	s_or_b32 s9, s9, s11
	s_or_b32 exec_lo, exec_lo, s10
	v_mov_b32_e32 v3, 0
	s_and_saveexec_b32 s10, s9
	s_cbranch_execnz .LBB31_1987
	s_branch .LBB31_1988
.LBB31_2242:
	s_mov_b32 s9, -1
	s_mov_b32 s16, 0
.LBB31_2243:
                                        ; implicit-def: $vgpr12
.LBB31_2244:
	s_and_b32 vcc_lo, exec_lo, s17
	s_cbranch_vccz .LBB31_2248
; %bb.2245:
	s_cmp_eq_u32 s8, 44
	s_cbranch_scc0 .LBB31_2247
; %bb.2246:
	global_load_u8 v1, v[32:33], off
	s_mov_b32 s9, 0
	s_mov_b32 s16, -1
	s_wait_loadcnt 0x0
	v_lshlrev_b32_e32 v3, 23, v1
	v_cmp_ne_u32_e32 vcc_lo, 0, v1
	s_delay_alu instid0(VALU_DEP_2) | instskip(NEXT) | instid1(VALU_DEP_1)
	v_trunc_f32_e32 v3, v3
	v_mul_f32_e64 v5, 0x2f800000, |v3|
	s_delay_alu instid0(VALU_DEP_1) | instskip(NEXT) | instid1(VALU_DEP_1)
	v_floor_f32_e32 v5, v5
	v_fma_f32 v5, 0xcf800000, v5, |v3|
	v_ashrrev_i32_e32 v3, 31, v3
	s_delay_alu instid0(VALU_DEP_2) | instskip(NEXT) | instid1(VALU_DEP_1)
	v_cvt_u32_f32_e32 v5, v5
	v_xor_b32_e32 v5, v5, v3
	s_delay_alu instid0(VALU_DEP_1) | instskip(NEXT) | instid1(VALU_DEP_1)
	v_sub_nc_u32_e32 v3, v5, v3
	v_cndmask_b32_e32 v12, 0, v3, vcc_lo
	s_branch .LBB31_2248
.LBB31_2247:
	s_mov_b32 s9, -1
                                        ; implicit-def: $vgpr12
.LBB31_2248:
	s_mov_b32 s17, 0
.LBB31_2249:
	s_delay_alu instid0(SALU_CYCLE_1)
	s_and_b32 vcc_lo, exec_lo, s17
	s_cbranch_vccz .LBB31_2253
; %bb.2250:
	s_cmp_eq_u32 s8, 29
	s_cbranch_scc0 .LBB31_2252
; %bb.2251:
	global_load_b64 v[12:13], v[32:33], off
	s_mov_b32 s9, 0
	s_mov_b32 s16, -1
	s_branch .LBB31_2253
.LBB31_2252:
	s_mov_b32 s9, -1
                                        ; implicit-def: $vgpr12
.LBB31_2253:
	s_mov_b32 s17, 0
.LBB31_2254:
	s_delay_alu instid0(SALU_CYCLE_1)
	s_and_b32 vcc_lo, exec_lo, s17
	s_cbranch_vccz .LBB31_2270
; %bb.2255:
	s_cmp_lt_i32 s8, 27
	s_cbranch_scc1 .LBB31_2258
; %bb.2256:
	s_cmp_gt_i32 s8, 27
	s_cbranch_scc0 .LBB31_2259
; %bb.2257:
	s_wait_loadcnt 0x0
	global_load_b32 v12, v[32:33], off
	s_mov_b32 s16, 0
	s_branch .LBB31_2260
.LBB31_2258:
	s_mov_b32 s16, -1
                                        ; implicit-def: $vgpr12
	s_branch .LBB31_2263
.LBB31_2259:
	s_mov_b32 s16, -1
                                        ; implicit-def: $vgpr12
.LBB31_2260:
	s_delay_alu instid0(SALU_CYCLE_1)
	s_and_not1_b32 vcc_lo, exec_lo, s16
	s_cbranch_vccnz .LBB31_2262
; %bb.2261:
	s_wait_loadcnt 0x0
	global_load_u16 v12, v[32:33], off
.LBB31_2262:
	s_mov_b32 s16, 0
.LBB31_2263:
	s_delay_alu instid0(SALU_CYCLE_1)
	s_and_not1_b32 vcc_lo, exec_lo, s16
	s_cbranch_vccnz .LBB31_2269
; %bb.2264:
	global_load_u8 v1, v[32:33], off
	s_mov_b32 s17, 0
	s_mov_b32 s16, exec_lo
	s_wait_loadcnt 0x0
	v_cmpx_lt_i16_e32 0x7f, v1
	s_xor_b32 s16, exec_lo, s16
	s_cbranch_execz .LBB31_2280
; %bb.2265:
	v_cmp_ne_u16_e32 vcc_lo, 0x80, v1
	s_and_b32 s17, vcc_lo, exec_lo
	s_and_not1_saveexec_b32 s16, s16
	s_cbranch_execnz .LBB31_2281
.LBB31_2266:
	s_or_b32 exec_lo, exec_lo, s16
	v_mov_b32_e32 v12, 0
	s_and_saveexec_b32 s16, s17
	s_cbranch_execz .LBB31_2268
.LBB31_2267:
	v_and_b32_e32 v3, 0xffff, v1
	s_delay_alu instid0(VALU_DEP_1) | instskip(SKIP_1) | instid1(VALU_DEP_2)
	v_dual_lshlrev_b32 v1, 24, v1 :: v_dual_bitop2_b32 v5, 7, v3 bitop3:0x40
	v_bfe_u32 v11, v3, 3, 4
	v_and_b32_e32 v1, 0x80000000, v1
	s_delay_alu instid0(VALU_DEP_3) | instskip(NEXT) | instid1(VALU_DEP_3)
	v_clz_i32_u32_e32 v7, v5
	v_cmp_eq_u32_e32 vcc_lo, 0, v11
	s_delay_alu instid0(VALU_DEP_2) | instskip(NEXT) | instid1(VALU_DEP_1)
	v_min_u32_e32 v7, 32, v7
	v_subrev_nc_u32_e32 v9, 28, v7
	v_sub_nc_u32_e32 v7, 29, v7
	s_delay_alu instid0(VALU_DEP_2) | instskip(NEXT) | instid1(VALU_DEP_2)
	v_lshlrev_b32_e32 v3, v9, v3
	v_cndmask_b32_e32 v7, v11, v7, vcc_lo
	s_delay_alu instid0(VALU_DEP_2) | instskip(NEXT) | instid1(VALU_DEP_1)
	v_and_b32_e32 v3, 7, v3
	v_cndmask_b32_e32 v3, v5, v3, vcc_lo
	s_delay_alu instid0(VALU_DEP_3) | instskip(NEXT) | instid1(VALU_DEP_2)
	v_lshl_add_u32 v5, v7, 23, 0x3b800000
	v_lshlrev_b32_e32 v3, 20, v3
	s_delay_alu instid0(VALU_DEP_1) | instskip(NEXT) | instid1(VALU_DEP_1)
	v_or3_b32 v1, v1, v5, v3
	v_trunc_f32_e32 v1, v1
	s_delay_alu instid0(VALU_DEP_1) | instskip(NEXT) | instid1(VALU_DEP_1)
	v_mul_f32_e64 v3, 0x2f800000, |v1|
	v_floor_f32_e32 v3, v3
	s_delay_alu instid0(VALU_DEP_1) | instskip(SKIP_1) | instid1(VALU_DEP_2)
	v_fma_f32 v3, 0xcf800000, v3, |v1|
	v_ashrrev_i32_e32 v1, 31, v1
	v_cvt_u32_f32_e32 v3, v3
	s_delay_alu instid0(VALU_DEP_1) | instskip(NEXT) | instid1(VALU_DEP_1)
	v_xor_b32_e32 v3, v3, v1
	v_sub_nc_u32_e32 v12, v3, v1
.LBB31_2268:
	s_or_b32 exec_lo, exec_lo, s16
.LBB31_2269:
	s_mov_b32 s16, -1
.LBB31_2270:
	s_branch .LBB31_2301
.LBB31_2271:
	s_cmp_gt_i32 s8, 22
	s_cbranch_scc0 .LBB31_2279
; %bb.2272:
	s_cmp_lt_i32 s8, 24
	s_cbranch_scc1 .LBB31_2282
; %bb.2273:
	s_cmp_gt_i32 s8, 24
	s_cbranch_scc0 .LBB31_2283
; %bb.2274:
	global_load_u8 v1, v[32:33], off
	s_mov_b32 s16, 0
	s_mov_b32 s15, exec_lo
	s_wait_loadcnt 0x0
	v_cmpx_lt_i16_e32 0x7f, v1
	s_xor_b32 s15, exec_lo, s15
	s_cbranch_execz .LBB31_2295
; %bb.2275:
	v_cmp_ne_u16_e32 vcc_lo, 0x80, v1
	s_and_b32 s16, vcc_lo, exec_lo
	s_and_not1_saveexec_b32 s15, s15
	s_cbranch_execnz .LBB31_2296
.LBB31_2276:
	s_or_b32 exec_lo, exec_lo, s15
	v_mov_b32_e32 v12, 0
	s_and_saveexec_b32 s15, s16
	s_cbranch_execz .LBB31_2278
.LBB31_2277:
	v_and_b32_e32 v3, 0xffff, v1
	s_delay_alu instid0(VALU_DEP_1) | instskip(SKIP_1) | instid1(VALU_DEP_2)
	v_dual_lshlrev_b32 v1, 24, v1 :: v_dual_bitop2_b32 v5, 3, v3 bitop3:0x40
	v_bfe_u32 v11, v3, 2, 5
	v_and_b32_e32 v1, 0x80000000, v1
	s_delay_alu instid0(VALU_DEP_3) | instskip(NEXT) | instid1(VALU_DEP_3)
	v_clz_i32_u32_e32 v7, v5
	v_cmp_eq_u32_e32 vcc_lo, 0, v11
	s_delay_alu instid0(VALU_DEP_2) | instskip(NEXT) | instid1(VALU_DEP_1)
	v_min_u32_e32 v7, 32, v7
	v_subrev_nc_u32_e32 v9, 29, v7
	v_sub_nc_u32_e32 v7, 30, v7
	s_delay_alu instid0(VALU_DEP_2) | instskip(NEXT) | instid1(VALU_DEP_2)
	v_lshlrev_b32_e32 v3, v9, v3
	v_cndmask_b32_e32 v7, v11, v7, vcc_lo
	s_delay_alu instid0(VALU_DEP_2) | instskip(NEXT) | instid1(VALU_DEP_1)
	v_and_b32_e32 v3, 3, v3
	v_cndmask_b32_e32 v3, v5, v3, vcc_lo
	s_delay_alu instid0(VALU_DEP_3) | instskip(NEXT) | instid1(VALU_DEP_2)
	v_lshl_add_u32 v5, v7, 23, 0x37800000
	v_lshlrev_b32_e32 v3, 21, v3
	s_delay_alu instid0(VALU_DEP_1) | instskip(NEXT) | instid1(VALU_DEP_1)
	v_or3_b32 v1, v1, v5, v3
	v_trunc_f32_e32 v1, v1
	s_delay_alu instid0(VALU_DEP_1) | instskip(NEXT) | instid1(VALU_DEP_1)
	v_mul_f32_e64 v3, 0x2f800000, |v1|
	v_floor_f32_e32 v3, v3
	s_delay_alu instid0(VALU_DEP_1) | instskip(SKIP_1) | instid1(VALU_DEP_2)
	v_fma_f32 v3, 0xcf800000, v3, |v1|
	v_ashrrev_i32_e32 v1, 31, v1
	v_cvt_u32_f32_e32 v3, v3
	s_delay_alu instid0(VALU_DEP_1) | instskip(NEXT) | instid1(VALU_DEP_1)
	v_xor_b32_e32 v3, v3, v1
	v_sub_nc_u32_e32 v12, v3, v1
.LBB31_2278:
	s_or_b32 exec_lo, exec_lo, s15
	s_mov_b32 s15, 0
	s_branch .LBB31_2284
.LBB31_2279:
	s_mov_b32 s15, -1
                                        ; implicit-def: $vgpr12
	s_branch .LBB31_2290
.LBB31_2280:
	s_and_not1_saveexec_b32 s16, s16
	s_cbranch_execz .LBB31_2266
.LBB31_2281:
	v_cmp_ne_u16_e32 vcc_lo, 0, v1
	s_and_not1_b32 s17, s17, exec_lo
	s_and_b32 s18, vcc_lo, exec_lo
	s_delay_alu instid0(SALU_CYCLE_1)
	s_or_b32 s17, s17, s18
	s_or_b32 exec_lo, exec_lo, s16
	v_mov_b32_e32 v12, 0
	s_and_saveexec_b32 s16, s17
	s_cbranch_execnz .LBB31_2267
	s_branch .LBB31_2268
.LBB31_2282:
	s_mov_b32 s15, -1
                                        ; implicit-def: $vgpr12
	s_branch .LBB31_2287
.LBB31_2283:
	s_mov_b32 s15, -1
                                        ; implicit-def: $vgpr12
.LBB31_2284:
	s_delay_alu instid0(SALU_CYCLE_1)
	s_and_b32 vcc_lo, exec_lo, s15
	s_cbranch_vccz .LBB31_2286
; %bb.2285:
	global_load_u8 v1, v[32:33], off
	s_wait_loadcnt 0x0
	v_lshlrev_b32_e32 v1, 24, v1
	s_delay_alu instid0(VALU_DEP_1) | instskip(NEXT) | instid1(VALU_DEP_1)
	v_and_b32_e32 v3, 0x7f000000, v1
	v_clz_i32_u32_e32 v5, v3
	v_add_nc_u32_e32 v9, 0x1000000, v3
	v_cmp_ne_u32_e32 vcc_lo, 0, v3
	s_delay_alu instid0(VALU_DEP_3) | instskip(NEXT) | instid1(VALU_DEP_1)
	v_min_u32_e32 v5, 32, v5
	v_sub_nc_u32_e64 v5, v5, 4 clamp
	s_delay_alu instid0(VALU_DEP_1) | instskip(NEXT) | instid1(VALU_DEP_1)
	v_dual_lshlrev_b32 v7, v5, v3 :: v_dual_lshlrev_b32 v5, 23, v5
	v_lshrrev_b32_e32 v7, 4, v7
	s_delay_alu instid0(VALU_DEP_1) | instskip(SKIP_1) | instid1(VALU_DEP_2)
	v_sub_nc_u32_e32 v5, v7, v5
	v_ashrrev_i32_e32 v7, 8, v9
	v_add_nc_u32_e32 v5, 0x3c000000, v5
	s_delay_alu instid0(VALU_DEP_1) | instskip(NEXT) | instid1(VALU_DEP_1)
	v_and_or_b32 v5, 0x7f800000, v7, v5
	v_cndmask_b32_e32 v3, 0, v5, vcc_lo
	s_delay_alu instid0(VALU_DEP_1) | instskip(NEXT) | instid1(VALU_DEP_1)
	v_and_or_b32 v1, 0x80000000, v1, v3
	v_trunc_f32_e32 v1, v1
	s_delay_alu instid0(VALU_DEP_1) | instskip(NEXT) | instid1(VALU_DEP_1)
	v_mul_f32_e64 v3, 0x2f800000, |v1|
	v_floor_f32_e32 v3, v3
	s_delay_alu instid0(VALU_DEP_1) | instskip(SKIP_1) | instid1(VALU_DEP_2)
	v_fma_f32 v3, 0xcf800000, v3, |v1|
	v_ashrrev_i32_e32 v1, 31, v1
	v_cvt_u32_f32_e32 v3, v3
	s_delay_alu instid0(VALU_DEP_1) | instskip(NEXT) | instid1(VALU_DEP_1)
	v_xor_b32_e32 v3, v3, v1
	v_sub_nc_u32_e32 v12, v3, v1
.LBB31_2286:
	s_mov_b32 s15, 0
.LBB31_2287:
	s_delay_alu instid0(SALU_CYCLE_1)
	s_and_not1_b32 vcc_lo, exec_lo, s15
	s_cbranch_vccnz .LBB31_2289
; %bb.2288:
	global_load_u8 v1, v[32:33], off
	s_wait_loadcnt 0x0
	v_lshlrev_b32_e32 v3, 25, v1
	v_lshlrev_b16 v1, 8, v1
	s_delay_alu instid0(VALU_DEP_1) | instskip(SKIP_1) | instid1(VALU_DEP_2)
	v_and_or_b32 v7, 0x7f00, v1, 0.5
	v_bfe_i32 v1, v1, 0, 16
	v_add_f32_e32 v7, -0.5, v7
	v_lshrrev_b32_e32 v5, 4, v3
	v_cmp_gt_u32_e32 vcc_lo, 0x8000000, v3
	s_delay_alu instid0(VALU_DEP_2) | instskip(NEXT) | instid1(VALU_DEP_1)
	v_or_b32_e32 v5, 0x70000000, v5
	v_mul_f32_e32 v5, 0x7800000, v5
	s_delay_alu instid0(VALU_DEP_1) | instskip(NEXT) | instid1(VALU_DEP_1)
	v_cndmask_b32_e32 v3, v5, v7, vcc_lo
	v_and_or_b32 v1, 0x80000000, v1, v3
	s_delay_alu instid0(VALU_DEP_1) | instskip(NEXT) | instid1(VALU_DEP_1)
	v_trunc_f32_e32 v1, v1
	v_mul_f32_e64 v3, 0x2f800000, |v1|
	s_delay_alu instid0(VALU_DEP_1) | instskip(NEXT) | instid1(VALU_DEP_1)
	v_floor_f32_e32 v3, v3
	v_fma_f32 v3, 0xcf800000, v3, |v1|
	v_ashrrev_i32_e32 v1, 31, v1
	s_delay_alu instid0(VALU_DEP_2) | instskip(NEXT) | instid1(VALU_DEP_1)
	v_cvt_u32_f32_e32 v3, v3
	v_xor_b32_e32 v3, v3, v1
	s_delay_alu instid0(VALU_DEP_1)
	v_sub_nc_u32_e32 v12, v3, v1
.LBB31_2289:
	s_mov_b32 s15, 0
	s_mov_b32 s16, -1
.LBB31_2290:
	s_and_not1_b32 vcc_lo, exec_lo, s15
	s_mov_b32 s15, 0
	s_cbranch_vccnz .LBB31_2301
; %bb.2291:
	s_cmp_gt_i32 s8, 14
	s_cbranch_scc0 .LBB31_2294
; %bb.2292:
	s_cmp_eq_u32 s8, 15
	s_cbranch_scc0 .LBB31_2297
; %bb.2293:
	global_load_u16 v1, v[32:33], off
	s_mov_b32 s9, 0
	s_mov_b32 s16, -1
	s_wait_loadcnt 0x0
	v_lshlrev_b32_e32 v1, 16, v1
	s_delay_alu instid0(VALU_DEP_1) | instskip(NEXT) | instid1(VALU_DEP_1)
	v_trunc_f32_e32 v1, v1
	v_mul_f32_e64 v3, 0x2f800000, |v1|
	s_delay_alu instid0(VALU_DEP_1) | instskip(NEXT) | instid1(VALU_DEP_1)
	v_floor_f32_e32 v3, v3
	v_fma_f32 v3, 0xcf800000, v3, |v1|
	v_ashrrev_i32_e32 v1, 31, v1
	s_delay_alu instid0(VALU_DEP_2) | instskip(NEXT) | instid1(VALU_DEP_1)
	v_cvt_u32_f32_e32 v3, v3
	v_xor_b32_e32 v3, v3, v1
	s_delay_alu instid0(VALU_DEP_1)
	v_sub_nc_u32_e32 v12, v3, v1
	s_branch .LBB31_2299
.LBB31_2294:
	s_mov_b32 s15, -1
	s_branch .LBB31_2298
.LBB31_2295:
	s_and_not1_saveexec_b32 s15, s15
	s_cbranch_execz .LBB31_2276
.LBB31_2296:
	v_cmp_ne_u16_e32 vcc_lo, 0, v1
	s_and_not1_b32 s16, s16, exec_lo
	s_and_b32 s17, vcc_lo, exec_lo
	s_delay_alu instid0(SALU_CYCLE_1)
	s_or_b32 s16, s16, s17
	s_or_b32 exec_lo, exec_lo, s15
	v_mov_b32_e32 v12, 0
	s_and_saveexec_b32 s15, s16
	s_cbranch_execnz .LBB31_2277
	s_branch .LBB31_2278
.LBB31_2297:
	s_mov_b32 s9, -1
.LBB31_2298:
                                        ; implicit-def: $vgpr12
.LBB31_2299:
	s_and_b32 vcc_lo, exec_lo, s15
	s_mov_b32 s15, 0
	s_cbranch_vccz .LBB31_2301
; %bb.2300:
	s_cmp_lg_u32 s8, 11
	s_mov_b32 s15, -1
	s_cselect_b32 s9, -1, 0
.LBB31_2301:
	s_delay_alu instid0(SALU_CYCLE_1)
	s_and_b32 vcc_lo, exec_lo, s9
	s_cbranch_vccnz .LBB31_2364
; %bb.2302:
	s_and_not1_b32 vcc_lo, exec_lo, s15
	s_cbranch_vccnz .LBB31_2304
.LBB31_2303:
	global_load_u8 v1, v[32:33], off
	s_mov_b32 s16, -1
	s_wait_loadcnt 0x0
	v_cmp_ne_u16_e32 vcc_lo, 0, v1
	v_cndmask_b32_e64 v12, 0, 1, vcc_lo
.LBB31_2304:
	s_branch .LBB31_2234
.LBB31_2305:
	s_and_b32 s8, 0xffff, s14
	s_delay_alu instid0(SALU_CYCLE_1)
	s_cmp_lt_i32 s8, 5
	s_cbranch_scc1 .LBB31_2310
; %bb.2306:
	s_cmp_lt_i32 s8, 8
	s_cbranch_scc1 .LBB31_2311
; %bb.2307:
	;; [unrolled: 3-line block ×3, first 2 shown]
	s_cmp_gt_i32 s8, 9
	s_cbranch_scc0 .LBB31_2313
; %bb.2309:
	s_wait_loadcnt 0x0
	global_load_b64 v[12:13], v[32:33], off
	s_mov_b32 s9, 0
	s_wait_loadcnt 0x0
	v_trunc_f64_e32 v[12:13], v[12:13]
	s_delay_alu instid0(VALU_DEP_1) | instskip(NEXT) | instid1(VALU_DEP_1)
	v_ldexp_f64 v[34:35], v[12:13], 0xffffffe0
	v_floor_f64_e32 v[34:35], v[34:35]
	s_delay_alu instid0(VALU_DEP_1) | instskip(NEXT) | instid1(VALU_DEP_1)
	v_fmamk_f64 v[12:13], v[34:35], 0xc1f00000, v[12:13]
	v_cvt_u32_f64_e32 v12, v[12:13]
	s_branch .LBB31_2314
.LBB31_2310:
                                        ; implicit-def: $vgpr12
	s_branch .LBB31_2332
.LBB31_2311:
	s_mov_b32 s9, -1
                                        ; implicit-def: $vgpr12
	s_branch .LBB31_2320
.LBB31_2312:
	s_mov_b32 s9, -1
                                        ; implicit-def: $vgpr12
	s_branch .LBB31_2317
.LBB31_2313:
	s_mov_b32 s9, -1
                                        ; implicit-def: $vgpr12
.LBB31_2314:
	s_delay_alu instid0(SALU_CYCLE_1)
	s_and_not1_b32 vcc_lo, exec_lo, s9
	s_cbranch_vccnz .LBB31_2316
; %bb.2315:
	global_load_b32 v1, v[32:33], off
	s_wait_loadcnt 0x0
	v_trunc_f32_e32 v1, v1
	s_delay_alu instid0(VALU_DEP_1) | instskip(NEXT) | instid1(VALU_DEP_1)
	v_mul_f32_e64 v3, 0x2f800000, |v1|
	v_floor_f32_e32 v3, v3
	s_delay_alu instid0(VALU_DEP_1) | instskip(SKIP_1) | instid1(VALU_DEP_2)
	v_fma_f32 v3, 0xcf800000, v3, |v1|
	v_ashrrev_i32_e32 v1, 31, v1
	v_cvt_u32_f32_e32 v3, v3
	s_delay_alu instid0(VALU_DEP_1) | instskip(NEXT) | instid1(VALU_DEP_1)
	v_xor_b32_e32 v3, v3, v1
	v_sub_nc_u32_e32 v12, v3, v1
.LBB31_2316:
	s_mov_b32 s9, 0
.LBB31_2317:
	s_delay_alu instid0(SALU_CYCLE_1)
	s_and_not1_b32 vcc_lo, exec_lo, s9
	s_cbranch_vccnz .LBB31_2319
; %bb.2318:
	global_load_b32 v1, v[32:33], off
	s_wait_loadcnt 0x0
	v_cvt_f32_f16_e32 v1, v1
	s_delay_alu instid0(VALU_DEP_1)
	v_cvt_i32_f32_e32 v12, v1
.LBB31_2319:
	s_mov_b32 s9, 0
.LBB31_2320:
	s_delay_alu instid0(SALU_CYCLE_1)
	s_and_not1_b32 vcc_lo, exec_lo, s9
	s_cbranch_vccnz .LBB31_2331
; %bb.2321:
	s_cmp_lt_i32 s8, 6
	s_cbranch_scc1 .LBB31_2324
; %bb.2322:
	s_cmp_gt_i32 s8, 6
	s_cbranch_scc0 .LBB31_2325
; %bb.2323:
	s_wait_loadcnt 0x0
	global_load_b64 v[12:13], v[32:33], off
	s_mov_b32 s9, 0
	s_wait_loadcnt 0x0
	v_trunc_f64_e32 v[12:13], v[12:13]
	s_delay_alu instid0(VALU_DEP_1) | instskip(NEXT) | instid1(VALU_DEP_1)
	v_ldexp_f64 v[34:35], v[12:13], 0xffffffe0
	v_floor_f64_e32 v[34:35], v[34:35]
	s_delay_alu instid0(VALU_DEP_1) | instskip(NEXT) | instid1(VALU_DEP_1)
	v_fmamk_f64 v[12:13], v[34:35], 0xc1f00000, v[12:13]
	v_cvt_u32_f64_e32 v12, v[12:13]
	s_branch .LBB31_2326
.LBB31_2324:
	s_mov_b32 s9, -1
                                        ; implicit-def: $vgpr12
	s_branch .LBB31_2329
.LBB31_2325:
	s_mov_b32 s9, -1
                                        ; implicit-def: $vgpr12
.LBB31_2326:
	s_delay_alu instid0(SALU_CYCLE_1)
	s_and_not1_b32 vcc_lo, exec_lo, s9
	s_cbranch_vccnz .LBB31_2328
; %bb.2327:
	global_load_b32 v1, v[32:33], off
	s_wait_loadcnt 0x0
	v_trunc_f32_e32 v1, v1
	s_delay_alu instid0(VALU_DEP_1) | instskip(NEXT) | instid1(VALU_DEP_1)
	v_mul_f32_e64 v3, 0x2f800000, |v1|
	v_floor_f32_e32 v3, v3
	s_delay_alu instid0(VALU_DEP_1) | instskip(SKIP_1) | instid1(VALU_DEP_2)
	v_fma_f32 v3, 0xcf800000, v3, |v1|
	v_ashrrev_i32_e32 v1, 31, v1
	v_cvt_u32_f32_e32 v3, v3
	s_delay_alu instid0(VALU_DEP_1) | instskip(NEXT) | instid1(VALU_DEP_1)
	v_xor_b32_e32 v3, v3, v1
	v_sub_nc_u32_e32 v12, v3, v1
.LBB31_2328:
	s_mov_b32 s9, 0
.LBB31_2329:
	s_delay_alu instid0(SALU_CYCLE_1)
	s_and_not1_b32 vcc_lo, exec_lo, s9
	s_cbranch_vccnz .LBB31_2331
; %bb.2330:
	global_load_u16 v1, v[32:33], off
	s_wait_loadcnt 0x0
	v_cvt_f32_f16_e32 v1, v1
	s_delay_alu instid0(VALU_DEP_1)
	v_cvt_i32_f32_e32 v12, v1
.LBB31_2331:
	s_cbranch_execnz .LBB31_2351
.LBB31_2332:
	s_cmp_lt_i32 s8, 2
	s_cbranch_scc1 .LBB31_2336
; %bb.2333:
	s_cmp_lt_i32 s8, 3
	s_cbranch_scc1 .LBB31_2337
; %bb.2334:
	s_cmp_gt_i32 s8, 3
	s_cbranch_scc0 .LBB31_2338
; %bb.2335:
	s_wait_loadcnt 0x0
	global_load_b64 v[12:13], v[32:33], off
	s_mov_b32 s9, 0
	s_branch .LBB31_2339
.LBB31_2336:
	s_mov_b32 s9, -1
                                        ; implicit-def: $vgpr12
	s_branch .LBB31_2345
.LBB31_2337:
	s_mov_b32 s9, -1
                                        ; implicit-def: $vgpr12
	s_branch .LBB31_2342
.LBB31_2338:
	s_mov_b32 s9, -1
                                        ; implicit-def: $vgpr12
.LBB31_2339:
	s_delay_alu instid0(SALU_CYCLE_1)
	s_and_not1_b32 vcc_lo, exec_lo, s9
	s_cbranch_vccnz .LBB31_2341
; %bb.2340:
	s_wait_loadcnt 0x0
	global_load_b32 v12, v[32:33], off
.LBB31_2341:
	s_mov_b32 s9, 0
.LBB31_2342:
	s_delay_alu instid0(SALU_CYCLE_1)
	s_and_not1_b32 vcc_lo, exec_lo, s9
	s_cbranch_vccnz .LBB31_2344
; %bb.2343:
	s_wait_loadcnt 0x0
	global_load_u16 v12, v[32:33], off
.LBB31_2344:
	s_mov_b32 s9, 0
.LBB31_2345:
	s_delay_alu instid0(SALU_CYCLE_1)
	s_and_not1_b32 vcc_lo, exec_lo, s9
	s_cbranch_vccnz .LBB31_2351
; %bb.2346:
	s_cmp_gt_i32 s8, 0
	s_mov_b32 s8, 0
	s_cbranch_scc0 .LBB31_2348
; %bb.2347:
	s_wait_loadcnt 0x0
	global_load_u8 v12, v[32:33], off
	s_branch .LBB31_2349
.LBB31_2348:
	s_mov_b32 s8, -1
                                        ; implicit-def: $vgpr12
.LBB31_2349:
	s_delay_alu instid0(SALU_CYCLE_1)
	s_and_not1_b32 vcc_lo, exec_lo, s8
	s_cbranch_vccnz .LBB31_2351
; %bb.2350:
	s_wait_loadcnt 0x0
	global_load_u8 v12, v[32:33], off
.LBB31_2351:
.LBB31_2352:
	v_mov_b32_e32 v17, 0
	s_load_b64 s[8:9], s[2:3], 0x1e0
	global_load_u8 v1, v17, s[2:3] offset:493
	s_wait_kmcnt 0x0
	v_add_nc_u64_e32 v[32:33], s[8:9], v[16:17]
	s_wait_loadcnt 0x0
	v_and_b32_e32 v3, 0xffff, v1
	v_readfirstlane_b32 s15, v1
	s_delay_alu instid0(VALU_DEP_2)
	v_cmp_gt_i32_e32 vcc_lo, 11, v3
	s_cbranch_vccnz .LBB31_2359
; %bb.2353:
	s_and_b32 s16, 0xffff, s15
	s_mov_b32 s18, 0
	s_cmp_gt_i32 s16, 25
	s_cbranch_scc0 .LBB31_2361
; %bb.2354:
	s_cmp_gt_i32 s16, 28
	s_cbranch_scc0 .LBB31_2362
; %bb.2355:
	;; [unrolled: 3-line block ×4, first 2 shown]
	s_cmp_eq_u32 s16, 46
	s_mov_b32 s20, 0
	s_cbranch_scc0 .LBB31_2366
; %bb.2358:
	global_load_b32 v1, v[32:33], off
	s_mov_b32 s17, 0
	s_mov_b32 s19, -1
	s_wait_loadcnt 0x0
	v_lshlrev_b32_e32 v1, 16, v1
	s_delay_alu instid0(VALU_DEP_1) | instskip(NEXT) | instid1(VALU_DEP_1)
	v_trunc_f32_e32 v1, v1
	v_mul_f32_e64 v3, 0x2f800000, |v1|
	s_delay_alu instid0(VALU_DEP_1) | instskip(NEXT) | instid1(VALU_DEP_1)
	v_floor_f32_e32 v3, v3
	v_fma_f32 v3, 0xcf800000, v3, |v1|
	v_ashrrev_i32_e32 v1, 31, v1
	s_delay_alu instid0(VALU_DEP_2) | instskip(NEXT) | instid1(VALU_DEP_1)
	v_cvt_u32_f32_e32 v3, v3
	v_xor_b32_e32 v3, v3, v1
	s_delay_alu instid0(VALU_DEP_1)
	v_sub_nc_u32_e32 v16, v3, v1
	s_branch .LBB31_2368
.LBB31_2359:
	s_mov_b32 s19, 0
                                        ; implicit-def: $vgpr16
	s_cbranch_execnz .LBB31_2430
.LBB31_2360:
	s_and_not1_b32 vcc_lo, exec_lo, s19
	s_cbranch_vccnz .LBB31_4058
	s_branch .LBB31_2478
.LBB31_2361:
	s_mov_b32 s20, -1
	s_mov_b32 s19, 0
	s_mov_b32 s17, 0
                                        ; implicit-def: $vgpr16
	s_branch .LBB31_2395
.LBB31_2362:
	s_mov_b32 s20, -1
	s_mov_b32 s19, 0
	s_mov_b32 s17, 0
                                        ; implicit-def: $vgpr16
	s_branch .LBB31_2378
.LBB31_2363:
	s_mov_b32 s20, -1
	s_mov_b32 s19, 0
	s_mov_b32 s17, 0
                                        ; implicit-def: $vgpr16
	s_branch .LBB31_2373
.LBB31_2364:
	s_or_b32 s12, s12, exec_lo
	s_trap 2
	s_cbranch_execz .LBB31_2303
	s_branch .LBB31_2304
.LBB31_2365:
	s_mov_b32 s20, -1
	s_mov_b32 s19, 0
	s_mov_b32 s17, 0
	s_branch .LBB31_2367
.LBB31_2366:
	s_mov_b32 s17, -1
	s_mov_b32 s19, 0
.LBB31_2367:
                                        ; implicit-def: $vgpr16
.LBB31_2368:
	s_and_b32 vcc_lo, exec_lo, s20
	s_cbranch_vccz .LBB31_2372
; %bb.2369:
	s_cmp_eq_u32 s16, 44
	s_cbranch_scc0 .LBB31_2371
; %bb.2370:
	global_load_u8 v1, v[32:33], off
	s_mov_b32 s17, 0
	s_mov_b32 s19, -1
	s_wait_loadcnt 0x0
	v_lshlrev_b32_e32 v3, 23, v1
	v_cmp_ne_u32_e32 vcc_lo, 0, v1
	s_delay_alu instid0(VALU_DEP_2) | instskip(NEXT) | instid1(VALU_DEP_1)
	v_trunc_f32_e32 v3, v3
	v_mul_f32_e64 v5, 0x2f800000, |v3|
	s_delay_alu instid0(VALU_DEP_1) | instskip(NEXT) | instid1(VALU_DEP_1)
	v_floor_f32_e32 v5, v5
	v_fma_f32 v5, 0xcf800000, v5, |v3|
	v_ashrrev_i32_e32 v3, 31, v3
	s_delay_alu instid0(VALU_DEP_2) | instskip(NEXT) | instid1(VALU_DEP_1)
	v_cvt_u32_f32_e32 v5, v5
	v_xor_b32_e32 v5, v5, v3
	s_delay_alu instid0(VALU_DEP_1) | instskip(NEXT) | instid1(VALU_DEP_1)
	v_sub_nc_u32_e32 v3, v5, v3
	v_cndmask_b32_e32 v16, 0, v3, vcc_lo
	s_branch .LBB31_2372
.LBB31_2371:
	s_mov_b32 s17, -1
                                        ; implicit-def: $vgpr16
.LBB31_2372:
	s_mov_b32 s20, 0
.LBB31_2373:
	s_delay_alu instid0(SALU_CYCLE_1)
	s_and_b32 vcc_lo, exec_lo, s20
	s_cbranch_vccz .LBB31_2377
; %bb.2374:
	s_cmp_eq_u32 s16, 29
	s_cbranch_scc0 .LBB31_2376
; %bb.2375:
	global_load_b64 v[16:17], v[32:33], off
	s_mov_b32 s17, 0
	s_mov_b32 s19, -1
	s_branch .LBB31_2377
.LBB31_2376:
	s_mov_b32 s17, -1
                                        ; implicit-def: $vgpr16
.LBB31_2377:
	s_mov_b32 s20, 0
.LBB31_2378:
	s_delay_alu instid0(SALU_CYCLE_1)
	s_and_b32 vcc_lo, exec_lo, s20
	s_cbranch_vccz .LBB31_2394
; %bb.2379:
	s_cmp_lt_i32 s16, 27
	s_cbranch_scc1 .LBB31_2382
; %bb.2380:
	s_cmp_gt_i32 s16, 27
	s_cbranch_scc0 .LBB31_2383
; %bb.2381:
	s_wait_loadcnt 0x0
	global_load_b32 v16, v[32:33], off
	s_mov_b32 s19, 0
	s_branch .LBB31_2384
.LBB31_2382:
	s_mov_b32 s19, -1
                                        ; implicit-def: $vgpr16
	s_branch .LBB31_2387
.LBB31_2383:
	s_mov_b32 s19, -1
                                        ; implicit-def: $vgpr16
.LBB31_2384:
	s_delay_alu instid0(SALU_CYCLE_1)
	s_and_not1_b32 vcc_lo, exec_lo, s19
	s_cbranch_vccnz .LBB31_2386
; %bb.2385:
	s_wait_loadcnt 0x0
	global_load_u16 v16, v[32:33], off
.LBB31_2386:
	s_mov_b32 s19, 0
.LBB31_2387:
	s_delay_alu instid0(SALU_CYCLE_1)
	s_and_not1_b32 vcc_lo, exec_lo, s19
	s_cbranch_vccnz .LBB31_2393
; %bb.2388:
	global_load_u8 v1, v[32:33], off
	s_mov_b32 s20, 0
	s_mov_b32 s19, exec_lo
	s_wait_loadcnt 0x0
	v_cmpx_lt_i16_e32 0x7f, v1
	s_xor_b32 s19, exec_lo, s19
	s_cbranch_execz .LBB31_2405
; %bb.2389:
	v_cmp_ne_u16_e32 vcc_lo, 0x80, v1
	s_and_b32 s20, vcc_lo, exec_lo
	s_and_not1_saveexec_b32 s19, s19
	s_cbranch_execnz .LBB31_2406
.LBB31_2390:
	s_or_b32 exec_lo, exec_lo, s19
	v_mov_b32_e32 v16, 0
	s_and_saveexec_b32 s19, s20
	s_cbranch_execz .LBB31_2392
.LBB31_2391:
	v_and_b32_e32 v3, 0xffff, v1
	s_delay_alu instid0(VALU_DEP_1) | instskip(SKIP_1) | instid1(VALU_DEP_2)
	v_dual_lshlrev_b32 v1, 24, v1 :: v_dual_bitop2_b32 v5, 7, v3 bitop3:0x40
	v_bfe_u32 v11, v3, 3, 4
	v_and_b32_e32 v1, 0x80000000, v1
	s_delay_alu instid0(VALU_DEP_3) | instskip(NEXT) | instid1(VALU_DEP_3)
	v_clz_i32_u32_e32 v7, v5
	v_cmp_eq_u32_e32 vcc_lo, 0, v11
	s_delay_alu instid0(VALU_DEP_2) | instskip(NEXT) | instid1(VALU_DEP_1)
	v_min_u32_e32 v7, 32, v7
	v_subrev_nc_u32_e32 v9, 28, v7
	v_sub_nc_u32_e32 v7, 29, v7
	s_delay_alu instid0(VALU_DEP_2) | instskip(NEXT) | instid1(VALU_DEP_2)
	v_lshlrev_b32_e32 v3, v9, v3
	v_cndmask_b32_e32 v7, v11, v7, vcc_lo
	s_delay_alu instid0(VALU_DEP_2) | instskip(NEXT) | instid1(VALU_DEP_1)
	v_and_b32_e32 v3, 7, v3
	v_cndmask_b32_e32 v3, v5, v3, vcc_lo
	s_delay_alu instid0(VALU_DEP_3) | instskip(NEXT) | instid1(VALU_DEP_2)
	v_lshl_add_u32 v5, v7, 23, 0x3b800000
	v_lshlrev_b32_e32 v3, 20, v3
	s_delay_alu instid0(VALU_DEP_1) | instskip(NEXT) | instid1(VALU_DEP_1)
	v_or3_b32 v1, v1, v5, v3
	v_trunc_f32_e32 v1, v1
	s_delay_alu instid0(VALU_DEP_1) | instskip(NEXT) | instid1(VALU_DEP_1)
	v_mul_f32_e64 v3, 0x2f800000, |v1|
	v_floor_f32_e32 v3, v3
	s_delay_alu instid0(VALU_DEP_1) | instskip(SKIP_1) | instid1(VALU_DEP_2)
	v_fma_f32 v3, 0xcf800000, v3, |v1|
	v_ashrrev_i32_e32 v1, 31, v1
	v_cvt_u32_f32_e32 v3, v3
	s_delay_alu instid0(VALU_DEP_1) | instskip(NEXT) | instid1(VALU_DEP_1)
	v_xor_b32_e32 v3, v3, v1
	v_sub_nc_u32_e32 v16, v3, v1
.LBB31_2392:
	s_or_b32 exec_lo, exec_lo, s19
.LBB31_2393:
	s_mov_b32 s19, -1
.LBB31_2394:
	s_mov_b32 s20, 0
.LBB31_2395:
	s_delay_alu instid0(SALU_CYCLE_1)
	s_and_b32 vcc_lo, exec_lo, s20
	s_cbranch_vccz .LBB31_2426
; %bb.2396:
	s_cmp_gt_i32 s16, 22
	s_cbranch_scc0 .LBB31_2404
; %bb.2397:
	s_cmp_lt_i32 s16, 24
	s_cbranch_scc1 .LBB31_2407
; %bb.2398:
	s_cmp_gt_i32 s16, 24
	s_cbranch_scc0 .LBB31_2408
; %bb.2399:
	global_load_u8 v1, v[32:33], off
	s_mov_b32 s19, 0
	s_mov_b32 s18, exec_lo
	s_wait_loadcnt 0x0
	v_cmpx_lt_i16_e32 0x7f, v1
	s_xor_b32 s18, exec_lo, s18
	s_cbranch_execz .LBB31_2420
; %bb.2400:
	v_cmp_ne_u16_e32 vcc_lo, 0x80, v1
	s_and_b32 s19, vcc_lo, exec_lo
	s_and_not1_saveexec_b32 s18, s18
	s_cbranch_execnz .LBB31_2421
.LBB31_2401:
	s_or_b32 exec_lo, exec_lo, s18
	v_mov_b32_e32 v16, 0
	s_and_saveexec_b32 s18, s19
	s_cbranch_execz .LBB31_2403
.LBB31_2402:
	v_and_b32_e32 v3, 0xffff, v1
	s_delay_alu instid0(VALU_DEP_1) | instskip(SKIP_1) | instid1(VALU_DEP_2)
	v_dual_lshlrev_b32 v1, 24, v1 :: v_dual_bitop2_b32 v5, 3, v3 bitop3:0x40
	v_bfe_u32 v11, v3, 2, 5
	v_and_b32_e32 v1, 0x80000000, v1
	s_delay_alu instid0(VALU_DEP_3) | instskip(NEXT) | instid1(VALU_DEP_3)
	v_clz_i32_u32_e32 v7, v5
	v_cmp_eq_u32_e32 vcc_lo, 0, v11
	s_delay_alu instid0(VALU_DEP_2) | instskip(NEXT) | instid1(VALU_DEP_1)
	v_min_u32_e32 v7, 32, v7
	v_subrev_nc_u32_e32 v9, 29, v7
	v_sub_nc_u32_e32 v7, 30, v7
	s_delay_alu instid0(VALU_DEP_2) | instskip(NEXT) | instid1(VALU_DEP_2)
	v_lshlrev_b32_e32 v3, v9, v3
	v_cndmask_b32_e32 v7, v11, v7, vcc_lo
	s_delay_alu instid0(VALU_DEP_2) | instskip(NEXT) | instid1(VALU_DEP_1)
	v_and_b32_e32 v3, 3, v3
	v_cndmask_b32_e32 v3, v5, v3, vcc_lo
	s_delay_alu instid0(VALU_DEP_3) | instskip(NEXT) | instid1(VALU_DEP_2)
	v_lshl_add_u32 v5, v7, 23, 0x37800000
	v_lshlrev_b32_e32 v3, 21, v3
	s_delay_alu instid0(VALU_DEP_1) | instskip(NEXT) | instid1(VALU_DEP_1)
	v_or3_b32 v1, v1, v5, v3
	v_trunc_f32_e32 v1, v1
	s_delay_alu instid0(VALU_DEP_1) | instskip(NEXT) | instid1(VALU_DEP_1)
	v_mul_f32_e64 v3, 0x2f800000, |v1|
	v_floor_f32_e32 v3, v3
	s_delay_alu instid0(VALU_DEP_1) | instskip(SKIP_1) | instid1(VALU_DEP_2)
	v_fma_f32 v3, 0xcf800000, v3, |v1|
	v_ashrrev_i32_e32 v1, 31, v1
	v_cvt_u32_f32_e32 v3, v3
	s_delay_alu instid0(VALU_DEP_1) | instskip(NEXT) | instid1(VALU_DEP_1)
	v_xor_b32_e32 v3, v3, v1
	v_sub_nc_u32_e32 v16, v3, v1
.LBB31_2403:
	s_or_b32 exec_lo, exec_lo, s18
	s_mov_b32 s18, 0
	s_branch .LBB31_2409
.LBB31_2404:
	s_mov_b32 s18, -1
                                        ; implicit-def: $vgpr16
	s_branch .LBB31_2415
.LBB31_2405:
	s_and_not1_saveexec_b32 s19, s19
	s_cbranch_execz .LBB31_2390
.LBB31_2406:
	v_cmp_ne_u16_e32 vcc_lo, 0, v1
	s_and_not1_b32 s20, s20, exec_lo
	s_and_b32 s21, vcc_lo, exec_lo
	s_delay_alu instid0(SALU_CYCLE_1)
	s_or_b32 s20, s20, s21
	s_or_b32 exec_lo, exec_lo, s19
	v_mov_b32_e32 v16, 0
	s_and_saveexec_b32 s19, s20
	s_cbranch_execnz .LBB31_2391
	s_branch .LBB31_2392
.LBB31_2407:
	s_mov_b32 s18, -1
                                        ; implicit-def: $vgpr16
	s_branch .LBB31_2412
.LBB31_2408:
	s_mov_b32 s18, -1
                                        ; implicit-def: $vgpr16
.LBB31_2409:
	s_delay_alu instid0(SALU_CYCLE_1)
	s_and_b32 vcc_lo, exec_lo, s18
	s_cbranch_vccz .LBB31_2411
; %bb.2410:
	global_load_u8 v1, v[32:33], off
	s_wait_loadcnt 0x0
	v_lshlrev_b32_e32 v1, 24, v1
	s_delay_alu instid0(VALU_DEP_1) | instskip(NEXT) | instid1(VALU_DEP_1)
	v_and_b32_e32 v3, 0x7f000000, v1
	v_clz_i32_u32_e32 v5, v3
	v_add_nc_u32_e32 v9, 0x1000000, v3
	v_cmp_ne_u32_e32 vcc_lo, 0, v3
	s_delay_alu instid0(VALU_DEP_3) | instskip(NEXT) | instid1(VALU_DEP_1)
	v_min_u32_e32 v5, 32, v5
	v_sub_nc_u32_e64 v5, v5, 4 clamp
	s_delay_alu instid0(VALU_DEP_1) | instskip(NEXT) | instid1(VALU_DEP_1)
	v_dual_lshlrev_b32 v7, v5, v3 :: v_dual_lshlrev_b32 v5, 23, v5
	v_lshrrev_b32_e32 v7, 4, v7
	s_delay_alu instid0(VALU_DEP_1) | instskip(SKIP_1) | instid1(VALU_DEP_2)
	v_sub_nc_u32_e32 v5, v7, v5
	v_ashrrev_i32_e32 v7, 8, v9
	v_add_nc_u32_e32 v5, 0x3c000000, v5
	s_delay_alu instid0(VALU_DEP_1) | instskip(NEXT) | instid1(VALU_DEP_1)
	v_and_or_b32 v5, 0x7f800000, v7, v5
	v_cndmask_b32_e32 v3, 0, v5, vcc_lo
	s_delay_alu instid0(VALU_DEP_1) | instskip(NEXT) | instid1(VALU_DEP_1)
	v_and_or_b32 v1, 0x80000000, v1, v3
	v_trunc_f32_e32 v1, v1
	s_delay_alu instid0(VALU_DEP_1) | instskip(NEXT) | instid1(VALU_DEP_1)
	v_mul_f32_e64 v3, 0x2f800000, |v1|
	v_floor_f32_e32 v3, v3
	s_delay_alu instid0(VALU_DEP_1) | instskip(SKIP_1) | instid1(VALU_DEP_2)
	v_fma_f32 v3, 0xcf800000, v3, |v1|
	v_ashrrev_i32_e32 v1, 31, v1
	v_cvt_u32_f32_e32 v3, v3
	s_delay_alu instid0(VALU_DEP_1) | instskip(NEXT) | instid1(VALU_DEP_1)
	v_xor_b32_e32 v3, v3, v1
	v_sub_nc_u32_e32 v16, v3, v1
.LBB31_2411:
	s_mov_b32 s18, 0
.LBB31_2412:
	s_delay_alu instid0(SALU_CYCLE_1)
	s_and_not1_b32 vcc_lo, exec_lo, s18
	s_cbranch_vccnz .LBB31_2414
; %bb.2413:
	global_load_u8 v1, v[32:33], off
	s_wait_loadcnt 0x0
	v_lshlrev_b32_e32 v3, 25, v1
	v_lshlrev_b16 v1, 8, v1
	s_delay_alu instid0(VALU_DEP_1) | instskip(SKIP_1) | instid1(VALU_DEP_2)
	v_and_or_b32 v7, 0x7f00, v1, 0.5
	v_bfe_i32 v1, v1, 0, 16
	v_add_f32_e32 v7, -0.5, v7
	v_lshrrev_b32_e32 v5, 4, v3
	v_cmp_gt_u32_e32 vcc_lo, 0x8000000, v3
	s_delay_alu instid0(VALU_DEP_2) | instskip(NEXT) | instid1(VALU_DEP_1)
	v_or_b32_e32 v5, 0x70000000, v5
	v_mul_f32_e32 v5, 0x7800000, v5
	s_delay_alu instid0(VALU_DEP_1) | instskip(NEXT) | instid1(VALU_DEP_1)
	v_cndmask_b32_e32 v3, v5, v7, vcc_lo
	v_and_or_b32 v1, 0x80000000, v1, v3
	s_delay_alu instid0(VALU_DEP_1) | instskip(NEXT) | instid1(VALU_DEP_1)
	v_trunc_f32_e32 v1, v1
	v_mul_f32_e64 v3, 0x2f800000, |v1|
	s_delay_alu instid0(VALU_DEP_1) | instskip(NEXT) | instid1(VALU_DEP_1)
	v_floor_f32_e32 v3, v3
	v_fma_f32 v3, 0xcf800000, v3, |v1|
	v_ashrrev_i32_e32 v1, 31, v1
	s_delay_alu instid0(VALU_DEP_2) | instskip(NEXT) | instid1(VALU_DEP_1)
	v_cvt_u32_f32_e32 v3, v3
	v_xor_b32_e32 v3, v3, v1
	s_delay_alu instid0(VALU_DEP_1)
	v_sub_nc_u32_e32 v16, v3, v1
.LBB31_2414:
	s_mov_b32 s18, 0
	s_mov_b32 s19, -1
.LBB31_2415:
	s_and_not1_b32 vcc_lo, exec_lo, s18
	s_mov_b32 s18, 0
	s_cbranch_vccnz .LBB31_2426
; %bb.2416:
	s_cmp_gt_i32 s16, 14
	s_cbranch_scc0 .LBB31_2419
; %bb.2417:
	s_cmp_eq_u32 s16, 15
	s_cbranch_scc0 .LBB31_2422
; %bb.2418:
	global_load_u16 v1, v[32:33], off
	s_mov_b32 s17, 0
	s_mov_b32 s19, -1
	s_wait_loadcnt 0x0
	v_lshlrev_b32_e32 v1, 16, v1
	s_delay_alu instid0(VALU_DEP_1) | instskip(NEXT) | instid1(VALU_DEP_1)
	v_trunc_f32_e32 v1, v1
	v_mul_f32_e64 v3, 0x2f800000, |v1|
	s_delay_alu instid0(VALU_DEP_1) | instskip(NEXT) | instid1(VALU_DEP_1)
	v_floor_f32_e32 v3, v3
	v_fma_f32 v3, 0xcf800000, v3, |v1|
	v_ashrrev_i32_e32 v1, 31, v1
	s_delay_alu instid0(VALU_DEP_2) | instskip(NEXT) | instid1(VALU_DEP_1)
	v_cvt_u32_f32_e32 v3, v3
	v_xor_b32_e32 v3, v3, v1
	s_delay_alu instid0(VALU_DEP_1)
	v_sub_nc_u32_e32 v16, v3, v1
	s_branch .LBB31_2424
.LBB31_2419:
	s_mov_b32 s18, -1
	s_branch .LBB31_2423
.LBB31_2420:
	s_and_not1_saveexec_b32 s18, s18
	s_cbranch_execz .LBB31_2401
.LBB31_2421:
	v_cmp_ne_u16_e32 vcc_lo, 0, v1
	s_and_not1_b32 s19, s19, exec_lo
	s_and_b32 s20, vcc_lo, exec_lo
	s_delay_alu instid0(SALU_CYCLE_1)
	s_or_b32 s19, s19, s20
	s_or_b32 exec_lo, exec_lo, s18
	v_mov_b32_e32 v16, 0
	s_and_saveexec_b32 s18, s19
	s_cbranch_execnz .LBB31_2402
	s_branch .LBB31_2403
.LBB31_2422:
	s_mov_b32 s17, -1
.LBB31_2423:
                                        ; implicit-def: $vgpr16
.LBB31_2424:
	s_and_b32 vcc_lo, exec_lo, s18
	s_mov_b32 s18, 0
	s_cbranch_vccz .LBB31_2426
; %bb.2425:
	s_cmp_lg_u32 s16, 11
	s_mov_b32 s18, -1
	s_cselect_b32 s17, -1, 0
.LBB31_2426:
	s_delay_alu instid0(SALU_CYCLE_1)
	s_and_b32 vcc_lo, exec_lo, s17
	s_cbranch_vccnz .LBB31_2489
; %bb.2427:
	s_and_not1_b32 vcc_lo, exec_lo, s18
	s_cbranch_vccnz .LBB31_2429
.LBB31_2428:
	global_load_u8 v1, v[32:33], off
	s_mov_b32 s19, -1
	s_wait_loadcnt 0x0
	v_cmp_ne_u16_e32 vcc_lo, 0, v1
	v_cndmask_b32_e64 v16, 0, 1, vcc_lo
.LBB31_2429:
	s_branch .LBB31_2360
.LBB31_2430:
	s_and_b32 s16, 0xffff, s15
	s_delay_alu instid0(SALU_CYCLE_1)
	s_cmp_lt_i32 s16, 5
	s_cbranch_scc1 .LBB31_2435
; %bb.2431:
	s_cmp_lt_i32 s16, 8
	s_cbranch_scc1 .LBB31_2436
; %bb.2432:
	s_cmp_lt_i32 s16, 9
	s_cbranch_scc1 .LBB31_2437
; %bb.2433:
	s_cmp_gt_i32 s16, 9
	s_cbranch_scc0 .LBB31_2438
; %bb.2434:
	s_wait_loadcnt 0x0
	global_load_b64 v[16:17], v[32:33], off
	s_mov_b32 s17, 0
	s_wait_loadcnt 0x0
	v_trunc_f64_e32 v[16:17], v[16:17]
	s_delay_alu instid0(VALU_DEP_1) | instskip(NEXT) | instid1(VALU_DEP_1)
	v_ldexp_f64 v[34:35], v[16:17], 0xffffffe0
	v_floor_f64_e32 v[34:35], v[34:35]
	s_delay_alu instid0(VALU_DEP_1) | instskip(NEXT) | instid1(VALU_DEP_1)
	v_fmamk_f64 v[16:17], v[34:35], 0xc1f00000, v[16:17]
	v_cvt_u32_f64_e32 v16, v[16:17]
	s_branch .LBB31_2439
.LBB31_2435:
	s_mov_b32 s17, -1
                                        ; implicit-def: $vgpr16
	s_branch .LBB31_2457
.LBB31_2436:
	s_mov_b32 s17, -1
                                        ; implicit-def: $vgpr16
	s_branch .LBB31_2445
.LBB31_2437:
	s_mov_b32 s17, -1
                                        ; implicit-def: $vgpr16
	s_branch .LBB31_2442
.LBB31_2438:
	s_mov_b32 s17, -1
                                        ; implicit-def: $vgpr16
.LBB31_2439:
	s_delay_alu instid0(SALU_CYCLE_1)
	s_and_not1_b32 vcc_lo, exec_lo, s17
	s_cbranch_vccnz .LBB31_2441
; %bb.2440:
	global_load_b32 v1, v[32:33], off
	s_wait_loadcnt 0x0
	v_trunc_f32_e32 v1, v1
	s_delay_alu instid0(VALU_DEP_1) | instskip(NEXT) | instid1(VALU_DEP_1)
	v_mul_f32_e64 v3, 0x2f800000, |v1|
	v_floor_f32_e32 v3, v3
	s_delay_alu instid0(VALU_DEP_1) | instskip(SKIP_1) | instid1(VALU_DEP_2)
	v_fma_f32 v3, 0xcf800000, v3, |v1|
	v_ashrrev_i32_e32 v1, 31, v1
	v_cvt_u32_f32_e32 v3, v3
	s_delay_alu instid0(VALU_DEP_1) | instskip(NEXT) | instid1(VALU_DEP_1)
	v_xor_b32_e32 v3, v3, v1
	v_sub_nc_u32_e32 v16, v3, v1
.LBB31_2441:
	s_mov_b32 s17, 0
.LBB31_2442:
	s_delay_alu instid0(SALU_CYCLE_1)
	s_and_not1_b32 vcc_lo, exec_lo, s17
	s_cbranch_vccnz .LBB31_2444
; %bb.2443:
	global_load_b32 v1, v[32:33], off
	s_wait_loadcnt 0x0
	v_cvt_f32_f16_e32 v1, v1
	s_delay_alu instid0(VALU_DEP_1)
	v_cvt_i32_f32_e32 v16, v1
.LBB31_2444:
	s_mov_b32 s17, 0
.LBB31_2445:
	s_delay_alu instid0(SALU_CYCLE_1)
	s_and_not1_b32 vcc_lo, exec_lo, s17
	s_cbranch_vccnz .LBB31_2456
; %bb.2446:
	s_cmp_lt_i32 s16, 6
	s_cbranch_scc1 .LBB31_2449
; %bb.2447:
	s_cmp_gt_i32 s16, 6
	s_cbranch_scc0 .LBB31_2450
; %bb.2448:
	s_wait_loadcnt 0x0
	global_load_b64 v[16:17], v[32:33], off
	s_mov_b32 s17, 0
	s_wait_loadcnt 0x0
	v_trunc_f64_e32 v[16:17], v[16:17]
	s_delay_alu instid0(VALU_DEP_1) | instskip(NEXT) | instid1(VALU_DEP_1)
	v_ldexp_f64 v[34:35], v[16:17], 0xffffffe0
	v_floor_f64_e32 v[34:35], v[34:35]
	s_delay_alu instid0(VALU_DEP_1) | instskip(NEXT) | instid1(VALU_DEP_1)
	v_fmamk_f64 v[16:17], v[34:35], 0xc1f00000, v[16:17]
	v_cvt_u32_f64_e32 v16, v[16:17]
	s_branch .LBB31_2451
.LBB31_2449:
	s_mov_b32 s17, -1
                                        ; implicit-def: $vgpr16
	s_branch .LBB31_2454
.LBB31_2450:
	s_mov_b32 s17, -1
                                        ; implicit-def: $vgpr16
.LBB31_2451:
	s_delay_alu instid0(SALU_CYCLE_1)
	s_and_not1_b32 vcc_lo, exec_lo, s17
	s_cbranch_vccnz .LBB31_2453
; %bb.2452:
	global_load_b32 v1, v[32:33], off
	s_wait_loadcnt 0x0
	v_trunc_f32_e32 v1, v1
	s_delay_alu instid0(VALU_DEP_1) | instskip(NEXT) | instid1(VALU_DEP_1)
	v_mul_f32_e64 v3, 0x2f800000, |v1|
	v_floor_f32_e32 v3, v3
	s_delay_alu instid0(VALU_DEP_1) | instskip(SKIP_1) | instid1(VALU_DEP_2)
	v_fma_f32 v3, 0xcf800000, v3, |v1|
	v_ashrrev_i32_e32 v1, 31, v1
	v_cvt_u32_f32_e32 v3, v3
	s_delay_alu instid0(VALU_DEP_1) | instskip(NEXT) | instid1(VALU_DEP_1)
	v_xor_b32_e32 v3, v3, v1
	v_sub_nc_u32_e32 v16, v3, v1
.LBB31_2453:
	s_mov_b32 s17, 0
.LBB31_2454:
	s_delay_alu instid0(SALU_CYCLE_1)
	s_and_not1_b32 vcc_lo, exec_lo, s17
	s_cbranch_vccnz .LBB31_2456
; %bb.2455:
	global_load_u16 v1, v[32:33], off
	s_wait_loadcnt 0x0
	v_cvt_f32_f16_e32 v1, v1
	s_delay_alu instid0(VALU_DEP_1)
	v_cvt_i32_f32_e32 v16, v1
.LBB31_2456:
	s_mov_b32 s17, 0
.LBB31_2457:
	s_delay_alu instid0(SALU_CYCLE_1)
	s_and_not1_b32 vcc_lo, exec_lo, s17
	s_cbranch_vccnz .LBB31_2477
; %bb.2458:
	s_cmp_lt_i32 s16, 2
	s_cbranch_scc1 .LBB31_2462
; %bb.2459:
	s_cmp_lt_i32 s16, 3
	s_cbranch_scc1 .LBB31_2463
; %bb.2460:
	s_cmp_gt_i32 s16, 3
	s_cbranch_scc0 .LBB31_2464
; %bb.2461:
	s_wait_loadcnt 0x0
	global_load_b64 v[16:17], v[32:33], off
	s_mov_b32 s17, 0
	s_branch .LBB31_2465
.LBB31_2462:
	s_mov_b32 s17, -1
                                        ; implicit-def: $vgpr16
	s_branch .LBB31_2471
.LBB31_2463:
	s_mov_b32 s17, -1
                                        ; implicit-def: $vgpr16
	s_branch .LBB31_2468
.LBB31_2464:
	s_mov_b32 s17, -1
                                        ; implicit-def: $vgpr16
.LBB31_2465:
	s_delay_alu instid0(SALU_CYCLE_1)
	s_and_not1_b32 vcc_lo, exec_lo, s17
	s_cbranch_vccnz .LBB31_2467
; %bb.2466:
	s_wait_loadcnt 0x0
	global_load_b32 v16, v[32:33], off
.LBB31_2467:
	s_mov_b32 s17, 0
.LBB31_2468:
	s_delay_alu instid0(SALU_CYCLE_1)
	s_and_not1_b32 vcc_lo, exec_lo, s17
	s_cbranch_vccnz .LBB31_2470
; %bb.2469:
	s_wait_loadcnt 0x0
	global_load_u16 v16, v[32:33], off
.LBB31_2470:
	s_mov_b32 s17, 0
.LBB31_2471:
	s_delay_alu instid0(SALU_CYCLE_1)
	s_and_not1_b32 vcc_lo, exec_lo, s17
	s_cbranch_vccnz .LBB31_2477
; %bb.2472:
	s_cmp_gt_i32 s16, 0
	s_mov_b32 s16, 0
	s_cbranch_scc0 .LBB31_2474
; %bb.2473:
	s_wait_loadcnt 0x0
	global_load_u8 v16, v[32:33], off
	s_branch .LBB31_2475
.LBB31_2474:
	s_mov_b32 s16, -1
                                        ; implicit-def: $vgpr16
.LBB31_2475:
	s_delay_alu instid0(SALU_CYCLE_1)
	s_and_not1_b32 vcc_lo, exec_lo, s16
	s_cbranch_vccnz .LBB31_2477
; %bb.2476:
	s_wait_loadcnt 0x0
	global_load_u8 v16, v[32:33], off
.LBB31_2477:
.LBB31_2478:
	v_mov_b32_e32 v19, 0
	s_and_b32 s13, 0xffff, s13
	s_delay_alu instid0(SALU_CYCLE_1) | instskip(SKIP_1) | instid1(VALU_DEP_1)
	s_cmp_lt_i32 s13, 11
	s_wait_xcnt 0x0
	v_add_nc_u64_e32 v[32:33], s[6:7], v[18:19]
	s_cbranch_scc1 .LBB31_2485
; %bb.2479:
	s_cmp_gt_i32 s13, 25
	s_mov_b32 s17, 0
	s_cbranch_scc0 .LBB31_2486
; %bb.2480:
	s_cmp_gt_i32 s13, 28
	s_cbranch_scc0 .LBB31_2487
; %bb.2481:
	s_cmp_gt_i32 s13, 43
	;; [unrolled: 3-line block ×3, first 2 shown]
	s_cbranch_scc0 .LBB31_2490
; %bb.2483:
	s_cmp_eq_u32 s13, 46
	s_mov_b32 s19, 0
	s_cbranch_scc0 .LBB31_2491
; %bb.2484:
	global_load_b32 v1, v[32:33], off
	s_mov_b32 s16, 0
	s_mov_b32 s18, -1
	s_wait_loadcnt 0x0
	v_lshlrev_b32_e32 v1, 16, v1
	s_delay_alu instid0(VALU_DEP_1) | instskip(NEXT) | instid1(VALU_DEP_1)
	v_trunc_f32_e32 v1, v1
	v_mul_f32_e64 v3, 0x2f800000, |v1|
	s_delay_alu instid0(VALU_DEP_1) | instskip(NEXT) | instid1(VALU_DEP_1)
	v_floor_f32_e32 v3, v3
	v_fma_f32 v3, 0xcf800000, v3, |v1|
	v_ashrrev_i32_e32 v1, 31, v1
	s_delay_alu instid0(VALU_DEP_2) | instskip(NEXT) | instid1(VALU_DEP_1)
	v_cvt_u32_f32_e32 v3, v3
	v_xor_b32_e32 v3, v3, v1
	s_delay_alu instid0(VALU_DEP_1)
	v_sub_nc_u32_e32 v18, v3, v1
	s_branch .LBB31_2493
.LBB31_2485:
	s_mov_b32 s16, -1
	s_mov_b32 s18, 0
                                        ; implicit-def: $vgpr18
	s_branch .LBB31_2555
.LBB31_2486:
	s_mov_b32 s19, -1
	s_mov_b32 s18, 0
	s_mov_b32 s16, 0
                                        ; implicit-def: $vgpr18
	s_branch .LBB31_2520
.LBB31_2487:
	s_mov_b32 s19, -1
	s_mov_b32 s18, 0
	s_mov_b32 s16, 0
                                        ; implicit-def: $vgpr18
	s_branch .LBB31_2503
.LBB31_2488:
	s_mov_b32 s19, -1
	s_mov_b32 s18, 0
	s_mov_b32 s16, 0
                                        ; implicit-def: $vgpr18
	s_branch .LBB31_2498
.LBB31_2489:
	s_or_b32 s12, s12, exec_lo
	s_trap 2
	s_cbranch_execz .LBB31_2428
	s_branch .LBB31_2429
.LBB31_2490:
	s_mov_b32 s19, -1
	s_mov_b32 s18, 0
	s_mov_b32 s16, 0
	s_branch .LBB31_2492
.LBB31_2491:
	s_mov_b32 s16, -1
	s_mov_b32 s18, 0
.LBB31_2492:
                                        ; implicit-def: $vgpr18
.LBB31_2493:
	s_and_b32 vcc_lo, exec_lo, s19
	s_cbranch_vccz .LBB31_2497
; %bb.2494:
	s_cmp_eq_u32 s13, 44
	s_cbranch_scc0 .LBB31_2496
; %bb.2495:
	global_load_u8 v1, v[32:33], off
	s_mov_b32 s16, 0
	s_mov_b32 s18, -1
	s_wait_loadcnt 0x0
	v_lshlrev_b32_e32 v3, 23, v1
	v_cmp_ne_u32_e32 vcc_lo, 0, v1
	s_delay_alu instid0(VALU_DEP_2) | instskip(NEXT) | instid1(VALU_DEP_1)
	v_trunc_f32_e32 v3, v3
	v_mul_f32_e64 v5, 0x2f800000, |v3|
	s_delay_alu instid0(VALU_DEP_1) | instskip(NEXT) | instid1(VALU_DEP_1)
	v_floor_f32_e32 v5, v5
	v_fma_f32 v5, 0xcf800000, v5, |v3|
	v_ashrrev_i32_e32 v3, 31, v3
	s_delay_alu instid0(VALU_DEP_2) | instskip(NEXT) | instid1(VALU_DEP_1)
	v_cvt_u32_f32_e32 v5, v5
	v_xor_b32_e32 v5, v5, v3
	s_delay_alu instid0(VALU_DEP_1) | instskip(NEXT) | instid1(VALU_DEP_1)
	v_sub_nc_u32_e32 v3, v5, v3
	v_cndmask_b32_e32 v18, 0, v3, vcc_lo
	s_branch .LBB31_2497
.LBB31_2496:
	s_mov_b32 s16, -1
                                        ; implicit-def: $vgpr18
.LBB31_2497:
	s_mov_b32 s19, 0
.LBB31_2498:
	s_delay_alu instid0(SALU_CYCLE_1)
	s_and_b32 vcc_lo, exec_lo, s19
	s_cbranch_vccz .LBB31_2502
; %bb.2499:
	s_cmp_eq_u32 s13, 29
	s_cbranch_scc0 .LBB31_2501
; %bb.2500:
	global_load_b64 v[18:19], v[32:33], off
	s_mov_b32 s16, 0
	s_mov_b32 s18, -1
	s_branch .LBB31_2502
.LBB31_2501:
	s_mov_b32 s16, -1
                                        ; implicit-def: $vgpr18
.LBB31_2502:
	s_mov_b32 s19, 0
.LBB31_2503:
	s_delay_alu instid0(SALU_CYCLE_1)
	s_and_b32 vcc_lo, exec_lo, s19
	s_cbranch_vccz .LBB31_2519
; %bb.2504:
	s_cmp_lt_i32 s13, 27
	s_cbranch_scc1 .LBB31_2507
; %bb.2505:
	s_cmp_gt_i32 s13, 27
	s_cbranch_scc0 .LBB31_2508
; %bb.2506:
	s_wait_loadcnt 0x0
	global_load_b32 v18, v[32:33], off
	s_mov_b32 s18, 0
	s_branch .LBB31_2509
.LBB31_2507:
	s_mov_b32 s18, -1
                                        ; implicit-def: $vgpr18
	s_branch .LBB31_2512
.LBB31_2508:
	s_mov_b32 s18, -1
                                        ; implicit-def: $vgpr18
.LBB31_2509:
	s_delay_alu instid0(SALU_CYCLE_1)
	s_and_not1_b32 vcc_lo, exec_lo, s18
	s_cbranch_vccnz .LBB31_2511
; %bb.2510:
	s_wait_loadcnt 0x0
	global_load_u16 v18, v[32:33], off
.LBB31_2511:
	s_mov_b32 s18, 0
.LBB31_2512:
	s_delay_alu instid0(SALU_CYCLE_1)
	s_and_not1_b32 vcc_lo, exec_lo, s18
	s_cbranch_vccnz .LBB31_2518
; %bb.2513:
	global_load_u8 v1, v[32:33], off
	s_mov_b32 s19, 0
	s_mov_b32 s18, exec_lo
	s_wait_loadcnt 0x0
	v_cmpx_lt_i16_e32 0x7f, v1
	s_xor_b32 s18, exec_lo, s18
	s_cbranch_execz .LBB31_2530
; %bb.2514:
	v_cmp_ne_u16_e32 vcc_lo, 0x80, v1
	s_and_b32 s19, vcc_lo, exec_lo
	s_and_not1_saveexec_b32 s18, s18
	s_cbranch_execnz .LBB31_2531
.LBB31_2515:
	s_or_b32 exec_lo, exec_lo, s18
	v_mov_b32_e32 v18, 0
	s_and_saveexec_b32 s18, s19
	s_cbranch_execz .LBB31_2517
.LBB31_2516:
	v_and_b32_e32 v3, 0xffff, v1
	s_delay_alu instid0(VALU_DEP_1) | instskip(SKIP_1) | instid1(VALU_DEP_2)
	v_dual_lshlrev_b32 v1, 24, v1 :: v_dual_bitop2_b32 v5, 7, v3 bitop3:0x40
	v_bfe_u32 v11, v3, 3, 4
	v_and_b32_e32 v1, 0x80000000, v1
	s_delay_alu instid0(VALU_DEP_3) | instskip(NEXT) | instid1(VALU_DEP_3)
	v_clz_i32_u32_e32 v7, v5
	v_cmp_eq_u32_e32 vcc_lo, 0, v11
	s_delay_alu instid0(VALU_DEP_2) | instskip(NEXT) | instid1(VALU_DEP_1)
	v_min_u32_e32 v7, 32, v7
	v_subrev_nc_u32_e32 v9, 28, v7
	v_sub_nc_u32_e32 v7, 29, v7
	s_delay_alu instid0(VALU_DEP_2) | instskip(NEXT) | instid1(VALU_DEP_2)
	v_lshlrev_b32_e32 v3, v9, v3
	v_cndmask_b32_e32 v7, v11, v7, vcc_lo
	s_delay_alu instid0(VALU_DEP_2) | instskip(NEXT) | instid1(VALU_DEP_1)
	v_and_b32_e32 v3, 7, v3
	v_cndmask_b32_e32 v3, v5, v3, vcc_lo
	s_delay_alu instid0(VALU_DEP_3) | instskip(NEXT) | instid1(VALU_DEP_2)
	v_lshl_add_u32 v5, v7, 23, 0x3b800000
	v_lshlrev_b32_e32 v3, 20, v3
	s_delay_alu instid0(VALU_DEP_1) | instskip(NEXT) | instid1(VALU_DEP_1)
	v_or3_b32 v1, v1, v5, v3
	v_trunc_f32_e32 v1, v1
	s_delay_alu instid0(VALU_DEP_1) | instskip(NEXT) | instid1(VALU_DEP_1)
	v_mul_f32_e64 v3, 0x2f800000, |v1|
	v_floor_f32_e32 v3, v3
	s_delay_alu instid0(VALU_DEP_1) | instskip(SKIP_1) | instid1(VALU_DEP_2)
	v_fma_f32 v3, 0xcf800000, v3, |v1|
	v_ashrrev_i32_e32 v1, 31, v1
	v_cvt_u32_f32_e32 v3, v3
	s_delay_alu instid0(VALU_DEP_1) | instskip(NEXT) | instid1(VALU_DEP_1)
	v_xor_b32_e32 v3, v3, v1
	v_sub_nc_u32_e32 v18, v3, v1
.LBB31_2517:
	s_or_b32 exec_lo, exec_lo, s18
.LBB31_2518:
	s_mov_b32 s18, -1
.LBB31_2519:
	s_mov_b32 s19, 0
.LBB31_2520:
	s_delay_alu instid0(SALU_CYCLE_1)
	s_and_b32 vcc_lo, exec_lo, s19
	s_cbranch_vccz .LBB31_2551
; %bb.2521:
	s_cmp_gt_i32 s13, 22
	s_cbranch_scc0 .LBB31_2529
; %bb.2522:
	s_cmp_lt_i32 s13, 24
	s_cbranch_scc1 .LBB31_2532
; %bb.2523:
	s_cmp_gt_i32 s13, 24
	s_cbranch_scc0 .LBB31_2533
; %bb.2524:
	global_load_u8 v1, v[32:33], off
	s_mov_b32 s18, 0
	s_mov_b32 s17, exec_lo
	s_wait_loadcnt 0x0
	v_cmpx_lt_i16_e32 0x7f, v1
	s_xor_b32 s17, exec_lo, s17
	s_cbranch_execz .LBB31_2545
; %bb.2525:
	v_cmp_ne_u16_e32 vcc_lo, 0x80, v1
	s_and_b32 s18, vcc_lo, exec_lo
	s_and_not1_saveexec_b32 s17, s17
	s_cbranch_execnz .LBB31_2546
.LBB31_2526:
	s_or_b32 exec_lo, exec_lo, s17
	v_mov_b32_e32 v18, 0
	s_and_saveexec_b32 s17, s18
	s_cbranch_execz .LBB31_2528
.LBB31_2527:
	v_and_b32_e32 v3, 0xffff, v1
	s_delay_alu instid0(VALU_DEP_1) | instskip(SKIP_1) | instid1(VALU_DEP_2)
	v_dual_lshlrev_b32 v1, 24, v1 :: v_dual_bitop2_b32 v5, 3, v3 bitop3:0x40
	v_bfe_u32 v11, v3, 2, 5
	v_and_b32_e32 v1, 0x80000000, v1
	s_delay_alu instid0(VALU_DEP_3) | instskip(NEXT) | instid1(VALU_DEP_3)
	v_clz_i32_u32_e32 v7, v5
	v_cmp_eq_u32_e32 vcc_lo, 0, v11
	s_delay_alu instid0(VALU_DEP_2) | instskip(NEXT) | instid1(VALU_DEP_1)
	v_min_u32_e32 v7, 32, v7
	v_subrev_nc_u32_e32 v9, 29, v7
	v_sub_nc_u32_e32 v7, 30, v7
	s_delay_alu instid0(VALU_DEP_2) | instskip(NEXT) | instid1(VALU_DEP_2)
	v_lshlrev_b32_e32 v3, v9, v3
	v_cndmask_b32_e32 v7, v11, v7, vcc_lo
	s_delay_alu instid0(VALU_DEP_2) | instskip(NEXT) | instid1(VALU_DEP_1)
	v_and_b32_e32 v3, 3, v3
	v_cndmask_b32_e32 v3, v5, v3, vcc_lo
	s_delay_alu instid0(VALU_DEP_3) | instskip(NEXT) | instid1(VALU_DEP_2)
	v_lshl_add_u32 v5, v7, 23, 0x37800000
	v_lshlrev_b32_e32 v3, 21, v3
	s_delay_alu instid0(VALU_DEP_1) | instskip(NEXT) | instid1(VALU_DEP_1)
	v_or3_b32 v1, v1, v5, v3
	v_trunc_f32_e32 v1, v1
	s_delay_alu instid0(VALU_DEP_1) | instskip(NEXT) | instid1(VALU_DEP_1)
	v_mul_f32_e64 v3, 0x2f800000, |v1|
	v_floor_f32_e32 v3, v3
	s_delay_alu instid0(VALU_DEP_1) | instskip(SKIP_1) | instid1(VALU_DEP_2)
	v_fma_f32 v3, 0xcf800000, v3, |v1|
	v_ashrrev_i32_e32 v1, 31, v1
	v_cvt_u32_f32_e32 v3, v3
	s_delay_alu instid0(VALU_DEP_1) | instskip(NEXT) | instid1(VALU_DEP_1)
	v_xor_b32_e32 v3, v3, v1
	v_sub_nc_u32_e32 v18, v3, v1
.LBB31_2528:
	s_or_b32 exec_lo, exec_lo, s17
	s_mov_b32 s17, 0
	s_branch .LBB31_2534
.LBB31_2529:
	s_mov_b32 s17, -1
                                        ; implicit-def: $vgpr18
	s_branch .LBB31_2540
.LBB31_2530:
	s_and_not1_saveexec_b32 s18, s18
	s_cbranch_execz .LBB31_2515
.LBB31_2531:
	v_cmp_ne_u16_e32 vcc_lo, 0, v1
	s_and_not1_b32 s19, s19, exec_lo
	s_and_b32 s20, vcc_lo, exec_lo
	s_delay_alu instid0(SALU_CYCLE_1)
	s_or_b32 s19, s19, s20
	s_or_b32 exec_lo, exec_lo, s18
	v_mov_b32_e32 v18, 0
	s_and_saveexec_b32 s18, s19
	s_cbranch_execnz .LBB31_2516
	s_branch .LBB31_2517
.LBB31_2532:
	s_mov_b32 s17, -1
                                        ; implicit-def: $vgpr18
	s_branch .LBB31_2537
.LBB31_2533:
	s_mov_b32 s17, -1
                                        ; implicit-def: $vgpr18
.LBB31_2534:
	s_delay_alu instid0(SALU_CYCLE_1)
	s_and_b32 vcc_lo, exec_lo, s17
	s_cbranch_vccz .LBB31_2536
; %bb.2535:
	global_load_u8 v1, v[32:33], off
	s_wait_loadcnt 0x0
	v_lshlrev_b32_e32 v1, 24, v1
	s_delay_alu instid0(VALU_DEP_1) | instskip(NEXT) | instid1(VALU_DEP_1)
	v_and_b32_e32 v3, 0x7f000000, v1
	v_clz_i32_u32_e32 v5, v3
	v_add_nc_u32_e32 v9, 0x1000000, v3
	v_cmp_ne_u32_e32 vcc_lo, 0, v3
	s_delay_alu instid0(VALU_DEP_3) | instskip(NEXT) | instid1(VALU_DEP_1)
	v_min_u32_e32 v5, 32, v5
	v_sub_nc_u32_e64 v5, v5, 4 clamp
	s_delay_alu instid0(VALU_DEP_1) | instskip(NEXT) | instid1(VALU_DEP_1)
	v_dual_lshlrev_b32 v7, v5, v3 :: v_dual_lshlrev_b32 v5, 23, v5
	v_lshrrev_b32_e32 v7, 4, v7
	s_delay_alu instid0(VALU_DEP_1) | instskip(SKIP_1) | instid1(VALU_DEP_2)
	v_sub_nc_u32_e32 v5, v7, v5
	v_ashrrev_i32_e32 v7, 8, v9
	v_add_nc_u32_e32 v5, 0x3c000000, v5
	s_delay_alu instid0(VALU_DEP_1) | instskip(NEXT) | instid1(VALU_DEP_1)
	v_and_or_b32 v5, 0x7f800000, v7, v5
	v_cndmask_b32_e32 v3, 0, v5, vcc_lo
	s_delay_alu instid0(VALU_DEP_1) | instskip(NEXT) | instid1(VALU_DEP_1)
	v_and_or_b32 v1, 0x80000000, v1, v3
	v_trunc_f32_e32 v1, v1
	s_delay_alu instid0(VALU_DEP_1) | instskip(NEXT) | instid1(VALU_DEP_1)
	v_mul_f32_e64 v3, 0x2f800000, |v1|
	v_floor_f32_e32 v3, v3
	s_delay_alu instid0(VALU_DEP_1) | instskip(SKIP_1) | instid1(VALU_DEP_2)
	v_fma_f32 v3, 0xcf800000, v3, |v1|
	v_ashrrev_i32_e32 v1, 31, v1
	v_cvt_u32_f32_e32 v3, v3
	s_delay_alu instid0(VALU_DEP_1) | instskip(NEXT) | instid1(VALU_DEP_1)
	v_xor_b32_e32 v3, v3, v1
	v_sub_nc_u32_e32 v18, v3, v1
.LBB31_2536:
	s_mov_b32 s17, 0
.LBB31_2537:
	s_delay_alu instid0(SALU_CYCLE_1)
	s_and_not1_b32 vcc_lo, exec_lo, s17
	s_cbranch_vccnz .LBB31_2539
; %bb.2538:
	global_load_u8 v1, v[32:33], off
	s_wait_loadcnt 0x0
	v_lshlrev_b32_e32 v3, 25, v1
	v_lshlrev_b16 v1, 8, v1
	s_delay_alu instid0(VALU_DEP_1) | instskip(SKIP_1) | instid1(VALU_DEP_2)
	v_and_or_b32 v7, 0x7f00, v1, 0.5
	v_bfe_i32 v1, v1, 0, 16
	v_add_f32_e32 v7, -0.5, v7
	v_lshrrev_b32_e32 v5, 4, v3
	v_cmp_gt_u32_e32 vcc_lo, 0x8000000, v3
	s_delay_alu instid0(VALU_DEP_2) | instskip(NEXT) | instid1(VALU_DEP_1)
	v_or_b32_e32 v5, 0x70000000, v5
	v_mul_f32_e32 v5, 0x7800000, v5
	s_delay_alu instid0(VALU_DEP_1) | instskip(NEXT) | instid1(VALU_DEP_1)
	v_cndmask_b32_e32 v3, v5, v7, vcc_lo
	v_and_or_b32 v1, 0x80000000, v1, v3
	s_delay_alu instid0(VALU_DEP_1) | instskip(NEXT) | instid1(VALU_DEP_1)
	v_trunc_f32_e32 v1, v1
	v_mul_f32_e64 v3, 0x2f800000, |v1|
	s_delay_alu instid0(VALU_DEP_1) | instskip(NEXT) | instid1(VALU_DEP_1)
	v_floor_f32_e32 v3, v3
	v_fma_f32 v3, 0xcf800000, v3, |v1|
	v_ashrrev_i32_e32 v1, 31, v1
	s_delay_alu instid0(VALU_DEP_2) | instskip(NEXT) | instid1(VALU_DEP_1)
	v_cvt_u32_f32_e32 v3, v3
	v_xor_b32_e32 v3, v3, v1
	s_delay_alu instid0(VALU_DEP_1)
	v_sub_nc_u32_e32 v18, v3, v1
.LBB31_2539:
	s_mov_b32 s17, 0
	s_mov_b32 s18, -1
.LBB31_2540:
	s_and_not1_b32 vcc_lo, exec_lo, s17
	s_mov_b32 s17, 0
	s_cbranch_vccnz .LBB31_2551
; %bb.2541:
	s_cmp_gt_i32 s13, 14
	s_cbranch_scc0 .LBB31_2544
; %bb.2542:
	s_cmp_eq_u32 s13, 15
	s_cbranch_scc0 .LBB31_2547
; %bb.2543:
	global_load_u16 v1, v[32:33], off
	s_mov_b32 s16, 0
	s_mov_b32 s18, -1
	s_wait_loadcnt 0x0
	v_lshlrev_b32_e32 v1, 16, v1
	s_delay_alu instid0(VALU_DEP_1) | instskip(NEXT) | instid1(VALU_DEP_1)
	v_trunc_f32_e32 v1, v1
	v_mul_f32_e64 v3, 0x2f800000, |v1|
	s_delay_alu instid0(VALU_DEP_1) | instskip(NEXT) | instid1(VALU_DEP_1)
	v_floor_f32_e32 v3, v3
	v_fma_f32 v3, 0xcf800000, v3, |v1|
	v_ashrrev_i32_e32 v1, 31, v1
	s_delay_alu instid0(VALU_DEP_2) | instskip(NEXT) | instid1(VALU_DEP_1)
	v_cvt_u32_f32_e32 v3, v3
	v_xor_b32_e32 v3, v3, v1
	s_delay_alu instid0(VALU_DEP_1)
	v_sub_nc_u32_e32 v18, v3, v1
	s_branch .LBB31_2549
.LBB31_2544:
	s_mov_b32 s17, -1
	s_branch .LBB31_2548
.LBB31_2545:
	s_and_not1_saveexec_b32 s17, s17
	s_cbranch_execz .LBB31_2526
.LBB31_2546:
	v_cmp_ne_u16_e32 vcc_lo, 0, v1
	s_and_not1_b32 s18, s18, exec_lo
	s_and_b32 s19, vcc_lo, exec_lo
	s_delay_alu instid0(SALU_CYCLE_1)
	s_or_b32 s18, s18, s19
	s_or_b32 exec_lo, exec_lo, s17
	v_mov_b32_e32 v18, 0
	s_and_saveexec_b32 s17, s18
	s_cbranch_execnz .LBB31_2527
	s_branch .LBB31_2528
.LBB31_2547:
	s_mov_b32 s16, -1
.LBB31_2548:
                                        ; implicit-def: $vgpr18
.LBB31_2549:
	s_and_b32 vcc_lo, exec_lo, s17
	s_mov_b32 s17, 0
	s_cbranch_vccz .LBB31_2551
; %bb.2550:
	s_cmp_lg_u32 s13, 11
	s_mov_b32 s17, -1
	s_cselect_b32 s16, -1, 0
.LBB31_2551:
	s_delay_alu instid0(SALU_CYCLE_1)
	s_and_b32 vcc_lo, exec_lo, s16
	s_cbranch_vccnz .LBB31_2616
; %bb.2552:
	s_and_not1_b32 vcc_lo, exec_lo, s17
	s_cbranch_vccnz .LBB31_2554
.LBB31_2553:
	global_load_u8 v1, v[32:33], off
	s_mov_b32 s18, -1
	s_wait_loadcnt 0x0
	v_cmp_ne_u16_e32 vcc_lo, 0, v1
	v_cndmask_b32_e64 v18, 0, 1, vcc_lo
.LBB31_2554:
	s_mov_b32 s16, 0
.LBB31_2555:
	s_delay_alu instid0(SALU_CYCLE_1)
	s_and_b32 vcc_lo, exec_lo, s16
	s_cbranch_vccz .LBB31_2604
; %bb.2556:
	s_cmp_lt_i32 s13, 5
	s_cbranch_scc1 .LBB31_2561
; %bb.2557:
	s_cmp_lt_i32 s13, 8
	s_cbranch_scc1 .LBB31_2562
	;; [unrolled: 3-line block ×3, first 2 shown]
; %bb.2559:
	s_cmp_gt_i32 s13, 9
	s_cbranch_scc0 .LBB31_2564
; %bb.2560:
	s_wait_loadcnt 0x0
	global_load_b64 v[18:19], v[32:33], off
	s_mov_b32 s16, 0
	s_wait_loadcnt 0x0
	v_trunc_f64_e32 v[18:19], v[18:19]
	s_delay_alu instid0(VALU_DEP_1) | instskip(NEXT) | instid1(VALU_DEP_1)
	v_ldexp_f64 v[34:35], v[18:19], 0xffffffe0
	v_floor_f64_e32 v[34:35], v[34:35]
	s_delay_alu instid0(VALU_DEP_1) | instskip(NEXT) | instid1(VALU_DEP_1)
	v_fmamk_f64 v[18:19], v[34:35], 0xc1f00000, v[18:19]
	v_cvt_u32_f64_e32 v18, v[18:19]
	s_branch .LBB31_2565
.LBB31_2561:
	s_mov_b32 s16, -1
                                        ; implicit-def: $vgpr18
	s_branch .LBB31_2583
.LBB31_2562:
	s_mov_b32 s16, -1
                                        ; implicit-def: $vgpr18
	s_branch .LBB31_2571
.LBB31_2563:
	s_mov_b32 s16, -1
                                        ; implicit-def: $vgpr18
	s_branch .LBB31_2568
.LBB31_2564:
	s_mov_b32 s16, -1
                                        ; implicit-def: $vgpr18
.LBB31_2565:
	s_delay_alu instid0(SALU_CYCLE_1)
	s_and_not1_b32 vcc_lo, exec_lo, s16
	s_cbranch_vccnz .LBB31_2567
; %bb.2566:
	global_load_b32 v1, v[32:33], off
	s_wait_loadcnt 0x0
	v_trunc_f32_e32 v1, v1
	s_delay_alu instid0(VALU_DEP_1) | instskip(NEXT) | instid1(VALU_DEP_1)
	v_mul_f32_e64 v3, 0x2f800000, |v1|
	v_floor_f32_e32 v3, v3
	s_delay_alu instid0(VALU_DEP_1) | instskip(SKIP_1) | instid1(VALU_DEP_2)
	v_fma_f32 v3, 0xcf800000, v3, |v1|
	v_ashrrev_i32_e32 v1, 31, v1
	v_cvt_u32_f32_e32 v3, v3
	s_delay_alu instid0(VALU_DEP_1) | instskip(NEXT) | instid1(VALU_DEP_1)
	v_xor_b32_e32 v3, v3, v1
	v_sub_nc_u32_e32 v18, v3, v1
.LBB31_2567:
	s_mov_b32 s16, 0
.LBB31_2568:
	s_delay_alu instid0(SALU_CYCLE_1)
	s_and_not1_b32 vcc_lo, exec_lo, s16
	s_cbranch_vccnz .LBB31_2570
; %bb.2569:
	global_load_b32 v1, v[32:33], off
	s_wait_loadcnt 0x0
	v_cvt_f32_f16_e32 v1, v1
	s_delay_alu instid0(VALU_DEP_1)
	v_cvt_i32_f32_e32 v18, v1
.LBB31_2570:
	s_mov_b32 s16, 0
.LBB31_2571:
	s_delay_alu instid0(SALU_CYCLE_1)
	s_and_not1_b32 vcc_lo, exec_lo, s16
	s_cbranch_vccnz .LBB31_2582
; %bb.2572:
	s_cmp_lt_i32 s13, 6
	s_cbranch_scc1 .LBB31_2575
; %bb.2573:
	s_cmp_gt_i32 s13, 6
	s_cbranch_scc0 .LBB31_2576
; %bb.2574:
	s_wait_loadcnt 0x0
	global_load_b64 v[18:19], v[32:33], off
	s_mov_b32 s16, 0
	s_wait_loadcnt 0x0
	v_trunc_f64_e32 v[18:19], v[18:19]
	s_delay_alu instid0(VALU_DEP_1) | instskip(NEXT) | instid1(VALU_DEP_1)
	v_ldexp_f64 v[34:35], v[18:19], 0xffffffe0
	v_floor_f64_e32 v[34:35], v[34:35]
	s_delay_alu instid0(VALU_DEP_1) | instskip(NEXT) | instid1(VALU_DEP_1)
	v_fmamk_f64 v[18:19], v[34:35], 0xc1f00000, v[18:19]
	v_cvt_u32_f64_e32 v18, v[18:19]
	s_branch .LBB31_2577
.LBB31_2575:
	s_mov_b32 s16, -1
                                        ; implicit-def: $vgpr18
	s_branch .LBB31_2580
.LBB31_2576:
	s_mov_b32 s16, -1
                                        ; implicit-def: $vgpr18
.LBB31_2577:
	s_delay_alu instid0(SALU_CYCLE_1)
	s_and_not1_b32 vcc_lo, exec_lo, s16
	s_cbranch_vccnz .LBB31_2579
; %bb.2578:
	global_load_b32 v1, v[32:33], off
	s_wait_loadcnt 0x0
	v_trunc_f32_e32 v1, v1
	s_delay_alu instid0(VALU_DEP_1) | instskip(NEXT) | instid1(VALU_DEP_1)
	v_mul_f32_e64 v3, 0x2f800000, |v1|
	v_floor_f32_e32 v3, v3
	s_delay_alu instid0(VALU_DEP_1) | instskip(SKIP_1) | instid1(VALU_DEP_2)
	v_fma_f32 v3, 0xcf800000, v3, |v1|
	v_ashrrev_i32_e32 v1, 31, v1
	v_cvt_u32_f32_e32 v3, v3
	s_delay_alu instid0(VALU_DEP_1) | instskip(NEXT) | instid1(VALU_DEP_1)
	v_xor_b32_e32 v3, v3, v1
	v_sub_nc_u32_e32 v18, v3, v1
.LBB31_2579:
	s_mov_b32 s16, 0
.LBB31_2580:
	s_delay_alu instid0(SALU_CYCLE_1)
	s_and_not1_b32 vcc_lo, exec_lo, s16
	s_cbranch_vccnz .LBB31_2582
; %bb.2581:
	global_load_u16 v1, v[32:33], off
	s_wait_loadcnt 0x0
	v_cvt_f32_f16_e32 v1, v1
	s_delay_alu instid0(VALU_DEP_1)
	v_cvt_i32_f32_e32 v18, v1
.LBB31_2582:
	s_mov_b32 s16, 0
.LBB31_2583:
	s_delay_alu instid0(SALU_CYCLE_1)
	s_and_not1_b32 vcc_lo, exec_lo, s16
	s_cbranch_vccnz .LBB31_2603
; %bb.2584:
	s_cmp_lt_i32 s13, 2
	s_cbranch_scc1 .LBB31_2588
; %bb.2585:
	s_cmp_lt_i32 s13, 3
	s_cbranch_scc1 .LBB31_2589
; %bb.2586:
	s_cmp_gt_i32 s13, 3
	s_cbranch_scc0 .LBB31_2590
; %bb.2587:
	s_wait_loadcnt 0x0
	global_load_b64 v[18:19], v[32:33], off
	s_mov_b32 s16, 0
	s_branch .LBB31_2591
.LBB31_2588:
	s_mov_b32 s16, -1
                                        ; implicit-def: $vgpr18
	s_branch .LBB31_2597
.LBB31_2589:
	s_mov_b32 s16, -1
                                        ; implicit-def: $vgpr18
	s_branch .LBB31_2594
.LBB31_2590:
	s_mov_b32 s16, -1
                                        ; implicit-def: $vgpr18
.LBB31_2591:
	s_delay_alu instid0(SALU_CYCLE_1)
	s_and_not1_b32 vcc_lo, exec_lo, s16
	s_cbranch_vccnz .LBB31_2593
; %bb.2592:
	s_wait_loadcnt 0x0
	global_load_b32 v18, v[32:33], off
.LBB31_2593:
	s_mov_b32 s16, 0
.LBB31_2594:
	s_delay_alu instid0(SALU_CYCLE_1)
	s_and_not1_b32 vcc_lo, exec_lo, s16
	s_cbranch_vccnz .LBB31_2596
; %bb.2595:
	s_wait_loadcnt 0x0
	global_load_u16 v18, v[32:33], off
.LBB31_2596:
	s_mov_b32 s16, 0
.LBB31_2597:
	s_delay_alu instid0(SALU_CYCLE_1)
	s_and_not1_b32 vcc_lo, exec_lo, s16
	s_cbranch_vccnz .LBB31_2603
; %bb.2598:
	s_cmp_gt_i32 s13, 0
	s_mov_b32 s16, 0
	s_cbranch_scc0 .LBB31_2600
; %bb.2599:
	s_wait_loadcnt 0x0
	global_load_u8 v18, v[32:33], off
	s_branch .LBB31_2601
.LBB31_2600:
	s_mov_b32 s16, -1
                                        ; implicit-def: $vgpr18
.LBB31_2601:
	s_delay_alu instid0(SALU_CYCLE_1)
	s_and_not1_b32 vcc_lo, exec_lo, s16
	s_cbranch_vccnz .LBB31_2603
; %bb.2602:
	s_wait_loadcnt 0x0
	global_load_u8 v18, v[32:33], off
.LBB31_2603:
	s_mov_b32 s18, -1
.LBB31_2604:
	s_delay_alu instid0(SALU_CYCLE_1)
	s_and_not1_b32 vcc_lo, exec_lo, s18
	s_cbranch_vccnz .LBB31_4058
; %bb.2605:
	v_mov_b32_e32 v23, 0
	s_and_b32 s14, 0xffff, s14
	s_delay_alu instid0(SALU_CYCLE_1) | instskip(SKIP_1) | instid1(VALU_DEP_1)
	s_cmp_lt_i32 s14, 11
	s_wait_xcnt 0x0
	v_add_nc_u64_e32 v[32:33], s[0:1], v[22:23]
	s_cbranch_scc1 .LBB31_2612
; %bb.2606:
	s_cmp_gt_i32 s14, 25
	s_mov_b32 s17, 0
	s_cbranch_scc0 .LBB31_2613
; %bb.2607:
	s_cmp_gt_i32 s14, 28
	s_cbranch_scc0 .LBB31_2614
; %bb.2608:
	s_cmp_gt_i32 s14, 43
	;; [unrolled: 3-line block ×3, first 2 shown]
	s_cbranch_scc0 .LBB31_2617
; %bb.2610:
	s_cmp_eq_u32 s14, 46
	s_mov_b32 s19, 0
	s_cbranch_scc0 .LBB31_2618
; %bb.2611:
	global_load_b32 v1, v[32:33], off
	s_mov_b32 s16, 0
	s_mov_b32 s18, -1
	s_wait_loadcnt 0x0
	v_lshlrev_b32_e32 v1, 16, v1
	s_delay_alu instid0(VALU_DEP_1) | instskip(NEXT) | instid1(VALU_DEP_1)
	v_trunc_f32_e32 v1, v1
	v_mul_f32_e64 v3, 0x2f800000, |v1|
	s_delay_alu instid0(VALU_DEP_1) | instskip(NEXT) | instid1(VALU_DEP_1)
	v_floor_f32_e32 v3, v3
	v_fma_f32 v3, 0xcf800000, v3, |v1|
	v_ashrrev_i32_e32 v1, 31, v1
	s_delay_alu instid0(VALU_DEP_2) | instskip(NEXT) | instid1(VALU_DEP_1)
	v_cvt_u32_f32_e32 v3, v3
	v_xor_b32_e32 v3, v3, v1
	s_delay_alu instid0(VALU_DEP_1)
	v_sub_nc_u32_e32 v22, v3, v1
	s_branch .LBB31_2620
.LBB31_2612:
	s_mov_b32 s16, -1
	s_mov_b32 s18, 0
                                        ; implicit-def: $vgpr22
	s_branch .LBB31_2682
.LBB31_2613:
	s_mov_b32 s19, -1
	s_mov_b32 s18, 0
	s_mov_b32 s16, 0
                                        ; implicit-def: $vgpr22
	s_branch .LBB31_2647
.LBB31_2614:
	s_mov_b32 s19, -1
	s_mov_b32 s18, 0
	s_mov_b32 s16, 0
                                        ; implicit-def: $vgpr22
	s_branch .LBB31_2630
.LBB31_2615:
	s_mov_b32 s19, -1
	s_mov_b32 s18, 0
	s_mov_b32 s16, 0
                                        ; implicit-def: $vgpr22
	s_branch .LBB31_2625
.LBB31_2616:
	s_or_b32 s12, s12, exec_lo
	s_trap 2
	s_cbranch_execz .LBB31_2553
	s_branch .LBB31_2554
.LBB31_2617:
	s_mov_b32 s19, -1
	s_mov_b32 s18, 0
	s_mov_b32 s16, 0
	s_branch .LBB31_2619
.LBB31_2618:
	s_mov_b32 s16, -1
	s_mov_b32 s18, 0
.LBB31_2619:
                                        ; implicit-def: $vgpr22
.LBB31_2620:
	s_and_b32 vcc_lo, exec_lo, s19
	s_cbranch_vccz .LBB31_2624
; %bb.2621:
	s_cmp_eq_u32 s14, 44
	s_cbranch_scc0 .LBB31_2623
; %bb.2622:
	global_load_u8 v1, v[32:33], off
	s_mov_b32 s16, 0
	s_mov_b32 s18, -1
	s_wait_loadcnt 0x0
	v_lshlrev_b32_e32 v3, 23, v1
	v_cmp_ne_u32_e32 vcc_lo, 0, v1
	s_delay_alu instid0(VALU_DEP_2) | instskip(NEXT) | instid1(VALU_DEP_1)
	v_trunc_f32_e32 v3, v3
	v_mul_f32_e64 v5, 0x2f800000, |v3|
	s_delay_alu instid0(VALU_DEP_1) | instskip(NEXT) | instid1(VALU_DEP_1)
	v_floor_f32_e32 v5, v5
	v_fma_f32 v5, 0xcf800000, v5, |v3|
	v_ashrrev_i32_e32 v3, 31, v3
	s_delay_alu instid0(VALU_DEP_2) | instskip(NEXT) | instid1(VALU_DEP_1)
	v_cvt_u32_f32_e32 v5, v5
	v_xor_b32_e32 v5, v5, v3
	s_delay_alu instid0(VALU_DEP_1) | instskip(NEXT) | instid1(VALU_DEP_1)
	v_sub_nc_u32_e32 v3, v5, v3
	v_cndmask_b32_e32 v22, 0, v3, vcc_lo
	s_branch .LBB31_2624
.LBB31_2623:
	s_mov_b32 s16, -1
                                        ; implicit-def: $vgpr22
.LBB31_2624:
	s_mov_b32 s19, 0
.LBB31_2625:
	s_delay_alu instid0(SALU_CYCLE_1)
	s_and_b32 vcc_lo, exec_lo, s19
	s_cbranch_vccz .LBB31_2629
; %bb.2626:
	s_cmp_eq_u32 s14, 29
	s_cbranch_scc0 .LBB31_2628
; %bb.2627:
	global_load_b64 v[22:23], v[32:33], off
	s_mov_b32 s16, 0
	s_mov_b32 s18, -1
	s_branch .LBB31_2629
.LBB31_2628:
	s_mov_b32 s16, -1
                                        ; implicit-def: $vgpr22
.LBB31_2629:
	s_mov_b32 s19, 0
.LBB31_2630:
	s_delay_alu instid0(SALU_CYCLE_1)
	s_and_b32 vcc_lo, exec_lo, s19
	s_cbranch_vccz .LBB31_2646
; %bb.2631:
	s_cmp_lt_i32 s14, 27
	s_cbranch_scc1 .LBB31_2634
; %bb.2632:
	s_cmp_gt_i32 s14, 27
	s_cbranch_scc0 .LBB31_2635
; %bb.2633:
	s_wait_loadcnt 0x0
	global_load_b32 v22, v[32:33], off
	s_mov_b32 s18, 0
	s_branch .LBB31_2636
.LBB31_2634:
	s_mov_b32 s18, -1
                                        ; implicit-def: $vgpr22
	s_branch .LBB31_2639
.LBB31_2635:
	s_mov_b32 s18, -1
                                        ; implicit-def: $vgpr22
.LBB31_2636:
	s_delay_alu instid0(SALU_CYCLE_1)
	s_and_not1_b32 vcc_lo, exec_lo, s18
	s_cbranch_vccnz .LBB31_2638
; %bb.2637:
	s_wait_loadcnt 0x0
	global_load_u16 v22, v[32:33], off
.LBB31_2638:
	s_mov_b32 s18, 0
.LBB31_2639:
	s_delay_alu instid0(SALU_CYCLE_1)
	s_and_not1_b32 vcc_lo, exec_lo, s18
	s_cbranch_vccnz .LBB31_2645
; %bb.2640:
	global_load_u8 v1, v[32:33], off
	s_mov_b32 s19, 0
	s_mov_b32 s18, exec_lo
	s_wait_loadcnt 0x0
	v_cmpx_lt_i16_e32 0x7f, v1
	s_xor_b32 s18, exec_lo, s18
	s_cbranch_execz .LBB31_2657
; %bb.2641:
	v_cmp_ne_u16_e32 vcc_lo, 0x80, v1
	s_and_b32 s19, vcc_lo, exec_lo
	s_and_not1_saveexec_b32 s18, s18
	s_cbranch_execnz .LBB31_2658
.LBB31_2642:
	s_or_b32 exec_lo, exec_lo, s18
	v_mov_b32_e32 v22, 0
	s_and_saveexec_b32 s18, s19
	s_cbranch_execz .LBB31_2644
.LBB31_2643:
	v_and_b32_e32 v3, 0xffff, v1
	s_delay_alu instid0(VALU_DEP_1) | instskip(SKIP_1) | instid1(VALU_DEP_2)
	v_dual_lshlrev_b32 v1, 24, v1 :: v_dual_bitop2_b32 v5, 7, v3 bitop3:0x40
	v_bfe_u32 v11, v3, 3, 4
	v_and_b32_e32 v1, 0x80000000, v1
	s_delay_alu instid0(VALU_DEP_3) | instskip(NEXT) | instid1(VALU_DEP_3)
	v_clz_i32_u32_e32 v7, v5
	v_cmp_eq_u32_e32 vcc_lo, 0, v11
	s_delay_alu instid0(VALU_DEP_2) | instskip(NEXT) | instid1(VALU_DEP_1)
	v_min_u32_e32 v7, 32, v7
	v_subrev_nc_u32_e32 v9, 28, v7
	v_sub_nc_u32_e32 v7, 29, v7
	s_delay_alu instid0(VALU_DEP_2) | instskip(NEXT) | instid1(VALU_DEP_2)
	v_lshlrev_b32_e32 v3, v9, v3
	v_cndmask_b32_e32 v7, v11, v7, vcc_lo
	s_delay_alu instid0(VALU_DEP_2) | instskip(NEXT) | instid1(VALU_DEP_1)
	v_and_b32_e32 v3, 7, v3
	v_cndmask_b32_e32 v3, v5, v3, vcc_lo
	s_delay_alu instid0(VALU_DEP_3) | instskip(NEXT) | instid1(VALU_DEP_2)
	v_lshl_add_u32 v5, v7, 23, 0x3b800000
	v_lshlrev_b32_e32 v3, 20, v3
	s_delay_alu instid0(VALU_DEP_1) | instskip(NEXT) | instid1(VALU_DEP_1)
	v_or3_b32 v1, v1, v5, v3
	v_trunc_f32_e32 v1, v1
	s_delay_alu instid0(VALU_DEP_1) | instskip(NEXT) | instid1(VALU_DEP_1)
	v_mul_f32_e64 v3, 0x2f800000, |v1|
	v_floor_f32_e32 v3, v3
	s_delay_alu instid0(VALU_DEP_1) | instskip(SKIP_1) | instid1(VALU_DEP_2)
	v_fma_f32 v3, 0xcf800000, v3, |v1|
	v_ashrrev_i32_e32 v1, 31, v1
	v_cvt_u32_f32_e32 v3, v3
	s_delay_alu instid0(VALU_DEP_1) | instskip(NEXT) | instid1(VALU_DEP_1)
	v_xor_b32_e32 v3, v3, v1
	v_sub_nc_u32_e32 v22, v3, v1
.LBB31_2644:
	s_or_b32 exec_lo, exec_lo, s18
.LBB31_2645:
	s_mov_b32 s18, -1
.LBB31_2646:
	s_mov_b32 s19, 0
.LBB31_2647:
	s_delay_alu instid0(SALU_CYCLE_1)
	s_and_b32 vcc_lo, exec_lo, s19
	s_cbranch_vccz .LBB31_2678
; %bb.2648:
	s_cmp_gt_i32 s14, 22
	s_cbranch_scc0 .LBB31_2656
; %bb.2649:
	s_cmp_lt_i32 s14, 24
	s_cbranch_scc1 .LBB31_2659
; %bb.2650:
	s_cmp_gt_i32 s14, 24
	s_cbranch_scc0 .LBB31_2660
; %bb.2651:
	global_load_u8 v1, v[32:33], off
	s_mov_b32 s18, 0
	s_mov_b32 s17, exec_lo
	s_wait_loadcnt 0x0
	v_cmpx_lt_i16_e32 0x7f, v1
	s_xor_b32 s17, exec_lo, s17
	s_cbranch_execz .LBB31_2672
; %bb.2652:
	v_cmp_ne_u16_e32 vcc_lo, 0x80, v1
	s_and_b32 s18, vcc_lo, exec_lo
	s_and_not1_saveexec_b32 s17, s17
	s_cbranch_execnz .LBB31_2673
.LBB31_2653:
	s_or_b32 exec_lo, exec_lo, s17
	v_mov_b32_e32 v22, 0
	s_and_saveexec_b32 s17, s18
	s_cbranch_execz .LBB31_2655
.LBB31_2654:
	v_and_b32_e32 v3, 0xffff, v1
	s_delay_alu instid0(VALU_DEP_1) | instskip(SKIP_1) | instid1(VALU_DEP_2)
	v_dual_lshlrev_b32 v1, 24, v1 :: v_dual_bitop2_b32 v5, 3, v3 bitop3:0x40
	v_bfe_u32 v11, v3, 2, 5
	v_and_b32_e32 v1, 0x80000000, v1
	s_delay_alu instid0(VALU_DEP_3) | instskip(NEXT) | instid1(VALU_DEP_3)
	v_clz_i32_u32_e32 v7, v5
	v_cmp_eq_u32_e32 vcc_lo, 0, v11
	s_delay_alu instid0(VALU_DEP_2) | instskip(NEXT) | instid1(VALU_DEP_1)
	v_min_u32_e32 v7, 32, v7
	v_subrev_nc_u32_e32 v9, 29, v7
	v_sub_nc_u32_e32 v7, 30, v7
	s_delay_alu instid0(VALU_DEP_2) | instskip(NEXT) | instid1(VALU_DEP_2)
	v_lshlrev_b32_e32 v3, v9, v3
	v_cndmask_b32_e32 v7, v11, v7, vcc_lo
	s_delay_alu instid0(VALU_DEP_2) | instskip(NEXT) | instid1(VALU_DEP_1)
	v_and_b32_e32 v3, 3, v3
	v_cndmask_b32_e32 v3, v5, v3, vcc_lo
	s_delay_alu instid0(VALU_DEP_3) | instskip(NEXT) | instid1(VALU_DEP_2)
	v_lshl_add_u32 v5, v7, 23, 0x37800000
	v_lshlrev_b32_e32 v3, 21, v3
	s_delay_alu instid0(VALU_DEP_1) | instskip(NEXT) | instid1(VALU_DEP_1)
	v_or3_b32 v1, v1, v5, v3
	v_trunc_f32_e32 v1, v1
	s_delay_alu instid0(VALU_DEP_1) | instskip(NEXT) | instid1(VALU_DEP_1)
	v_mul_f32_e64 v3, 0x2f800000, |v1|
	v_floor_f32_e32 v3, v3
	s_delay_alu instid0(VALU_DEP_1) | instskip(SKIP_1) | instid1(VALU_DEP_2)
	v_fma_f32 v3, 0xcf800000, v3, |v1|
	v_ashrrev_i32_e32 v1, 31, v1
	v_cvt_u32_f32_e32 v3, v3
	s_delay_alu instid0(VALU_DEP_1) | instskip(NEXT) | instid1(VALU_DEP_1)
	v_xor_b32_e32 v3, v3, v1
	v_sub_nc_u32_e32 v22, v3, v1
.LBB31_2655:
	s_or_b32 exec_lo, exec_lo, s17
	s_mov_b32 s17, 0
	s_branch .LBB31_2661
.LBB31_2656:
	s_mov_b32 s17, -1
                                        ; implicit-def: $vgpr22
	s_branch .LBB31_2667
.LBB31_2657:
	s_and_not1_saveexec_b32 s18, s18
	s_cbranch_execz .LBB31_2642
.LBB31_2658:
	v_cmp_ne_u16_e32 vcc_lo, 0, v1
	s_and_not1_b32 s19, s19, exec_lo
	s_and_b32 s20, vcc_lo, exec_lo
	s_delay_alu instid0(SALU_CYCLE_1)
	s_or_b32 s19, s19, s20
	s_or_b32 exec_lo, exec_lo, s18
	v_mov_b32_e32 v22, 0
	s_and_saveexec_b32 s18, s19
	s_cbranch_execnz .LBB31_2643
	s_branch .LBB31_2644
.LBB31_2659:
	s_mov_b32 s17, -1
                                        ; implicit-def: $vgpr22
	s_branch .LBB31_2664
.LBB31_2660:
	s_mov_b32 s17, -1
                                        ; implicit-def: $vgpr22
.LBB31_2661:
	s_delay_alu instid0(SALU_CYCLE_1)
	s_and_b32 vcc_lo, exec_lo, s17
	s_cbranch_vccz .LBB31_2663
; %bb.2662:
	global_load_u8 v1, v[32:33], off
	s_wait_loadcnt 0x0
	v_lshlrev_b32_e32 v1, 24, v1
	s_delay_alu instid0(VALU_DEP_1) | instskip(NEXT) | instid1(VALU_DEP_1)
	v_and_b32_e32 v3, 0x7f000000, v1
	v_clz_i32_u32_e32 v5, v3
	v_add_nc_u32_e32 v9, 0x1000000, v3
	v_cmp_ne_u32_e32 vcc_lo, 0, v3
	s_delay_alu instid0(VALU_DEP_3) | instskip(NEXT) | instid1(VALU_DEP_1)
	v_min_u32_e32 v5, 32, v5
	v_sub_nc_u32_e64 v5, v5, 4 clamp
	s_delay_alu instid0(VALU_DEP_1) | instskip(NEXT) | instid1(VALU_DEP_1)
	v_dual_lshlrev_b32 v7, v5, v3 :: v_dual_lshlrev_b32 v5, 23, v5
	v_lshrrev_b32_e32 v7, 4, v7
	s_delay_alu instid0(VALU_DEP_1) | instskip(SKIP_1) | instid1(VALU_DEP_2)
	v_sub_nc_u32_e32 v5, v7, v5
	v_ashrrev_i32_e32 v7, 8, v9
	v_add_nc_u32_e32 v5, 0x3c000000, v5
	s_delay_alu instid0(VALU_DEP_1) | instskip(NEXT) | instid1(VALU_DEP_1)
	v_and_or_b32 v5, 0x7f800000, v7, v5
	v_cndmask_b32_e32 v3, 0, v5, vcc_lo
	s_delay_alu instid0(VALU_DEP_1) | instskip(NEXT) | instid1(VALU_DEP_1)
	v_and_or_b32 v1, 0x80000000, v1, v3
	v_trunc_f32_e32 v1, v1
	s_delay_alu instid0(VALU_DEP_1) | instskip(NEXT) | instid1(VALU_DEP_1)
	v_mul_f32_e64 v3, 0x2f800000, |v1|
	v_floor_f32_e32 v3, v3
	s_delay_alu instid0(VALU_DEP_1) | instskip(SKIP_1) | instid1(VALU_DEP_2)
	v_fma_f32 v3, 0xcf800000, v3, |v1|
	v_ashrrev_i32_e32 v1, 31, v1
	v_cvt_u32_f32_e32 v3, v3
	s_delay_alu instid0(VALU_DEP_1) | instskip(NEXT) | instid1(VALU_DEP_1)
	v_xor_b32_e32 v3, v3, v1
	v_sub_nc_u32_e32 v22, v3, v1
.LBB31_2663:
	s_mov_b32 s17, 0
.LBB31_2664:
	s_delay_alu instid0(SALU_CYCLE_1)
	s_and_not1_b32 vcc_lo, exec_lo, s17
	s_cbranch_vccnz .LBB31_2666
; %bb.2665:
	global_load_u8 v1, v[32:33], off
	s_wait_loadcnt 0x0
	v_lshlrev_b32_e32 v3, 25, v1
	v_lshlrev_b16 v1, 8, v1
	s_delay_alu instid0(VALU_DEP_1) | instskip(SKIP_1) | instid1(VALU_DEP_2)
	v_and_or_b32 v7, 0x7f00, v1, 0.5
	v_bfe_i32 v1, v1, 0, 16
	v_add_f32_e32 v7, -0.5, v7
	v_lshrrev_b32_e32 v5, 4, v3
	v_cmp_gt_u32_e32 vcc_lo, 0x8000000, v3
	s_delay_alu instid0(VALU_DEP_2) | instskip(NEXT) | instid1(VALU_DEP_1)
	v_or_b32_e32 v5, 0x70000000, v5
	v_mul_f32_e32 v5, 0x7800000, v5
	s_delay_alu instid0(VALU_DEP_1) | instskip(NEXT) | instid1(VALU_DEP_1)
	v_cndmask_b32_e32 v3, v5, v7, vcc_lo
	v_and_or_b32 v1, 0x80000000, v1, v3
	s_delay_alu instid0(VALU_DEP_1) | instskip(NEXT) | instid1(VALU_DEP_1)
	v_trunc_f32_e32 v1, v1
	v_mul_f32_e64 v3, 0x2f800000, |v1|
	s_delay_alu instid0(VALU_DEP_1) | instskip(NEXT) | instid1(VALU_DEP_1)
	v_floor_f32_e32 v3, v3
	v_fma_f32 v3, 0xcf800000, v3, |v1|
	v_ashrrev_i32_e32 v1, 31, v1
	s_delay_alu instid0(VALU_DEP_2) | instskip(NEXT) | instid1(VALU_DEP_1)
	v_cvt_u32_f32_e32 v3, v3
	v_xor_b32_e32 v3, v3, v1
	s_delay_alu instid0(VALU_DEP_1)
	v_sub_nc_u32_e32 v22, v3, v1
.LBB31_2666:
	s_mov_b32 s17, 0
	s_mov_b32 s18, -1
.LBB31_2667:
	s_and_not1_b32 vcc_lo, exec_lo, s17
	s_mov_b32 s17, 0
	s_cbranch_vccnz .LBB31_2678
; %bb.2668:
	s_cmp_gt_i32 s14, 14
	s_cbranch_scc0 .LBB31_2671
; %bb.2669:
	s_cmp_eq_u32 s14, 15
	s_cbranch_scc0 .LBB31_2674
; %bb.2670:
	global_load_u16 v1, v[32:33], off
	s_mov_b32 s16, 0
	s_mov_b32 s18, -1
	s_wait_loadcnt 0x0
	v_lshlrev_b32_e32 v1, 16, v1
	s_delay_alu instid0(VALU_DEP_1) | instskip(NEXT) | instid1(VALU_DEP_1)
	v_trunc_f32_e32 v1, v1
	v_mul_f32_e64 v3, 0x2f800000, |v1|
	s_delay_alu instid0(VALU_DEP_1) | instskip(NEXT) | instid1(VALU_DEP_1)
	v_floor_f32_e32 v3, v3
	v_fma_f32 v3, 0xcf800000, v3, |v1|
	v_ashrrev_i32_e32 v1, 31, v1
	s_delay_alu instid0(VALU_DEP_2) | instskip(NEXT) | instid1(VALU_DEP_1)
	v_cvt_u32_f32_e32 v3, v3
	v_xor_b32_e32 v3, v3, v1
	s_delay_alu instid0(VALU_DEP_1)
	v_sub_nc_u32_e32 v22, v3, v1
	s_branch .LBB31_2676
.LBB31_2671:
	s_mov_b32 s17, -1
	s_branch .LBB31_2675
.LBB31_2672:
	s_and_not1_saveexec_b32 s17, s17
	s_cbranch_execz .LBB31_2653
.LBB31_2673:
	v_cmp_ne_u16_e32 vcc_lo, 0, v1
	s_and_not1_b32 s18, s18, exec_lo
	s_and_b32 s19, vcc_lo, exec_lo
	s_delay_alu instid0(SALU_CYCLE_1)
	s_or_b32 s18, s18, s19
	s_or_b32 exec_lo, exec_lo, s17
	v_mov_b32_e32 v22, 0
	s_and_saveexec_b32 s17, s18
	s_cbranch_execnz .LBB31_2654
	s_branch .LBB31_2655
.LBB31_2674:
	s_mov_b32 s16, -1
.LBB31_2675:
                                        ; implicit-def: $vgpr22
.LBB31_2676:
	s_and_b32 vcc_lo, exec_lo, s17
	s_mov_b32 s17, 0
	s_cbranch_vccz .LBB31_2678
; %bb.2677:
	s_cmp_lg_u32 s14, 11
	s_mov_b32 s17, -1
	s_cselect_b32 s16, -1, 0
.LBB31_2678:
	s_delay_alu instid0(SALU_CYCLE_1)
	s_and_b32 vcc_lo, exec_lo, s16
	s_cbranch_vccnz .LBB31_2743
; %bb.2679:
	s_and_not1_b32 vcc_lo, exec_lo, s17
	s_cbranch_vccnz .LBB31_2681
.LBB31_2680:
	global_load_u8 v1, v[32:33], off
	s_mov_b32 s18, -1
	s_wait_loadcnt 0x0
	v_cmp_ne_u16_e32 vcc_lo, 0, v1
	v_cndmask_b32_e64 v22, 0, 1, vcc_lo
.LBB31_2681:
	s_mov_b32 s16, 0
.LBB31_2682:
	s_delay_alu instid0(SALU_CYCLE_1)
	s_and_b32 vcc_lo, exec_lo, s16
	s_cbranch_vccz .LBB31_2731
; %bb.2683:
	s_cmp_lt_i32 s14, 5
	s_cbranch_scc1 .LBB31_2688
; %bb.2684:
	s_cmp_lt_i32 s14, 8
	s_cbranch_scc1 .LBB31_2689
	;; [unrolled: 3-line block ×3, first 2 shown]
; %bb.2686:
	s_cmp_gt_i32 s14, 9
	s_cbranch_scc0 .LBB31_2691
; %bb.2687:
	s_wait_loadcnt 0x0
	global_load_b64 v[22:23], v[32:33], off
	s_mov_b32 s16, 0
	s_wait_loadcnt 0x0
	v_trunc_f64_e32 v[22:23], v[22:23]
	s_delay_alu instid0(VALU_DEP_1) | instskip(NEXT) | instid1(VALU_DEP_1)
	v_ldexp_f64 v[34:35], v[22:23], 0xffffffe0
	v_floor_f64_e32 v[34:35], v[34:35]
	s_delay_alu instid0(VALU_DEP_1) | instskip(NEXT) | instid1(VALU_DEP_1)
	v_fmamk_f64 v[22:23], v[34:35], 0xc1f00000, v[22:23]
	v_cvt_u32_f64_e32 v22, v[22:23]
	s_branch .LBB31_2692
.LBB31_2688:
	s_mov_b32 s16, -1
                                        ; implicit-def: $vgpr22
	s_branch .LBB31_2710
.LBB31_2689:
	s_mov_b32 s16, -1
                                        ; implicit-def: $vgpr22
	s_branch .LBB31_2698
.LBB31_2690:
	s_mov_b32 s16, -1
                                        ; implicit-def: $vgpr22
	s_branch .LBB31_2695
.LBB31_2691:
	s_mov_b32 s16, -1
                                        ; implicit-def: $vgpr22
.LBB31_2692:
	s_delay_alu instid0(SALU_CYCLE_1)
	s_and_not1_b32 vcc_lo, exec_lo, s16
	s_cbranch_vccnz .LBB31_2694
; %bb.2693:
	global_load_b32 v1, v[32:33], off
	s_wait_loadcnt 0x0
	v_trunc_f32_e32 v1, v1
	s_delay_alu instid0(VALU_DEP_1) | instskip(NEXT) | instid1(VALU_DEP_1)
	v_mul_f32_e64 v3, 0x2f800000, |v1|
	v_floor_f32_e32 v3, v3
	s_delay_alu instid0(VALU_DEP_1) | instskip(SKIP_1) | instid1(VALU_DEP_2)
	v_fma_f32 v3, 0xcf800000, v3, |v1|
	v_ashrrev_i32_e32 v1, 31, v1
	v_cvt_u32_f32_e32 v3, v3
	s_delay_alu instid0(VALU_DEP_1) | instskip(NEXT) | instid1(VALU_DEP_1)
	v_xor_b32_e32 v3, v3, v1
	v_sub_nc_u32_e32 v22, v3, v1
.LBB31_2694:
	s_mov_b32 s16, 0
.LBB31_2695:
	s_delay_alu instid0(SALU_CYCLE_1)
	s_and_not1_b32 vcc_lo, exec_lo, s16
	s_cbranch_vccnz .LBB31_2697
; %bb.2696:
	global_load_b32 v1, v[32:33], off
	s_wait_loadcnt 0x0
	v_cvt_f32_f16_e32 v1, v1
	s_delay_alu instid0(VALU_DEP_1)
	v_cvt_i32_f32_e32 v22, v1
.LBB31_2697:
	s_mov_b32 s16, 0
.LBB31_2698:
	s_delay_alu instid0(SALU_CYCLE_1)
	s_and_not1_b32 vcc_lo, exec_lo, s16
	s_cbranch_vccnz .LBB31_2709
; %bb.2699:
	s_cmp_lt_i32 s14, 6
	s_cbranch_scc1 .LBB31_2702
; %bb.2700:
	s_cmp_gt_i32 s14, 6
	s_cbranch_scc0 .LBB31_2703
; %bb.2701:
	s_wait_loadcnt 0x0
	global_load_b64 v[22:23], v[32:33], off
	s_mov_b32 s16, 0
	s_wait_loadcnt 0x0
	v_trunc_f64_e32 v[22:23], v[22:23]
	s_delay_alu instid0(VALU_DEP_1) | instskip(NEXT) | instid1(VALU_DEP_1)
	v_ldexp_f64 v[34:35], v[22:23], 0xffffffe0
	v_floor_f64_e32 v[34:35], v[34:35]
	s_delay_alu instid0(VALU_DEP_1) | instskip(NEXT) | instid1(VALU_DEP_1)
	v_fmamk_f64 v[22:23], v[34:35], 0xc1f00000, v[22:23]
	v_cvt_u32_f64_e32 v22, v[22:23]
	s_branch .LBB31_2704
.LBB31_2702:
	s_mov_b32 s16, -1
                                        ; implicit-def: $vgpr22
	s_branch .LBB31_2707
.LBB31_2703:
	s_mov_b32 s16, -1
                                        ; implicit-def: $vgpr22
.LBB31_2704:
	s_delay_alu instid0(SALU_CYCLE_1)
	s_and_not1_b32 vcc_lo, exec_lo, s16
	s_cbranch_vccnz .LBB31_2706
; %bb.2705:
	global_load_b32 v1, v[32:33], off
	s_wait_loadcnt 0x0
	v_trunc_f32_e32 v1, v1
	s_delay_alu instid0(VALU_DEP_1) | instskip(NEXT) | instid1(VALU_DEP_1)
	v_mul_f32_e64 v3, 0x2f800000, |v1|
	v_floor_f32_e32 v3, v3
	s_delay_alu instid0(VALU_DEP_1) | instskip(SKIP_1) | instid1(VALU_DEP_2)
	v_fma_f32 v3, 0xcf800000, v3, |v1|
	v_ashrrev_i32_e32 v1, 31, v1
	v_cvt_u32_f32_e32 v3, v3
	s_delay_alu instid0(VALU_DEP_1) | instskip(NEXT) | instid1(VALU_DEP_1)
	v_xor_b32_e32 v3, v3, v1
	v_sub_nc_u32_e32 v22, v3, v1
.LBB31_2706:
	s_mov_b32 s16, 0
.LBB31_2707:
	s_delay_alu instid0(SALU_CYCLE_1)
	s_and_not1_b32 vcc_lo, exec_lo, s16
	s_cbranch_vccnz .LBB31_2709
; %bb.2708:
	global_load_u16 v1, v[32:33], off
	s_wait_loadcnt 0x0
	v_cvt_f32_f16_e32 v1, v1
	s_delay_alu instid0(VALU_DEP_1)
	v_cvt_i32_f32_e32 v22, v1
.LBB31_2709:
	s_mov_b32 s16, 0
.LBB31_2710:
	s_delay_alu instid0(SALU_CYCLE_1)
	s_and_not1_b32 vcc_lo, exec_lo, s16
	s_cbranch_vccnz .LBB31_2730
; %bb.2711:
	s_cmp_lt_i32 s14, 2
	s_cbranch_scc1 .LBB31_2715
; %bb.2712:
	s_cmp_lt_i32 s14, 3
	s_cbranch_scc1 .LBB31_2716
; %bb.2713:
	s_cmp_gt_i32 s14, 3
	s_cbranch_scc0 .LBB31_2717
; %bb.2714:
	s_wait_loadcnt 0x0
	global_load_b64 v[22:23], v[32:33], off
	s_mov_b32 s16, 0
	s_branch .LBB31_2718
.LBB31_2715:
	s_mov_b32 s16, -1
                                        ; implicit-def: $vgpr22
	s_branch .LBB31_2724
.LBB31_2716:
	s_mov_b32 s16, -1
                                        ; implicit-def: $vgpr22
	s_branch .LBB31_2721
.LBB31_2717:
	s_mov_b32 s16, -1
                                        ; implicit-def: $vgpr22
.LBB31_2718:
	s_delay_alu instid0(SALU_CYCLE_1)
	s_and_not1_b32 vcc_lo, exec_lo, s16
	s_cbranch_vccnz .LBB31_2720
; %bb.2719:
	s_wait_loadcnt 0x0
	global_load_b32 v22, v[32:33], off
.LBB31_2720:
	s_mov_b32 s16, 0
.LBB31_2721:
	s_delay_alu instid0(SALU_CYCLE_1)
	s_and_not1_b32 vcc_lo, exec_lo, s16
	s_cbranch_vccnz .LBB31_2723
; %bb.2722:
	s_wait_loadcnt 0x0
	global_load_u16 v22, v[32:33], off
.LBB31_2723:
	s_mov_b32 s16, 0
.LBB31_2724:
	s_delay_alu instid0(SALU_CYCLE_1)
	s_and_not1_b32 vcc_lo, exec_lo, s16
	s_cbranch_vccnz .LBB31_2730
; %bb.2725:
	s_cmp_gt_i32 s14, 0
	s_mov_b32 s16, 0
	s_cbranch_scc0 .LBB31_2727
; %bb.2726:
	s_wait_loadcnt 0x0
	global_load_u8 v22, v[32:33], off
	s_branch .LBB31_2728
.LBB31_2727:
	s_mov_b32 s16, -1
                                        ; implicit-def: $vgpr22
.LBB31_2728:
	s_delay_alu instid0(SALU_CYCLE_1)
	s_and_not1_b32 vcc_lo, exec_lo, s16
	s_cbranch_vccnz .LBB31_2730
; %bb.2729:
	s_wait_loadcnt 0x0
	global_load_u8 v22, v[32:33], off
.LBB31_2730:
	s_mov_b32 s18, -1
.LBB31_2731:
	s_delay_alu instid0(SALU_CYCLE_1)
	s_and_not1_b32 vcc_lo, exec_lo, s18
	s_cbranch_vccnz .LBB31_4058
; %bb.2732:
	v_mov_b32_e32 v27, 0
	s_and_b32 s15, 0xffff, s15
	s_delay_alu instid0(SALU_CYCLE_1) | instskip(SKIP_1) | instid1(VALU_DEP_1)
	s_cmp_lt_i32 s15, 11
	s_wait_xcnt 0x0
	v_add_nc_u64_e32 v[32:33], s[8:9], v[26:27]
	s_cbranch_scc1 .LBB31_2739
; %bb.2733:
	s_cmp_gt_i32 s15, 25
	s_mov_b32 s17, 0
	s_cbranch_scc0 .LBB31_2740
; %bb.2734:
	s_cmp_gt_i32 s15, 28
	s_cbranch_scc0 .LBB31_2741
; %bb.2735:
	s_cmp_gt_i32 s15, 43
	s_cbranch_scc0 .LBB31_2742
; %bb.2736:
	s_cmp_gt_i32 s15, 45
	s_cbranch_scc0 .LBB31_2744
; %bb.2737:
	s_cmp_eq_u32 s15, 46
	s_mov_b32 s19, 0
	s_cbranch_scc0 .LBB31_2747
; %bb.2738:
	global_load_b32 v1, v[32:33], off
	s_mov_b32 s16, 0
	s_mov_b32 s18, -1
	s_wait_loadcnt 0x0
	v_lshlrev_b32_e32 v1, 16, v1
	s_delay_alu instid0(VALU_DEP_1) | instskip(NEXT) | instid1(VALU_DEP_1)
	v_trunc_f32_e32 v1, v1
	v_mul_f32_e64 v3, 0x2f800000, |v1|
	s_delay_alu instid0(VALU_DEP_1) | instskip(NEXT) | instid1(VALU_DEP_1)
	v_floor_f32_e32 v3, v3
	v_fma_f32 v3, 0xcf800000, v3, |v1|
	v_ashrrev_i32_e32 v1, 31, v1
	s_delay_alu instid0(VALU_DEP_2) | instskip(NEXT) | instid1(VALU_DEP_1)
	v_cvt_u32_f32_e32 v3, v3
	v_xor_b32_e32 v3, v3, v1
	s_delay_alu instid0(VALU_DEP_1)
	v_sub_nc_u32_e32 v26, v3, v1
	s_branch .LBB31_2749
.LBB31_2739:
	s_mov_b32 s16, -1
	s_mov_b32 s18, 0
                                        ; implicit-def: $vgpr26
	s_branch .LBB31_2811
.LBB31_2740:
	s_mov_b32 s19, -1
	s_mov_b32 s18, 0
	s_mov_b32 s16, 0
                                        ; implicit-def: $vgpr26
	s_branch .LBB31_2776
.LBB31_2741:
	s_mov_b32 s19, -1
	s_mov_b32 s18, 0
	s_mov_b32 s16, 0
                                        ; implicit-def: $vgpr26
	s_branch .LBB31_2759
.LBB31_2742:
	s_mov_b32 s19, -1
	s_mov_b32 s18, 0
	s_mov_b32 s16, 0
                                        ; implicit-def: $vgpr26
	s_branch .LBB31_2754
.LBB31_2743:
	s_or_b32 s12, s12, exec_lo
	s_trap 2
	s_cbranch_execz .LBB31_2680
	s_branch .LBB31_2681
.LBB31_2744:
	s_mov_b32 s19, -1
	s_mov_b32 s18, 0
	s_mov_b32 s16, 0
	s_branch .LBB31_2748
.LBB31_2745:
	s_and_not1_saveexec_b32 s61, s61
	s_cbranch_execz .LBB31_1462
.LBB31_2746:
	v_add_f32_e32 v4, 0x46000000, v5
	s_and_not1_b32 s60, s60, exec_lo
	s_delay_alu instid0(VALU_DEP_1) | instskip(NEXT) | instid1(VALU_DEP_1)
	v_and_b32_e32 v4, 0xff, v4
	v_cmp_ne_u32_e32 vcc_lo, 0, v4
	s_and_b32 s62, vcc_lo, exec_lo
	s_delay_alu instid0(SALU_CYCLE_1)
	s_or_b32 s60, s60, s62
	s_or_b32 exec_lo, exec_lo, s61
	v_mov_b32_e32 v6, 0
	s_and_saveexec_b32 s61, s60
	s_cbranch_execnz .LBB31_1463
	s_branch .LBB31_1464
.LBB31_2747:
	s_mov_b32 s16, -1
	s_mov_b32 s18, 0
.LBB31_2748:
                                        ; implicit-def: $vgpr26
.LBB31_2749:
	s_and_b32 vcc_lo, exec_lo, s19
	s_cbranch_vccz .LBB31_2753
; %bb.2750:
	s_cmp_eq_u32 s15, 44
	s_cbranch_scc0 .LBB31_2752
; %bb.2751:
	global_load_u8 v1, v[32:33], off
	s_mov_b32 s16, 0
	s_mov_b32 s18, -1
	s_wait_loadcnt 0x0
	v_lshlrev_b32_e32 v3, 23, v1
	v_cmp_ne_u32_e32 vcc_lo, 0, v1
	s_delay_alu instid0(VALU_DEP_2) | instskip(NEXT) | instid1(VALU_DEP_1)
	v_trunc_f32_e32 v3, v3
	v_mul_f32_e64 v5, 0x2f800000, |v3|
	s_delay_alu instid0(VALU_DEP_1) | instskip(NEXT) | instid1(VALU_DEP_1)
	v_floor_f32_e32 v5, v5
	v_fma_f32 v5, 0xcf800000, v5, |v3|
	v_ashrrev_i32_e32 v3, 31, v3
	s_delay_alu instid0(VALU_DEP_2) | instskip(NEXT) | instid1(VALU_DEP_1)
	v_cvt_u32_f32_e32 v5, v5
	v_xor_b32_e32 v5, v5, v3
	s_delay_alu instid0(VALU_DEP_1) | instskip(NEXT) | instid1(VALU_DEP_1)
	v_sub_nc_u32_e32 v3, v5, v3
	v_cndmask_b32_e32 v26, 0, v3, vcc_lo
	s_branch .LBB31_2753
.LBB31_2752:
	s_mov_b32 s16, -1
                                        ; implicit-def: $vgpr26
.LBB31_2753:
	s_mov_b32 s19, 0
.LBB31_2754:
	s_delay_alu instid0(SALU_CYCLE_1)
	s_and_b32 vcc_lo, exec_lo, s19
	s_cbranch_vccz .LBB31_2758
; %bb.2755:
	s_cmp_eq_u32 s15, 29
	s_cbranch_scc0 .LBB31_2757
; %bb.2756:
	global_load_b64 v[26:27], v[32:33], off
	s_mov_b32 s16, 0
	s_mov_b32 s18, -1
	s_branch .LBB31_2758
.LBB31_2757:
	s_mov_b32 s16, -1
                                        ; implicit-def: $vgpr26
.LBB31_2758:
	s_mov_b32 s19, 0
.LBB31_2759:
	s_delay_alu instid0(SALU_CYCLE_1)
	s_and_b32 vcc_lo, exec_lo, s19
	s_cbranch_vccz .LBB31_2775
; %bb.2760:
	s_cmp_lt_i32 s15, 27
	s_cbranch_scc1 .LBB31_2763
; %bb.2761:
	s_cmp_gt_i32 s15, 27
	s_cbranch_scc0 .LBB31_2764
; %bb.2762:
	s_wait_loadcnt 0x0
	global_load_b32 v26, v[32:33], off
	s_mov_b32 s18, 0
	s_branch .LBB31_2765
.LBB31_2763:
	s_mov_b32 s18, -1
                                        ; implicit-def: $vgpr26
	s_branch .LBB31_2768
.LBB31_2764:
	s_mov_b32 s18, -1
                                        ; implicit-def: $vgpr26
.LBB31_2765:
	s_delay_alu instid0(SALU_CYCLE_1)
	s_and_not1_b32 vcc_lo, exec_lo, s18
	s_cbranch_vccnz .LBB31_2767
; %bb.2766:
	s_wait_loadcnt 0x0
	global_load_u16 v26, v[32:33], off
.LBB31_2767:
	s_mov_b32 s18, 0
.LBB31_2768:
	s_delay_alu instid0(SALU_CYCLE_1)
	s_and_not1_b32 vcc_lo, exec_lo, s18
	s_cbranch_vccnz .LBB31_2774
; %bb.2769:
	global_load_u8 v1, v[32:33], off
	s_mov_b32 s19, 0
	s_mov_b32 s18, exec_lo
	s_wait_loadcnt 0x0
	v_cmpx_lt_i16_e32 0x7f, v1
	s_xor_b32 s18, exec_lo, s18
	s_cbranch_execz .LBB31_2786
; %bb.2770:
	v_cmp_ne_u16_e32 vcc_lo, 0x80, v1
	s_and_b32 s19, vcc_lo, exec_lo
	s_and_not1_saveexec_b32 s18, s18
	s_cbranch_execnz .LBB31_2787
.LBB31_2771:
	s_or_b32 exec_lo, exec_lo, s18
	v_mov_b32_e32 v26, 0
	s_and_saveexec_b32 s18, s19
	s_cbranch_execz .LBB31_2773
.LBB31_2772:
	v_and_b32_e32 v3, 0xffff, v1
	s_delay_alu instid0(VALU_DEP_1) | instskip(SKIP_1) | instid1(VALU_DEP_2)
	v_dual_lshlrev_b32 v1, 24, v1 :: v_dual_bitop2_b32 v5, 7, v3 bitop3:0x40
	v_bfe_u32 v11, v3, 3, 4
	v_and_b32_e32 v1, 0x80000000, v1
	s_delay_alu instid0(VALU_DEP_3) | instskip(NEXT) | instid1(VALU_DEP_3)
	v_clz_i32_u32_e32 v7, v5
	v_cmp_eq_u32_e32 vcc_lo, 0, v11
	s_delay_alu instid0(VALU_DEP_2) | instskip(NEXT) | instid1(VALU_DEP_1)
	v_min_u32_e32 v7, 32, v7
	v_subrev_nc_u32_e32 v9, 28, v7
	v_sub_nc_u32_e32 v7, 29, v7
	s_delay_alu instid0(VALU_DEP_2) | instskip(NEXT) | instid1(VALU_DEP_2)
	v_lshlrev_b32_e32 v3, v9, v3
	v_cndmask_b32_e32 v7, v11, v7, vcc_lo
	s_delay_alu instid0(VALU_DEP_2) | instskip(NEXT) | instid1(VALU_DEP_1)
	v_and_b32_e32 v3, 7, v3
	v_cndmask_b32_e32 v3, v5, v3, vcc_lo
	s_delay_alu instid0(VALU_DEP_3) | instskip(NEXT) | instid1(VALU_DEP_2)
	v_lshl_add_u32 v5, v7, 23, 0x3b800000
	v_lshlrev_b32_e32 v3, 20, v3
	s_delay_alu instid0(VALU_DEP_1) | instskip(NEXT) | instid1(VALU_DEP_1)
	v_or3_b32 v1, v1, v5, v3
	v_trunc_f32_e32 v1, v1
	s_delay_alu instid0(VALU_DEP_1) | instskip(NEXT) | instid1(VALU_DEP_1)
	v_mul_f32_e64 v3, 0x2f800000, |v1|
	v_floor_f32_e32 v3, v3
	s_delay_alu instid0(VALU_DEP_1) | instskip(SKIP_1) | instid1(VALU_DEP_2)
	v_fma_f32 v3, 0xcf800000, v3, |v1|
	v_ashrrev_i32_e32 v1, 31, v1
	v_cvt_u32_f32_e32 v3, v3
	s_delay_alu instid0(VALU_DEP_1) | instskip(NEXT) | instid1(VALU_DEP_1)
	v_xor_b32_e32 v3, v3, v1
	v_sub_nc_u32_e32 v26, v3, v1
.LBB31_2773:
	s_or_b32 exec_lo, exec_lo, s18
.LBB31_2774:
	s_mov_b32 s18, -1
.LBB31_2775:
	s_mov_b32 s19, 0
.LBB31_2776:
	s_delay_alu instid0(SALU_CYCLE_1)
	s_and_b32 vcc_lo, exec_lo, s19
	s_cbranch_vccz .LBB31_2807
; %bb.2777:
	s_cmp_gt_i32 s15, 22
	s_cbranch_scc0 .LBB31_2785
; %bb.2778:
	s_cmp_lt_i32 s15, 24
	s_cbranch_scc1 .LBB31_2788
; %bb.2779:
	s_cmp_gt_i32 s15, 24
	s_cbranch_scc0 .LBB31_2789
; %bb.2780:
	global_load_u8 v1, v[32:33], off
	s_mov_b32 s18, 0
	s_mov_b32 s17, exec_lo
	s_wait_loadcnt 0x0
	v_cmpx_lt_i16_e32 0x7f, v1
	s_xor_b32 s17, exec_lo, s17
	s_cbranch_execz .LBB31_2801
; %bb.2781:
	v_cmp_ne_u16_e32 vcc_lo, 0x80, v1
	s_and_b32 s18, vcc_lo, exec_lo
	s_and_not1_saveexec_b32 s17, s17
	s_cbranch_execnz .LBB31_2802
.LBB31_2782:
	s_or_b32 exec_lo, exec_lo, s17
	v_mov_b32_e32 v26, 0
	s_and_saveexec_b32 s17, s18
	s_cbranch_execz .LBB31_2784
.LBB31_2783:
	v_and_b32_e32 v3, 0xffff, v1
	s_delay_alu instid0(VALU_DEP_1) | instskip(SKIP_1) | instid1(VALU_DEP_2)
	v_dual_lshlrev_b32 v1, 24, v1 :: v_dual_bitop2_b32 v5, 3, v3 bitop3:0x40
	v_bfe_u32 v11, v3, 2, 5
	v_and_b32_e32 v1, 0x80000000, v1
	s_delay_alu instid0(VALU_DEP_3) | instskip(NEXT) | instid1(VALU_DEP_3)
	v_clz_i32_u32_e32 v7, v5
	v_cmp_eq_u32_e32 vcc_lo, 0, v11
	s_delay_alu instid0(VALU_DEP_2) | instskip(NEXT) | instid1(VALU_DEP_1)
	v_min_u32_e32 v7, 32, v7
	v_subrev_nc_u32_e32 v9, 29, v7
	v_sub_nc_u32_e32 v7, 30, v7
	s_delay_alu instid0(VALU_DEP_2) | instskip(NEXT) | instid1(VALU_DEP_2)
	v_lshlrev_b32_e32 v3, v9, v3
	v_cndmask_b32_e32 v7, v11, v7, vcc_lo
	s_delay_alu instid0(VALU_DEP_2) | instskip(NEXT) | instid1(VALU_DEP_1)
	v_and_b32_e32 v3, 3, v3
	v_cndmask_b32_e32 v3, v5, v3, vcc_lo
	s_delay_alu instid0(VALU_DEP_3) | instskip(NEXT) | instid1(VALU_DEP_2)
	v_lshl_add_u32 v5, v7, 23, 0x37800000
	v_lshlrev_b32_e32 v3, 21, v3
	s_delay_alu instid0(VALU_DEP_1) | instskip(NEXT) | instid1(VALU_DEP_1)
	v_or3_b32 v1, v1, v5, v3
	v_trunc_f32_e32 v1, v1
	s_delay_alu instid0(VALU_DEP_1) | instskip(NEXT) | instid1(VALU_DEP_1)
	v_mul_f32_e64 v3, 0x2f800000, |v1|
	v_floor_f32_e32 v3, v3
	s_delay_alu instid0(VALU_DEP_1) | instskip(SKIP_1) | instid1(VALU_DEP_2)
	v_fma_f32 v3, 0xcf800000, v3, |v1|
	v_ashrrev_i32_e32 v1, 31, v1
	v_cvt_u32_f32_e32 v3, v3
	s_delay_alu instid0(VALU_DEP_1) | instskip(NEXT) | instid1(VALU_DEP_1)
	v_xor_b32_e32 v3, v3, v1
	v_sub_nc_u32_e32 v26, v3, v1
.LBB31_2784:
	s_or_b32 exec_lo, exec_lo, s17
	s_mov_b32 s17, 0
	s_branch .LBB31_2790
.LBB31_2785:
	s_mov_b32 s17, -1
                                        ; implicit-def: $vgpr26
	s_branch .LBB31_2796
.LBB31_2786:
	s_and_not1_saveexec_b32 s18, s18
	s_cbranch_execz .LBB31_2771
.LBB31_2787:
	v_cmp_ne_u16_e32 vcc_lo, 0, v1
	s_and_not1_b32 s19, s19, exec_lo
	s_and_b32 s20, vcc_lo, exec_lo
	s_delay_alu instid0(SALU_CYCLE_1)
	s_or_b32 s19, s19, s20
	s_or_b32 exec_lo, exec_lo, s18
	v_mov_b32_e32 v26, 0
	s_and_saveexec_b32 s18, s19
	s_cbranch_execnz .LBB31_2772
	s_branch .LBB31_2773
.LBB31_2788:
	s_mov_b32 s17, -1
                                        ; implicit-def: $vgpr26
	s_branch .LBB31_2793
.LBB31_2789:
	s_mov_b32 s17, -1
                                        ; implicit-def: $vgpr26
.LBB31_2790:
	s_delay_alu instid0(SALU_CYCLE_1)
	s_and_b32 vcc_lo, exec_lo, s17
	s_cbranch_vccz .LBB31_2792
; %bb.2791:
	global_load_u8 v1, v[32:33], off
	s_wait_loadcnt 0x0
	v_lshlrev_b32_e32 v1, 24, v1
	s_delay_alu instid0(VALU_DEP_1) | instskip(NEXT) | instid1(VALU_DEP_1)
	v_and_b32_e32 v3, 0x7f000000, v1
	v_clz_i32_u32_e32 v5, v3
	v_add_nc_u32_e32 v9, 0x1000000, v3
	v_cmp_ne_u32_e32 vcc_lo, 0, v3
	s_delay_alu instid0(VALU_DEP_3) | instskip(NEXT) | instid1(VALU_DEP_1)
	v_min_u32_e32 v5, 32, v5
	v_sub_nc_u32_e64 v5, v5, 4 clamp
	s_delay_alu instid0(VALU_DEP_1) | instskip(NEXT) | instid1(VALU_DEP_1)
	v_dual_lshlrev_b32 v7, v5, v3 :: v_dual_lshlrev_b32 v5, 23, v5
	v_lshrrev_b32_e32 v7, 4, v7
	s_delay_alu instid0(VALU_DEP_1) | instskip(SKIP_1) | instid1(VALU_DEP_2)
	v_sub_nc_u32_e32 v5, v7, v5
	v_ashrrev_i32_e32 v7, 8, v9
	v_add_nc_u32_e32 v5, 0x3c000000, v5
	s_delay_alu instid0(VALU_DEP_1) | instskip(NEXT) | instid1(VALU_DEP_1)
	v_and_or_b32 v5, 0x7f800000, v7, v5
	v_cndmask_b32_e32 v3, 0, v5, vcc_lo
	s_delay_alu instid0(VALU_DEP_1) | instskip(NEXT) | instid1(VALU_DEP_1)
	v_and_or_b32 v1, 0x80000000, v1, v3
	v_trunc_f32_e32 v1, v1
	s_delay_alu instid0(VALU_DEP_1) | instskip(NEXT) | instid1(VALU_DEP_1)
	v_mul_f32_e64 v3, 0x2f800000, |v1|
	v_floor_f32_e32 v3, v3
	s_delay_alu instid0(VALU_DEP_1) | instskip(SKIP_1) | instid1(VALU_DEP_2)
	v_fma_f32 v3, 0xcf800000, v3, |v1|
	v_ashrrev_i32_e32 v1, 31, v1
	v_cvt_u32_f32_e32 v3, v3
	s_delay_alu instid0(VALU_DEP_1) | instskip(NEXT) | instid1(VALU_DEP_1)
	v_xor_b32_e32 v3, v3, v1
	v_sub_nc_u32_e32 v26, v3, v1
.LBB31_2792:
	s_mov_b32 s17, 0
.LBB31_2793:
	s_delay_alu instid0(SALU_CYCLE_1)
	s_and_not1_b32 vcc_lo, exec_lo, s17
	s_cbranch_vccnz .LBB31_2795
; %bb.2794:
	global_load_u8 v1, v[32:33], off
	s_wait_loadcnt 0x0
	v_lshlrev_b32_e32 v3, 25, v1
	v_lshlrev_b16 v1, 8, v1
	s_delay_alu instid0(VALU_DEP_1) | instskip(SKIP_1) | instid1(VALU_DEP_2)
	v_and_or_b32 v7, 0x7f00, v1, 0.5
	v_bfe_i32 v1, v1, 0, 16
	v_add_f32_e32 v7, -0.5, v7
	v_lshrrev_b32_e32 v5, 4, v3
	v_cmp_gt_u32_e32 vcc_lo, 0x8000000, v3
	s_delay_alu instid0(VALU_DEP_2) | instskip(NEXT) | instid1(VALU_DEP_1)
	v_or_b32_e32 v5, 0x70000000, v5
	v_mul_f32_e32 v5, 0x7800000, v5
	s_delay_alu instid0(VALU_DEP_1) | instskip(NEXT) | instid1(VALU_DEP_1)
	v_cndmask_b32_e32 v3, v5, v7, vcc_lo
	v_and_or_b32 v1, 0x80000000, v1, v3
	s_delay_alu instid0(VALU_DEP_1) | instskip(NEXT) | instid1(VALU_DEP_1)
	v_trunc_f32_e32 v1, v1
	v_mul_f32_e64 v3, 0x2f800000, |v1|
	s_delay_alu instid0(VALU_DEP_1) | instskip(NEXT) | instid1(VALU_DEP_1)
	v_floor_f32_e32 v3, v3
	v_fma_f32 v3, 0xcf800000, v3, |v1|
	v_ashrrev_i32_e32 v1, 31, v1
	s_delay_alu instid0(VALU_DEP_2) | instskip(NEXT) | instid1(VALU_DEP_1)
	v_cvt_u32_f32_e32 v3, v3
	v_xor_b32_e32 v3, v3, v1
	s_delay_alu instid0(VALU_DEP_1)
	v_sub_nc_u32_e32 v26, v3, v1
.LBB31_2795:
	s_mov_b32 s17, 0
	s_mov_b32 s18, -1
.LBB31_2796:
	s_and_not1_b32 vcc_lo, exec_lo, s17
	s_mov_b32 s17, 0
	s_cbranch_vccnz .LBB31_2807
; %bb.2797:
	s_cmp_gt_i32 s15, 14
	s_cbranch_scc0 .LBB31_2800
; %bb.2798:
	s_cmp_eq_u32 s15, 15
	s_cbranch_scc0 .LBB31_2803
; %bb.2799:
	global_load_u16 v1, v[32:33], off
	s_mov_b32 s16, 0
	s_mov_b32 s18, -1
	s_wait_loadcnt 0x0
	v_lshlrev_b32_e32 v1, 16, v1
	s_delay_alu instid0(VALU_DEP_1) | instskip(NEXT) | instid1(VALU_DEP_1)
	v_trunc_f32_e32 v1, v1
	v_mul_f32_e64 v3, 0x2f800000, |v1|
	s_delay_alu instid0(VALU_DEP_1) | instskip(NEXT) | instid1(VALU_DEP_1)
	v_floor_f32_e32 v3, v3
	v_fma_f32 v3, 0xcf800000, v3, |v1|
	v_ashrrev_i32_e32 v1, 31, v1
	s_delay_alu instid0(VALU_DEP_2) | instskip(NEXT) | instid1(VALU_DEP_1)
	v_cvt_u32_f32_e32 v3, v3
	v_xor_b32_e32 v3, v3, v1
	s_delay_alu instid0(VALU_DEP_1)
	v_sub_nc_u32_e32 v26, v3, v1
	s_branch .LBB31_2805
.LBB31_2800:
	s_mov_b32 s17, -1
	s_branch .LBB31_2804
.LBB31_2801:
	s_and_not1_saveexec_b32 s17, s17
	s_cbranch_execz .LBB31_2782
.LBB31_2802:
	v_cmp_ne_u16_e32 vcc_lo, 0, v1
	s_and_not1_b32 s18, s18, exec_lo
	s_and_b32 s19, vcc_lo, exec_lo
	s_delay_alu instid0(SALU_CYCLE_1)
	s_or_b32 s18, s18, s19
	s_or_b32 exec_lo, exec_lo, s17
	v_mov_b32_e32 v26, 0
	s_and_saveexec_b32 s17, s18
	s_cbranch_execnz .LBB31_2783
	s_branch .LBB31_2784
.LBB31_2803:
	s_mov_b32 s16, -1
.LBB31_2804:
                                        ; implicit-def: $vgpr26
.LBB31_2805:
	s_and_b32 vcc_lo, exec_lo, s17
	s_mov_b32 s17, 0
	s_cbranch_vccz .LBB31_2807
; %bb.2806:
	s_cmp_lg_u32 s15, 11
	s_mov_b32 s17, -1
	s_cselect_b32 s16, -1, 0
.LBB31_2807:
	s_delay_alu instid0(SALU_CYCLE_1)
	s_and_b32 vcc_lo, exec_lo, s16
	s_cbranch_vccnz .LBB31_2872
; %bb.2808:
	s_and_not1_b32 vcc_lo, exec_lo, s17
	s_cbranch_vccnz .LBB31_2810
.LBB31_2809:
	global_load_u8 v1, v[32:33], off
	s_mov_b32 s18, -1
	s_wait_loadcnt 0x0
	v_cmp_ne_u16_e32 vcc_lo, 0, v1
	v_cndmask_b32_e64 v26, 0, 1, vcc_lo
.LBB31_2810:
	s_mov_b32 s16, 0
.LBB31_2811:
	s_delay_alu instid0(SALU_CYCLE_1)
	s_and_b32 vcc_lo, exec_lo, s16
	s_cbranch_vccz .LBB31_2860
; %bb.2812:
	s_cmp_lt_i32 s15, 5
	s_cbranch_scc1 .LBB31_2817
; %bb.2813:
	s_cmp_lt_i32 s15, 8
	s_cbranch_scc1 .LBB31_2818
	;; [unrolled: 3-line block ×3, first 2 shown]
; %bb.2815:
	s_cmp_gt_i32 s15, 9
	s_cbranch_scc0 .LBB31_2820
; %bb.2816:
	s_wait_loadcnt 0x0
	global_load_b64 v[26:27], v[32:33], off
	s_mov_b32 s16, 0
	s_wait_loadcnt 0x0
	v_trunc_f64_e32 v[26:27], v[26:27]
	s_delay_alu instid0(VALU_DEP_1) | instskip(NEXT) | instid1(VALU_DEP_1)
	v_ldexp_f64 v[34:35], v[26:27], 0xffffffe0
	v_floor_f64_e32 v[34:35], v[34:35]
	s_delay_alu instid0(VALU_DEP_1) | instskip(NEXT) | instid1(VALU_DEP_1)
	v_fmamk_f64 v[26:27], v[34:35], 0xc1f00000, v[26:27]
	v_cvt_u32_f64_e32 v26, v[26:27]
	s_branch .LBB31_2821
.LBB31_2817:
	s_mov_b32 s16, -1
                                        ; implicit-def: $vgpr26
	s_branch .LBB31_2839
.LBB31_2818:
	s_mov_b32 s16, -1
                                        ; implicit-def: $vgpr26
	s_branch .LBB31_2827
.LBB31_2819:
	s_mov_b32 s16, -1
                                        ; implicit-def: $vgpr26
	s_branch .LBB31_2824
.LBB31_2820:
	s_mov_b32 s16, -1
                                        ; implicit-def: $vgpr26
.LBB31_2821:
	s_delay_alu instid0(SALU_CYCLE_1)
	s_and_not1_b32 vcc_lo, exec_lo, s16
	s_cbranch_vccnz .LBB31_2823
; %bb.2822:
	global_load_b32 v1, v[32:33], off
	s_wait_loadcnt 0x0
	v_trunc_f32_e32 v1, v1
	s_delay_alu instid0(VALU_DEP_1) | instskip(NEXT) | instid1(VALU_DEP_1)
	v_mul_f32_e64 v3, 0x2f800000, |v1|
	v_floor_f32_e32 v3, v3
	s_delay_alu instid0(VALU_DEP_1) | instskip(SKIP_1) | instid1(VALU_DEP_2)
	v_fma_f32 v3, 0xcf800000, v3, |v1|
	v_ashrrev_i32_e32 v1, 31, v1
	v_cvt_u32_f32_e32 v3, v3
	s_delay_alu instid0(VALU_DEP_1) | instskip(NEXT) | instid1(VALU_DEP_1)
	v_xor_b32_e32 v3, v3, v1
	v_sub_nc_u32_e32 v26, v3, v1
.LBB31_2823:
	s_mov_b32 s16, 0
.LBB31_2824:
	s_delay_alu instid0(SALU_CYCLE_1)
	s_and_not1_b32 vcc_lo, exec_lo, s16
	s_cbranch_vccnz .LBB31_2826
; %bb.2825:
	global_load_b32 v1, v[32:33], off
	s_wait_loadcnt 0x0
	v_cvt_f32_f16_e32 v1, v1
	s_delay_alu instid0(VALU_DEP_1)
	v_cvt_i32_f32_e32 v26, v1
.LBB31_2826:
	s_mov_b32 s16, 0
.LBB31_2827:
	s_delay_alu instid0(SALU_CYCLE_1)
	s_and_not1_b32 vcc_lo, exec_lo, s16
	s_cbranch_vccnz .LBB31_2838
; %bb.2828:
	s_cmp_lt_i32 s15, 6
	s_cbranch_scc1 .LBB31_2831
; %bb.2829:
	s_cmp_gt_i32 s15, 6
	s_cbranch_scc0 .LBB31_2832
; %bb.2830:
	s_wait_loadcnt 0x0
	global_load_b64 v[26:27], v[32:33], off
	s_mov_b32 s16, 0
	s_wait_loadcnt 0x0
	v_trunc_f64_e32 v[26:27], v[26:27]
	s_delay_alu instid0(VALU_DEP_1) | instskip(NEXT) | instid1(VALU_DEP_1)
	v_ldexp_f64 v[34:35], v[26:27], 0xffffffe0
	v_floor_f64_e32 v[34:35], v[34:35]
	s_delay_alu instid0(VALU_DEP_1) | instskip(NEXT) | instid1(VALU_DEP_1)
	v_fmamk_f64 v[26:27], v[34:35], 0xc1f00000, v[26:27]
	v_cvt_u32_f64_e32 v26, v[26:27]
	s_branch .LBB31_2833
.LBB31_2831:
	s_mov_b32 s16, -1
                                        ; implicit-def: $vgpr26
	s_branch .LBB31_2836
.LBB31_2832:
	s_mov_b32 s16, -1
                                        ; implicit-def: $vgpr26
.LBB31_2833:
	s_delay_alu instid0(SALU_CYCLE_1)
	s_and_not1_b32 vcc_lo, exec_lo, s16
	s_cbranch_vccnz .LBB31_2835
; %bb.2834:
	global_load_b32 v1, v[32:33], off
	s_wait_loadcnt 0x0
	v_trunc_f32_e32 v1, v1
	s_delay_alu instid0(VALU_DEP_1) | instskip(NEXT) | instid1(VALU_DEP_1)
	v_mul_f32_e64 v3, 0x2f800000, |v1|
	v_floor_f32_e32 v3, v3
	s_delay_alu instid0(VALU_DEP_1) | instskip(SKIP_1) | instid1(VALU_DEP_2)
	v_fma_f32 v3, 0xcf800000, v3, |v1|
	v_ashrrev_i32_e32 v1, 31, v1
	v_cvt_u32_f32_e32 v3, v3
	s_delay_alu instid0(VALU_DEP_1) | instskip(NEXT) | instid1(VALU_DEP_1)
	v_xor_b32_e32 v3, v3, v1
	v_sub_nc_u32_e32 v26, v3, v1
.LBB31_2835:
	s_mov_b32 s16, 0
.LBB31_2836:
	s_delay_alu instid0(SALU_CYCLE_1)
	s_and_not1_b32 vcc_lo, exec_lo, s16
	s_cbranch_vccnz .LBB31_2838
; %bb.2837:
	global_load_u16 v1, v[32:33], off
	s_wait_loadcnt 0x0
	v_cvt_f32_f16_e32 v1, v1
	s_delay_alu instid0(VALU_DEP_1)
	v_cvt_i32_f32_e32 v26, v1
.LBB31_2838:
	s_mov_b32 s16, 0
.LBB31_2839:
	s_delay_alu instid0(SALU_CYCLE_1)
	s_and_not1_b32 vcc_lo, exec_lo, s16
	s_cbranch_vccnz .LBB31_2859
; %bb.2840:
	s_cmp_lt_i32 s15, 2
	s_cbranch_scc1 .LBB31_2844
; %bb.2841:
	s_cmp_lt_i32 s15, 3
	s_cbranch_scc1 .LBB31_2845
; %bb.2842:
	s_cmp_gt_i32 s15, 3
	s_cbranch_scc0 .LBB31_2846
; %bb.2843:
	s_wait_loadcnt 0x0
	global_load_b64 v[26:27], v[32:33], off
	s_mov_b32 s16, 0
	s_branch .LBB31_2847
.LBB31_2844:
	s_mov_b32 s16, -1
                                        ; implicit-def: $vgpr26
	s_branch .LBB31_2853
.LBB31_2845:
	s_mov_b32 s16, -1
                                        ; implicit-def: $vgpr26
	s_branch .LBB31_2850
.LBB31_2846:
	s_mov_b32 s16, -1
                                        ; implicit-def: $vgpr26
.LBB31_2847:
	s_delay_alu instid0(SALU_CYCLE_1)
	s_and_not1_b32 vcc_lo, exec_lo, s16
	s_cbranch_vccnz .LBB31_2849
; %bb.2848:
	s_wait_loadcnt 0x0
	global_load_b32 v26, v[32:33], off
.LBB31_2849:
	s_mov_b32 s16, 0
.LBB31_2850:
	s_delay_alu instid0(SALU_CYCLE_1)
	s_and_not1_b32 vcc_lo, exec_lo, s16
	s_cbranch_vccnz .LBB31_2852
; %bb.2851:
	s_wait_loadcnt 0x0
	global_load_u16 v26, v[32:33], off
.LBB31_2852:
	s_mov_b32 s16, 0
.LBB31_2853:
	s_delay_alu instid0(SALU_CYCLE_1)
	s_and_not1_b32 vcc_lo, exec_lo, s16
	s_cbranch_vccnz .LBB31_2859
; %bb.2854:
	s_cmp_gt_i32 s15, 0
	s_mov_b32 s16, 0
	s_cbranch_scc0 .LBB31_2856
; %bb.2855:
	s_wait_loadcnt 0x0
	global_load_u8 v26, v[32:33], off
	s_branch .LBB31_2857
.LBB31_2856:
	s_mov_b32 s16, -1
                                        ; implicit-def: $vgpr26
.LBB31_2857:
	s_delay_alu instid0(SALU_CYCLE_1)
	s_and_not1_b32 vcc_lo, exec_lo, s16
	s_cbranch_vccnz .LBB31_2859
; %bb.2858:
	s_wait_loadcnt 0x0
	global_load_u8 v26, v[32:33], off
.LBB31_2859:
	s_mov_b32 s18, -1
.LBB31_2860:
	s_delay_alu instid0(SALU_CYCLE_1)
	s_and_not1_b32 vcc_lo, exec_lo, s18
	s_cbranch_vccnz .LBB31_4058
; %bb.2861:
	v_mov_b32_e32 v29, 0
	s_cmp_lt_i32 s13, 11
	s_wait_xcnt 0x0
	s_delay_alu instid0(VALU_DEP_1)
	v_add_nc_u64_e32 v[32:33], s[6:7], v[28:29]
	s_cbranch_scc1 .LBB31_2868
; %bb.2862:
	s_cmp_gt_i32 s13, 25
	s_mov_b32 s17, 0
	s_cbranch_scc0 .LBB31_2869
; %bb.2863:
	s_cmp_gt_i32 s13, 28
	s_cbranch_scc0 .LBB31_2870
; %bb.2864:
	s_cmp_gt_i32 s13, 43
	;; [unrolled: 3-line block ×3, first 2 shown]
	s_cbranch_scc0 .LBB31_2873
; %bb.2866:
	s_cmp_eq_u32 s13, 46
	s_mov_b32 s19, 0
	s_cbranch_scc0 .LBB31_2876
; %bb.2867:
	global_load_b32 v1, v[32:33], off
	s_mov_b32 s16, 0
	s_mov_b32 s18, -1
	s_wait_loadcnt 0x0
	v_lshlrev_b32_e32 v1, 16, v1
	s_delay_alu instid0(VALU_DEP_1) | instskip(NEXT) | instid1(VALU_DEP_1)
	v_trunc_f32_e32 v1, v1
	v_mul_f32_e64 v3, 0x2f800000, |v1|
	s_delay_alu instid0(VALU_DEP_1) | instskip(NEXT) | instid1(VALU_DEP_1)
	v_floor_f32_e32 v3, v3
	v_fma_f32 v3, 0xcf800000, v3, |v1|
	v_ashrrev_i32_e32 v1, 31, v1
	s_delay_alu instid0(VALU_DEP_2) | instskip(NEXT) | instid1(VALU_DEP_1)
	v_cvt_u32_f32_e32 v3, v3
	v_xor_b32_e32 v3, v3, v1
	s_delay_alu instid0(VALU_DEP_1)
	v_sub_nc_u32_e32 v28, v3, v1
	s_branch .LBB31_2878
.LBB31_2868:
	s_mov_b32 s16, -1
	s_mov_b32 s18, 0
                                        ; implicit-def: $vgpr28
	s_branch .LBB31_2940
.LBB31_2869:
	s_mov_b32 s19, -1
	s_mov_b32 s18, 0
	s_mov_b32 s16, 0
                                        ; implicit-def: $vgpr28
	s_branch .LBB31_2905
.LBB31_2870:
	s_mov_b32 s19, -1
	s_mov_b32 s18, 0
	s_mov_b32 s16, 0
                                        ; implicit-def: $vgpr28
	s_branch .LBB31_2888
.LBB31_2871:
	s_mov_b32 s19, -1
	s_mov_b32 s18, 0
	s_mov_b32 s16, 0
                                        ; implicit-def: $vgpr28
	s_branch .LBB31_2883
.LBB31_2872:
	s_or_b32 s12, s12, exec_lo
	s_trap 2
	s_cbranch_execz .LBB31_2809
	s_branch .LBB31_2810
.LBB31_2873:
	s_mov_b32 s19, -1
	s_mov_b32 s18, 0
	s_mov_b32 s16, 0
	s_branch .LBB31_2877
.LBB31_2874:
	s_and_not1_saveexec_b32 s61, s61
	s_cbranch_execz .LBB31_1475
.LBB31_2875:
	v_add_f32_e32 v4, 0x42800000, v5
	s_and_not1_b32 s60, s60, exec_lo
	s_delay_alu instid0(VALU_DEP_1) | instskip(NEXT) | instid1(VALU_DEP_1)
	v_and_b32_e32 v4, 0xff, v4
	v_cmp_ne_u32_e32 vcc_lo, 0, v4
	s_and_b32 s62, vcc_lo, exec_lo
	s_delay_alu instid0(SALU_CYCLE_1)
	s_or_b32 s60, s60, s62
	s_or_b32 exec_lo, exec_lo, s61
	v_mov_b32_e32 v6, 0
	s_and_saveexec_b32 s61, s60
	s_cbranch_execnz .LBB31_1476
	s_branch .LBB31_1477
.LBB31_2876:
	s_mov_b32 s16, -1
	s_mov_b32 s18, 0
.LBB31_2877:
                                        ; implicit-def: $vgpr28
.LBB31_2878:
	s_and_b32 vcc_lo, exec_lo, s19
	s_cbranch_vccz .LBB31_2882
; %bb.2879:
	s_cmp_eq_u32 s13, 44
	s_cbranch_scc0 .LBB31_2881
; %bb.2880:
	global_load_u8 v1, v[32:33], off
	s_mov_b32 s16, 0
	s_mov_b32 s18, -1
	s_wait_loadcnt 0x0
	v_lshlrev_b32_e32 v3, 23, v1
	v_cmp_ne_u32_e32 vcc_lo, 0, v1
	s_delay_alu instid0(VALU_DEP_2) | instskip(NEXT) | instid1(VALU_DEP_1)
	v_trunc_f32_e32 v3, v3
	v_mul_f32_e64 v5, 0x2f800000, |v3|
	s_delay_alu instid0(VALU_DEP_1) | instskip(NEXT) | instid1(VALU_DEP_1)
	v_floor_f32_e32 v5, v5
	v_fma_f32 v5, 0xcf800000, v5, |v3|
	v_ashrrev_i32_e32 v3, 31, v3
	s_delay_alu instid0(VALU_DEP_2) | instskip(NEXT) | instid1(VALU_DEP_1)
	v_cvt_u32_f32_e32 v5, v5
	v_xor_b32_e32 v5, v5, v3
	s_delay_alu instid0(VALU_DEP_1) | instskip(NEXT) | instid1(VALU_DEP_1)
	v_sub_nc_u32_e32 v3, v5, v3
	v_cndmask_b32_e32 v28, 0, v3, vcc_lo
	s_branch .LBB31_2882
.LBB31_2881:
	s_mov_b32 s16, -1
                                        ; implicit-def: $vgpr28
.LBB31_2882:
	s_mov_b32 s19, 0
.LBB31_2883:
	s_delay_alu instid0(SALU_CYCLE_1)
	s_and_b32 vcc_lo, exec_lo, s19
	s_cbranch_vccz .LBB31_2887
; %bb.2884:
	s_cmp_eq_u32 s13, 29
	s_cbranch_scc0 .LBB31_2886
; %bb.2885:
	global_load_b64 v[28:29], v[32:33], off
	s_mov_b32 s16, 0
	s_mov_b32 s18, -1
	s_branch .LBB31_2887
.LBB31_2886:
	s_mov_b32 s16, -1
                                        ; implicit-def: $vgpr28
.LBB31_2887:
	s_mov_b32 s19, 0
.LBB31_2888:
	s_delay_alu instid0(SALU_CYCLE_1)
	s_and_b32 vcc_lo, exec_lo, s19
	s_cbranch_vccz .LBB31_2904
; %bb.2889:
	s_cmp_lt_i32 s13, 27
	s_cbranch_scc1 .LBB31_2892
; %bb.2890:
	s_cmp_gt_i32 s13, 27
	s_cbranch_scc0 .LBB31_2893
; %bb.2891:
	s_wait_loadcnt 0x0
	global_load_b32 v28, v[32:33], off
	s_mov_b32 s18, 0
	s_branch .LBB31_2894
.LBB31_2892:
	s_mov_b32 s18, -1
                                        ; implicit-def: $vgpr28
	s_branch .LBB31_2897
.LBB31_2893:
	s_mov_b32 s18, -1
                                        ; implicit-def: $vgpr28
.LBB31_2894:
	s_delay_alu instid0(SALU_CYCLE_1)
	s_and_not1_b32 vcc_lo, exec_lo, s18
	s_cbranch_vccnz .LBB31_2896
; %bb.2895:
	s_wait_loadcnt 0x0
	global_load_u16 v28, v[32:33], off
.LBB31_2896:
	s_mov_b32 s18, 0
.LBB31_2897:
	s_delay_alu instid0(SALU_CYCLE_1)
	s_and_not1_b32 vcc_lo, exec_lo, s18
	s_cbranch_vccnz .LBB31_2903
; %bb.2898:
	global_load_u8 v1, v[32:33], off
	s_mov_b32 s19, 0
	s_mov_b32 s18, exec_lo
	s_wait_loadcnt 0x0
	v_cmpx_lt_i16_e32 0x7f, v1
	s_xor_b32 s18, exec_lo, s18
	s_cbranch_execz .LBB31_2915
; %bb.2899:
	v_cmp_ne_u16_e32 vcc_lo, 0x80, v1
	s_and_b32 s19, vcc_lo, exec_lo
	s_and_not1_saveexec_b32 s18, s18
	s_cbranch_execnz .LBB31_2916
.LBB31_2900:
	s_or_b32 exec_lo, exec_lo, s18
	v_mov_b32_e32 v28, 0
	s_and_saveexec_b32 s18, s19
	s_cbranch_execz .LBB31_2902
.LBB31_2901:
	v_and_b32_e32 v3, 0xffff, v1
	s_delay_alu instid0(VALU_DEP_1) | instskip(SKIP_1) | instid1(VALU_DEP_2)
	v_dual_lshlrev_b32 v1, 24, v1 :: v_dual_bitop2_b32 v5, 7, v3 bitop3:0x40
	v_bfe_u32 v11, v3, 3, 4
	v_and_b32_e32 v1, 0x80000000, v1
	s_delay_alu instid0(VALU_DEP_3) | instskip(NEXT) | instid1(VALU_DEP_3)
	v_clz_i32_u32_e32 v7, v5
	v_cmp_eq_u32_e32 vcc_lo, 0, v11
	s_delay_alu instid0(VALU_DEP_2) | instskip(NEXT) | instid1(VALU_DEP_1)
	v_min_u32_e32 v7, 32, v7
	v_subrev_nc_u32_e32 v9, 28, v7
	v_sub_nc_u32_e32 v7, 29, v7
	s_delay_alu instid0(VALU_DEP_2) | instskip(NEXT) | instid1(VALU_DEP_2)
	v_lshlrev_b32_e32 v3, v9, v3
	v_cndmask_b32_e32 v7, v11, v7, vcc_lo
	s_delay_alu instid0(VALU_DEP_2) | instskip(NEXT) | instid1(VALU_DEP_1)
	v_and_b32_e32 v3, 7, v3
	v_cndmask_b32_e32 v3, v5, v3, vcc_lo
	s_delay_alu instid0(VALU_DEP_3) | instskip(NEXT) | instid1(VALU_DEP_2)
	v_lshl_add_u32 v5, v7, 23, 0x3b800000
	v_lshlrev_b32_e32 v3, 20, v3
	s_delay_alu instid0(VALU_DEP_1) | instskip(NEXT) | instid1(VALU_DEP_1)
	v_or3_b32 v1, v1, v5, v3
	v_trunc_f32_e32 v1, v1
	s_delay_alu instid0(VALU_DEP_1) | instskip(NEXT) | instid1(VALU_DEP_1)
	v_mul_f32_e64 v3, 0x2f800000, |v1|
	v_floor_f32_e32 v3, v3
	s_delay_alu instid0(VALU_DEP_1) | instskip(SKIP_1) | instid1(VALU_DEP_2)
	v_fma_f32 v3, 0xcf800000, v3, |v1|
	v_ashrrev_i32_e32 v1, 31, v1
	v_cvt_u32_f32_e32 v3, v3
	s_delay_alu instid0(VALU_DEP_1) | instskip(NEXT) | instid1(VALU_DEP_1)
	v_xor_b32_e32 v3, v3, v1
	v_sub_nc_u32_e32 v28, v3, v1
.LBB31_2902:
	s_or_b32 exec_lo, exec_lo, s18
.LBB31_2903:
	s_mov_b32 s18, -1
.LBB31_2904:
	s_mov_b32 s19, 0
.LBB31_2905:
	s_delay_alu instid0(SALU_CYCLE_1)
	s_and_b32 vcc_lo, exec_lo, s19
	s_cbranch_vccz .LBB31_2936
; %bb.2906:
	s_cmp_gt_i32 s13, 22
	s_cbranch_scc0 .LBB31_2914
; %bb.2907:
	s_cmp_lt_i32 s13, 24
	s_cbranch_scc1 .LBB31_2917
; %bb.2908:
	s_cmp_gt_i32 s13, 24
	s_cbranch_scc0 .LBB31_2918
; %bb.2909:
	global_load_u8 v1, v[32:33], off
	s_mov_b32 s18, 0
	s_mov_b32 s17, exec_lo
	s_wait_loadcnt 0x0
	v_cmpx_lt_i16_e32 0x7f, v1
	s_xor_b32 s17, exec_lo, s17
	s_cbranch_execz .LBB31_2930
; %bb.2910:
	v_cmp_ne_u16_e32 vcc_lo, 0x80, v1
	s_and_b32 s18, vcc_lo, exec_lo
	s_and_not1_saveexec_b32 s17, s17
	s_cbranch_execnz .LBB31_2931
.LBB31_2911:
	s_or_b32 exec_lo, exec_lo, s17
	v_mov_b32_e32 v28, 0
	s_and_saveexec_b32 s17, s18
	s_cbranch_execz .LBB31_2913
.LBB31_2912:
	v_and_b32_e32 v3, 0xffff, v1
	s_delay_alu instid0(VALU_DEP_1) | instskip(SKIP_1) | instid1(VALU_DEP_2)
	v_dual_lshlrev_b32 v1, 24, v1 :: v_dual_bitop2_b32 v5, 3, v3 bitop3:0x40
	v_bfe_u32 v11, v3, 2, 5
	v_and_b32_e32 v1, 0x80000000, v1
	s_delay_alu instid0(VALU_DEP_3) | instskip(NEXT) | instid1(VALU_DEP_3)
	v_clz_i32_u32_e32 v7, v5
	v_cmp_eq_u32_e32 vcc_lo, 0, v11
	s_delay_alu instid0(VALU_DEP_2) | instskip(NEXT) | instid1(VALU_DEP_1)
	v_min_u32_e32 v7, 32, v7
	v_subrev_nc_u32_e32 v9, 29, v7
	v_sub_nc_u32_e32 v7, 30, v7
	s_delay_alu instid0(VALU_DEP_2) | instskip(NEXT) | instid1(VALU_DEP_2)
	v_lshlrev_b32_e32 v3, v9, v3
	v_cndmask_b32_e32 v7, v11, v7, vcc_lo
	s_delay_alu instid0(VALU_DEP_2) | instskip(NEXT) | instid1(VALU_DEP_1)
	v_and_b32_e32 v3, 3, v3
	v_cndmask_b32_e32 v3, v5, v3, vcc_lo
	s_delay_alu instid0(VALU_DEP_3) | instskip(NEXT) | instid1(VALU_DEP_2)
	v_lshl_add_u32 v5, v7, 23, 0x37800000
	v_lshlrev_b32_e32 v3, 21, v3
	s_delay_alu instid0(VALU_DEP_1) | instskip(NEXT) | instid1(VALU_DEP_1)
	v_or3_b32 v1, v1, v5, v3
	v_trunc_f32_e32 v1, v1
	s_delay_alu instid0(VALU_DEP_1) | instskip(NEXT) | instid1(VALU_DEP_1)
	v_mul_f32_e64 v3, 0x2f800000, |v1|
	v_floor_f32_e32 v3, v3
	s_delay_alu instid0(VALU_DEP_1) | instskip(SKIP_1) | instid1(VALU_DEP_2)
	v_fma_f32 v3, 0xcf800000, v3, |v1|
	v_ashrrev_i32_e32 v1, 31, v1
	v_cvt_u32_f32_e32 v3, v3
	s_delay_alu instid0(VALU_DEP_1) | instskip(NEXT) | instid1(VALU_DEP_1)
	v_xor_b32_e32 v3, v3, v1
	v_sub_nc_u32_e32 v28, v3, v1
.LBB31_2913:
	s_or_b32 exec_lo, exec_lo, s17
	s_mov_b32 s17, 0
	s_branch .LBB31_2919
.LBB31_2914:
	s_mov_b32 s17, -1
                                        ; implicit-def: $vgpr28
	s_branch .LBB31_2925
.LBB31_2915:
	s_and_not1_saveexec_b32 s18, s18
	s_cbranch_execz .LBB31_2900
.LBB31_2916:
	v_cmp_ne_u16_e32 vcc_lo, 0, v1
	s_and_not1_b32 s19, s19, exec_lo
	s_and_b32 s20, vcc_lo, exec_lo
	s_delay_alu instid0(SALU_CYCLE_1)
	s_or_b32 s19, s19, s20
	s_or_b32 exec_lo, exec_lo, s18
	v_mov_b32_e32 v28, 0
	s_and_saveexec_b32 s18, s19
	s_cbranch_execnz .LBB31_2901
	s_branch .LBB31_2902
.LBB31_2917:
	s_mov_b32 s17, -1
                                        ; implicit-def: $vgpr28
	s_branch .LBB31_2922
.LBB31_2918:
	s_mov_b32 s17, -1
                                        ; implicit-def: $vgpr28
.LBB31_2919:
	s_delay_alu instid0(SALU_CYCLE_1)
	s_and_b32 vcc_lo, exec_lo, s17
	s_cbranch_vccz .LBB31_2921
; %bb.2920:
	global_load_u8 v1, v[32:33], off
	s_wait_loadcnt 0x0
	v_lshlrev_b32_e32 v1, 24, v1
	s_delay_alu instid0(VALU_DEP_1) | instskip(NEXT) | instid1(VALU_DEP_1)
	v_and_b32_e32 v3, 0x7f000000, v1
	v_clz_i32_u32_e32 v5, v3
	v_add_nc_u32_e32 v9, 0x1000000, v3
	v_cmp_ne_u32_e32 vcc_lo, 0, v3
	s_delay_alu instid0(VALU_DEP_3) | instskip(NEXT) | instid1(VALU_DEP_1)
	v_min_u32_e32 v5, 32, v5
	v_sub_nc_u32_e64 v5, v5, 4 clamp
	s_delay_alu instid0(VALU_DEP_1) | instskip(NEXT) | instid1(VALU_DEP_1)
	v_dual_lshlrev_b32 v7, v5, v3 :: v_dual_lshlrev_b32 v5, 23, v5
	v_lshrrev_b32_e32 v7, 4, v7
	s_delay_alu instid0(VALU_DEP_1) | instskip(SKIP_1) | instid1(VALU_DEP_2)
	v_sub_nc_u32_e32 v5, v7, v5
	v_ashrrev_i32_e32 v7, 8, v9
	v_add_nc_u32_e32 v5, 0x3c000000, v5
	s_delay_alu instid0(VALU_DEP_1) | instskip(NEXT) | instid1(VALU_DEP_1)
	v_and_or_b32 v5, 0x7f800000, v7, v5
	v_cndmask_b32_e32 v3, 0, v5, vcc_lo
	s_delay_alu instid0(VALU_DEP_1) | instskip(NEXT) | instid1(VALU_DEP_1)
	v_and_or_b32 v1, 0x80000000, v1, v3
	v_trunc_f32_e32 v1, v1
	s_delay_alu instid0(VALU_DEP_1) | instskip(NEXT) | instid1(VALU_DEP_1)
	v_mul_f32_e64 v3, 0x2f800000, |v1|
	v_floor_f32_e32 v3, v3
	s_delay_alu instid0(VALU_DEP_1) | instskip(SKIP_1) | instid1(VALU_DEP_2)
	v_fma_f32 v3, 0xcf800000, v3, |v1|
	v_ashrrev_i32_e32 v1, 31, v1
	v_cvt_u32_f32_e32 v3, v3
	s_delay_alu instid0(VALU_DEP_1) | instskip(NEXT) | instid1(VALU_DEP_1)
	v_xor_b32_e32 v3, v3, v1
	v_sub_nc_u32_e32 v28, v3, v1
.LBB31_2921:
	s_mov_b32 s17, 0
.LBB31_2922:
	s_delay_alu instid0(SALU_CYCLE_1)
	s_and_not1_b32 vcc_lo, exec_lo, s17
	s_cbranch_vccnz .LBB31_2924
; %bb.2923:
	global_load_u8 v1, v[32:33], off
	s_wait_loadcnt 0x0
	v_lshlrev_b32_e32 v3, 25, v1
	v_lshlrev_b16 v1, 8, v1
	s_delay_alu instid0(VALU_DEP_1) | instskip(SKIP_1) | instid1(VALU_DEP_2)
	v_and_or_b32 v7, 0x7f00, v1, 0.5
	v_bfe_i32 v1, v1, 0, 16
	v_add_f32_e32 v7, -0.5, v7
	v_lshrrev_b32_e32 v5, 4, v3
	v_cmp_gt_u32_e32 vcc_lo, 0x8000000, v3
	s_delay_alu instid0(VALU_DEP_2) | instskip(NEXT) | instid1(VALU_DEP_1)
	v_or_b32_e32 v5, 0x70000000, v5
	v_mul_f32_e32 v5, 0x7800000, v5
	s_delay_alu instid0(VALU_DEP_1) | instskip(NEXT) | instid1(VALU_DEP_1)
	v_cndmask_b32_e32 v3, v5, v7, vcc_lo
	v_and_or_b32 v1, 0x80000000, v1, v3
	s_delay_alu instid0(VALU_DEP_1) | instskip(NEXT) | instid1(VALU_DEP_1)
	v_trunc_f32_e32 v1, v1
	v_mul_f32_e64 v3, 0x2f800000, |v1|
	s_delay_alu instid0(VALU_DEP_1) | instskip(NEXT) | instid1(VALU_DEP_1)
	v_floor_f32_e32 v3, v3
	v_fma_f32 v3, 0xcf800000, v3, |v1|
	v_ashrrev_i32_e32 v1, 31, v1
	s_delay_alu instid0(VALU_DEP_2) | instskip(NEXT) | instid1(VALU_DEP_1)
	v_cvt_u32_f32_e32 v3, v3
	v_xor_b32_e32 v3, v3, v1
	s_delay_alu instid0(VALU_DEP_1)
	v_sub_nc_u32_e32 v28, v3, v1
.LBB31_2924:
	s_mov_b32 s17, 0
	s_mov_b32 s18, -1
.LBB31_2925:
	s_and_not1_b32 vcc_lo, exec_lo, s17
	s_mov_b32 s17, 0
	s_cbranch_vccnz .LBB31_2936
; %bb.2926:
	s_cmp_gt_i32 s13, 14
	s_cbranch_scc0 .LBB31_2929
; %bb.2927:
	s_cmp_eq_u32 s13, 15
	s_cbranch_scc0 .LBB31_2932
; %bb.2928:
	global_load_u16 v1, v[32:33], off
	s_mov_b32 s16, 0
	s_mov_b32 s18, -1
	s_wait_loadcnt 0x0
	v_lshlrev_b32_e32 v1, 16, v1
	s_delay_alu instid0(VALU_DEP_1) | instskip(NEXT) | instid1(VALU_DEP_1)
	v_trunc_f32_e32 v1, v1
	v_mul_f32_e64 v3, 0x2f800000, |v1|
	s_delay_alu instid0(VALU_DEP_1) | instskip(NEXT) | instid1(VALU_DEP_1)
	v_floor_f32_e32 v3, v3
	v_fma_f32 v3, 0xcf800000, v3, |v1|
	v_ashrrev_i32_e32 v1, 31, v1
	s_delay_alu instid0(VALU_DEP_2) | instskip(NEXT) | instid1(VALU_DEP_1)
	v_cvt_u32_f32_e32 v3, v3
	v_xor_b32_e32 v3, v3, v1
	s_delay_alu instid0(VALU_DEP_1)
	v_sub_nc_u32_e32 v28, v3, v1
	s_branch .LBB31_2934
.LBB31_2929:
	s_mov_b32 s17, -1
	s_branch .LBB31_2933
.LBB31_2930:
	s_and_not1_saveexec_b32 s17, s17
	s_cbranch_execz .LBB31_2911
.LBB31_2931:
	v_cmp_ne_u16_e32 vcc_lo, 0, v1
	s_and_not1_b32 s18, s18, exec_lo
	s_and_b32 s19, vcc_lo, exec_lo
	s_delay_alu instid0(SALU_CYCLE_1)
	s_or_b32 s18, s18, s19
	s_or_b32 exec_lo, exec_lo, s17
	v_mov_b32_e32 v28, 0
	s_and_saveexec_b32 s17, s18
	s_cbranch_execnz .LBB31_2912
	s_branch .LBB31_2913
.LBB31_2932:
	s_mov_b32 s16, -1
.LBB31_2933:
                                        ; implicit-def: $vgpr28
.LBB31_2934:
	s_and_b32 vcc_lo, exec_lo, s17
	s_mov_b32 s17, 0
	s_cbranch_vccz .LBB31_2936
; %bb.2935:
	s_cmp_lg_u32 s13, 11
	s_mov_b32 s17, -1
	s_cselect_b32 s16, -1, 0
.LBB31_2936:
	s_delay_alu instid0(SALU_CYCLE_1)
	s_and_b32 vcc_lo, exec_lo, s16
	s_cbranch_vccnz .LBB31_3001
; %bb.2937:
	s_and_not1_b32 vcc_lo, exec_lo, s17
	s_cbranch_vccnz .LBB31_2939
.LBB31_2938:
	global_load_u8 v1, v[32:33], off
	s_mov_b32 s18, -1
	s_wait_loadcnt 0x0
	v_cmp_ne_u16_e32 vcc_lo, 0, v1
	v_cndmask_b32_e64 v28, 0, 1, vcc_lo
.LBB31_2939:
	s_mov_b32 s16, 0
.LBB31_2940:
	s_delay_alu instid0(SALU_CYCLE_1)
	s_and_b32 vcc_lo, exec_lo, s16
	s_cbranch_vccz .LBB31_2989
; %bb.2941:
	s_cmp_lt_i32 s13, 5
	s_cbranch_scc1 .LBB31_2946
; %bb.2942:
	s_cmp_lt_i32 s13, 8
	s_cbranch_scc1 .LBB31_2947
	;; [unrolled: 3-line block ×3, first 2 shown]
; %bb.2944:
	s_cmp_gt_i32 s13, 9
	s_cbranch_scc0 .LBB31_2949
; %bb.2945:
	s_wait_loadcnt 0x0
	global_load_b64 v[28:29], v[32:33], off
	s_mov_b32 s16, 0
	s_wait_loadcnt 0x0
	v_trunc_f64_e32 v[28:29], v[28:29]
	s_delay_alu instid0(VALU_DEP_1) | instskip(NEXT) | instid1(VALU_DEP_1)
	v_ldexp_f64 v[34:35], v[28:29], 0xffffffe0
	v_floor_f64_e32 v[34:35], v[34:35]
	s_delay_alu instid0(VALU_DEP_1) | instskip(NEXT) | instid1(VALU_DEP_1)
	v_fmamk_f64 v[28:29], v[34:35], 0xc1f00000, v[28:29]
	v_cvt_u32_f64_e32 v28, v[28:29]
	s_branch .LBB31_2950
.LBB31_2946:
	s_mov_b32 s16, -1
                                        ; implicit-def: $vgpr28
	s_branch .LBB31_2968
.LBB31_2947:
	s_mov_b32 s16, -1
                                        ; implicit-def: $vgpr28
	s_branch .LBB31_2956
.LBB31_2948:
	s_mov_b32 s16, -1
                                        ; implicit-def: $vgpr28
	s_branch .LBB31_2953
.LBB31_2949:
	s_mov_b32 s16, -1
                                        ; implicit-def: $vgpr28
.LBB31_2950:
	s_delay_alu instid0(SALU_CYCLE_1)
	s_and_not1_b32 vcc_lo, exec_lo, s16
	s_cbranch_vccnz .LBB31_2952
; %bb.2951:
	global_load_b32 v1, v[32:33], off
	s_wait_loadcnt 0x0
	v_trunc_f32_e32 v1, v1
	s_delay_alu instid0(VALU_DEP_1) | instskip(NEXT) | instid1(VALU_DEP_1)
	v_mul_f32_e64 v3, 0x2f800000, |v1|
	v_floor_f32_e32 v3, v3
	s_delay_alu instid0(VALU_DEP_1) | instskip(SKIP_1) | instid1(VALU_DEP_2)
	v_fma_f32 v3, 0xcf800000, v3, |v1|
	v_ashrrev_i32_e32 v1, 31, v1
	v_cvt_u32_f32_e32 v3, v3
	s_delay_alu instid0(VALU_DEP_1) | instskip(NEXT) | instid1(VALU_DEP_1)
	v_xor_b32_e32 v3, v3, v1
	v_sub_nc_u32_e32 v28, v3, v1
.LBB31_2952:
	s_mov_b32 s16, 0
.LBB31_2953:
	s_delay_alu instid0(SALU_CYCLE_1)
	s_and_not1_b32 vcc_lo, exec_lo, s16
	s_cbranch_vccnz .LBB31_2955
; %bb.2954:
	global_load_b32 v1, v[32:33], off
	s_wait_loadcnt 0x0
	v_cvt_f32_f16_e32 v1, v1
	s_delay_alu instid0(VALU_DEP_1)
	v_cvt_i32_f32_e32 v28, v1
.LBB31_2955:
	s_mov_b32 s16, 0
.LBB31_2956:
	s_delay_alu instid0(SALU_CYCLE_1)
	s_and_not1_b32 vcc_lo, exec_lo, s16
	s_cbranch_vccnz .LBB31_2967
; %bb.2957:
	s_cmp_lt_i32 s13, 6
	s_cbranch_scc1 .LBB31_2960
; %bb.2958:
	s_cmp_gt_i32 s13, 6
	s_cbranch_scc0 .LBB31_2961
; %bb.2959:
	s_wait_loadcnt 0x0
	global_load_b64 v[28:29], v[32:33], off
	s_mov_b32 s16, 0
	s_wait_loadcnt 0x0
	v_trunc_f64_e32 v[28:29], v[28:29]
	s_delay_alu instid0(VALU_DEP_1) | instskip(NEXT) | instid1(VALU_DEP_1)
	v_ldexp_f64 v[34:35], v[28:29], 0xffffffe0
	v_floor_f64_e32 v[34:35], v[34:35]
	s_delay_alu instid0(VALU_DEP_1) | instskip(NEXT) | instid1(VALU_DEP_1)
	v_fmamk_f64 v[28:29], v[34:35], 0xc1f00000, v[28:29]
	v_cvt_u32_f64_e32 v28, v[28:29]
	s_branch .LBB31_2962
.LBB31_2960:
	s_mov_b32 s16, -1
                                        ; implicit-def: $vgpr28
	s_branch .LBB31_2965
.LBB31_2961:
	s_mov_b32 s16, -1
                                        ; implicit-def: $vgpr28
.LBB31_2962:
	s_delay_alu instid0(SALU_CYCLE_1)
	s_and_not1_b32 vcc_lo, exec_lo, s16
	s_cbranch_vccnz .LBB31_2964
; %bb.2963:
	global_load_b32 v1, v[32:33], off
	s_wait_loadcnt 0x0
	v_trunc_f32_e32 v1, v1
	s_delay_alu instid0(VALU_DEP_1) | instskip(NEXT) | instid1(VALU_DEP_1)
	v_mul_f32_e64 v3, 0x2f800000, |v1|
	v_floor_f32_e32 v3, v3
	s_delay_alu instid0(VALU_DEP_1) | instskip(SKIP_1) | instid1(VALU_DEP_2)
	v_fma_f32 v3, 0xcf800000, v3, |v1|
	v_ashrrev_i32_e32 v1, 31, v1
	v_cvt_u32_f32_e32 v3, v3
	s_delay_alu instid0(VALU_DEP_1) | instskip(NEXT) | instid1(VALU_DEP_1)
	v_xor_b32_e32 v3, v3, v1
	v_sub_nc_u32_e32 v28, v3, v1
.LBB31_2964:
	s_mov_b32 s16, 0
.LBB31_2965:
	s_delay_alu instid0(SALU_CYCLE_1)
	s_and_not1_b32 vcc_lo, exec_lo, s16
	s_cbranch_vccnz .LBB31_2967
; %bb.2966:
	global_load_u16 v1, v[32:33], off
	s_wait_loadcnt 0x0
	v_cvt_f32_f16_e32 v1, v1
	s_delay_alu instid0(VALU_DEP_1)
	v_cvt_i32_f32_e32 v28, v1
.LBB31_2967:
	s_mov_b32 s16, 0
.LBB31_2968:
	s_delay_alu instid0(SALU_CYCLE_1)
	s_and_not1_b32 vcc_lo, exec_lo, s16
	s_cbranch_vccnz .LBB31_2988
; %bb.2969:
	s_cmp_lt_i32 s13, 2
	s_cbranch_scc1 .LBB31_2973
; %bb.2970:
	s_cmp_lt_i32 s13, 3
	s_cbranch_scc1 .LBB31_2974
; %bb.2971:
	s_cmp_gt_i32 s13, 3
	s_cbranch_scc0 .LBB31_2975
; %bb.2972:
	s_wait_loadcnt 0x0
	global_load_b64 v[28:29], v[32:33], off
	s_mov_b32 s16, 0
	s_branch .LBB31_2976
.LBB31_2973:
	s_mov_b32 s16, -1
                                        ; implicit-def: $vgpr28
	s_branch .LBB31_2982
.LBB31_2974:
	s_mov_b32 s16, -1
                                        ; implicit-def: $vgpr28
	s_branch .LBB31_2979
.LBB31_2975:
	s_mov_b32 s16, -1
                                        ; implicit-def: $vgpr28
.LBB31_2976:
	s_delay_alu instid0(SALU_CYCLE_1)
	s_and_not1_b32 vcc_lo, exec_lo, s16
	s_cbranch_vccnz .LBB31_2978
; %bb.2977:
	s_wait_loadcnt 0x0
	global_load_b32 v28, v[32:33], off
.LBB31_2978:
	s_mov_b32 s16, 0
.LBB31_2979:
	s_delay_alu instid0(SALU_CYCLE_1)
	s_and_not1_b32 vcc_lo, exec_lo, s16
	s_cbranch_vccnz .LBB31_2981
; %bb.2980:
	s_wait_loadcnt 0x0
	global_load_u16 v28, v[32:33], off
.LBB31_2981:
	s_mov_b32 s16, 0
.LBB31_2982:
	s_delay_alu instid0(SALU_CYCLE_1)
	s_and_not1_b32 vcc_lo, exec_lo, s16
	s_cbranch_vccnz .LBB31_2988
; %bb.2983:
	s_cmp_gt_i32 s13, 0
	s_mov_b32 s16, 0
	s_cbranch_scc0 .LBB31_2985
; %bb.2984:
	s_wait_loadcnt 0x0
	global_load_u8 v28, v[32:33], off
	s_branch .LBB31_2986
.LBB31_2985:
	s_mov_b32 s16, -1
                                        ; implicit-def: $vgpr28
.LBB31_2986:
	s_delay_alu instid0(SALU_CYCLE_1)
	s_and_not1_b32 vcc_lo, exec_lo, s16
	s_cbranch_vccnz .LBB31_2988
; %bb.2987:
	s_wait_loadcnt 0x0
	global_load_u8 v28, v[32:33], off
.LBB31_2988:
	s_mov_b32 s18, -1
.LBB31_2989:
	s_delay_alu instid0(SALU_CYCLE_1)
	s_and_not1_b32 vcc_lo, exec_lo, s18
	s_cbranch_vccnz .LBB31_4058
; %bb.2990:
	v_mov_b32_e32 v31, 0
	s_cmp_lt_i32 s14, 11
	s_wait_xcnt 0x0
	s_delay_alu instid0(VALU_DEP_1)
	v_add_nc_u64_e32 v[32:33], s[0:1], v[30:31]
	s_cbranch_scc1 .LBB31_2997
; %bb.2991:
	s_cmp_gt_i32 s14, 25
	s_mov_b32 s17, 0
	s_cbranch_scc0 .LBB31_2998
; %bb.2992:
	s_cmp_gt_i32 s14, 28
	s_cbranch_scc0 .LBB31_2999
; %bb.2993:
	s_cmp_gt_i32 s14, 43
	;; [unrolled: 3-line block ×3, first 2 shown]
	s_cbranch_scc0 .LBB31_3002
; %bb.2995:
	s_cmp_eq_u32 s14, 46
	s_mov_b32 s19, 0
	s_cbranch_scc0 .LBB31_3003
; %bb.2996:
	global_load_b32 v1, v[32:33], off
	s_mov_b32 s16, 0
	s_mov_b32 s18, -1
	s_wait_loadcnt 0x0
	v_lshlrev_b32_e32 v1, 16, v1
	s_delay_alu instid0(VALU_DEP_1) | instskip(NEXT) | instid1(VALU_DEP_1)
	v_trunc_f32_e32 v1, v1
	v_mul_f32_e64 v3, 0x2f800000, |v1|
	s_delay_alu instid0(VALU_DEP_1) | instskip(NEXT) | instid1(VALU_DEP_1)
	v_floor_f32_e32 v3, v3
	v_fma_f32 v3, 0xcf800000, v3, |v1|
	v_ashrrev_i32_e32 v1, 31, v1
	s_delay_alu instid0(VALU_DEP_2) | instskip(NEXT) | instid1(VALU_DEP_1)
	v_cvt_u32_f32_e32 v3, v3
	v_xor_b32_e32 v3, v3, v1
	s_delay_alu instid0(VALU_DEP_1)
	v_sub_nc_u32_e32 v30, v3, v1
	s_branch .LBB31_3005
.LBB31_2997:
	s_mov_b32 s16, -1
	s_mov_b32 s18, 0
                                        ; implicit-def: $vgpr30
	s_branch .LBB31_3067
.LBB31_2998:
	s_mov_b32 s19, -1
	s_mov_b32 s18, 0
	s_mov_b32 s16, 0
                                        ; implicit-def: $vgpr30
	s_branch .LBB31_3032
.LBB31_2999:
	s_mov_b32 s19, -1
	s_mov_b32 s18, 0
	s_mov_b32 s16, 0
                                        ; implicit-def: $vgpr30
	s_branch .LBB31_3015
.LBB31_3000:
	s_mov_b32 s19, -1
	s_mov_b32 s18, 0
	s_mov_b32 s16, 0
                                        ; implicit-def: $vgpr30
	s_branch .LBB31_3010
.LBB31_3001:
	s_or_b32 s12, s12, exec_lo
	s_trap 2
	s_cbranch_execz .LBB31_2938
	s_branch .LBB31_2939
.LBB31_3002:
	s_mov_b32 s19, -1
	s_mov_b32 s18, 0
	s_mov_b32 s16, 0
	s_branch .LBB31_3004
.LBB31_3003:
	s_mov_b32 s16, -1
	s_mov_b32 s18, 0
.LBB31_3004:
                                        ; implicit-def: $vgpr30
.LBB31_3005:
	s_and_b32 vcc_lo, exec_lo, s19
	s_cbranch_vccz .LBB31_3009
; %bb.3006:
	s_cmp_eq_u32 s14, 44
	s_cbranch_scc0 .LBB31_3008
; %bb.3007:
	global_load_u8 v1, v[32:33], off
	s_mov_b32 s16, 0
	s_mov_b32 s18, -1
	s_wait_loadcnt 0x0
	v_lshlrev_b32_e32 v3, 23, v1
	v_cmp_ne_u32_e32 vcc_lo, 0, v1
	s_delay_alu instid0(VALU_DEP_2) | instskip(NEXT) | instid1(VALU_DEP_1)
	v_trunc_f32_e32 v3, v3
	v_mul_f32_e64 v5, 0x2f800000, |v3|
	s_delay_alu instid0(VALU_DEP_1) | instskip(NEXT) | instid1(VALU_DEP_1)
	v_floor_f32_e32 v5, v5
	v_fma_f32 v5, 0xcf800000, v5, |v3|
	v_ashrrev_i32_e32 v3, 31, v3
	s_delay_alu instid0(VALU_DEP_2) | instskip(NEXT) | instid1(VALU_DEP_1)
	v_cvt_u32_f32_e32 v5, v5
	v_xor_b32_e32 v5, v5, v3
	s_delay_alu instid0(VALU_DEP_1) | instskip(NEXT) | instid1(VALU_DEP_1)
	v_sub_nc_u32_e32 v3, v5, v3
	v_cndmask_b32_e32 v30, 0, v3, vcc_lo
	s_branch .LBB31_3009
.LBB31_3008:
	s_mov_b32 s16, -1
                                        ; implicit-def: $vgpr30
.LBB31_3009:
	s_mov_b32 s19, 0
.LBB31_3010:
	s_delay_alu instid0(SALU_CYCLE_1)
	s_and_b32 vcc_lo, exec_lo, s19
	s_cbranch_vccz .LBB31_3014
; %bb.3011:
	s_cmp_eq_u32 s14, 29
	s_cbranch_scc0 .LBB31_3013
; %bb.3012:
	global_load_b64 v[30:31], v[32:33], off
	s_mov_b32 s16, 0
	s_mov_b32 s18, -1
	s_branch .LBB31_3014
.LBB31_3013:
	s_mov_b32 s16, -1
                                        ; implicit-def: $vgpr30
.LBB31_3014:
	s_mov_b32 s19, 0
.LBB31_3015:
	s_delay_alu instid0(SALU_CYCLE_1)
	s_and_b32 vcc_lo, exec_lo, s19
	s_cbranch_vccz .LBB31_3031
; %bb.3016:
	s_cmp_lt_i32 s14, 27
	s_cbranch_scc1 .LBB31_3019
; %bb.3017:
	s_cmp_gt_i32 s14, 27
	s_cbranch_scc0 .LBB31_3020
; %bb.3018:
	s_wait_loadcnt 0x0
	global_load_b32 v30, v[32:33], off
	s_mov_b32 s18, 0
	s_branch .LBB31_3021
.LBB31_3019:
	s_mov_b32 s18, -1
                                        ; implicit-def: $vgpr30
	s_branch .LBB31_3024
.LBB31_3020:
	s_mov_b32 s18, -1
                                        ; implicit-def: $vgpr30
.LBB31_3021:
	s_delay_alu instid0(SALU_CYCLE_1)
	s_and_not1_b32 vcc_lo, exec_lo, s18
	s_cbranch_vccnz .LBB31_3023
; %bb.3022:
	s_wait_loadcnt 0x0
	global_load_u16 v30, v[32:33], off
.LBB31_3023:
	s_mov_b32 s18, 0
.LBB31_3024:
	s_delay_alu instid0(SALU_CYCLE_1)
	s_and_not1_b32 vcc_lo, exec_lo, s18
	s_cbranch_vccnz .LBB31_3030
; %bb.3025:
	global_load_u8 v1, v[32:33], off
	s_mov_b32 s19, 0
	s_mov_b32 s18, exec_lo
	s_wait_loadcnt 0x0
	v_cmpx_lt_i16_e32 0x7f, v1
	s_xor_b32 s18, exec_lo, s18
	s_cbranch_execz .LBB31_3042
; %bb.3026:
	v_cmp_ne_u16_e32 vcc_lo, 0x80, v1
	s_and_b32 s19, vcc_lo, exec_lo
	s_and_not1_saveexec_b32 s18, s18
	s_cbranch_execnz .LBB31_3043
.LBB31_3027:
	s_or_b32 exec_lo, exec_lo, s18
	v_mov_b32_e32 v30, 0
	s_and_saveexec_b32 s18, s19
	s_cbranch_execz .LBB31_3029
.LBB31_3028:
	v_and_b32_e32 v3, 0xffff, v1
	s_delay_alu instid0(VALU_DEP_1) | instskip(SKIP_1) | instid1(VALU_DEP_2)
	v_dual_lshlrev_b32 v1, 24, v1 :: v_dual_bitop2_b32 v5, 7, v3 bitop3:0x40
	v_bfe_u32 v11, v3, 3, 4
	v_and_b32_e32 v1, 0x80000000, v1
	s_delay_alu instid0(VALU_DEP_3) | instskip(NEXT) | instid1(VALU_DEP_3)
	v_clz_i32_u32_e32 v7, v5
	v_cmp_eq_u32_e32 vcc_lo, 0, v11
	s_delay_alu instid0(VALU_DEP_2) | instskip(NEXT) | instid1(VALU_DEP_1)
	v_min_u32_e32 v7, 32, v7
	v_subrev_nc_u32_e32 v9, 28, v7
	v_sub_nc_u32_e32 v7, 29, v7
	s_delay_alu instid0(VALU_DEP_2) | instskip(NEXT) | instid1(VALU_DEP_2)
	v_lshlrev_b32_e32 v3, v9, v3
	v_cndmask_b32_e32 v7, v11, v7, vcc_lo
	s_delay_alu instid0(VALU_DEP_2) | instskip(NEXT) | instid1(VALU_DEP_1)
	v_and_b32_e32 v3, 7, v3
	v_cndmask_b32_e32 v3, v5, v3, vcc_lo
	s_delay_alu instid0(VALU_DEP_3) | instskip(NEXT) | instid1(VALU_DEP_2)
	v_lshl_add_u32 v5, v7, 23, 0x3b800000
	v_lshlrev_b32_e32 v3, 20, v3
	s_delay_alu instid0(VALU_DEP_1) | instskip(NEXT) | instid1(VALU_DEP_1)
	v_or3_b32 v1, v1, v5, v3
	v_trunc_f32_e32 v1, v1
	s_delay_alu instid0(VALU_DEP_1) | instskip(NEXT) | instid1(VALU_DEP_1)
	v_mul_f32_e64 v3, 0x2f800000, |v1|
	v_floor_f32_e32 v3, v3
	s_delay_alu instid0(VALU_DEP_1) | instskip(SKIP_1) | instid1(VALU_DEP_2)
	v_fma_f32 v3, 0xcf800000, v3, |v1|
	v_ashrrev_i32_e32 v1, 31, v1
	v_cvt_u32_f32_e32 v3, v3
	s_delay_alu instid0(VALU_DEP_1) | instskip(NEXT) | instid1(VALU_DEP_1)
	v_xor_b32_e32 v3, v3, v1
	v_sub_nc_u32_e32 v30, v3, v1
.LBB31_3029:
	s_or_b32 exec_lo, exec_lo, s18
.LBB31_3030:
	s_mov_b32 s18, -1
.LBB31_3031:
	s_mov_b32 s19, 0
.LBB31_3032:
	s_delay_alu instid0(SALU_CYCLE_1)
	s_and_b32 vcc_lo, exec_lo, s19
	s_cbranch_vccz .LBB31_3063
; %bb.3033:
	s_cmp_gt_i32 s14, 22
	s_cbranch_scc0 .LBB31_3041
; %bb.3034:
	s_cmp_lt_i32 s14, 24
	s_cbranch_scc1 .LBB31_3044
; %bb.3035:
	s_cmp_gt_i32 s14, 24
	s_cbranch_scc0 .LBB31_3045
; %bb.3036:
	global_load_u8 v1, v[32:33], off
	s_mov_b32 s18, 0
	s_mov_b32 s17, exec_lo
	s_wait_loadcnt 0x0
	v_cmpx_lt_i16_e32 0x7f, v1
	s_xor_b32 s17, exec_lo, s17
	s_cbranch_execz .LBB31_3057
; %bb.3037:
	v_cmp_ne_u16_e32 vcc_lo, 0x80, v1
	s_and_b32 s18, vcc_lo, exec_lo
	s_and_not1_saveexec_b32 s17, s17
	s_cbranch_execnz .LBB31_3058
.LBB31_3038:
	s_or_b32 exec_lo, exec_lo, s17
	v_mov_b32_e32 v30, 0
	s_and_saveexec_b32 s17, s18
	s_cbranch_execz .LBB31_3040
.LBB31_3039:
	v_and_b32_e32 v3, 0xffff, v1
	s_delay_alu instid0(VALU_DEP_1) | instskip(SKIP_1) | instid1(VALU_DEP_2)
	v_dual_lshlrev_b32 v1, 24, v1 :: v_dual_bitop2_b32 v5, 3, v3 bitop3:0x40
	v_bfe_u32 v11, v3, 2, 5
	v_and_b32_e32 v1, 0x80000000, v1
	s_delay_alu instid0(VALU_DEP_3) | instskip(NEXT) | instid1(VALU_DEP_3)
	v_clz_i32_u32_e32 v7, v5
	v_cmp_eq_u32_e32 vcc_lo, 0, v11
	s_delay_alu instid0(VALU_DEP_2) | instskip(NEXT) | instid1(VALU_DEP_1)
	v_min_u32_e32 v7, 32, v7
	v_subrev_nc_u32_e32 v9, 29, v7
	v_sub_nc_u32_e32 v7, 30, v7
	s_delay_alu instid0(VALU_DEP_2) | instskip(NEXT) | instid1(VALU_DEP_2)
	v_lshlrev_b32_e32 v3, v9, v3
	v_cndmask_b32_e32 v7, v11, v7, vcc_lo
	s_delay_alu instid0(VALU_DEP_2) | instskip(NEXT) | instid1(VALU_DEP_1)
	v_and_b32_e32 v3, 3, v3
	v_cndmask_b32_e32 v3, v5, v3, vcc_lo
	s_delay_alu instid0(VALU_DEP_3) | instskip(NEXT) | instid1(VALU_DEP_2)
	v_lshl_add_u32 v5, v7, 23, 0x37800000
	v_lshlrev_b32_e32 v3, 21, v3
	s_delay_alu instid0(VALU_DEP_1) | instskip(NEXT) | instid1(VALU_DEP_1)
	v_or3_b32 v1, v1, v5, v3
	v_trunc_f32_e32 v1, v1
	s_delay_alu instid0(VALU_DEP_1) | instskip(NEXT) | instid1(VALU_DEP_1)
	v_mul_f32_e64 v3, 0x2f800000, |v1|
	v_floor_f32_e32 v3, v3
	s_delay_alu instid0(VALU_DEP_1) | instskip(SKIP_1) | instid1(VALU_DEP_2)
	v_fma_f32 v3, 0xcf800000, v3, |v1|
	v_ashrrev_i32_e32 v1, 31, v1
	v_cvt_u32_f32_e32 v3, v3
	s_delay_alu instid0(VALU_DEP_1) | instskip(NEXT) | instid1(VALU_DEP_1)
	v_xor_b32_e32 v3, v3, v1
	v_sub_nc_u32_e32 v30, v3, v1
.LBB31_3040:
	s_or_b32 exec_lo, exec_lo, s17
	s_mov_b32 s17, 0
	s_branch .LBB31_3046
.LBB31_3041:
	s_mov_b32 s17, -1
                                        ; implicit-def: $vgpr30
	s_branch .LBB31_3052
.LBB31_3042:
	s_and_not1_saveexec_b32 s18, s18
	s_cbranch_execz .LBB31_3027
.LBB31_3043:
	v_cmp_ne_u16_e32 vcc_lo, 0, v1
	s_and_not1_b32 s19, s19, exec_lo
	s_and_b32 s20, vcc_lo, exec_lo
	s_delay_alu instid0(SALU_CYCLE_1)
	s_or_b32 s19, s19, s20
	s_or_b32 exec_lo, exec_lo, s18
	v_mov_b32_e32 v30, 0
	s_and_saveexec_b32 s18, s19
	s_cbranch_execnz .LBB31_3028
	s_branch .LBB31_3029
.LBB31_3044:
	s_mov_b32 s17, -1
                                        ; implicit-def: $vgpr30
	s_branch .LBB31_3049
.LBB31_3045:
	s_mov_b32 s17, -1
                                        ; implicit-def: $vgpr30
.LBB31_3046:
	s_delay_alu instid0(SALU_CYCLE_1)
	s_and_b32 vcc_lo, exec_lo, s17
	s_cbranch_vccz .LBB31_3048
; %bb.3047:
	global_load_u8 v1, v[32:33], off
	s_wait_loadcnt 0x0
	v_lshlrev_b32_e32 v1, 24, v1
	s_delay_alu instid0(VALU_DEP_1) | instskip(NEXT) | instid1(VALU_DEP_1)
	v_and_b32_e32 v3, 0x7f000000, v1
	v_clz_i32_u32_e32 v5, v3
	v_add_nc_u32_e32 v9, 0x1000000, v3
	v_cmp_ne_u32_e32 vcc_lo, 0, v3
	s_delay_alu instid0(VALU_DEP_3) | instskip(NEXT) | instid1(VALU_DEP_1)
	v_min_u32_e32 v5, 32, v5
	v_sub_nc_u32_e64 v5, v5, 4 clamp
	s_delay_alu instid0(VALU_DEP_1) | instskip(NEXT) | instid1(VALU_DEP_1)
	v_dual_lshlrev_b32 v7, v5, v3 :: v_dual_lshlrev_b32 v5, 23, v5
	v_lshrrev_b32_e32 v7, 4, v7
	s_delay_alu instid0(VALU_DEP_1) | instskip(SKIP_1) | instid1(VALU_DEP_2)
	v_sub_nc_u32_e32 v5, v7, v5
	v_ashrrev_i32_e32 v7, 8, v9
	v_add_nc_u32_e32 v5, 0x3c000000, v5
	s_delay_alu instid0(VALU_DEP_1) | instskip(NEXT) | instid1(VALU_DEP_1)
	v_and_or_b32 v5, 0x7f800000, v7, v5
	v_cndmask_b32_e32 v3, 0, v5, vcc_lo
	s_delay_alu instid0(VALU_DEP_1) | instskip(NEXT) | instid1(VALU_DEP_1)
	v_and_or_b32 v1, 0x80000000, v1, v3
	v_trunc_f32_e32 v1, v1
	s_delay_alu instid0(VALU_DEP_1) | instskip(NEXT) | instid1(VALU_DEP_1)
	v_mul_f32_e64 v3, 0x2f800000, |v1|
	v_floor_f32_e32 v3, v3
	s_delay_alu instid0(VALU_DEP_1) | instskip(SKIP_1) | instid1(VALU_DEP_2)
	v_fma_f32 v3, 0xcf800000, v3, |v1|
	v_ashrrev_i32_e32 v1, 31, v1
	v_cvt_u32_f32_e32 v3, v3
	s_delay_alu instid0(VALU_DEP_1) | instskip(NEXT) | instid1(VALU_DEP_1)
	v_xor_b32_e32 v3, v3, v1
	v_sub_nc_u32_e32 v30, v3, v1
.LBB31_3048:
	s_mov_b32 s17, 0
.LBB31_3049:
	s_delay_alu instid0(SALU_CYCLE_1)
	s_and_not1_b32 vcc_lo, exec_lo, s17
	s_cbranch_vccnz .LBB31_3051
; %bb.3050:
	global_load_u8 v1, v[32:33], off
	s_wait_loadcnt 0x0
	v_lshlrev_b32_e32 v3, 25, v1
	v_lshlrev_b16 v1, 8, v1
	s_delay_alu instid0(VALU_DEP_1) | instskip(SKIP_1) | instid1(VALU_DEP_2)
	v_and_or_b32 v7, 0x7f00, v1, 0.5
	v_bfe_i32 v1, v1, 0, 16
	v_add_f32_e32 v7, -0.5, v7
	v_lshrrev_b32_e32 v5, 4, v3
	v_cmp_gt_u32_e32 vcc_lo, 0x8000000, v3
	s_delay_alu instid0(VALU_DEP_2) | instskip(NEXT) | instid1(VALU_DEP_1)
	v_or_b32_e32 v5, 0x70000000, v5
	v_mul_f32_e32 v5, 0x7800000, v5
	s_delay_alu instid0(VALU_DEP_1) | instskip(NEXT) | instid1(VALU_DEP_1)
	v_cndmask_b32_e32 v3, v5, v7, vcc_lo
	v_and_or_b32 v1, 0x80000000, v1, v3
	s_delay_alu instid0(VALU_DEP_1) | instskip(NEXT) | instid1(VALU_DEP_1)
	v_trunc_f32_e32 v1, v1
	v_mul_f32_e64 v3, 0x2f800000, |v1|
	s_delay_alu instid0(VALU_DEP_1) | instskip(NEXT) | instid1(VALU_DEP_1)
	v_floor_f32_e32 v3, v3
	v_fma_f32 v3, 0xcf800000, v3, |v1|
	v_ashrrev_i32_e32 v1, 31, v1
	s_delay_alu instid0(VALU_DEP_2) | instskip(NEXT) | instid1(VALU_DEP_1)
	v_cvt_u32_f32_e32 v3, v3
	v_xor_b32_e32 v3, v3, v1
	s_delay_alu instid0(VALU_DEP_1)
	v_sub_nc_u32_e32 v30, v3, v1
.LBB31_3051:
	s_mov_b32 s17, 0
	s_mov_b32 s18, -1
.LBB31_3052:
	s_and_not1_b32 vcc_lo, exec_lo, s17
	s_mov_b32 s17, 0
	s_cbranch_vccnz .LBB31_3063
; %bb.3053:
	s_cmp_gt_i32 s14, 14
	s_cbranch_scc0 .LBB31_3056
; %bb.3054:
	s_cmp_eq_u32 s14, 15
	s_cbranch_scc0 .LBB31_3059
; %bb.3055:
	global_load_u16 v1, v[32:33], off
	s_mov_b32 s16, 0
	s_mov_b32 s18, -1
	s_wait_loadcnt 0x0
	v_lshlrev_b32_e32 v1, 16, v1
	s_delay_alu instid0(VALU_DEP_1) | instskip(NEXT) | instid1(VALU_DEP_1)
	v_trunc_f32_e32 v1, v1
	v_mul_f32_e64 v3, 0x2f800000, |v1|
	s_delay_alu instid0(VALU_DEP_1) | instskip(NEXT) | instid1(VALU_DEP_1)
	v_floor_f32_e32 v3, v3
	v_fma_f32 v3, 0xcf800000, v3, |v1|
	v_ashrrev_i32_e32 v1, 31, v1
	s_delay_alu instid0(VALU_DEP_2) | instskip(NEXT) | instid1(VALU_DEP_1)
	v_cvt_u32_f32_e32 v3, v3
	v_xor_b32_e32 v3, v3, v1
	s_delay_alu instid0(VALU_DEP_1)
	v_sub_nc_u32_e32 v30, v3, v1
	s_branch .LBB31_3061
.LBB31_3056:
	s_mov_b32 s17, -1
	s_branch .LBB31_3060
.LBB31_3057:
	s_and_not1_saveexec_b32 s17, s17
	s_cbranch_execz .LBB31_3038
.LBB31_3058:
	v_cmp_ne_u16_e32 vcc_lo, 0, v1
	s_and_not1_b32 s18, s18, exec_lo
	s_and_b32 s19, vcc_lo, exec_lo
	s_delay_alu instid0(SALU_CYCLE_1)
	s_or_b32 s18, s18, s19
	s_or_b32 exec_lo, exec_lo, s17
	v_mov_b32_e32 v30, 0
	s_and_saveexec_b32 s17, s18
	s_cbranch_execnz .LBB31_3039
	s_branch .LBB31_3040
.LBB31_3059:
	s_mov_b32 s16, -1
.LBB31_3060:
                                        ; implicit-def: $vgpr30
.LBB31_3061:
	s_and_b32 vcc_lo, exec_lo, s17
	s_mov_b32 s17, 0
	s_cbranch_vccz .LBB31_3063
; %bb.3062:
	s_cmp_lg_u32 s14, 11
	s_mov_b32 s17, -1
	s_cselect_b32 s16, -1, 0
.LBB31_3063:
	s_delay_alu instid0(SALU_CYCLE_1)
	s_and_b32 vcc_lo, exec_lo, s16
	s_cbranch_vccnz .LBB31_3128
; %bb.3064:
	s_and_not1_b32 vcc_lo, exec_lo, s17
	s_cbranch_vccnz .LBB31_3066
.LBB31_3065:
	global_load_u8 v1, v[32:33], off
	s_mov_b32 s18, -1
	s_wait_loadcnt 0x0
	v_cmp_ne_u16_e32 vcc_lo, 0, v1
	v_cndmask_b32_e64 v30, 0, 1, vcc_lo
.LBB31_3066:
	s_mov_b32 s16, 0
.LBB31_3067:
	s_delay_alu instid0(SALU_CYCLE_1)
	s_and_b32 vcc_lo, exec_lo, s16
	s_cbranch_vccz .LBB31_3116
; %bb.3068:
	s_cmp_lt_i32 s14, 5
	s_cbranch_scc1 .LBB31_3073
; %bb.3069:
	s_cmp_lt_i32 s14, 8
	s_cbranch_scc1 .LBB31_3074
	;; [unrolled: 3-line block ×3, first 2 shown]
; %bb.3071:
	s_cmp_gt_i32 s14, 9
	s_cbranch_scc0 .LBB31_3076
; %bb.3072:
	s_wait_loadcnt 0x0
	global_load_b64 v[30:31], v[32:33], off
	s_mov_b32 s16, 0
	s_wait_loadcnt 0x0
	v_trunc_f64_e32 v[30:31], v[30:31]
	s_delay_alu instid0(VALU_DEP_1) | instskip(NEXT) | instid1(VALU_DEP_1)
	v_ldexp_f64 v[34:35], v[30:31], 0xffffffe0
	v_floor_f64_e32 v[34:35], v[34:35]
	s_delay_alu instid0(VALU_DEP_1) | instskip(NEXT) | instid1(VALU_DEP_1)
	v_fmamk_f64 v[30:31], v[34:35], 0xc1f00000, v[30:31]
	v_cvt_u32_f64_e32 v30, v[30:31]
	s_branch .LBB31_3077
.LBB31_3073:
	s_mov_b32 s16, -1
                                        ; implicit-def: $vgpr30
	s_branch .LBB31_3095
.LBB31_3074:
	s_mov_b32 s16, -1
                                        ; implicit-def: $vgpr30
	s_branch .LBB31_3083
.LBB31_3075:
	s_mov_b32 s16, -1
                                        ; implicit-def: $vgpr30
	s_branch .LBB31_3080
.LBB31_3076:
	s_mov_b32 s16, -1
                                        ; implicit-def: $vgpr30
.LBB31_3077:
	s_delay_alu instid0(SALU_CYCLE_1)
	s_and_not1_b32 vcc_lo, exec_lo, s16
	s_cbranch_vccnz .LBB31_3079
; %bb.3078:
	global_load_b32 v1, v[32:33], off
	s_wait_loadcnt 0x0
	v_trunc_f32_e32 v1, v1
	s_delay_alu instid0(VALU_DEP_1) | instskip(NEXT) | instid1(VALU_DEP_1)
	v_mul_f32_e64 v3, 0x2f800000, |v1|
	v_floor_f32_e32 v3, v3
	s_delay_alu instid0(VALU_DEP_1) | instskip(SKIP_1) | instid1(VALU_DEP_2)
	v_fma_f32 v3, 0xcf800000, v3, |v1|
	v_ashrrev_i32_e32 v1, 31, v1
	v_cvt_u32_f32_e32 v3, v3
	s_delay_alu instid0(VALU_DEP_1) | instskip(NEXT) | instid1(VALU_DEP_1)
	v_xor_b32_e32 v3, v3, v1
	v_sub_nc_u32_e32 v30, v3, v1
.LBB31_3079:
	s_mov_b32 s16, 0
.LBB31_3080:
	s_delay_alu instid0(SALU_CYCLE_1)
	s_and_not1_b32 vcc_lo, exec_lo, s16
	s_cbranch_vccnz .LBB31_3082
; %bb.3081:
	global_load_b32 v1, v[32:33], off
	s_wait_loadcnt 0x0
	v_cvt_f32_f16_e32 v1, v1
	s_delay_alu instid0(VALU_DEP_1)
	v_cvt_i32_f32_e32 v30, v1
.LBB31_3082:
	s_mov_b32 s16, 0
.LBB31_3083:
	s_delay_alu instid0(SALU_CYCLE_1)
	s_and_not1_b32 vcc_lo, exec_lo, s16
	s_cbranch_vccnz .LBB31_3094
; %bb.3084:
	s_cmp_lt_i32 s14, 6
	s_cbranch_scc1 .LBB31_3087
; %bb.3085:
	s_cmp_gt_i32 s14, 6
	s_cbranch_scc0 .LBB31_3088
; %bb.3086:
	s_wait_loadcnt 0x0
	global_load_b64 v[30:31], v[32:33], off
	s_mov_b32 s16, 0
	s_wait_loadcnt 0x0
	v_trunc_f64_e32 v[30:31], v[30:31]
	s_delay_alu instid0(VALU_DEP_1) | instskip(NEXT) | instid1(VALU_DEP_1)
	v_ldexp_f64 v[34:35], v[30:31], 0xffffffe0
	v_floor_f64_e32 v[34:35], v[34:35]
	s_delay_alu instid0(VALU_DEP_1) | instskip(NEXT) | instid1(VALU_DEP_1)
	v_fmamk_f64 v[30:31], v[34:35], 0xc1f00000, v[30:31]
	v_cvt_u32_f64_e32 v30, v[30:31]
	s_branch .LBB31_3089
.LBB31_3087:
	s_mov_b32 s16, -1
                                        ; implicit-def: $vgpr30
	s_branch .LBB31_3092
.LBB31_3088:
	s_mov_b32 s16, -1
                                        ; implicit-def: $vgpr30
.LBB31_3089:
	s_delay_alu instid0(SALU_CYCLE_1)
	s_and_not1_b32 vcc_lo, exec_lo, s16
	s_cbranch_vccnz .LBB31_3091
; %bb.3090:
	global_load_b32 v1, v[32:33], off
	s_wait_loadcnt 0x0
	v_trunc_f32_e32 v1, v1
	s_delay_alu instid0(VALU_DEP_1) | instskip(NEXT) | instid1(VALU_DEP_1)
	v_mul_f32_e64 v3, 0x2f800000, |v1|
	v_floor_f32_e32 v3, v3
	s_delay_alu instid0(VALU_DEP_1) | instskip(SKIP_1) | instid1(VALU_DEP_2)
	v_fma_f32 v3, 0xcf800000, v3, |v1|
	v_ashrrev_i32_e32 v1, 31, v1
	v_cvt_u32_f32_e32 v3, v3
	s_delay_alu instid0(VALU_DEP_1) | instskip(NEXT) | instid1(VALU_DEP_1)
	v_xor_b32_e32 v3, v3, v1
	v_sub_nc_u32_e32 v30, v3, v1
.LBB31_3091:
	s_mov_b32 s16, 0
.LBB31_3092:
	s_delay_alu instid0(SALU_CYCLE_1)
	s_and_not1_b32 vcc_lo, exec_lo, s16
	s_cbranch_vccnz .LBB31_3094
; %bb.3093:
	global_load_u16 v1, v[32:33], off
	s_wait_loadcnt 0x0
	v_cvt_f32_f16_e32 v1, v1
	s_delay_alu instid0(VALU_DEP_1)
	v_cvt_i32_f32_e32 v30, v1
.LBB31_3094:
	s_mov_b32 s16, 0
.LBB31_3095:
	s_delay_alu instid0(SALU_CYCLE_1)
	s_and_not1_b32 vcc_lo, exec_lo, s16
	s_cbranch_vccnz .LBB31_3115
; %bb.3096:
	s_cmp_lt_i32 s14, 2
	s_cbranch_scc1 .LBB31_3100
; %bb.3097:
	s_cmp_lt_i32 s14, 3
	s_cbranch_scc1 .LBB31_3101
; %bb.3098:
	s_cmp_gt_i32 s14, 3
	s_cbranch_scc0 .LBB31_3102
; %bb.3099:
	s_wait_loadcnt 0x0
	global_load_b64 v[30:31], v[32:33], off
	s_mov_b32 s16, 0
	s_branch .LBB31_3103
.LBB31_3100:
	s_mov_b32 s16, -1
                                        ; implicit-def: $vgpr30
	s_branch .LBB31_3109
.LBB31_3101:
	s_mov_b32 s16, -1
                                        ; implicit-def: $vgpr30
	s_branch .LBB31_3106
.LBB31_3102:
	s_mov_b32 s16, -1
                                        ; implicit-def: $vgpr30
.LBB31_3103:
	s_delay_alu instid0(SALU_CYCLE_1)
	s_and_not1_b32 vcc_lo, exec_lo, s16
	s_cbranch_vccnz .LBB31_3105
; %bb.3104:
	s_wait_loadcnt 0x0
	global_load_b32 v30, v[32:33], off
.LBB31_3105:
	s_mov_b32 s16, 0
.LBB31_3106:
	s_delay_alu instid0(SALU_CYCLE_1)
	s_and_not1_b32 vcc_lo, exec_lo, s16
	s_cbranch_vccnz .LBB31_3108
; %bb.3107:
	s_wait_loadcnt 0x0
	global_load_u16 v30, v[32:33], off
.LBB31_3108:
	s_mov_b32 s16, 0
.LBB31_3109:
	s_delay_alu instid0(SALU_CYCLE_1)
	s_and_not1_b32 vcc_lo, exec_lo, s16
	s_cbranch_vccnz .LBB31_3115
; %bb.3110:
	s_cmp_gt_i32 s14, 0
	s_mov_b32 s16, 0
	s_cbranch_scc0 .LBB31_3112
; %bb.3111:
	s_wait_loadcnt 0x0
	global_load_u8 v30, v[32:33], off
	s_branch .LBB31_3113
.LBB31_3112:
	s_mov_b32 s16, -1
                                        ; implicit-def: $vgpr30
.LBB31_3113:
	s_delay_alu instid0(SALU_CYCLE_1)
	s_and_not1_b32 vcc_lo, exec_lo, s16
	s_cbranch_vccnz .LBB31_3115
; %bb.3114:
	s_wait_loadcnt 0x0
	global_load_u8 v30, v[32:33], off
.LBB31_3115:
	s_mov_b32 s18, -1
.LBB31_3116:
	s_delay_alu instid0(SALU_CYCLE_1)
	s_and_not1_b32 vcc_lo, exec_lo, s18
	s_cbranch_vccnz .LBB31_4058
; %bb.3117:
	v_mov_b32_e32 v25, 0
	s_cmp_lt_i32 s15, 11
	s_wait_xcnt 0x0
	s_delay_alu instid0(VALU_DEP_1)
	v_add_nc_u64_e32 v[32:33], s[8:9], v[24:25]
	s_cbranch_scc1 .LBB31_3124
; %bb.3118:
	s_cmp_gt_i32 s15, 25
	s_mov_b32 s17, 0
	s_cbranch_scc0 .LBB31_3125
; %bb.3119:
	s_cmp_gt_i32 s15, 28
	s_cbranch_scc0 .LBB31_3126
; %bb.3120:
	s_cmp_gt_i32 s15, 43
	;; [unrolled: 3-line block ×3, first 2 shown]
	s_cbranch_scc0 .LBB31_3129
; %bb.3122:
	s_cmp_eq_u32 s15, 46
	s_mov_b32 s19, 0
	s_cbranch_scc0 .LBB31_3130
; %bb.3123:
	global_load_b32 v1, v[32:33], off
	s_mov_b32 s16, 0
	s_mov_b32 s18, -1
	s_wait_loadcnt 0x0
	v_lshlrev_b32_e32 v1, 16, v1
	s_delay_alu instid0(VALU_DEP_1) | instskip(NEXT) | instid1(VALU_DEP_1)
	v_trunc_f32_e32 v1, v1
	v_mul_f32_e64 v3, 0x2f800000, |v1|
	s_delay_alu instid0(VALU_DEP_1) | instskip(NEXT) | instid1(VALU_DEP_1)
	v_floor_f32_e32 v3, v3
	v_fma_f32 v3, 0xcf800000, v3, |v1|
	v_ashrrev_i32_e32 v1, 31, v1
	s_delay_alu instid0(VALU_DEP_2) | instskip(NEXT) | instid1(VALU_DEP_1)
	v_cvt_u32_f32_e32 v3, v3
	v_xor_b32_e32 v3, v3, v1
	s_delay_alu instid0(VALU_DEP_1)
	v_sub_nc_u32_e32 v24, v3, v1
	s_branch .LBB31_3132
.LBB31_3124:
	s_mov_b32 s16, -1
	s_mov_b32 s18, 0
                                        ; implicit-def: $vgpr24
	s_branch .LBB31_3194
.LBB31_3125:
	s_mov_b32 s19, -1
	s_mov_b32 s18, 0
	s_mov_b32 s16, 0
                                        ; implicit-def: $vgpr24
	s_branch .LBB31_3159
.LBB31_3126:
	s_mov_b32 s19, -1
	s_mov_b32 s18, 0
	s_mov_b32 s16, 0
                                        ; implicit-def: $vgpr24
	s_branch .LBB31_3142
.LBB31_3127:
	s_mov_b32 s19, -1
	s_mov_b32 s18, 0
	s_mov_b32 s16, 0
                                        ; implicit-def: $vgpr24
	s_branch .LBB31_3137
.LBB31_3128:
	s_or_b32 s12, s12, exec_lo
	s_trap 2
	s_cbranch_execz .LBB31_3065
	s_branch .LBB31_3066
.LBB31_3129:
	s_mov_b32 s19, -1
	s_mov_b32 s18, 0
	s_mov_b32 s16, 0
	s_branch .LBB31_3131
.LBB31_3130:
	s_mov_b32 s16, -1
	s_mov_b32 s18, 0
.LBB31_3131:
                                        ; implicit-def: $vgpr24
.LBB31_3132:
	s_and_b32 vcc_lo, exec_lo, s19
	s_cbranch_vccz .LBB31_3136
; %bb.3133:
	s_cmp_eq_u32 s15, 44
	s_cbranch_scc0 .LBB31_3135
; %bb.3134:
	global_load_u8 v1, v[32:33], off
	s_mov_b32 s16, 0
	s_mov_b32 s18, -1
	s_wait_loadcnt 0x0
	v_lshlrev_b32_e32 v3, 23, v1
	v_cmp_ne_u32_e32 vcc_lo, 0, v1
	s_delay_alu instid0(VALU_DEP_2) | instskip(NEXT) | instid1(VALU_DEP_1)
	v_trunc_f32_e32 v3, v3
	v_mul_f32_e64 v5, 0x2f800000, |v3|
	s_delay_alu instid0(VALU_DEP_1) | instskip(NEXT) | instid1(VALU_DEP_1)
	v_floor_f32_e32 v5, v5
	v_fma_f32 v5, 0xcf800000, v5, |v3|
	v_ashrrev_i32_e32 v3, 31, v3
	s_delay_alu instid0(VALU_DEP_2) | instskip(NEXT) | instid1(VALU_DEP_1)
	v_cvt_u32_f32_e32 v5, v5
	v_xor_b32_e32 v5, v5, v3
	s_delay_alu instid0(VALU_DEP_1) | instskip(NEXT) | instid1(VALU_DEP_1)
	v_sub_nc_u32_e32 v3, v5, v3
	v_cndmask_b32_e32 v24, 0, v3, vcc_lo
	s_branch .LBB31_3136
.LBB31_3135:
	s_mov_b32 s16, -1
                                        ; implicit-def: $vgpr24
.LBB31_3136:
	s_mov_b32 s19, 0
.LBB31_3137:
	s_delay_alu instid0(SALU_CYCLE_1)
	s_and_b32 vcc_lo, exec_lo, s19
	s_cbranch_vccz .LBB31_3141
; %bb.3138:
	s_cmp_eq_u32 s15, 29
	s_cbranch_scc0 .LBB31_3140
; %bb.3139:
	global_load_b64 v[24:25], v[32:33], off
	s_mov_b32 s16, 0
	s_mov_b32 s18, -1
	s_branch .LBB31_3141
.LBB31_3140:
	s_mov_b32 s16, -1
                                        ; implicit-def: $vgpr24
.LBB31_3141:
	s_mov_b32 s19, 0
.LBB31_3142:
	s_delay_alu instid0(SALU_CYCLE_1)
	s_and_b32 vcc_lo, exec_lo, s19
	s_cbranch_vccz .LBB31_3158
; %bb.3143:
	s_cmp_lt_i32 s15, 27
	s_cbranch_scc1 .LBB31_3146
; %bb.3144:
	s_cmp_gt_i32 s15, 27
	s_cbranch_scc0 .LBB31_3147
; %bb.3145:
	s_wait_loadcnt 0x0
	global_load_b32 v24, v[32:33], off
	s_mov_b32 s18, 0
	s_branch .LBB31_3148
.LBB31_3146:
	s_mov_b32 s18, -1
                                        ; implicit-def: $vgpr24
	s_branch .LBB31_3151
.LBB31_3147:
	s_mov_b32 s18, -1
                                        ; implicit-def: $vgpr24
.LBB31_3148:
	s_delay_alu instid0(SALU_CYCLE_1)
	s_and_not1_b32 vcc_lo, exec_lo, s18
	s_cbranch_vccnz .LBB31_3150
; %bb.3149:
	s_wait_loadcnt 0x0
	global_load_u16 v24, v[32:33], off
.LBB31_3150:
	s_mov_b32 s18, 0
.LBB31_3151:
	s_delay_alu instid0(SALU_CYCLE_1)
	s_and_not1_b32 vcc_lo, exec_lo, s18
	s_cbranch_vccnz .LBB31_3157
; %bb.3152:
	global_load_u8 v1, v[32:33], off
	s_mov_b32 s19, 0
	s_mov_b32 s18, exec_lo
	s_wait_loadcnt 0x0
	v_cmpx_lt_i16_e32 0x7f, v1
	s_xor_b32 s18, exec_lo, s18
	s_cbranch_execz .LBB31_3169
; %bb.3153:
	v_cmp_ne_u16_e32 vcc_lo, 0x80, v1
	s_and_b32 s19, vcc_lo, exec_lo
	s_and_not1_saveexec_b32 s18, s18
	s_cbranch_execnz .LBB31_3170
.LBB31_3154:
	s_or_b32 exec_lo, exec_lo, s18
	v_mov_b32_e32 v24, 0
	s_and_saveexec_b32 s18, s19
	s_cbranch_execz .LBB31_3156
.LBB31_3155:
	v_and_b32_e32 v3, 0xffff, v1
	s_delay_alu instid0(VALU_DEP_1) | instskip(SKIP_1) | instid1(VALU_DEP_2)
	v_dual_lshlrev_b32 v1, 24, v1 :: v_dual_bitop2_b32 v5, 7, v3 bitop3:0x40
	v_bfe_u32 v11, v3, 3, 4
	v_and_b32_e32 v1, 0x80000000, v1
	s_delay_alu instid0(VALU_DEP_3) | instskip(NEXT) | instid1(VALU_DEP_3)
	v_clz_i32_u32_e32 v7, v5
	v_cmp_eq_u32_e32 vcc_lo, 0, v11
	s_delay_alu instid0(VALU_DEP_2) | instskip(NEXT) | instid1(VALU_DEP_1)
	v_min_u32_e32 v7, 32, v7
	v_subrev_nc_u32_e32 v9, 28, v7
	v_sub_nc_u32_e32 v7, 29, v7
	s_delay_alu instid0(VALU_DEP_2) | instskip(NEXT) | instid1(VALU_DEP_2)
	v_lshlrev_b32_e32 v3, v9, v3
	v_cndmask_b32_e32 v7, v11, v7, vcc_lo
	s_delay_alu instid0(VALU_DEP_2) | instskip(NEXT) | instid1(VALU_DEP_1)
	v_and_b32_e32 v3, 7, v3
	v_cndmask_b32_e32 v3, v5, v3, vcc_lo
	s_delay_alu instid0(VALU_DEP_3) | instskip(NEXT) | instid1(VALU_DEP_2)
	v_lshl_add_u32 v5, v7, 23, 0x3b800000
	v_lshlrev_b32_e32 v3, 20, v3
	s_delay_alu instid0(VALU_DEP_1) | instskip(NEXT) | instid1(VALU_DEP_1)
	v_or3_b32 v1, v1, v5, v3
	v_trunc_f32_e32 v1, v1
	s_delay_alu instid0(VALU_DEP_1) | instskip(NEXT) | instid1(VALU_DEP_1)
	v_mul_f32_e64 v3, 0x2f800000, |v1|
	v_floor_f32_e32 v3, v3
	s_delay_alu instid0(VALU_DEP_1) | instskip(SKIP_1) | instid1(VALU_DEP_2)
	v_fma_f32 v3, 0xcf800000, v3, |v1|
	v_ashrrev_i32_e32 v1, 31, v1
	v_cvt_u32_f32_e32 v3, v3
	s_delay_alu instid0(VALU_DEP_1) | instskip(NEXT) | instid1(VALU_DEP_1)
	v_xor_b32_e32 v3, v3, v1
	v_sub_nc_u32_e32 v24, v3, v1
.LBB31_3156:
	s_or_b32 exec_lo, exec_lo, s18
.LBB31_3157:
	s_mov_b32 s18, -1
.LBB31_3158:
	s_mov_b32 s19, 0
.LBB31_3159:
	s_delay_alu instid0(SALU_CYCLE_1)
	s_and_b32 vcc_lo, exec_lo, s19
	s_cbranch_vccz .LBB31_3190
; %bb.3160:
	s_cmp_gt_i32 s15, 22
	s_cbranch_scc0 .LBB31_3168
; %bb.3161:
	s_cmp_lt_i32 s15, 24
	s_cbranch_scc1 .LBB31_3171
; %bb.3162:
	s_cmp_gt_i32 s15, 24
	s_cbranch_scc0 .LBB31_3172
; %bb.3163:
	global_load_u8 v1, v[32:33], off
	s_mov_b32 s18, 0
	s_mov_b32 s17, exec_lo
	s_wait_loadcnt 0x0
	v_cmpx_lt_i16_e32 0x7f, v1
	s_xor_b32 s17, exec_lo, s17
	s_cbranch_execz .LBB31_3184
; %bb.3164:
	v_cmp_ne_u16_e32 vcc_lo, 0x80, v1
	s_and_b32 s18, vcc_lo, exec_lo
	s_and_not1_saveexec_b32 s17, s17
	s_cbranch_execnz .LBB31_3185
.LBB31_3165:
	s_or_b32 exec_lo, exec_lo, s17
	v_mov_b32_e32 v24, 0
	s_and_saveexec_b32 s17, s18
	s_cbranch_execz .LBB31_3167
.LBB31_3166:
	v_and_b32_e32 v3, 0xffff, v1
	s_delay_alu instid0(VALU_DEP_1) | instskip(SKIP_1) | instid1(VALU_DEP_2)
	v_dual_lshlrev_b32 v1, 24, v1 :: v_dual_bitop2_b32 v5, 3, v3 bitop3:0x40
	v_bfe_u32 v11, v3, 2, 5
	v_and_b32_e32 v1, 0x80000000, v1
	s_delay_alu instid0(VALU_DEP_3) | instskip(NEXT) | instid1(VALU_DEP_3)
	v_clz_i32_u32_e32 v7, v5
	v_cmp_eq_u32_e32 vcc_lo, 0, v11
	s_delay_alu instid0(VALU_DEP_2) | instskip(NEXT) | instid1(VALU_DEP_1)
	v_min_u32_e32 v7, 32, v7
	v_subrev_nc_u32_e32 v9, 29, v7
	v_sub_nc_u32_e32 v7, 30, v7
	s_delay_alu instid0(VALU_DEP_2) | instskip(NEXT) | instid1(VALU_DEP_2)
	v_lshlrev_b32_e32 v3, v9, v3
	v_cndmask_b32_e32 v7, v11, v7, vcc_lo
	s_delay_alu instid0(VALU_DEP_2) | instskip(NEXT) | instid1(VALU_DEP_1)
	v_and_b32_e32 v3, 3, v3
	v_cndmask_b32_e32 v3, v5, v3, vcc_lo
	s_delay_alu instid0(VALU_DEP_3) | instskip(NEXT) | instid1(VALU_DEP_2)
	v_lshl_add_u32 v5, v7, 23, 0x37800000
	v_lshlrev_b32_e32 v3, 21, v3
	s_delay_alu instid0(VALU_DEP_1) | instskip(NEXT) | instid1(VALU_DEP_1)
	v_or3_b32 v1, v1, v5, v3
	v_trunc_f32_e32 v1, v1
	s_delay_alu instid0(VALU_DEP_1) | instskip(NEXT) | instid1(VALU_DEP_1)
	v_mul_f32_e64 v3, 0x2f800000, |v1|
	v_floor_f32_e32 v3, v3
	s_delay_alu instid0(VALU_DEP_1) | instskip(SKIP_1) | instid1(VALU_DEP_2)
	v_fma_f32 v3, 0xcf800000, v3, |v1|
	v_ashrrev_i32_e32 v1, 31, v1
	v_cvt_u32_f32_e32 v3, v3
	s_delay_alu instid0(VALU_DEP_1) | instskip(NEXT) | instid1(VALU_DEP_1)
	v_xor_b32_e32 v3, v3, v1
	v_sub_nc_u32_e32 v24, v3, v1
.LBB31_3167:
	s_or_b32 exec_lo, exec_lo, s17
	s_mov_b32 s17, 0
	s_branch .LBB31_3173
.LBB31_3168:
	s_mov_b32 s17, -1
                                        ; implicit-def: $vgpr24
	s_branch .LBB31_3179
.LBB31_3169:
	s_and_not1_saveexec_b32 s18, s18
	s_cbranch_execz .LBB31_3154
.LBB31_3170:
	v_cmp_ne_u16_e32 vcc_lo, 0, v1
	s_and_not1_b32 s19, s19, exec_lo
	s_and_b32 s20, vcc_lo, exec_lo
	s_delay_alu instid0(SALU_CYCLE_1)
	s_or_b32 s19, s19, s20
	s_or_b32 exec_lo, exec_lo, s18
	v_mov_b32_e32 v24, 0
	s_and_saveexec_b32 s18, s19
	s_cbranch_execnz .LBB31_3155
	s_branch .LBB31_3156
.LBB31_3171:
	s_mov_b32 s17, -1
                                        ; implicit-def: $vgpr24
	s_branch .LBB31_3176
.LBB31_3172:
	s_mov_b32 s17, -1
                                        ; implicit-def: $vgpr24
.LBB31_3173:
	s_delay_alu instid0(SALU_CYCLE_1)
	s_and_b32 vcc_lo, exec_lo, s17
	s_cbranch_vccz .LBB31_3175
; %bb.3174:
	global_load_u8 v1, v[32:33], off
	s_wait_loadcnt 0x0
	v_lshlrev_b32_e32 v1, 24, v1
	s_delay_alu instid0(VALU_DEP_1) | instskip(NEXT) | instid1(VALU_DEP_1)
	v_and_b32_e32 v3, 0x7f000000, v1
	v_clz_i32_u32_e32 v5, v3
	v_add_nc_u32_e32 v9, 0x1000000, v3
	v_cmp_ne_u32_e32 vcc_lo, 0, v3
	s_delay_alu instid0(VALU_DEP_3) | instskip(NEXT) | instid1(VALU_DEP_1)
	v_min_u32_e32 v5, 32, v5
	v_sub_nc_u32_e64 v5, v5, 4 clamp
	s_delay_alu instid0(VALU_DEP_1) | instskip(NEXT) | instid1(VALU_DEP_1)
	v_dual_lshlrev_b32 v7, v5, v3 :: v_dual_lshlrev_b32 v5, 23, v5
	v_lshrrev_b32_e32 v7, 4, v7
	s_delay_alu instid0(VALU_DEP_1) | instskip(SKIP_1) | instid1(VALU_DEP_2)
	v_sub_nc_u32_e32 v5, v7, v5
	v_ashrrev_i32_e32 v7, 8, v9
	v_add_nc_u32_e32 v5, 0x3c000000, v5
	s_delay_alu instid0(VALU_DEP_1) | instskip(NEXT) | instid1(VALU_DEP_1)
	v_and_or_b32 v5, 0x7f800000, v7, v5
	v_cndmask_b32_e32 v3, 0, v5, vcc_lo
	s_delay_alu instid0(VALU_DEP_1) | instskip(NEXT) | instid1(VALU_DEP_1)
	v_and_or_b32 v1, 0x80000000, v1, v3
	v_trunc_f32_e32 v1, v1
	s_delay_alu instid0(VALU_DEP_1) | instskip(NEXT) | instid1(VALU_DEP_1)
	v_mul_f32_e64 v3, 0x2f800000, |v1|
	v_floor_f32_e32 v3, v3
	s_delay_alu instid0(VALU_DEP_1) | instskip(SKIP_1) | instid1(VALU_DEP_2)
	v_fma_f32 v3, 0xcf800000, v3, |v1|
	v_ashrrev_i32_e32 v1, 31, v1
	v_cvt_u32_f32_e32 v3, v3
	s_delay_alu instid0(VALU_DEP_1) | instskip(NEXT) | instid1(VALU_DEP_1)
	v_xor_b32_e32 v3, v3, v1
	v_sub_nc_u32_e32 v24, v3, v1
.LBB31_3175:
	s_mov_b32 s17, 0
.LBB31_3176:
	s_delay_alu instid0(SALU_CYCLE_1)
	s_and_not1_b32 vcc_lo, exec_lo, s17
	s_cbranch_vccnz .LBB31_3178
; %bb.3177:
	global_load_u8 v1, v[32:33], off
	s_wait_loadcnt 0x0
	v_lshlrev_b32_e32 v3, 25, v1
	v_lshlrev_b16 v1, 8, v1
	s_delay_alu instid0(VALU_DEP_1) | instskip(SKIP_1) | instid1(VALU_DEP_2)
	v_and_or_b32 v7, 0x7f00, v1, 0.5
	v_bfe_i32 v1, v1, 0, 16
	v_add_f32_e32 v7, -0.5, v7
	v_lshrrev_b32_e32 v5, 4, v3
	v_cmp_gt_u32_e32 vcc_lo, 0x8000000, v3
	s_delay_alu instid0(VALU_DEP_2) | instskip(NEXT) | instid1(VALU_DEP_1)
	v_or_b32_e32 v5, 0x70000000, v5
	v_mul_f32_e32 v5, 0x7800000, v5
	s_delay_alu instid0(VALU_DEP_1) | instskip(NEXT) | instid1(VALU_DEP_1)
	v_cndmask_b32_e32 v3, v5, v7, vcc_lo
	v_and_or_b32 v1, 0x80000000, v1, v3
	s_delay_alu instid0(VALU_DEP_1) | instskip(NEXT) | instid1(VALU_DEP_1)
	v_trunc_f32_e32 v1, v1
	v_mul_f32_e64 v3, 0x2f800000, |v1|
	s_delay_alu instid0(VALU_DEP_1) | instskip(NEXT) | instid1(VALU_DEP_1)
	v_floor_f32_e32 v3, v3
	v_fma_f32 v3, 0xcf800000, v3, |v1|
	v_ashrrev_i32_e32 v1, 31, v1
	s_delay_alu instid0(VALU_DEP_2) | instskip(NEXT) | instid1(VALU_DEP_1)
	v_cvt_u32_f32_e32 v3, v3
	v_xor_b32_e32 v3, v3, v1
	s_delay_alu instid0(VALU_DEP_1)
	v_sub_nc_u32_e32 v24, v3, v1
.LBB31_3178:
	s_mov_b32 s17, 0
	s_mov_b32 s18, -1
.LBB31_3179:
	s_and_not1_b32 vcc_lo, exec_lo, s17
	s_mov_b32 s17, 0
	s_cbranch_vccnz .LBB31_3190
; %bb.3180:
	s_cmp_gt_i32 s15, 14
	s_cbranch_scc0 .LBB31_3183
; %bb.3181:
	s_cmp_eq_u32 s15, 15
	s_cbranch_scc0 .LBB31_3186
; %bb.3182:
	global_load_u16 v1, v[32:33], off
	s_mov_b32 s16, 0
	s_mov_b32 s18, -1
	s_wait_loadcnt 0x0
	v_lshlrev_b32_e32 v1, 16, v1
	s_delay_alu instid0(VALU_DEP_1) | instskip(NEXT) | instid1(VALU_DEP_1)
	v_trunc_f32_e32 v1, v1
	v_mul_f32_e64 v3, 0x2f800000, |v1|
	s_delay_alu instid0(VALU_DEP_1) | instskip(NEXT) | instid1(VALU_DEP_1)
	v_floor_f32_e32 v3, v3
	v_fma_f32 v3, 0xcf800000, v3, |v1|
	v_ashrrev_i32_e32 v1, 31, v1
	s_delay_alu instid0(VALU_DEP_2) | instskip(NEXT) | instid1(VALU_DEP_1)
	v_cvt_u32_f32_e32 v3, v3
	v_xor_b32_e32 v3, v3, v1
	s_delay_alu instid0(VALU_DEP_1)
	v_sub_nc_u32_e32 v24, v3, v1
	s_branch .LBB31_3188
.LBB31_3183:
	s_mov_b32 s17, -1
	s_branch .LBB31_3187
.LBB31_3184:
	s_and_not1_saveexec_b32 s17, s17
	s_cbranch_execz .LBB31_3165
.LBB31_3185:
	v_cmp_ne_u16_e32 vcc_lo, 0, v1
	s_and_not1_b32 s18, s18, exec_lo
	s_and_b32 s19, vcc_lo, exec_lo
	s_delay_alu instid0(SALU_CYCLE_1)
	s_or_b32 s18, s18, s19
	s_or_b32 exec_lo, exec_lo, s17
	v_mov_b32_e32 v24, 0
	s_and_saveexec_b32 s17, s18
	s_cbranch_execnz .LBB31_3166
	s_branch .LBB31_3167
.LBB31_3186:
	s_mov_b32 s16, -1
.LBB31_3187:
                                        ; implicit-def: $vgpr24
.LBB31_3188:
	s_and_b32 vcc_lo, exec_lo, s17
	s_mov_b32 s17, 0
	s_cbranch_vccz .LBB31_3190
; %bb.3189:
	s_cmp_lg_u32 s15, 11
	s_mov_b32 s17, -1
	s_cselect_b32 s16, -1, 0
.LBB31_3190:
	s_delay_alu instid0(SALU_CYCLE_1)
	s_and_b32 vcc_lo, exec_lo, s16
	s_cbranch_vccnz .LBB31_3255
; %bb.3191:
	s_and_not1_b32 vcc_lo, exec_lo, s17
	s_cbranch_vccnz .LBB31_3193
.LBB31_3192:
	global_load_u8 v1, v[32:33], off
	s_mov_b32 s18, -1
	s_wait_loadcnt 0x0
	v_cmp_ne_u16_e32 vcc_lo, 0, v1
	v_cndmask_b32_e64 v24, 0, 1, vcc_lo
.LBB31_3193:
	s_mov_b32 s16, 0
.LBB31_3194:
	s_delay_alu instid0(SALU_CYCLE_1)
	s_and_b32 vcc_lo, exec_lo, s16
	s_cbranch_vccz .LBB31_3243
; %bb.3195:
	s_cmp_lt_i32 s15, 5
	s_cbranch_scc1 .LBB31_3200
; %bb.3196:
	s_cmp_lt_i32 s15, 8
	s_cbranch_scc1 .LBB31_3201
	;; [unrolled: 3-line block ×3, first 2 shown]
; %bb.3198:
	s_cmp_gt_i32 s15, 9
	s_cbranch_scc0 .LBB31_3203
; %bb.3199:
	s_wait_loadcnt 0x0
	global_load_b64 v[24:25], v[32:33], off
	s_mov_b32 s16, 0
	s_wait_loadcnt 0x0
	v_trunc_f64_e32 v[24:25], v[24:25]
	s_delay_alu instid0(VALU_DEP_1) | instskip(NEXT) | instid1(VALU_DEP_1)
	v_ldexp_f64 v[34:35], v[24:25], 0xffffffe0
	v_floor_f64_e32 v[34:35], v[34:35]
	s_delay_alu instid0(VALU_DEP_1) | instskip(NEXT) | instid1(VALU_DEP_1)
	v_fmamk_f64 v[24:25], v[34:35], 0xc1f00000, v[24:25]
	v_cvt_u32_f64_e32 v24, v[24:25]
	s_branch .LBB31_3204
.LBB31_3200:
	s_mov_b32 s16, -1
                                        ; implicit-def: $vgpr24
	s_branch .LBB31_3222
.LBB31_3201:
	s_mov_b32 s16, -1
                                        ; implicit-def: $vgpr24
	s_branch .LBB31_3210
.LBB31_3202:
	s_mov_b32 s16, -1
                                        ; implicit-def: $vgpr24
	s_branch .LBB31_3207
.LBB31_3203:
	s_mov_b32 s16, -1
                                        ; implicit-def: $vgpr24
.LBB31_3204:
	s_delay_alu instid0(SALU_CYCLE_1)
	s_and_not1_b32 vcc_lo, exec_lo, s16
	s_cbranch_vccnz .LBB31_3206
; %bb.3205:
	global_load_b32 v1, v[32:33], off
	s_wait_loadcnt 0x0
	v_trunc_f32_e32 v1, v1
	s_delay_alu instid0(VALU_DEP_1) | instskip(NEXT) | instid1(VALU_DEP_1)
	v_mul_f32_e64 v3, 0x2f800000, |v1|
	v_floor_f32_e32 v3, v3
	s_delay_alu instid0(VALU_DEP_1) | instskip(SKIP_1) | instid1(VALU_DEP_2)
	v_fma_f32 v3, 0xcf800000, v3, |v1|
	v_ashrrev_i32_e32 v1, 31, v1
	v_cvt_u32_f32_e32 v3, v3
	s_delay_alu instid0(VALU_DEP_1) | instskip(NEXT) | instid1(VALU_DEP_1)
	v_xor_b32_e32 v3, v3, v1
	v_sub_nc_u32_e32 v24, v3, v1
.LBB31_3206:
	s_mov_b32 s16, 0
.LBB31_3207:
	s_delay_alu instid0(SALU_CYCLE_1)
	s_and_not1_b32 vcc_lo, exec_lo, s16
	s_cbranch_vccnz .LBB31_3209
; %bb.3208:
	global_load_b32 v1, v[32:33], off
	s_wait_loadcnt 0x0
	v_cvt_f32_f16_e32 v1, v1
	s_delay_alu instid0(VALU_DEP_1)
	v_cvt_i32_f32_e32 v24, v1
.LBB31_3209:
	s_mov_b32 s16, 0
.LBB31_3210:
	s_delay_alu instid0(SALU_CYCLE_1)
	s_and_not1_b32 vcc_lo, exec_lo, s16
	s_cbranch_vccnz .LBB31_3221
; %bb.3211:
	s_cmp_lt_i32 s15, 6
	s_cbranch_scc1 .LBB31_3214
; %bb.3212:
	s_cmp_gt_i32 s15, 6
	s_cbranch_scc0 .LBB31_3215
; %bb.3213:
	s_wait_loadcnt 0x0
	global_load_b64 v[24:25], v[32:33], off
	s_mov_b32 s16, 0
	s_wait_loadcnt 0x0
	v_trunc_f64_e32 v[24:25], v[24:25]
	s_delay_alu instid0(VALU_DEP_1) | instskip(NEXT) | instid1(VALU_DEP_1)
	v_ldexp_f64 v[34:35], v[24:25], 0xffffffe0
	v_floor_f64_e32 v[34:35], v[34:35]
	s_delay_alu instid0(VALU_DEP_1) | instskip(NEXT) | instid1(VALU_DEP_1)
	v_fmamk_f64 v[24:25], v[34:35], 0xc1f00000, v[24:25]
	v_cvt_u32_f64_e32 v24, v[24:25]
	s_branch .LBB31_3216
.LBB31_3214:
	s_mov_b32 s16, -1
                                        ; implicit-def: $vgpr24
	s_branch .LBB31_3219
.LBB31_3215:
	s_mov_b32 s16, -1
                                        ; implicit-def: $vgpr24
.LBB31_3216:
	s_delay_alu instid0(SALU_CYCLE_1)
	s_and_not1_b32 vcc_lo, exec_lo, s16
	s_cbranch_vccnz .LBB31_3218
; %bb.3217:
	global_load_b32 v1, v[32:33], off
	s_wait_loadcnt 0x0
	v_trunc_f32_e32 v1, v1
	s_delay_alu instid0(VALU_DEP_1) | instskip(NEXT) | instid1(VALU_DEP_1)
	v_mul_f32_e64 v3, 0x2f800000, |v1|
	v_floor_f32_e32 v3, v3
	s_delay_alu instid0(VALU_DEP_1) | instskip(SKIP_1) | instid1(VALU_DEP_2)
	v_fma_f32 v3, 0xcf800000, v3, |v1|
	v_ashrrev_i32_e32 v1, 31, v1
	v_cvt_u32_f32_e32 v3, v3
	s_delay_alu instid0(VALU_DEP_1) | instskip(NEXT) | instid1(VALU_DEP_1)
	v_xor_b32_e32 v3, v3, v1
	v_sub_nc_u32_e32 v24, v3, v1
.LBB31_3218:
	s_mov_b32 s16, 0
.LBB31_3219:
	s_delay_alu instid0(SALU_CYCLE_1)
	s_and_not1_b32 vcc_lo, exec_lo, s16
	s_cbranch_vccnz .LBB31_3221
; %bb.3220:
	global_load_u16 v1, v[32:33], off
	s_wait_loadcnt 0x0
	v_cvt_f32_f16_e32 v1, v1
	s_delay_alu instid0(VALU_DEP_1)
	v_cvt_i32_f32_e32 v24, v1
.LBB31_3221:
	s_mov_b32 s16, 0
.LBB31_3222:
	s_delay_alu instid0(SALU_CYCLE_1)
	s_and_not1_b32 vcc_lo, exec_lo, s16
	s_cbranch_vccnz .LBB31_3242
; %bb.3223:
	s_cmp_lt_i32 s15, 2
	s_cbranch_scc1 .LBB31_3227
; %bb.3224:
	s_cmp_lt_i32 s15, 3
	s_cbranch_scc1 .LBB31_3228
; %bb.3225:
	s_cmp_gt_i32 s15, 3
	s_cbranch_scc0 .LBB31_3229
; %bb.3226:
	s_wait_loadcnt 0x0
	global_load_b64 v[24:25], v[32:33], off
	s_mov_b32 s16, 0
	s_branch .LBB31_3230
.LBB31_3227:
	s_mov_b32 s16, -1
                                        ; implicit-def: $vgpr24
	s_branch .LBB31_3236
.LBB31_3228:
	s_mov_b32 s16, -1
                                        ; implicit-def: $vgpr24
	s_branch .LBB31_3233
.LBB31_3229:
	s_mov_b32 s16, -1
                                        ; implicit-def: $vgpr24
.LBB31_3230:
	s_delay_alu instid0(SALU_CYCLE_1)
	s_and_not1_b32 vcc_lo, exec_lo, s16
	s_cbranch_vccnz .LBB31_3232
; %bb.3231:
	s_wait_loadcnt 0x0
	global_load_b32 v24, v[32:33], off
.LBB31_3232:
	s_mov_b32 s16, 0
.LBB31_3233:
	s_delay_alu instid0(SALU_CYCLE_1)
	s_and_not1_b32 vcc_lo, exec_lo, s16
	s_cbranch_vccnz .LBB31_3235
; %bb.3234:
	s_wait_loadcnt 0x0
	global_load_u16 v24, v[32:33], off
.LBB31_3235:
	s_mov_b32 s16, 0
.LBB31_3236:
	s_delay_alu instid0(SALU_CYCLE_1)
	s_and_not1_b32 vcc_lo, exec_lo, s16
	s_cbranch_vccnz .LBB31_3242
; %bb.3237:
	s_cmp_gt_i32 s15, 0
	s_mov_b32 s16, 0
	s_cbranch_scc0 .LBB31_3239
; %bb.3238:
	s_wait_loadcnt 0x0
	global_load_u8 v24, v[32:33], off
	s_branch .LBB31_3240
.LBB31_3239:
	s_mov_b32 s16, -1
                                        ; implicit-def: $vgpr24
.LBB31_3240:
	s_delay_alu instid0(SALU_CYCLE_1)
	s_and_not1_b32 vcc_lo, exec_lo, s16
	s_cbranch_vccnz .LBB31_3242
; %bb.3241:
	s_wait_loadcnt 0x0
	global_load_u8 v24, v[32:33], off
.LBB31_3242:
	s_mov_b32 s18, -1
.LBB31_3243:
	s_delay_alu instid0(SALU_CYCLE_1)
	s_and_not1_b32 vcc_lo, exec_lo, s18
	s_cbranch_vccnz .LBB31_4058
; %bb.3244:
	v_mov_b32_e32 v21, 0
	s_cmp_lt_i32 s13, 11
	s_wait_xcnt 0x0
	s_delay_alu instid0(VALU_DEP_1)
	v_add_nc_u64_e32 v[32:33], s[6:7], v[20:21]
	s_cbranch_scc1 .LBB31_3251
; %bb.3245:
	s_cmp_gt_i32 s13, 25
	s_mov_b32 s7, 0
	s_cbranch_scc0 .LBB31_3252
; %bb.3246:
	s_cmp_gt_i32 s13, 28
	s_cbranch_scc0 .LBB31_3253
; %bb.3247:
	s_cmp_gt_i32 s13, 43
	;; [unrolled: 3-line block ×3, first 2 shown]
	s_cbranch_scc0 .LBB31_3256
; %bb.3249:
	s_cmp_eq_u32 s13, 46
	s_mov_b32 s17, 0
	s_cbranch_scc0 .LBB31_3257
; %bb.3250:
	global_load_b32 v1, v[32:33], off
	s_mov_b32 s6, 0
	s_mov_b32 s16, -1
	s_wait_loadcnt 0x0
	v_lshlrev_b32_e32 v1, 16, v1
	s_delay_alu instid0(VALU_DEP_1) | instskip(NEXT) | instid1(VALU_DEP_1)
	v_trunc_f32_e32 v1, v1
	v_mul_f32_e64 v3, 0x2f800000, |v1|
	s_delay_alu instid0(VALU_DEP_1) | instskip(NEXT) | instid1(VALU_DEP_1)
	v_floor_f32_e32 v3, v3
	v_fma_f32 v3, 0xcf800000, v3, |v1|
	v_ashrrev_i32_e32 v1, 31, v1
	s_delay_alu instid0(VALU_DEP_2) | instskip(NEXT) | instid1(VALU_DEP_1)
	v_cvt_u32_f32_e32 v3, v3
	v_xor_b32_e32 v3, v3, v1
	s_delay_alu instid0(VALU_DEP_1)
	v_sub_nc_u32_e32 v20, v3, v1
	s_branch .LBB31_3259
.LBB31_3251:
	s_mov_b32 s6, -1
	s_mov_b32 s16, 0
                                        ; implicit-def: $vgpr20
	s_branch .LBB31_3321
.LBB31_3252:
	s_mov_b32 s17, -1
	s_mov_b32 s16, 0
	s_mov_b32 s6, 0
                                        ; implicit-def: $vgpr20
	s_branch .LBB31_3286
.LBB31_3253:
	s_mov_b32 s17, -1
	s_mov_b32 s16, 0
	s_mov_b32 s6, 0
                                        ; implicit-def: $vgpr20
	s_branch .LBB31_3269
.LBB31_3254:
	s_mov_b32 s17, -1
	s_mov_b32 s16, 0
	s_mov_b32 s6, 0
                                        ; implicit-def: $vgpr20
	s_branch .LBB31_3264
.LBB31_3255:
	s_or_b32 s12, s12, exec_lo
	s_trap 2
	s_cbranch_execz .LBB31_3192
	s_branch .LBB31_3193
.LBB31_3256:
	s_mov_b32 s17, -1
	s_mov_b32 s16, 0
	s_mov_b32 s6, 0
	s_branch .LBB31_3258
.LBB31_3257:
	s_mov_b32 s6, -1
	s_mov_b32 s16, 0
.LBB31_3258:
                                        ; implicit-def: $vgpr20
.LBB31_3259:
	s_and_b32 vcc_lo, exec_lo, s17
	s_cbranch_vccz .LBB31_3263
; %bb.3260:
	s_cmp_eq_u32 s13, 44
	s_cbranch_scc0 .LBB31_3262
; %bb.3261:
	global_load_u8 v1, v[32:33], off
	s_mov_b32 s6, 0
	s_mov_b32 s16, -1
	s_wait_loadcnt 0x0
	v_lshlrev_b32_e32 v3, 23, v1
	v_cmp_ne_u32_e32 vcc_lo, 0, v1
	s_delay_alu instid0(VALU_DEP_2) | instskip(NEXT) | instid1(VALU_DEP_1)
	v_trunc_f32_e32 v3, v3
	v_mul_f32_e64 v5, 0x2f800000, |v3|
	s_delay_alu instid0(VALU_DEP_1) | instskip(NEXT) | instid1(VALU_DEP_1)
	v_floor_f32_e32 v5, v5
	v_fma_f32 v5, 0xcf800000, v5, |v3|
	v_ashrrev_i32_e32 v3, 31, v3
	s_delay_alu instid0(VALU_DEP_2) | instskip(NEXT) | instid1(VALU_DEP_1)
	v_cvt_u32_f32_e32 v5, v5
	v_xor_b32_e32 v5, v5, v3
	s_delay_alu instid0(VALU_DEP_1) | instskip(NEXT) | instid1(VALU_DEP_1)
	v_sub_nc_u32_e32 v3, v5, v3
	v_cndmask_b32_e32 v20, 0, v3, vcc_lo
	s_branch .LBB31_3263
.LBB31_3262:
	s_mov_b32 s6, -1
                                        ; implicit-def: $vgpr20
.LBB31_3263:
	s_mov_b32 s17, 0
.LBB31_3264:
	s_delay_alu instid0(SALU_CYCLE_1)
	s_and_b32 vcc_lo, exec_lo, s17
	s_cbranch_vccz .LBB31_3268
; %bb.3265:
	s_cmp_eq_u32 s13, 29
	s_cbranch_scc0 .LBB31_3267
; %bb.3266:
	global_load_b64 v[20:21], v[32:33], off
	s_mov_b32 s6, 0
	s_mov_b32 s16, -1
	s_branch .LBB31_3268
.LBB31_3267:
	s_mov_b32 s6, -1
                                        ; implicit-def: $vgpr20
.LBB31_3268:
	s_mov_b32 s17, 0
.LBB31_3269:
	s_delay_alu instid0(SALU_CYCLE_1)
	s_and_b32 vcc_lo, exec_lo, s17
	s_cbranch_vccz .LBB31_3285
; %bb.3270:
	s_cmp_lt_i32 s13, 27
	s_cbranch_scc1 .LBB31_3273
; %bb.3271:
	s_cmp_gt_i32 s13, 27
	s_cbranch_scc0 .LBB31_3274
; %bb.3272:
	s_wait_loadcnt 0x0
	global_load_b32 v20, v[32:33], off
	s_mov_b32 s16, 0
	s_branch .LBB31_3275
.LBB31_3273:
	s_mov_b32 s16, -1
                                        ; implicit-def: $vgpr20
	s_branch .LBB31_3278
.LBB31_3274:
	s_mov_b32 s16, -1
                                        ; implicit-def: $vgpr20
.LBB31_3275:
	s_delay_alu instid0(SALU_CYCLE_1)
	s_and_not1_b32 vcc_lo, exec_lo, s16
	s_cbranch_vccnz .LBB31_3277
; %bb.3276:
	s_wait_loadcnt 0x0
	global_load_u16 v20, v[32:33], off
.LBB31_3277:
	s_mov_b32 s16, 0
.LBB31_3278:
	s_delay_alu instid0(SALU_CYCLE_1)
	s_and_not1_b32 vcc_lo, exec_lo, s16
	s_cbranch_vccnz .LBB31_3284
; %bb.3279:
	global_load_u8 v1, v[32:33], off
	s_mov_b32 s17, 0
	s_mov_b32 s16, exec_lo
	s_wait_loadcnt 0x0
	v_cmpx_lt_i16_e32 0x7f, v1
	s_xor_b32 s16, exec_lo, s16
	s_cbranch_execz .LBB31_3296
; %bb.3280:
	v_cmp_ne_u16_e32 vcc_lo, 0x80, v1
	s_and_b32 s17, vcc_lo, exec_lo
	s_and_not1_saveexec_b32 s16, s16
	s_cbranch_execnz .LBB31_3297
.LBB31_3281:
	s_or_b32 exec_lo, exec_lo, s16
	v_mov_b32_e32 v20, 0
	s_and_saveexec_b32 s16, s17
	s_cbranch_execz .LBB31_3283
.LBB31_3282:
	v_and_b32_e32 v3, 0xffff, v1
	s_delay_alu instid0(VALU_DEP_1) | instskip(SKIP_1) | instid1(VALU_DEP_2)
	v_dual_lshlrev_b32 v1, 24, v1 :: v_dual_bitop2_b32 v5, 7, v3 bitop3:0x40
	v_bfe_u32 v11, v3, 3, 4
	v_and_b32_e32 v1, 0x80000000, v1
	s_delay_alu instid0(VALU_DEP_3) | instskip(NEXT) | instid1(VALU_DEP_3)
	v_clz_i32_u32_e32 v7, v5
	v_cmp_eq_u32_e32 vcc_lo, 0, v11
	s_delay_alu instid0(VALU_DEP_2) | instskip(NEXT) | instid1(VALU_DEP_1)
	v_min_u32_e32 v7, 32, v7
	v_subrev_nc_u32_e32 v9, 28, v7
	v_sub_nc_u32_e32 v7, 29, v7
	s_delay_alu instid0(VALU_DEP_2) | instskip(NEXT) | instid1(VALU_DEP_2)
	v_lshlrev_b32_e32 v3, v9, v3
	v_cndmask_b32_e32 v7, v11, v7, vcc_lo
	s_delay_alu instid0(VALU_DEP_2) | instskip(NEXT) | instid1(VALU_DEP_1)
	v_and_b32_e32 v3, 7, v3
	v_cndmask_b32_e32 v3, v5, v3, vcc_lo
	s_delay_alu instid0(VALU_DEP_3) | instskip(NEXT) | instid1(VALU_DEP_2)
	v_lshl_add_u32 v5, v7, 23, 0x3b800000
	v_lshlrev_b32_e32 v3, 20, v3
	s_delay_alu instid0(VALU_DEP_1) | instskip(NEXT) | instid1(VALU_DEP_1)
	v_or3_b32 v1, v1, v5, v3
	v_trunc_f32_e32 v1, v1
	s_delay_alu instid0(VALU_DEP_1) | instskip(NEXT) | instid1(VALU_DEP_1)
	v_mul_f32_e64 v3, 0x2f800000, |v1|
	v_floor_f32_e32 v3, v3
	s_delay_alu instid0(VALU_DEP_1) | instskip(SKIP_1) | instid1(VALU_DEP_2)
	v_fma_f32 v3, 0xcf800000, v3, |v1|
	v_ashrrev_i32_e32 v1, 31, v1
	v_cvt_u32_f32_e32 v3, v3
	s_delay_alu instid0(VALU_DEP_1) | instskip(NEXT) | instid1(VALU_DEP_1)
	v_xor_b32_e32 v3, v3, v1
	v_sub_nc_u32_e32 v20, v3, v1
.LBB31_3283:
	s_or_b32 exec_lo, exec_lo, s16
.LBB31_3284:
	s_mov_b32 s16, -1
.LBB31_3285:
	s_mov_b32 s17, 0
.LBB31_3286:
	s_delay_alu instid0(SALU_CYCLE_1)
	s_and_b32 vcc_lo, exec_lo, s17
	s_cbranch_vccz .LBB31_3317
; %bb.3287:
	s_cmp_gt_i32 s13, 22
	s_cbranch_scc0 .LBB31_3295
; %bb.3288:
	s_cmp_lt_i32 s13, 24
	s_cbranch_scc1 .LBB31_3298
; %bb.3289:
	s_cmp_gt_i32 s13, 24
	s_cbranch_scc0 .LBB31_3299
; %bb.3290:
	global_load_u8 v1, v[32:33], off
	s_mov_b32 s16, 0
	s_mov_b32 s7, exec_lo
	s_wait_loadcnt 0x0
	v_cmpx_lt_i16_e32 0x7f, v1
	s_xor_b32 s7, exec_lo, s7
	s_cbranch_execz .LBB31_3311
; %bb.3291:
	v_cmp_ne_u16_e32 vcc_lo, 0x80, v1
	s_and_b32 s16, vcc_lo, exec_lo
	s_and_not1_saveexec_b32 s7, s7
	s_cbranch_execnz .LBB31_3312
.LBB31_3292:
	s_or_b32 exec_lo, exec_lo, s7
	v_mov_b32_e32 v20, 0
	s_and_saveexec_b32 s7, s16
	s_cbranch_execz .LBB31_3294
.LBB31_3293:
	v_and_b32_e32 v3, 0xffff, v1
	s_delay_alu instid0(VALU_DEP_1) | instskip(SKIP_1) | instid1(VALU_DEP_2)
	v_dual_lshlrev_b32 v1, 24, v1 :: v_dual_bitop2_b32 v5, 3, v3 bitop3:0x40
	v_bfe_u32 v11, v3, 2, 5
	v_and_b32_e32 v1, 0x80000000, v1
	s_delay_alu instid0(VALU_DEP_3) | instskip(NEXT) | instid1(VALU_DEP_3)
	v_clz_i32_u32_e32 v7, v5
	v_cmp_eq_u32_e32 vcc_lo, 0, v11
	s_delay_alu instid0(VALU_DEP_2) | instskip(NEXT) | instid1(VALU_DEP_1)
	v_min_u32_e32 v7, 32, v7
	v_subrev_nc_u32_e32 v9, 29, v7
	v_sub_nc_u32_e32 v7, 30, v7
	s_delay_alu instid0(VALU_DEP_2) | instskip(NEXT) | instid1(VALU_DEP_2)
	v_lshlrev_b32_e32 v3, v9, v3
	v_cndmask_b32_e32 v7, v11, v7, vcc_lo
	s_delay_alu instid0(VALU_DEP_2) | instskip(NEXT) | instid1(VALU_DEP_1)
	v_and_b32_e32 v3, 3, v3
	v_cndmask_b32_e32 v3, v5, v3, vcc_lo
	s_delay_alu instid0(VALU_DEP_3) | instskip(NEXT) | instid1(VALU_DEP_2)
	v_lshl_add_u32 v5, v7, 23, 0x37800000
	v_lshlrev_b32_e32 v3, 21, v3
	s_delay_alu instid0(VALU_DEP_1) | instskip(NEXT) | instid1(VALU_DEP_1)
	v_or3_b32 v1, v1, v5, v3
	v_trunc_f32_e32 v1, v1
	s_delay_alu instid0(VALU_DEP_1) | instskip(NEXT) | instid1(VALU_DEP_1)
	v_mul_f32_e64 v3, 0x2f800000, |v1|
	v_floor_f32_e32 v3, v3
	s_delay_alu instid0(VALU_DEP_1) | instskip(SKIP_1) | instid1(VALU_DEP_2)
	v_fma_f32 v3, 0xcf800000, v3, |v1|
	v_ashrrev_i32_e32 v1, 31, v1
	v_cvt_u32_f32_e32 v3, v3
	s_delay_alu instid0(VALU_DEP_1) | instskip(NEXT) | instid1(VALU_DEP_1)
	v_xor_b32_e32 v3, v3, v1
	v_sub_nc_u32_e32 v20, v3, v1
.LBB31_3294:
	s_or_b32 exec_lo, exec_lo, s7
	s_mov_b32 s7, 0
	s_branch .LBB31_3300
.LBB31_3295:
	s_mov_b32 s7, -1
                                        ; implicit-def: $vgpr20
	s_branch .LBB31_3306
.LBB31_3296:
	s_and_not1_saveexec_b32 s16, s16
	s_cbranch_execz .LBB31_3281
.LBB31_3297:
	v_cmp_ne_u16_e32 vcc_lo, 0, v1
	s_and_not1_b32 s17, s17, exec_lo
	s_and_b32 s18, vcc_lo, exec_lo
	s_delay_alu instid0(SALU_CYCLE_1)
	s_or_b32 s17, s17, s18
	s_or_b32 exec_lo, exec_lo, s16
	v_mov_b32_e32 v20, 0
	s_and_saveexec_b32 s16, s17
	s_cbranch_execnz .LBB31_3282
	s_branch .LBB31_3283
.LBB31_3298:
	s_mov_b32 s7, -1
                                        ; implicit-def: $vgpr20
	s_branch .LBB31_3303
.LBB31_3299:
	s_mov_b32 s7, -1
                                        ; implicit-def: $vgpr20
.LBB31_3300:
	s_delay_alu instid0(SALU_CYCLE_1)
	s_and_b32 vcc_lo, exec_lo, s7
	s_cbranch_vccz .LBB31_3302
; %bb.3301:
	global_load_u8 v1, v[32:33], off
	s_wait_loadcnt 0x0
	v_lshlrev_b32_e32 v1, 24, v1
	s_delay_alu instid0(VALU_DEP_1) | instskip(NEXT) | instid1(VALU_DEP_1)
	v_and_b32_e32 v3, 0x7f000000, v1
	v_clz_i32_u32_e32 v5, v3
	v_add_nc_u32_e32 v9, 0x1000000, v3
	v_cmp_ne_u32_e32 vcc_lo, 0, v3
	s_delay_alu instid0(VALU_DEP_3) | instskip(NEXT) | instid1(VALU_DEP_1)
	v_min_u32_e32 v5, 32, v5
	v_sub_nc_u32_e64 v5, v5, 4 clamp
	s_delay_alu instid0(VALU_DEP_1) | instskip(NEXT) | instid1(VALU_DEP_1)
	v_dual_lshlrev_b32 v7, v5, v3 :: v_dual_lshlrev_b32 v5, 23, v5
	v_lshrrev_b32_e32 v7, 4, v7
	s_delay_alu instid0(VALU_DEP_1) | instskip(SKIP_1) | instid1(VALU_DEP_2)
	v_sub_nc_u32_e32 v5, v7, v5
	v_ashrrev_i32_e32 v7, 8, v9
	v_add_nc_u32_e32 v5, 0x3c000000, v5
	s_delay_alu instid0(VALU_DEP_1) | instskip(NEXT) | instid1(VALU_DEP_1)
	v_and_or_b32 v5, 0x7f800000, v7, v5
	v_cndmask_b32_e32 v3, 0, v5, vcc_lo
	s_delay_alu instid0(VALU_DEP_1) | instskip(NEXT) | instid1(VALU_DEP_1)
	v_and_or_b32 v1, 0x80000000, v1, v3
	v_trunc_f32_e32 v1, v1
	s_delay_alu instid0(VALU_DEP_1) | instskip(NEXT) | instid1(VALU_DEP_1)
	v_mul_f32_e64 v3, 0x2f800000, |v1|
	v_floor_f32_e32 v3, v3
	s_delay_alu instid0(VALU_DEP_1) | instskip(SKIP_1) | instid1(VALU_DEP_2)
	v_fma_f32 v3, 0xcf800000, v3, |v1|
	v_ashrrev_i32_e32 v1, 31, v1
	v_cvt_u32_f32_e32 v3, v3
	s_delay_alu instid0(VALU_DEP_1) | instskip(NEXT) | instid1(VALU_DEP_1)
	v_xor_b32_e32 v3, v3, v1
	v_sub_nc_u32_e32 v20, v3, v1
.LBB31_3302:
	s_mov_b32 s7, 0
.LBB31_3303:
	s_delay_alu instid0(SALU_CYCLE_1)
	s_and_not1_b32 vcc_lo, exec_lo, s7
	s_cbranch_vccnz .LBB31_3305
; %bb.3304:
	global_load_u8 v1, v[32:33], off
	s_wait_loadcnt 0x0
	v_lshlrev_b32_e32 v3, 25, v1
	v_lshlrev_b16 v1, 8, v1
	s_delay_alu instid0(VALU_DEP_1) | instskip(SKIP_1) | instid1(VALU_DEP_2)
	v_and_or_b32 v7, 0x7f00, v1, 0.5
	v_bfe_i32 v1, v1, 0, 16
	v_add_f32_e32 v7, -0.5, v7
	v_lshrrev_b32_e32 v5, 4, v3
	v_cmp_gt_u32_e32 vcc_lo, 0x8000000, v3
	s_delay_alu instid0(VALU_DEP_2) | instskip(NEXT) | instid1(VALU_DEP_1)
	v_or_b32_e32 v5, 0x70000000, v5
	v_mul_f32_e32 v5, 0x7800000, v5
	s_delay_alu instid0(VALU_DEP_1) | instskip(NEXT) | instid1(VALU_DEP_1)
	v_cndmask_b32_e32 v3, v5, v7, vcc_lo
	v_and_or_b32 v1, 0x80000000, v1, v3
	s_delay_alu instid0(VALU_DEP_1) | instskip(NEXT) | instid1(VALU_DEP_1)
	v_trunc_f32_e32 v1, v1
	v_mul_f32_e64 v3, 0x2f800000, |v1|
	s_delay_alu instid0(VALU_DEP_1) | instskip(NEXT) | instid1(VALU_DEP_1)
	v_floor_f32_e32 v3, v3
	v_fma_f32 v3, 0xcf800000, v3, |v1|
	v_ashrrev_i32_e32 v1, 31, v1
	s_delay_alu instid0(VALU_DEP_2) | instskip(NEXT) | instid1(VALU_DEP_1)
	v_cvt_u32_f32_e32 v3, v3
	v_xor_b32_e32 v3, v3, v1
	s_delay_alu instid0(VALU_DEP_1)
	v_sub_nc_u32_e32 v20, v3, v1
.LBB31_3305:
	s_mov_b32 s7, 0
	s_mov_b32 s16, -1
.LBB31_3306:
	s_and_not1_b32 vcc_lo, exec_lo, s7
	s_mov_b32 s7, 0
	s_cbranch_vccnz .LBB31_3317
; %bb.3307:
	s_cmp_gt_i32 s13, 14
	s_cbranch_scc0 .LBB31_3310
; %bb.3308:
	s_cmp_eq_u32 s13, 15
	s_cbranch_scc0 .LBB31_3313
; %bb.3309:
	global_load_u16 v1, v[32:33], off
	s_mov_b32 s6, 0
	s_mov_b32 s16, -1
	s_wait_loadcnt 0x0
	v_lshlrev_b32_e32 v1, 16, v1
	s_delay_alu instid0(VALU_DEP_1) | instskip(NEXT) | instid1(VALU_DEP_1)
	v_trunc_f32_e32 v1, v1
	v_mul_f32_e64 v3, 0x2f800000, |v1|
	s_delay_alu instid0(VALU_DEP_1) | instskip(NEXT) | instid1(VALU_DEP_1)
	v_floor_f32_e32 v3, v3
	v_fma_f32 v3, 0xcf800000, v3, |v1|
	v_ashrrev_i32_e32 v1, 31, v1
	s_delay_alu instid0(VALU_DEP_2) | instskip(NEXT) | instid1(VALU_DEP_1)
	v_cvt_u32_f32_e32 v3, v3
	v_xor_b32_e32 v3, v3, v1
	s_delay_alu instid0(VALU_DEP_1)
	v_sub_nc_u32_e32 v20, v3, v1
	s_branch .LBB31_3315
.LBB31_3310:
	s_mov_b32 s7, -1
	s_branch .LBB31_3314
.LBB31_3311:
	s_and_not1_saveexec_b32 s7, s7
	s_cbranch_execz .LBB31_3292
.LBB31_3312:
	v_cmp_ne_u16_e32 vcc_lo, 0, v1
	s_and_not1_b32 s16, s16, exec_lo
	s_and_b32 s17, vcc_lo, exec_lo
	s_delay_alu instid0(SALU_CYCLE_1)
	s_or_b32 s16, s16, s17
	s_or_b32 exec_lo, exec_lo, s7
	v_mov_b32_e32 v20, 0
	s_and_saveexec_b32 s7, s16
	s_cbranch_execnz .LBB31_3293
	s_branch .LBB31_3294
.LBB31_3313:
	s_mov_b32 s6, -1
.LBB31_3314:
                                        ; implicit-def: $vgpr20
.LBB31_3315:
	s_and_b32 vcc_lo, exec_lo, s7
	s_mov_b32 s7, 0
	s_cbranch_vccz .LBB31_3317
; %bb.3316:
	s_cmp_lg_u32 s13, 11
	s_mov_b32 s7, -1
	s_cselect_b32 s6, -1, 0
.LBB31_3317:
	s_delay_alu instid0(SALU_CYCLE_1)
	s_and_b32 vcc_lo, exec_lo, s6
	s_cbranch_vccnz .LBB31_3382
; %bb.3318:
	s_and_not1_b32 vcc_lo, exec_lo, s7
	s_cbranch_vccnz .LBB31_3320
.LBB31_3319:
	global_load_u8 v1, v[32:33], off
	s_mov_b32 s16, -1
	s_wait_loadcnt 0x0
	v_cmp_ne_u16_e32 vcc_lo, 0, v1
	v_cndmask_b32_e64 v20, 0, 1, vcc_lo
.LBB31_3320:
	s_mov_b32 s6, 0
.LBB31_3321:
	s_delay_alu instid0(SALU_CYCLE_1)
	s_and_b32 vcc_lo, exec_lo, s6
	s_cbranch_vccz .LBB31_3370
; %bb.3322:
	s_cmp_lt_i32 s13, 5
	s_cbranch_scc1 .LBB31_3327
; %bb.3323:
	s_cmp_lt_i32 s13, 8
	s_cbranch_scc1 .LBB31_3328
	;; [unrolled: 3-line block ×3, first 2 shown]
; %bb.3325:
	s_cmp_gt_i32 s13, 9
	s_cbranch_scc0 .LBB31_3330
; %bb.3326:
	s_wait_loadcnt 0x0
	global_load_b64 v[20:21], v[32:33], off
	s_mov_b32 s6, 0
	s_wait_loadcnt 0x0
	v_trunc_f64_e32 v[20:21], v[20:21]
	s_delay_alu instid0(VALU_DEP_1) | instskip(NEXT) | instid1(VALU_DEP_1)
	v_ldexp_f64 v[34:35], v[20:21], 0xffffffe0
	v_floor_f64_e32 v[34:35], v[34:35]
	s_delay_alu instid0(VALU_DEP_1) | instskip(NEXT) | instid1(VALU_DEP_1)
	v_fmamk_f64 v[20:21], v[34:35], 0xc1f00000, v[20:21]
	v_cvt_u32_f64_e32 v20, v[20:21]
	s_branch .LBB31_3331
.LBB31_3327:
	s_mov_b32 s6, -1
                                        ; implicit-def: $vgpr20
	s_branch .LBB31_3349
.LBB31_3328:
	s_mov_b32 s6, -1
                                        ; implicit-def: $vgpr20
	s_branch .LBB31_3337
.LBB31_3329:
	s_mov_b32 s6, -1
                                        ; implicit-def: $vgpr20
	s_branch .LBB31_3334
.LBB31_3330:
	s_mov_b32 s6, -1
                                        ; implicit-def: $vgpr20
.LBB31_3331:
	s_delay_alu instid0(SALU_CYCLE_1)
	s_and_not1_b32 vcc_lo, exec_lo, s6
	s_cbranch_vccnz .LBB31_3333
; %bb.3332:
	global_load_b32 v1, v[32:33], off
	s_wait_loadcnt 0x0
	v_trunc_f32_e32 v1, v1
	s_delay_alu instid0(VALU_DEP_1) | instskip(NEXT) | instid1(VALU_DEP_1)
	v_mul_f32_e64 v3, 0x2f800000, |v1|
	v_floor_f32_e32 v3, v3
	s_delay_alu instid0(VALU_DEP_1) | instskip(SKIP_1) | instid1(VALU_DEP_2)
	v_fma_f32 v3, 0xcf800000, v3, |v1|
	v_ashrrev_i32_e32 v1, 31, v1
	v_cvt_u32_f32_e32 v3, v3
	s_delay_alu instid0(VALU_DEP_1) | instskip(NEXT) | instid1(VALU_DEP_1)
	v_xor_b32_e32 v3, v3, v1
	v_sub_nc_u32_e32 v20, v3, v1
.LBB31_3333:
	s_mov_b32 s6, 0
.LBB31_3334:
	s_delay_alu instid0(SALU_CYCLE_1)
	s_and_not1_b32 vcc_lo, exec_lo, s6
	s_cbranch_vccnz .LBB31_3336
; %bb.3335:
	global_load_b32 v1, v[32:33], off
	s_wait_loadcnt 0x0
	v_cvt_f32_f16_e32 v1, v1
	s_delay_alu instid0(VALU_DEP_1)
	v_cvt_i32_f32_e32 v20, v1
.LBB31_3336:
	s_mov_b32 s6, 0
.LBB31_3337:
	s_delay_alu instid0(SALU_CYCLE_1)
	s_and_not1_b32 vcc_lo, exec_lo, s6
	s_cbranch_vccnz .LBB31_3348
; %bb.3338:
	s_cmp_lt_i32 s13, 6
	s_cbranch_scc1 .LBB31_3341
; %bb.3339:
	s_cmp_gt_i32 s13, 6
	s_cbranch_scc0 .LBB31_3342
; %bb.3340:
	s_wait_loadcnt 0x0
	global_load_b64 v[20:21], v[32:33], off
	s_mov_b32 s6, 0
	s_wait_loadcnt 0x0
	v_trunc_f64_e32 v[20:21], v[20:21]
	s_delay_alu instid0(VALU_DEP_1) | instskip(NEXT) | instid1(VALU_DEP_1)
	v_ldexp_f64 v[34:35], v[20:21], 0xffffffe0
	v_floor_f64_e32 v[34:35], v[34:35]
	s_delay_alu instid0(VALU_DEP_1) | instskip(NEXT) | instid1(VALU_DEP_1)
	v_fmamk_f64 v[20:21], v[34:35], 0xc1f00000, v[20:21]
	v_cvt_u32_f64_e32 v20, v[20:21]
	s_branch .LBB31_3343
.LBB31_3341:
	s_mov_b32 s6, -1
                                        ; implicit-def: $vgpr20
	s_branch .LBB31_3346
.LBB31_3342:
	s_mov_b32 s6, -1
                                        ; implicit-def: $vgpr20
.LBB31_3343:
	s_delay_alu instid0(SALU_CYCLE_1)
	s_and_not1_b32 vcc_lo, exec_lo, s6
	s_cbranch_vccnz .LBB31_3345
; %bb.3344:
	global_load_b32 v1, v[32:33], off
	s_wait_loadcnt 0x0
	v_trunc_f32_e32 v1, v1
	s_delay_alu instid0(VALU_DEP_1) | instskip(NEXT) | instid1(VALU_DEP_1)
	v_mul_f32_e64 v3, 0x2f800000, |v1|
	v_floor_f32_e32 v3, v3
	s_delay_alu instid0(VALU_DEP_1) | instskip(SKIP_1) | instid1(VALU_DEP_2)
	v_fma_f32 v3, 0xcf800000, v3, |v1|
	v_ashrrev_i32_e32 v1, 31, v1
	v_cvt_u32_f32_e32 v3, v3
	s_delay_alu instid0(VALU_DEP_1) | instskip(NEXT) | instid1(VALU_DEP_1)
	v_xor_b32_e32 v3, v3, v1
	v_sub_nc_u32_e32 v20, v3, v1
.LBB31_3345:
	s_mov_b32 s6, 0
.LBB31_3346:
	s_delay_alu instid0(SALU_CYCLE_1)
	s_and_not1_b32 vcc_lo, exec_lo, s6
	s_cbranch_vccnz .LBB31_3348
; %bb.3347:
	global_load_u16 v1, v[32:33], off
	s_wait_loadcnt 0x0
	v_cvt_f32_f16_e32 v1, v1
	s_delay_alu instid0(VALU_DEP_1)
	v_cvt_i32_f32_e32 v20, v1
.LBB31_3348:
	s_mov_b32 s6, 0
.LBB31_3349:
	s_delay_alu instid0(SALU_CYCLE_1)
	s_and_not1_b32 vcc_lo, exec_lo, s6
	s_cbranch_vccnz .LBB31_3369
; %bb.3350:
	s_cmp_lt_i32 s13, 2
	s_cbranch_scc1 .LBB31_3354
; %bb.3351:
	s_cmp_lt_i32 s13, 3
	s_cbranch_scc1 .LBB31_3355
; %bb.3352:
	s_cmp_gt_i32 s13, 3
	s_cbranch_scc0 .LBB31_3356
; %bb.3353:
	s_wait_loadcnt 0x0
	global_load_b64 v[20:21], v[32:33], off
	s_mov_b32 s6, 0
	s_branch .LBB31_3357
.LBB31_3354:
	s_mov_b32 s6, -1
                                        ; implicit-def: $vgpr20
	s_branch .LBB31_3363
.LBB31_3355:
	s_mov_b32 s6, -1
                                        ; implicit-def: $vgpr20
	s_branch .LBB31_3360
.LBB31_3356:
	s_mov_b32 s6, -1
                                        ; implicit-def: $vgpr20
.LBB31_3357:
	s_delay_alu instid0(SALU_CYCLE_1)
	s_and_not1_b32 vcc_lo, exec_lo, s6
	s_cbranch_vccnz .LBB31_3359
; %bb.3358:
	s_wait_loadcnt 0x0
	global_load_b32 v20, v[32:33], off
.LBB31_3359:
	s_mov_b32 s6, 0
.LBB31_3360:
	s_delay_alu instid0(SALU_CYCLE_1)
	s_and_not1_b32 vcc_lo, exec_lo, s6
	s_cbranch_vccnz .LBB31_3362
; %bb.3361:
	s_wait_loadcnt 0x0
	global_load_u16 v20, v[32:33], off
.LBB31_3362:
	s_mov_b32 s6, 0
.LBB31_3363:
	s_delay_alu instid0(SALU_CYCLE_1)
	s_and_not1_b32 vcc_lo, exec_lo, s6
	s_cbranch_vccnz .LBB31_3369
; %bb.3364:
	s_cmp_gt_i32 s13, 0
	s_mov_b32 s6, 0
	s_cbranch_scc0 .LBB31_3366
; %bb.3365:
	s_wait_loadcnt 0x0
	global_load_u8 v20, v[32:33], off
	s_branch .LBB31_3367
.LBB31_3366:
	s_mov_b32 s6, -1
                                        ; implicit-def: $vgpr20
.LBB31_3367:
	s_delay_alu instid0(SALU_CYCLE_1)
	s_and_not1_b32 vcc_lo, exec_lo, s6
	s_cbranch_vccnz .LBB31_3369
; %bb.3368:
	s_wait_loadcnt 0x0
	global_load_u8 v20, v[32:33], off
.LBB31_3369:
	s_mov_b32 s16, -1
.LBB31_3370:
	s_delay_alu instid0(SALU_CYCLE_1)
	s_and_not1_b32 vcc_lo, exec_lo, s16
	s_cbranch_vccnz .LBB31_4058
; %bb.3371:
	v_mov_b32_e32 v15, 0
	s_cmp_lt_i32 s14, 11
	s_wait_xcnt 0x0
	s_delay_alu instid0(VALU_DEP_1)
	v_add_nc_u64_e32 v[32:33], s[0:1], v[14:15]
	s_cbranch_scc1 .LBB31_3378
; %bb.3372:
	s_cmp_gt_i32 s14, 25
	s_mov_b32 s1, 0
	s_cbranch_scc0 .LBB31_3379
; %bb.3373:
	s_cmp_gt_i32 s14, 28
	s_cbranch_scc0 .LBB31_3380
; %bb.3374:
	s_cmp_gt_i32 s14, 43
	s_cbranch_scc0 .LBB31_3381
; %bb.3375:
	s_cmp_gt_i32 s14, 45
	s_cbranch_scc0 .LBB31_3383
; %bb.3376:
	s_cmp_eq_u32 s14, 46
	s_mov_b32 s7, 0
	s_cbranch_scc0 .LBB31_3384
; %bb.3377:
	global_load_b32 v1, v[32:33], off
	s_mov_b32 s0, 0
	s_mov_b32 s6, -1
	s_wait_loadcnt 0x0
	v_lshlrev_b32_e32 v1, 16, v1
	s_delay_alu instid0(VALU_DEP_1) | instskip(NEXT) | instid1(VALU_DEP_1)
	v_trunc_f32_e32 v1, v1
	v_mul_f32_e64 v3, 0x2f800000, |v1|
	s_delay_alu instid0(VALU_DEP_1) | instskip(NEXT) | instid1(VALU_DEP_1)
	v_floor_f32_e32 v3, v3
	v_fma_f32 v3, 0xcf800000, v3, |v1|
	v_ashrrev_i32_e32 v1, 31, v1
	s_delay_alu instid0(VALU_DEP_2) | instskip(NEXT) | instid1(VALU_DEP_1)
	v_cvt_u32_f32_e32 v3, v3
	v_xor_b32_e32 v3, v3, v1
	s_delay_alu instid0(VALU_DEP_1)
	v_sub_nc_u32_e32 v14, v3, v1
	s_branch .LBB31_3386
.LBB31_3378:
	s_mov_b32 s0, -1
	s_mov_b32 s6, 0
                                        ; implicit-def: $vgpr14
	s_branch .LBB31_3448
.LBB31_3379:
	s_mov_b32 s7, -1
	s_mov_b32 s6, 0
	s_mov_b32 s0, 0
                                        ; implicit-def: $vgpr14
	s_branch .LBB31_3413
.LBB31_3380:
	s_mov_b32 s7, -1
	s_mov_b32 s6, 0
	s_mov_b32 s0, 0
                                        ; implicit-def: $vgpr14
	s_branch .LBB31_3396
.LBB31_3381:
	s_mov_b32 s7, -1
	s_mov_b32 s6, 0
	s_mov_b32 s0, 0
                                        ; implicit-def: $vgpr14
	s_branch .LBB31_3391
.LBB31_3382:
	s_or_b32 s12, s12, exec_lo
	s_trap 2
	s_cbranch_execz .LBB31_3319
	s_branch .LBB31_3320
.LBB31_3383:
	s_mov_b32 s7, -1
	s_mov_b32 s6, 0
	s_mov_b32 s0, 0
	s_branch .LBB31_3385
.LBB31_3384:
	s_mov_b32 s0, -1
	s_mov_b32 s6, 0
.LBB31_3385:
                                        ; implicit-def: $vgpr14
.LBB31_3386:
	s_and_b32 vcc_lo, exec_lo, s7
	s_cbranch_vccz .LBB31_3390
; %bb.3387:
	s_cmp_eq_u32 s14, 44
	s_cbranch_scc0 .LBB31_3389
; %bb.3388:
	global_load_u8 v1, v[32:33], off
	s_mov_b32 s0, 0
	s_mov_b32 s6, -1
	s_wait_loadcnt 0x0
	v_lshlrev_b32_e32 v3, 23, v1
	v_cmp_ne_u32_e32 vcc_lo, 0, v1
	s_delay_alu instid0(VALU_DEP_2) | instskip(NEXT) | instid1(VALU_DEP_1)
	v_trunc_f32_e32 v3, v3
	v_mul_f32_e64 v5, 0x2f800000, |v3|
	s_delay_alu instid0(VALU_DEP_1) | instskip(NEXT) | instid1(VALU_DEP_1)
	v_floor_f32_e32 v5, v5
	v_fma_f32 v5, 0xcf800000, v5, |v3|
	v_ashrrev_i32_e32 v3, 31, v3
	s_delay_alu instid0(VALU_DEP_2) | instskip(NEXT) | instid1(VALU_DEP_1)
	v_cvt_u32_f32_e32 v5, v5
	v_xor_b32_e32 v5, v5, v3
	s_delay_alu instid0(VALU_DEP_1) | instskip(NEXT) | instid1(VALU_DEP_1)
	v_sub_nc_u32_e32 v3, v5, v3
	v_cndmask_b32_e32 v14, 0, v3, vcc_lo
	s_branch .LBB31_3390
.LBB31_3389:
	s_mov_b32 s0, -1
                                        ; implicit-def: $vgpr14
.LBB31_3390:
	s_mov_b32 s7, 0
.LBB31_3391:
	s_delay_alu instid0(SALU_CYCLE_1)
	s_and_b32 vcc_lo, exec_lo, s7
	s_cbranch_vccz .LBB31_3395
; %bb.3392:
	s_cmp_eq_u32 s14, 29
	s_cbranch_scc0 .LBB31_3394
; %bb.3393:
	global_load_b64 v[14:15], v[32:33], off
	s_mov_b32 s0, 0
	s_mov_b32 s6, -1
	s_branch .LBB31_3395
.LBB31_3394:
	s_mov_b32 s0, -1
                                        ; implicit-def: $vgpr14
.LBB31_3395:
	s_mov_b32 s7, 0
.LBB31_3396:
	s_delay_alu instid0(SALU_CYCLE_1)
	s_and_b32 vcc_lo, exec_lo, s7
	s_cbranch_vccz .LBB31_3412
; %bb.3397:
	s_cmp_lt_i32 s14, 27
	s_cbranch_scc1 .LBB31_3400
; %bb.3398:
	s_cmp_gt_i32 s14, 27
	s_cbranch_scc0 .LBB31_3401
; %bb.3399:
	s_wait_loadcnt 0x0
	global_load_b32 v14, v[32:33], off
	s_mov_b32 s6, 0
	s_branch .LBB31_3402
.LBB31_3400:
	s_mov_b32 s6, -1
                                        ; implicit-def: $vgpr14
	s_branch .LBB31_3405
.LBB31_3401:
	s_mov_b32 s6, -1
                                        ; implicit-def: $vgpr14
.LBB31_3402:
	s_delay_alu instid0(SALU_CYCLE_1)
	s_and_not1_b32 vcc_lo, exec_lo, s6
	s_cbranch_vccnz .LBB31_3404
; %bb.3403:
	s_wait_loadcnt 0x0
	global_load_u16 v14, v[32:33], off
.LBB31_3404:
	s_mov_b32 s6, 0
.LBB31_3405:
	s_delay_alu instid0(SALU_CYCLE_1)
	s_and_not1_b32 vcc_lo, exec_lo, s6
	s_cbranch_vccnz .LBB31_3411
; %bb.3406:
	global_load_u8 v1, v[32:33], off
	s_mov_b32 s7, 0
	s_mov_b32 s6, exec_lo
	s_wait_loadcnt 0x0
	v_cmpx_lt_i16_e32 0x7f, v1
	s_xor_b32 s6, exec_lo, s6
	s_cbranch_execz .LBB31_3423
; %bb.3407:
	v_cmp_ne_u16_e32 vcc_lo, 0x80, v1
	s_and_b32 s7, vcc_lo, exec_lo
	s_and_not1_saveexec_b32 s6, s6
	s_cbranch_execnz .LBB31_3424
.LBB31_3408:
	s_or_b32 exec_lo, exec_lo, s6
	v_mov_b32_e32 v14, 0
	s_and_saveexec_b32 s6, s7
	s_cbranch_execz .LBB31_3410
.LBB31_3409:
	v_and_b32_e32 v3, 0xffff, v1
	s_delay_alu instid0(VALU_DEP_1) | instskip(SKIP_1) | instid1(VALU_DEP_2)
	v_dual_lshlrev_b32 v1, 24, v1 :: v_dual_bitop2_b32 v5, 7, v3 bitop3:0x40
	v_bfe_u32 v11, v3, 3, 4
	v_and_b32_e32 v1, 0x80000000, v1
	s_delay_alu instid0(VALU_DEP_3) | instskip(NEXT) | instid1(VALU_DEP_3)
	v_clz_i32_u32_e32 v7, v5
	v_cmp_eq_u32_e32 vcc_lo, 0, v11
	s_delay_alu instid0(VALU_DEP_2) | instskip(NEXT) | instid1(VALU_DEP_1)
	v_min_u32_e32 v7, 32, v7
	v_subrev_nc_u32_e32 v9, 28, v7
	v_sub_nc_u32_e32 v7, 29, v7
	s_delay_alu instid0(VALU_DEP_2) | instskip(NEXT) | instid1(VALU_DEP_2)
	v_lshlrev_b32_e32 v3, v9, v3
	v_cndmask_b32_e32 v7, v11, v7, vcc_lo
	s_delay_alu instid0(VALU_DEP_2) | instskip(NEXT) | instid1(VALU_DEP_1)
	v_and_b32_e32 v3, 7, v3
	v_cndmask_b32_e32 v3, v5, v3, vcc_lo
	s_delay_alu instid0(VALU_DEP_3) | instskip(NEXT) | instid1(VALU_DEP_2)
	v_lshl_add_u32 v5, v7, 23, 0x3b800000
	v_lshlrev_b32_e32 v3, 20, v3
	s_delay_alu instid0(VALU_DEP_1) | instskip(NEXT) | instid1(VALU_DEP_1)
	v_or3_b32 v1, v1, v5, v3
	v_trunc_f32_e32 v1, v1
	s_delay_alu instid0(VALU_DEP_1) | instskip(NEXT) | instid1(VALU_DEP_1)
	v_mul_f32_e64 v3, 0x2f800000, |v1|
	v_floor_f32_e32 v3, v3
	s_delay_alu instid0(VALU_DEP_1) | instskip(SKIP_1) | instid1(VALU_DEP_2)
	v_fma_f32 v3, 0xcf800000, v3, |v1|
	v_ashrrev_i32_e32 v1, 31, v1
	v_cvt_u32_f32_e32 v3, v3
	s_delay_alu instid0(VALU_DEP_1) | instskip(NEXT) | instid1(VALU_DEP_1)
	v_xor_b32_e32 v3, v3, v1
	v_sub_nc_u32_e32 v14, v3, v1
.LBB31_3410:
	s_or_b32 exec_lo, exec_lo, s6
.LBB31_3411:
	s_mov_b32 s6, -1
.LBB31_3412:
	s_mov_b32 s7, 0
.LBB31_3413:
	s_delay_alu instid0(SALU_CYCLE_1)
	s_and_b32 vcc_lo, exec_lo, s7
	s_cbranch_vccz .LBB31_3444
; %bb.3414:
	s_cmp_gt_i32 s14, 22
	s_cbranch_scc0 .LBB31_3422
; %bb.3415:
	s_cmp_lt_i32 s14, 24
	s_cbranch_scc1 .LBB31_3425
; %bb.3416:
	s_cmp_gt_i32 s14, 24
	s_cbranch_scc0 .LBB31_3426
; %bb.3417:
	global_load_u8 v1, v[32:33], off
	s_mov_b32 s6, 0
	s_mov_b32 s1, exec_lo
	s_wait_loadcnt 0x0
	v_cmpx_lt_i16_e32 0x7f, v1
	s_xor_b32 s1, exec_lo, s1
	s_cbranch_execz .LBB31_3438
; %bb.3418:
	v_cmp_ne_u16_e32 vcc_lo, 0x80, v1
	s_and_b32 s6, vcc_lo, exec_lo
	s_and_not1_saveexec_b32 s1, s1
	s_cbranch_execnz .LBB31_3439
.LBB31_3419:
	s_or_b32 exec_lo, exec_lo, s1
	v_mov_b32_e32 v14, 0
	s_and_saveexec_b32 s1, s6
	s_cbranch_execz .LBB31_3421
.LBB31_3420:
	v_and_b32_e32 v3, 0xffff, v1
	s_delay_alu instid0(VALU_DEP_1) | instskip(SKIP_1) | instid1(VALU_DEP_2)
	v_dual_lshlrev_b32 v1, 24, v1 :: v_dual_bitop2_b32 v5, 3, v3 bitop3:0x40
	v_bfe_u32 v11, v3, 2, 5
	v_and_b32_e32 v1, 0x80000000, v1
	s_delay_alu instid0(VALU_DEP_3) | instskip(NEXT) | instid1(VALU_DEP_3)
	v_clz_i32_u32_e32 v7, v5
	v_cmp_eq_u32_e32 vcc_lo, 0, v11
	s_delay_alu instid0(VALU_DEP_2) | instskip(NEXT) | instid1(VALU_DEP_1)
	v_min_u32_e32 v7, 32, v7
	v_subrev_nc_u32_e32 v9, 29, v7
	v_sub_nc_u32_e32 v7, 30, v7
	s_delay_alu instid0(VALU_DEP_2) | instskip(NEXT) | instid1(VALU_DEP_2)
	v_lshlrev_b32_e32 v3, v9, v3
	v_cndmask_b32_e32 v7, v11, v7, vcc_lo
	s_delay_alu instid0(VALU_DEP_2) | instskip(NEXT) | instid1(VALU_DEP_1)
	v_and_b32_e32 v3, 3, v3
	v_cndmask_b32_e32 v3, v5, v3, vcc_lo
	s_delay_alu instid0(VALU_DEP_3) | instskip(NEXT) | instid1(VALU_DEP_2)
	v_lshl_add_u32 v5, v7, 23, 0x37800000
	v_lshlrev_b32_e32 v3, 21, v3
	s_delay_alu instid0(VALU_DEP_1) | instskip(NEXT) | instid1(VALU_DEP_1)
	v_or3_b32 v1, v1, v5, v3
	v_trunc_f32_e32 v1, v1
	s_delay_alu instid0(VALU_DEP_1) | instskip(NEXT) | instid1(VALU_DEP_1)
	v_mul_f32_e64 v3, 0x2f800000, |v1|
	v_floor_f32_e32 v3, v3
	s_delay_alu instid0(VALU_DEP_1) | instskip(SKIP_1) | instid1(VALU_DEP_2)
	v_fma_f32 v3, 0xcf800000, v3, |v1|
	v_ashrrev_i32_e32 v1, 31, v1
	v_cvt_u32_f32_e32 v3, v3
	s_delay_alu instid0(VALU_DEP_1) | instskip(NEXT) | instid1(VALU_DEP_1)
	v_xor_b32_e32 v3, v3, v1
	v_sub_nc_u32_e32 v14, v3, v1
.LBB31_3421:
	s_or_b32 exec_lo, exec_lo, s1
	s_mov_b32 s1, 0
	s_branch .LBB31_3427
.LBB31_3422:
	s_mov_b32 s1, -1
                                        ; implicit-def: $vgpr14
	s_branch .LBB31_3433
.LBB31_3423:
	s_and_not1_saveexec_b32 s6, s6
	s_cbranch_execz .LBB31_3408
.LBB31_3424:
	v_cmp_ne_u16_e32 vcc_lo, 0, v1
	s_and_not1_b32 s7, s7, exec_lo
	s_and_b32 s13, vcc_lo, exec_lo
	s_delay_alu instid0(SALU_CYCLE_1)
	s_or_b32 s7, s7, s13
	s_or_b32 exec_lo, exec_lo, s6
	v_mov_b32_e32 v14, 0
	s_and_saveexec_b32 s6, s7
	s_cbranch_execnz .LBB31_3409
	s_branch .LBB31_3410
.LBB31_3425:
	s_mov_b32 s1, -1
                                        ; implicit-def: $vgpr14
	s_branch .LBB31_3430
.LBB31_3426:
	s_mov_b32 s1, -1
                                        ; implicit-def: $vgpr14
.LBB31_3427:
	s_delay_alu instid0(SALU_CYCLE_1)
	s_and_b32 vcc_lo, exec_lo, s1
	s_cbranch_vccz .LBB31_3429
; %bb.3428:
	global_load_u8 v1, v[32:33], off
	s_wait_loadcnt 0x0
	v_lshlrev_b32_e32 v1, 24, v1
	s_delay_alu instid0(VALU_DEP_1) | instskip(NEXT) | instid1(VALU_DEP_1)
	v_and_b32_e32 v3, 0x7f000000, v1
	v_clz_i32_u32_e32 v5, v3
	v_add_nc_u32_e32 v9, 0x1000000, v3
	v_cmp_ne_u32_e32 vcc_lo, 0, v3
	s_delay_alu instid0(VALU_DEP_3) | instskip(NEXT) | instid1(VALU_DEP_1)
	v_min_u32_e32 v5, 32, v5
	v_sub_nc_u32_e64 v5, v5, 4 clamp
	s_delay_alu instid0(VALU_DEP_1) | instskip(NEXT) | instid1(VALU_DEP_1)
	v_dual_lshlrev_b32 v7, v5, v3 :: v_dual_lshlrev_b32 v5, 23, v5
	v_lshrrev_b32_e32 v7, 4, v7
	s_delay_alu instid0(VALU_DEP_1) | instskip(SKIP_1) | instid1(VALU_DEP_2)
	v_sub_nc_u32_e32 v5, v7, v5
	v_ashrrev_i32_e32 v7, 8, v9
	v_add_nc_u32_e32 v5, 0x3c000000, v5
	s_delay_alu instid0(VALU_DEP_1) | instskip(NEXT) | instid1(VALU_DEP_1)
	v_and_or_b32 v5, 0x7f800000, v7, v5
	v_cndmask_b32_e32 v3, 0, v5, vcc_lo
	s_delay_alu instid0(VALU_DEP_1) | instskip(NEXT) | instid1(VALU_DEP_1)
	v_and_or_b32 v1, 0x80000000, v1, v3
	v_trunc_f32_e32 v1, v1
	s_delay_alu instid0(VALU_DEP_1) | instskip(NEXT) | instid1(VALU_DEP_1)
	v_mul_f32_e64 v3, 0x2f800000, |v1|
	v_floor_f32_e32 v3, v3
	s_delay_alu instid0(VALU_DEP_1) | instskip(SKIP_1) | instid1(VALU_DEP_2)
	v_fma_f32 v3, 0xcf800000, v3, |v1|
	v_ashrrev_i32_e32 v1, 31, v1
	v_cvt_u32_f32_e32 v3, v3
	s_delay_alu instid0(VALU_DEP_1) | instskip(NEXT) | instid1(VALU_DEP_1)
	v_xor_b32_e32 v3, v3, v1
	v_sub_nc_u32_e32 v14, v3, v1
.LBB31_3429:
	s_mov_b32 s1, 0
.LBB31_3430:
	s_delay_alu instid0(SALU_CYCLE_1)
	s_and_not1_b32 vcc_lo, exec_lo, s1
	s_cbranch_vccnz .LBB31_3432
; %bb.3431:
	global_load_u8 v1, v[32:33], off
	s_wait_loadcnt 0x0
	v_lshlrev_b32_e32 v3, 25, v1
	v_lshlrev_b16 v1, 8, v1
	s_delay_alu instid0(VALU_DEP_1) | instskip(SKIP_1) | instid1(VALU_DEP_2)
	v_and_or_b32 v7, 0x7f00, v1, 0.5
	v_bfe_i32 v1, v1, 0, 16
	v_add_f32_e32 v7, -0.5, v7
	v_lshrrev_b32_e32 v5, 4, v3
	v_cmp_gt_u32_e32 vcc_lo, 0x8000000, v3
	s_delay_alu instid0(VALU_DEP_2) | instskip(NEXT) | instid1(VALU_DEP_1)
	v_or_b32_e32 v5, 0x70000000, v5
	v_mul_f32_e32 v5, 0x7800000, v5
	s_delay_alu instid0(VALU_DEP_1) | instskip(NEXT) | instid1(VALU_DEP_1)
	v_cndmask_b32_e32 v3, v5, v7, vcc_lo
	v_and_or_b32 v1, 0x80000000, v1, v3
	s_delay_alu instid0(VALU_DEP_1) | instskip(NEXT) | instid1(VALU_DEP_1)
	v_trunc_f32_e32 v1, v1
	v_mul_f32_e64 v3, 0x2f800000, |v1|
	s_delay_alu instid0(VALU_DEP_1) | instskip(NEXT) | instid1(VALU_DEP_1)
	v_floor_f32_e32 v3, v3
	v_fma_f32 v3, 0xcf800000, v3, |v1|
	v_ashrrev_i32_e32 v1, 31, v1
	s_delay_alu instid0(VALU_DEP_2) | instskip(NEXT) | instid1(VALU_DEP_1)
	v_cvt_u32_f32_e32 v3, v3
	v_xor_b32_e32 v3, v3, v1
	s_delay_alu instid0(VALU_DEP_1)
	v_sub_nc_u32_e32 v14, v3, v1
.LBB31_3432:
	s_mov_b32 s1, 0
	s_mov_b32 s6, -1
.LBB31_3433:
	s_and_not1_b32 vcc_lo, exec_lo, s1
	s_mov_b32 s1, 0
	s_cbranch_vccnz .LBB31_3444
; %bb.3434:
	s_cmp_gt_i32 s14, 14
	s_cbranch_scc0 .LBB31_3437
; %bb.3435:
	s_cmp_eq_u32 s14, 15
	s_cbranch_scc0 .LBB31_3440
; %bb.3436:
	global_load_u16 v1, v[32:33], off
	s_mov_b32 s0, 0
	s_mov_b32 s6, -1
	s_wait_loadcnt 0x0
	v_lshlrev_b32_e32 v1, 16, v1
	s_delay_alu instid0(VALU_DEP_1) | instskip(NEXT) | instid1(VALU_DEP_1)
	v_trunc_f32_e32 v1, v1
	v_mul_f32_e64 v3, 0x2f800000, |v1|
	s_delay_alu instid0(VALU_DEP_1) | instskip(NEXT) | instid1(VALU_DEP_1)
	v_floor_f32_e32 v3, v3
	v_fma_f32 v3, 0xcf800000, v3, |v1|
	v_ashrrev_i32_e32 v1, 31, v1
	s_delay_alu instid0(VALU_DEP_2) | instskip(NEXT) | instid1(VALU_DEP_1)
	v_cvt_u32_f32_e32 v3, v3
	v_xor_b32_e32 v3, v3, v1
	s_delay_alu instid0(VALU_DEP_1)
	v_sub_nc_u32_e32 v14, v3, v1
	s_branch .LBB31_3442
.LBB31_3437:
	s_mov_b32 s1, -1
	s_branch .LBB31_3441
.LBB31_3438:
	s_and_not1_saveexec_b32 s1, s1
	s_cbranch_execz .LBB31_3419
.LBB31_3439:
	v_cmp_ne_u16_e32 vcc_lo, 0, v1
	s_and_not1_b32 s6, s6, exec_lo
	s_and_b32 s7, vcc_lo, exec_lo
	s_delay_alu instid0(SALU_CYCLE_1)
	s_or_b32 s6, s6, s7
	s_or_b32 exec_lo, exec_lo, s1
	v_mov_b32_e32 v14, 0
	s_and_saveexec_b32 s1, s6
	s_cbranch_execnz .LBB31_3420
	s_branch .LBB31_3421
.LBB31_3440:
	s_mov_b32 s0, -1
.LBB31_3441:
                                        ; implicit-def: $vgpr14
.LBB31_3442:
	s_and_b32 vcc_lo, exec_lo, s1
	s_mov_b32 s1, 0
	s_cbranch_vccz .LBB31_3444
; %bb.3443:
	s_cmp_lg_u32 s14, 11
	s_mov_b32 s1, -1
	s_cselect_b32 s0, -1, 0
.LBB31_3444:
	s_delay_alu instid0(SALU_CYCLE_1)
	s_and_b32 vcc_lo, exec_lo, s0
	s_cbranch_vccnz .LBB31_3509
; %bb.3445:
	s_and_not1_b32 vcc_lo, exec_lo, s1
	s_cbranch_vccnz .LBB31_3447
.LBB31_3446:
	global_load_u8 v1, v[32:33], off
	s_mov_b32 s6, -1
	s_wait_loadcnt 0x0
	v_cmp_ne_u16_e32 vcc_lo, 0, v1
	v_cndmask_b32_e64 v14, 0, 1, vcc_lo
.LBB31_3447:
	s_mov_b32 s0, 0
.LBB31_3448:
	s_delay_alu instid0(SALU_CYCLE_1)
	s_and_b32 vcc_lo, exec_lo, s0
	s_cbranch_vccz .LBB31_3497
; %bb.3449:
	s_cmp_lt_i32 s14, 5
	s_cbranch_scc1 .LBB31_3454
; %bb.3450:
	s_cmp_lt_i32 s14, 8
	s_cbranch_scc1 .LBB31_3455
	;; [unrolled: 3-line block ×3, first 2 shown]
; %bb.3452:
	s_cmp_gt_i32 s14, 9
	s_cbranch_scc0 .LBB31_3457
; %bb.3453:
	s_wait_loadcnt 0x0
	global_load_b64 v[14:15], v[32:33], off
	s_mov_b32 s0, 0
	s_wait_loadcnt 0x0
	v_trunc_f64_e32 v[14:15], v[14:15]
	s_delay_alu instid0(VALU_DEP_1) | instskip(NEXT) | instid1(VALU_DEP_1)
	v_ldexp_f64 v[34:35], v[14:15], 0xffffffe0
	v_floor_f64_e32 v[34:35], v[34:35]
	s_delay_alu instid0(VALU_DEP_1) | instskip(NEXT) | instid1(VALU_DEP_1)
	v_fmamk_f64 v[14:15], v[34:35], 0xc1f00000, v[14:15]
	v_cvt_u32_f64_e32 v14, v[14:15]
	s_branch .LBB31_3458
.LBB31_3454:
	s_mov_b32 s0, -1
                                        ; implicit-def: $vgpr14
	s_branch .LBB31_3476
.LBB31_3455:
	s_mov_b32 s0, -1
                                        ; implicit-def: $vgpr14
	s_branch .LBB31_3464
.LBB31_3456:
	s_mov_b32 s0, -1
                                        ; implicit-def: $vgpr14
	s_branch .LBB31_3461
.LBB31_3457:
	s_mov_b32 s0, -1
                                        ; implicit-def: $vgpr14
.LBB31_3458:
	s_delay_alu instid0(SALU_CYCLE_1)
	s_and_not1_b32 vcc_lo, exec_lo, s0
	s_cbranch_vccnz .LBB31_3460
; %bb.3459:
	global_load_b32 v1, v[32:33], off
	s_wait_loadcnt 0x0
	v_trunc_f32_e32 v1, v1
	s_delay_alu instid0(VALU_DEP_1) | instskip(NEXT) | instid1(VALU_DEP_1)
	v_mul_f32_e64 v3, 0x2f800000, |v1|
	v_floor_f32_e32 v3, v3
	s_delay_alu instid0(VALU_DEP_1) | instskip(SKIP_1) | instid1(VALU_DEP_2)
	v_fma_f32 v3, 0xcf800000, v3, |v1|
	v_ashrrev_i32_e32 v1, 31, v1
	v_cvt_u32_f32_e32 v3, v3
	s_delay_alu instid0(VALU_DEP_1) | instskip(NEXT) | instid1(VALU_DEP_1)
	v_xor_b32_e32 v3, v3, v1
	v_sub_nc_u32_e32 v14, v3, v1
.LBB31_3460:
	s_mov_b32 s0, 0
.LBB31_3461:
	s_delay_alu instid0(SALU_CYCLE_1)
	s_and_not1_b32 vcc_lo, exec_lo, s0
	s_cbranch_vccnz .LBB31_3463
; %bb.3462:
	global_load_b32 v1, v[32:33], off
	s_wait_loadcnt 0x0
	v_cvt_f32_f16_e32 v1, v1
	s_delay_alu instid0(VALU_DEP_1)
	v_cvt_i32_f32_e32 v14, v1
.LBB31_3463:
	s_mov_b32 s0, 0
.LBB31_3464:
	s_delay_alu instid0(SALU_CYCLE_1)
	s_and_not1_b32 vcc_lo, exec_lo, s0
	s_cbranch_vccnz .LBB31_3475
; %bb.3465:
	s_cmp_lt_i32 s14, 6
	s_cbranch_scc1 .LBB31_3468
; %bb.3466:
	s_cmp_gt_i32 s14, 6
	s_cbranch_scc0 .LBB31_3469
; %bb.3467:
	s_wait_loadcnt 0x0
	global_load_b64 v[14:15], v[32:33], off
	s_mov_b32 s0, 0
	s_wait_loadcnt 0x0
	v_trunc_f64_e32 v[14:15], v[14:15]
	s_delay_alu instid0(VALU_DEP_1) | instskip(NEXT) | instid1(VALU_DEP_1)
	v_ldexp_f64 v[34:35], v[14:15], 0xffffffe0
	v_floor_f64_e32 v[34:35], v[34:35]
	s_delay_alu instid0(VALU_DEP_1) | instskip(NEXT) | instid1(VALU_DEP_1)
	v_fmamk_f64 v[14:15], v[34:35], 0xc1f00000, v[14:15]
	v_cvt_u32_f64_e32 v14, v[14:15]
	s_branch .LBB31_3470
.LBB31_3468:
	s_mov_b32 s0, -1
                                        ; implicit-def: $vgpr14
	s_branch .LBB31_3473
.LBB31_3469:
	s_mov_b32 s0, -1
                                        ; implicit-def: $vgpr14
.LBB31_3470:
	s_delay_alu instid0(SALU_CYCLE_1)
	s_and_not1_b32 vcc_lo, exec_lo, s0
	s_cbranch_vccnz .LBB31_3472
; %bb.3471:
	global_load_b32 v1, v[32:33], off
	s_wait_loadcnt 0x0
	v_trunc_f32_e32 v1, v1
	s_delay_alu instid0(VALU_DEP_1) | instskip(NEXT) | instid1(VALU_DEP_1)
	v_mul_f32_e64 v3, 0x2f800000, |v1|
	v_floor_f32_e32 v3, v3
	s_delay_alu instid0(VALU_DEP_1) | instskip(SKIP_1) | instid1(VALU_DEP_2)
	v_fma_f32 v3, 0xcf800000, v3, |v1|
	v_ashrrev_i32_e32 v1, 31, v1
	v_cvt_u32_f32_e32 v3, v3
	s_delay_alu instid0(VALU_DEP_1) | instskip(NEXT) | instid1(VALU_DEP_1)
	v_xor_b32_e32 v3, v3, v1
	v_sub_nc_u32_e32 v14, v3, v1
.LBB31_3472:
	s_mov_b32 s0, 0
.LBB31_3473:
	s_delay_alu instid0(SALU_CYCLE_1)
	s_and_not1_b32 vcc_lo, exec_lo, s0
	s_cbranch_vccnz .LBB31_3475
; %bb.3474:
	global_load_u16 v1, v[32:33], off
	s_wait_loadcnt 0x0
	v_cvt_f32_f16_e32 v1, v1
	s_delay_alu instid0(VALU_DEP_1)
	v_cvt_i32_f32_e32 v14, v1
.LBB31_3475:
	s_mov_b32 s0, 0
.LBB31_3476:
	s_delay_alu instid0(SALU_CYCLE_1)
	s_and_not1_b32 vcc_lo, exec_lo, s0
	s_cbranch_vccnz .LBB31_3496
; %bb.3477:
	s_cmp_lt_i32 s14, 2
	s_cbranch_scc1 .LBB31_3481
; %bb.3478:
	s_cmp_lt_i32 s14, 3
	s_cbranch_scc1 .LBB31_3482
; %bb.3479:
	s_cmp_gt_i32 s14, 3
	s_cbranch_scc0 .LBB31_3483
; %bb.3480:
	s_wait_loadcnt 0x0
	global_load_b64 v[14:15], v[32:33], off
	s_mov_b32 s0, 0
	s_branch .LBB31_3484
.LBB31_3481:
	s_mov_b32 s0, -1
                                        ; implicit-def: $vgpr14
	s_branch .LBB31_3490
.LBB31_3482:
	s_mov_b32 s0, -1
                                        ; implicit-def: $vgpr14
	s_branch .LBB31_3487
.LBB31_3483:
	s_mov_b32 s0, -1
                                        ; implicit-def: $vgpr14
.LBB31_3484:
	s_delay_alu instid0(SALU_CYCLE_1)
	s_and_not1_b32 vcc_lo, exec_lo, s0
	s_cbranch_vccnz .LBB31_3486
; %bb.3485:
	s_wait_loadcnt 0x0
	global_load_b32 v14, v[32:33], off
.LBB31_3486:
	s_mov_b32 s0, 0
.LBB31_3487:
	s_delay_alu instid0(SALU_CYCLE_1)
	s_and_not1_b32 vcc_lo, exec_lo, s0
	s_cbranch_vccnz .LBB31_3489
; %bb.3488:
	s_wait_loadcnt 0x0
	global_load_u16 v14, v[32:33], off
.LBB31_3489:
	s_mov_b32 s0, 0
.LBB31_3490:
	s_delay_alu instid0(SALU_CYCLE_1)
	s_and_not1_b32 vcc_lo, exec_lo, s0
	s_cbranch_vccnz .LBB31_3496
; %bb.3491:
	s_cmp_gt_i32 s14, 0
	s_mov_b32 s0, 0
	s_cbranch_scc0 .LBB31_3493
; %bb.3492:
	s_wait_loadcnt 0x0
	global_load_u8 v14, v[32:33], off
	s_branch .LBB31_3494
.LBB31_3493:
	s_mov_b32 s0, -1
                                        ; implicit-def: $vgpr14
.LBB31_3494:
	s_delay_alu instid0(SALU_CYCLE_1)
	s_and_not1_b32 vcc_lo, exec_lo, s0
	s_cbranch_vccnz .LBB31_3496
; %bb.3495:
	s_wait_loadcnt 0x0
	global_load_u8 v14, v[32:33], off
.LBB31_3496:
	s_mov_b32 s6, -1
.LBB31_3497:
	s_delay_alu instid0(SALU_CYCLE_1)
	s_and_not1_b32 vcc_lo, exec_lo, s6
	s_cbranch_vccnz .LBB31_4058
; %bb.3498:
	v_mov_b32_e32 v11, 0
	s_cmp_lt_i32 s15, 11
	s_wait_xcnt 0x0
	s_delay_alu instid0(VALU_DEP_1)
	v_add_nc_u64_e32 v[32:33], s[8:9], v[10:11]
	s_cbranch_scc1 .LBB31_3505
; %bb.3499:
	s_cmp_gt_i32 s15, 25
	s_mov_b32 s1, 0
	s_cbranch_scc0 .LBB31_3506
; %bb.3500:
	s_cmp_gt_i32 s15, 28
	s_cbranch_scc0 .LBB31_3507
; %bb.3501:
	s_cmp_gt_i32 s15, 43
	s_cbranch_scc0 .LBB31_3508
; %bb.3502:
	s_cmp_gt_i32 s15, 45
	s_cbranch_scc0 .LBB31_3510
; %bb.3503:
	s_cmp_eq_u32 s15, 46
	s_mov_b32 s7, 0
	s_cbranch_scc0 .LBB31_3511
; %bb.3504:
	global_load_b32 v1, v[32:33], off
	s_mov_b32 s0, 0
	s_mov_b32 s6, -1
	s_wait_loadcnt 0x0
	v_lshlrev_b32_e32 v1, 16, v1
	s_delay_alu instid0(VALU_DEP_1) | instskip(NEXT) | instid1(VALU_DEP_1)
	v_trunc_f32_e32 v1, v1
	v_mul_f32_e64 v3, 0x2f800000, |v1|
	s_delay_alu instid0(VALU_DEP_1) | instskip(NEXT) | instid1(VALU_DEP_1)
	v_floor_f32_e32 v3, v3
	v_fma_f32 v3, 0xcf800000, v3, |v1|
	v_ashrrev_i32_e32 v1, 31, v1
	s_delay_alu instid0(VALU_DEP_2) | instskip(NEXT) | instid1(VALU_DEP_1)
	v_cvt_u32_f32_e32 v3, v3
	v_xor_b32_e32 v3, v3, v1
	s_delay_alu instid0(VALU_DEP_1)
	v_sub_nc_u32_e32 v10, v3, v1
	s_branch .LBB31_3513
.LBB31_3505:
	s_mov_b32 s0, -1
	s_mov_b32 s6, 0
                                        ; implicit-def: $vgpr10
	s_branch .LBB31_3575
.LBB31_3506:
	s_mov_b32 s7, -1
	s_mov_b32 s6, 0
	s_mov_b32 s0, 0
                                        ; implicit-def: $vgpr10
	s_branch .LBB31_3540
.LBB31_3507:
	s_mov_b32 s7, -1
	s_mov_b32 s6, 0
	s_mov_b32 s0, 0
                                        ; implicit-def: $vgpr10
	s_branch .LBB31_3523
.LBB31_3508:
	s_mov_b32 s7, -1
	s_mov_b32 s6, 0
	s_mov_b32 s0, 0
                                        ; implicit-def: $vgpr10
	s_branch .LBB31_3518
.LBB31_3509:
	s_or_b32 s12, s12, exec_lo
	s_trap 2
	s_cbranch_execz .LBB31_3446
	s_branch .LBB31_3447
.LBB31_3510:
	s_mov_b32 s7, -1
	s_mov_b32 s6, 0
	s_mov_b32 s0, 0
	s_branch .LBB31_3512
.LBB31_3511:
	s_mov_b32 s0, -1
	s_mov_b32 s6, 0
.LBB31_3512:
                                        ; implicit-def: $vgpr10
.LBB31_3513:
	s_and_b32 vcc_lo, exec_lo, s7
	s_cbranch_vccz .LBB31_3517
; %bb.3514:
	s_cmp_eq_u32 s15, 44
	s_cbranch_scc0 .LBB31_3516
; %bb.3515:
	global_load_u8 v1, v[32:33], off
	s_mov_b32 s0, 0
	s_mov_b32 s6, -1
	s_wait_loadcnt 0x0
	v_lshlrev_b32_e32 v3, 23, v1
	v_cmp_ne_u32_e32 vcc_lo, 0, v1
	s_delay_alu instid0(VALU_DEP_2) | instskip(NEXT) | instid1(VALU_DEP_1)
	v_trunc_f32_e32 v3, v3
	v_mul_f32_e64 v5, 0x2f800000, |v3|
	s_delay_alu instid0(VALU_DEP_1) | instskip(NEXT) | instid1(VALU_DEP_1)
	v_floor_f32_e32 v5, v5
	v_fma_f32 v5, 0xcf800000, v5, |v3|
	v_ashrrev_i32_e32 v3, 31, v3
	s_delay_alu instid0(VALU_DEP_2) | instskip(NEXT) | instid1(VALU_DEP_1)
	v_cvt_u32_f32_e32 v5, v5
	v_xor_b32_e32 v5, v5, v3
	s_delay_alu instid0(VALU_DEP_1) | instskip(NEXT) | instid1(VALU_DEP_1)
	v_sub_nc_u32_e32 v3, v5, v3
	v_cndmask_b32_e32 v10, 0, v3, vcc_lo
	s_branch .LBB31_3517
.LBB31_3516:
	s_mov_b32 s0, -1
                                        ; implicit-def: $vgpr10
.LBB31_3517:
	s_mov_b32 s7, 0
.LBB31_3518:
	s_delay_alu instid0(SALU_CYCLE_1)
	s_and_b32 vcc_lo, exec_lo, s7
	s_cbranch_vccz .LBB31_3522
; %bb.3519:
	s_cmp_eq_u32 s15, 29
	s_cbranch_scc0 .LBB31_3521
; %bb.3520:
	global_load_b64 v[10:11], v[32:33], off
	s_mov_b32 s0, 0
	s_mov_b32 s6, -1
	s_branch .LBB31_3522
.LBB31_3521:
	s_mov_b32 s0, -1
                                        ; implicit-def: $vgpr10
.LBB31_3522:
	s_mov_b32 s7, 0
.LBB31_3523:
	s_delay_alu instid0(SALU_CYCLE_1)
	s_and_b32 vcc_lo, exec_lo, s7
	s_cbranch_vccz .LBB31_3539
; %bb.3524:
	s_cmp_lt_i32 s15, 27
	s_cbranch_scc1 .LBB31_3527
; %bb.3525:
	s_cmp_gt_i32 s15, 27
	s_cbranch_scc0 .LBB31_3528
; %bb.3526:
	s_wait_loadcnt 0x0
	global_load_b32 v10, v[32:33], off
	s_mov_b32 s6, 0
	s_branch .LBB31_3529
.LBB31_3527:
	s_mov_b32 s6, -1
                                        ; implicit-def: $vgpr10
	s_branch .LBB31_3532
.LBB31_3528:
	s_mov_b32 s6, -1
                                        ; implicit-def: $vgpr10
.LBB31_3529:
	s_delay_alu instid0(SALU_CYCLE_1)
	s_and_not1_b32 vcc_lo, exec_lo, s6
	s_cbranch_vccnz .LBB31_3531
; %bb.3530:
	s_wait_loadcnt 0x0
	global_load_u16 v10, v[32:33], off
.LBB31_3531:
	s_mov_b32 s6, 0
.LBB31_3532:
	s_delay_alu instid0(SALU_CYCLE_1)
	s_and_not1_b32 vcc_lo, exec_lo, s6
	s_cbranch_vccnz .LBB31_3538
; %bb.3533:
	global_load_u8 v1, v[32:33], off
	s_mov_b32 s7, 0
	s_mov_b32 s6, exec_lo
	s_wait_loadcnt 0x0
	v_cmpx_lt_i16_e32 0x7f, v1
	s_xor_b32 s6, exec_lo, s6
	s_cbranch_execz .LBB31_3550
; %bb.3534:
	v_cmp_ne_u16_e32 vcc_lo, 0x80, v1
	s_and_b32 s7, vcc_lo, exec_lo
	s_and_not1_saveexec_b32 s6, s6
	s_cbranch_execnz .LBB31_3551
.LBB31_3535:
	s_or_b32 exec_lo, exec_lo, s6
	v_mov_b32_e32 v10, 0
	s_and_saveexec_b32 s6, s7
	s_cbranch_execz .LBB31_3537
.LBB31_3536:
	v_and_b32_e32 v3, 0xffff, v1
	s_delay_alu instid0(VALU_DEP_1) | instskip(SKIP_1) | instid1(VALU_DEP_2)
	v_dual_lshlrev_b32 v1, 24, v1 :: v_dual_bitop2_b32 v5, 7, v3 bitop3:0x40
	v_bfe_u32 v10, v3, 3, 4
	v_and_b32_e32 v1, 0x80000000, v1
	s_delay_alu instid0(VALU_DEP_3) | instskip(NEXT) | instid1(VALU_DEP_3)
	v_clz_i32_u32_e32 v7, v5
	v_cmp_eq_u32_e32 vcc_lo, 0, v10
	s_delay_alu instid0(VALU_DEP_2) | instskip(NEXT) | instid1(VALU_DEP_1)
	v_min_u32_e32 v7, 32, v7
	v_subrev_nc_u32_e32 v9, 28, v7
	v_sub_nc_u32_e32 v7, 29, v7
	s_delay_alu instid0(VALU_DEP_2) | instskip(NEXT) | instid1(VALU_DEP_2)
	v_lshlrev_b32_e32 v3, v9, v3
	v_cndmask_b32_e32 v7, v10, v7, vcc_lo
	s_delay_alu instid0(VALU_DEP_2) | instskip(NEXT) | instid1(VALU_DEP_1)
	v_and_b32_e32 v3, 7, v3
	v_cndmask_b32_e32 v3, v5, v3, vcc_lo
	s_delay_alu instid0(VALU_DEP_3) | instskip(NEXT) | instid1(VALU_DEP_2)
	v_lshl_add_u32 v5, v7, 23, 0x3b800000
	v_lshlrev_b32_e32 v3, 20, v3
	s_delay_alu instid0(VALU_DEP_1) | instskip(NEXT) | instid1(VALU_DEP_1)
	v_or3_b32 v1, v1, v5, v3
	v_trunc_f32_e32 v1, v1
	s_delay_alu instid0(VALU_DEP_1) | instskip(NEXT) | instid1(VALU_DEP_1)
	v_mul_f32_e64 v3, 0x2f800000, |v1|
	v_floor_f32_e32 v3, v3
	s_delay_alu instid0(VALU_DEP_1) | instskip(SKIP_1) | instid1(VALU_DEP_2)
	v_fma_f32 v3, 0xcf800000, v3, |v1|
	v_ashrrev_i32_e32 v1, 31, v1
	v_cvt_u32_f32_e32 v3, v3
	s_delay_alu instid0(VALU_DEP_1) | instskip(NEXT) | instid1(VALU_DEP_1)
	v_xor_b32_e32 v3, v3, v1
	v_sub_nc_u32_e32 v10, v3, v1
.LBB31_3537:
	s_or_b32 exec_lo, exec_lo, s6
.LBB31_3538:
	s_mov_b32 s6, -1
.LBB31_3539:
	s_mov_b32 s7, 0
.LBB31_3540:
	s_delay_alu instid0(SALU_CYCLE_1)
	s_and_b32 vcc_lo, exec_lo, s7
	s_cbranch_vccz .LBB31_3571
; %bb.3541:
	s_cmp_gt_i32 s15, 22
	s_cbranch_scc0 .LBB31_3549
; %bb.3542:
	s_cmp_lt_i32 s15, 24
	s_cbranch_scc1 .LBB31_3552
; %bb.3543:
	s_cmp_gt_i32 s15, 24
	s_cbranch_scc0 .LBB31_3553
; %bb.3544:
	global_load_u8 v1, v[32:33], off
	s_mov_b32 s6, 0
	s_mov_b32 s1, exec_lo
	s_wait_loadcnt 0x0
	v_cmpx_lt_i16_e32 0x7f, v1
	s_xor_b32 s1, exec_lo, s1
	s_cbranch_execz .LBB31_3565
; %bb.3545:
	v_cmp_ne_u16_e32 vcc_lo, 0x80, v1
	s_and_b32 s6, vcc_lo, exec_lo
	s_and_not1_saveexec_b32 s1, s1
	s_cbranch_execnz .LBB31_3566
.LBB31_3546:
	s_or_b32 exec_lo, exec_lo, s1
	v_mov_b32_e32 v10, 0
	s_and_saveexec_b32 s1, s6
	s_cbranch_execz .LBB31_3548
.LBB31_3547:
	v_and_b32_e32 v3, 0xffff, v1
	s_delay_alu instid0(VALU_DEP_1) | instskip(SKIP_1) | instid1(VALU_DEP_2)
	v_dual_lshlrev_b32 v1, 24, v1 :: v_dual_bitop2_b32 v5, 3, v3 bitop3:0x40
	v_bfe_u32 v10, v3, 2, 5
	v_and_b32_e32 v1, 0x80000000, v1
	s_delay_alu instid0(VALU_DEP_3) | instskip(NEXT) | instid1(VALU_DEP_3)
	v_clz_i32_u32_e32 v7, v5
	v_cmp_eq_u32_e32 vcc_lo, 0, v10
	s_delay_alu instid0(VALU_DEP_2) | instskip(NEXT) | instid1(VALU_DEP_1)
	v_min_u32_e32 v7, 32, v7
	v_subrev_nc_u32_e32 v9, 29, v7
	v_sub_nc_u32_e32 v7, 30, v7
	s_delay_alu instid0(VALU_DEP_2) | instskip(NEXT) | instid1(VALU_DEP_2)
	v_lshlrev_b32_e32 v3, v9, v3
	v_cndmask_b32_e32 v7, v10, v7, vcc_lo
	s_delay_alu instid0(VALU_DEP_2) | instskip(NEXT) | instid1(VALU_DEP_1)
	v_and_b32_e32 v3, 3, v3
	v_cndmask_b32_e32 v3, v5, v3, vcc_lo
	s_delay_alu instid0(VALU_DEP_3) | instskip(NEXT) | instid1(VALU_DEP_2)
	v_lshl_add_u32 v5, v7, 23, 0x37800000
	v_lshlrev_b32_e32 v3, 21, v3
	s_delay_alu instid0(VALU_DEP_1) | instskip(NEXT) | instid1(VALU_DEP_1)
	v_or3_b32 v1, v1, v5, v3
	v_trunc_f32_e32 v1, v1
	s_delay_alu instid0(VALU_DEP_1) | instskip(NEXT) | instid1(VALU_DEP_1)
	v_mul_f32_e64 v3, 0x2f800000, |v1|
	v_floor_f32_e32 v3, v3
	s_delay_alu instid0(VALU_DEP_1) | instskip(SKIP_1) | instid1(VALU_DEP_2)
	v_fma_f32 v3, 0xcf800000, v3, |v1|
	v_ashrrev_i32_e32 v1, 31, v1
	v_cvt_u32_f32_e32 v3, v3
	s_delay_alu instid0(VALU_DEP_1) | instskip(NEXT) | instid1(VALU_DEP_1)
	v_xor_b32_e32 v3, v3, v1
	v_sub_nc_u32_e32 v10, v3, v1
.LBB31_3548:
	s_or_b32 exec_lo, exec_lo, s1
	s_mov_b32 s1, 0
	s_branch .LBB31_3554
.LBB31_3549:
	s_mov_b32 s1, -1
                                        ; implicit-def: $vgpr10
	s_branch .LBB31_3560
.LBB31_3550:
	s_and_not1_saveexec_b32 s6, s6
	s_cbranch_execz .LBB31_3535
.LBB31_3551:
	v_cmp_ne_u16_e32 vcc_lo, 0, v1
	s_and_not1_b32 s7, s7, exec_lo
	s_and_b32 s8, vcc_lo, exec_lo
	s_delay_alu instid0(SALU_CYCLE_1)
	s_or_b32 s7, s7, s8
	s_or_b32 exec_lo, exec_lo, s6
	v_mov_b32_e32 v10, 0
	s_and_saveexec_b32 s6, s7
	s_cbranch_execnz .LBB31_3536
	s_branch .LBB31_3537
.LBB31_3552:
	s_mov_b32 s1, -1
                                        ; implicit-def: $vgpr10
	s_branch .LBB31_3557
.LBB31_3553:
	s_mov_b32 s1, -1
                                        ; implicit-def: $vgpr10
.LBB31_3554:
	s_delay_alu instid0(SALU_CYCLE_1)
	s_and_b32 vcc_lo, exec_lo, s1
	s_cbranch_vccz .LBB31_3556
; %bb.3555:
	global_load_u8 v1, v[32:33], off
	s_wait_loadcnt 0x0
	v_lshlrev_b32_e32 v1, 24, v1
	s_delay_alu instid0(VALU_DEP_1) | instskip(NEXT) | instid1(VALU_DEP_1)
	v_and_b32_e32 v3, 0x7f000000, v1
	v_clz_i32_u32_e32 v5, v3
	v_add_nc_u32_e32 v9, 0x1000000, v3
	v_cmp_ne_u32_e32 vcc_lo, 0, v3
	s_delay_alu instid0(VALU_DEP_3) | instskip(NEXT) | instid1(VALU_DEP_1)
	v_min_u32_e32 v5, 32, v5
	v_sub_nc_u32_e64 v5, v5, 4 clamp
	s_delay_alu instid0(VALU_DEP_1) | instskip(NEXT) | instid1(VALU_DEP_1)
	v_dual_lshlrev_b32 v7, v5, v3 :: v_dual_lshlrev_b32 v5, 23, v5
	v_lshrrev_b32_e32 v7, 4, v7
	s_delay_alu instid0(VALU_DEP_1) | instskip(SKIP_1) | instid1(VALU_DEP_2)
	v_sub_nc_u32_e32 v5, v7, v5
	v_ashrrev_i32_e32 v7, 8, v9
	v_add_nc_u32_e32 v5, 0x3c000000, v5
	s_delay_alu instid0(VALU_DEP_1) | instskip(NEXT) | instid1(VALU_DEP_1)
	v_and_or_b32 v5, 0x7f800000, v7, v5
	v_cndmask_b32_e32 v3, 0, v5, vcc_lo
	s_delay_alu instid0(VALU_DEP_1) | instskip(NEXT) | instid1(VALU_DEP_1)
	v_and_or_b32 v1, 0x80000000, v1, v3
	v_trunc_f32_e32 v1, v1
	s_delay_alu instid0(VALU_DEP_1) | instskip(NEXT) | instid1(VALU_DEP_1)
	v_mul_f32_e64 v3, 0x2f800000, |v1|
	v_floor_f32_e32 v3, v3
	s_delay_alu instid0(VALU_DEP_1) | instskip(SKIP_1) | instid1(VALU_DEP_2)
	v_fma_f32 v3, 0xcf800000, v3, |v1|
	v_ashrrev_i32_e32 v1, 31, v1
	v_cvt_u32_f32_e32 v3, v3
	s_delay_alu instid0(VALU_DEP_1) | instskip(NEXT) | instid1(VALU_DEP_1)
	v_xor_b32_e32 v3, v3, v1
	v_sub_nc_u32_e32 v10, v3, v1
.LBB31_3556:
	s_mov_b32 s1, 0
.LBB31_3557:
	s_delay_alu instid0(SALU_CYCLE_1)
	s_and_not1_b32 vcc_lo, exec_lo, s1
	s_cbranch_vccnz .LBB31_3559
; %bb.3558:
	global_load_u8 v1, v[32:33], off
	s_wait_loadcnt 0x0
	v_lshlrev_b32_e32 v3, 25, v1
	v_lshlrev_b16 v1, 8, v1
	s_delay_alu instid0(VALU_DEP_1) | instskip(SKIP_1) | instid1(VALU_DEP_2)
	v_and_or_b32 v7, 0x7f00, v1, 0.5
	v_bfe_i32 v1, v1, 0, 16
	v_add_f32_e32 v7, -0.5, v7
	v_lshrrev_b32_e32 v5, 4, v3
	v_cmp_gt_u32_e32 vcc_lo, 0x8000000, v3
	s_delay_alu instid0(VALU_DEP_2) | instskip(NEXT) | instid1(VALU_DEP_1)
	v_or_b32_e32 v5, 0x70000000, v5
	v_mul_f32_e32 v5, 0x7800000, v5
	s_delay_alu instid0(VALU_DEP_1) | instskip(NEXT) | instid1(VALU_DEP_1)
	v_cndmask_b32_e32 v3, v5, v7, vcc_lo
	v_and_or_b32 v1, 0x80000000, v1, v3
	s_delay_alu instid0(VALU_DEP_1) | instskip(NEXT) | instid1(VALU_DEP_1)
	v_trunc_f32_e32 v1, v1
	v_mul_f32_e64 v3, 0x2f800000, |v1|
	s_delay_alu instid0(VALU_DEP_1) | instskip(NEXT) | instid1(VALU_DEP_1)
	v_floor_f32_e32 v3, v3
	v_fma_f32 v3, 0xcf800000, v3, |v1|
	v_ashrrev_i32_e32 v1, 31, v1
	s_delay_alu instid0(VALU_DEP_2) | instskip(NEXT) | instid1(VALU_DEP_1)
	v_cvt_u32_f32_e32 v3, v3
	v_xor_b32_e32 v3, v3, v1
	s_delay_alu instid0(VALU_DEP_1)
	v_sub_nc_u32_e32 v10, v3, v1
.LBB31_3559:
	s_mov_b32 s1, 0
	s_mov_b32 s6, -1
.LBB31_3560:
	s_and_not1_b32 vcc_lo, exec_lo, s1
	s_mov_b32 s1, 0
	s_cbranch_vccnz .LBB31_3571
; %bb.3561:
	s_cmp_gt_i32 s15, 14
	s_cbranch_scc0 .LBB31_3564
; %bb.3562:
	s_cmp_eq_u32 s15, 15
	s_cbranch_scc0 .LBB31_3567
; %bb.3563:
	global_load_u16 v1, v[32:33], off
	s_mov_b32 s0, 0
	s_mov_b32 s6, -1
	s_wait_loadcnt 0x0
	v_lshlrev_b32_e32 v1, 16, v1
	s_delay_alu instid0(VALU_DEP_1) | instskip(NEXT) | instid1(VALU_DEP_1)
	v_trunc_f32_e32 v1, v1
	v_mul_f32_e64 v3, 0x2f800000, |v1|
	s_delay_alu instid0(VALU_DEP_1) | instskip(NEXT) | instid1(VALU_DEP_1)
	v_floor_f32_e32 v3, v3
	v_fma_f32 v3, 0xcf800000, v3, |v1|
	v_ashrrev_i32_e32 v1, 31, v1
	s_delay_alu instid0(VALU_DEP_2) | instskip(NEXT) | instid1(VALU_DEP_1)
	v_cvt_u32_f32_e32 v3, v3
	v_xor_b32_e32 v3, v3, v1
	s_delay_alu instid0(VALU_DEP_1)
	v_sub_nc_u32_e32 v10, v3, v1
	s_branch .LBB31_3569
.LBB31_3564:
	s_mov_b32 s1, -1
	s_branch .LBB31_3568
.LBB31_3565:
	s_and_not1_saveexec_b32 s1, s1
	s_cbranch_execz .LBB31_3546
.LBB31_3566:
	v_cmp_ne_u16_e32 vcc_lo, 0, v1
	s_and_not1_b32 s6, s6, exec_lo
	s_and_b32 s7, vcc_lo, exec_lo
	s_delay_alu instid0(SALU_CYCLE_1)
	s_or_b32 s6, s6, s7
	s_or_b32 exec_lo, exec_lo, s1
	v_mov_b32_e32 v10, 0
	s_and_saveexec_b32 s1, s6
	s_cbranch_execnz .LBB31_3547
	s_branch .LBB31_3548
.LBB31_3567:
	s_mov_b32 s0, -1
.LBB31_3568:
                                        ; implicit-def: $vgpr10
.LBB31_3569:
	s_and_b32 vcc_lo, exec_lo, s1
	s_mov_b32 s1, 0
	s_cbranch_vccz .LBB31_3571
; %bb.3570:
	s_cmp_lg_u32 s15, 11
	s_mov_b32 s1, -1
	s_cselect_b32 s0, -1, 0
.LBB31_3571:
	s_delay_alu instid0(SALU_CYCLE_1)
	s_and_b32 vcc_lo, exec_lo, s0
	s_cbranch_vccnz .LBB31_4104
; %bb.3572:
	s_and_not1_b32 vcc_lo, exec_lo, s1
	s_cbranch_vccnz .LBB31_3574
.LBB31_3573:
	global_load_u8 v1, v[32:33], off
	s_mov_b32 s6, -1
	s_wait_loadcnt 0x0
	v_cmp_ne_u16_e32 vcc_lo, 0, v1
	v_cndmask_b32_e64 v10, 0, 1, vcc_lo
.LBB31_3574:
	s_mov_b32 s0, 0
.LBB31_3575:
	s_delay_alu instid0(SALU_CYCLE_1)
	s_and_b32 vcc_lo, exec_lo, s0
	s_cbranch_vccz .LBB31_3624
; %bb.3576:
	s_cmp_lt_i32 s15, 5
	s_cbranch_scc1 .LBB31_3581
; %bb.3577:
	s_cmp_lt_i32 s15, 8
	s_cbranch_scc1 .LBB31_3582
	;; [unrolled: 3-line block ×3, first 2 shown]
; %bb.3579:
	s_cmp_gt_i32 s15, 9
	s_cbranch_scc0 .LBB31_3584
; %bb.3580:
	s_wait_loadcnt 0x0
	global_load_b64 v[10:11], v[32:33], off
	s_mov_b32 s0, 0
	s_wait_loadcnt 0x0
	v_trunc_f64_e32 v[10:11], v[10:11]
	s_delay_alu instid0(VALU_DEP_1) | instskip(NEXT) | instid1(VALU_DEP_1)
	v_ldexp_f64 v[34:35], v[10:11], 0xffffffe0
	v_floor_f64_e32 v[34:35], v[34:35]
	s_delay_alu instid0(VALU_DEP_1) | instskip(NEXT) | instid1(VALU_DEP_1)
	v_fmamk_f64 v[10:11], v[34:35], 0xc1f00000, v[10:11]
	v_cvt_u32_f64_e32 v10, v[10:11]
	s_branch .LBB31_3585
.LBB31_3581:
	s_mov_b32 s0, -1
                                        ; implicit-def: $vgpr10
	s_branch .LBB31_3603
.LBB31_3582:
	s_mov_b32 s0, -1
                                        ; implicit-def: $vgpr10
	s_branch .LBB31_3591
.LBB31_3583:
	s_mov_b32 s0, -1
                                        ; implicit-def: $vgpr10
	s_branch .LBB31_3588
.LBB31_3584:
	s_mov_b32 s0, -1
                                        ; implicit-def: $vgpr10
.LBB31_3585:
	s_delay_alu instid0(SALU_CYCLE_1)
	s_and_not1_b32 vcc_lo, exec_lo, s0
	s_cbranch_vccnz .LBB31_3587
; %bb.3586:
	global_load_b32 v1, v[32:33], off
	s_wait_loadcnt 0x0
	v_trunc_f32_e32 v1, v1
	s_delay_alu instid0(VALU_DEP_1) | instskip(NEXT) | instid1(VALU_DEP_1)
	v_mul_f32_e64 v3, 0x2f800000, |v1|
	v_floor_f32_e32 v3, v3
	s_delay_alu instid0(VALU_DEP_1) | instskip(SKIP_1) | instid1(VALU_DEP_2)
	v_fma_f32 v3, 0xcf800000, v3, |v1|
	v_ashrrev_i32_e32 v1, 31, v1
	v_cvt_u32_f32_e32 v3, v3
	s_delay_alu instid0(VALU_DEP_1) | instskip(NEXT) | instid1(VALU_DEP_1)
	v_xor_b32_e32 v3, v3, v1
	v_sub_nc_u32_e32 v10, v3, v1
.LBB31_3587:
	s_mov_b32 s0, 0
.LBB31_3588:
	s_delay_alu instid0(SALU_CYCLE_1)
	s_and_not1_b32 vcc_lo, exec_lo, s0
	s_cbranch_vccnz .LBB31_3590
; %bb.3589:
	global_load_b32 v1, v[32:33], off
	s_wait_loadcnt 0x0
	v_cvt_f32_f16_e32 v1, v1
	s_delay_alu instid0(VALU_DEP_1)
	v_cvt_i32_f32_e32 v10, v1
.LBB31_3590:
	s_mov_b32 s0, 0
.LBB31_3591:
	s_delay_alu instid0(SALU_CYCLE_1)
	s_and_not1_b32 vcc_lo, exec_lo, s0
	s_cbranch_vccnz .LBB31_3602
; %bb.3592:
	s_cmp_lt_i32 s15, 6
	s_cbranch_scc1 .LBB31_3595
; %bb.3593:
	s_cmp_gt_i32 s15, 6
	s_cbranch_scc0 .LBB31_3596
; %bb.3594:
	s_wait_loadcnt 0x0
	global_load_b64 v[10:11], v[32:33], off
	s_mov_b32 s0, 0
	s_wait_loadcnt 0x0
	v_trunc_f64_e32 v[10:11], v[10:11]
	s_delay_alu instid0(VALU_DEP_1) | instskip(NEXT) | instid1(VALU_DEP_1)
	v_ldexp_f64 v[34:35], v[10:11], 0xffffffe0
	v_floor_f64_e32 v[34:35], v[34:35]
	s_delay_alu instid0(VALU_DEP_1) | instskip(NEXT) | instid1(VALU_DEP_1)
	v_fmamk_f64 v[10:11], v[34:35], 0xc1f00000, v[10:11]
	v_cvt_u32_f64_e32 v10, v[10:11]
	s_branch .LBB31_3597
.LBB31_3595:
	s_mov_b32 s0, -1
                                        ; implicit-def: $vgpr10
	s_branch .LBB31_3600
.LBB31_3596:
	s_mov_b32 s0, -1
                                        ; implicit-def: $vgpr10
.LBB31_3597:
	s_delay_alu instid0(SALU_CYCLE_1)
	s_and_not1_b32 vcc_lo, exec_lo, s0
	s_cbranch_vccnz .LBB31_3599
; %bb.3598:
	global_load_b32 v1, v[32:33], off
	s_wait_loadcnt 0x0
	v_trunc_f32_e32 v1, v1
	s_delay_alu instid0(VALU_DEP_1) | instskip(NEXT) | instid1(VALU_DEP_1)
	v_mul_f32_e64 v3, 0x2f800000, |v1|
	v_floor_f32_e32 v3, v3
	s_delay_alu instid0(VALU_DEP_1) | instskip(SKIP_1) | instid1(VALU_DEP_2)
	v_fma_f32 v3, 0xcf800000, v3, |v1|
	v_ashrrev_i32_e32 v1, 31, v1
	v_cvt_u32_f32_e32 v3, v3
	s_delay_alu instid0(VALU_DEP_1) | instskip(NEXT) | instid1(VALU_DEP_1)
	v_xor_b32_e32 v3, v3, v1
	v_sub_nc_u32_e32 v10, v3, v1
.LBB31_3599:
	s_mov_b32 s0, 0
.LBB31_3600:
	s_delay_alu instid0(SALU_CYCLE_1)
	s_and_not1_b32 vcc_lo, exec_lo, s0
	s_cbranch_vccnz .LBB31_3602
; %bb.3601:
	global_load_u16 v1, v[32:33], off
	s_wait_loadcnt 0x0
	v_cvt_f32_f16_e32 v1, v1
	s_delay_alu instid0(VALU_DEP_1)
	v_cvt_i32_f32_e32 v10, v1
.LBB31_3602:
	s_mov_b32 s0, 0
.LBB31_3603:
	s_delay_alu instid0(SALU_CYCLE_1)
	s_and_not1_b32 vcc_lo, exec_lo, s0
	s_cbranch_vccnz .LBB31_3623
; %bb.3604:
	s_cmp_lt_i32 s15, 2
	s_cbranch_scc1 .LBB31_3608
; %bb.3605:
	s_cmp_lt_i32 s15, 3
	s_cbranch_scc1 .LBB31_3609
; %bb.3606:
	s_cmp_gt_i32 s15, 3
	s_cbranch_scc0 .LBB31_3610
; %bb.3607:
	s_wait_loadcnt 0x0
	global_load_b64 v[10:11], v[32:33], off
	s_mov_b32 s0, 0
	s_branch .LBB31_3611
.LBB31_3608:
	s_mov_b32 s0, -1
                                        ; implicit-def: $vgpr10
	s_branch .LBB31_3617
.LBB31_3609:
	s_mov_b32 s0, -1
                                        ; implicit-def: $vgpr10
	s_branch .LBB31_3614
.LBB31_3610:
	s_mov_b32 s0, -1
                                        ; implicit-def: $vgpr10
.LBB31_3611:
	s_delay_alu instid0(SALU_CYCLE_1)
	s_and_not1_b32 vcc_lo, exec_lo, s0
	s_cbranch_vccnz .LBB31_3613
; %bb.3612:
	s_wait_loadcnt 0x0
	global_load_b32 v10, v[32:33], off
.LBB31_3613:
	s_mov_b32 s0, 0
.LBB31_3614:
	s_delay_alu instid0(SALU_CYCLE_1)
	s_and_not1_b32 vcc_lo, exec_lo, s0
	s_cbranch_vccnz .LBB31_3616
; %bb.3615:
	s_wait_loadcnt 0x0
	global_load_u16 v10, v[32:33], off
.LBB31_3616:
	s_mov_b32 s0, 0
.LBB31_3617:
	s_delay_alu instid0(SALU_CYCLE_1)
	s_and_not1_b32 vcc_lo, exec_lo, s0
	s_cbranch_vccnz .LBB31_3623
; %bb.3618:
	s_cmp_gt_i32 s15, 0
	s_mov_b32 s0, 0
	s_cbranch_scc0 .LBB31_3620
; %bb.3619:
	s_wait_loadcnt 0x0
	global_load_u8 v10, v[32:33], off
	s_branch .LBB31_3621
.LBB31_3620:
	s_mov_b32 s0, -1
                                        ; implicit-def: $vgpr10
.LBB31_3621:
	s_delay_alu instid0(SALU_CYCLE_1)
	s_and_not1_b32 vcc_lo, exec_lo, s0
	s_cbranch_vccnz .LBB31_3623
; %bb.3622:
	s_wait_loadcnt 0x0
	global_load_u8 v10, v[32:33], off
.LBB31_3623:
	s_mov_b32 s6, -1
.LBB31_3624:
	s_delay_alu instid0(SALU_CYCLE_1)
	s_and_not1_b32 vcc_lo, exec_lo, s6
	s_cbranch_vccnz .LBB31_4058
; %bb.3625:
	v_mov_b32_e32 v7, 0
	global_load_u8 v1, v7, s[2:3] offset:490
	s_wait_xcnt 0x0
	s_load_b32 s2, s[2:3], 0x1e8
	v_add_nc_u64_e32 v[6:7], s[4:5], v[6:7]
	s_wait_kmcnt 0x0
	s_bfe_u32 s3, s2, 0x80008
	v_mul_lo_u16 v5, v8, s2
	v_mul_lo_u16 v8, v12, s3
	s_wait_loadcnt 0x0
	v_and_b32_e32 v3, 0xffff, v1
	v_readfirstlane_b32 s1, v1
	s_delay_alu instid0(VALU_DEP_3) | instskip(NEXT) | instid1(VALU_DEP_3)
	v_mad_u16 v1, v8, v16, v5
	v_cmp_gt_i32_e32 vcc_lo, 11, v3
	s_cbranch_vccnz .LBB31_3703
; %bb.3626:
	s_and_b32 s6, 0xffff, s1
	s_mov_b32 s9, -1
	s_mov_b32 s7, 0
	s_cmp_gt_i32 s6, 25
	s_mov_b32 s8, 0
	s_mov_b32 s0, 0
	s_cbranch_scc0 .LBB31_3659
; %bb.3627:
	s_cmp_gt_i32 s6, 28
	s_cbranch_scc0 .LBB31_3642
; %bb.3628:
	s_cmp_gt_i32 s6, 43
	;; [unrolled: 3-line block ×3, first 2 shown]
	s_cbranch_scc0 .LBB31_3632
; %bb.3630:
	s_mov_b32 s0, -1
	s_mov_b32 s9, 0
	s_cmp_eq_u32 s6, 46
	s_cbranch_scc0 .LBB31_3632
; %bb.3631:
	v_cvt_f32_ubyte0_e32 v3, v1
	s_mov_b32 s0, 0
	s_mov_b32 s8, -1
	s_delay_alu instid0(VALU_DEP_1) | instskip(NEXT) | instid1(VALU_DEP_1)
	v_bfe_u32 v5, v3, 16, 1
	v_add3_u32 v3, v3, v5, 0x7fff
	s_delay_alu instid0(VALU_DEP_1)
	v_lshrrev_b32_e32 v3, 16, v3
	global_store_b32 v[6:7], v3, off
.LBB31_3632:
	s_and_b32 vcc_lo, exec_lo, s9
	s_cbranch_vccz .LBB31_3637
; %bb.3633:
	s_cmp_eq_u32 s6, 44
	s_mov_b32 s0, -1
	s_cbranch_scc0 .LBB31_3637
; %bb.3634:
	v_cvt_f32_ubyte0_e32 v8, v1
	v_mov_b32_e32 v5, 0xff
	s_mov_b32 s8, exec_lo
	s_wait_xcnt 0x0
	s_delay_alu instid0(VALU_DEP_2) | instskip(NEXT) | instid1(VALU_DEP_1)
	v_lshrrev_b32_e32 v3, 23, v8
	v_cmpx_ne_u32_e32 0xff, v3
; %bb.3635:
	v_and_b32_e32 v5, 0x400000, v8
	v_and_or_b32 v8, 0x3fffff, v8, v3
	s_delay_alu instid0(VALU_DEP_2) | instskip(NEXT) | instid1(VALU_DEP_2)
	v_cmp_ne_u32_e32 vcc_lo, 0, v5
	v_cmp_ne_u32_e64 s0, 0, v8
	s_and_b32 s0, vcc_lo, s0
	s_delay_alu instid0(SALU_CYCLE_1) | instskip(NEXT) | instid1(VALU_DEP_1)
	v_cndmask_b32_e64 v5, 0, 1, s0
	v_add_nc_u32_e32 v5, v3, v5
; %bb.3636:
	s_or_b32 exec_lo, exec_lo, s8
	s_mov_b32 s0, 0
	s_mov_b32 s8, -1
	global_store_b8 v[6:7], v5, off
.LBB31_3637:
	s_mov_b32 s9, 0
.LBB31_3638:
	s_delay_alu instid0(SALU_CYCLE_1)
	s_and_b32 vcc_lo, exec_lo, s9
	s_cbranch_vccz .LBB31_3641
; %bb.3639:
	s_cmp_eq_u32 s6, 29
	s_mov_b32 s0, -1
	s_cbranch_scc0 .LBB31_3641
; %bb.3640:
	v_and_b32_e32 v8, 0xff, v1
	v_mov_b32_e32 v9, 0
	s_mov_b32 s0, 0
	s_mov_b32 s8, -1
	global_store_b64 v[6:7], v[8:9], off
.LBB31_3641:
	s_mov_b32 s9, 0
.LBB31_3642:
	s_delay_alu instid0(SALU_CYCLE_1)
	s_and_b32 vcc_lo, exec_lo, s9
	s_cbranch_vccz .LBB31_3658
; %bb.3643:
	s_cmp_lt_i32 s6, 27
	s_mov_b32 s8, -1
	s_cbranch_scc1 .LBB31_3649
; %bb.3644:
	s_cmp_gt_i32 s6, 27
	s_cbranch_scc0 .LBB31_3646
; %bb.3645:
	s_wait_xcnt 0x0
	v_and_b32_e32 v3, 0xff, v1
	s_mov_b32 s8, 0
	global_store_b32 v[6:7], v3, off
.LBB31_3646:
	s_and_not1_b32 vcc_lo, exec_lo, s8
	s_cbranch_vccnz .LBB31_3648
; %bb.3647:
	s_wait_xcnt 0x0
	v_and_b32_e32 v3, 0xff, v1
	global_store_b16 v[6:7], v3, off
.LBB31_3648:
	s_mov_b32 s8, 0
.LBB31_3649:
	s_delay_alu instid0(SALU_CYCLE_1)
	s_and_not1_b32 vcc_lo, exec_lo, s8
	s_cbranch_vccnz .LBB31_3657
; %bb.3650:
	s_wait_xcnt 0x0
	v_cvt_f32_ubyte0_e32 v5, v1
	v_mov_b32_e32 v8, 0x80
	s_mov_b32 s8, exec_lo
	s_delay_alu instid0(VALU_DEP_2)
	v_cmpx_gt_u32_e32 0x43800000, v5
	s_cbranch_execz .LBB31_3656
; %bb.3651:
	s_mov_b32 s9, 0
	s_mov_b32 s13, exec_lo
                                        ; implicit-def: $vgpr3
	v_cmpx_lt_u32_e32 0x3bffffff, v5
	s_xor_b32 s13, exec_lo, s13
	s_cbranch_execz .LBB31_4105
; %bb.3652:
	v_bfe_u32 v3, v5, 20, 1
	s_mov_b32 s9, exec_lo
	s_delay_alu instid0(VALU_DEP_1) | instskip(NEXT) | instid1(VALU_DEP_1)
	v_add3_u32 v3, v5, v3, 0x487ffff
                                        ; implicit-def: $vgpr5
	v_lshrrev_b32_e32 v3, 20, v3
	s_and_not1_saveexec_b32 s13, s13
	s_cbranch_execnz .LBB31_4106
.LBB31_3653:
	s_or_b32 exec_lo, exec_lo, s13
	v_mov_b32_e32 v8, 0
	s_and_saveexec_b32 s13, s9
.LBB31_3654:
	v_mov_b32_e32 v8, v3
.LBB31_3655:
	s_or_b32 exec_lo, exec_lo, s13
.LBB31_3656:
	s_delay_alu instid0(SALU_CYCLE_1)
	s_or_b32 exec_lo, exec_lo, s8
	global_store_b8 v[6:7], v8, off
.LBB31_3657:
	s_mov_b32 s8, -1
.LBB31_3658:
	s_mov_b32 s9, 0
.LBB31_3659:
	s_delay_alu instid0(SALU_CYCLE_1)
	s_and_b32 vcc_lo, exec_lo, s9
	s_cbranch_vccz .LBB31_3699
; %bb.3660:
	s_cmp_gt_i32 s6, 22
	s_mov_b32 s7, -1
	s_cbranch_scc0 .LBB31_3692
; %bb.3661:
	s_cmp_lt_i32 s6, 24
	s_cbranch_scc1 .LBB31_3681
; %bb.3662:
	s_cmp_gt_i32 s6, 24
	s_cbranch_scc0 .LBB31_3670
; %bb.3663:
	s_wait_xcnt 0x0
	v_cvt_f32_ubyte0_e32 v5, v1
	v_mov_b32_e32 v8, 0x80
	s_mov_b32 s7, exec_lo
	s_delay_alu instid0(VALU_DEP_2)
	v_cmpx_gt_u32_e32 0x47800000, v5
	s_cbranch_execz .LBB31_3669
; %bb.3664:
	s_mov_b32 s8, 0
	s_mov_b32 s9, exec_lo
                                        ; implicit-def: $vgpr3
	v_cmpx_lt_u32_e32 0x37ffffff, v5
	s_xor_b32 s9, exec_lo, s9
	s_cbranch_execz .LBB31_4108
; %bb.3665:
	v_bfe_u32 v3, v5, 21, 1
	s_mov_b32 s8, exec_lo
	s_delay_alu instid0(VALU_DEP_1) | instskip(NEXT) | instid1(VALU_DEP_1)
	v_add3_u32 v3, v5, v3, 0x88fffff
                                        ; implicit-def: $vgpr5
	v_lshrrev_b32_e32 v3, 21, v3
	s_and_not1_saveexec_b32 s9, s9
	s_cbranch_execnz .LBB31_4109
.LBB31_3666:
	s_or_b32 exec_lo, exec_lo, s9
	v_mov_b32_e32 v8, 0
	s_and_saveexec_b32 s9, s8
.LBB31_3667:
	v_mov_b32_e32 v8, v3
.LBB31_3668:
	s_or_b32 exec_lo, exec_lo, s9
.LBB31_3669:
	s_delay_alu instid0(SALU_CYCLE_1)
	s_or_b32 exec_lo, exec_lo, s7
	s_mov_b32 s7, 0
	global_store_b8 v[6:7], v8, off
.LBB31_3670:
	s_and_b32 vcc_lo, exec_lo, s7
	s_cbranch_vccz .LBB31_3680
; %bb.3671:
	s_wait_xcnt 0x0
	v_cvt_f32_ubyte0_e32 v5, v1
	s_mov_b32 s7, exec_lo
                                        ; implicit-def: $vgpr3
	s_delay_alu instid0(VALU_DEP_1)
	v_cmpx_gt_u32_e32 0x43f00000, v5
	s_xor_b32 s7, exec_lo, s7
	s_cbranch_execz .LBB31_3677
; %bb.3672:
	s_mov_b32 s8, exec_lo
                                        ; implicit-def: $vgpr3
	v_cmpx_lt_u32_e32 0x3c7fffff, v5
	s_xor_b32 s8, exec_lo, s8
; %bb.3673:
	v_bfe_u32 v3, v5, 20, 1
	s_delay_alu instid0(VALU_DEP_1) | instskip(NEXT) | instid1(VALU_DEP_1)
	v_add3_u32 v3, v5, v3, 0x407ffff
	v_and_b32_e32 v5, 0xff00000, v3
	v_lshrrev_b32_e32 v3, 20, v3
	s_delay_alu instid0(VALU_DEP_2) | instskip(NEXT) | instid1(VALU_DEP_2)
	v_cmp_ne_u32_e32 vcc_lo, 0x7f00000, v5
                                        ; implicit-def: $vgpr5
	v_cndmask_b32_e32 v3, 0x7e, v3, vcc_lo
; %bb.3674:
	s_and_not1_saveexec_b32 s8, s8
; %bb.3675:
	v_add_f32_e32 v3, 0x46800000, v5
; %bb.3676:
	s_or_b32 exec_lo, exec_lo, s8
                                        ; implicit-def: $vgpr5
.LBB31_3677:
	s_and_not1_saveexec_b32 s7, s7
; %bb.3678:
	v_mov_b32_e32 v3, 0x7f
	v_cmp_lt_u32_e32 vcc_lo, 0x7f800000, v5
	s_delay_alu instid0(VALU_DEP_2)
	v_cndmask_b32_e32 v3, 0x7e, v3, vcc_lo
; %bb.3679:
	s_or_b32 exec_lo, exec_lo, s7
	global_store_b8 v[6:7], v3, off
.LBB31_3680:
	s_mov_b32 s7, 0
.LBB31_3681:
	s_delay_alu instid0(SALU_CYCLE_1)
	s_and_not1_b32 vcc_lo, exec_lo, s7
	s_cbranch_vccnz .LBB31_3691
; %bb.3682:
	s_wait_xcnt 0x0
	v_cvt_f32_ubyte0_e32 v5, v1
	s_mov_b32 s7, exec_lo
                                        ; implicit-def: $vgpr3
	s_delay_alu instid0(VALU_DEP_1)
	v_cmpx_gt_u32_e32 0x47800000, v5
	s_xor_b32 s7, exec_lo, s7
	s_cbranch_execz .LBB31_3688
; %bb.3683:
	s_mov_b32 s8, exec_lo
                                        ; implicit-def: $vgpr3
	v_cmpx_lt_u32_e32 0x387fffff, v5
	s_xor_b32 s8, exec_lo, s8
; %bb.3684:
	v_bfe_u32 v3, v5, 21, 1
	s_delay_alu instid0(VALU_DEP_1) | instskip(NEXT) | instid1(VALU_DEP_1)
	v_add3_u32 v3, v5, v3, 0x80fffff
                                        ; implicit-def: $vgpr5
	v_lshrrev_b32_e32 v3, 21, v3
; %bb.3685:
	s_and_not1_saveexec_b32 s8, s8
; %bb.3686:
	v_add_f32_e32 v3, 0x43000000, v5
; %bb.3687:
	s_or_b32 exec_lo, exec_lo, s8
                                        ; implicit-def: $vgpr5
.LBB31_3688:
	s_and_not1_saveexec_b32 s7, s7
; %bb.3689:
	v_mov_b32_e32 v3, 0x7f
	v_cmp_lt_u32_e32 vcc_lo, 0x7f800000, v5
	s_delay_alu instid0(VALU_DEP_2)
	v_cndmask_b32_e32 v3, 0x7c, v3, vcc_lo
; %bb.3690:
	s_or_b32 exec_lo, exec_lo, s7
	global_store_b8 v[6:7], v3, off
.LBB31_3691:
	s_mov_b32 s7, 0
	s_mov_b32 s8, -1
.LBB31_3692:
	s_and_not1_b32 vcc_lo, exec_lo, s7
	s_mov_b32 s7, 0
	s_cbranch_vccnz .LBB31_3699
; %bb.3693:
	s_cmp_gt_i32 s6, 14
	s_mov_b32 s7, -1
	s_cbranch_scc0 .LBB31_3697
; %bb.3694:
	s_cmp_eq_u32 s6, 15
	s_mov_b32 s0, -1
	s_cbranch_scc0 .LBB31_3696
; %bb.3695:
	s_wait_xcnt 0x0
	v_cvt_f32_ubyte0_e32 v3, v1
	s_mov_b32 s0, 0
	s_mov_b32 s8, -1
	s_delay_alu instid0(VALU_DEP_1) | instskip(NEXT) | instid1(VALU_DEP_1)
	v_bfe_u32 v5, v3, 16, 1
	v_add3_u32 v3, v3, v5, 0x7fff
	global_store_d16_hi_b16 v[6:7], v3, off
.LBB31_3696:
	s_mov_b32 s7, 0
.LBB31_3697:
	s_delay_alu instid0(SALU_CYCLE_1)
	s_and_b32 vcc_lo, exec_lo, s7
	s_mov_b32 s7, 0
	s_cbranch_vccz .LBB31_3699
; %bb.3698:
	s_cmp_lg_u32 s6, 11
	s_mov_b32 s7, -1
	s_cselect_b32 s0, -1, 0
.LBB31_3699:
	s_delay_alu instid0(SALU_CYCLE_1)
	s_and_b32 vcc_lo, exec_lo, s0
	s_cbranch_vccnz .LBB31_4107
; %bb.3700:
	s_and_not1_b32 vcc_lo, exec_lo, s7
	s_cbranch_vccnz .LBB31_3702
.LBB31_3701:
	s_wait_xcnt 0x0
	v_and_b32_e32 v3, 0xff, v1
	s_mov_b32 s8, -1
	s_delay_alu instid0(VALU_DEP_1)
	v_cmp_ne_u16_e32 vcc_lo, 0, v3
	v_cndmask_b32_e64 v3, 0, 1, vcc_lo
	global_store_b8 v[6:7], v3, off
.LBB31_3702:
	s_mov_b32 s0, 0
	s_branch .LBB31_3704
.LBB31_3703:
	s_mov_b32 s0, -1
	s_mov_b32 s8, 0
.LBB31_3704:
	s_and_b32 vcc_lo, exec_lo, s0
	s_cbranch_vccz .LBB31_3743
; %bb.3705:
	s_and_b32 s0, 0xffff, s1
	s_mov_b32 s6, -1
	s_cmp_lt_i32 s0, 5
	s_cbranch_scc1 .LBB31_3726
; %bb.3706:
	s_cmp_lt_i32 s0, 8
	s_cbranch_scc1 .LBB31_3716
; %bb.3707:
	;; [unrolled: 3-line block ×3, first 2 shown]
	s_cmp_gt_i32 s0, 9
	s_cbranch_scc0 .LBB31_3710
; %bb.3709:
	s_wait_xcnt 0x0
	v_and_b32_e32 v3, 0xff, v1
	v_mov_b32_e32 v34, 0
	s_mov_b32 s6, 0
	s_delay_alu instid0(VALU_DEP_2) | instskip(NEXT) | instid1(VALU_DEP_2)
	v_and_b32_e32 v3, 0xffff, v3
	v_mov_b32_e32 v35, v34
	s_delay_alu instid0(VALU_DEP_2)
	v_cvt_f64_u32_e32 v[32:33], v3
	global_store_b128 v[6:7], v[32:35], off
.LBB31_3710:
	s_and_not1_b32 vcc_lo, exec_lo, s6
	s_cbranch_vccnz .LBB31_3712
; %bb.3711:
	s_wait_xcnt 0x0
	v_cvt_f32_ubyte0_e32 v8, v1
	v_mov_b32_e32 v9, 0
	global_store_b64 v[6:7], v[8:9], off
.LBB31_3712:
	s_mov_b32 s6, 0
.LBB31_3713:
	s_delay_alu instid0(SALU_CYCLE_1)
	s_and_not1_b32 vcc_lo, exec_lo, s6
	s_cbranch_vccnz .LBB31_3715
; %bb.3714:
	s_wait_xcnt 0x0
	v_and_b32_e32 v3, 0xff, v1
	s_delay_alu instid0(VALU_DEP_1) | instskip(NEXT) | instid1(VALU_DEP_1)
	v_cvt_f16_u16_e32 v3, v3
	v_and_b32_e32 v3, 0xffff, v3
	global_store_b32 v[6:7], v3, off
.LBB31_3715:
	s_mov_b32 s6, 0
.LBB31_3716:
	s_delay_alu instid0(SALU_CYCLE_1)
	s_and_not1_b32 vcc_lo, exec_lo, s6
	s_cbranch_vccnz .LBB31_3725
; %bb.3717:
	s_cmp_lt_i32 s0, 6
	s_mov_b32 s6, -1
	s_cbranch_scc1 .LBB31_3723
; %bb.3718:
	s_cmp_gt_i32 s0, 6
	s_cbranch_scc0 .LBB31_3720
; %bb.3719:
	s_wait_xcnt 0x0
	v_and_b32_e32 v3, 0xff, v1
	s_mov_b32 s6, 0
	s_delay_alu instid0(VALU_DEP_1) | instskip(NEXT) | instid1(VALU_DEP_1)
	v_and_b32_e32 v3, 0xffff, v3
	v_cvt_f64_u32_e32 v[8:9], v3
	global_store_b64 v[6:7], v[8:9], off
.LBB31_3720:
	s_and_not1_b32 vcc_lo, exec_lo, s6
	s_cbranch_vccnz .LBB31_3722
; %bb.3721:
	s_wait_xcnt 0x0
	v_cvt_f32_ubyte0_e32 v3, v1
	global_store_b32 v[6:7], v3, off
.LBB31_3722:
	s_mov_b32 s6, 0
.LBB31_3723:
	s_delay_alu instid0(SALU_CYCLE_1)
	s_and_not1_b32 vcc_lo, exec_lo, s6
	s_cbranch_vccnz .LBB31_3725
; %bb.3724:
	s_wait_xcnt 0x0
	v_and_b32_e32 v3, 0xff, v1
	s_delay_alu instid0(VALU_DEP_1)
	v_cvt_f16_u16_e32 v3, v3
	global_store_b16 v[6:7], v3, off
.LBB31_3725:
	s_mov_b32 s6, 0
.LBB31_3726:
	s_delay_alu instid0(SALU_CYCLE_1)
	s_and_not1_b32 vcc_lo, exec_lo, s6
	s_cbranch_vccnz .LBB31_3742
; %bb.3727:
	s_cmp_lt_i32 s0, 2
	s_mov_b32 s6, -1
	s_cbranch_scc1 .LBB31_3737
; %bb.3728:
	s_cmp_lt_i32 s0, 3
	s_cbranch_scc1 .LBB31_3734
; %bb.3729:
	s_cmp_gt_i32 s0, 3
	s_cbranch_scc0 .LBB31_3731
; %bb.3730:
	s_wait_xcnt 0x0
	v_and_b32_e32 v8, 0xff, v1
	v_mov_b32_e32 v9, 0
	s_mov_b32 s6, 0
	global_store_b64 v[6:7], v[8:9], off
.LBB31_3731:
	s_and_not1_b32 vcc_lo, exec_lo, s6
	s_cbranch_vccnz .LBB31_3733
; %bb.3732:
	s_wait_xcnt 0x0
	v_and_b32_e32 v3, 0xff, v1
	global_store_b32 v[6:7], v3, off
.LBB31_3733:
	s_mov_b32 s6, 0
.LBB31_3734:
	s_delay_alu instid0(SALU_CYCLE_1)
	s_and_not1_b32 vcc_lo, exec_lo, s6
	s_cbranch_vccnz .LBB31_3736
; %bb.3735:
	s_wait_xcnt 0x0
	v_and_b32_e32 v3, 0xff, v1
	global_store_b16 v[6:7], v3, off
.LBB31_3736:
	s_mov_b32 s6, 0
.LBB31_3737:
	s_delay_alu instid0(SALU_CYCLE_1)
	s_and_not1_b32 vcc_lo, exec_lo, s6
	s_cbranch_vccnz .LBB31_3742
; %bb.3738:
	s_cmp_gt_i32 s0, 0
	s_mov_b32 s0, -1
	s_cbranch_scc0 .LBB31_3740
; %bb.3739:
	s_mov_b32 s0, 0
	global_store_b8 v[6:7], v1, off
.LBB31_3740:
	s_and_not1_b32 vcc_lo, exec_lo, s0
	s_cbranch_vccnz .LBB31_3742
; %bb.3741:
	global_store_b8 v[6:7], v1, off
.LBB31_3742:
	s_mov_b32 s8, -1
.LBB31_3743:
	s_delay_alu instid0(SALU_CYCLE_1)
	s_and_not1_b32 vcc_lo, exec_lo, s8
	s_cbranch_vccnz .LBB31_4058
; %bb.3744:
	s_wait_xcnt 0x0
	v_mov_b32_e32 v5, 0
	v_mul_lo_u16 v1, v18, s2
	v_mul_lo_u16 v3, v22, s3
	s_and_b32 s6, 0xffff, s1
	s_delay_alu instid0(SALU_CYCLE_1) | instskip(SKIP_1) | instid1(VALU_DEP_2)
	s_cmp_lt_i32 s6, 11
	v_add_nc_u64_e32 v[4:5], s[4:5], v[4:5]
	v_mad_u16 v1, v3, v26, v1
	s_cbranch_scc1 .LBB31_3822
; %bb.3745:
	s_mov_b32 s9, -1
	s_mov_b32 s7, 0
	s_cmp_gt_i32 s6, 25
	s_mov_b32 s8, 0
	s_mov_b32 s0, 0
	s_cbranch_scc0 .LBB31_3778
; %bb.3746:
	s_cmp_gt_i32 s6, 28
	s_cbranch_scc0 .LBB31_3761
; %bb.3747:
	s_cmp_gt_i32 s6, 43
	;; [unrolled: 3-line block ×3, first 2 shown]
	s_cbranch_scc0 .LBB31_3751
; %bb.3749:
	s_mov_b32 s0, -1
	s_mov_b32 s9, 0
	s_cmp_eq_u32 s6, 46
	s_cbranch_scc0 .LBB31_3751
; %bb.3750:
	v_cvt_f32_ubyte0_e32 v3, v1
	s_mov_b32 s0, 0
	s_mov_b32 s8, -1
	s_delay_alu instid0(VALU_DEP_1) | instskip(NEXT) | instid1(VALU_DEP_1)
	v_bfe_u32 v6, v3, 16, 1
	v_add3_u32 v3, v3, v6, 0x7fff
	s_delay_alu instid0(VALU_DEP_1)
	v_lshrrev_b32_e32 v3, 16, v3
	global_store_b32 v[4:5], v3, off
.LBB31_3751:
	s_and_b32 vcc_lo, exec_lo, s9
	s_cbranch_vccz .LBB31_3756
; %bb.3752:
	s_cmp_eq_u32 s6, 44
	s_mov_b32 s0, -1
	s_cbranch_scc0 .LBB31_3756
; %bb.3753:
	v_cvt_f32_ubyte0_e32 v7, v1
	s_mov_b32 s8, exec_lo
	s_wait_xcnt 0x0
	s_delay_alu instid0(VALU_DEP_1) | instskip(NEXT) | instid1(VALU_DEP_1)
	v_dual_mov_b32 v6, 0xff :: v_dual_lshrrev_b32 v3, 23, v7
	v_cmpx_ne_u32_e32 0xff, v3
; %bb.3754:
	v_and_b32_e32 v6, 0x400000, v7
	v_and_or_b32 v7, 0x3fffff, v7, v3
	s_delay_alu instid0(VALU_DEP_2) | instskip(NEXT) | instid1(VALU_DEP_2)
	v_cmp_ne_u32_e32 vcc_lo, 0, v6
	v_cmp_ne_u32_e64 s0, 0, v7
	s_and_b32 s0, vcc_lo, s0
	s_delay_alu instid0(SALU_CYCLE_1) | instskip(NEXT) | instid1(VALU_DEP_1)
	v_cndmask_b32_e64 v6, 0, 1, s0
	v_add_nc_u32_e32 v6, v3, v6
; %bb.3755:
	s_or_b32 exec_lo, exec_lo, s8
	s_mov_b32 s0, 0
	s_mov_b32 s8, -1
	global_store_b8 v[4:5], v6, off
.LBB31_3756:
	s_mov_b32 s9, 0
.LBB31_3757:
	s_delay_alu instid0(SALU_CYCLE_1)
	s_and_b32 vcc_lo, exec_lo, s9
	s_cbranch_vccz .LBB31_3760
; %bb.3758:
	s_cmp_eq_u32 s6, 29
	s_mov_b32 s0, -1
	s_cbranch_scc0 .LBB31_3760
; %bb.3759:
	s_wait_xcnt 0x0
	v_and_b32_e32 v6, 0xff, v1
	v_mov_b32_e32 v7, 0
	s_mov_b32 s0, 0
	s_mov_b32 s8, -1
	global_store_b64 v[4:5], v[6:7], off
.LBB31_3760:
	s_mov_b32 s9, 0
.LBB31_3761:
	s_delay_alu instid0(SALU_CYCLE_1)
	s_and_b32 vcc_lo, exec_lo, s9
	s_cbranch_vccz .LBB31_3777
; %bb.3762:
	s_cmp_lt_i32 s6, 27
	s_mov_b32 s8, -1
	s_cbranch_scc1 .LBB31_3768
; %bb.3763:
	s_cmp_gt_i32 s6, 27
	s_cbranch_scc0 .LBB31_3765
; %bb.3764:
	s_wait_xcnt 0x0
	v_and_b32_e32 v3, 0xff, v1
	s_mov_b32 s8, 0
	global_store_b32 v[4:5], v3, off
.LBB31_3765:
	s_and_not1_b32 vcc_lo, exec_lo, s8
	s_cbranch_vccnz .LBB31_3767
; %bb.3766:
	s_wait_xcnt 0x0
	v_and_b32_e32 v3, 0xff, v1
	global_store_b16 v[4:5], v3, off
.LBB31_3767:
	s_mov_b32 s8, 0
.LBB31_3768:
	s_delay_alu instid0(SALU_CYCLE_1)
	s_and_not1_b32 vcc_lo, exec_lo, s8
	s_cbranch_vccnz .LBB31_3776
; %bb.3769:
	s_wait_xcnt 0x0
	v_cvt_f32_ubyte0_e32 v6, v1
	v_mov_b32_e32 v7, 0x80
	s_mov_b32 s8, exec_lo
	s_delay_alu instid0(VALU_DEP_2)
	v_cmpx_gt_u32_e32 0x43800000, v6
	s_cbranch_execz .LBB31_3775
; %bb.3770:
	s_mov_b32 s9, 0
	s_mov_b32 s13, exec_lo
                                        ; implicit-def: $vgpr3
	v_cmpx_lt_u32_e32 0x3bffffff, v6
	s_xor_b32 s13, exec_lo, s13
	s_cbranch_execz .LBB31_4110
; %bb.3771:
	v_bfe_u32 v3, v6, 20, 1
	s_mov_b32 s9, exec_lo
	s_delay_alu instid0(VALU_DEP_1) | instskip(NEXT) | instid1(VALU_DEP_1)
	v_add3_u32 v3, v6, v3, 0x487ffff
                                        ; implicit-def: $vgpr6
	v_lshrrev_b32_e32 v3, 20, v3
	s_and_not1_saveexec_b32 s13, s13
	s_cbranch_execnz .LBB31_4111
.LBB31_3772:
	s_or_b32 exec_lo, exec_lo, s13
	v_mov_b32_e32 v7, 0
	s_and_saveexec_b32 s13, s9
.LBB31_3773:
	v_mov_b32_e32 v7, v3
.LBB31_3774:
	s_or_b32 exec_lo, exec_lo, s13
.LBB31_3775:
	s_delay_alu instid0(SALU_CYCLE_1)
	s_or_b32 exec_lo, exec_lo, s8
	global_store_b8 v[4:5], v7, off
.LBB31_3776:
	s_mov_b32 s8, -1
.LBB31_3777:
	s_mov_b32 s9, 0
.LBB31_3778:
	s_delay_alu instid0(SALU_CYCLE_1)
	s_and_b32 vcc_lo, exec_lo, s9
	s_cbranch_vccz .LBB31_3818
; %bb.3779:
	s_cmp_gt_i32 s6, 22
	s_mov_b32 s7, -1
	s_cbranch_scc0 .LBB31_3811
; %bb.3780:
	s_cmp_lt_i32 s6, 24
	s_cbranch_scc1 .LBB31_3800
; %bb.3781:
	s_cmp_gt_i32 s6, 24
	s_cbranch_scc0 .LBB31_3789
; %bb.3782:
	s_wait_xcnt 0x0
	v_cvt_f32_ubyte0_e32 v6, v1
	v_mov_b32_e32 v7, 0x80
	s_mov_b32 s7, exec_lo
	s_delay_alu instid0(VALU_DEP_2)
	v_cmpx_gt_u32_e32 0x47800000, v6
	s_cbranch_execz .LBB31_3788
; %bb.3783:
	s_mov_b32 s8, 0
	s_mov_b32 s9, exec_lo
                                        ; implicit-def: $vgpr3
	v_cmpx_lt_u32_e32 0x37ffffff, v6
	s_xor_b32 s9, exec_lo, s9
	s_cbranch_execz .LBB31_4113
; %bb.3784:
	v_bfe_u32 v3, v6, 21, 1
	s_mov_b32 s8, exec_lo
	s_delay_alu instid0(VALU_DEP_1) | instskip(NEXT) | instid1(VALU_DEP_1)
	v_add3_u32 v3, v6, v3, 0x88fffff
                                        ; implicit-def: $vgpr6
	v_lshrrev_b32_e32 v3, 21, v3
	s_and_not1_saveexec_b32 s9, s9
	s_cbranch_execnz .LBB31_4114
.LBB31_3785:
	s_or_b32 exec_lo, exec_lo, s9
	v_mov_b32_e32 v7, 0
	s_and_saveexec_b32 s9, s8
.LBB31_3786:
	v_mov_b32_e32 v7, v3
.LBB31_3787:
	s_or_b32 exec_lo, exec_lo, s9
.LBB31_3788:
	s_delay_alu instid0(SALU_CYCLE_1)
	s_or_b32 exec_lo, exec_lo, s7
	s_mov_b32 s7, 0
	global_store_b8 v[4:5], v7, off
.LBB31_3789:
	s_and_b32 vcc_lo, exec_lo, s7
	s_cbranch_vccz .LBB31_3799
; %bb.3790:
	s_wait_xcnt 0x0
	v_cvt_f32_ubyte0_e32 v6, v1
	s_mov_b32 s7, exec_lo
                                        ; implicit-def: $vgpr3
	s_delay_alu instid0(VALU_DEP_1)
	v_cmpx_gt_u32_e32 0x43f00000, v6
	s_xor_b32 s7, exec_lo, s7
	s_cbranch_execz .LBB31_3796
; %bb.3791:
	s_mov_b32 s8, exec_lo
                                        ; implicit-def: $vgpr3
	v_cmpx_lt_u32_e32 0x3c7fffff, v6
	s_xor_b32 s8, exec_lo, s8
; %bb.3792:
	v_bfe_u32 v3, v6, 20, 1
	s_delay_alu instid0(VALU_DEP_1) | instskip(NEXT) | instid1(VALU_DEP_1)
	v_add3_u32 v3, v6, v3, 0x407ffff
	v_and_b32_e32 v6, 0xff00000, v3
	v_lshrrev_b32_e32 v3, 20, v3
	s_delay_alu instid0(VALU_DEP_2) | instskip(NEXT) | instid1(VALU_DEP_2)
	v_cmp_ne_u32_e32 vcc_lo, 0x7f00000, v6
                                        ; implicit-def: $vgpr6
	v_cndmask_b32_e32 v3, 0x7e, v3, vcc_lo
; %bb.3793:
	s_and_not1_saveexec_b32 s8, s8
; %bb.3794:
	v_add_f32_e32 v3, 0x46800000, v6
; %bb.3795:
	s_or_b32 exec_lo, exec_lo, s8
                                        ; implicit-def: $vgpr6
.LBB31_3796:
	s_and_not1_saveexec_b32 s7, s7
; %bb.3797:
	v_mov_b32_e32 v3, 0x7f
	v_cmp_lt_u32_e32 vcc_lo, 0x7f800000, v6
	s_delay_alu instid0(VALU_DEP_2)
	v_cndmask_b32_e32 v3, 0x7e, v3, vcc_lo
; %bb.3798:
	s_or_b32 exec_lo, exec_lo, s7
	global_store_b8 v[4:5], v3, off
.LBB31_3799:
	s_mov_b32 s7, 0
.LBB31_3800:
	s_delay_alu instid0(SALU_CYCLE_1)
	s_and_not1_b32 vcc_lo, exec_lo, s7
	s_cbranch_vccnz .LBB31_3810
; %bb.3801:
	s_wait_xcnt 0x0
	v_cvt_f32_ubyte0_e32 v6, v1
	s_mov_b32 s7, exec_lo
                                        ; implicit-def: $vgpr3
	s_delay_alu instid0(VALU_DEP_1)
	v_cmpx_gt_u32_e32 0x47800000, v6
	s_xor_b32 s7, exec_lo, s7
	s_cbranch_execz .LBB31_3807
; %bb.3802:
	s_mov_b32 s8, exec_lo
                                        ; implicit-def: $vgpr3
	v_cmpx_lt_u32_e32 0x387fffff, v6
	s_xor_b32 s8, exec_lo, s8
; %bb.3803:
	v_bfe_u32 v3, v6, 21, 1
	s_delay_alu instid0(VALU_DEP_1) | instskip(NEXT) | instid1(VALU_DEP_1)
	v_add3_u32 v3, v6, v3, 0x80fffff
                                        ; implicit-def: $vgpr6
	v_lshrrev_b32_e32 v3, 21, v3
; %bb.3804:
	s_and_not1_saveexec_b32 s8, s8
; %bb.3805:
	v_add_f32_e32 v3, 0x43000000, v6
; %bb.3806:
	s_or_b32 exec_lo, exec_lo, s8
                                        ; implicit-def: $vgpr6
.LBB31_3807:
	s_and_not1_saveexec_b32 s7, s7
; %bb.3808:
	v_mov_b32_e32 v3, 0x7f
	v_cmp_lt_u32_e32 vcc_lo, 0x7f800000, v6
	s_delay_alu instid0(VALU_DEP_2)
	v_cndmask_b32_e32 v3, 0x7c, v3, vcc_lo
; %bb.3809:
	s_or_b32 exec_lo, exec_lo, s7
	global_store_b8 v[4:5], v3, off
.LBB31_3810:
	s_mov_b32 s7, 0
	s_mov_b32 s8, -1
.LBB31_3811:
	s_and_not1_b32 vcc_lo, exec_lo, s7
	s_mov_b32 s7, 0
	s_cbranch_vccnz .LBB31_3818
; %bb.3812:
	s_cmp_gt_i32 s6, 14
	s_mov_b32 s7, -1
	s_cbranch_scc0 .LBB31_3816
; %bb.3813:
	s_cmp_eq_u32 s6, 15
	s_mov_b32 s0, -1
	s_cbranch_scc0 .LBB31_3815
; %bb.3814:
	s_wait_xcnt 0x0
	v_cvt_f32_ubyte0_e32 v3, v1
	s_mov_b32 s0, 0
	s_mov_b32 s8, -1
	s_delay_alu instid0(VALU_DEP_1) | instskip(NEXT) | instid1(VALU_DEP_1)
	v_bfe_u32 v6, v3, 16, 1
	v_add3_u32 v3, v3, v6, 0x7fff
	global_store_d16_hi_b16 v[4:5], v3, off
.LBB31_3815:
	s_mov_b32 s7, 0
.LBB31_3816:
	s_delay_alu instid0(SALU_CYCLE_1)
	s_and_b32 vcc_lo, exec_lo, s7
	s_mov_b32 s7, 0
	s_cbranch_vccz .LBB31_3818
; %bb.3817:
	s_cmp_lg_u32 s6, 11
	s_mov_b32 s7, -1
	s_cselect_b32 s0, -1, 0
.LBB31_3818:
	s_delay_alu instid0(SALU_CYCLE_1)
	s_and_b32 vcc_lo, exec_lo, s0
	s_cbranch_vccnz .LBB31_4112
; %bb.3819:
	s_and_not1_b32 vcc_lo, exec_lo, s7
	s_cbranch_vccnz .LBB31_3821
.LBB31_3820:
	s_wait_xcnt 0x0
	v_and_b32_e32 v3, 0xff, v1
	s_mov_b32 s8, -1
	s_delay_alu instid0(VALU_DEP_1)
	v_cmp_ne_u16_e32 vcc_lo, 0, v3
	v_cndmask_b32_e64 v3, 0, 1, vcc_lo
	global_store_b8 v[4:5], v3, off
.LBB31_3821:
	s_mov_b32 s0, 0
	s_branch .LBB31_3823
.LBB31_3822:
	s_mov_b32 s0, -1
	s_mov_b32 s8, 0
.LBB31_3823:
	s_and_b32 vcc_lo, exec_lo, s0
	s_cbranch_vccz .LBB31_3862
; %bb.3824:
	s_cmp_lt_i32 s6, 5
	s_mov_b32 s0, -1
	s_cbranch_scc1 .LBB31_3845
; %bb.3825:
	s_cmp_lt_i32 s6, 8
	s_cbranch_scc1 .LBB31_3835
; %bb.3826:
	s_cmp_lt_i32 s6, 9
	s_cbranch_scc1 .LBB31_3832
; %bb.3827:
	s_cmp_gt_i32 s6, 9
	s_cbranch_scc0 .LBB31_3829
; %bb.3828:
	s_wait_xcnt 0x0
	v_and_b32_e32 v3, 0xff, v1
	v_mov_b32_e32 v8, 0
	s_mov_b32 s0, 0
	s_delay_alu instid0(VALU_DEP_2) | instskip(NEXT) | instid1(VALU_DEP_2)
	v_and_b32_e32 v3, 0xffff, v3
	v_mov_b32_e32 v9, v8
	s_delay_alu instid0(VALU_DEP_2)
	v_cvt_f64_u32_e32 v[6:7], v3
	global_store_b128 v[4:5], v[6:9], off
.LBB31_3829:
	s_and_not1_b32 vcc_lo, exec_lo, s0
	s_cbranch_vccnz .LBB31_3831
; %bb.3830:
	s_wait_xcnt 0x0
	v_cvt_f32_ubyte0_e32 v6, v1
	v_mov_b32_e32 v7, 0
	global_store_b64 v[4:5], v[6:7], off
.LBB31_3831:
	s_mov_b32 s0, 0
.LBB31_3832:
	s_delay_alu instid0(SALU_CYCLE_1)
	s_and_not1_b32 vcc_lo, exec_lo, s0
	s_cbranch_vccnz .LBB31_3834
; %bb.3833:
	s_wait_xcnt 0x0
	v_and_b32_e32 v3, 0xff, v1
	s_delay_alu instid0(VALU_DEP_1) | instskip(NEXT) | instid1(VALU_DEP_1)
	v_cvt_f16_u16_e32 v3, v3
	v_and_b32_e32 v3, 0xffff, v3
	global_store_b32 v[4:5], v3, off
.LBB31_3834:
	s_mov_b32 s0, 0
.LBB31_3835:
	s_delay_alu instid0(SALU_CYCLE_1)
	s_and_not1_b32 vcc_lo, exec_lo, s0
	s_cbranch_vccnz .LBB31_3844
; %bb.3836:
	s_cmp_lt_i32 s6, 6
	s_mov_b32 s0, -1
	s_cbranch_scc1 .LBB31_3842
; %bb.3837:
	s_cmp_gt_i32 s6, 6
	s_cbranch_scc0 .LBB31_3839
; %bb.3838:
	s_wait_xcnt 0x0
	v_and_b32_e32 v3, 0xff, v1
	s_mov_b32 s0, 0
	s_delay_alu instid0(VALU_DEP_1) | instskip(NEXT) | instid1(VALU_DEP_1)
	v_and_b32_e32 v3, 0xffff, v3
	v_cvt_f64_u32_e32 v[6:7], v3
	global_store_b64 v[4:5], v[6:7], off
.LBB31_3839:
	s_and_not1_b32 vcc_lo, exec_lo, s0
	s_cbranch_vccnz .LBB31_3841
; %bb.3840:
	s_wait_xcnt 0x0
	v_cvt_f32_ubyte0_e32 v3, v1
	global_store_b32 v[4:5], v3, off
.LBB31_3841:
	s_mov_b32 s0, 0
.LBB31_3842:
	s_delay_alu instid0(SALU_CYCLE_1)
	s_and_not1_b32 vcc_lo, exec_lo, s0
	s_cbranch_vccnz .LBB31_3844
; %bb.3843:
	s_wait_xcnt 0x0
	v_and_b32_e32 v3, 0xff, v1
	s_delay_alu instid0(VALU_DEP_1)
	v_cvt_f16_u16_e32 v3, v3
	global_store_b16 v[4:5], v3, off
.LBB31_3844:
	s_mov_b32 s0, 0
.LBB31_3845:
	s_delay_alu instid0(SALU_CYCLE_1)
	s_and_not1_b32 vcc_lo, exec_lo, s0
	s_cbranch_vccnz .LBB31_3861
; %bb.3846:
	s_cmp_lt_i32 s6, 2
	s_mov_b32 s0, -1
	s_cbranch_scc1 .LBB31_3856
; %bb.3847:
	s_cmp_lt_i32 s6, 3
	s_cbranch_scc1 .LBB31_3853
; %bb.3848:
	s_cmp_gt_i32 s6, 3
	s_cbranch_scc0 .LBB31_3850
; %bb.3849:
	s_wait_xcnt 0x0
	v_and_b32_e32 v6, 0xff, v1
	v_mov_b32_e32 v7, 0
	s_mov_b32 s0, 0
	global_store_b64 v[4:5], v[6:7], off
.LBB31_3850:
	s_and_not1_b32 vcc_lo, exec_lo, s0
	s_cbranch_vccnz .LBB31_3852
; %bb.3851:
	s_wait_xcnt 0x0
	v_and_b32_e32 v3, 0xff, v1
	global_store_b32 v[4:5], v3, off
.LBB31_3852:
	s_mov_b32 s0, 0
.LBB31_3853:
	s_delay_alu instid0(SALU_CYCLE_1)
	s_and_not1_b32 vcc_lo, exec_lo, s0
	s_cbranch_vccnz .LBB31_3855
; %bb.3854:
	s_wait_xcnt 0x0
	v_and_b32_e32 v3, 0xff, v1
	global_store_b16 v[4:5], v3, off
.LBB31_3855:
	s_mov_b32 s0, 0
.LBB31_3856:
	s_delay_alu instid0(SALU_CYCLE_1)
	s_and_not1_b32 vcc_lo, exec_lo, s0
	s_cbranch_vccnz .LBB31_3861
; %bb.3857:
	s_cmp_gt_i32 s6, 0
	s_mov_b32 s0, -1
	s_cbranch_scc0 .LBB31_3859
; %bb.3858:
	s_mov_b32 s0, 0
	global_store_b8 v[4:5], v1, off
.LBB31_3859:
	s_and_not1_b32 vcc_lo, exec_lo, s0
	s_cbranch_vccnz .LBB31_3861
; %bb.3860:
	global_store_b8 v[4:5], v1, off
.LBB31_3861:
	s_mov_b32 s8, -1
.LBB31_3862:
	s_delay_alu instid0(SALU_CYCLE_1)
	s_and_not1_b32 vcc_lo, exec_lo, s8
	s_cbranch_vccnz .LBB31_4058
; %bb.3863:
	s_wait_xcnt 0x0
	v_mov_b32_e32 v3, 0
	v_mul_lo_u16 v1, v28, s2
	v_mul_lo_u16 v4, v30, s3
	s_cmp_lt_i32 s6, 11
	s_delay_alu instid0(VALU_DEP_3) | instskip(NEXT) | instid1(VALU_DEP_2)
	v_add_nc_u64_e32 v[2:3], s[4:5], v[2:3]
	v_mad_u16 v1, v4, v24, v1
	s_cbranch_scc1 .LBB31_3941
; %bb.3864:
	s_mov_b32 s9, -1
	s_mov_b32 s7, 0
	s_cmp_gt_i32 s6, 25
	s_mov_b32 s8, 0
	s_mov_b32 s0, 0
	s_cbranch_scc0 .LBB31_3897
; %bb.3865:
	s_cmp_gt_i32 s6, 28
	s_cbranch_scc0 .LBB31_3880
; %bb.3866:
	s_cmp_gt_i32 s6, 43
	;; [unrolled: 3-line block ×3, first 2 shown]
	s_cbranch_scc0 .LBB31_3870
; %bb.3868:
	s_mov_b32 s0, -1
	s_mov_b32 s9, 0
	s_cmp_eq_u32 s6, 46
	s_cbranch_scc0 .LBB31_3870
; %bb.3869:
	v_cvt_f32_ubyte0_e32 v4, v1
	s_mov_b32 s0, 0
	s_mov_b32 s8, -1
	s_delay_alu instid0(VALU_DEP_1) | instskip(NEXT) | instid1(VALU_DEP_1)
	v_bfe_u32 v5, v4, 16, 1
	v_add3_u32 v4, v4, v5, 0x7fff
	s_delay_alu instid0(VALU_DEP_1)
	v_lshrrev_b32_e32 v4, 16, v4
	global_store_b32 v[2:3], v4, off
.LBB31_3870:
	s_and_b32 vcc_lo, exec_lo, s9
	s_cbranch_vccz .LBB31_3875
; %bb.3871:
	s_cmp_eq_u32 s6, 44
	s_mov_b32 s0, -1
	s_cbranch_scc0 .LBB31_3875
; %bb.3872:
	v_cvt_f32_ubyte0_e32 v6, v1
	s_mov_b32 s8, exec_lo
	s_wait_xcnt 0x0
	s_delay_alu instid0(VALU_DEP_1) | instskip(NEXT) | instid1(VALU_DEP_1)
	v_dual_mov_b32 v5, 0xff :: v_dual_lshrrev_b32 v4, 23, v6
	v_cmpx_ne_u32_e32 0xff, v4
; %bb.3873:
	v_and_b32_e32 v5, 0x400000, v6
	v_and_or_b32 v6, 0x3fffff, v6, v4
	s_delay_alu instid0(VALU_DEP_2) | instskip(NEXT) | instid1(VALU_DEP_2)
	v_cmp_ne_u32_e32 vcc_lo, 0, v5
	v_cmp_ne_u32_e64 s0, 0, v6
	s_and_b32 s0, vcc_lo, s0
	s_delay_alu instid0(SALU_CYCLE_1) | instskip(NEXT) | instid1(VALU_DEP_1)
	v_cndmask_b32_e64 v5, 0, 1, s0
	v_add_nc_u32_e32 v5, v4, v5
; %bb.3874:
	s_or_b32 exec_lo, exec_lo, s8
	s_mov_b32 s0, 0
	s_mov_b32 s8, -1
	global_store_b8 v[2:3], v5, off
.LBB31_3875:
	s_mov_b32 s9, 0
.LBB31_3876:
	s_delay_alu instid0(SALU_CYCLE_1)
	s_and_b32 vcc_lo, exec_lo, s9
	s_cbranch_vccz .LBB31_3879
; %bb.3877:
	s_cmp_eq_u32 s6, 29
	s_mov_b32 s0, -1
	s_cbranch_scc0 .LBB31_3879
; %bb.3878:
	s_wait_xcnt 0x0
	v_and_b32_e32 v4, 0xff, v1
	v_mov_b32_e32 v5, 0
	s_mov_b32 s0, 0
	s_mov_b32 s8, -1
	global_store_b64 v[2:3], v[4:5], off
.LBB31_3879:
	s_mov_b32 s9, 0
.LBB31_3880:
	s_delay_alu instid0(SALU_CYCLE_1)
	s_and_b32 vcc_lo, exec_lo, s9
	s_cbranch_vccz .LBB31_3896
; %bb.3881:
	s_cmp_lt_i32 s6, 27
	s_mov_b32 s8, -1
	s_cbranch_scc1 .LBB31_3887
; %bb.3882:
	s_cmp_gt_i32 s6, 27
	s_cbranch_scc0 .LBB31_3884
; %bb.3883:
	s_wait_xcnt 0x0
	v_and_b32_e32 v4, 0xff, v1
	s_mov_b32 s8, 0
	global_store_b32 v[2:3], v4, off
.LBB31_3884:
	s_and_not1_b32 vcc_lo, exec_lo, s8
	s_cbranch_vccnz .LBB31_3886
; %bb.3885:
	s_wait_xcnt 0x0
	v_and_b32_e32 v4, 0xff, v1
	global_store_b16 v[2:3], v4, off
.LBB31_3886:
	s_mov_b32 s8, 0
.LBB31_3887:
	s_delay_alu instid0(SALU_CYCLE_1)
	s_and_not1_b32 vcc_lo, exec_lo, s8
	s_cbranch_vccnz .LBB31_3895
; %bb.3888:
	s_wait_xcnt 0x0
	v_cvt_f32_ubyte0_e32 v5, v1
	v_mov_b32_e32 v6, 0x80
	s_mov_b32 s8, exec_lo
	s_delay_alu instid0(VALU_DEP_2)
	v_cmpx_gt_u32_e32 0x43800000, v5
	s_cbranch_execz .LBB31_3894
; %bb.3889:
	s_mov_b32 s9, 0
	s_mov_b32 s13, exec_lo
                                        ; implicit-def: $vgpr4
	v_cmpx_lt_u32_e32 0x3bffffff, v5
	s_xor_b32 s13, exec_lo, s13
	s_cbranch_execz .LBB31_4115
; %bb.3890:
	v_bfe_u32 v4, v5, 20, 1
	s_mov_b32 s9, exec_lo
	s_delay_alu instid0(VALU_DEP_1) | instskip(NEXT) | instid1(VALU_DEP_1)
	v_add3_u32 v4, v5, v4, 0x487ffff
                                        ; implicit-def: $vgpr5
	v_lshrrev_b32_e32 v4, 20, v4
	s_and_not1_saveexec_b32 s13, s13
	s_cbranch_execnz .LBB31_4116
.LBB31_3891:
	s_or_b32 exec_lo, exec_lo, s13
	v_mov_b32_e32 v6, 0
	s_and_saveexec_b32 s13, s9
.LBB31_3892:
	v_mov_b32_e32 v6, v4
.LBB31_3893:
	s_or_b32 exec_lo, exec_lo, s13
.LBB31_3894:
	s_delay_alu instid0(SALU_CYCLE_1)
	s_or_b32 exec_lo, exec_lo, s8
	global_store_b8 v[2:3], v6, off
.LBB31_3895:
	s_mov_b32 s8, -1
.LBB31_3896:
	s_mov_b32 s9, 0
.LBB31_3897:
	s_delay_alu instid0(SALU_CYCLE_1)
	s_and_b32 vcc_lo, exec_lo, s9
	s_cbranch_vccz .LBB31_3937
; %bb.3898:
	s_cmp_gt_i32 s6, 22
	s_mov_b32 s7, -1
	s_cbranch_scc0 .LBB31_3930
; %bb.3899:
	s_cmp_lt_i32 s6, 24
	s_cbranch_scc1 .LBB31_3919
; %bb.3900:
	s_cmp_gt_i32 s6, 24
	s_cbranch_scc0 .LBB31_3908
; %bb.3901:
	s_wait_xcnt 0x0
	v_cvt_f32_ubyte0_e32 v5, v1
	v_mov_b32_e32 v6, 0x80
	s_mov_b32 s7, exec_lo
	s_delay_alu instid0(VALU_DEP_2)
	v_cmpx_gt_u32_e32 0x47800000, v5
	s_cbranch_execz .LBB31_3907
; %bb.3902:
	s_mov_b32 s8, 0
	s_mov_b32 s9, exec_lo
                                        ; implicit-def: $vgpr4
	v_cmpx_lt_u32_e32 0x37ffffff, v5
	s_xor_b32 s9, exec_lo, s9
	s_cbranch_execz .LBB31_4118
; %bb.3903:
	v_bfe_u32 v4, v5, 21, 1
	s_mov_b32 s8, exec_lo
	s_delay_alu instid0(VALU_DEP_1) | instskip(NEXT) | instid1(VALU_DEP_1)
	v_add3_u32 v4, v5, v4, 0x88fffff
                                        ; implicit-def: $vgpr5
	v_lshrrev_b32_e32 v4, 21, v4
	s_and_not1_saveexec_b32 s9, s9
	s_cbranch_execnz .LBB31_4119
.LBB31_3904:
	s_or_b32 exec_lo, exec_lo, s9
	v_mov_b32_e32 v6, 0
	s_and_saveexec_b32 s9, s8
.LBB31_3905:
	v_mov_b32_e32 v6, v4
.LBB31_3906:
	s_or_b32 exec_lo, exec_lo, s9
.LBB31_3907:
	s_delay_alu instid0(SALU_CYCLE_1)
	s_or_b32 exec_lo, exec_lo, s7
	s_mov_b32 s7, 0
	global_store_b8 v[2:3], v6, off
.LBB31_3908:
	s_and_b32 vcc_lo, exec_lo, s7
	s_cbranch_vccz .LBB31_3918
; %bb.3909:
	s_wait_xcnt 0x0
	v_cvt_f32_ubyte0_e32 v5, v1
	s_mov_b32 s7, exec_lo
                                        ; implicit-def: $vgpr4
	s_delay_alu instid0(VALU_DEP_1)
	v_cmpx_gt_u32_e32 0x43f00000, v5
	s_xor_b32 s7, exec_lo, s7
	s_cbranch_execz .LBB31_3915
; %bb.3910:
	s_mov_b32 s8, exec_lo
                                        ; implicit-def: $vgpr4
	v_cmpx_lt_u32_e32 0x3c7fffff, v5
	s_xor_b32 s8, exec_lo, s8
; %bb.3911:
	v_bfe_u32 v4, v5, 20, 1
	s_delay_alu instid0(VALU_DEP_1) | instskip(NEXT) | instid1(VALU_DEP_1)
	v_add3_u32 v4, v5, v4, 0x407ffff
	v_and_b32_e32 v5, 0xff00000, v4
	v_lshrrev_b32_e32 v4, 20, v4
	s_delay_alu instid0(VALU_DEP_2) | instskip(NEXT) | instid1(VALU_DEP_2)
	v_cmp_ne_u32_e32 vcc_lo, 0x7f00000, v5
                                        ; implicit-def: $vgpr5
	v_cndmask_b32_e32 v4, 0x7e, v4, vcc_lo
; %bb.3912:
	s_and_not1_saveexec_b32 s8, s8
; %bb.3913:
	v_add_f32_e32 v4, 0x46800000, v5
; %bb.3914:
	s_or_b32 exec_lo, exec_lo, s8
                                        ; implicit-def: $vgpr5
.LBB31_3915:
	s_and_not1_saveexec_b32 s7, s7
; %bb.3916:
	v_mov_b32_e32 v4, 0x7f
	v_cmp_lt_u32_e32 vcc_lo, 0x7f800000, v5
	s_delay_alu instid0(VALU_DEP_2)
	v_cndmask_b32_e32 v4, 0x7e, v4, vcc_lo
; %bb.3917:
	s_or_b32 exec_lo, exec_lo, s7
	global_store_b8 v[2:3], v4, off
.LBB31_3918:
	s_mov_b32 s7, 0
.LBB31_3919:
	s_delay_alu instid0(SALU_CYCLE_1)
	s_and_not1_b32 vcc_lo, exec_lo, s7
	s_cbranch_vccnz .LBB31_3929
; %bb.3920:
	s_wait_xcnt 0x0
	v_cvt_f32_ubyte0_e32 v5, v1
	s_mov_b32 s7, exec_lo
                                        ; implicit-def: $vgpr4
	s_delay_alu instid0(VALU_DEP_1)
	v_cmpx_gt_u32_e32 0x47800000, v5
	s_xor_b32 s7, exec_lo, s7
	s_cbranch_execz .LBB31_3926
; %bb.3921:
	s_mov_b32 s8, exec_lo
                                        ; implicit-def: $vgpr4
	v_cmpx_lt_u32_e32 0x387fffff, v5
	s_xor_b32 s8, exec_lo, s8
; %bb.3922:
	v_bfe_u32 v4, v5, 21, 1
	s_delay_alu instid0(VALU_DEP_1) | instskip(NEXT) | instid1(VALU_DEP_1)
	v_add3_u32 v4, v5, v4, 0x80fffff
                                        ; implicit-def: $vgpr5
	v_lshrrev_b32_e32 v4, 21, v4
; %bb.3923:
	s_and_not1_saveexec_b32 s8, s8
; %bb.3924:
	v_add_f32_e32 v4, 0x43000000, v5
; %bb.3925:
	s_or_b32 exec_lo, exec_lo, s8
                                        ; implicit-def: $vgpr5
.LBB31_3926:
	s_and_not1_saveexec_b32 s7, s7
; %bb.3927:
	v_mov_b32_e32 v4, 0x7f
	v_cmp_lt_u32_e32 vcc_lo, 0x7f800000, v5
	s_delay_alu instid0(VALU_DEP_2)
	v_cndmask_b32_e32 v4, 0x7c, v4, vcc_lo
; %bb.3928:
	s_or_b32 exec_lo, exec_lo, s7
	global_store_b8 v[2:3], v4, off
.LBB31_3929:
	s_mov_b32 s7, 0
	s_mov_b32 s8, -1
.LBB31_3930:
	s_and_not1_b32 vcc_lo, exec_lo, s7
	s_mov_b32 s7, 0
	s_cbranch_vccnz .LBB31_3937
; %bb.3931:
	s_cmp_gt_i32 s6, 14
	s_mov_b32 s7, -1
	s_cbranch_scc0 .LBB31_3935
; %bb.3932:
	s_cmp_eq_u32 s6, 15
	s_mov_b32 s0, -1
	s_cbranch_scc0 .LBB31_3934
; %bb.3933:
	s_wait_xcnt 0x0
	v_cvt_f32_ubyte0_e32 v4, v1
	s_mov_b32 s0, 0
	s_mov_b32 s8, -1
	s_delay_alu instid0(VALU_DEP_1) | instskip(NEXT) | instid1(VALU_DEP_1)
	v_bfe_u32 v5, v4, 16, 1
	v_add3_u32 v4, v4, v5, 0x7fff
	global_store_d16_hi_b16 v[2:3], v4, off
.LBB31_3934:
	s_mov_b32 s7, 0
.LBB31_3935:
	s_delay_alu instid0(SALU_CYCLE_1)
	s_and_b32 vcc_lo, exec_lo, s7
	s_mov_b32 s7, 0
	s_cbranch_vccz .LBB31_3937
; %bb.3936:
	s_cmp_lg_u32 s6, 11
	s_mov_b32 s7, -1
	s_cselect_b32 s0, -1, 0
.LBB31_3937:
	s_delay_alu instid0(SALU_CYCLE_1)
	s_and_b32 vcc_lo, exec_lo, s0
	s_cbranch_vccnz .LBB31_4117
; %bb.3938:
	s_and_not1_b32 vcc_lo, exec_lo, s7
	s_cbranch_vccnz .LBB31_3940
.LBB31_3939:
	s_wait_xcnt 0x0
	v_and_b32_e32 v4, 0xff, v1
	s_mov_b32 s8, -1
	s_delay_alu instid0(VALU_DEP_1)
	v_cmp_ne_u16_e32 vcc_lo, 0, v4
	v_cndmask_b32_e64 v4, 0, 1, vcc_lo
	global_store_b8 v[2:3], v4, off
.LBB31_3940:
	s_mov_b32 s0, 0
	s_branch .LBB31_3942
.LBB31_3941:
	s_mov_b32 s0, -1
	s_mov_b32 s8, 0
.LBB31_3942:
	s_and_b32 vcc_lo, exec_lo, s0
	s_cbranch_vccz .LBB31_3981
; %bb.3943:
	s_cmp_lt_i32 s6, 5
	s_mov_b32 s0, -1
	s_cbranch_scc1 .LBB31_3964
; %bb.3944:
	s_cmp_lt_i32 s6, 8
	s_cbranch_scc1 .LBB31_3954
; %bb.3945:
	s_cmp_lt_i32 s6, 9
	s_cbranch_scc1 .LBB31_3951
; %bb.3946:
	s_cmp_gt_i32 s6, 9
	s_cbranch_scc0 .LBB31_3948
; %bb.3947:
	s_wait_xcnt 0x0
	v_and_b32_e32 v4, 0xff, v1
	v_mov_b32_e32 v6, 0
	s_mov_b32 s0, 0
	s_delay_alu instid0(VALU_DEP_2) | instskip(NEXT) | instid1(VALU_DEP_2)
	v_and_b32_e32 v4, 0xffff, v4
	v_mov_b32_e32 v7, v6
	s_delay_alu instid0(VALU_DEP_2)
	v_cvt_f64_u32_e32 v[4:5], v4
	global_store_b128 v[2:3], v[4:7], off
.LBB31_3948:
	s_and_not1_b32 vcc_lo, exec_lo, s0
	s_cbranch_vccnz .LBB31_3950
; %bb.3949:
	s_wait_xcnt 0x0
	v_cvt_f32_ubyte0_e32 v4, v1
	v_mov_b32_e32 v5, 0
	global_store_b64 v[2:3], v[4:5], off
.LBB31_3950:
	s_mov_b32 s0, 0
.LBB31_3951:
	s_delay_alu instid0(SALU_CYCLE_1)
	s_and_not1_b32 vcc_lo, exec_lo, s0
	s_cbranch_vccnz .LBB31_3953
; %bb.3952:
	s_wait_xcnt 0x0
	v_and_b32_e32 v4, 0xff, v1
	s_delay_alu instid0(VALU_DEP_1) | instskip(NEXT) | instid1(VALU_DEP_1)
	v_cvt_f16_u16_e32 v4, v4
	v_and_b32_e32 v4, 0xffff, v4
	global_store_b32 v[2:3], v4, off
.LBB31_3953:
	s_mov_b32 s0, 0
.LBB31_3954:
	s_delay_alu instid0(SALU_CYCLE_1)
	s_and_not1_b32 vcc_lo, exec_lo, s0
	s_cbranch_vccnz .LBB31_3963
; %bb.3955:
	s_cmp_lt_i32 s6, 6
	s_mov_b32 s0, -1
	s_cbranch_scc1 .LBB31_3961
; %bb.3956:
	s_cmp_gt_i32 s6, 6
	s_cbranch_scc0 .LBB31_3958
; %bb.3957:
	s_wait_xcnt 0x0
	v_and_b32_e32 v4, 0xff, v1
	s_mov_b32 s0, 0
	s_delay_alu instid0(VALU_DEP_1) | instskip(NEXT) | instid1(VALU_DEP_1)
	v_and_b32_e32 v4, 0xffff, v4
	v_cvt_f64_u32_e32 v[4:5], v4
	global_store_b64 v[2:3], v[4:5], off
.LBB31_3958:
	s_and_not1_b32 vcc_lo, exec_lo, s0
	s_cbranch_vccnz .LBB31_3960
; %bb.3959:
	s_wait_xcnt 0x0
	v_cvt_f32_ubyte0_e32 v4, v1
	global_store_b32 v[2:3], v4, off
.LBB31_3960:
	s_mov_b32 s0, 0
.LBB31_3961:
	s_delay_alu instid0(SALU_CYCLE_1)
	s_and_not1_b32 vcc_lo, exec_lo, s0
	s_cbranch_vccnz .LBB31_3963
; %bb.3962:
	s_wait_xcnt 0x0
	v_and_b32_e32 v4, 0xff, v1
	s_delay_alu instid0(VALU_DEP_1)
	v_cvt_f16_u16_e32 v4, v4
	global_store_b16 v[2:3], v4, off
.LBB31_3963:
	s_mov_b32 s0, 0
.LBB31_3964:
	s_delay_alu instid0(SALU_CYCLE_1)
	s_and_not1_b32 vcc_lo, exec_lo, s0
	s_cbranch_vccnz .LBB31_3980
; %bb.3965:
	s_cmp_lt_i32 s6, 2
	s_mov_b32 s0, -1
	s_cbranch_scc1 .LBB31_3975
; %bb.3966:
	s_cmp_lt_i32 s6, 3
	s_cbranch_scc1 .LBB31_3972
; %bb.3967:
	s_cmp_gt_i32 s6, 3
	s_cbranch_scc0 .LBB31_3969
; %bb.3968:
	s_wait_xcnt 0x0
	v_and_b32_e32 v4, 0xff, v1
	v_mov_b32_e32 v5, 0
	s_mov_b32 s0, 0
	global_store_b64 v[2:3], v[4:5], off
.LBB31_3969:
	s_and_not1_b32 vcc_lo, exec_lo, s0
	s_cbranch_vccnz .LBB31_3971
; %bb.3970:
	s_wait_xcnt 0x0
	v_and_b32_e32 v4, 0xff, v1
	global_store_b32 v[2:3], v4, off
.LBB31_3971:
	s_mov_b32 s0, 0
.LBB31_3972:
	s_delay_alu instid0(SALU_CYCLE_1)
	s_and_not1_b32 vcc_lo, exec_lo, s0
	s_cbranch_vccnz .LBB31_3974
; %bb.3973:
	s_wait_xcnt 0x0
	v_and_b32_e32 v4, 0xff, v1
	global_store_b16 v[2:3], v4, off
.LBB31_3974:
	s_mov_b32 s0, 0
.LBB31_3975:
	s_delay_alu instid0(SALU_CYCLE_1)
	s_and_not1_b32 vcc_lo, exec_lo, s0
	s_cbranch_vccnz .LBB31_3980
; %bb.3976:
	s_cmp_gt_i32 s6, 0
	s_mov_b32 s0, -1
	s_cbranch_scc0 .LBB31_3978
; %bb.3977:
	s_mov_b32 s0, 0
	global_store_b8 v[2:3], v1, off
.LBB31_3978:
	s_and_not1_b32 vcc_lo, exec_lo, s0
	s_cbranch_vccnz .LBB31_3980
; %bb.3979:
	global_store_b8 v[2:3], v1, off
.LBB31_3980:
	s_mov_b32 s8, -1
.LBB31_3981:
	s_delay_alu instid0(SALU_CYCLE_1)
	s_and_not1_b32 vcc_lo, exec_lo, s8
	s_cbranch_vccnz .LBB31_4058
; %bb.3982:
	s_wait_xcnt 0x0
	v_mov_b32_e32 v1, 0
	v_mul_lo_u16 v4, v20, s2
	v_mul_lo_u16 v5, v14, s3
	s_cmp_lt_i32 s6, 11
	s_delay_alu instid0(VALU_DEP_3) | instskip(NEXT) | instid1(VALU_DEP_2)
	v_add_nc_u64_e32 v[2:3], s[4:5], v[0:1]
	v_mad_u16 v1, v5, v10, v4
	s_cbranch_scc1 .LBB31_4103
; %bb.3983:
	s_mov_b32 s3, -1
	s_mov_b32 s2, 0
	s_cmp_gt_i32 s6, 25
	s_mov_b32 s0, 0
	s_cbranch_scc0 .LBB31_4016
; %bb.3984:
	s_cmp_gt_i32 s6, 28
	s_cbranch_scc0 .LBB31_4000
; %bb.3985:
	s_cmp_gt_i32 s6, 43
	;; [unrolled: 3-line block ×3, first 2 shown]
	s_cbranch_scc0 .LBB31_3990
; %bb.3987:
	s_cmp_eq_u32 s6, 46
	s_mov_b32 s0, -1
	s_cbranch_scc0 .LBB31_3989
; %bb.3988:
	v_cvt_f32_ubyte0_e32 v0, v1
	s_mov_b32 s0, 0
	s_delay_alu instid0(VALU_DEP_1) | instskip(NEXT) | instid1(VALU_DEP_1)
	v_bfe_u32 v4, v0, 16, 1
	v_add3_u32 v0, v0, v4, 0x7fff
	s_delay_alu instid0(VALU_DEP_1)
	v_lshrrev_b32_e32 v0, 16, v0
	global_store_b32 v[2:3], v0, off
.LBB31_3989:
	s_mov_b32 s3, 0
.LBB31_3990:
	s_delay_alu instid0(SALU_CYCLE_1)
	s_and_b32 vcc_lo, exec_lo, s3
	s_cbranch_vccz .LBB31_3995
; %bb.3991:
	s_cmp_eq_u32 s6, 44
	s_mov_b32 s0, -1
	s_cbranch_scc0 .LBB31_3995
; %bb.3992:
	v_cvt_f32_ubyte0_e32 v5, v1
	v_mov_b32_e32 v4, 0xff
	s_mov_b32 s3, exec_lo
	s_wait_xcnt 0x0
	s_delay_alu instid0(VALU_DEP_2) | instskip(NEXT) | instid1(VALU_DEP_1)
	v_lshrrev_b32_e32 v0, 23, v5
	v_cmpx_ne_u32_e32 0xff, v0
; %bb.3993:
	v_and_b32_e32 v4, 0x400000, v5
	v_and_or_b32 v5, 0x3fffff, v5, v0
	s_delay_alu instid0(VALU_DEP_2) | instskip(NEXT) | instid1(VALU_DEP_2)
	v_cmp_ne_u32_e32 vcc_lo, 0, v4
	v_cmp_ne_u32_e64 s0, 0, v5
	s_and_b32 s0, vcc_lo, s0
	s_delay_alu instid0(SALU_CYCLE_1) | instskip(NEXT) | instid1(VALU_DEP_1)
	v_cndmask_b32_e64 v4, 0, 1, s0
	v_add_nc_u32_e32 v4, v0, v4
; %bb.3994:
	s_or_b32 exec_lo, exec_lo, s3
	s_mov_b32 s0, 0
	global_store_b8 v[2:3], v4, off
.LBB31_3995:
	s_mov_b32 s3, 0
.LBB31_3996:
	s_delay_alu instid0(SALU_CYCLE_1)
	s_and_b32 vcc_lo, exec_lo, s3
	s_cbranch_vccz .LBB31_3999
; %bb.3997:
	s_cmp_eq_u32 s6, 29
	s_mov_b32 s0, -1
	s_cbranch_scc0 .LBB31_3999
; %bb.3998:
	s_wait_xcnt 0x0
	v_and_b32_e32 v4, 0xff, v1
	v_mov_b32_e32 v5, 0
	s_mov_b32 s0, 0
	global_store_b64 v[2:3], v[4:5], off
.LBB31_3999:
	s_mov_b32 s3, 0
.LBB31_4000:
	s_delay_alu instid0(SALU_CYCLE_1)
	s_and_b32 vcc_lo, exec_lo, s3
	s_cbranch_vccz .LBB31_4015
; %bb.4001:
	s_cmp_lt_i32 s6, 27
	s_mov_b32 s3, -1
	s_cbranch_scc1 .LBB31_4007
; %bb.4002:
	s_wait_xcnt 0x0
	v_and_b32_e32 v0, 0xff, v1
	s_cmp_gt_i32 s6, 27
	s_cbranch_scc0 .LBB31_4004
; %bb.4003:
	s_mov_b32 s3, 0
	global_store_b32 v[2:3], v0, off
.LBB31_4004:
	s_and_not1_b32 vcc_lo, exec_lo, s3
	s_cbranch_vccnz .LBB31_4006
; %bb.4005:
	global_store_b16 v[2:3], v0, off
.LBB31_4006:
	s_mov_b32 s3, 0
.LBB31_4007:
	s_delay_alu instid0(SALU_CYCLE_1)
	s_and_not1_b32 vcc_lo, exec_lo, s3
	s_cbranch_vccnz .LBB31_4015
; %bb.4008:
	s_wait_xcnt 0x0
	v_cvt_f32_ubyte0_e32 v4, v1
	v_mov_b32_e32 v5, 0x80
	s_mov_b32 s3, exec_lo
	s_delay_alu instid0(VALU_DEP_2)
	v_cmpx_gt_u32_e32 0x43800000, v4
	s_cbranch_execz .LBB31_4014
; %bb.4009:
	s_mov_b32 s4, 0
	s_mov_b32 s5, exec_lo
                                        ; implicit-def: $vgpr0
	v_cmpx_lt_u32_e32 0x3bffffff, v4
	s_xor_b32 s5, exec_lo, s5
	s_cbranch_execz .LBB31_4120
; %bb.4010:
	v_bfe_u32 v0, v4, 20, 1
	s_mov_b32 s4, exec_lo
	s_delay_alu instid0(VALU_DEP_1) | instskip(NEXT) | instid1(VALU_DEP_1)
	v_add3_u32 v0, v4, v0, 0x487ffff
                                        ; implicit-def: $vgpr4
	v_lshrrev_b32_e32 v0, 20, v0
	s_and_not1_saveexec_b32 s5, s5
	s_cbranch_execnz .LBB31_4121
.LBB31_4011:
	s_or_b32 exec_lo, exec_lo, s5
	v_mov_b32_e32 v5, 0
	s_and_saveexec_b32 s5, s4
.LBB31_4012:
	v_mov_b32_e32 v5, v0
.LBB31_4013:
	s_or_b32 exec_lo, exec_lo, s5
.LBB31_4014:
	s_delay_alu instid0(SALU_CYCLE_1)
	s_or_b32 exec_lo, exec_lo, s3
	global_store_b8 v[2:3], v5, off
.LBB31_4015:
	s_mov_b32 s3, 0
.LBB31_4016:
	s_delay_alu instid0(SALU_CYCLE_1)
	s_and_b32 vcc_lo, exec_lo, s3
	s_cbranch_vccz .LBB31_4056
; %bb.4017:
	s_cmp_gt_i32 s6, 22
	s_mov_b32 s2, -1
	s_cbranch_scc0 .LBB31_4049
; %bb.4018:
	s_cmp_lt_i32 s6, 24
	s_cbranch_scc1 .LBB31_4038
; %bb.4019:
	s_cmp_gt_i32 s6, 24
	s_cbranch_scc0 .LBB31_4027
; %bb.4020:
	s_wait_xcnt 0x0
	v_cvt_f32_ubyte0_e32 v4, v1
	v_mov_b32_e32 v5, 0x80
	s_mov_b32 s2, exec_lo
	s_delay_alu instid0(VALU_DEP_2)
	v_cmpx_gt_u32_e32 0x47800000, v4
	s_cbranch_execz .LBB31_4026
; %bb.4021:
	s_mov_b32 s3, 0
	s_mov_b32 s4, exec_lo
                                        ; implicit-def: $vgpr0
	v_cmpx_lt_u32_e32 0x37ffffff, v4
	s_xor_b32 s4, exec_lo, s4
	s_cbranch_execz .LBB31_4123
; %bb.4022:
	v_bfe_u32 v0, v4, 21, 1
	s_mov_b32 s3, exec_lo
	s_delay_alu instid0(VALU_DEP_1) | instskip(NEXT) | instid1(VALU_DEP_1)
	v_add3_u32 v0, v4, v0, 0x88fffff
                                        ; implicit-def: $vgpr4
	v_lshrrev_b32_e32 v0, 21, v0
	s_and_not1_saveexec_b32 s4, s4
	s_cbranch_execnz .LBB31_4124
.LBB31_4023:
	s_or_b32 exec_lo, exec_lo, s4
	v_mov_b32_e32 v5, 0
	s_and_saveexec_b32 s4, s3
.LBB31_4024:
	v_mov_b32_e32 v5, v0
.LBB31_4025:
	s_or_b32 exec_lo, exec_lo, s4
.LBB31_4026:
	s_delay_alu instid0(SALU_CYCLE_1)
	s_or_b32 exec_lo, exec_lo, s2
	s_mov_b32 s2, 0
	global_store_b8 v[2:3], v5, off
.LBB31_4027:
	s_and_b32 vcc_lo, exec_lo, s2
	s_cbranch_vccz .LBB31_4037
; %bb.4028:
	s_wait_xcnt 0x0
	v_cvt_f32_ubyte0_e32 v4, v1
	s_mov_b32 s2, exec_lo
                                        ; implicit-def: $vgpr0
	s_delay_alu instid0(VALU_DEP_1)
	v_cmpx_gt_u32_e32 0x43f00000, v4
	s_xor_b32 s2, exec_lo, s2
	s_cbranch_execz .LBB31_4034
; %bb.4029:
	s_mov_b32 s3, exec_lo
                                        ; implicit-def: $vgpr0
	v_cmpx_lt_u32_e32 0x3c7fffff, v4
	s_xor_b32 s3, exec_lo, s3
; %bb.4030:
	v_bfe_u32 v0, v4, 20, 1
	s_delay_alu instid0(VALU_DEP_1) | instskip(NEXT) | instid1(VALU_DEP_1)
	v_add3_u32 v0, v4, v0, 0x407ffff
	v_and_b32_e32 v4, 0xff00000, v0
	v_lshrrev_b32_e32 v0, 20, v0
	s_delay_alu instid0(VALU_DEP_2) | instskip(NEXT) | instid1(VALU_DEP_2)
	v_cmp_ne_u32_e32 vcc_lo, 0x7f00000, v4
                                        ; implicit-def: $vgpr4
	v_cndmask_b32_e32 v0, 0x7e, v0, vcc_lo
; %bb.4031:
	s_and_not1_saveexec_b32 s3, s3
; %bb.4032:
	v_add_f32_e32 v0, 0x46800000, v4
; %bb.4033:
	s_or_b32 exec_lo, exec_lo, s3
                                        ; implicit-def: $vgpr4
.LBB31_4034:
	s_and_not1_saveexec_b32 s2, s2
; %bb.4035:
	v_mov_b32_e32 v0, 0x7f
	v_cmp_lt_u32_e32 vcc_lo, 0x7f800000, v4
	s_delay_alu instid0(VALU_DEP_2)
	v_cndmask_b32_e32 v0, 0x7e, v0, vcc_lo
; %bb.4036:
	s_or_b32 exec_lo, exec_lo, s2
	global_store_b8 v[2:3], v0, off
.LBB31_4037:
	s_mov_b32 s2, 0
.LBB31_4038:
	s_delay_alu instid0(SALU_CYCLE_1)
	s_and_not1_b32 vcc_lo, exec_lo, s2
	s_cbranch_vccnz .LBB31_4048
; %bb.4039:
	s_wait_xcnt 0x0
	v_cvt_f32_ubyte0_e32 v4, v1
	s_mov_b32 s2, exec_lo
                                        ; implicit-def: $vgpr0
	s_delay_alu instid0(VALU_DEP_1)
	v_cmpx_gt_u32_e32 0x47800000, v4
	s_xor_b32 s2, exec_lo, s2
	s_cbranch_execz .LBB31_4045
; %bb.4040:
	s_mov_b32 s3, exec_lo
                                        ; implicit-def: $vgpr0
	v_cmpx_lt_u32_e32 0x387fffff, v4
	s_xor_b32 s3, exec_lo, s3
; %bb.4041:
	v_bfe_u32 v0, v4, 21, 1
	s_delay_alu instid0(VALU_DEP_1) | instskip(NEXT) | instid1(VALU_DEP_1)
	v_add3_u32 v0, v4, v0, 0x80fffff
                                        ; implicit-def: $vgpr4
	v_lshrrev_b32_e32 v0, 21, v0
; %bb.4042:
	s_and_not1_saveexec_b32 s3, s3
; %bb.4043:
	v_add_f32_e32 v0, 0x43000000, v4
; %bb.4044:
	s_or_b32 exec_lo, exec_lo, s3
                                        ; implicit-def: $vgpr4
.LBB31_4045:
	s_and_not1_saveexec_b32 s2, s2
; %bb.4046:
	v_mov_b32_e32 v0, 0x7f
	v_cmp_lt_u32_e32 vcc_lo, 0x7f800000, v4
	s_delay_alu instid0(VALU_DEP_2)
	v_cndmask_b32_e32 v0, 0x7c, v0, vcc_lo
; %bb.4047:
	s_or_b32 exec_lo, exec_lo, s2
	global_store_b8 v[2:3], v0, off
.LBB31_4048:
	s_mov_b32 s2, 0
.LBB31_4049:
	s_delay_alu instid0(SALU_CYCLE_1)
	s_and_not1_b32 vcc_lo, exec_lo, s2
	s_mov_b32 s2, 0
	s_cbranch_vccnz .LBB31_4056
; %bb.4050:
	s_cmp_gt_i32 s6, 14
	s_mov_b32 s2, -1
	s_cbranch_scc0 .LBB31_4054
; %bb.4051:
	s_cmp_eq_u32 s6, 15
	s_mov_b32 s0, -1
	s_cbranch_scc0 .LBB31_4053
; %bb.4052:
	s_wait_xcnt 0x0
	v_cvt_f32_ubyte0_e32 v0, v1
	s_mov_b32 s0, 0
	s_delay_alu instid0(VALU_DEP_1) | instskip(NEXT) | instid1(VALU_DEP_1)
	v_bfe_u32 v4, v0, 16, 1
	v_add3_u32 v0, v0, v4, 0x7fff
	global_store_d16_hi_b16 v[2:3], v0, off
.LBB31_4053:
	s_mov_b32 s2, 0
.LBB31_4054:
	s_delay_alu instid0(SALU_CYCLE_1)
	s_and_b32 vcc_lo, exec_lo, s2
	s_mov_b32 s2, 0
	s_cbranch_vccz .LBB31_4056
; %bb.4055:
	s_cmp_lg_u32 s6, 11
	s_mov_b32 s2, -1
	s_cselect_b32 s0, -1, 0
.LBB31_4056:
	s_delay_alu instid0(SALU_CYCLE_1)
	s_and_b32 vcc_lo, exec_lo, s0
	s_cbranch_vccnz .LBB31_4122
.LBB31_4057:
	s_mov_b32 s0, 0
	s_branch .LBB31_4059
.LBB31_4058:
	s_mov_b32 s0, 0
	s_wait_xcnt 0x0
	s_mov_b32 s2, 0
                                        ; implicit-def: $vgpr2_vgpr3
                                        ; implicit-def: $sgpr1
                                        ; implicit-def: $vgpr1
.LBB31_4059:
	s_and_not1_b32 s3, s10, exec_lo
	s_and_b32 s4, s12, exec_lo
	s_and_b32 s0, s0, exec_lo
	;; [unrolled: 1-line block ×3, first 2 shown]
	s_or_b32 s10, s3, s4
.LBB31_4060:
	s_wait_xcnt 0x0
	s_or_b32 exec_lo, exec_lo, s11
	s_and_saveexec_b32 s2, s10
	s_cbranch_execz .LBB31_4063
; %bb.4061:
	; divergent unreachable
	s_or_b32 exec_lo, exec_lo, s2
	s_and_saveexec_b32 s2, s39
	s_delay_alu instid0(SALU_CYCLE_1)
	s_xor_b32 s2, exec_lo, s2
	s_cbranch_execnz .LBB31_4064
.LBB31_4062:
	s_or_b32 exec_lo, exec_lo, s2
	s_and_saveexec_b32 s2, s0
	s_cbranch_execnz .LBB31_4065
	s_branch .LBB31_4102
.LBB31_4063:
	s_or_b32 exec_lo, exec_lo, s2
	s_and_saveexec_b32 s2, s39
	s_delay_alu instid0(SALU_CYCLE_1)
	s_xor_b32 s2, exec_lo, s2
	s_cbranch_execz .LBB31_4062
.LBB31_4064:
	s_wait_loadcnt 0x0
	v_and_b32_e32 v0, 0xff, v1
	s_delay_alu instid0(VALU_DEP_1)
	v_cmp_ne_u16_e32 vcc_lo, 0, v0
	v_cndmask_b32_e64 v0, 0, 1, vcc_lo
	global_store_b8 v[2:3], v0, off
	s_wait_xcnt 0x0
	s_or_b32 exec_lo, exec_lo, s2
	s_and_saveexec_b32 s2, s0
	s_cbranch_execz .LBB31_4102
.LBB31_4065:
	s_sext_i32_i16 s2, s1
	s_mov_b32 s0, -1
	s_cmp_lt_i32 s2, 5
	s_cbranch_scc1 .LBB31_4086
; %bb.4066:
	s_cmp_lt_i32 s2, 8
	s_cbranch_scc1 .LBB31_4076
; %bb.4067:
	;; [unrolled: 3-line block ×3, first 2 shown]
	s_cmp_gt_i32 s2, 9
	s_cbranch_scc0 .LBB31_4070
; %bb.4069:
	s_wait_loadcnt 0x0
	v_and_b32_e32 v0, 0xff, v1
	v_mov_b32_e32 v6, 0
	s_mov_b32 s0, 0
	s_delay_alu instid0(VALU_DEP_2) | instskip(NEXT) | instid1(VALU_DEP_2)
	v_and_b32_e32 v0, 0xffff, v0
	v_mov_b32_e32 v7, v6
	s_delay_alu instid0(VALU_DEP_2)
	v_cvt_f64_u32_e32 v[4:5], v0
	global_store_b128 v[2:3], v[4:7], off
.LBB31_4070:
	s_and_not1_b32 vcc_lo, exec_lo, s0
	s_cbranch_vccnz .LBB31_4072
; %bb.4071:
	s_wait_loadcnt 0x0
	v_cvt_f32_ubyte0_e32 v4, v1
	v_mov_b32_e32 v5, 0
	global_store_b64 v[2:3], v[4:5], off
.LBB31_4072:
	s_mov_b32 s0, 0
.LBB31_4073:
	s_delay_alu instid0(SALU_CYCLE_1)
	s_and_not1_b32 vcc_lo, exec_lo, s0
	s_cbranch_vccnz .LBB31_4075
; %bb.4074:
	s_wait_loadcnt 0x0
	v_and_b32_e32 v0, 0xff, v1
	s_delay_alu instid0(VALU_DEP_1) | instskip(NEXT) | instid1(VALU_DEP_1)
	v_cvt_f16_u16_e32 v0, v0
	v_and_b32_e32 v0, 0xffff, v0
	global_store_b32 v[2:3], v0, off
.LBB31_4075:
	s_mov_b32 s0, 0
.LBB31_4076:
	s_delay_alu instid0(SALU_CYCLE_1)
	s_and_not1_b32 vcc_lo, exec_lo, s0
	s_cbranch_vccnz .LBB31_4085
; %bb.4077:
	s_sext_i32_i16 s2, s1
	s_mov_b32 s0, -1
	s_cmp_lt_i32 s2, 6
	s_cbranch_scc1 .LBB31_4083
; %bb.4078:
	s_cmp_gt_i32 s2, 6
	s_cbranch_scc0 .LBB31_4080
; %bb.4079:
	s_wait_loadcnt 0x0
	v_and_b32_e32 v0, 0xff, v1
	s_mov_b32 s0, 0
	s_delay_alu instid0(VALU_DEP_1) | instskip(NEXT) | instid1(VALU_DEP_1)
	v_and_b32_e32 v0, 0xffff, v0
	v_cvt_f64_u32_e32 v[4:5], v0
	global_store_b64 v[2:3], v[4:5], off
.LBB31_4080:
	s_and_not1_b32 vcc_lo, exec_lo, s0
	s_cbranch_vccnz .LBB31_4082
; %bb.4081:
	s_wait_loadcnt 0x0
	v_cvt_f32_ubyte0_e32 v0, v1
	global_store_b32 v[2:3], v0, off
.LBB31_4082:
	s_mov_b32 s0, 0
.LBB31_4083:
	s_delay_alu instid0(SALU_CYCLE_1)
	s_and_not1_b32 vcc_lo, exec_lo, s0
	s_cbranch_vccnz .LBB31_4085
; %bb.4084:
	s_wait_loadcnt 0x0
	v_and_b32_e32 v0, 0xff, v1
	s_delay_alu instid0(VALU_DEP_1)
	v_cvt_f16_u16_e32 v0, v0
	global_store_b16 v[2:3], v0, off
.LBB31_4085:
	s_mov_b32 s0, 0
.LBB31_4086:
	s_delay_alu instid0(SALU_CYCLE_1)
	s_and_not1_b32 vcc_lo, exec_lo, s0
	s_cbranch_vccnz .LBB31_4102
; %bb.4087:
	s_sext_i32_i16 s2, s1
	s_mov_b32 s0, -1
	s_cmp_lt_i32 s2, 2
	s_cbranch_scc1 .LBB31_4097
; %bb.4088:
	s_cmp_lt_i32 s2, 3
	s_cbranch_scc1 .LBB31_4094
; %bb.4089:
	s_cmp_gt_i32 s2, 3
	s_cbranch_scc0 .LBB31_4091
; %bb.4090:
	s_wait_loadcnt 0x0
	v_and_b32_e32 v4, 0xff, v1
	v_mov_b32_e32 v5, 0
	s_mov_b32 s0, 0
	global_store_b64 v[2:3], v[4:5], off
.LBB31_4091:
	s_and_not1_b32 vcc_lo, exec_lo, s0
	s_cbranch_vccnz .LBB31_4093
; %bb.4092:
	s_wait_loadcnt 0x0
	v_and_b32_e32 v0, 0xff, v1
	global_store_b32 v[2:3], v0, off
.LBB31_4093:
	s_mov_b32 s0, 0
.LBB31_4094:
	s_delay_alu instid0(SALU_CYCLE_1)
	s_and_not1_b32 vcc_lo, exec_lo, s0
	s_cbranch_vccnz .LBB31_4096
; %bb.4095:
	s_wait_loadcnt 0x0
	v_and_b32_e32 v0, 0xff, v1
	global_store_b16 v[2:3], v0, off
.LBB31_4096:
	s_mov_b32 s0, 0
.LBB31_4097:
	s_delay_alu instid0(SALU_CYCLE_1)
	s_and_not1_b32 vcc_lo, exec_lo, s0
	s_cbranch_vccnz .LBB31_4102
; %bb.4098:
	s_sext_i32_i16 s0, s1
	s_delay_alu instid0(SALU_CYCLE_1)
	s_cmp_gt_i32 s0, 0
	s_mov_b32 s0, -1
	s_cbranch_scc0 .LBB31_4100
; %bb.4099:
	s_mov_b32 s0, 0
	s_wait_loadcnt 0x0
	global_store_b8 v[2:3], v1, off
.LBB31_4100:
	s_and_not1_b32 vcc_lo, exec_lo, s0
	s_cbranch_vccnz .LBB31_4102
; %bb.4101:
	s_wait_loadcnt 0x0
	global_store_b8 v[2:3], v1, off
	s_endpgm
.LBB31_4102:
	s_endpgm
.LBB31_4103:
	s_mov_b32 s2, 0
	s_mov_b32 s0, -1
	s_branch .LBB31_4059
.LBB31_4104:
	s_or_b32 s12, s12, exec_lo
	s_trap 2
	s_cbranch_execz .LBB31_3573
	s_branch .LBB31_3574
.LBB31_4105:
	s_and_not1_saveexec_b32 s13, s13
	s_cbranch_execz .LBB31_3653
.LBB31_4106:
	v_add_f32_e32 v3, 0x46000000, v5
	s_and_not1_b32 s9, s9, exec_lo
	s_delay_alu instid0(VALU_DEP_1) | instskip(NEXT) | instid1(VALU_DEP_1)
	v_and_b32_e32 v3, 0xff, v3
	v_cmp_ne_u32_e32 vcc_lo, 0, v3
	s_and_b32 s14, vcc_lo, exec_lo
	s_delay_alu instid0(SALU_CYCLE_1)
	s_or_b32 s9, s9, s14
	s_or_b32 exec_lo, exec_lo, s13
	v_mov_b32_e32 v8, 0
	s_and_saveexec_b32 s13, s9
	s_cbranch_execnz .LBB31_3654
	s_branch .LBB31_3655
.LBB31_4107:
	s_or_b32 s12, s12, exec_lo
	s_trap 2
	s_cbranch_execz .LBB31_3701
	s_branch .LBB31_3702
.LBB31_4108:
	s_and_not1_saveexec_b32 s9, s9
	s_cbranch_execz .LBB31_3666
.LBB31_4109:
	v_add_f32_e32 v3, 0x42800000, v5
	s_and_not1_b32 s8, s8, exec_lo
	s_delay_alu instid0(VALU_DEP_1) | instskip(NEXT) | instid1(VALU_DEP_1)
	v_and_b32_e32 v3, 0xff, v3
	v_cmp_ne_u32_e32 vcc_lo, 0, v3
	s_and_b32 s13, vcc_lo, exec_lo
	s_delay_alu instid0(SALU_CYCLE_1)
	s_or_b32 s8, s8, s13
	s_or_b32 exec_lo, exec_lo, s9
	v_mov_b32_e32 v8, 0
	s_and_saveexec_b32 s9, s8
	s_cbranch_execnz .LBB31_3667
	s_branch .LBB31_3668
.LBB31_4110:
	s_and_not1_saveexec_b32 s13, s13
	s_cbranch_execz .LBB31_3772
.LBB31_4111:
	v_add_f32_e32 v3, 0x46000000, v6
	s_and_not1_b32 s9, s9, exec_lo
	s_delay_alu instid0(VALU_DEP_1) | instskip(NEXT) | instid1(VALU_DEP_1)
	v_and_b32_e32 v3, 0xff, v3
	v_cmp_ne_u32_e32 vcc_lo, 0, v3
	s_and_b32 s14, vcc_lo, exec_lo
	s_delay_alu instid0(SALU_CYCLE_1)
	s_or_b32 s9, s9, s14
	s_or_b32 exec_lo, exec_lo, s13
	v_mov_b32_e32 v7, 0
	s_and_saveexec_b32 s13, s9
	s_cbranch_execnz .LBB31_3773
	s_branch .LBB31_3774
.LBB31_4112:
	s_or_b32 s12, s12, exec_lo
	s_trap 2
	s_cbranch_execz .LBB31_3820
	s_branch .LBB31_3821
.LBB31_4113:
	s_and_not1_saveexec_b32 s9, s9
	s_cbranch_execz .LBB31_3785
.LBB31_4114:
	v_add_f32_e32 v3, 0x42800000, v6
	s_and_not1_b32 s8, s8, exec_lo
	s_delay_alu instid0(VALU_DEP_1) | instskip(NEXT) | instid1(VALU_DEP_1)
	v_and_b32_e32 v3, 0xff, v3
	v_cmp_ne_u32_e32 vcc_lo, 0, v3
	s_and_b32 s13, vcc_lo, exec_lo
	s_delay_alu instid0(SALU_CYCLE_1)
	s_or_b32 s8, s8, s13
	s_or_b32 exec_lo, exec_lo, s9
	v_mov_b32_e32 v7, 0
	s_and_saveexec_b32 s9, s8
	s_cbranch_execnz .LBB31_3786
	s_branch .LBB31_3787
.LBB31_4115:
	s_and_not1_saveexec_b32 s13, s13
	s_cbranch_execz .LBB31_3891
.LBB31_4116:
	v_add_f32_e32 v4, 0x46000000, v5
	s_and_not1_b32 s9, s9, exec_lo
	s_delay_alu instid0(VALU_DEP_1) | instskip(NEXT) | instid1(VALU_DEP_1)
	v_and_b32_e32 v4, 0xff, v4
	v_cmp_ne_u32_e32 vcc_lo, 0, v4
	s_and_b32 s14, vcc_lo, exec_lo
	s_delay_alu instid0(SALU_CYCLE_1)
	s_or_b32 s9, s9, s14
	s_or_b32 exec_lo, exec_lo, s13
	v_mov_b32_e32 v6, 0
	s_and_saveexec_b32 s13, s9
	s_cbranch_execnz .LBB31_3892
	s_branch .LBB31_3893
.LBB31_4117:
	s_or_b32 s12, s12, exec_lo
	s_trap 2
	s_cbranch_execz .LBB31_3939
	s_branch .LBB31_3940
.LBB31_4118:
	s_and_not1_saveexec_b32 s9, s9
	s_cbranch_execz .LBB31_3904
.LBB31_4119:
	v_add_f32_e32 v4, 0x42800000, v5
	s_and_not1_b32 s8, s8, exec_lo
	s_delay_alu instid0(VALU_DEP_1) | instskip(NEXT) | instid1(VALU_DEP_1)
	v_and_b32_e32 v4, 0xff, v4
	v_cmp_ne_u32_e32 vcc_lo, 0, v4
	s_and_b32 s13, vcc_lo, exec_lo
	s_delay_alu instid0(SALU_CYCLE_1)
	s_or_b32 s8, s8, s13
	s_or_b32 exec_lo, exec_lo, s9
	v_mov_b32_e32 v6, 0
	s_and_saveexec_b32 s9, s8
	s_cbranch_execnz .LBB31_3905
	s_branch .LBB31_3906
.LBB31_4120:
	s_and_not1_saveexec_b32 s5, s5
	s_cbranch_execz .LBB31_4011
.LBB31_4121:
	v_add_f32_e32 v0, 0x46000000, v4
	s_and_not1_b32 s4, s4, exec_lo
	s_delay_alu instid0(VALU_DEP_1) | instskip(NEXT) | instid1(VALU_DEP_1)
	v_and_b32_e32 v0, 0xff, v0
	v_cmp_ne_u32_e32 vcc_lo, 0, v0
	s_and_b32 s7, vcc_lo, exec_lo
	s_delay_alu instid0(SALU_CYCLE_1)
	s_or_b32 s4, s4, s7
	s_or_b32 exec_lo, exec_lo, s5
	v_mov_b32_e32 v5, 0
	s_and_saveexec_b32 s5, s4
	s_cbranch_execnz .LBB31_4012
	s_branch .LBB31_4013
.LBB31_4122:
	s_mov_b32 s2, 0
	s_or_b32 s12, s12, exec_lo
	s_trap 2
	s_branch .LBB31_4057
.LBB31_4123:
	s_and_not1_saveexec_b32 s4, s4
	s_cbranch_execz .LBB31_4023
.LBB31_4124:
	v_add_f32_e32 v0, 0x42800000, v4
	s_and_not1_b32 s3, s3, exec_lo
	s_delay_alu instid0(VALU_DEP_1) | instskip(NEXT) | instid1(VALU_DEP_1)
	v_and_b32_e32 v0, 0xff, v0
	v_cmp_ne_u32_e32 vcc_lo, 0, v0
	s_and_b32 s5, vcc_lo, exec_lo
	s_delay_alu instid0(SALU_CYCLE_1)
	s_or_b32 s3, s3, s5
	s_or_b32 exec_lo, exec_lo, s4
	v_mov_b32_e32 v5, 0
	s_and_saveexec_b32 s4, s3
	s_cbranch_execnz .LBB31_4024
	s_branch .LBB31_4025
	.section	.rodata,"a",@progbits
	.p2align	6, 0x0
	.amdhsa_kernel _ZN2at6native32elementwise_kernel_manual_unrollILi128ELi4EZNS0_15gpu_kernel_implIZZZNS0_12_GLOBAL__N_116addr_kernel_cudaERNS_14TensorIteratorERKN3c106ScalarES9_ENKUlvE_clEvENKUlvE_clEvEUlhhhE0_EEvRNS_18TensorIteratorBaseERKT_EUlibE0_EEviT1_
		.amdhsa_group_segment_fixed_size 0
		.amdhsa_private_segment_fixed_size 0
		.amdhsa_kernarg_size 504
		.amdhsa_user_sgpr_count 2
		.amdhsa_user_sgpr_dispatch_ptr 0
		.amdhsa_user_sgpr_queue_ptr 0
		.amdhsa_user_sgpr_kernarg_segment_ptr 1
		.amdhsa_user_sgpr_dispatch_id 0
		.amdhsa_user_sgpr_kernarg_preload_length 0
		.amdhsa_user_sgpr_kernarg_preload_offset 0
		.amdhsa_user_sgpr_private_segment_size 0
		.amdhsa_wavefront_size32 1
		.amdhsa_uses_dynamic_stack 0
		.amdhsa_enable_private_segment 0
		.amdhsa_system_sgpr_workgroup_id_x 1
		.amdhsa_system_sgpr_workgroup_id_y 0
		.amdhsa_system_sgpr_workgroup_id_z 0
		.amdhsa_system_sgpr_workgroup_info 0
		.amdhsa_system_vgpr_workitem_id 0
		.amdhsa_next_free_vgpr 36
		.amdhsa_next_free_sgpr 76
		.amdhsa_named_barrier_count 0
		.amdhsa_reserve_vcc 1
		.amdhsa_float_round_mode_32 0
		.amdhsa_float_round_mode_16_64 0
		.amdhsa_float_denorm_mode_32 3
		.amdhsa_float_denorm_mode_16_64 3
		.amdhsa_fp16_overflow 0
		.amdhsa_memory_ordered 1
		.amdhsa_forward_progress 1
		.amdhsa_inst_pref_size 255
		.amdhsa_round_robin_scheduling 0
		.amdhsa_exception_fp_ieee_invalid_op 0
		.amdhsa_exception_fp_denorm_src 0
		.amdhsa_exception_fp_ieee_div_zero 0
		.amdhsa_exception_fp_ieee_overflow 0
		.amdhsa_exception_fp_ieee_underflow 0
		.amdhsa_exception_fp_ieee_inexact 0
		.amdhsa_exception_int_div_zero 0
	.end_amdhsa_kernel
	.section	.text._ZN2at6native32elementwise_kernel_manual_unrollILi128ELi4EZNS0_15gpu_kernel_implIZZZNS0_12_GLOBAL__N_116addr_kernel_cudaERNS_14TensorIteratorERKN3c106ScalarES9_ENKUlvE_clEvENKUlvE_clEvEUlhhhE0_EEvRNS_18TensorIteratorBaseERKT_EUlibE0_EEviT1_,"axG",@progbits,_ZN2at6native32elementwise_kernel_manual_unrollILi128ELi4EZNS0_15gpu_kernel_implIZZZNS0_12_GLOBAL__N_116addr_kernel_cudaERNS_14TensorIteratorERKN3c106ScalarES9_ENKUlvE_clEvENKUlvE_clEvEUlhhhE0_EEvRNS_18TensorIteratorBaseERKT_EUlibE0_EEviT1_,comdat
.Lfunc_end31:
	.size	_ZN2at6native32elementwise_kernel_manual_unrollILi128ELi4EZNS0_15gpu_kernel_implIZZZNS0_12_GLOBAL__N_116addr_kernel_cudaERNS_14TensorIteratorERKN3c106ScalarES9_ENKUlvE_clEvENKUlvE_clEvEUlhhhE0_EEvRNS_18TensorIteratorBaseERKT_EUlibE0_EEviT1_, .Lfunc_end31-_ZN2at6native32elementwise_kernel_manual_unrollILi128ELi4EZNS0_15gpu_kernel_implIZZZNS0_12_GLOBAL__N_116addr_kernel_cudaERNS_14TensorIteratorERKN3c106ScalarES9_ENKUlvE_clEvENKUlvE_clEvEUlhhhE0_EEvRNS_18TensorIteratorBaseERKT_EUlibE0_EEviT1_
                                        ; -- End function
	.set _ZN2at6native32elementwise_kernel_manual_unrollILi128ELi4EZNS0_15gpu_kernel_implIZZZNS0_12_GLOBAL__N_116addr_kernel_cudaERNS_14TensorIteratorERKN3c106ScalarES9_ENKUlvE_clEvENKUlvE_clEvEUlhhhE0_EEvRNS_18TensorIteratorBaseERKT_EUlibE0_EEviT1_.num_vgpr, 36
	.set _ZN2at6native32elementwise_kernel_manual_unrollILi128ELi4EZNS0_15gpu_kernel_implIZZZNS0_12_GLOBAL__N_116addr_kernel_cudaERNS_14TensorIteratorERKN3c106ScalarES9_ENKUlvE_clEvENKUlvE_clEvEUlhhhE0_EEvRNS_18TensorIteratorBaseERKT_EUlibE0_EEviT1_.num_agpr, 0
	.set _ZN2at6native32elementwise_kernel_manual_unrollILi128ELi4EZNS0_15gpu_kernel_implIZZZNS0_12_GLOBAL__N_116addr_kernel_cudaERNS_14TensorIteratorERKN3c106ScalarES9_ENKUlvE_clEvENKUlvE_clEvEUlhhhE0_EEvRNS_18TensorIteratorBaseERKT_EUlibE0_EEviT1_.numbered_sgpr, 76
	.set _ZN2at6native32elementwise_kernel_manual_unrollILi128ELi4EZNS0_15gpu_kernel_implIZZZNS0_12_GLOBAL__N_116addr_kernel_cudaERNS_14TensorIteratorERKN3c106ScalarES9_ENKUlvE_clEvENKUlvE_clEvEUlhhhE0_EEvRNS_18TensorIteratorBaseERKT_EUlibE0_EEviT1_.num_named_barrier, 0
	.set _ZN2at6native32elementwise_kernel_manual_unrollILi128ELi4EZNS0_15gpu_kernel_implIZZZNS0_12_GLOBAL__N_116addr_kernel_cudaERNS_14TensorIteratorERKN3c106ScalarES9_ENKUlvE_clEvENKUlvE_clEvEUlhhhE0_EEvRNS_18TensorIteratorBaseERKT_EUlibE0_EEviT1_.private_seg_size, 0
	.set _ZN2at6native32elementwise_kernel_manual_unrollILi128ELi4EZNS0_15gpu_kernel_implIZZZNS0_12_GLOBAL__N_116addr_kernel_cudaERNS_14TensorIteratorERKN3c106ScalarES9_ENKUlvE_clEvENKUlvE_clEvEUlhhhE0_EEvRNS_18TensorIteratorBaseERKT_EUlibE0_EEviT1_.uses_vcc, 1
	.set _ZN2at6native32elementwise_kernel_manual_unrollILi128ELi4EZNS0_15gpu_kernel_implIZZZNS0_12_GLOBAL__N_116addr_kernel_cudaERNS_14TensorIteratorERKN3c106ScalarES9_ENKUlvE_clEvENKUlvE_clEvEUlhhhE0_EEvRNS_18TensorIteratorBaseERKT_EUlibE0_EEviT1_.uses_flat_scratch, 0
	.set _ZN2at6native32elementwise_kernel_manual_unrollILi128ELi4EZNS0_15gpu_kernel_implIZZZNS0_12_GLOBAL__N_116addr_kernel_cudaERNS_14TensorIteratorERKN3c106ScalarES9_ENKUlvE_clEvENKUlvE_clEvEUlhhhE0_EEvRNS_18TensorIteratorBaseERKT_EUlibE0_EEviT1_.has_dyn_sized_stack, 0
	.set _ZN2at6native32elementwise_kernel_manual_unrollILi128ELi4EZNS0_15gpu_kernel_implIZZZNS0_12_GLOBAL__N_116addr_kernel_cudaERNS_14TensorIteratorERKN3c106ScalarES9_ENKUlvE_clEvENKUlvE_clEvEUlhhhE0_EEvRNS_18TensorIteratorBaseERKT_EUlibE0_EEviT1_.has_recursion, 0
	.set _ZN2at6native32elementwise_kernel_manual_unrollILi128ELi4EZNS0_15gpu_kernel_implIZZZNS0_12_GLOBAL__N_116addr_kernel_cudaERNS_14TensorIteratorERKN3c106ScalarES9_ENKUlvE_clEvENKUlvE_clEvEUlhhhE0_EEvRNS_18TensorIteratorBaseERKT_EUlibE0_EEviT1_.has_indirect_call, 0
	.section	.AMDGPU.csdata,"",@progbits
; Kernel info:
; codeLenInByte = 86900
; TotalNumSgprs: 78
; NumVgprs: 36
; ScratchSize: 0
; MemoryBound: 1
; FloatMode: 240
; IeeeMode: 1
; LDSByteSize: 0 bytes/workgroup (compile time only)
; SGPRBlocks: 0
; VGPRBlocks: 2
; NumSGPRsForWavesPerEU: 78
; NumVGPRsForWavesPerEU: 36
; NamedBarCnt: 0
; Occupancy: 16
; WaveLimiterHint : 1
; COMPUTE_PGM_RSRC2:SCRATCH_EN: 0
; COMPUTE_PGM_RSRC2:USER_SGPR: 2
; COMPUTE_PGM_RSRC2:TRAP_HANDLER: 0
; COMPUTE_PGM_RSRC2:TGID_X_EN: 1
; COMPUTE_PGM_RSRC2:TGID_Y_EN: 0
; COMPUTE_PGM_RSRC2:TGID_Z_EN: 0
; COMPUTE_PGM_RSRC2:TIDIG_COMP_CNT: 0
	.section	.text._ZN2at6native29vectorized_elementwise_kernelILi16EZZZNS0_12_GLOBAL__N_116addr_kernel_cudaERNS_14TensorIteratorERKN3c106ScalarES8_ENKUlvE_clEvENKUlvE0_clEvEUlaaaE_St5arrayIPcLm4EEEEviT0_T1_,"axG",@progbits,_ZN2at6native29vectorized_elementwise_kernelILi16EZZZNS0_12_GLOBAL__N_116addr_kernel_cudaERNS_14TensorIteratorERKN3c106ScalarES8_ENKUlvE_clEvENKUlvE0_clEvEUlaaaE_St5arrayIPcLm4EEEEviT0_T1_,comdat
	.globl	_ZN2at6native29vectorized_elementwise_kernelILi16EZZZNS0_12_GLOBAL__N_116addr_kernel_cudaERNS_14TensorIteratorERKN3c106ScalarES8_ENKUlvE_clEvENKUlvE0_clEvEUlaaaE_St5arrayIPcLm4EEEEviT0_T1_ ; -- Begin function _ZN2at6native29vectorized_elementwise_kernelILi16EZZZNS0_12_GLOBAL__N_116addr_kernel_cudaERNS_14TensorIteratorERKN3c106ScalarES8_ENKUlvE_clEvENKUlvE0_clEvEUlaaaE_St5arrayIPcLm4EEEEviT0_T1_
	.p2align	8
	.type	_ZN2at6native29vectorized_elementwise_kernelILi16EZZZNS0_12_GLOBAL__N_116addr_kernel_cudaERNS_14TensorIteratorERKN3c106ScalarES8_ENKUlvE_clEvENKUlvE0_clEvEUlaaaE_St5arrayIPcLm4EEEEviT0_T1_,@function
_ZN2at6native29vectorized_elementwise_kernelILi16EZZZNS0_12_GLOBAL__N_116addr_kernel_cudaERNS_14TensorIteratorERKN3c106ScalarES8_ENKUlvE_clEvENKUlvE0_clEvEUlaaaE_St5arrayIPcLm4EEEEviT0_T1_: ; @_ZN2at6native29vectorized_elementwise_kernelILi16EZZZNS0_12_GLOBAL__N_116addr_kernel_cudaERNS_14TensorIteratorERKN3c106ScalarES8_ENKUlvE_clEvENKUlvE0_clEvEUlaaaE_St5arrayIPcLm4EEEEviT0_T1_
; %bb.0:
	s_clause 0x1
	s_load_b128 s[4:7], s[0:1], 0x0
	s_load_b128 s[8:11], s[0:1], 0x18
	s_wait_xcnt 0x0
	s_bfe_u32 s0, ttmp6, 0x4000c
	s_and_b32 s1, ttmp6, 15
	s_add_co_i32 s0, s0, 1
	s_getreg_b32 s2, hwreg(HW_REG_IB_STS2, 6, 4)
	s_mul_i32 s0, ttmp9, s0
	s_delay_alu instid0(SALU_CYCLE_1) | instskip(SKIP_2) | instid1(SALU_CYCLE_1)
	s_add_co_i32 s1, s1, s0
	s_cmp_eq_u32 s2, 0
	s_cselect_b32 s0, ttmp9, s1
	s_lshl_b32 s2, s0, 12
	s_mov_b32 s0, -1
	s_wait_kmcnt 0x0
	s_sub_co_i32 s1, s4, s2
	s_delay_alu instid0(SALU_CYCLE_1)
	s_cmp_gt_i32 s1, 0xfff
	s_cbranch_scc0 .LBB32_2
; %bb.1:
	s_ashr_i32 s3, s2, 31
	s_mov_b32 s0, 0
	s_add_nc_u64 s[12:13], s[8:9], s[2:3]
	global_load_b128 v[2:5], v0, s[12:13] scale_offset
	s_wait_xcnt 0x0
	s_add_nc_u64 s[12:13], s[10:11], s[2:3]
	global_load_b128 v[6:9], v0, s[12:13] scale_offset
	s_wait_xcnt 0x0
	s_add_nc_u64 s[12:13], s[6:7], s[2:3]
	s_wait_loadcnt 0x1
	v_lshrrev_b16 v1, 8, v3
	v_dual_lshrrev_b32 v10, 16, v3 :: v_dual_lshrrev_b32 v11, 24, v3
	v_lshrrev_b16 v12, 8, v2
	v_dual_lshrrev_b32 v13, 16, v2 :: v_dual_lshrrev_b32 v14, 24, v2
	v_lshrrev_b16 v15, 8, v5
	v_dual_lshrrev_b32 v16, 16, v5 :: v_dual_lshrrev_b32 v17, 24, v5
	v_lshrrev_b16 v18, 8, v4
	v_dual_lshrrev_b32 v19, 16, v4 :: v_dual_lshrrev_b32 v20, 24, v4
	v_mul_lo_u16 v2, v2, s5
	s_wait_loadcnt 0x0
	v_dual_lshrrev_b32 v21, 24, v6 :: v_dual_lshrrev_b32 v22, 16, v6
	v_lshrrev_b16 v23, 8, v6
	v_dual_lshrrev_b32 v24, 24, v7 :: v_dual_lshrrev_b32 v25, 16, v7
	v_lshrrev_b16 v26, 8, v7
	;; [unrolled: 2-line block ×4, first 2 shown]
	v_mul_lo_u16 v3, v3, s5
	v_mul_lo_u16 v4, v4, s5
	;; [unrolled: 1-line block ×31, first 2 shown]
	v_lshlrev_b16 v1, 8, v1
	v_lshlrev_b16 v9, 8, v9
	;; [unrolled: 1-line block ×8, first 2 shown]
	v_bitop3_b16 v1, v3, v1, 0xff bitop3:0xec
	v_bitop3_b16 v3, v8, v9, 0xff bitop3:0xec
	;; [unrolled: 1-line block ×8, first 2 shown]
	v_and_b32_e32 v1, 0xffff, v1
	v_dual_lshlrev_b32 v3, 16, v3 :: v_dual_lshlrev_b32 v7, 16, v8
	v_and_b32_e32 v2, 0xffff, v2
	v_and_b32_e32 v5, 0xffff, v5
	v_dual_lshlrev_b32 v8, 16, v9 :: v_dual_lshlrev_b32 v6, 16, v6
	v_and_b32_e32 v4, 0xffff, v4
	v_or_b32_e32 v3, v1, v3
	v_or_b32_e32 v2, v2, v7
	s_delay_alu instid0(VALU_DEP_4) | instskip(NEXT) | instid1(VALU_DEP_4)
	v_or_b32_e32 v5, v5, v8
	v_or_b32_e32 v4, v4, v6
	global_store_b128 v0, v[2:5], s[12:13] scale_offset
.LBB32_2:
	s_and_not1_b32 vcc_lo, exec_lo, s0
	s_cbranch_vccnz .LBB32_83
; %bb.3:
	v_cmp_gt_i32_e32 vcc_lo, s1, v0
	v_dual_mov_b32 v38, 0 :: v_dual_bitop2_b32 v1, s2, v0 bitop3:0x54
	v_or_b32_e32 v8, 0x100, v0
	v_dual_mov_b32 v37, 0 :: v_dual_mov_b32 v36, 0
	v_dual_mov_b32 v35, 0 :: v_dual_mov_b32 v34, 0
	;; [unrolled: 1-line block ×12, first 2 shown]
	s_wait_xcnt 0x0
	v_dual_mov_b32 v4, 0 :: v_dual_mov_b32 v23, 0
	v_dual_mov_b32 v3, 0 :: v_dual_mov_b32 v25, 0
	;; [unrolled: 1-line block ×3, first 2 shown]
	v_mov_b32_e32 v29, 0
	s_and_saveexec_b32 s3, vcc_lo
	s_cbranch_execz .LBB32_35
; %bb.4:
	s_clause 0x1
	global_load_u8 v28, v1, s[8:9]
	global_load_u8 v29, v1, s[10:11]
	v_or_b32_e32 v2, 0x100, v0
	v_dual_mov_b32 v24, 0 :: v_dual_mov_b32 v25, 0
	v_dual_mov_b32 v3, 0 :: v_dual_mov_b32 v23, 0
	s_delay_alu instid0(VALU_DEP_3)
	v_cmp_gt_u32_e64 s0, s1, v2
	v_dual_mov_b32 v4, 0 :: v_dual_mov_b32 v19, 0
	v_dual_mov_b32 v12, 0 :: v_dual_mov_b32 v16, 0
	;; [unrolled: 1-line block ×13, first 2 shown]
	s_wait_xcnt 0x0
	s_and_saveexec_b32 s4, s0
	s_cbranch_execz .LBB32_34
; %bb.5:
	v_dual_mov_b32 v3, 0 :: v_dual_add_nc_u32 v2, s2, v0
	v_or_b32_e32 v4, 0x200, v0
	v_dual_mov_b32 v23, 0 :: v_dual_mov_b32 v19, 0
	v_mov_b32_e32 v12, 0
	s_clause 0x1
	global_load_u8 v25, v2, s[8:9] offset:256
	global_load_u8 v24, v2, s[10:11] offset:256
	v_cmp_gt_u32_e64 s0, s1, v4
	v_dual_mov_b32 v4, 0 :: v_dual_mov_b32 v16, 0
	v_dual_mov_b32 v10, 0 :: v_dual_mov_b32 v14, 0
	;; [unrolled: 1-line block ×12, first 2 shown]
	s_wait_xcnt 0x0
	s_and_saveexec_b32 s12, s0
	s_cbranch_execz .LBB32_33
; %bb.6:
	v_add_nc_u64_e32 v[4:5], s[8:9], v[2:3]
	v_add_nc_u64_e32 v[6:7], s[10:11], v[2:3]
	v_or_b32_e32 v9, 0x300, v0
	v_dual_mov_b32 v19, 0 :: v_dual_mov_b32 v12, 0
	v_dual_mov_b32 v16, 0 :: v_dual_mov_b32 v10, 0
	global_load_u8 v23, v[4:5], off offset:512
	global_load_u8 v2, v[6:7], off offset:512
	v_cmp_gt_u32_e64 s0, s1, v9
	v_dual_mov_b32 v14, 0 :: v_dual_mov_b32 v9, 0
	v_dual_mov_b32 v15, 0 :: v_dual_mov_b32 v11, 0
	;; [unrolled: 1-line block ×10, first 2 shown]
	v_mov_b32_e32 v38, 0
	s_wait_xcnt 0x0
	s_and_saveexec_b32 s8, s0
	s_cbranch_execz .LBB32_32
; %bb.7:
	global_load_u8 v19, v[4:5], off offset:768
	global_load_u8 v3, v[6:7], off offset:768
	v_or_b32_e32 v9, 0x400, v0
	v_dual_mov_b32 v12, 0 :: v_dual_mov_b32 v16, 0
	v_dual_mov_b32 v10, 0 :: v_dual_mov_b32 v14, 0
	s_delay_alu instid0(VALU_DEP_3)
	v_cmp_gt_u32_e64 s0, s1, v9
	v_dual_mov_b32 v9, 0 :: v_dual_mov_b32 v15, 0
	v_dual_mov_b32 v11, 0 :: v_dual_mov_b32 v17, 0
	;; [unrolled: 1-line block ×10, first 2 shown]
	s_wait_xcnt 0x0
	s_and_saveexec_b32 s9, s0
	s_cbranch_execz .LBB32_31
; %bb.8:
	global_load_u8 v16, v[4:5], off offset:1024
	global_load_u8 v12, v[6:7], off offset:1024
	v_or_b32_e32 v9, 0x500, v0
	v_dual_mov_b32 v10, 0 :: v_dual_mov_b32 v14, 0
	v_dual_mov_b32 v11, 0 :: v_dual_mov_b32 v17, 0
	s_delay_alu instid0(VALU_DEP_3)
	v_cmp_gt_u32_e64 s0, s1, v9
	v_dual_mov_b32 v9, 0 :: v_dual_mov_b32 v15, 0
	v_dual_mov_b32 v13, 0 :: v_dual_mov_b32 v20, 0
	;; [unrolled: 1-line block ×9, first 2 shown]
	s_wait_xcnt 0x0
	s_and_saveexec_b32 s10, s0
	s_cbranch_execz .LBB32_30
; %bb.9:
	global_load_u8 v14, v[4:5], off offset:1280
	global_load_u8 v10, v[6:7], off offset:1280
	v_or_b32_e32 v9, 0x600, v0
	v_dual_mov_b32 v11, 0 :: v_dual_mov_b32 v17, 0
	v_dual_mov_b32 v13, 0 :: v_dual_mov_b32 v20, 0
	s_delay_alu instid0(VALU_DEP_3)
	v_cmp_gt_u32_e64 s0, s1, v9
	v_dual_mov_b32 v9, 0 :: v_dual_mov_b32 v15, 0
	v_dual_mov_b32 v18, 0 :: v_dual_mov_b32 v22, 0
	;; [unrolled: 1-line block ×8, first 2 shown]
	s_wait_xcnt 0x0
	s_and_saveexec_b32 s11, s0
	s_cbranch_execz .LBB32_29
; %bb.10:
	global_load_u8 v15, v[4:5], off offset:1536
	global_load_u8 v9, v[6:7], off offset:1536
	v_or_b32_e32 v11, 0x700, v0
	v_dual_mov_b32 v13, 0 :: v_dual_mov_b32 v20, 0
	v_dual_mov_b32 v18, 0 :: v_dual_mov_b32 v22, 0
	s_delay_alu instid0(VALU_DEP_3)
	v_cmp_gt_u32_e64 s0, s1, v11
	v_dual_mov_b32 v11, 0 :: v_dual_mov_b32 v17, 0
	v_dual_mov_b32 v21, 0 :: v_dual_mov_b32 v27, 0
	;; [unrolled: 1-line block ×7, first 2 shown]
	s_wait_xcnt 0x0
	s_and_saveexec_b32 s13, s0
	s_cbranch_execz .LBB32_28
; %bb.11:
	global_load_u8 v17, v[4:5], off offset:1792
	global_load_u8 v11, v[6:7], off offset:1792
	v_or_b32_e32 v13, 0x800, v0
	v_dual_mov_b32 v18, 0 :: v_dual_mov_b32 v22, 0
	v_dual_mov_b32 v21, 0 :: v_dual_mov_b32 v27, 0
	s_delay_alu instid0(VALU_DEP_3)
	v_cmp_gt_u32_e64 s0, s1, v13
	v_dual_mov_b32 v13, 0 :: v_dual_mov_b32 v20, 0
	v_dual_mov_b32 v26, 0 :: v_dual_mov_b32 v30, 0
	;; [unrolled: 1-line block ×6, first 2 shown]
	s_wait_xcnt 0x0
	s_and_saveexec_b32 s14, s0
	s_cbranch_execz .LBB32_27
; %bb.12:
	global_load_u8 v20, v[4:5], off offset:2048
	global_load_u8 v13, v[6:7], off offset:2048
	v_or_b32_e32 v18, 0x900, v0
	v_dual_mov_b32 v21, 0 :: v_dual_mov_b32 v27, 0
	v_dual_mov_b32 v26, 0 :: v_dual_mov_b32 v30, 0
	s_delay_alu instid0(VALU_DEP_3)
	v_cmp_gt_u32_e64 s0, s1, v18
	v_dual_mov_b32 v18, 0 :: v_dual_mov_b32 v22, 0
	v_dual_mov_b32 v31, 0 :: v_dual_mov_b32 v32, 0
	;; [unrolled: 1-line block ×5, first 2 shown]
	s_wait_xcnt 0x0
	s_and_saveexec_b32 s15, s0
	s_cbranch_execz .LBB32_26
; %bb.13:
	global_load_u8 v22, v[4:5], off offset:2304
	global_load_u8 v18, v[6:7], off offset:2304
	v_or_b32_e32 v21, 0xa00, v0
	v_dual_mov_b32 v26, 0 :: v_dual_mov_b32 v30, 0
	v_dual_mov_b32 v31, 0 :: v_dual_mov_b32 v32, 0
	s_delay_alu instid0(VALU_DEP_3)
	v_cmp_gt_u32_e64 s0, s1, v21
	v_dual_mov_b32 v21, 0 :: v_dual_mov_b32 v27, 0
	v_dual_mov_b32 v33, 0 :: v_dual_mov_b32 v34, 0
	;; [unrolled: 1-line block ×4, first 2 shown]
	s_wait_xcnt 0x0
	s_and_saveexec_b32 s16, s0
	s_cbranch_execz .LBB32_25
; %bb.14:
	global_load_u8 v27, v[4:5], off offset:2560
	global_load_u8 v21, v[6:7], off offset:2560
	v_or_b32_e32 v26, 0xb00, v0
	v_dual_mov_b32 v31, 0 :: v_dual_mov_b32 v32, 0
	v_dual_mov_b32 v33, 0 :: v_dual_mov_b32 v34, 0
	s_delay_alu instid0(VALU_DEP_3)
	v_cmp_gt_u32_e64 s0, s1, v26
	v_dual_mov_b32 v26, 0 :: v_dual_mov_b32 v30, 0
	v_dual_mov_b32 v35, 0 :: v_dual_mov_b32 v36, 0
	;; [unrolled: 1-line block ×3, first 2 shown]
	s_wait_xcnt 0x0
	s_and_saveexec_b32 s17, s0
	s_cbranch_execz .LBB32_24
; %bb.15:
	global_load_u8 v30, v[4:5], off offset:2816
	global_load_u8 v26, v[6:7], off offset:2816
	v_or_b32_e32 v31, 0xc00, v0
	v_dual_mov_b32 v33, 0 :: v_dual_mov_b32 v34, 0
	v_dual_mov_b32 v35, 0 :: v_dual_mov_b32 v36, 0
	s_delay_alu instid0(VALU_DEP_3)
	v_cmp_gt_u32_e64 s0, s1, v31
	v_dual_mov_b32 v31, 0 :: v_dual_mov_b32 v32, 0
	v_dual_mov_b32 v37, 0 :: v_dual_mov_b32 v38, 0
	s_wait_xcnt 0x0
	s_and_saveexec_b32 s18, s0
	s_cbranch_execz .LBB32_23
; %bb.16:
	global_load_u8 v32, v[4:5], off offset:3072
	global_load_u8 v31, v[6:7], off offset:3072
	v_or_b32_e32 v33, 0xd00, v0
	v_dual_mov_b32 v35, 0 :: v_dual_mov_b32 v36, 0
	v_dual_mov_b32 v37, 0 :: v_dual_mov_b32 v38, 0
	s_delay_alu instid0(VALU_DEP_3)
	v_cmp_gt_u32_e64 s0, s1, v33
	v_dual_mov_b32 v33, 0 :: v_dual_mov_b32 v34, 0
	s_wait_xcnt 0x0
	s_and_saveexec_b32 s19, s0
	s_cbranch_execz .LBB32_22
; %bb.17:
	global_load_u8 v34, v[4:5], off offset:3328
	global_load_u8 v33, v[6:7], off offset:3328
	v_or_b32_e32 v35, 0xe00, v0
	v_dual_mov_b32 v37, 0 :: v_dual_mov_b32 v38, 0
	v_mov_b32_e32 v36, 0
	s_delay_alu instid0(VALU_DEP_3)
	v_cmp_gt_u32_e64 s0, s1, v35
	v_mov_b32_e32 v35, 0
	s_wait_xcnt 0x0
	s_and_saveexec_b32 s20, s0
	s_cbranch_execz .LBB32_21
; %bb.18:
	global_load_u8 v36, v[4:5], off offset:3584
	global_load_u8 v35, v[6:7], off offset:3584
	v_or_b32_e32 v37, 0xf00, v0
	v_mov_b32_e32 v38, 0
	s_delay_alu instid0(VALU_DEP_2)
	v_cmp_gt_u32_e64 s0, s1, v37
	v_mov_b32_e32 v37, 0
	s_wait_xcnt 0x0
	s_and_saveexec_b32 s21, s0
	s_cbranch_execz .LBB32_20
; %bb.19:
	global_load_u8 v38, v[4:5], off offset:3840
	global_load_u8 v37, v[6:7], off offset:3840
.LBB32_20:
	s_wait_xcnt 0x0
	s_or_b32 exec_lo, exec_lo, s21
.LBB32_21:
	s_delay_alu instid0(SALU_CYCLE_1)
	s_or_b32 exec_lo, exec_lo, s20
.LBB32_22:
	s_delay_alu instid0(SALU_CYCLE_1)
	s_or_b32 exec_lo, exec_lo, s19
.LBB32_23:
	s_delay_alu instid0(SALU_CYCLE_1)
	s_or_b32 exec_lo, exec_lo, s18
.LBB32_24:
	s_delay_alu instid0(SALU_CYCLE_1)
	s_or_b32 exec_lo, exec_lo, s17
.LBB32_25:
	s_delay_alu instid0(SALU_CYCLE_1)
	s_or_b32 exec_lo, exec_lo, s16
.LBB32_26:
	s_delay_alu instid0(SALU_CYCLE_1)
	s_or_b32 exec_lo, exec_lo, s15
.LBB32_27:
	s_delay_alu instid0(SALU_CYCLE_1)
	s_or_b32 exec_lo, exec_lo, s14
.LBB32_28:
	s_delay_alu instid0(SALU_CYCLE_1)
	s_or_b32 exec_lo, exec_lo, s13
.LBB32_29:
	s_delay_alu instid0(SALU_CYCLE_1)
	s_or_b32 exec_lo, exec_lo, s11
.LBB32_30:
	s_delay_alu instid0(SALU_CYCLE_1)
	s_or_b32 exec_lo, exec_lo, s10
.LBB32_31:
	s_delay_alu instid0(SALU_CYCLE_1)
	s_or_b32 exec_lo, exec_lo, s9
.LBB32_32:
	s_delay_alu instid0(SALU_CYCLE_1)
	s_or_b32 exec_lo, exec_lo, s8
	s_wait_loadcnt 0x0
	v_dual_mov_b32 v4, v3 :: v_dual_mov_b32 v3, v2
.LBB32_33:
	s_or_b32 exec_lo, exec_lo, s12
.LBB32_34:
	s_delay_alu instid0(SALU_CYCLE_1) | instskip(NEXT) | instid1(SALU_CYCLE_1)
	s_or_b32 exec_lo, exec_lo, s4
	s_or_b32 exec_lo, exec_lo, s3
                                        ; implicit-def: $vgpr2
	s_and_saveexec_b32 s0, vcc_lo
	s_cbranch_execz .LBB32_37
	s_branch .LBB32_36
.LBB32_35:
	s_or_b32 exec_lo, exec_lo, s3
                                        ; implicit-def: $vgpr2
	s_and_saveexec_b32 s0, vcc_lo
	s_cbranch_execz .LBB32_37
.LBB32_36:
	s_wait_loadcnt 0x1
	v_mul_lo_u16 v2, v28, s5
	s_wait_loadcnt 0x0
	s_delay_alu instid0(VALU_DEP_1)
	v_mul_lo_u16 v2, v2, v29
.LBB32_37:
	s_or_b32 exec_lo, exec_lo, s0
	s_delay_alu instid0(SALU_CYCLE_1)
	s_mov_b32 s3, exec_lo
                                        ; implicit-def: $vgpr5
	v_cmpx_gt_i32_e64 s1, v8
	s_cbranch_execz .LBB32_39
; %bb.38:
	s_wait_loadcnt 0x1
	v_mul_lo_u16 v5, v25, s5
	s_wait_loadcnt 0x0
	s_delay_alu instid0(VALU_DEP_1)
	v_mul_lo_u16 v5, v5, v24
.LBB32_39:
	s_or_b32 exec_lo, exec_lo, s3
	v_or_b32_e32 v6, 0x200, v0
	s_delay_alu instid0(VALU_DEP_1)
	v_cmp_gt_i32_e64 s0, s1, v6
                                        ; implicit-def: $vgpr6
	s_and_saveexec_b32 s3, s0
; %bb.40:
	v_mul_lo_u16 v6, v23, s5
	s_delay_alu instid0(VALU_DEP_1)
	v_mul_lo_u16 v6, v6, v3
; %bb.41:
	s_or_b32 exec_lo, exec_lo, s3
	v_or_b32_e32 v3, 0x300, v0
	s_delay_alu instid0(VALU_DEP_1)
	v_cmp_gt_i32_e64 s0, s1, v3
                                        ; implicit-def: $vgpr3
	s_and_saveexec_b32 s3, s0
; %bb.42:
	v_mul_lo_u16 v3, v19, s5
	s_delay_alu instid0(VALU_DEP_1)
	v_mul_lo_u16 v3, v3, v4
; %bb.43:
	s_or_b32 exec_lo, exec_lo, s3
	v_or_b32_e32 v4, 0x400, v0
	s_delay_alu instid0(VALU_DEP_1)
	v_cmp_gt_i32_e64 s0, s1, v4
                                        ; implicit-def: $vgpr4
	s_and_saveexec_b32 s3, s0
; %bb.44:
	v_mul_lo_u16 v4, v16, s5
	s_delay_alu instid0(VALU_DEP_1)
	v_mul_lo_u16 v4, v4, v12
; %bb.45:
	s_or_b32 exec_lo, exec_lo, s3
	v_or_b32_e32 v7, 0x500, v0
	s_delay_alu instid0(VALU_DEP_1)
	v_cmp_gt_i32_e64 s0, s1, v7
                                        ; implicit-def: $vgpr7
	s_and_saveexec_b32 s3, s0
; %bb.46:
	v_mul_lo_u16 v7, v14, s5
	s_delay_alu instid0(VALU_DEP_1)
	v_mul_lo_u16 v7, v7, v10
; %bb.47:
	s_or_b32 exec_lo, exec_lo, s3
	v_or_b32_e32 v10, 0x600, v0
	s_delay_alu instid0(VALU_DEP_1)
	v_cmp_gt_i32_e64 s0, s1, v10
                                        ; implicit-def: $vgpr10
	s_and_saveexec_b32 s3, s0
; %bb.48:
	v_mul_lo_u16 v10, v15, s5
	s_delay_alu instid0(VALU_DEP_1)
	v_mul_lo_u16 v10, v10, v9
; %bb.49:
	s_or_b32 exec_lo, exec_lo, s3
	v_or_b32_e32 v9, 0x700, v0
	s_delay_alu instid0(VALU_DEP_1)
	v_cmp_gt_i32_e64 s0, s1, v9
                                        ; implicit-def: $vgpr9
	s_and_saveexec_b32 s3, s0
; %bb.50:
	v_mul_lo_u16 v9, v17, s5
	s_delay_alu instid0(VALU_DEP_1)
	v_mul_lo_u16 v9, v9, v11
; %bb.51:
	s_or_b32 exec_lo, exec_lo, s3
	v_or_b32_e32 v11, 0x800, v0
	s_delay_alu instid0(VALU_DEP_1)
	v_cmp_gt_i32_e64 s0, s1, v11
                                        ; implicit-def: $vgpr11
	s_and_saveexec_b32 s3, s0
; %bb.52:
	v_mul_lo_u16 v11, v20, s5
	s_delay_alu instid0(VALU_DEP_1)
	v_mul_lo_u16 v11, v11, v13
; %bb.53:
	s_or_b32 exec_lo, exec_lo, s3
	v_or_b32_e32 v12, 0x900, v0
	s_delay_alu instid0(VALU_DEP_1)
	v_cmp_gt_i32_e64 s0, s1, v12
                                        ; implicit-def: $vgpr12
	s_and_saveexec_b32 s3, s0
; %bb.54:
	v_mul_lo_u16 v12, v22, s5
	s_delay_alu instid0(VALU_DEP_1)
	v_mul_lo_u16 v12, v12, v18
; %bb.55:
	s_or_b32 exec_lo, exec_lo, s3
	v_or_b32_e32 v13, 0xa00, v0
	s_delay_alu instid0(VALU_DEP_1)
	v_cmp_gt_i32_e64 s0, s1, v13
                                        ; implicit-def: $vgpr13
	s_and_saveexec_b32 s3, s0
; %bb.56:
	v_mul_lo_u16 v13, v27, s5
	s_delay_alu instid0(VALU_DEP_1)
	v_mul_lo_u16 v13, v13, v21
; %bb.57:
	s_or_b32 exec_lo, exec_lo, s3
	v_or_b32_e32 v14, 0xb00, v0
	s_delay_alu instid0(VALU_DEP_1)
	v_cmp_gt_i32_e64 s0, s1, v14
                                        ; implicit-def: $vgpr14
	s_and_saveexec_b32 s3, s0
; %bb.58:
	v_mul_lo_u16 v14, v30, s5
	s_delay_alu instid0(VALU_DEP_1)
	v_mul_lo_u16 v14, v14, v26
; %bb.59:
	s_or_b32 exec_lo, exec_lo, s3
	v_or_b32_e32 v15, 0xc00, v0
	s_delay_alu instid0(VALU_DEP_1)
	v_cmp_gt_i32_e64 s0, s1, v15
                                        ; implicit-def: $vgpr15
	s_and_saveexec_b32 s3, s0
; %bb.60:
	v_mul_lo_u16 v15, v32, s5
	s_delay_alu instid0(VALU_DEP_1)
	v_mul_lo_u16 v15, v15, v31
; %bb.61:
	s_or_b32 exec_lo, exec_lo, s3
	v_or_b32_e32 v16, 0xd00, v0
	s_delay_alu instid0(VALU_DEP_1)
	v_cmp_gt_i32_e64 s0, s1, v16
                                        ; implicit-def: $vgpr16
	s_and_saveexec_b32 s3, s0
; %bb.62:
	v_mul_lo_u16 v16, v34, s5
	s_delay_alu instid0(VALU_DEP_1)
	v_mul_lo_u16 v16, v16, v33
; %bb.63:
	s_or_b32 exec_lo, exec_lo, s3
	v_or_b32_e32 v17, 0xe00, v0
	s_delay_alu instid0(VALU_DEP_1)
	v_cmp_gt_i32_e64 s0, s1, v17
                                        ; implicit-def: $vgpr17
	s_and_saveexec_b32 s3, s0
; %bb.64:
	v_mul_lo_u16 v17, v36, s5
	s_delay_alu instid0(VALU_DEP_1)
	v_mul_lo_u16 v17, v17, v35
; %bb.65:
	s_or_b32 exec_lo, exec_lo, s3
	v_or_b32_e32 v18, 0xf00, v0
	s_delay_alu instid0(VALU_DEP_1)
	v_cmp_gt_i32_e64 s0, s1, v18
                                        ; implicit-def: $vgpr18
	s_and_saveexec_b32 s3, s0
	s_cbranch_execz .LBB32_84
; %bb.66:
	v_mul_lo_u16 v18, v38, s5
	s_delay_alu instid0(VALU_DEP_1) | instskip(SKIP_2) | instid1(SALU_CYCLE_1)
	v_mul_lo_u16 v18, v18, v37
	s_or_b32 exec_lo, exec_lo, s3
	s_and_saveexec_b32 s0, vcc_lo
	s_xor_b32 s0, exec_lo, s0
	s_cbranch_execnz .LBB32_85
.LBB32_67:
	s_or_b32 exec_lo, exec_lo, s0
	s_delay_alu instid0(SALU_CYCLE_1)
	s_mov_b32 s0, exec_lo
	v_cmpx_gt_i32_e64 s1, v0
	s_cbranch_execz .LBB32_86
.LBB32_68:
	v_add_nc_u32_e32 v1, s2, v0
	v_add_nc_u32_e32 v0, 0x100, v0
	global_store_b8 v1, v5, s[6:7]
	s_wait_xcnt 0x0
	s_or_b32 exec_lo, exec_lo, s0
	s_delay_alu instid0(SALU_CYCLE_1)
	s_mov_b32 s0, exec_lo
	v_cmpx_gt_i32_e64 s1, v0
	s_cbranch_execnz .LBB32_87
.LBB32_69:
	s_or_b32 exec_lo, exec_lo, s0
	s_delay_alu instid0(SALU_CYCLE_1)
	s_mov_b32 s0, exec_lo
	v_cmpx_gt_i32_e64 s1, v0
	s_cbranch_execz .LBB32_88
.LBB32_70:
	v_add_nc_u32_e32 v1, s2, v0
	v_add_nc_u32_e32 v0, 0x100, v0
	global_store_b8 v1, v3, s[6:7]
	s_wait_xcnt 0x0
	s_or_b32 exec_lo, exec_lo, s0
	s_delay_alu instid0(SALU_CYCLE_1)
	s_mov_b32 s0, exec_lo
	v_cmpx_gt_i32_e64 s1, v0
	s_cbranch_execnz .LBB32_89
.LBB32_71:
	s_or_b32 exec_lo, exec_lo, s0
	s_delay_alu instid0(SALU_CYCLE_1)
	s_mov_b32 s0, exec_lo
	v_cmpx_gt_i32_e64 s1, v0
	s_cbranch_execz .LBB32_90
.LBB32_72:
	v_add_nc_u32_e32 v1, s2, v0
	v_add_nc_u32_e32 v0, 0x100, v0
	global_store_b8 v1, v7, s[6:7]
	s_wait_xcnt 0x0
	s_or_b32 exec_lo, exec_lo, s0
	s_delay_alu instid0(SALU_CYCLE_1)
	s_mov_b32 s0, exec_lo
	v_cmpx_gt_i32_e64 s1, v0
	s_cbranch_execnz .LBB32_91
.LBB32_73:
	s_or_b32 exec_lo, exec_lo, s0
	s_delay_alu instid0(SALU_CYCLE_1)
	s_mov_b32 s0, exec_lo
	v_cmpx_gt_i32_e64 s1, v0
	s_cbranch_execz .LBB32_92
.LBB32_74:
	v_add_nc_u32_e32 v1, s2, v0
	v_add_nc_u32_e32 v0, 0x100, v0
	global_store_b8 v1, v9, s[6:7]
	s_wait_xcnt 0x0
	s_or_b32 exec_lo, exec_lo, s0
	s_delay_alu instid0(SALU_CYCLE_1)
	s_mov_b32 s0, exec_lo
	v_cmpx_gt_i32_e64 s1, v0
	s_cbranch_execnz .LBB32_93
.LBB32_75:
	s_or_b32 exec_lo, exec_lo, s0
	s_delay_alu instid0(SALU_CYCLE_1)
	s_mov_b32 s0, exec_lo
	v_cmpx_gt_i32_e64 s1, v0
	s_cbranch_execz .LBB32_94
.LBB32_76:
	v_add_nc_u32_e32 v1, s2, v0
	v_add_nc_u32_e32 v0, 0x100, v0
	global_store_b8 v1, v12, s[6:7]
	s_wait_xcnt 0x0
	s_or_b32 exec_lo, exec_lo, s0
	s_delay_alu instid0(SALU_CYCLE_1)
	s_mov_b32 s0, exec_lo
	v_cmpx_gt_i32_e64 s1, v0
	s_cbranch_execnz .LBB32_95
.LBB32_77:
	s_or_b32 exec_lo, exec_lo, s0
	s_delay_alu instid0(SALU_CYCLE_1)
	s_mov_b32 s0, exec_lo
	v_cmpx_gt_i32_e64 s1, v0
	s_cbranch_execz .LBB32_96
.LBB32_78:
	v_add_nc_u32_e32 v1, s2, v0
	v_add_nc_u32_e32 v0, 0x100, v0
	global_store_b8 v1, v14, s[6:7]
	s_wait_xcnt 0x0
	s_or_b32 exec_lo, exec_lo, s0
	s_delay_alu instid0(SALU_CYCLE_1)
	s_mov_b32 s0, exec_lo
	v_cmpx_gt_i32_e64 s1, v0
	s_cbranch_execnz .LBB32_97
.LBB32_79:
	s_or_b32 exec_lo, exec_lo, s0
	s_delay_alu instid0(SALU_CYCLE_1)
	s_mov_b32 s0, exec_lo
	v_cmpx_gt_i32_e64 s1, v0
	s_cbranch_execz .LBB32_98
.LBB32_80:
	v_add_nc_u32_e32 v1, s2, v0
	v_add_nc_u32_e32 v0, 0x100, v0
	global_store_b8 v1, v16, s[6:7]
	s_wait_xcnt 0x0
	s_or_b32 exec_lo, exec_lo, s0
	s_delay_alu instid0(SALU_CYCLE_1)
	s_mov_b32 s0, exec_lo
	v_cmpx_gt_i32_e64 s1, v0
	s_cbranch_execnz .LBB32_99
.LBB32_81:
	s_or_b32 exec_lo, exec_lo, s0
	s_delay_alu instid0(SALU_CYCLE_1)
	s_mov_b32 s0, exec_lo
	v_cmpx_gt_i32_e64 s1, v0
	s_cbranch_execz .LBB32_83
.LBB32_82:
	v_add_nc_u32_e32 v0, s2, v0
	global_store_b8 v0, v18, s[6:7]
.LBB32_83:
	s_endpgm
.LBB32_84:
	s_or_b32 exec_lo, exec_lo, s3
	s_and_saveexec_b32 s0, vcc_lo
	s_delay_alu instid0(SALU_CYCLE_1)
	s_xor_b32 s0, exec_lo, s0
	s_cbranch_execz .LBB32_67
.LBB32_85:
	v_mov_b32_e32 v0, v8
	global_store_b8 v1, v2, s[6:7]
	s_wait_xcnt 0x0
	s_or_b32 exec_lo, exec_lo, s0
	s_delay_alu instid0(SALU_CYCLE_1)
	s_mov_b32 s0, exec_lo
	v_cmpx_gt_i32_e64 s1, v0
	s_cbranch_execnz .LBB32_68
.LBB32_86:
	s_or_b32 exec_lo, exec_lo, s0
	s_delay_alu instid0(SALU_CYCLE_1)
	s_mov_b32 s0, exec_lo
	v_cmpx_gt_i32_e64 s1, v0
	s_cbranch_execz .LBB32_69
.LBB32_87:
	v_add_nc_u32_e32 v1, s2, v0
	v_add_nc_u32_e32 v0, 0x100, v0
	global_store_b8 v1, v6, s[6:7]
	s_wait_xcnt 0x0
	s_or_b32 exec_lo, exec_lo, s0
	s_delay_alu instid0(SALU_CYCLE_1)
	s_mov_b32 s0, exec_lo
	v_cmpx_gt_i32_e64 s1, v0
	s_cbranch_execnz .LBB32_70
.LBB32_88:
	s_or_b32 exec_lo, exec_lo, s0
	s_delay_alu instid0(SALU_CYCLE_1)
	s_mov_b32 s0, exec_lo
	v_cmpx_gt_i32_e64 s1, v0
	s_cbranch_execz .LBB32_71
.LBB32_89:
	v_add_nc_u32_e32 v1, s2, v0
	v_add_nc_u32_e32 v0, 0x100, v0
	global_store_b8 v1, v4, s[6:7]
	s_wait_xcnt 0x0
	s_or_b32 exec_lo, exec_lo, s0
	s_delay_alu instid0(SALU_CYCLE_1)
	s_mov_b32 s0, exec_lo
	v_cmpx_gt_i32_e64 s1, v0
	s_cbranch_execnz .LBB32_72
.LBB32_90:
	s_or_b32 exec_lo, exec_lo, s0
	s_delay_alu instid0(SALU_CYCLE_1)
	s_mov_b32 s0, exec_lo
	v_cmpx_gt_i32_e64 s1, v0
	s_cbranch_execz .LBB32_73
.LBB32_91:
	v_add_nc_u32_e32 v1, s2, v0
	v_add_nc_u32_e32 v0, 0x100, v0
	global_store_b8 v1, v10, s[6:7]
	s_wait_xcnt 0x0
	s_or_b32 exec_lo, exec_lo, s0
	s_delay_alu instid0(SALU_CYCLE_1)
	s_mov_b32 s0, exec_lo
	v_cmpx_gt_i32_e64 s1, v0
	s_cbranch_execnz .LBB32_74
.LBB32_92:
	s_or_b32 exec_lo, exec_lo, s0
	s_delay_alu instid0(SALU_CYCLE_1)
	s_mov_b32 s0, exec_lo
	v_cmpx_gt_i32_e64 s1, v0
	s_cbranch_execz .LBB32_75
.LBB32_93:
	v_add_nc_u32_e32 v1, s2, v0
	v_add_nc_u32_e32 v0, 0x100, v0
	global_store_b8 v1, v11, s[6:7]
	s_wait_xcnt 0x0
	s_or_b32 exec_lo, exec_lo, s0
	s_delay_alu instid0(SALU_CYCLE_1)
	s_mov_b32 s0, exec_lo
	v_cmpx_gt_i32_e64 s1, v0
	s_cbranch_execnz .LBB32_76
.LBB32_94:
	s_or_b32 exec_lo, exec_lo, s0
	s_delay_alu instid0(SALU_CYCLE_1)
	s_mov_b32 s0, exec_lo
	v_cmpx_gt_i32_e64 s1, v0
	s_cbranch_execz .LBB32_77
.LBB32_95:
	v_add_nc_u32_e32 v1, s2, v0
	v_add_nc_u32_e32 v0, 0x100, v0
	global_store_b8 v1, v13, s[6:7]
	s_wait_xcnt 0x0
	s_or_b32 exec_lo, exec_lo, s0
	s_delay_alu instid0(SALU_CYCLE_1)
	s_mov_b32 s0, exec_lo
	v_cmpx_gt_i32_e64 s1, v0
	s_cbranch_execnz .LBB32_78
.LBB32_96:
	s_or_b32 exec_lo, exec_lo, s0
	s_delay_alu instid0(SALU_CYCLE_1)
	s_mov_b32 s0, exec_lo
	v_cmpx_gt_i32_e64 s1, v0
	s_cbranch_execz .LBB32_79
.LBB32_97:
	v_add_nc_u32_e32 v1, s2, v0
	v_add_nc_u32_e32 v0, 0x100, v0
	global_store_b8 v1, v15, s[6:7]
	s_wait_xcnt 0x0
	s_or_b32 exec_lo, exec_lo, s0
	s_delay_alu instid0(SALU_CYCLE_1)
	s_mov_b32 s0, exec_lo
	v_cmpx_gt_i32_e64 s1, v0
	s_cbranch_execnz .LBB32_80
.LBB32_98:
	s_or_b32 exec_lo, exec_lo, s0
	s_delay_alu instid0(SALU_CYCLE_1)
	s_mov_b32 s0, exec_lo
	v_cmpx_gt_i32_e64 s1, v0
	s_cbranch_execz .LBB32_81
.LBB32_99:
	v_add_nc_u32_e32 v1, s2, v0
	v_add_nc_u32_e32 v0, 0x100, v0
	global_store_b8 v1, v17, s[6:7]
	s_wait_xcnt 0x0
	s_or_b32 exec_lo, exec_lo, s0
	s_delay_alu instid0(SALU_CYCLE_1)
	s_mov_b32 s0, exec_lo
	v_cmpx_gt_i32_e64 s1, v0
	s_cbranch_execnz .LBB32_82
	s_branch .LBB32_83
	.section	.rodata,"a",@progbits
	.p2align	6, 0x0
	.amdhsa_kernel _ZN2at6native29vectorized_elementwise_kernelILi16EZZZNS0_12_GLOBAL__N_116addr_kernel_cudaERNS_14TensorIteratorERKN3c106ScalarES8_ENKUlvE_clEvENKUlvE0_clEvEUlaaaE_St5arrayIPcLm4EEEEviT0_T1_
		.amdhsa_group_segment_fixed_size 0
		.amdhsa_private_segment_fixed_size 0
		.amdhsa_kernarg_size 40
		.amdhsa_user_sgpr_count 2
		.amdhsa_user_sgpr_dispatch_ptr 0
		.amdhsa_user_sgpr_queue_ptr 0
		.amdhsa_user_sgpr_kernarg_segment_ptr 1
		.amdhsa_user_sgpr_dispatch_id 0
		.amdhsa_user_sgpr_kernarg_preload_length 0
		.amdhsa_user_sgpr_kernarg_preload_offset 0
		.amdhsa_user_sgpr_private_segment_size 0
		.amdhsa_wavefront_size32 1
		.amdhsa_uses_dynamic_stack 0
		.amdhsa_enable_private_segment 0
		.amdhsa_system_sgpr_workgroup_id_x 1
		.amdhsa_system_sgpr_workgroup_id_y 0
		.amdhsa_system_sgpr_workgroup_id_z 0
		.amdhsa_system_sgpr_workgroup_info 0
		.amdhsa_system_vgpr_workitem_id 0
		.amdhsa_next_free_vgpr 39
		.amdhsa_next_free_sgpr 22
		.amdhsa_named_barrier_count 0
		.amdhsa_reserve_vcc 1
		.amdhsa_float_round_mode_32 0
		.amdhsa_float_round_mode_16_64 0
		.amdhsa_float_denorm_mode_32 3
		.amdhsa_float_denorm_mode_16_64 3
		.amdhsa_fp16_overflow 0
		.amdhsa_memory_ordered 1
		.amdhsa_forward_progress 1
		.amdhsa_inst_pref_size 41
		.amdhsa_round_robin_scheduling 0
		.amdhsa_exception_fp_ieee_invalid_op 0
		.amdhsa_exception_fp_denorm_src 0
		.amdhsa_exception_fp_ieee_div_zero 0
		.amdhsa_exception_fp_ieee_overflow 0
		.amdhsa_exception_fp_ieee_underflow 0
		.amdhsa_exception_fp_ieee_inexact 0
		.amdhsa_exception_int_div_zero 0
	.end_amdhsa_kernel
	.section	.text._ZN2at6native29vectorized_elementwise_kernelILi16EZZZNS0_12_GLOBAL__N_116addr_kernel_cudaERNS_14TensorIteratorERKN3c106ScalarES8_ENKUlvE_clEvENKUlvE0_clEvEUlaaaE_St5arrayIPcLm4EEEEviT0_T1_,"axG",@progbits,_ZN2at6native29vectorized_elementwise_kernelILi16EZZZNS0_12_GLOBAL__N_116addr_kernel_cudaERNS_14TensorIteratorERKN3c106ScalarES8_ENKUlvE_clEvENKUlvE0_clEvEUlaaaE_St5arrayIPcLm4EEEEviT0_T1_,comdat
.Lfunc_end32:
	.size	_ZN2at6native29vectorized_elementwise_kernelILi16EZZZNS0_12_GLOBAL__N_116addr_kernel_cudaERNS_14TensorIteratorERKN3c106ScalarES8_ENKUlvE_clEvENKUlvE0_clEvEUlaaaE_St5arrayIPcLm4EEEEviT0_T1_, .Lfunc_end32-_ZN2at6native29vectorized_elementwise_kernelILi16EZZZNS0_12_GLOBAL__N_116addr_kernel_cudaERNS_14TensorIteratorERKN3c106ScalarES8_ENKUlvE_clEvENKUlvE0_clEvEUlaaaE_St5arrayIPcLm4EEEEviT0_T1_
                                        ; -- End function
	.set _ZN2at6native29vectorized_elementwise_kernelILi16EZZZNS0_12_GLOBAL__N_116addr_kernel_cudaERNS_14TensorIteratorERKN3c106ScalarES8_ENKUlvE_clEvENKUlvE0_clEvEUlaaaE_St5arrayIPcLm4EEEEviT0_T1_.num_vgpr, 39
	.set _ZN2at6native29vectorized_elementwise_kernelILi16EZZZNS0_12_GLOBAL__N_116addr_kernel_cudaERNS_14TensorIteratorERKN3c106ScalarES8_ENKUlvE_clEvENKUlvE0_clEvEUlaaaE_St5arrayIPcLm4EEEEviT0_T1_.num_agpr, 0
	.set _ZN2at6native29vectorized_elementwise_kernelILi16EZZZNS0_12_GLOBAL__N_116addr_kernel_cudaERNS_14TensorIteratorERKN3c106ScalarES8_ENKUlvE_clEvENKUlvE0_clEvEUlaaaE_St5arrayIPcLm4EEEEviT0_T1_.numbered_sgpr, 22
	.set _ZN2at6native29vectorized_elementwise_kernelILi16EZZZNS0_12_GLOBAL__N_116addr_kernel_cudaERNS_14TensorIteratorERKN3c106ScalarES8_ENKUlvE_clEvENKUlvE0_clEvEUlaaaE_St5arrayIPcLm4EEEEviT0_T1_.num_named_barrier, 0
	.set _ZN2at6native29vectorized_elementwise_kernelILi16EZZZNS0_12_GLOBAL__N_116addr_kernel_cudaERNS_14TensorIteratorERKN3c106ScalarES8_ENKUlvE_clEvENKUlvE0_clEvEUlaaaE_St5arrayIPcLm4EEEEviT0_T1_.private_seg_size, 0
	.set _ZN2at6native29vectorized_elementwise_kernelILi16EZZZNS0_12_GLOBAL__N_116addr_kernel_cudaERNS_14TensorIteratorERKN3c106ScalarES8_ENKUlvE_clEvENKUlvE0_clEvEUlaaaE_St5arrayIPcLm4EEEEviT0_T1_.uses_vcc, 1
	.set _ZN2at6native29vectorized_elementwise_kernelILi16EZZZNS0_12_GLOBAL__N_116addr_kernel_cudaERNS_14TensorIteratorERKN3c106ScalarES8_ENKUlvE_clEvENKUlvE0_clEvEUlaaaE_St5arrayIPcLm4EEEEviT0_T1_.uses_flat_scratch, 0
	.set _ZN2at6native29vectorized_elementwise_kernelILi16EZZZNS0_12_GLOBAL__N_116addr_kernel_cudaERNS_14TensorIteratorERKN3c106ScalarES8_ENKUlvE_clEvENKUlvE0_clEvEUlaaaE_St5arrayIPcLm4EEEEviT0_T1_.has_dyn_sized_stack, 0
	.set _ZN2at6native29vectorized_elementwise_kernelILi16EZZZNS0_12_GLOBAL__N_116addr_kernel_cudaERNS_14TensorIteratorERKN3c106ScalarES8_ENKUlvE_clEvENKUlvE0_clEvEUlaaaE_St5arrayIPcLm4EEEEviT0_T1_.has_recursion, 0
	.set _ZN2at6native29vectorized_elementwise_kernelILi16EZZZNS0_12_GLOBAL__N_116addr_kernel_cudaERNS_14TensorIteratorERKN3c106ScalarES8_ENKUlvE_clEvENKUlvE0_clEvEUlaaaE_St5arrayIPcLm4EEEEviT0_T1_.has_indirect_call, 0
	.section	.AMDGPU.csdata,"",@progbits
; Kernel info:
; codeLenInByte = 5152
; TotalNumSgprs: 24
; NumVgprs: 39
; ScratchSize: 0
; MemoryBound: 0
; FloatMode: 240
; IeeeMode: 1
; LDSByteSize: 0 bytes/workgroup (compile time only)
; SGPRBlocks: 0
; VGPRBlocks: 2
; NumSGPRsForWavesPerEU: 24
; NumVGPRsForWavesPerEU: 39
; NamedBarCnt: 0
; Occupancy: 16
; WaveLimiterHint : 0
; COMPUTE_PGM_RSRC2:SCRATCH_EN: 0
; COMPUTE_PGM_RSRC2:USER_SGPR: 2
; COMPUTE_PGM_RSRC2:TRAP_HANDLER: 0
; COMPUTE_PGM_RSRC2:TGID_X_EN: 1
; COMPUTE_PGM_RSRC2:TGID_Y_EN: 0
; COMPUTE_PGM_RSRC2:TGID_Z_EN: 0
; COMPUTE_PGM_RSRC2:TIDIG_COMP_CNT: 0
	.section	.text._ZN2at6native29vectorized_elementwise_kernelILi8EZZZNS0_12_GLOBAL__N_116addr_kernel_cudaERNS_14TensorIteratorERKN3c106ScalarES8_ENKUlvE_clEvENKUlvE0_clEvEUlaaaE_St5arrayIPcLm4EEEEviT0_T1_,"axG",@progbits,_ZN2at6native29vectorized_elementwise_kernelILi8EZZZNS0_12_GLOBAL__N_116addr_kernel_cudaERNS_14TensorIteratorERKN3c106ScalarES8_ENKUlvE_clEvENKUlvE0_clEvEUlaaaE_St5arrayIPcLm4EEEEviT0_T1_,comdat
	.globl	_ZN2at6native29vectorized_elementwise_kernelILi8EZZZNS0_12_GLOBAL__N_116addr_kernel_cudaERNS_14TensorIteratorERKN3c106ScalarES8_ENKUlvE_clEvENKUlvE0_clEvEUlaaaE_St5arrayIPcLm4EEEEviT0_T1_ ; -- Begin function _ZN2at6native29vectorized_elementwise_kernelILi8EZZZNS0_12_GLOBAL__N_116addr_kernel_cudaERNS_14TensorIteratorERKN3c106ScalarES8_ENKUlvE_clEvENKUlvE0_clEvEUlaaaE_St5arrayIPcLm4EEEEviT0_T1_
	.p2align	8
	.type	_ZN2at6native29vectorized_elementwise_kernelILi8EZZZNS0_12_GLOBAL__N_116addr_kernel_cudaERNS_14TensorIteratorERKN3c106ScalarES8_ENKUlvE_clEvENKUlvE0_clEvEUlaaaE_St5arrayIPcLm4EEEEviT0_T1_,@function
_ZN2at6native29vectorized_elementwise_kernelILi8EZZZNS0_12_GLOBAL__N_116addr_kernel_cudaERNS_14TensorIteratorERKN3c106ScalarES8_ENKUlvE_clEvENKUlvE0_clEvEUlaaaE_St5arrayIPcLm4EEEEviT0_T1_: ; @_ZN2at6native29vectorized_elementwise_kernelILi8EZZZNS0_12_GLOBAL__N_116addr_kernel_cudaERNS_14TensorIteratorERKN3c106ScalarES8_ENKUlvE_clEvENKUlvE0_clEvEUlaaaE_St5arrayIPcLm4EEEEviT0_T1_
; %bb.0:
	s_clause 0x1
	s_load_b128 s[4:7], s[0:1], 0x0
	s_load_b128 s[8:11], s[0:1], 0x18
	s_wait_xcnt 0x0
	s_bfe_u32 s0, ttmp6, 0x4000c
	s_and_b32 s1, ttmp6, 15
	s_add_co_i32 s0, s0, 1
	s_getreg_b32 s2, hwreg(HW_REG_IB_STS2, 6, 4)
	s_mul_i32 s0, ttmp9, s0
	s_delay_alu instid0(SALU_CYCLE_1) | instskip(SKIP_2) | instid1(SALU_CYCLE_1)
	s_add_co_i32 s1, s1, s0
	s_cmp_eq_u32 s2, 0
	s_cselect_b32 s0, ttmp9, s1
	s_lshl_b32 s2, s0, 12
	s_mov_b32 s0, -1
	s_wait_kmcnt 0x0
	s_sub_co_i32 s1, s4, s2
	s_delay_alu instid0(SALU_CYCLE_1)
	s_cmp_gt_i32 s1, 0xfff
	s_cbranch_scc0 .LBB33_2
; %bb.1:
	s_ashr_i32 s3, s2, 31
	s_mov_b32 s0, 0
	s_add_nc_u64 s[12:13], s[8:9], s[2:3]
	s_clause 0x1
	global_load_b64 v[2:3], v0, s[12:13] scale_offset
	global_load_b64 v[4:5], v0, s[12:13] offset:2048 scale_offset
	s_wait_xcnt 0x0
	s_add_nc_u64 s[12:13], s[10:11], s[2:3]
	s_clause 0x1
	global_load_b64 v[6:7], v0, s[12:13] scale_offset
	global_load_b64 v[8:9], v0, s[12:13] offset:2048 scale_offset
	s_wait_xcnt 0x0
	s_add_nc_u64 s[12:13], s[6:7], s[2:3]
	s_wait_loadcnt 0x3
	v_dual_lshrrev_b32 v1, 8, v2 :: v_dual_lshrrev_b32 v10, 16, v2
	v_dual_lshrrev_b32 v11, 24, v2 :: v_dual_lshrrev_b32 v12, 8, v3
	;; [unrolled: 1-line block ×3, first 2 shown]
	v_mul_lo_u16 v2, s5, v2
	v_mul_lo_u16 v3, s5, v3
	s_wait_loadcnt 0x2
	v_dual_lshrrev_b32 v15, 8, v4 :: v_dual_lshrrev_b32 v16, 16, v4
	v_dual_lshrrev_b32 v17, 24, v4 :: v_dual_lshrrev_b32 v18, 8, v5
	;; [unrolled: 1-line block ×3, first 2 shown]
	v_mul_lo_u16 v4, s5, v4
	s_wait_loadcnt 0x1
	v_dual_lshrrev_b32 v21, 8, v6 :: v_dual_lshrrev_b32 v22, 16, v6
	v_dual_lshrrev_b32 v23, 24, v6 :: v_dual_lshrrev_b32 v24, 8, v7
	;; [unrolled: 1-line block ×3, first 2 shown]
	v_mul_lo_u16 v2, v2, v6
	v_mul_lo_u16 v1, s5, v1
	;; [unrolled: 1-line block ×7, first 2 shown]
	s_wait_loadcnt 0x0
	v_dual_lshrrev_b32 v27, 8, v8 :: v_dual_lshrrev_b32 v28, 16, v8
	v_dual_lshrrev_b32 v29, 24, v8 :: v_dual_lshrrev_b32 v30, 8, v9
	;; [unrolled: 1-line block ×3, first 2 shown]
	v_mul_lo_u16 v5, s5, v5
	v_mul_lo_u16 v4, v4, v8
	;; [unrolled: 1-line block ×19, first 2 shown]
	v_and_b32_e32 v1, 0xff, v1
	v_and_b32_e32 v6, 0xff, v6
	;; [unrolled: 1-line block ×4, first 2 shown]
	v_mul_lo_u16 v14, v14, v29
	v_mul_lo_u16 v9, v9, v30
	;; [unrolled: 1-line block ×3, first 2 shown]
	v_and_b32_e32 v8, 0xff, v8
	v_and_b32_e32 v13, 0xff, v13
	;; [unrolled: 1-line block ×3, first 2 shown]
	v_dual_lshlrev_b32 v10, 24, v10 :: v_dual_lshlrev_b32 v12, 24, v12
	v_perm_b32 v1, v1, v2, 0x6050400
	v_dual_lshlrev_b32 v2, 16, v6 :: v_dual_lshlrev_b32 v6, 8, v7
	v_dual_lshlrev_b32 v7, 16, v11 :: v_dual_lshlrev_b32 v11, 16, v13
	;; [unrolled: 1-line block ×3, first 2 shown]
	v_and_b32_e32 v9, 0xff, v9
	v_perm_b32 v4, v8, v4, 0x6050400
	v_lshlrev_b32_e32 v8, 16, v15
	v_and_b32_e32 v3, 0xff, v3
	v_or_b32_e32 v7, v12, v7
	v_or3_b32 v1, v1, v2, v10
	v_and_b32_e32 v5, 0xff, v5
	v_dual_lshlrev_b32 v9, 8, v9 :: v_dual_bitop2_b32 v8, v16, v8 bitop3:0x54
	v_or3_b32 v4, v4, v11, v14
	v_or3_b32 v3, v3, v6, v7
	;; [unrolled: 1-line block ×3, first 2 shown]
	s_delay_alu instid0(VALU_DEP_4) | instskip(NEXT) | instid1(VALU_DEP_4)
	v_or3_b32 v5, v5, v9, v8
	v_or3_b32 v4, v4, 0, 0
	s_clause 0x1
	global_store_b64 v0, v[2:3], s[12:13] scale_offset
	global_store_b64 v0, v[4:5], s[12:13] offset:2048 scale_offset
.LBB33_2:
	s_and_not1_b32 vcc_lo, exec_lo, s0
	s_cbranch_vccnz .LBB33_83
; %bb.3:
	v_cmp_gt_i32_e32 vcc_lo, s1, v0
	v_dual_mov_b32 v38, 0 :: v_dual_bitop2_b32 v1, s2, v0 bitop3:0x54
	v_or_b32_e32 v8, 0x100, v0
	v_dual_mov_b32 v37, 0 :: v_dual_mov_b32 v36, 0
	v_dual_mov_b32 v35, 0 :: v_dual_mov_b32 v34, 0
	;; [unrolled: 1-line block ×12, first 2 shown]
	s_wait_xcnt 0x0
	v_dual_mov_b32 v4, 0 :: v_dual_mov_b32 v23, 0
	v_dual_mov_b32 v3, 0 :: v_dual_mov_b32 v25, 0
	v_dual_mov_b32 v24, 0 :: v_dual_mov_b32 v28, 0
	v_mov_b32_e32 v29, 0
	s_and_saveexec_b32 s3, vcc_lo
	s_cbranch_execz .LBB33_35
; %bb.4:
	s_clause 0x1
	global_load_u8 v28, v1, s[8:9]
	global_load_u8 v29, v1, s[10:11]
	v_or_b32_e32 v2, 0x100, v0
	v_dual_mov_b32 v24, 0 :: v_dual_mov_b32 v25, 0
	v_dual_mov_b32 v3, 0 :: v_dual_mov_b32 v23, 0
	s_delay_alu instid0(VALU_DEP_3)
	v_cmp_gt_u32_e64 s0, s1, v2
	v_dual_mov_b32 v4, 0 :: v_dual_mov_b32 v19, 0
	v_dual_mov_b32 v12, 0 :: v_dual_mov_b32 v16, 0
	;; [unrolled: 1-line block ×13, first 2 shown]
	s_wait_xcnt 0x0
	s_and_saveexec_b32 s4, s0
	s_cbranch_execz .LBB33_34
; %bb.5:
	v_dual_mov_b32 v3, 0 :: v_dual_add_nc_u32 v2, s2, v0
	v_or_b32_e32 v4, 0x200, v0
	v_dual_mov_b32 v23, 0 :: v_dual_mov_b32 v19, 0
	v_mov_b32_e32 v12, 0
	s_clause 0x1
	global_load_u8 v25, v2, s[8:9] offset:256
	global_load_u8 v24, v2, s[10:11] offset:256
	v_cmp_gt_u32_e64 s0, s1, v4
	v_dual_mov_b32 v4, 0 :: v_dual_mov_b32 v16, 0
	v_dual_mov_b32 v10, 0 :: v_dual_mov_b32 v14, 0
	;; [unrolled: 1-line block ×12, first 2 shown]
	s_wait_xcnt 0x0
	s_and_saveexec_b32 s12, s0
	s_cbranch_execz .LBB33_33
; %bb.6:
	v_add_nc_u64_e32 v[4:5], s[8:9], v[2:3]
	v_add_nc_u64_e32 v[6:7], s[10:11], v[2:3]
	v_or_b32_e32 v9, 0x300, v0
	v_dual_mov_b32 v19, 0 :: v_dual_mov_b32 v12, 0
	v_dual_mov_b32 v16, 0 :: v_dual_mov_b32 v10, 0
	global_load_u8 v23, v[4:5], off offset:512
	global_load_u8 v2, v[6:7], off offset:512
	v_cmp_gt_u32_e64 s0, s1, v9
	v_dual_mov_b32 v14, 0 :: v_dual_mov_b32 v9, 0
	v_dual_mov_b32 v15, 0 :: v_dual_mov_b32 v11, 0
	v_dual_mov_b32 v17, 0 :: v_dual_mov_b32 v13, 0
	v_dual_mov_b32 v20, 0 :: v_dual_mov_b32 v18, 0
	v_dual_mov_b32 v22, 0 :: v_dual_mov_b32 v21, 0
	v_dual_mov_b32 v27, 0 :: v_dual_mov_b32 v26, 0
	v_dual_mov_b32 v30, 0 :: v_dual_mov_b32 v31, 0
	v_dual_mov_b32 v32, 0 :: v_dual_mov_b32 v33, 0
	v_dual_mov_b32 v34, 0 :: v_dual_mov_b32 v35, 0
	v_dual_mov_b32 v36, 0 :: v_dual_mov_b32 v37, 0
	v_mov_b32_e32 v38, 0
	s_wait_xcnt 0x0
	s_and_saveexec_b32 s8, s0
	s_cbranch_execz .LBB33_32
; %bb.7:
	global_load_u8 v19, v[4:5], off offset:768
	global_load_u8 v3, v[6:7], off offset:768
	v_or_b32_e32 v9, 0x400, v0
	v_dual_mov_b32 v12, 0 :: v_dual_mov_b32 v16, 0
	v_dual_mov_b32 v10, 0 :: v_dual_mov_b32 v14, 0
	s_delay_alu instid0(VALU_DEP_3)
	v_cmp_gt_u32_e64 s0, s1, v9
	v_dual_mov_b32 v9, 0 :: v_dual_mov_b32 v15, 0
	v_dual_mov_b32 v11, 0 :: v_dual_mov_b32 v17, 0
	;; [unrolled: 1-line block ×10, first 2 shown]
	s_wait_xcnt 0x0
	s_and_saveexec_b32 s9, s0
	s_cbranch_execz .LBB33_31
; %bb.8:
	global_load_u8 v16, v[4:5], off offset:1024
	global_load_u8 v12, v[6:7], off offset:1024
	v_or_b32_e32 v9, 0x500, v0
	v_dual_mov_b32 v10, 0 :: v_dual_mov_b32 v14, 0
	v_dual_mov_b32 v11, 0 :: v_dual_mov_b32 v17, 0
	s_delay_alu instid0(VALU_DEP_3)
	v_cmp_gt_u32_e64 s0, s1, v9
	v_dual_mov_b32 v9, 0 :: v_dual_mov_b32 v15, 0
	v_dual_mov_b32 v13, 0 :: v_dual_mov_b32 v20, 0
	;; [unrolled: 1-line block ×9, first 2 shown]
	s_wait_xcnt 0x0
	s_and_saveexec_b32 s10, s0
	s_cbranch_execz .LBB33_30
; %bb.9:
	global_load_u8 v14, v[4:5], off offset:1280
	global_load_u8 v10, v[6:7], off offset:1280
	v_or_b32_e32 v9, 0x600, v0
	v_dual_mov_b32 v11, 0 :: v_dual_mov_b32 v17, 0
	v_dual_mov_b32 v13, 0 :: v_dual_mov_b32 v20, 0
	s_delay_alu instid0(VALU_DEP_3)
	v_cmp_gt_u32_e64 s0, s1, v9
	v_dual_mov_b32 v9, 0 :: v_dual_mov_b32 v15, 0
	v_dual_mov_b32 v18, 0 :: v_dual_mov_b32 v22, 0
	;; [unrolled: 1-line block ×8, first 2 shown]
	s_wait_xcnt 0x0
	s_and_saveexec_b32 s11, s0
	s_cbranch_execz .LBB33_29
; %bb.10:
	global_load_u8 v15, v[4:5], off offset:1536
	global_load_u8 v9, v[6:7], off offset:1536
	v_or_b32_e32 v11, 0x700, v0
	v_dual_mov_b32 v13, 0 :: v_dual_mov_b32 v20, 0
	v_dual_mov_b32 v18, 0 :: v_dual_mov_b32 v22, 0
	s_delay_alu instid0(VALU_DEP_3)
	v_cmp_gt_u32_e64 s0, s1, v11
	v_dual_mov_b32 v11, 0 :: v_dual_mov_b32 v17, 0
	v_dual_mov_b32 v21, 0 :: v_dual_mov_b32 v27, 0
	v_dual_mov_b32 v26, 0 :: v_dual_mov_b32 v30, 0
	v_dual_mov_b32 v31, 0 :: v_dual_mov_b32 v32, 0
	v_dual_mov_b32 v33, 0 :: v_dual_mov_b32 v34, 0
	v_dual_mov_b32 v35, 0 :: v_dual_mov_b32 v36, 0
	v_dual_mov_b32 v37, 0 :: v_dual_mov_b32 v38, 0
	s_wait_xcnt 0x0
	s_and_saveexec_b32 s13, s0
	s_cbranch_execz .LBB33_28
; %bb.11:
	global_load_u8 v17, v[4:5], off offset:1792
	global_load_u8 v11, v[6:7], off offset:1792
	v_or_b32_e32 v13, 0x800, v0
	v_dual_mov_b32 v18, 0 :: v_dual_mov_b32 v22, 0
	v_dual_mov_b32 v21, 0 :: v_dual_mov_b32 v27, 0
	s_delay_alu instid0(VALU_DEP_3)
	v_cmp_gt_u32_e64 s0, s1, v13
	v_dual_mov_b32 v13, 0 :: v_dual_mov_b32 v20, 0
	v_dual_mov_b32 v26, 0 :: v_dual_mov_b32 v30, 0
	;; [unrolled: 1-line block ×6, first 2 shown]
	s_wait_xcnt 0x0
	s_and_saveexec_b32 s14, s0
	s_cbranch_execz .LBB33_27
; %bb.12:
	global_load_u8 v20, v[4:5], off offset:2048
	global_load_u8 v13, v[6:7], off offset:2048
	v_or_b32_e32 v18, 0x900, v0
	v_dual_mov_b32 v21, 0 :: v_dual_mov_b32 v27, 0
	v_dual_mov_b32 v26, 0 :: v_dual_mov_b32 v30, 0
	s_delay_alu instid0(VALU_DEP_3)
	v_cmp_gt_u32_e64 s0, s1, v18
	v_dual_mov_b32 v18, 0 :: v_dual_mov_b32 v22, 0
	v_dual_mov_b32 v31, 0 :: v_dual_mov_b32 v32, 0
	;; [unrolled: 1-line block ×5, first 2 shown]
	s_wait_xcnt 0x0
	s_and_saveexec_b32 s15, s0
	s_cbranch_execz .LBB33_26
; %bb.13:
	global_load_u8 v22, v[4:5], off offset:2304
	global_load_u8 v18, v[6:7], off offset:2304
	v_or_b32_e32 v21, 0xa00, v0
	v_dual_mov_b32 v26, 0 :: v_dual_mov_b32 v30, 0
	v_dual_mov_b32 v31, 0 :: v_dual_mov_b32 v32, 0
	s_delay_alu instid0(VALU_DEP_3)
	v_cmp_gt_u32_e64 s0, s1, v21
	v_dual_mov_b32 v21, 0 :: v_dual_mov_b32 v27, 0
	v_dual_mov_b32 v33, 0 :: v_dual_mov_b32 v34, 0
	;; [unrolled: 1-line block ×4, first 2 shown]
	s_wait_xcnt 0x0
	s_and_saveexec_b32 s16, s0
	s_cbranch_execz .LBB33_25
; %bb.14:
	global_load_u8 v27, v[4:5], off offset:2560
	global_load_u8 v21, v[6:7], off offset:2560
	v_or_b32_e32 v26, 0xb00, v0
	v_dual_mov_b32 v31, 0 :: v_dual_mov_b32 v32, 0
	v_dual_mov_b32 v33, 0 :: v_dual_mov_b32 v34, 0
	s_delay_alu instid0(VALU_DEP_3)
	v_cmp_gt_u32_e64 s0, s1, v26
	v_dual_mov_b32 v26, 0 :: v_dual_mov_b32 v30, 0
	v_dual_mov_b32 v35, 0 :: v_dual_mov_b32 v36, 0
	;; [unrolled: 1-line block ×3, first 2 shown]
	s_wait_xcnt 0x0
	s_and_saveexec_b32 s17, s0
	s_cbranch_execz .LBB33_24
; %bb.15:
	global_load_u8 v30, v[4:5], off offset:2816
	global_load_u8 v26, v[6:7], off offset:2816
	v_or_b32_e32 v31, 0xc00, v0
	v_dual_mov_b32 v33, 0 :: v_dual_mov_b32 v34, 0
	v_dual_mov_b32 v35, 0 :: v_dual_mov_b32 v36, 0
	s_delay_alu instid0(VALU_DEP_3)
	v_cmp_gt_u32_e64 s0, s1, v31
	v_dual_mov_b32 v31, 0 :: v_dual_mov_b32 v32, 0
	v_dual_mov_b32 v37, 0 :: v_dual_mov_b32 v38, 0
	s_wait_xcnt 0x0
	s_and_saveexec_b32 s18, s0
	s_cbranch_execz .LBB33_23
; %bb.16:
	global_load_u8 v32, v[4:5], off offset:3072
	global_load_u8 v31, v[6:7], off offset:3072
	v_or_b32_e32 v33, 0xd00, v0
	v_dual_mov_b32 v35, 0 :: v_dual_mov_b32 v36, 0
	v_dual_mov_b32 v37, 0 :: v_dual_mov_b32 v38, 0
	s_delay_alu instid0(VALU_DEP_3)
	v_cmp_gt_u32_e64 s0, s1, v33
	v_dual_mov_b32 v33, 0 :: v_dual_mov_b32 v34, 0
	s_wait_xcnt 0x0
	s_and_saveexec_b32 s19, s0
	s_cbranch_execz .LBB33_22
; %bb.17:
	global_load_u8 v34, v[4:5], off offset:3328
	global_load_u8 v33, v[6:7], off offset:3328
	v_or_b32_e32 v35, 0xe00, v0
	v_dual_mov_b32 v37, 0 :: v_dual_mov_b32 v38, 0
	v_mov_b32_e32 v36, 0
	s_delay_alu instid0(VALU_DEP_3)
	v_cmp_gt_u32_e64 s0, s1, v35
	v_mov_b32_e32 v35, 0
	s_wait_xcnt 0x0
	s_and_saveexec_b32 s20, s0
	s_cbranch_execz .LBB33_21
; %bb.18:
	global_load_u8 v36, v[4:5], off offset:3584
	global_load_u8 v35, v[6:7], off offset:3584
	v_or_b32_e32 v37, 0xf00, v0
	v_mov_b32_e32 v38, 0
	s_delay_alu instid0(VALU_DEP_2)
	v_cmp_gt_u32_e64 s0, s1, v37
	v_mov_b32_e32 v37, 0
	s_wait_xcnt 0x0
	s_and_saveexec_b32 s21, s0
	s_cbranch_execz .LBB33_20
; %bb.19:
	global_load_u8 v38, v[4:5], off offset:3840
	global_load_u8 v37, v[6:7], off offset:3840
.LBB33_20:
	s_wait_xcnt 0x0
	s_or_b32 exec_lo, exec_lo, s21
.LBB33_21:
	s_delay_alu instid0(SALU_CYCLE_1)
	s_or_b32 exec_lo, exec_lo, s20
.LBB33_22:
	s_delay_alu instid0(SALU_CYCLE_1)
	s_or_b32 exec_lo, exec_lo, s19
.LBB33_23:
	s_delay_alu instid0(SALU_CYCLE_1)
	s_or_b32 exec_lo, exec_lo, s18
.LBB33_24:
	s_delay_alu instid0(SALU_CYCLE_1)
	s_or_b32 exec_lo, exec_lo, s17
.LBB33_25:
	s_delay_alu instid0(SALU_CYCLE_1)
	s_or_b32 exec_lo, exec_lo, s16
.LBB33_26:
	s_delay_alu instid0(SALU_CYCLE_1)
	s_or_b32 exec_lo, exec_lo, s15
.LBB33_27:
	s_delay_alu instid0(SALU_CYCLE_1)
	s_or_b32 exec_lo, exec_lo, s14
.LBB33_28:
	s_delay_alu instid0(SALU_CYCLE_1)
	s_or_b32 exec_lo, exec_lo, s13
.LBB33_29:
	s_delay_alu instid0(SALU_CYCLE_1)
	s_or_b32 exec_lo, exec_lo, s11
.LBB33_30:
	s_delay_alu instid0(SALU_CYCLE_1)
	s_or_b32 exec_lo, exec_lo, s10
.LBB33_31:
	s_delay_alu instid0(SALU_CYCLE_1)
	s_or_b32 exec_lo, exec_lo, s9
.LBB33_32:
	s_delay_alu instid0(SALU_CYCLE_1)
	s_or_b32 exec_lo, exec_lo, s8
	s_wait_loadcnt 0x0
	v_dual_mov_b32 v4, v3 :: v_dual_mov_b32 v3, v2
.LBB33_33:
	s_or_b32 exec_lo, exec_lo, s12
.LBB33_34:
	s_delay_alu instid0(SALU_CYCLE_1) | instskip(NEXT) | instid1(SALU_CYCLE_1)
	s_or_b32 exec_lo, exec_lo, s4
	s_or_b32 exec_lo, exec_lo, s3
                                        ; implicit-def: $vgpr2
	s_and_saveexec_b32 s0, vcc_lo
	s_cbranch_execz .LBB33_37
	s_branch .LBB33_36
.LBB33_35:
	s_or_b32 exec_lo, exec_lo, s3
                                        ; implicit-def: $vgpr2
	s_and_saveexec_b32 s0, vcc_lo
	s_cbranch_execz .LBB33_37
.LBB33_36:
	s_wait_loadcnt 0x1
	v_mul_lo_u16 v2, v28, s5
	s_wait_loadcnt 0x0
	s_delay_alu instid0(VALU_DEP_1)
	v_mul_lo_u16 v2, v2, v29
.LBB33_37:
	s_or_b32 exec_lo, exec_lo, s0
	s_delay_alu instid0(SALU_CYCLE_1)
	s_mov_b32 s3, exec_lo
                                        ; implicit-def: $vgpr5
	v_cmpx_gt_i32_e64 s1, v8
	s_cbranch_execz .LBB33_39
; %bb.38:
	s_wait_loadcnt 0x1
	v_mul_lo_u16 v5, v25, s5
	s_wait_loadcnt 0x0
	s_delay_alu instid0(VALU_DEP_1)
	v_mul_lo_u16 v5, v5, v24
.LBB33_39:
	s_or_b32 exec_lo, exec_lo, s3
	v_or_b32_e32 v6, 0x200, v0
	s_delay_alu instid0(VALU_DEP_1)
	v_cmp_gt_i32_e64 s0, s1, v6
                                        ; implicit-def: $vgpr6
	s_and_saveexec_b32 s3, s0
; %bb.40:
	v_mul_lo_u16 v6, v23, s5
	s_delay_alu instid0(VALU_DEP_1)
	v_mul_lo_u16 v6, v6, v3
; %bb.41:
	s_or_b32 exec_lo, exec_lo, s3
	v_or_b32_e32 v3, 0x300, v0
	s_delay_alu instid0(VALU_DEP_1)
	v_cmp_gt_i32_e64 s0, s1, v3
                                        ; implicit-def: $vgpr3
	s_and_saveexec_b32 s3, s0
; %bb.42:
	v_mul_lo_u16 v3, v19, s5
	s_delay_alu instid0(VALU_DEP_1)
	v_mul_lo_u16 v3, v3, v4
; %bb.43:
	s_or_b32 exec_lo, exec_lo, s3
	v_or_b32_e32 v4, 0x400, v0
	s_delay_alu instid0(VALU_DEP_1)
	v_cmp_gt_i32_e64 s0, s1, v4
                                        ; implicit-def: $vgpr4
	s_and_saveexec_b32 s3, s0
; %bb.44:
	v_mul_lo_u16 v4, v16, s5
	s_delay_alu instid0(VALU_DEP_1)
	v_mul_lo_u16 v4, v4, v12
; %bb.45:
	s_or_b32 exec_lo, exec_lo, s3
	v_or_b32_e32 v7, 0x500, v0
	s_delay_alu instid0(VALU_DEP_1)
	v_cmp_gt_i32_e64 s0, s1, v7
                                        ; implicit-def: $vgpr7
	s_and_saveexec_b32 s3, s0
; %bb.46:
	v_mul_lo_u16 v7, v14, s5
	s_delay_alu instid0(VALU_DEP_1)
	v_mul_lo_u16 v7, v7, v10
; %bb.47:
	s_or_b32 exec_lo, exec_lo, s3
	v_or_b32_e32 v10, 0x600, v0
	s_delay_alu instid0(VALU_DEP_1)
	v_cmp_gt_i32_e64 s0, s1, v10
                                        ; implicit-def: $vgpr10
	s_and_saveexec_b32 s3, s0
; %bb.48:
	v_mul_lo_u16 v10, v15, s5
	s_delay_alu instid0(VALU_DEP_1)
	v_mul_lo_u16 v10, v10, v9
; %bb.49:
	s_or_b32 exec_lo, exec_lo, s3
	v_or_b32_e32 v9, 0x700, v0
	s_delay_alu instid0(VALU_DEP_1)
	v_cmp_gt_i32_e64 s0, s1, v9
                                        ; implicit-def: $vgpr9
	s_and_saveexec_b32 s3, s0
; %bb.50:
	v_mul_lo_u16 v9, v17, s5
	s_delay_alu instid0(VALU_DEP_1)
	v_mul_lo_u16 v9, v9, v11
; %bb.51:
	s_or_b32 exec_lo, exec_lo, s3
	v_or_b32_e32 v11, 0x800, v0
	s_delay_alu instid0(VALU_DEP_1)
	v_cmp_gt_i32_e64 s0, s1, v11
                                        ; implicit-def: $vgpr11
	s_and_saveexec_b32 s3, s0
; %bb.52:
	v_mul_lo_u16 v11, v20, s5
	s_delay_alu instid0(VALU_DEP_1)
	v_mul_lo_u16 v11, v11, v13
; %bb.53:
	s_or_b32 exec_lo, exec_lo, s3
	v_or_b32_e32 v12, 0x900, v0
	s_delay_alu instid0(VALU_DEP_1)
	v_cmp_gt_i32_e64 s0, s1, v12
                                        ; implicit-def: $vgpr12
	s_and_saveexec_b32 s3, s0
; %bb.54:
	v_mul_lo_u16 v12, v22, s5
	s_delay_alu instid0(VALU_DEP_1)
	v_mul_lo_u16 v12, v12, v18
; %bb.55:
	s_or_b32 exec_lo, exec_lo, s3
	v_or_b32_e32 v13, 0xa00, v0
	s_delay_alu instid0(VALU_DEP_1)
	v_cmp_gt_i32_e64 s0, s1, v13
                                        ; implicit-def: $vgpr13
	s_and_saveexec_b32 s3, s0
; %bb.56:
	v_mul_lo_u16 v13, v27, s5
	s_delay_alu instid0(VALU_DEP_1)
	v_mul_lo_u16 v13, v13, v21
; %bb.57:
	s_or_b32 exec_lo, exec_lo, s3
	v_or_b32_e32 v14, 0xb00, v0
	s_delay_alu instid0(VALU_DEP_1)
	v_cmp_gt_i32_e64 s0, s1, v14
                                        ; implicit-def: $vgpr14
	s_and_saveexec_b32 s3, s0
; %bb.58:
	v_mul_lo_u16 v14, v30, s5
	s_delay_alu instid0(VALU_DEP_1)
	v_mul_lo_u16 v14, v14, v26
; %bb.59:
	s_or_b32 exec_lo, exec_lo, s3
	v_or_b32_e32 v15, 0xc00, v0
	s_delay_alu instid0(VALU_DEP_1)
	v_cmp_gt_i32_e64 s0, s1, v15
                                        ; implicit-def: $vgpr15
	s_and_saveexec_b32 s3, s0
; %bb.60:
	v_mul_lo_u16 v15, v32, s5
	s_delay_alu instid0(VALU_DEP_1)
	v_mul_lo_u16 v15, v15, v31
; %bb.61:
	s_or_b32 exec_lo, exec_lo, s3
	v_or_b32_e32 v16, 0xd00, v0
	s_delay_alu instid0(VALU_DEP_1)
	v_cmp_gt_i32_e64 s0, s1, v16
                                        ; implicit-def: $vgpr16
	s_and_saveexec_b32 s3, s0
; %bb.62:
	v_mul_lo_u16 v16, v34, s5
	s_delay_alu instid0(VALU_DEP_1)
	v_mul_lo_u16 v16, v16, v33
; %bb.63:
	s_or_b32 exec_lo, exec_lo, s3
	v_or_b32_e32 v17, 0xe00, v0
	s_delay_alu instid0(VALU_DEP_1)
	v_cmp_gt_i32_e64 s0, s1, v17
                                        ; implicit-def: $vgpr17
	s_and_saveexec_b32 s3, s0
; %bb.64:
	v_mul_lo_u16 v17, v36, s5
	s_delay_alu instid0(VALU_DEP_1)
	v_mul_lo_u16 v17, v17, v35
; %bb.65:
	s_or_b32 exec_lo, exec_lo, s3
	v_or_b32_e32 v18, 0xf00, v0
	s_delay_alu instid0(VALU_DEP_1)
	v_cmp_gt_i32_e64 s0, s1, v18
                                        ; implicit-def: $vgpr18
	s_and_saveexec_b32 s3, s0
	s_cbranch_execz .LBB33_84
; %bb.66:
	v_mul_lo_u16 v18, v38, s5
	s_delay_alu instid0(VALU_DEP_1) | instskip(SKIP_2) | instid1(SALU_CYCLE_1)
	v_mul_lo_u16 v18, v18, v37
	s_or_b32 exec_lo, exec_lo, s3
	s_and_saveexec_b32 s0, vcc_lo
	s_xor_b32 s0, exec_lo, s0
	s_cbranch_execnz .LBB33_85
.LBB33_67:
	s_or_b32 exec_lo, exec_lo, s0
	s_delay_alu instid0(SALU_CYCLE_1)
	s_mov_b32 s0, exec_lo
	v_cmpx_gt_i32_e64 s1, v0
	s_cbranch_execz .LBB33_86
.LBB33_68:
	v_add_nc_u32_e32 v1, s2, v0
	v_add_nc_u32_e32 v0, 0x100, v0
	global_store_b8 v1, v5, s[6:7]
	s_wait_xcnt 0x0
	s_or_b32 exec_lo, exec_lo, s0
	s_delay_alu instid0(SALU_CYCLE_1)
	s_mov_b32 s0, exec_lo
	v_cmpx_gt_i32_e64 s1, v0
	s_cbranch_execnz .LBB33_87
.LBB33_69:
	s_or_b32 exec_lo, exec_lo, s0
	s_delay_alu instid0(SALU_CYCLE_1)
	s_mov_b32 s0, exec_lo
	v_cmpx_gt_i32_e64 s1, v0
	s_cbranch_execz .LBB33_88
.LBB33_70:
	v_add_nc_u32_e32 v1, s2, v0
	v_add_nc_u32_e32 v0, 0x100, v0
	global_store_b8 v1, v3, s[6:7]
	s_wait_xcnt 0x0
	s_or_b32 exec_lo, exec_lo, s0
	s_delay_alu instid0(SALU_CYCLE_1)
	s_mov_b32 s0, exec_lo
	v_cmpx_gt_i32_e64 s1, v0
	s_cbranch_execnz .LBB33_89
.LBB33_71:
	s_or_b32 exec_lo, exec_lo, s0
	s_delay_alu instid0(SALU_CYCLE_1)
	s_mov_b32 s0, exec_lo
	v_cmpx_gt_i32_e64 s1, v0
	s_cbranch_execz .LBB33_90
.LBB33_72:
	v_add_nc_u32_e32 v1, s2, v0
	v_add_nc_u32_e32 v0, 0x100, v0
	global_store_b8 v1, v7, s[6:7]
	s_wait_xcnt 0x0
	s_or_b32 exec_lo, exec_lo, s0
	s_delay_alu instid0(SALU_CYCLE_1)
	s_mov_b32 s0, exec_lo
	v_cmpx_gt_i32_e64 s1, v0
	s_cbranch_execnz .LBB33_91
.LBB33_73:
	s_or_b32 exec_lo, exec_lo, s0
	s_delay_alu instid0(SALU_CYCLE_1)
	s_mov_b32 s0, exec_lo
	v_cmpx_gt_i32_e64 s1, v0
	s_cbranch_execz .LBB33_92
.LBB33_74:
	v_add_nc_u32_e32 v1, s2, v0
	v_add_nc_u32_e32 v0, 0x100, v0
	global_store_b8 v1, v9, s[6:7]
	s_wait_xcnt 0x0
	s_or_b32 exec_lo, exec_lo, s0
	s_delay_alu instid0(SALU_CYCLE_1)
	s_mov_b32 s0, exec_lo
	v_cmpx_gt_i32_e64 s1, v0
	s_cbranch_execnz .LBB33_93
.LBB33_75:
	s_or_b32 exec_lo, exec_lo, s0
	s_delay_alu instid0(SALU_CYCLE_1)
	s_mov_b32 s0, exec_lo
	v_cmpx_gt_i32_e64 s1, v0
	s_cbranch_execz .LBB33_94
.LBB33_76:
	v_add_nc_u32_e32 v1, s2, v0
	v_add_nc_u32_e32 v0, 0x100, v0
	global_store_b8 v1, v12, s[6:7]
	s_wait_xcnt 0x0
	s_or_b32 exec_lo, exec_lo, s0
	s_delay_alu instid0(SALU_CYCLE_1)
	s_mov_b32 s0, exec_lo
	v_cmpx_gt_i32_e64 s1, v0
	s_cbranch_execnz .LBB33_95
.LBB33_77:
	s_or_b32 exec_lo, exec_lo, s0
	s_delay_alu instid0(SALU_CYCLE_1)
	s_mov_b32 s0, exec_lo
	v_cmpx_gt_i32_e64 s1, v0
	s_cbranch_execz .LBB33_96
.LBB33_78:
	v_add_nc_u32_e32 v1, s2, v0
	v_add_nc_u32_e32 v0, 0x100, v0
	global_store_b8 v1, v14, s[6:7]
	s_wait_xcnt 0x0
	s_or_b32 exec_lo, exec_lo, s0
	s_delay_alu instid0(SALU_CYCLE_1)
	s_mov_b32 s0, exec_lo
	v_cmpx_gt_i32_e64 s1, v0
	s_cbranch_execnz .LBB33_97
.LBB33_79:
	s_or_b32 exec_lo, exec_lo, s0
	s_delay_alu instid0(SALU_CYCLE_1)
	s_mov_b32 s0, exec_lo
	v_cmpx_gt_i32_e64 s1, v0
	s_cbranch_execz .LBB33_98
.LBB33_80:
	v_add_nc_u32_e32 v1, s2, v0
	v_add_nc_u32_e32 v0, 0x100, v0
	global_store_b8 v1, v16, s[6:7]
	s_wait_xcnt 0x0
	s_or_b32 exec_lo, exec_lo, s0
	s_delay_alu instid0(SALU_CYCLE_1)
	s_mov_b32 s0, exec_lo
	v_cmpx_gt_i32_e64 s1, v0
	s_cbranch_execnz .LBB33_99
.LBB33_81:
	s_or_b32 exec_lo, exec_lo, s0
	s_delay_alu instid0(SALU_CYCLE_1)
	s_mov_b32 s0, exec_lo
	v_cmpx_gt_i32_e64 s1, v0
	s_cbranch_execz .LBB33_83
.LBB33_82:
	v_add_nc_u32_e32 v0, s2, v0
	global_store_b8 v0, v18, s[6:7]
.LBB33_83:
	s_endpgm
.LBB33_84:
	s_or_b32 exec_lo, exec_lo, s3
	s_and_saveexec_b32 s0, vcc_lo
	s_delay_alu instid0(SALU_CYCLE_1)
	s_xor_b32 s0, exec_lo, s0
	s_cbranch_execz .LBB33_67
.LBB33_85:
	v_mov_b32_e32 v0, v8
	global_store_b8 v1, v2, s[6:7]
	s_wait_xcnt 0x0
	s_or_b32 exec_lo, exec_lo, s0
	s_delay_alu instid0(SALU_CYCLE_1)
	s_mov_b32 s0, exec_lo
	v_cmpx_gt_i32_e64 s1, v0
	s_cbranch_execnz .LBB33_68
.LBB33_86:
	s_or_b32 exec_lo, exec_lo, s0
	s_delay_alu instid0(SALU_CYCLE_1)
	s_mov_b32 s0, exec_lo
	v_cmpx_gt_i32_e64 s1, v0
	s_cbranch_execz .LBB33_69
.LBB33_87:
	v_add_nc_u32_e32 v1, s2, v0
	v_add_nc_u32_e32 v0, 0x100, v0
	global_store_b8 v1, v6, s[6:7]
	s_wait_xcnt 0x0
	s_or_b32 exec_lo, exec_lo, s0
	s_delay_alu instid0(SALU_CYCLE_1)
	s_mov_b32 s0, exec_lo
	v_cmpx_gt_i32_e64 s1, v0
	s_cbranch_execnz .LBB33_70
.LBB33_88:
	s_or_b32 exec_lo, exec_lo, s0
	s_delay_alu instid0(SALU_CYCLE_1)
	s_mov_b32 s0, exec_lo
	v_cmpx_gt_i32_e64 s1, v0
	s_cbranch_execz .LBB33_71
.LBB33_89:
	v_add_nc_u32_e32 v1, s2, v0
	v_add_nc_u32_e32 v0, 0x100, v0
	global_store_b8 v1, v4, s[6:7]
	s_wait_xcnt 0x0
	s_or_b32 exec_lo, exec_lo, s0
	s_delay_alu instid0(SALU_CYCLE_1)
	s_mov_b32 s0, exec_lo
	v_cmpx_gt_i32_e64 s1, v0
	s_cbranch_execnz .LBB33_72
.LBB33_90:
	s_or_b32 exec_lo, exec_lo, s0
	s_delay_alu instid0(SALU_CYCLE_1)
	s_mov_b32 s0, exec_lo
	v_cmpx_gt_i32_e64 s1, v0
	s_cbranch_execz .LBB33_73
.LBB33_91:
	v_add_nc_u32_e32 v1, s2, v0
	v_add_nc_u32_e32 v0, 0x100, v0
	global_store_b8 v1, v10, s[6:7]
	s_wait_xcnt 0x0
	s_or_b32 exec_lo, exec_lo, s0
	s_delay_alu instid0(SALU_CYCLE_1)
	s_mov_b32 s0, exec_lo
	v_cmpx_gt_i32_e64 s1, v0
	s_cbranch_execnz .LBB33_74
.LBB33_92:
	s_or_b32 exec_lo, exec_lo, s0
	s_delay_alu instid0(SALU_CYCLE_1)
	s_mov_b32 s0, exec_lo
	v_cmpx_gt_i32_e64 s1, v0
	s_cbranch_execz .LBB33_75
.LBB33_93:
	v_add_nc_u32_e32 v1, s2, v0
	v_add_nc_u32_e32 v0, 0x100, v0
	global_store_b8 v1, v11, s[6:7]
	s_wait_xcnt 0x0
	s_or_b32 exec_lo, exec_lo, s0
	s_delay_alu instid0(SALU_CYCLE_1)
	s_mov_b32 s0, exec_lo
	v_cmpx_gt_i32_e64 s1, v0
	s_cbranch_execnz .LBB33_76
.LBB33_94:
	s_or_b32 exec_lo, exec_lo, s0
	s_delay_alu instid0(SALU_CYCLE_1)
	s_mov_b32 s0, exec_lo
	v_cmpx_gt_i32_e64 s1, v0
	s_cbranch_execz .LBB33_77
.LBB33_95:
	v_add_nc_u32_e32 v1, s2, v0
	v_add_nc_u32_e32 v0, 0x100, v0
	global_store_b8 v1, v13, s[6:7]
	s_wait_xcnt 0x0
	s_or_b32 exec_lo, exec_lo, s0
	s_delay_alu instid0(SALU_CYCLE_1)
	s_mov_b32 s0, exec_lo
	v_cmpx_gt_i32_e64 s1, v0
	s_cbranch_execnz .LBB33_78
.LBB33_96:
	s_or_b32 exec_lo, exec_lo, s0
	s_delay_alu instid0(SALU_CYCLE_1)
	s_mov_b32 s0, exec_lo
	v_cmpx_gt_i32_e64 s1, v0
	s_cbranch_execz .LBB33_79
.LBB33_97:
	v_add_nc_u32_e32 v1, s2, v0
	v_add_nc_u32_e32 v0, 0x100, v0
	global_store_b8 v1, v15, s[6:7]
	s_wait_xcnt 0x0
	s_or_b32 exec_lo, exec_lo, s0
	s_delay_alu instid0(SALU_CYCLE_1)
	s_mov_b32 s0, exec_lo
	v_cmpx_gt_i32_e64 s1, v0
	s_cbranch_execnz .LBB33_80
.LBB33_98:
	s_or_b32 exec_lo, exec_lo, s0
	s_delay_alu instid0(SALU_CYCLE_1)
	s_mov_b32 s0, exec_lo
	v_cmpx_gt_i32_e64 s1, v0
	s_cbranch_execz .LBB33_81
.LBB33_99:
	v_add_nc_u32_e32 v1, s2, v0
	v_add_nc_u32_e32 v0, 0x100, v0
	global_store_b8 v1, v17, s[6:7]
	s_wait_xcnt 0x0
	s_or_b32 exec_lo, exec_lo, s0
	s_delay_alu instid0(SALU_CYCLE_1)
	s_mov_b32 s0, exec_lo
	v_cmpx_gt_i32_e64 s1, v0
	s_cbranch_execnz .LBB33_82
	s_branch .LBB33_83
	.section	.rodata,"a",@progbits
	.p2align	6, 0x0
	.amdhsa_kernel _ZN2at6native29vectorized_elementwise_kernelILi8EZZZNS0_12_GLOBAL__N_116addr_kernel_cudaERNS_14TensorIteratorERKN3c106ScalarES8_ENKUlvE_clEvENKUlvE0_clEvEUlaaaE_St5arrayIPcLm4EEEEviT0_T1_
		.amdhsa_group_segment_fixed_size 0
		.amdhsa_private_segment_fixed_size 0
		.amdhsa_kernarg_size 40
		.amdhsa_user_sgpr_count 2
		.amdhsa_user_sgpr_dispatch_ptr 0
		.amdhsa_user_sgpr_queue_ptr 0
		.amdhsa_user_sgpr_kernarg_segment_ptr 1
		.amdhsa_user_sgpr_dispatch_id 0
		.amdhsa_user_sgpr_kernarg_preload_length 0
		.amdhsa_user_sgpr_kernarg_preload_offset 0
		.amdhsa_user_sgpr_private_segment_size 0
		.amdhsa_wavefront_size32 1
		.amdhsa_uses_dynamic_stack 0
		.amdhsa_enable_private_segment 0
		.amdhsa_system_sgpr_workgroup_id_x 1
		.amdhsa_system_sgpr_workgroup_id_y 0
		.amdhsa_system_sgpr_workgroup_id_z 0
		.amdhsa_system_sgpr_workgroup_info 0
		.amdhsa_system_vgpr_workitem_id 0
		.amdhsa_next_free_vgpr 39
		.amdhsa_next_free_sgpr 22
		.amdhsa_named_barrier_count 0
		.amdhsa_reserve_vcc 1
		.amdhsa_float_round_mode_32 0
		.amdhsa_float_round_mode_16_64 0
		.amdhsa_float_denorm_mode_32 3
		.amdhsa_float_denorm_mode_16_64 3
		.amdhsa_fp16_overflow 0
		.amdhsa_memory_ordered 1
		.amdhsa_forward_progress 1
		.amdhsa_inst_pref_size 41
		.amdhsa_round_robin_scheduling 0
		.amdhsa_exception_fp_ieee_invalid_op 0
		.amdhsa_exception_fp_denorm_src 0
		.amdhsa_exception_fp_ieee_div_zero 0
		.amdhsa_exception_fp_ieee_overflow 0
		.amdhsa_exception_fp_ieee_underflow 0
		.amdhsa_exception_fp_ieee_inexact 0
		.amdhsa_exception_int_div_zero 0
	.end_amdhsa_kernel
	.section	.text._ZN2at6native29vectorized_elementwise_kernelILi8EZZZNS0_12_GLOBAL__N_116addr_kernel_cudaERNS_14TensorIteratorERKN3c106ScalarES8_ENKUlvE_clEvENKUlvE0_clEvEUlaaaE_St5arrayIPcLm4EEEEviT0_T1_,"axG",@progbits,_ZN2at6native29vectorized_elementwise_kernelILi8EZZZNS0_12_GLOBAL__N_116addr_kernel_cudaERNS_14TensorIteratorERKN3c106ScalarES8_ENKUlvE_clEvENKUlvE0_clEvEUlaaaE_St5arrayIPcLm4EEEEviT0_T1_,comdat
.Lfunc_end33:
	.size	_ZN2at6native29vectorized_elementwise_kernelILi8EZZZNS0_12_GLOBAL__N_116addr_kernel_cudaERNS_14TensorIteratorERKN3c106ScalarES8_ENKUlvE_clEvENKUlvE0_clEvEUlaaaE_St5arrayIPcLm4EEEEviT0_T1_, .Lfunc_end33-_ZN2at6native29vectorized_elementwise_kernelILi8EZZZNS0_12_GLOBAL__N_116addr_kernel_cudaERNS_14TensorIteratorERKN3c106ScalarES8_ENKUlvE_clEvENKUlvE0_clEvEUlaaaE_St5arrayIPcLm4EEEEviT0_T1_
                                        ; -- End function
	.set _ZN2at6native29vectorized_elementwise_kernelILi8EZZZNS0_12_GLOBAL__N_116addr_kernel_cudaERNS_14TensorIteratorERKN3c106ScalarES8_ENKUlvE_clEvENKUlvE0_clEvEUlaaaE_St5arrayIPcLm4EEEEviT0_T1_.num_vgpr, 39
	.set _ZN2at6native29vectorized_elementwise_kernelILi8EZZZNS0_12_GLOBAL__N_116addr_kernel_cudaERNS_14TensorIteratorERKN3c106ScalarES8_ENKUlvE_clEvENKUlvE0_clEvEUlaaaE_St5arrayIPcLm4EEEEviT0_T1_.num_agpr, 0
	.set _ZN2at6native29vectorized_elementwise_kernelILi8EZZZNS0_12_GLOBAL__N_116addr_kernel_cudaERNS_14TensorIteratorERKN3c106ScalarES8_ENKUlvE_clEvENKUlvE0_clEvEUlaaaE_St5arrayIPcLm4EEEEviT0_T1_.numbered_sgpr, 22
	.set _ZN2at6native29vectorized_elementwise_kernelILi8EZZZNS0_12_GLOBAL__N_116addr_kernel_cudaERNS_14TensorIteratorERKN3c106ScalarES8_ENKUlvE_clEvENKUlvE0_clEvEUlaaaE_St5arrayIPcLm4EEEEviT0_T1_.num_named_barrier, 0
	.set _ZN2at6native29vectorized_elementwise_kernelILi8EZZZNS0_12_GLOBAL__N_116addr_kernel_cudaERNS_14TensorIteratorERKN3c106ScalarES8_ENKUlvE_clEvENKUlvE0_clEvEUlaaaE_St5arrayIPcLm4EEEEviT0_T1_.private_seg_size, 0
	.set _ZN2at6native29vectorized_elementwise_kernelILi8EZZZNS0_12_GLOBAL__N_116addr_kernel_cudaERNS_14TensorIteratorERKN3c106ScalarES8_ENKUlvE_clEvENKUlvE0_clEvEUlaaaE_St5arrayIPcLm4EEEEviT0_T1_.uses_vcc, 1
	.set _ZN2at6native29vectorized_elementwise_kernelILi8EZZZNS0_12_GLOBAL__N_116addr_kernel_cudaERNS_14TensorIteratorERKN3c106ScalarES8_ENKUlvE_clEvENKUlvE0_clEvEUlaaaE_St5arrayIPcLm4EEEEviT0_T1_.uses_flat_scratch, 0
	.set _ZN2at6native29vectorized_elementwise_kernelILi8EZZZNS0_12_GLOBAL__N_116addr_kernel_cudaERNS_14TensorIteratorERKN3c106ScalarES8_ENKUlvE_clEvENKUlvE0_clEvEUlaaaE_St5arrayIPcLm4EEEEviT0_T1_.has_dyn_sized_stack, 0
	.set _ZN2at6native29vectorized_elementwise_kernelILi8EZZZNS0_12_GLOBAL__N_116addr_kernel_cudaERNS_14TensorIteratorERKN3c106ScalarES8_ENKUlvE_clEvENKUlvE0_clEvEUlaaaE_St5arrayIPcLm4EEEEviT0_T1_.has_recursion, 0
	.set _ZN2at6native29vectorized_elementwise_kernelILi8EZZZNS0_12_GLOBAL__N_116addr_kernel_cudaERNS_14TensorIteratorERKN3c106ScalarES8_ENKUlvE_clEvENKUlvE0_clEvEUlaaaE_St5arrayIPcLm4EEEEviT0_T1_.has_indirect_call, 0
	.section	.AMDGPU.csdata,"",@progbits
; Kernel info:
; codeLenInByte = 5180
; TotalNumSgprs: 24
; NumVgprs: 39
; ScratchSize: 0
; MemoryBound: 0
; FloatMode: 240
; IeeeMode: 1
; LDSByteSize: 0 bytes/workgroup (compile time only)
; SGPRBlocks: 0
; VGPRBlocks: 2
; NumSGPRsForWavesPerEU: 24
; NumVGPRsForWavesPerEU: 39
; NamedBarCnt: 0
; Occupancy: 16
; WaveLimiterHint : 1
; COMPUTE_PGM_RSRC2:SCRATCH_EN: 0
; COMPUTE_PGM_RSRC2:USER_SGPR: 2
; COMPUTE_PGM_RSRC2:TRAP_HANDLER: 0
; COMPUTE_PGM_RSRC2:TGID_X_EN: 1
; COMPUTE_PGM_RSRC2:TGID_Y_EN: 0
; COMPUTE_PGM_RSRC2:TGID_Z_EN: 0
; COMPUTE_PGM_RSRC2:TIDIG_COMP_CNT: 0
	.section	.text._ZN2at6native29vectorized_elementwise_kernelILi4EZZZNS0_12_GLOBAL__N_116addr_kernel_cudaERNS_14TensorIteratorERKN3c106ScalarES8_ENKUlvE_clEvENKUlvE0_clEvEUlaaaE_St5arrayIPcLm4EEEEviT0_T1_,"axG",@progbits,_ZN2at6native29vectorized_elementwise_kernelILi4EZZZNS0_12_GLOBAL__N_116addr_kernel_cudaERNS_14TensorIteratorERKN3c106ScalarES8_ENKUlvE_clEvENKUlvE0_clEvEUlaaaE_St5arrayIPcLm4EEEEviT0_T1_,comdat
	.globl	_ZN2at6native29vectorized_elementwise_kernelILi4EZZZNS0_12_GLOBAL__N_116addr_kernel_cudaERNS_14TensorIteratorERKN3c106ScalarES8_ENKUlvE_clEvENKUlvE0_clEvEUlaaaE_St5arrayIPcLm4EEEEviT0_T1_ ; -- Begin function _ZN2at6native29vectorized_elementwise_kernelILi4EZZZNS0_12_GLOBAL__N_116addr_kernel_cudaERNS_14TensorIteratorERKN3c106ScalarES8_ENKUlvE_clEvENKUlvE0_clEvEUlaaaE_St5arrayIPcLm4EEEEviT0_T1_
	.p2align	8
	.type	_ZN2at6native29vectorized_elementwise_kernelILi4EZZZNS0_12_GLOBAL__N_116addr_kernel_cudaERNS_14TensorIteratorERKN3c106ScalarES8_ENKUlvE_clEvENKUlvE0_clEvEUlaaaE_St5arrayIPcLm4EEEEviT0_T1_,@function
_ZN2at6native29vectorized_elementwise_kernelILi4EZZZNS0_12_GLOBAL__N_116addr_kernel_cudaERNS_14TensorIteratorERKN3c106ScalarES8_ENKUlvE_clEvENKUlvE0_clEvEUlaaaE_St5arrayIPcLm4EEEEviT0_T1_: ; @_ZN2at6native29vectorized_elementwise_kernelILi4EZZZNS0_12_GLOBAL__N_116addr_kernel_cudaERNS_14TensorIteratorERKN3c106ScalarES8_ENKUlvE_clEvENKUlvE0_clEvEUlaaaE_St5arrayIPcLm4EEEEviT0_T1_
; %bb.0:
	s_clause 0x1
	s_load_b128 s[4:7], s[0:1], 0x0
	s_load_b128 s[8:11], s[0:1], 0x18
	s_wait_xcnt 0x0
	s_bfe_u32 s0, ttmp6, 0x4000c
	s_and_b32 s1, ttmp6, 15
	s_add_co_i32 s0, s0, 1
	s_getreg_b32 s2, hwreg(HW_REG_IB_STS2, 6, 4)
	s_mul_i32 s0, ttmp9, s0
	s_delay_alu instid0(SALU_CYCLE_1) | instskip(SKIP_2) | instid1(SALU_CYCLE_1)
	s_add_co_i32 s1, s1, s0
	s_cmp_eq_u32 s2, 0
	s_cselect_b32 s0, ttmp9, s1
	s_lshl_b32 s2, s0, 12
	s_mov_b32 s0, -1
	s_wait_kmcnt 0x0
	s_sub_co_i32 s1, s4, s2
	s_delay_alu instid0(SALU_CYCLE_1)
	s_cmp_gt_i32 s1, 0xfff
	s_cbranch_scc0 .LBB34_2
; %bb.1:
	s_ashr_i32 s3, s2, 31
	s_mov_b32 s0, 0
	s_add_nc_u64 s[12:13], s[8:9], s[2:3]
	s_clause 0x3
	global_load_b32 v1, v0, s[12:13] scale_offset
	global_load_b32 v2, v0, s[12:13] offset:1024 scale_offset
	global_load_b32 v3, v0, s[12:13] offset:2048 scale_offset
	;; [unrolled: 1-line block ×3, first 2 shown]
	s_wait_xcnt 0x0
	s_add_nc_u64 s[12:13], s[10:11], s[2:3]
	s_clause 0x3
	global_load_b32 v5, v0, s[12:13] scale_offset
	global_load_b32 v6, v0, s[12:13] offset:1024 scale_offset
	global_load_b32 v7, v0, s[12:13] offset:2048 scale_offset
	;; [unrolled: 1-line block ×3, first 2 shown]
	s_wait_xcnt 0x0
	s_add_nc_u64 s[12:13], s[6:7], s[2:3]
	s_wait_loadcnt 0x7
	v_dual_lshrrev_b32 v9, 8, v1 :: v_dual_lshrrev_b32 v10, 16, v1
	s_wait_loadcnt 0x6
	v_dual_lshrrev_b32 v11, 24, v1 :: v_dual_lshrrev_b32 v12, 8, v2
	v_mul_lo_u16 v1, s5, v1
	v_dual_lshrrev_b32 v13, 16, v2 :: v_dual_lshrrev_b32 v14, 24, v2
	v_mul_lo_u16 v2, s5, v2
	s_wait_loadcnt 0x5
	v_dual_lshrrev_b32 v15, 8, v3 :: v_dual_lshrrev_b32 v16, 16, v3
	s_wait_loadcnt 0x4
	v_dual_lshrrev_b32 v17, 24, v3 :: v_dual_lshrrev_b32 v18, 8, v4
	v_mul_lo_u16 v3, s5, v3
	v_dual_lshrrev_b32 v19, 16, v4 :: v_dual_lshrrev_b32 v20, 24, v4
	v_mul_lo_u16 v4, s5, v4
	s_wait_loadcnt 0x3
	v_dual_lshrrev_b32 v21, 8, v5 :: v_dual_lshrrev_b32 v22, 16, v5
	s_wait_loadcnt 0x2
	v_dual_lshrrev_b32 v23, 24, v5 :: v_dual_lshrrev_b32 v24, 8, v6
	v_mul_lo_u16 v1, v1, v5
	v_mul_lo_u16 v5, s5, v9
	;; [unrolled: 1-line block ×3, first 2 shown]
	v_dual_lshrrev_b32 v25, 16, v6 :: v_dual_lshrrev_b32 v26, 24, v6
	v_mul_lo_u16 v10, s5, v11
	v_mul_lo_u16 v2, v2, v6
	;; [unrolled: 1-line block ×4, first 2 shown]
	s_wait_loadcnt 0x1
	v_dual_lshrrev_b32 v27, 8, v7 :: v_dual_lshrrev_b32 v28, 16, v7
	s_wait_loadcnt 0x0
	v_dual_lshrrev_b32 v29, 24, v7 :: v_dual_lshrrev_b32 v30, 8, v8
	v_mul_lo_u16 v3, v3, v7
	v_mul_lo_u16 v7, s5, v15
	;; [unrolled: 1-line block ×3, first 2 shown]
	v_dual_lshrrev_b32 v31, 16, v8 :: v_dual_lshrrev_b32 v32, 24, v8
	v_mul_lo_u16 v4, v4, v8
	v_mul_lo_u16 v8, s5, v18
	;; [unrolled: 1-line block ×15, first 2 shown]
	v_and_b32_e32 v5, 0xff, v5
	v_and_b32_e32 v9, 0xff, v9
	v_mul_lo_u16 v12, v12, v26
	v_and_b32_e32 v6, 0xff, v6
	v_and_b32_e32 v11, 0xff, v11
	v_mul_lo_u16 v14, v14, v29
	;; [unrolled: 3-line block ×3, first 2 shown]
	v_and_b32_e32 v8, 0xff, v8
	v_and_b32_e32 v15, 0xff, v15
	v_dual_lshlrev_b32 v10, 24, v10 :: v_dual_lshlrev_b32 v12, 24, v12
	v_perm_b32 v1, v5, v1, 0x6050400
	v_lshlrev_b32_e32 v5, 16, v9
	v_perm_b32 v2, v6, v2, 0x6050400
	v_dual_lshlrev_b32 v6, 16, v11 :: v_dual_lshlrev_b32 v14, 24, v14
	v_lshlrev_b32_e32 v16, 24, v16
	v_perm_b32 v3, v7, v3, 0x6050400
	v_lshlrev_b32_e32 v7, 16, v13
	v_perm_b32 v4, v8, v4, 0x6050400
	v_lshlrev_b32_e32 v8, 16, v15
	v_or3_b32 v1, v1, v5, v10
	v_or3_b32 v2, v2, v6, v12
	;; [unrolled: 1-line block ×3, first 2 shown]
	s_delay_alu instid0(VALU_DEP_4)
	v_or3_b32 v4, v4, v8, v16
	s_clause 0x3
	global_store_b32 v0, v1, s[12:13] scale_offset
	global_store_b32 v0, v2, s[12:13] offset:1024 scale_offset
	global_store_b32 v0, v3, s[12:13] offset:2048 scale_offset
	;; [unrolled: 1-line block ×3, first 2 shown]
.LBB34_2:
	s_and_not1_b32 vcc_lo, exec_lo, s0
	s_cbranch_vccnz .LBB34_83
; %bb.3:
	v_cmp_gt_i32_e32 vcc_lo, s1, v0
	s_wait_xcnt 0x3
	v_dual_mov_b32 v38, 0 :: v_dual_bitop2_b32 v1, s2, v0 bitop3:0x54
	v_or_b32_e32 v8, 0x100, v0
	v_dual_mov_b32 v37, 0 :: v_dual_mov_b32 v36, 0
	v_dual_mov_b32 v35, 0 :: v_dual_mov_b32 v34, 0
	;; [unrolled: 1-line block ×12, first 2 shown]
	s_wait_xcnt 0x0
	v_dual_mov_b32 v4, 0 :: v_dual_mov_b32 v23, 0
	v_dual_mov_b32 v3, 0 :: v_dual_mov_b32 v25, 0
	;; [unrolled: 1-line block ×3, first 2 shown]
	v_mov_b32_e32 v29, 0
	s_and_saveexec_b32 s3, vcc_lo
	s_cbranch_execz .LBB34_35
; %bb.4:
	s_clause 0x1
	global_load_u8 v28, v1, s[8:9]
	global_load_u8 v29, v1, s[10:11]
	v_or_b32_e32 v2, 0x100, v0
	v_dual_mov_b32 v24, 0 :: v_dual_mov_b32 v25, 0
	v_dual_mov_b32 v3, 0 :: v_dual_mov_b32 v23, 0
	s_delay_alu instid0(VALU_DEP_3)
	v_cmp_gt_u32_e64 s0, s1, v2
	v_dual_mov_b32 v4, 0 :: v_dual_mov_b32 v19, 0
	v_dual_mov_b32 v12, 0 :: v_dual_mov_b32 v16, 0
	;; [unrolled: 1-line block ×13, first 2 shown]
	s_wait_xcnt 0x0
	s_and_saveexec_b32 s4, s0
	s_cbranch_execz .LBB34_34
; %bb.5:
	v_dual_mov_b32 v3, 0 :: v_dual_add_nc_u32 v2, s2, v0
	v_or_b32_e32 v4, 0x200, v0
	v_dual_mov_b32 v23, 0 :: v_dual_mov_b32 v19, 0
	v_mov_b32_e32 v12, 0
	s_clause 0x1
	global_load_u8 v25, v2, s[8:9] offset:256
	global_load_u8 v24, v2, s[10:11] offset:256
	v_cmp_gt_u32_e64 s0, s1, v4
	v_dual_mov_b32 v4, 0 :: v_dual_mov_b32 v16, 0
	v_dual_mov_b32 v10, 0 :: v_dual_mov_b32 v14, 0
	;; [unrolled: 1-line block ×12, first 2 shown]
	s_wait_xcnt 0x0
	s_and_saveexec_b32 s12, s0
	s_cbranch_execz .LBB34_33
; %bb.6:
	v_add_nc_u64_e32 v[4:5], s[8:9], v[2:3]
	v_add_nc_u64_e32 v[6:7], s[10:11], v[2:3]
	v_or_b32_e32 v9, 0x300, v0
	v_dual_mov_b32 v19, 0 :: v_dual_mov_b32 v12, 0
	v_dual_mov_b32 v16, 0 :: v_dual_mov_b32 v10, 0
	global_load_u8 v23, v[4:5], off offset:512
	global_load_u8 v2, v[6:7], off offset:512
	v_cmp_gt_u32_e64 s0, s1, v9
	v_dual_mov_b32 v14, 0 :: v_dual_mov_b32 v9, 0
	v_dual_mov_b32 v15, 0 :: v_dual_mov_b32 v11, 0
	;; [unrolled: 1-line block ×10, first 2 shown]
	v_mov_b32_e32 v38, 0
	s_wait_xcnt 0x0
	s_and_saveexec_b32 s8, s0
	s_cbranch_execz .LBB34_32
; %bb.7:
	global_load_u8 v19, v[4:5], off offset:768
	global_load_u8 v3, v[6:7], off offset:768
	v_or_b32_e32 v9, 0x400, v0
	v_dual_mov_b32 v12, 0 :: v_dual_mov_b32 v16, 0
	v_dual_mov_b32 v10, 0 :: v_dual_mov_b32 v14, 0
	s_delay_alu instid0(VALU_DEP_3)
	v_cmp_gt_u32_e64 s0, s1, v9
	v_dual_mov_b32 v9, 0 :: v_dual_mov_b32 v15, 0
	v_dual_mov_b32 v11, 0 :: v_dual_mov_b32 v17, 0
	v_dual_mov_b32 v13, 0 :: v_dual_mov_b32 v20, 0
	v_dual_mov_b32 v18, 0 :: v_dual_mov_b32 v22, 0
	v_dual_mov_b32 v21, 0 :: v_dual_mov_b32 v27, 0
	v_dual_mov_b32 v26, 0 :: v_dual_mov_b32 v30, 0
	v_dual_mov_b32 v31, 0 :: v_dual_mov_b32 v32, 0
	v_dual_mov_b32 v33, 0 :: v_dual_mov_b32 v34, 0
	v_dual_mov_b32 v35, 0 :: v_dual_mov_b32 v36, 0
	v_dual_mov_b32 v37, 0 :: v_dual_mov_b32 v38, 0
	s_wait_xcnt 0x0
	s_and_saveexec_b32 s9, s0
	s_cbranch_execz .LBB34_31
; %bb.8:
	global_load_u8 v16, v[4:5], off offset:1024
	global_load_u8 v12, v[6:7], off offset:1024
	v_or_b32_e32 v9, 0x500, v0
	v_dual_mov_b32 v10, 0 :: v_dual_mov_b32 v14, 0
	v_dual_mov_b32 v11, 0 :: v_dual_mov_b32 v17, 0
	s_delay_alu instid0(VALU_DEP_3)
	v_cmp_gt_u32_e64 s0, s1, v9
	v_dual_mov_b32 v9, 0 :: v_dual_mov_b32 v15, 0
	v_dual_mov_b32 v13, 0 :: v_dual_mov_b32 v20, 0
	;; [unrolled: 1-line block ×9, first 2 shown]
	s_wait_xcnt 0x0
	s_and_saveexec_b32 s10, s0
	s_cbranch_execz .LBB34_30
; %bb.9:
	global_load_u8 v14, v[4:5], off offset:1280
	global_load_u8 v10, v[6:7], off offset:1280
	v_or_b32_e32 v9, 0x600, v0
	v_dual_mov_b32 v11, 0 :: v_dual_mov_b32 v17, 0
	v_dual_mov_b32 v13, 0 :: v_dual_mov_b32 v20, 0
	s_delay_alu instid0(VALU_DEP_3)
	v_cmp_gt_u32_e64 s0, s1, v9
	v_dual_mov_b32 v9, 0 :: v_dual_mov_b32 v15, 0
	v_dual_mov_b32 v18, 0 :: v_dual_mov_b32 v22, 0
	v_dual_mov_b32 v21, 0 :: v_dual_mov_b32 v27, 0
	v_dual_mov_b32 v26, 0 :: v_dual_mov_b32 v30, 0
	v_dual_mov_b32 v31, 0 :: v_dual_mov_b32 v32, 0
	v_dual_mov_b32 v33, 0 :: v_dual_mov_b32 v34, 0
	v_dual_mov_b32 v35, 0 :: v_dual_mov_b32 v36, 0
	v_dual_mov_b32 v37, 0 :: v_dual_mov_b32 v38, 0
	s_wait_xcnt 0x0
	s_and_saveexec_b32 s11, s0
	s_cbranch_execz .LBB34_29
; %bb.10:
	global_load_u8 v15, v[4:5], off offset:1536
	global_load_u8 v9, v[6:7], off offset:1536
	v_or_b32_e32 v11, 0x700, v0
	v_dual_mov_b32 v13, 0 :: v_dual_mov_b32 v20, 0
	v_dual_mov_b32 v18, 0 :: v_dual_mov_b32 v22, 0
	s_delay_alu instid0(VALU_DEP_3)
	v_cmp_gt_u32_e64 s0, s1, v11
	v_dual_mov_b32 v11, 0 :: v_dual_mov_b32 v17, 0
	v_dual_mov_b32 v21, 0 :: v_dual_mov_b32 v27, 0
	;; [unrolled: 1-line block ×7, first 2 shown]
	s_wait_xcnt 0x0
	s_and_saveexec_b32 s13, s0
	s_cbranch_execz .LBB34_28
; %bb.11:
	global_load_u8 v17, v[4:5], off offset:1792
	global_load_u8 v11, v[6:7], off offset:1792
	v_or_b32_e32 v13, 0x800, v0
	v_dual_mov_b32 v18, 0 :: v_dual_mov_b32 v22, 0
	v_dual_mov_b32 v21, 0 :: v_dual_mov_b32 v27, 0
	s_delay_alu instid0(VALU_DEP_3)
	v_cmp_gt_u32_e64 s0, s1, v13
	v_dual_mov_b32 v13, 0 :: v_dual_mov_b32 v20, 0
	v_dual_mov_b32 v26, 0 :: v_dual_mov_b32 v30, 0
	;; [unrolled: 1-line block ×6, first 2 shown]
	s_wait_xcnt 0x0
	s_and_saveexec_b32 s14, s0
	s_cbranch_execz .LBB34_27
; %bb.12:
	global_load_u8 v20, v[4:5], off offset:2048
	global_load_u8 v13, v[6:7], off offset:2048
	v_or_b32_e32 v18, 0x900, v0
	v_dual_mov_b32 v21, 0 :: v_dual_mov_b32 v27, 0
	v_dual_mov_b32 v26, 0 :: v_dual_mov_b32 v30, 0
	s_delay_alu instid0(VALU_DEP_3)
	v_cmp_gt_u32_e64 s0, s1, v18
	v_dual_mov_b32 v18, 0 :: v_dual_mov_b32 v22, 0
	v_dual_mov_b32 v31, 0 :: v_dual_mov_b32 v32, 0
	;; [unrolled: 1-line block ×5, first 2 shown]
	s_wait_xcnt 0x0
	s_and_saveexec_b32 s15, s0
	s_cbranch_execz .LBB34_26
; %bb.13:
	global_load_u8 v22, v[4:5], off offset:2304
	global_load_u8 v18, v[6:7], off offset:2304
	v_or_b32_e32 v21, 0xa00, v0
	v_dual_mov_b32 v26, 0 :: v_dual_mov_b32 v30, 0
	v_dual_mov_b32 v31, 0 :: v_dual_mov_b32 v32, 0
	s_delay_alu instid0(VALU_DEP_3)
	v_cmp_gt_u32_e64 s0, s1, v21
	v_dual_mov_b32 v21, 0 :: v_dual_mov_b32 v27, 0
	v_dual_mov_b32 v33, 0 :: v_dual_mov_b32 v34, 0
	;; [unrolled: 1-line block ×4, first 2 shown]
	s_wait_xcnt 0x0
	s_and_saveexec_b32 s16, s0
	s_cbranch_execz .LBB34_25
; %bb.14:
	global_load_u8 v27, v[4:5], off offset:2560
	global_load_u8 v21, v[6:7], off offset:2560
	v_or_b32_e32 v26, 0xb00, v0
	v_dual_mov_b32 v31, 0 :: v_dual_mov_b32 v32, 0
	v_dual_mov_b32 v33, 0 :: v_dual_mov_b32 v34, 0
	s_delay_alu instid0(VALU_DEP_3)
	v_cmp_gt_u32_e64 s0, s1, v26
	v_dual_mov_b32 v26, 0 :: v_dual_mov_b32 v30, 0
	v_dual_mov_b32 v35, 0 :: v_dual_mov_b32 v36, 0
	;; [unrolled: 1-line block ×3, first 2 shown]
	s_wait_xcnt 0x0
	s_and_saveexec_b32 s17, s0
	s_cbranch_execz .LBB34_24
; %bb.15:
	global_load_u8 v30, v[4:5], off offset:2816
	global_load_u8 v26, v[6:7], off offset:2816
	v_or_b32_e32 v31, 0xc00, v0
	v_dual_mov_b32 v33, 0 :: v_dual_mov_b32 v34, 0
	v_dual_mov_b32 v35, 0 :: v_dual_mov_b32 v36, 0
	s_delay_alu instid0(VALU_DEP_3)
	v_cmp_gt_u32_e64 s0, s1, v31
	v_dual_mov_b32 v31, 0 :: v_dual_mov_b32 v32, 0
	v_dual_mov_b32 v37, 0 :: v_dual_mov_b32 v38, 0
	s_wait_xcnt 0x0
	s_and_saveexec_b32 s18, s0
	s_cbranch_execz .LBB34_23
; %bb.16:
	global_load_u8 v32, v[4:5], off offset:3072
	global_load_u8 v31, v[6:7], off offset:3072
	v_or_b32_e32 v33, 0xd00, v0
	v_dual_mov_b32 v35, 0 :: v_dual_mov_b32 v36, 0
	v_dual_mov_b32 v37, 0 :: v_dual_mov_b32 v38, 0
	s_delay_alu instid0(VALU_DEP_3)
	v_cmp_gt_u32_e64 s0, s1, v33
	v_dual_mov_b32 v33, 0 :: v_dual_mov_b32 v34, 0
	s_wait_xcnt 0x0
	s_and_saveexec_b32 s19, s0
	s_cbranch_execz .LBB34_22
; %bb.17:
	global_load_u8 v34, v[4:5], off offset:3328
	global_load_u8 v33, v[6:7], off offset:3328
	v_or_b32_e32 v35, 0xe00, v0
	v_dual_mov_b32 v37, 0 :: v_dual_mov_b32 v38, 0
	v_mov_b32_e32 v36, 0
	s_delay_alu instid0(VALU_DEP_3)
	v_cmp_gt_u32_e64 s0, s1, v35
	v_mov_b32_e32 v35, 0
	s_wait_xcnt 0x0
	s_and_saveexec_b32 s20, s0
	s_cbranch_execz .LBB34_21
; %bb.18:
	global_load_u8 v36, v[4:5], off offset:3584
	global_load_u8 v35, v[6:7], off offset:3584
	v_or_b32_e32 v37, 0xf00, v0
	v_mov_b32_e32 v38, 0
	s_delay_alu instid0(VALU_DEP_2)
	v_cmp_gt_u32_e64 s0, s1, v37
	v_mov_b32_e32 v37, 0
	s_wait_xcnt 0x0
	s_and_saveexec_b32 s21, s0
	s_cbranch_execz .LBB34_20
; %bb.19:
	global_load_u8 v38, v[4:5], off offset:3840
	global_load_u8 v37, v[6:7], off offset:3840
.LBB34_20:
	s_wait_xcnt 0x0
	s_or_b32 exec_lo, exec_lo, s21
.LBB34_21:
	s_delay_alu instid0(SALU_CYCLE_1)
	s_or_b32 exec_lo, exec_lo, s20
.LBB34_22:
	s_delay_alu instid0(SALU_CYCLE_1)
	s_or_b32 exec_lo, exec_lo, s19
.LBB34_23:
	s_delay_alu instid0(SALU_CYCLE_1)
	s_or_b32 exec_lo, exec_lo, s18
.LBB34_24:
	s_delay_alu instid0(SALU_CYCLE_1)
	s_or_b32 exec_lo, exec_lo, s17
.LBB34_25:
	s_delay_alu instid0(SALU_CYCLE_1)
	s_or_b32 exec_lo, exec_lo, s16
.LBB34_26:
	s_delay_alu instid0(SALU_CYCLE_1)
	s_or_b32 exec_lo, exec_lo, s15
.LBB34_27:
	s_delay_alu instid0(SALU_CYCLE_1)
	s_or_b32 exec_lo, exec_lo, s14
.LBB34_28:
	s_delay_alu instid0(SALU_CYCLE_1)
	s_or_b32 exec_lo, exec_lo, s13
.LBB34_29:
	s_delay_alu instid0(SALU_CYCLE_1)
	s_or_b32 exec_lo, exec_lo, s11
.LBB34_30:
	s_delay_alu instid0(SALU_CYCLE_1)
	s_or_b32 exec_lo, exec_lo, s10
.LBB34_31:
	s_delay_alu instid0(SALU_CYCLE_1)
	s_or_b32 exec_lo, exec_lo, s9
.LBB34_32:
	s_delay_alu instid0(SALU_CYCLE_1)
	s_or_b32 exec_lo, exec_lo, s8
	s_wait_loadcnt 0x0
	v_dual_mov_b32 v4, v3 :: v_dual_mov_b32 v3, v2
.LBB34_33:
	s_or_b32 exec_lo, exec_lo, s12
.LBB34_34:
	s_delay_alu instid0(SALU_CYCLE_1) | instskip(NEXT) | instid1(SALU_CYCLE_1)
	s_or_b32 exec_lo, exec_lo, s4
	s_or_b32 exec_lo, exec_lo, s3
                                        ; implicit-def: $vgpr2
	s_and_saveexec_b32 s0, vcc_lo
	s_cbranch_execz .LBB34_37
	s_branch .LBB34_36
.LBB34_35:
	s_or_b32 exec_lo, exec_lo, s3
                                        ; implicit-def: $vgpr2
	s_and_saveexec_b32 s0, vcc_lo
	s_cbranch_execz .LBB34_37
.LBB34_36:
	s_wait_loadcnt 0x1
	v_mul_lo_u16 v2, v28, s5
	s_wait_loadcnt 0x0
	s_delay_alu instid0(VALU_DEP_1)
	v_mul_lo_u16 v2, v2, v29
.LBB34_37:
	s_or_b32 exec_lo, exec_lo, s0
	s_delay_alu instid0(SALU_CYCLE_1)
	s_mov_b32 s3, exec_lo
                                        ; implicit-def: $vgpr5
	v_cmpx_gt_i32_e64 s1, v8
	s_cbranch_execz .LBB34_39
; %bb.38:
	s_wait_loadcnt 0x1
	v_mul_lo_u16 v5, v25, s5
	s_wait_loadcnt 0x0
	s_delay_alu instid0(VALU_DEP_1)
	v_mul_lo_u16 v5, v5, v24
.LBB34_39:
	s_or_b32 exec_lo, exec_lo, s3
	v_or_b32_e32 v6, 0x200, v0
	s_delay_alu instid0(VALU_DEP_1)
	v_cmp_gt_i32_e64 s0, s1, v6
                                        ; implicit-def: $vgpr6
	s_and_saveexec_b32 s3, s0
; %bb.40:
	v_mul_lo_u16 v6, v23, s5
	s_delay_alu instid0(VALU_DEP_1)
	v_mul_lo_u16 v6, v6, v3
; %bb.41:
	s_or_b32 exec_lo, exec_lo, s3
	v_or_b32_e32 v3, 0x300, v0
	s_delay_alu instid0(VALU_DEP_1)
	v_cmp_gt_i32_e64 s0, s1, v3
                                        ; implicit-def: $vgpr3
	s_and_saveexec_b32 s3, s0
; %bb.42:
	v_mul_lo_u16 v3, v19, s5
	s_delay_alu instid0(VALU_DEP_1)
	v_mul_lo_u16 v3, v3, v4
; %bb.43:
	s_or_b32 exec_lo, exec_lo, s3
	v_or_b32_e32 v4, 0x400, v0
	s_delay_alu instid0(VALU_DEP_1)
	v_cmp_gt_i32_e64 s0, s1, v4
                                        ; implicit-def: $vgpr4
	s_and_saveexec_b32 s3, s0
; %bb.44:
	v_mul_lo_u16 v4, v16, s5
	s_delay_alu instid0(VALU_DEP_1)
	v_mul_lo_u16 v4, v4, v12
; %bb.45:
	s_or_b32 exec_lo, exec_lo, s3
	v_or_b32_e32 v7, 0x500, v0
	s_delay_alu instid0(VALU_DEP_1)
	v_cmp_gt_i32_e64 s0, s1, v7
                                        ; implicit-def: $vgpr7
	s_and_saveexec_b32 s3, s0
; %bb.46:
	v_mul_lo_u16 v7, v14, s5
	s_delay_alu instid0(VALU_DEP_1)
	v_mul_lo_u16 v7, v7, v10
; %bb.47:
	s_or_b32 exec_lo, exec_lo, s3
	v_or_b32_e32 v10, 0x600, v0
	s_delay_alu instid0(VALU_DEP_1)
	v_cmp_gt_i32_e64 s0, s1, v10
                                        ; implicit-def: $vgpr10
	s_and_saveexec_b32 s3, s0
; %bb.48:
	v_mul_lo_u16 v10, v15, s5
	s_delay_alu instid0(VALU_DEP_1)
	v_mul_lo_u16 v10, v10, v9
; %bb.49:
	s_or_b32 exec_lo, exec_lo, s3
	v_or_b32_e32 v9, 0x700, v0
	s_delay_alu instid0(VALU_DEP_1)
	v_cmp_gt_i32_e64 s0, s1, v9
                                        ; implicit-def: $vgpr9
	s_and_saveexec_b32 s3, s0
; %bb.50:
	v_mul_lo_u16 v9, v17, s5
	s_delay_alu instid0(VALU_DEP_1)
	v_mul_lo_u16 v9, v9, v11
; %bb.51:
	s_or_b32 exec_lo, exec_lo, s3
	v_or_b32_e32 v11, 0x800, v0
	s_delay_alu instid0(VALU_DEP_1)
	v_cmp_gt_i32_e64 s0, s1, v11
                                        ; implicit-def: $vgpr11
	s_and_saveexec_b32 s3, s0
; %bb.52:
	v_mul_lo_u16 v11, v20, s5
	s_delay_alu instid0(VALU_DEP_1)
	v_mul_lo_u16 v11, v11, v13
; %bb.53:
	s_or_b32 exec_lo, exec_lo, s3
	v_or_b32_e32 v12, 0x900, v0
	s_delay_alu instid0(VALU_DEP_1)
	v_cmp_gt_i32_e64 s0, s1, v12
                                        ; implicit-def: $vgpr12
	s_and_saveexec_b32 s3, s0
; %bb.54:
	v_mul_lo_u16 v12, v22, s5
	s_delay_alu instid0(VALU_DEP_1)
	v_mul_lo_u16 v12, v12, v18
; %bb.55:
	s_or_b32 exec_lo, exec_lo, s3
	v_or_b32_e32 v13, 0xa00, v0
	s_delay_alu instid0(VALU_DEP_1)
	v_cmp_gt_i32_e64 s0, s1, v13
                                        ; implicit-def: $vgpr13
	s_and_saveexec_b32 s3, s0
; %bb.56:
	v_mul_lo_u16 v13, v27, s5
	s_delay_alu instid0(VALU_DEP_1)
	v_mul_lo_u16 v13, v13, v21
; %bb.57:
	s_or_b32 exec_lo, exec_lo, s3
	v_or_b32_e32 v14, 0xb00, v0
	s_delay_alu instid0(VALU_DEP_1)
	v_cmp_gt_i32_e64 s0, s1, v14
                                        ; implicit-def: $vgpr14
	s_and_saveexec_b32 s3, s0
; %bb.58:
	v_mul_lo_u16 v14, v30, s5
	s_delay_alu instid0(VALU_DEP_1)
	v_mul_lo_u16 v14, v14, v26
; %bb.59:
	s_or_b32 exec_lo, exec_lo, s3
	v_or_b32_e32 v15, 0xc00, v0
	s_delay_alu instid0(VALU_DEP_1)
	v_cmp_gt_i32_e64 s0, s1, v15
                                        ; implicit-def: $vgpr15
	s_and_saveexec_b32 s3, s0
; %bb.60:
	v_mul_lo_u16 v15, v32, s5
	s_delay_alu instid0(VALU_DEP_1)
	v_mul_lo_u16 v15, v15, v31
; %bb.61:
	s_or_b32 exec_lo, exec_lo, s3
	v_or_b32_e32 v16, 0xd00, v0
	s_delay_alu instid0(VALU_DEP_1)
	v_cmp_gt_i32_e64 s0, s1, v16
                                        ; implicit-def: $vgpr16
	s_and_saveexec_b32 s3, s0
; %bb.62:
	v_mul_lo_u16 v16, v34, s5
	s_delay_alu instid0(VALU_DEP_1)
	v_mul_lo_u16 v16, v16, v33
; %bb.63:
	s_or_b32 exec_lo, exec_lo, s3
	v_or_b32_e32 v17, 0xe00, v0
	s_delay_alu instid0(VALU_DEP_1)
	v_cmp_gt_i32_e64 s0, s1, v17
                                        ; implicit-def: $vgpr17
	s_and_saveexec_b32 s3, s0
; %bb.64:
	v_mul_lo_u16 v17, v36, s5
	s_delay_alu instid0(VALU_DEP_1)
	v_mul_lo_u16 v17, v17, v35
; %bb.65:
	s_or_b32 exec_lo, exec_lo, s3
	v_or_b32_e32 v18, 0xf00, v0
	s_delay_alu instid0(VALU_DEP_1)
	v_cmp_gt_i32_e64 s0, s1, v18
                                        ; implicit-def: $vgpr18
	s_and_saveexec_b32 s3, s0
	s_cbranch_execz .LBB34_84
; %bb.66:
	v_mul_lo_u16 v18, v38, s5
	s_delay_alu instid0(VALU_DEP_1) | instskip(SKIP_2) | instid1(SALU_CYCLE_1)
	v_mul_lo_u16 v18, v18, v37
	s_or_b32 exec_lo, exec_lo, s3
	s_and_saveexec_b32 s0, vcc_lo
	s_xor_b32 s0, exec_lo, s0
	s_cbranch_execnz .LBB34_85
.LBB34_67:
	s_or_b32 exec_lo, exec_lo, s0
	s_delay_alu instid0(SALU_CYCLE_1)
	s_mov_b32 s0, exec_lo
	v_cmpx_gt_i32_e64 s1, v0
	s_cbranch_execz .LBB34_86
.LBB34_68:
	v_add_nc_u32_e32 v1, s2, v0
	v_add_nc_u32_e32 v0, 0x100, v0
	global_store_b8 v1, v5, s[6:7]
	s_wait_xcnt 0x0
	s_or_b32 exec_lo, exec_lo, s0
	s_delay_alu instid0(SALU_CYCLE_1)
	s_mov_b32 s0, exec_lo
	v_cmpx_gt_i32_e64 s1, v0
	s_cbranch_execnz .LBB34_87
.LBB34_69:
	s_or_b32 exec_lo, exec_lo, s0
	s_delay_alu instid0(SALU_CYCLE_1)
	s_mov_b32 s0, exec_lo
	v_cmpx_gt_i32_e64 s1, v0
	s_cbranch_execz .LBB34_88
.LBB34_70:
	v_add_nc_u32_e32 v1, s2, v0
	v_add_nc_u32_e32 v0, 0x100, v0
	global_store_b8 v1, v3, s[6:7]
	s_wait_xcnt 0x0
	s_or_b32 exec_lo, exec_lo, s0
	s_delay_alu instid0(SALU_CYCLE_1)
	s_mov_b32 s0, exec_lo
	v_cmpx_gt_i32_e64 s1, v0
	s_cbranch_execnz .LBB34_89
.LBB34_71:
	s_or_b32 exec_lo, exec_lo, s0
	s_delay_alu instid0(SALU_CYCLE_1)
	s_mov_b32 s0, exec_lo
	v_cmpx_gt_i32_e64 s1, v0
	s_cbranch_execz .LBB34_90
.LBB34_72:
	v_add_nc_u32_e32 v1, s2, v0
	v_add_nc_u32_e32 v0, 0x100, v0
	global_store_b8 v1, v7, s[6:7]
	s_wait_xcnt 0x0
	s_or_b32 exec_lo, exec_lo, s0
	s_delay_alu instid0(SALU_CYCLE_1)
	s_mov_b32 s0, exec_lo
	v_cmpx_gt_i32_e64 s1, v0
	s_cbranch_execnz .LBB34_91
.LBB34_73:
	s_or_b32 exec_lo, exec_lo, s0
	s_delay_alu instid0(SALU_CYCLE_1)
	s_mov_b32 s0, exec_lo
	v_cmpx_gt_i32_e64 s1, v0
	s_cbranch_execz .LBB34_92
.LBB34_74:
	v_add_nc_u32_e32 v1, s2, v0
	v_add_nc_u32_e32 v0, 0x100, v0
	global_store_b8 v1, v9, s[6:7]
	s_wait_xcnt 0x0
	s_or_b32 exec_lo, exec_lo, s0
	s_delay_alu instid0(SALU_CYCLE_1)
	s_mov_b32 s0, exec_lo
	v_cmpx_gt_i32_e64 s1, v0
	s_cbranch_execnz .LBB34_93
.LBB34_75:
	s_or_b32 exec_lo, exec_lo, s0
	s_delay_alu instid0(SALU_CYCLE_1)
	s_mov_b32 s0, exec_lo
	v_cmpx_gt_i32_e64 s1, v0
	s_cbranch_execz .LBB34_94
.LBB34_76:
	v_add_nc_u32_e32 v1, s2, v0
	v_add_nc_u32_e32 v0, 0x100, v0
	global_store_b8 v1, v12, s[6:7]
	s_wait_xcnt 0x0
	s_or_b32 exec_lo, exec_lo, s0
	s_delay_alu instid0(SALU_CYCLE_1)
	s_mov_b32 s0, exec_lo
	v_cmpx_gt_i32_e64 s1, v0
	s_cbranch_execnz .LBB34_95
.LBB34_77:
	s_or_b32 exec_lo, exec_lo, s0
	s_delay_alu instid0(SALU_CYCLE_1)
	s_mov_b32 s0, exec_lo
	v_cmpx_gt_i32_e64 s1, v0
	s_cbranch_execz .LBB34_96
.LBB34_78:
	v_add_nc_u32_e32 v1, s2, v0
	v_add_nc_u32_e32 v0, 0x100, v0
	global_store_b8 v1, v14, s[6:7]
	s_wait_xcnt 0x0
	s_or_b32 exec_lo, exec_lo, s0
	s_delay_alu instid0(SALU_CYCLE_1)
	s_mov_b32 s0, exec_lo
	v_cmpx_gt_i32_e64 s1, v0
	s_cbranch_execnz .LBB34_97
.LBB34_79:
	s_or_b32 exec_lo, exec_lo, s0
	s_delay_alu instid0(SALU_CYCLE_1)
	s_mov_b32 s0, exec_lo
	v_cmpx_gt_i32_e64 s1, v0
	s_cbranch_execz .LBB34_98
.LBB34_80:
	v_add_nc_u32_e32 v1, s2, v0
	v_add_nc_u32_e32 v0, 0x100, v0
	global_store_b8 v1, v16, s[6:7]
	s_wait_xcnt 0x0
	s_or_b32 exec_lo, exec_lo, s0
	s_delay_alu instid0(SALU_CYCLE_1)
	s_mov_b32 s0, exec_lo
	v_cmpx_gt_i32_e64 s1, v0
	s_cbranch_execnz .LBB34_99
.LBB34_81:
	s_or_b32 exec_lo, exec_lo, s0
	s_delay_alu instid0(SALU_CYCLE_1)
	s_mov_b32 s0, exec_lo
	v_cmpx_gt_i32_e64 s1, v0
	s_cbranch_execz .LBB34_83
.LBB34_82:
	v_add_nc_u32_e32 v0, s2, v0
	global_store_b8 v0, v18, s[6:7]
.LBB34_83:
	s_endpgm
.LBB34_84:
	s_or_b32 exec_lo, exec_lo, s3
	s_and_saveexec_b32 s0, vcc_lo
	s_delay_alu instid0(SALU_CYCLE_1)
	s_xor_b32 s0, exec_lo, s0
	s_cbranch_execz .LBB34_67
.LBB34_85:
	v_mov_b32_e32 v0, v8
	global_store_b8 v1, v2, s[6:7]
	s_wait_xcnt 0x0
	s_or_b32 exec_lo, exec_lo, s0
	s_delay_alu instid0(SALU_CYCLE_1)
	s_mov_b32 s0, exec_lo
	v_cmpx_gt_i32_e64 s1, v0
	s_cbranch_execnz .LBB34_68
.LBB34_86:
	s_or_b32 exec_lo, exec_lo, s0
	s_delay_alu instid0(SALU_CYCLE_1)
	s_mov_b32 s0, exec_lo
	v_cmpx_gt_i32_e64 s1, v0
	s_cbranch_execz .LBB34_69
.LBB34_87:
	v_add_nc_u32_e32 v1, s2, v0
	v_add_nc_u32_e32 v0, 0x100, v0
	global_store_b8 v1, v6, s[6:7]
	s_wait_xcnt 0x0
	s_or_b32 exec_lo, exec_lo, s0
	s_delay_alu instid0(SALU_CYCLE_1)
	s_mov_b32 s0, exec_lo
	v_cmpx_gt_i32_e64 s1, v0
	s_cbranch_execnz .LBB34_70
.LBB34_88:
	s_or_b32 exec_lo, exec_lo, s0
	s_delay_alu instid0(SALU_CYCLE_1)
	s_mov_b32 s0, exec_lo
	v_cmpx_gt_i32_e64 s1, v0
	s_cbranch_execz .LBB34_71
.LBB34_89:
	v_add_nc_u32_e32 v1, s2, v0
	v_add_nc_u32_e32 v0, 0x100, v0
	global_store_b8 v1, v4, s[6:7]
	s_wait_xcnt 0x0
	s_or_b32 exec_lo, exec_lo, s0
	s_delay_alu instid0(SALU_CYCLE_1)
	s_mov_b32 s0, exec_lo
	v_cmpx_gt_i32_e64 s1, v0
	s_cbranch_execnz .LBB34_72
.LBB34_90:
	s_or_b32 exec_lo, exec_lo, s0
	s_delay_alu instid0(SALU_CYCLE_1)
	s_mov_b32 s0, exec_lo
	v_cmpx_gt_i32_e64 s1, v0
	s_cbranch_execz .LBB34_73
.LBB34_91:
	v_add_nc_u32_e32 v1, s2, v0
	v_add_nc_u32_e32 v0, 0x100, v0
	global_store_b8 v1, v10, s[6:7]
	s_wait_xcnt 0x0
	s_or_b32 exec_lo, exec_lo, s0
	s_delay_alu instid0(SALU_CYCLE_1)
	s_mov_b32 s0, exec_lo
	v_cmpx_gt_i32_e64 s1, v0
	s_cbranch_execnz .LBB34_74
.LBB34_92:
	s_or_b32 exec_lo, exec_lo, s0
	s_delay_alu instid0(SALU_CYCLE_1)
	s_mov_b32 s0, exec_lo
	v_cmpx_gt_i32_e64 s1, v0
	s_cbranch_execz .LBB34_75
.LBB34_93:
	v_add_nc_u32_e32 v1, s2, v0
	v_add_nc_u32_e32 v0, 0x100, v0
	global_store_b8 v1, v11, s[6:7]
	s_wait_xcnt 0x0
	s_or_b32 exec_lo, exec_lo, s0
	s_delay_alu instid0(SALU_CYCLE_1)
	s_mov_b32 s0, exec_lo
	v_cmpx_gt_i32_e64 s1, v0
	s_cbranch_execnz .LBB34_76
.LBB34_94:
	s_or_b32 exec_lo, exec_lo, s0
	s_delay_alu instid0(SALU_CYCLE_1)
	s_mov_b32 s0, exec_lo
	v_cmpx_gt_i32_e64 s1, v0
	s_cbranch_execz .LBB34_77
.LBB34_95:
	v_add_nc_u32_e32 v1, s2, v0
	v_add_nc_u32_e32 v0, 0x100, v0
	global_store_b8 v1, v13, s[6:7]
	s_wait_xcnt 0x0
	s_or_b32 exec_lo, exec_lo, s0
	s_delay_alu instid0(SALU_CYCLE_1)
	s_mov_b32 s0, exec_lo
	v_cmpx_gt_i32_e64 s1, v0
	s_cbranch_execnz .LBB34_78
.LBB34_96:
	s_or_b32 exec_lo, exec_lo, s0
	s_delay_alu instid0(SALU_CYCLE_1)
	s_mov_b32 s0, exec_lo
	v_cmpx_gt_i32_e64 s1, v0
	s_cbranch_execz .LBB34_79
.LBB34_97:
	v_add_nc_u32_e32 v1, s2, v0
	v_add_nc_u32_e32 v0, 0x100, v0
	global_store_b8 v1, v15, s[6:7]
	s_wait_xcnt 0x0
	s_or_b32 exec_lo, exec_lo, s0
	s_delay_alu instid0(SALU_CYCLE_1)
	s_mov_b32 s0, exec_lo
	v_cmpx_gt_i32_e64 s1, v0
	s_cbranch_execnz .LBB34_80
.LBB34_98:
	s_or_b32 exec_lo, exec_lo, s0
	s_delay_alu instid0(SALU_CYCLE_1)
	s_mov_b32 s0, exec_lo
	v_cmpx_gt_i32_e64 s1, v0
	s_cbranch_execz .LBB34_81
.LBB34_99:
	v_add_nc_u32_e32 v1, s2, v0
	v_add_nc_u32_e32 v0, 0x100, v0
	global_store_b8 v1, v17, s[6:7]
	s_wait_xcnt 0x0
	s_or_b32 exec_lo, exec_lo, s0
	s_delay_alu instid0(SALU_CYCLE_1)
	s_mov_b32 s0, exec_lo
	v_cmpx_gt_i32_e64 s1, v0
	s_cbranch_execnz .LBB34_82
	s_branch .LBB34_83
	.section	.rodata,"a",@progbits
	.p2align	6, 0x0
	.amdhsa_kernel _ZN2at6native29vectorized_elementwise_kernelILi4EZZZNS0_12_GLOBAL__N_116addr_kernel_cudaERNS_14TensorIteratorERKN3c106ScalarES8_ENKUlvE_clEvENKUlvE0_clEvEUlaaaE_St5arrayIPcLm4EEEEviT0_T1_
		.amdhsa_group_segment_fixed_size 0
		.amdhsa_private_segment_fixed_size 0
		.amdhsa_kernarg_size 40
		.amdhsa_user_sgpr_count 2
		.amdhsa_user_sgpr_dispatch_ptr 0
		.amdhsa_user_sgpr_queue_ptr 0
		.amdhsa_user_sgpr_kernarg_segment_ptr 1
		.amdhsa_user_sgpr_dispatch_id 0
		.amdhsa_user_sgpr_kernarg_preload_length 0
		.amdhsa_user_sgpr_kernarg_preload_offset 0
		.amdhsa_user_sgpr_private_segment_size 0
		.amdhsa_wavefront_size32 1
		.amdhsa_uses_dynamic_stack 0
		.amdhsa_enable_private_segment 0
		.amdhsa_system_sgpr_workgroup_id_x 1
		.amdhsa_system_sgpr_workgroup_id_y 0
		.amdhsa_system_sgpr_workgroup_id_z 0
		.amdhsa_system_sgpr_workgroup_info 0
		.amdhsa_system_vgpr_workitem_id 0
		.amdhsa_next_free_vgpr 39
		.amdhsa_next_free_sgpr 22
		.amdhsa_named_barrier_count 0
		.amdhsa_reserve_vcc 1
		.amdhsa_float_round_mode_32 0
		.amdhsa_float_round_mode_16_64 0
		.amdhsa_float_denorm_mode_32 3
		.amdhsa_float_denorm_mode_16_64 3
		.amdhsa_fp16_overflow 0
		.amdhsa_memory_ordered 1
		.amdhsa_forward_progress 1
		.amdhsa_inst_pref_size 41
		.amdhsa_round_robin_scheduling 0
		.amdhsa_exception_fp_ieee_invalid_op 0
		.amdhsa_exception_fp_denorm_src 0
		.amdhsa_exception_fp_ieee_div_zero 0
		.amdhsa_exception_fp_ieee_overflow 0
		.amdhsa_exception_fp_ieee_underflow 0
		.amdhsa_exception_fp_ieee_inexact 0
		.amdhsa_exception_int_div_zero 0
	.end_amdhsa_kernel
	.section	.text._ZN2at6native29vectorized_elementwise_kernelILi4EZZZNS0_12_GLOBAL__N_116addr_kernel_cudaERNS_14TensorIteratorERKN3c106ScalarES8_ENKUlvE_clEvENKUlvE0_clEvEUlaaaE_St5arrayIPcLm4EEEEviT0_T1_,"axG",@progbits,_ZN2at6native29vectorized_elementwise_kernelILi4EZZZNS0_12_GLOBAL__N_116addr_kernel_cudaERNS_14TensorIteratorERKN3c106ScalarES8_ENKUlvE_clEvENKUlvE0_clEvEUlaaaE_St5arrayIPcLm4EEEEviT0_T1_,comdat
.Lfunc_end34:
	.size	_ZN2at6native29vectorized_elementwise_kernelILi4EZZZNS0_12_GLOBAL__N_116addr_kernel_cudaERNS_14TensorIteratorERKN3c106ScalarES8_ENKUlvE_clEvENKUlvE0_clEvEUlaaaE_St5arrayIPcLm4EEEEviT0_T1_, .Lfunc_end34-_ZN2at6native29vectorized_elementwise_kernelILi4EZZZNS0_12_GLOBAL__N_116addr_kernel_cudaERNS_14TensorIteratorERKN3c106ScalarES8_ENKUlvE_clEvENKUlvE0_clEvEUlaaaE_St5arrayIPcLm4EEEEviT0_T1_
                                        ; -- End function
	.set _ZN2at6native29vectorized_elementwise_kernelILi4EZZZNS0_12_GLOBAL__N_116addr_kernel_cudaERNS_14TensorIteratorERKN3c106ScalarES8_ENKUlvE_clEvENKUlvE0_clEvEUlaaaE_St5arrayIPcLm4EEEEviT0_T1_.num_vgpr, 39
	.set _ZN2at6native29vectorized_elementwise_kernelILi4EZZZNS0_12_GLOBAL__N_116addr_kernel_cudaERNS_14TensorIteratorERKN3c106ScalarES8_ENKUlvE_clEvENKUlvE0_clEvEUlaaaE_St5arrayIPcLm4EEEEviT0_T1_.num_agpr, 0
	.set _ZN2at6native29vectorized_elementwise_kernelILi4EZZZNS0_12_GLOBAL__N_116addr_kernel_cudaERNS_14TensorIteratorERKN3c106ScalarES8_ENKUlvE_clEvENKUlvE0_clEvEUlaaaE_St5arrayIPcLm4EEEEviT0_T1_.numbered_sgpr, 22
	.set _ZN2at6native29vectorized_elementwise_kernelILi4EZZZNS0_12_GLOBAL__N_116addr_kernel_cudaERNS_14TensorIteratorERKN3c106ScalarES8_ENKUlvE_clEvENKUlvE0_clEvEUlaaaE_St5arrayIPcLm4EEEEviT0_T1_.num_named_barrier, 0
	.set _ZN2at6native29vectorized_elementwise_kernelILi4EZZZNS0_12_GLOBAL__N_116addr_kernel_cudaERNS_14TensorIteratorERKN3c106ScalarES8_ENKUlvE_clEvENKUlvE0_clEvEUlaaaE_St5arrayIPcLm4EEEEviT0_T1_.private_seg_size, 0
	.set _ZN2at6native29vectorized_elementwise_kernelILi4EZZZNS0_12_GLOBAL__N_116addr_kernel_cudaERNS_14TensorIteratorERKN3c106ScalarES8_ENKUlvE_clEvENKUlvE0_clEvEUlaaaE_St5arrayIPcLm4EEEEviT0_T1_.uses_vcc, 1
	.set _ZN2at6native29vectorized_elementwise_kernelILi4EZZZNS0_12_GLOBAL__N_116addr_kernel_cudaERNS_14TensorIteratorERKN3c106ScalarES8_ENKUlvE_clEvENKUlvE0_clEvEUlaaaE_St5arrayIPcLm4EEEEviT0_T1_.uses_flat_scratch, 0
	.set _ZN2at6native29vectorized_elementwise_kernelILi4EZZZNS0_12_GLOBAL__N_116addr_kernel_cudaERNS_14TensorIteratorERKN3c106ScalarES8_ENKUlvE_clEvENKUlvE0_clEvEUlaaaE_St5arrayIPcLm4EEEEviT0_T1_.has_dyn_sized_stack, 0
	.set _ZN2at6native29vectorized_elementwise_kernelILi4EZZZNS0_12_GLOBAL__N_116addr_kernel_cudaERNS_14TensorIteratorERKN3c106ScalarES8_ENKUlvE_clEvENKUlvE0_clEvEUlaaaE_St5arrayIPcLm4EEEEviT0_T1_.has_recursion, 0
	.set _ZN2at6native29vectorized_elementwise_kernelILi4EZZZNS0_12_GLOBAL__N_116addr_kernel_cudaERNS_14TensorIteratorERKN3c106ScalarES8_ENKUlvE_clEvENKUlvE0_clEvEUlaaaE_St5arrayIPcLm4EEEEviT0_T1_.has_indirect_call, 0
	.section	.AMDGPU.csdata,"",@progbits
; Kernel info:
; codeLenInByte = 5236
; TotalNumSgprs: 24
; NumVgprs: 39
; ScratchSize: 0
; MemoryBound: 0
; FloatMode: 240
; IeeeMode: 1
; LDSByteSize: 0 bytes/workgroup (compile time only)
; SGPRBlocks: 0
; VGPRBlocks: 2
; NumSGPRsForWavesPerEU: 24
; NumVGPRsForWavesPerEU: 39
; NamedBarCnt: 0
; Occupancy: 16
; WaveLimiterHint : 1
; COMPUTE_PGM_RSRC2:SCRATCH_EN: 0
; COMPUTE_PGM_RSRC2:USER_SGPR: 2
; COMPUTE_PGM_RSRC2:TRAP_HANDLER: 0
; COMPUTE_PGM_RSRC2:TGID_X_EN: 1
; COMPUTE_PGM_RSRC2:TGID_Y_EN: 0
; COMPUTE_PGM_RSRC2:TGID_Z_EN: 0
; COMPUTE_PGM_RSRC2:TIDIG_COMP_CNT: 0
	.section	.text._ZN2at6native29vectorized_elementwise_kernelILi2EZZZNS0_12_GLOBAL__N_116addr_kernel_cudaERNS_14TensorIteratorERKN3c106ScalarES8_ENKUlvE_clEvENKUlvE0_clEvEUlaaaE_St5arrayIPcLm4EEEEviT0_T1_,"axG",@progbits,_ZN2at6native29vectorized_elementwise_kernelILi2EZZZNS0_12_GLOBAL__N_116addr_kernel_cudaERNS_14TensorIteratorERKN3c106ScalarES8_ENKUlvE_clEvENKUlvE0_clEvEUlaaaE_St5arrayIPcLm4EEEEviT0_T1_,comdat
	.globl	_ZN2at6native29vectorized_elementwise_kernelILi2EZZZNS0_12_GLOBAL__N_116addr_kernel_cudaERNS_14TensorIteratorERKN3c106ScalarES8_ENKUlvE_clEvENKUlvE0_clEvEUlaaaE_St5arrayIPcLm4EEEEviT0_T1_ ; -- Begin function _ZN2at6native29vectorized_elementwise_kernelILi2EZZZNS0_12_GLOBAL__N_116addr_kernel_cudaERNS_14TensorIteratorERKN3c106ScalarES8_ENKUlvE_clEvENKUlvE0_clEvEUlaaaE_St5arrayIPcLm4EEEEviT0_T1_
	.p2align	8
	.type	_ZN2at6native29vectorized_elementwise_kernelILi2EZZZNS0_12_GLOBAL__N_116addr_kernel_cudaERNS_14TensorIteratorERKN3c106ScalarES8_ENKUlvE_clEvENKUlvE0_clEvEUlaaaE_St5arrayIPcLm4EEEEviT0_T1_,@function
_ZN2at6native29vectorized_elementwise_kernelILi2EZZZNS0_12_GLOBAL__N_116addr_kernel_cudaERNS_14TensorIteratorERKN3c106ScalarES8_ENKUlvE_clEvENKUlvE0_clEvEUlaaaE_St5arrayIPcLm4EEEEviT0_T1_: ; @_ZN2at6native29vectorized_elementwise_kernelILi2EZZZNS0_12_GLOBAL__N_116addr_kernel_cudaERNS_14TensorIteratorERKN3c106ScalarES8_ENKUlvE_clEvENKUlvE0_clEvEUlaaaE_St5arrayIPcLm4EEEEviT0_T1_
; %bb.0:
	s_clause 0x1
	s_load_b128 s[4:7], s[0:1], 0x0
	s_load_b128 s[8:11], s[0:1], 0x18
	s_wait_xcnt 0x0
	s_bfe_u32 s0, ttmp6, 0x4000c
	s_and_b32 s1, ttmp6, 15
	s_add_co_i32 s0, s0, 1
	s_getreg_b32 s2, hwreg(HW_REG_IB_STS2, 6, 4)
	s_mul_i32 s0, ttmp9, s0
	s_delay_alu instid0(SALU_CYCLE_1) | instskip(SKIP_2) | instid1(SALU_CYCLE_1)
	s_add_co_i32 s1, s1, s0
	s_cmp_eq_u32 s2, 0
	s_cselect_b32 s0, ttmp9, s1
	s_lshl_b32 s2, s0, 12
	s_mov_b32 s0, -1
	s_wait_kmcnt 0x0
	s_sub_co_i32 s1, s4, s2
	s_delay_alu instid0(SALU_CYCLE_1)
	s_cmp_gt_i32 s1, 0xfff
	s_cbranch_scc0 .LBB35_2
; %bb.1:
	s_ashr_i32 s3, s2, 31
	s_mov_b32 s0, 0
	s_add_nc_u64 s[12:13], s[8:9], s[2:3]
	s_add_nc_u64 s[14:15], s[10:11], s[2:3]
	s_clause 0xf
	global_load_u16 v1, v0, s[12:13] scale_offset
	global_load_u16 v2, v0, s[12:13] offset:512 scale_offset
	global_load_u16 v3, v0, s[12:13] offset:1024 scale_offset
	;; [unrolled: 1-line block ×7, first 2 shown]
	global_load_u16 v9, v0, s[14:15] scale_offset
	global_load_u16 v10, v0, s[14:15] offset:512 scale_offset
	global_load_u16 v11, v0, s[14:15] offset:1024 scale_offset
	global_load_u16 v12, v0, s[14:15] offset:1536 scale_offset
	global_load_u16 v13, v0, s[14:15] offset:2048 scale_offset
	global_load_u16 v14, v0, s[14:15] offset:2560 scale_offset
	global_load_u16 v15, v0, s[14:15] offset:3072 scale_offset
	; meta instruction
	global_load_u16 v16, v0, s[14:15] offset:3584 scale_offset
	s_wait_xcnt 0x8
	s_add_nc_u64 s[12:13], s[6:7], s[2:3]
	s_wait_loadcnt 0xf
	v_lshrrev_b16 v17, 8, v1
	v_mul_lo_u16 v1, s5, v1
	s_wait_loadcnt 0xe
	v_lshrrev_b16 v18, 8, v2
	v_mul_lo_u16 v2, s5, v2
	;; [unrolled: 3-line block ×5, first 2 shown]
	s_wait_loadcnt 0xa
	v_lshrrev_b16 v22, 8, v6
	s_wait_loadcnt 0x9
	v_lshrrev_b16 v23, 8, v7
	;; [unrolled: 2-line block ×4, first 2 shown]
	v_mul_lo_u16 v6, s5, v6
	v_mul_lo_u16 v7, s5, v7
	;; [unrolled: 1-line block ×5, first 2 shown]
	s_wait_loadcnt 0x6
	v_lshrrev_b16 v26, 8, v10
	v_mul_lo_u16 v2, v2, v10
	v_mul_lo_u16 v10, s5, v18
	s_wait_loadcnt 0x5
	v_lshrrev_b16 v27, 8, v11
	v_mul_lo_u16 v3, v3, v11
	v_mul_lo_u16 v11, s5, v19
	;; [unrolled: 4-line block ×4, first 2 shown]
	s_wait_loadcnt 0x2
	v_lshrrev_b16 v30, 8, v14
	s_wait_loadcnt 0x1
	v_lshrrev_b16 v31, 8, v15
	;; [unrolled: 2-line block ×3, first 2 shown]
	v_mul_lo_u16 v6, v6, v14
	v_mul_lo_u16 v14, s5, v22
	;; [unrolled: 1-line block ×14, first 2 shown]
	v_lshlrev_b16 v9, 8, v9
	v_lshlrev_b16 v10, 8, v10
	;; [unrolled: 1-line block ×8, first 2 shown]
	v_bitop3_b16 v1, v9, v1, 0xff bitop3:0xf8
	v_bitop3_b16 v2, v10, v2, 0xff bitop3:0xf8
	;; [unrolled: 1-line block ×8, first 2 shown]
	s_clause 0x7
	global_store_b16 v0, v1, s[12:13] scale_offset
	global_store_b16 v0, v2, s[12:13] offset:512 scale_offset
	global_store_b16 v0, v3, s[12:13] offset:1024 scale_offset
	;; [unrolled: 1-line block ×7, first 2 shown]
.LBB35_2:
	s_and_not1_b32 vcc_lo, exec_lo, s0
	s_cbranch_vccnz .LBB35_83
; %bb.3:
	v_cmp_gt_i32_e32 vcc_lo, s1, v0
	s_wait_xcnt 0x7
	v_dual_mov_b32 v38, 0 :: v_dual_bitop2_b32 v1, s2, v0 bitop3:0x54
	s_wait_xcnt 0x0
	v_or_b32_e32 v8, 0x100, v0
	v_dual_mov_b32 v37, 0 :: v_dual_mov_b32 v36, 0
	v_dual_mov_b32 v35, 0 :: v_dual_mov_b32 v34, 0
	;; [unrolled: 1-line block ×15, first 2 shown]
	v_mov_b32_e32 v29, 0
	s_and_saveexec_b32 s3, vcc_lo
	s_cbranch_execz .LBB35_35
; %bb.4:
	s_clause 0x1
	global_load_u8 v28, v1, s[8:9]
	global_load_u8 v29, v1, s[10:11]
	v_or_b32_e32 v2, 0x100, v0
	v_dual_mov_b32 v24, 0 :: v_dual_mov_b32 v25, 0
	v_dual_mov_b32 v3, 0 :: v_dual_mov_b32 v23, 0
	s_delay_alu instid0(VALU_DEP_3)
	v_cmp_gt_u32_e64 s0, s1, v2
	v_dual_mov_b32 v4, 0 :: v_dual_mov_b32 v19, 0
	v_dual_mov_b32 v12, 0 :: v_dual_mov_b32 v16, 0
	;; [unrolled: 1-line block ×13, first 2 shown]
	s_wait_xcnt 0x0
	s_and_saveexec_b32 s4, s0
	s_cbranch_execz .LBB35_34
; %bb.5:
	v_dual_mov_b32 v3, 0 :: v_dual_add_nc_u32 v2, s2, v0
	v_or_b32_e32 v4, 0x200, v0
	v_dual_mov_b32 v23, 0 :: v_dual_mov_b32 v19, 0
	v_mov_b32_e32 v12, 0
	s_clause 0x1
	global_load_u8 v25, v2, s[8:9] offset:256
	global_load_u8 v24, v2, s[10:11] offset:256
	v_cmp_gt_u32_e64 s0, s1, v4
	v_dual_mov_b32 v4, 0 :: v_dual_mov_b32 v16, 0
	v_dual_mov_b32 v10, 0 :: v_dual_mov_b32 v14, 0
	;; [unrolled: 1-line block ×12, first 2 shown]
	s_wait_xcnt 0x0
	s_and_saveexec_b32 s12, s0
	s_cbranch_execz .LBB35_33
; %bb.6:
	v_add_nc_u64_e32 v[4:5], s[8:9], v[2:3]
	v_add_nc_u64_e32 v[6:7], s[10:11], v[2:3]
	v_or_b32_e32 v9, 0x300, v0
	v_dual_mov_b32 v19, 0 :: v_dual_mov_b32 v12, 0
	v_dual_mov_b32 v16, 0 :: v_dual_mov_b32 v10, 0
	global_load_u8 v23, v[4:5], off offset:512
	global_load_u8 v2, v[6:7], off offset:512
	v_cmp_gt_u32_e64 s0, s1, v9
	v_dual_mov_b32 v14, 0 :: v_dual_mov_b32 v9, 0
	v_dual_mov_b32 v15, 0 :: v_dual_mov_b32 v11, 0
	;; [unrolled: 1-line block ×10, first 2 shown]
	v_mov_b32_e32 v38, 0
	s_wait_xcnt 0x0
	s_and_saveexec_b32 s8, s0
	s_cbranch_execz .LBB35_32
; %bb.7:
	global_load_u8 v19, v[4:5], off offset:768
	global_load_u8 v3, v[6:7], off offset:768
	v_or_b32_e32 v9, 0x400, v0
	v_dual_mov_b32 v12, 0 :: v_dual_mov_b32 v16, 0
	v_dual_mov_b32 v10, 0 :: v_dual_mov_b32 v14, 0
	s_delay_alu instid0(VALU_DEP_3)
	v_cmp_gt_u32_e64 s0, s1, v9
	v_dual_mov_b32 v9, 0 :: v_dual_mov_b32 v15, 0
	v_dual_mov_b32 v11, 0 :: v_dual_mov_b32 v17, 0
	;; [unrolled: 1-line block ×10, first 2 shown]
	s_wait_xcnt 0x0
	s_and_saveexec_b32 s9, s0
	s_cbranch_execz .LBB35_31
; %bb.8:
	global_load_u8 v16, v[4:5], off offset:1024
	global_load_u8 v12, v[6:7], off offset:1024
	v_or_b32_e32 v9, 0x500, v0
	v_dual_mov_b32 v10, 0 :: v_dual_mov_b32 v14, 0
	v_dual_mov_b32 v11, 0 :: v_dual_mov_b32 v17, 0
	s_delay_alu instid0(VALU_DEP_3)
	v_cmp_gt_u32_e64 s0, s1, v9
	v_dual_mov_b32 v9, 0 :: v_dual_mov_b32 v15, 0
	v_dual_mov_b32 v13, 0 :: v_dual_mov_b32 v20, 0
	;; [unrolled: 1-line block ×9, first 2 shown]
	s_wait_xcnt 0x0
	s_and_saveexec_b32 s10, s0
	s_cbranch_execz .LBB35_30
; %bb.9:
	global_load_u8 v14, v[4:5], off offset:1280
	global_load_u8 v10, v[6:7], off offset:1280
	v_or_b32_e32 v9, 0x600, v0
	v_dual_mov_b32 v11, 0 :: v_dual_mov_b32 v17, 0
	v_dual_mov_b32 v13, 0 :: v_dual_mov_b32 v20, 0
	s_delay_alu instid0(VALU_DEP_3)
	v_cmp_gt_u32_e64 s0, s1, v9
	v_dual_mov_b32 v9, 0 :: v_dual_mov_b32 v15, 0
	v_dual_mov_b32 v18, 0 :: v_dual_mov_b32 v22, 0
	;; [unrolled: 1-line block ×8, first 2 shown]
	s_wait_xcnt 0x0
	s_and_saveexec_b32 s11, s0
	s_cbranch_execz .LBB35_29
; %bb.10:
	global_load_u8 v15, v[4:5], off offset:1536
	global_load_u8 v9, v[6:7], off offset:1536
	v_or_b32_e32 v11, 0x700, v0
	v_dual_mov_b32 v13, 0 :: v_dual_mov_b32 v20, 0
	v_dual_mov_b32 v18, 0 :: v_dual_mov_b32 v22, 0
	s_delay_alu instid0(VALU_DEP_3)
	v_cmp_gt_u32_e64 s0, s1, v11
	v_dual_mov_b32 v11, 0 :: v_dual_mov_b32 v17, 0
	v_dual_mov_b32 v21, 0 :: v_dual_mov_b32 v27, 0
	;; [unrolled: 1-line block ×7, first 2 shown]
	s_wait_xcnt 0x0
	s_and_saveexec_b32 s13, s0
	s_cbranch_execz .LBB35_28
; %bb.11:
	global_load_u8 v17, v[4:5], off offset:1792
	global_load_u8 v11, v[6:7], off offset:1792
	v_or_b32_e32 v13, 0x800, v0
	v_dual_mov_b32 v18, 0 :: v_dual_mov_b32 v22, 0
	v_dual_mov_b32 v21, 0 :: v_dual_mov_b32 v27, 0
	s_delay_alu instid0(VALU_DEP_3)
	v_cmp_gt_u32_e64 s0, s1, v13
	v_dual_mov_b32 v13, 0 :: v_dual_mov_b32 v20, 0
	v_dual_mov_b32 v26, 0 :: v_dual_mov_b32 v30, 0
	;; [unrolled: 1-line block ×6, first 2 shown]
	s_wait_xcnt 0x0
	s_and_saveexec_b32 s14, s0
	s_cbranch_execz .LBB35_27
; %bb.12:
	global_load_u8 v20, v[4:5], off offset:2048
	global_load_u8 v13, v[6:7], off offset:2048
	v_or_b32_e32 v18, 0x900, v0
	v_dual_mov_b32 v21, 0 :: v_dual_mov_b32 v27, 0
	v_dual_mov_b32 v26, 0 :: v_dual_mov_b32 v30, 0
	s_delay_alu instid0(VALU_DEP_3)
	v_cmp_gt_u32_e64 s0, s1, v18
	v_dual_mov_b32 v18, 0 :: v_dual_mov_b32 v22, 0
	v_dual_mov_b32 v31, 0 :: v_dual_mov_b32 v32, 0
	;; [unrolled: 1-line block ×5, first 2 shown]
	s_wait_xcnt 0x0
	s_and_saveexec_b32 s15, s0
	s_cbranch_execz .LBB35_26
; %bb.13:
	global_load_u8 v22, v[4:5], off offset:2304
	global_load_u8 v18, v[6:7], off offset:2304
	v_or_b32_e32 v21, 0xa00, v0
	v_dual_mov_b32 v26, 0 :: v_dual_mov_b32 v30, 0
	v_dual_mov_b32 v31, 0 :: v_dual_mov_b32 v32, 0
	s_delay_alu instid0(VALU_DEP_3)
	v_cmp_gt_u32_e64 s0, s1, v21
	v_dual_mov_b32 v21, 0 :: v_dual_mov_b32 v27, 0
	v_dual_mov_b32 v33, 0 :: v_dual_mov_b32 v34, 0
	;; [unrolled: 1-line block ×4, first 2 shown]
	s_wait_xcnt 0x0
	s_and_saveexec_b32 s16, s0
	s_cbranch_execz .LBB35_25
; %bb.14:
	global_load_u8 v27, v[4:5], off offset:2560
	global_load_u8 v21, v[6:7], off offset:2560
	v_or_b32_e32 v26, 0xb00, v0
	v_dual_mov_b32 v31, 0 :: v_dual_mov_b32 v32, 0
	v_dual_mov_b32 v33, 0 :: v_dual_mov_b32 v34, 0
	s_delay_alu instid0(VALU_DEP_3)
	v_cmp_gt_u32_e64 s0, s1, v26
	v_dual_mov_b32 v26, 0 :: v_dual_mov_b32 v30, 0
	v_dual_mov_b32 v35, 0 :: v_dual_mov_b32 v36, 0
	;; [unrolled: 1-line block ×3, first 2 shown]
	s_wait_xcnt 0x0
	s_and_saveexec_b32 s17, s0
	s_cbranch_execz .LBB35_24
; %bb.15:
	global_load_u8 v30, v[4:5], off offset:2816
	global_load_u8 v26, v[6:7], off offset:2816
	v_or_b32_e32 v31, 0xc00, v0
	v_dual_mov_b32 v33, 0 :: v_dual_mov_b32 v34, 0
	v_dual_mov_b32 v35, 0 :: v_dual_mov_b32 v36, 0
	s_delay_alu instid0(VALU_DEP_3)
	v_cmp_gt_u32_e64 s0, s1, v31
	v_dual_mov_b32 v31, 0 :: v_dual_mov_b32 v32, 0
	v_dual_mov_b32 v37, 0 :: v_dual_mov_b32 v38, 0
	s_wait_xcnt 0x0
	s_and_saveexec_b32 s18, s0
	s_cbranch_execz .LBB35_23
; %bb.16:
	global_load_u8 v32, v[4:5], off offset:3072
	global_load_u8 v31, v[6:7], off offset:3072
	v_or_b32_e32 v33, 0xd00, v0
	v_dual_mov_b32 v35, 0 :: v_dual_mov_b32 v36, 0
	v_dual_mov_b32 v37, 0 :: v_dual_mov_b32 v38, 0
	s_delay_alu instid0(VALU_DEP_3)
	v_cmp_gt_u32_e64 s0, s1, v33
	v_dual_mov_b32 v33, 0 :: v_dual_mov_b32 v34, 0
	s_wait_xcnt 0x0
	s_and_saveexec_b32 s19, s0
	s_cbranch_execz .LBB35_22
; %bb.17:
	global_load_u8 v34, v[4:5], off offset:3328
	global_load_u8 v33, v[6:7], off offset:3328
	v_or_b32_e32 v35, 0xe00, v0
	v_dual_mov_b32 v37, 0 :: v_dual_mov_b32 v38, 0
	v_mov_b32_e32 v36, 0
	s_delay_alu instid0(VALU_DEP_3)
	v_cmp_gt_u32_e64 s0, s1, v35
	v_mov_b32_e32 v35, 0
	s_wait_xcnt 0x0
	s_and_saveexec_b32 s20, s0
	s_cbranch_execz .LBB35_21
; %bb.18:
	global_load_u8 v36, v[4:5], off offset:3584
	global_load_u8 v35, v[6:7], off offset:3584
	v_or_b32_e32 v37, 0xf00, v0
	v_mov_b32_e32 v38, 0
	s_delay_alu instid0(VALU_DEP_2)
	v_cmp_gt_u32_e64 s0, s1, v37
	v_mov_b32_e32 v37, 0
	s_wait_xcnt 0x0
	s_and_saveexec_b32 s21, s0
	s_cbranch_execz .LBB35_20
; %bb.19:
	global_load_u8 v38, v[4:5], off offset:3840
	global_load_u8 v37, v[6:7], off offset:3840
.LBB35_20:
	s_wait_xcnt 0x0
	s_or_b32 exec_lo, exec_lo, s21
.LBB35_21:
	s_delay_alu instid0(SALU_CYCLE_1)
	s_or_b32 exec_lo, exec_lo, s20
.LBB35_22:
	s_delay_alu instid0(SALU_CYCLE_1)
	s_or_b32 exec_lo, exec_lo, s19
.LBB35_23:
	s_delay_alu instid0(SALU_CYCLE_1)
	s_or_b32 exec_lo, exec_lo, s18
.LBB35_24:
	s_delay_alu instid0(SALU_CYCLE_1)
	s_or_b32 exec_lo, exec_lo, s17
.LBB35_25:
	s_delay_alu instid0(SALU_CYCLE_1)
	s_or_b32 exec_lo, exec_lo, s16
.LBB35_26:
	s_delay_alu instid0(SALU_CYCLE_1)
	s_or_b32 exec_lo, exec_lo, s15
.LBB35_27:
	s_delay_alu instid0(SALU_CYCLE_1)
	s_or_b32 exec_lo, exec_lo, s14
.LBB35_28:
	s_delay_alu instid0(SALU_CYCLE_1)
	s_or_b32 exec_lo, exec_lo, s13
.LBB35_29:
	s_delay_alu instid0(SALU_CYCLE_1)
	s_or_b32 exec_lo, exec_lo, s11
.LBB35_30:
	s_delay_alu instid0(SALU_CYCLE_1)
	s_or_b32 exec_lo, exec_lo, s10
.LBB35_31:
	s_delay_alu instid0(SALU_CYCLE_1)
	s_or_b32 exec_lo, exec_lo, s9
.LBB35_32:
	s_delay_alu instid0(SALU_CYCLE_1)
	s_or_b32 exec_lo, exec_lo, s8
	s_wait_loadcnt 0x0
	v_dual_mov_b32 v4, v3 :: v_dual_mov_b32 v3, v2
.LBB35_33:
	s_or_b32 exec_lo, exec_lo, s12
.LBB35_34:
	s_delay_alu instid0(SALU_CYCLE_1) | instskip(NEXT) | instid1(SALU_CYCLE_1)
	s_or_b32 exec_lo, exec_lo, s4
	s_or_b32 exec_lo, exec_lo, s3
                                        ; implicit-def: $vgpr2
	s_and_saveexec_b32 s0, vcc_lo
	s_cbranch_execz .LBB35_37
	s_branch .LBB35_36
.LBB35_35:
	s_or_b32 exec_lo, exec_lo, s3
                                        ; implicit-def: $vgpr2
	s_and_saveexec_b32 s0, vcc_lo
	s_cbranch_execz .LBB35_37
.LBB35_36:
	s_wait_loadcnt 0x1
	v_mul_lo_u16 v2, v28, s5
	s_wait_loadcnt 0x0
	s_delay_alu instid0(VALU_DEP_1)
	v_mul_lo_u16 v2, v2, v29
.LBB35_37:
	s_or_b32 exec_lo, exec_lo, s0
	s_delay_alu instid0(SALU_CYCLE_1)
	s_mov_b32 s3, exec_lo
                                        ; implicit-def: $vgpr5
	v_cmpx_gt_i32_e64 s1, v8
	s_cbranch_execz .LBB35_39
; %bb.38:
	s_wait_loadcnt 0x1
	v_mul_lo_u16 v5, v25, s5
	s_wait_loadcnt 0x0
	s_delay_alu instid0(VALU_DEP_1)
	v_mul_lo_u16 v5, v5, v24
.LBB35_39:
	s_or_b32 exec_lo, exec_lo, s3
	v_or_b32_e32 v6, 0x200, v0
	s_delay_alu instid0(VALU_DEP_1)
	v_cmp_gt_i32_e64 s0, s1, v6
                                        ; implicit-def: $vgpr6
	s_and_saveexec_b32 s3, s0
; %bb.40:
	v_mul_lo_u16 v6, v23, s5
	s_delay_alu instid0(VALU_DEP_1)
	v_mul_lo_u16 v6, v6, v3
; %bb.41:
	s_or_b32 exec_lo, exec_lo, s3
	v_or_b32_e32 v3, 0x300, v0
	s_delay_alu instid0(VALU_DEP_1)
	v_cmp_gt_i32_e64 s0, s1, v3
                                        ; implicit-def: $vgpr3
	s_and_saveexec_b32 s3, s0
; %bb.42:
	v_mul_lo_u16 v3, v19, s5
	s_delay_alu instid0(VALU_DEP_1)
	v_mul_lo_u16 v3, v3, v4
; %bb.43:
	s_or_b32 exec_lo, exec_lo, s3
	v_or_b32_e32 v4, 0x400, v0
	s_delay_alu instid0(VALU_DEP_1)
	v_cmp_gt_i32_e64 s0, s1, v4
                                        ; implicit-def: $vgpr4
	s_and_saveexec_b32 s3, s0
; %bb.44:
	v_mul_lo_u16 v4, v16, s5
	s_delay_alu instid0(VALU_DEP_1)
	v_mul_lo_u16 v4, v4, v12
; %bb.45:
	s_or_b32 exec_lo, exec_lo, s3
	v_or_b32_e32 v7, 0x500, v0
	s_delay_alu instid0(VALU_DEP_1)
	v_cmp_gt_i32_e64 s0, s1, v7
                                        ; implicit-def: $vgpr7
	s_and_saveexec_b32 s3, s0
; %bb.46:
	v_mul_lo_u16 v7, v14, s5
	s_delay_alu instid0(VALU_DEP_1)
	v_mul_lo_u16 v7, v7, v10
; %bb.47:
	s_or_b32 exec_lo, exec_lo, s3
	v_or_b32_e32 v10, 0x600, v0
	s_delay_alu instid0(VALU_DEP_1)
	v_cmp_gt_i32_e64 s0, s1, v10
                                        ; implicit-def: $vgpr10
	s_and_saveexec_b32 s3, s0
; %bb.48:
	v_mul_lo_u16 v10, v15, s5
	s_delay_alu instid0(VALU_DEP_1)
	v_mul_lo_u16 v10, v10, v9
; %bb.49:
	s_or_b32 exec_lo, exec_lo, s3
	v_or_b32_e32 v9, 0x700, v0
	s_delay_alu instid0(VALU_DEP_1)
	v_cmp_gt_i32_e64 s0, s1, v9
                                        ; implicit-def: $vgpr9
	s_and_saveexec_b32 s3, s0
; %bb.50:
	v_mul_lo_u16 v9, v17, s5
	s_delay_alu instid0(VALU_DEP_1)
	v_mul_lo_u16 v9, v9, v11
; %bb.51:
	s_or_b32 exec_lo, exec_lo, s3
	v_or_b32_e32 v11, 0x800, v0
	s_delay_alu instid0(VALU_DEP_1)
	v_cmp_gt_i32_e64 s0, s1, v11
                                        ; implicit-def: $vgpr11
	s_and_saveexec_b32 s3, s0
; %bb.52:
	v_mul_lo_u16 v11, v20, s5
	s_delay_alu instid0(VALU_DEP_1)
	v_mul_lo_u16 v11, v11, v13
; %bb.53:
	s_or_b32 exec_lo, exec_lo, s3
	v_or_b32_e32 v12, 0x900, v0
	s_delay_alu instid0(VALU_DEP_1)
	v_cmp_gt_i32_e64 s0, s1, v12
                                        ; implicit-def: $vgpr12
	s_and_saveexec_b32 s3, s0
; %bb.54:
	v_mul_lo_u16 v12, v22, s5
	s_delay_alu instid0(VALU_DEP_1)
	v_mul_lo_u16 v12, v12, v18
; %bb.55:
	s_or_b32 exec_lo, exec_lo, s3
	v_or_b32_e32 v13, 0xa00, v0
	s_delay_alu instid0(VALU_DEP_1)
	v_cmp_gt_i32_e64 s0, s1, v13
                                        ; implicit-def: $vgpr13
	s_and_saveexec_b32 s3, s0
; %bb.56:
	v_mul_lo_u16 v13, v27, s5
	s_delay_alu instid0(VALU_DEP_1)
	v_mul_lo_u16 v13, v13, v21
; %bb.57:
	s_or_b32 exec_lo, exec_lo, s3
	v_or_b32_e32 v14, 0xb00, v0
	s_delay_alu instid0(VALU_DEP_1)
	v_cmp_gt_i32_e64 s0, s1, v14
                                        ; implicit-def: $vgpr14
	s_and_saveexec_b32 s3, s0
; %bb.58:
	v_mul_lo_u16 v14, v30, s5
	s_delay_alu instid0(VALU_DEP_1)
	v_mul_lo_u16 v14, v14, v26
; %bb.59:
	s_or_b32 exec_lo, exec_lo, s3
	v_or_b32_e32 v15, 0xc00, v0
	s_delay_alu instid0(VALU_DEP_1)
	v_cmp_gt_i32_e64 s0, s1, v15
                                        ; implicit-def: $vgpr15
	s_and_saveexec_b32 s3, s0
; %bb.60:
	v_mul_lo_u16 v15, v32, s5
	s_delay_alu instid0(VALU_DEP_1)
	v_mul_lo_u16 v15, v15, v31
; %bb.61:
	s_or_b32 exec_lo, exec_lo, s3
	v_or_b32_e32 v16, 0xd00, v0
	s_delay_alu instid0(VALU_DEP_1)
	v_cmp_gt_i32_e64 s0, s1, v16
                                        ; implicit-def: $vgpr16
	s_and_saveexec_b32 s3, s0
; %bb.62:
	v_mul_lo_u16 v16, v34, s5
	s_delay_alu instid0(VALU_DEP_1)
	v_mul_lo_u16 v16, v16, v33
; %bb.63:
	s_or_b32 exec_lo, exec_lo, s3
	v_or_b32_e32 v17, 0xe00, v0
	s_delay_alu instid0(VALU_DEP_1)
	v_cmp_gt_i32_e64 s0, s1, v17
                                        ; implicit-def: $vgpr17
	s_and_saveexec_b32 s3, s0
; %bb.64:
	v_mul_lo_u16 v17, v36, s5
	s_delay_alu instid0(VALU_DEP_1)
	v_mul_lo_u16 v17, v17, v35
; %bb.65:
	s_or_b32 exec_lo, exec_lo, s3
	v_or_b32_e32 v18, 0xf00, v0
	s_delay_alu instid0(VALU_DEP_1)
	v_cmp_gt_i32_e64 s0, s1, v18
                                        ; implicit-def: $vgpr18
	s_and_saveexec_b32 s3, s0
	s_cbranch_execz .LBB35_84
; %bb.66:
	v_mul_lo_u16 v18, v38, s5
	s_delay_alu instid0(VALU_DEP_1) | instskip(SKIP_2) | instid1(SALU_CYCLE_1)
	v_mul_lo_u16 v18, v18, v37
	s_or_b32 exec_lo, exec_lo, s3
	s_and_saveexec_b32 s0, vcc_lo
	s_xor_b32 s0, exec_lo, s0
	s_cbranch_execnz .LBB35_85
.LBB35_67:
	s_or_b32 exec_lo, exec_lo, s0
	s_delay_alu instid0(SALU_CYCLE_1)
	s_mov_b32 s0, exec_lo
	v_cmpx_gt_i32_e64 s1, v0
	s_cbranch_execz .LBB35_86
.LBB35_68:
	v_add_nc_u32_e32 v1, s2, v0
	v_add_nc_u32_e32 v0, 0x100, v0
	global_store_b8 v1, v5, s[6:7]
	s_wait_xcnt 0x0
	s_or_b32 exec_lo, exec_lo, s0
	s_delay_alu instid0(SALU_CYCLE_1)
	s_mov_b32 s0, exec_lo
	v_cmpx_gt_i32_e64 s1, v0
	s_cbranch_execnz .LBB35_87
.LBB35_69:
	s_or_b32 exec_lo, exec_lo, s0
	s_delay_alu instid0(SALU_CYCLE_1)
	s_mov_b32 s0, exec_lo
	v_cmpx_gt_i32_e64 s1, v0
	s_cbranch_execz .LBB35_88
.LBB35_70:
	v_add_nc_u32_e32 v1, s2, v0
	v_add_nc_u32_e32 v0, 0x100, v0
	global_store_b8 v1, v3, s[6:7]
	s_wait_xcnt 0x0
	s_or_b32 exec_lo, exec_lo, s0
	s_delay_alu instid0(SALU_CYCLE_1)
	s_mov_b32 s0, exec_lo
	v_cmpx_gt_i32_e64 s1, v0
	s_cbranch_execnz .LBB35_89
.LBB35_71:
	s_or_b32 exec_lo, exec_lo, s0
	s_delay_alu instid0(SALU_CYCLE_1)
	s_mov_b32 s0, exec_lo
	v_cmpx_gt_i32_e64 s1, v0
	s_cbranch_execz .LBB35_90
.LBB35_72:
	v_add_nc_u32_e32 v1, s2, v0
	v_add_nc_u32_e32 v0, 0x100, v0
	global_store_b8 v1, v7, s[6:7]
	s_wait_xcnt 0x0
	s_or_b32 exec_lo, exec_lo, s0
	s_delay_alu instid0(SALU_CYCLE_1)
	s_mov_b32 s0, exec_lo
	v_cmpx_gt_i32_e64 s1, v0
	s_cbranch_execnz .LBB35_91
.LBB35_73:
	s_or_b32 exec_lo, exec_lo, s0
	s_delay_alu instid0(SALU_CYCLE_1)
	s_mov_b32 s0, exec_lo
	v_cmpx_gt_i32_e64 s1, v0
	s_cbranch_execz .LBB35_92
.LBB35_74:
	v_add_nc_u32_e32 v1, s2, v0
	v_add_nc_u32_e32 v0, 0x100, v0
	global_store_b8 v1, v9, s[6:7]
	s_wait_xcnt 0x0
	s_or_b32 exec_lo, exec_lo, s0
	s_delay_alu instid0(SALU_CYCLE_1)
	s_mov_b32 s0, exec_lo
	v_cmpx_gt_i32_e64 s1, v0
	s_cbranch_execnz .LBB35_93
.LBB35_75:
	s_or_b32 exec_lo, exec_lo, s0
	s_delay_alu instid0(SALU_CYCLE_1)
	s_mov_b32 s0, exec_lo
	v_cmpx_gt_i32_e64 s1, v0
	s_cbranch_execz .LBB35_94
.LBB35_76:
	v_add_nc_u32_e32 v1, s2, v0
	v_add_nc_u32_e32 v0, 0x100, v0
	global_store_b8 v1, v12, s[6:7]
	s_wait_xcnt 0x0
	s_or_b32 exec_lo, exec_lo, s0
	s_delay_alu instid0(SALU_CYCLE_1)
	s_mov_b32 s0, exec_lo
	v_cmpx_gt_i32_e64 s1, v0
	s_cbranch_execnz .LBB35_95
.LBB35_77:
	s_or_b32 exec_lo, exec_lo, s0
	s_delay_alu instid0(SALU_CYCLE_1)
	s_mov_b32 s0, exec_lo
	v_cmpx_gt_i32_e64 s1, v0
	s_cbranch_execz .LBB35_96
.LBB35_78:
	v_add_nc_u32_e32 v1, s2, v0
	v_add_nc_u32_e32 v0, 0x100, v0
	global_store_b8 v1, v14, s[6:7]
	s_wait_xcnt 0x0
	s_or_b32 exec_lo, exec_lo, s0
	s_delay_alu instid0(SALU_CYCLE_1)
	s_mov_b32 s0, exec_lo
	v_cmpx_gt_i32_e64 s1, v0
	s_cbranch_execnz .LBB35_97
.LBB35_79:
	s_or_b32 exec_lo, exec_lo, s0
	s_delay_alu instid0(SALU_CYCLE_1)
	s_mov_b32 s0, exec_lo
	v_cmpx_gt_i32_e64 s1, v0
	s_cbranch_execz .LBB35_98
.LBB35_80:
	v_add_nc_u32_e32 v1, s2, v0
	v_add_nc_u32_e32 v0, 0x100, v0
	global_store_b8 v1, v16, s[6:7]
	s_wait_xcnt 0x0
	s_or_b32 exec_lo, exec_lo, s0
	s_delay_alu instid0(SALU_CYCLE_1)
	s_mov_b32 s0, exec_lo
	v_cmpx_gt_i32_e64 s1, v0
	s_cbranch_execnz .LBB35_99
.LBB35_81:
	s_or_b32 exec_lo, exec_lo, s0
	s_delay_alu instid0(SALU_CYCLE_1)
	s_mov_b32 s0, exec_lo
	v_cmpx_gt_i32_e64 s1, v0
	s_cbranch_execz .LBB35_83
.LBB35_82:
	v_add_nc_u32_e32 v0, s2, v0
	global_store_b8 v0, v18, s[6:7]
.LBB35_83:
	s_endpgm
.LBB35_84:
	s_or_b32 exec_lo, exec_lo, s3
	s_and_saveexec_b32 s0, vcc_lo
	s_delay_alu instid0(SALU_CYCLE_1)
	s_xor_b32 s0, exec_lo, s0
	s_cbranch_execz .LBB35_67
.LBB35_85:
	v_mov_b32_e32 v0, v8
	global_store_b8 v1, v2, s[6:7]
	s_wait_xcnt 0x0
	s_or_b32 exec_lo, exec_lo, s0
	s_delay_alu instid0(SALU_CYCLE_1)
	s_mov_b32 s0, exec_lo
	v_cmpx_gt_i32_e64 s1, v0
	s_cbranch_execnz .LBB35_68
.LBB35_86:
	s_or_b32 exec_lo, exec_lo, s0
	s_delay_alu instid0(SALU_CYCLE_1)
	s_mov_b32 s0, exec_lo
	v_cmpx_gt_i32_e64 s1, v0
	s_cbranch_execz .LBB35_69
.LBB35_87:
	v_add_nc_u32_e32 v1, s2, v0
	v_add_nc_u32_e32 v0, 0x100, v0
	global_store_b8 v1, v6, s[6:7]
	s_wait_xcnt 0x0
	s_or_b32 exec_lo, exec_lo, s0
	s_delay_alu instid0(SALU_CYCLE_1)
	s_mov_b32 s0, exec_lo
	v_cmpx_gt_i32_e64 s1, v0
	s_cbranch_execnz .LBB35_70
.LBB35_88:
	s_or_b32 exec_lo, exec_lo, s0
	s_delay_alu instid0(SALU_CYCLE_1)
	s_mov_b32 s0, exec_lo
	v_cmpx_gt_i32_e64 s1, v0
	s_cbranch_execz .LBB35_71
.LBB35_89:
	v_add_nc_u32_e32 v1, s2, v0
	v_add_nc_u32_e32 v0, 0x100, v0
	global_store_b8 v1, v4, s[6:7]
	s_wait_xcnt 0x0
	s_or_b32 exec_lo, exec_lo, s0
	s_delay_alu instid0(SALU_CYCLE_1)
	s_mov_b32 s0, exec_lo
	v_cmpx_gt_i32_e64 s1, v0
	s_cbranch_execnz .LBB35_72
.LBB35_90:
	s_or_b32 exec_lo, exec_lo, s0
	s_delay_alu instid0(SALU_CYCLE_1)
	s_mov_b32 s0, exec_lo
	v_cmpx_gt_i32_e64 s1, v0
	s_cbranch_execz .LBB35_73
.LBB35_91:
	v_add_nc_u32_e32 v1, s2, v0
	v_add_nc_u32_e32 v0, 0x100, v0
	global_store_b8 v1, v10, s[6:7]
	s_wait_xcnt 0x0
	s_or_b32 exec_lo, exec_lo, s0
	s_delay_alu instid0(SALU_CYCLE_1)
	s_mov_b32 s0, exec_lo
	v_cmpx_gt_i32_e64 s1, v0
	s_cbranch_execnz .LBB35_74
.LBB35_92:
	s_or_b32 exec_lo, exec_lo, s0
	s_delay_alu instid0(SALU_CYCLE_1)
	s_mov_b32 s0, exec_lo
	v_cmpx_gt_i32_e64 s1, v0
	s_cbranch_execz .LBB35_75
.LBB35_93:
	v_add_nc_u32_e32 v1, s2, v0
	v_add_nc_u32_e32 v0, 0x100, v0
	global_store_b8 v1, v11, s[6:7]
	s_wait_xcnt 0x0
	s_or_b32 exec_lo, exec_lo, s0
	s_delay_alu instid0(SALU_CYCLE_1)
	s_mov_b32 s0, exec_lo
	v_cmpx_gt_i32_e64 s1, v0
	s_cbranch_execnz .LBB35_76
.LBB35_94:
	s_or_b32 exec_lo, exec_lo, s0
	s_delay_alu instid0(SALU_CYCLE_1)
	s_mov_b32 s0, exec_lo
	v_cmpx_gt_i32_e64 s1, v0
	s_cbranch_execz .LBB35_77
.LBB35_95:
	v_add_nc_u32_e32 v1, s2, v0
	v_add_nc_u32_e32 v0, 0x100, v0
	global_store_b8 v1, v13, s[6:7]
	s_wait_xcnt 0x0
	s_or_b32 exec_lo, exec_lo, s0
	s_delay_alu instid0(SALU_CYCLE_1)
	s_mov_b32 s0, exec_lo
	v_cmpx_gt_i32_e64 s1, v0
	s_cbranch_execnz .LBB35_78
.LBB35_96:
	s_or_b32 exec_lo, exec_lo, s0
	s_delay_alu instid0(SALU_CYCLE_1)
	s_mov_b32 s0, exec_lo
	v_cmpx_gt_i32_e64 s1, v0
	s_cbranch_execz .LBB35_79
.LBB35_97:
	v_add_nc_u32_e32 v1, s2, v0
	v_add_nc_u32_e32 v0, 0x100, v0
	global_store_b8 v1, v15, s[6:7]
	s_wait_xcnt 0x0
	s_or_b32 exec_lo, exec_lo, s0
	s_delay_alu instid0(SALU_CYCLE_1)
	s_mov_b32 s0, exec_lo
	v_cmpx_gt_i32_e64 s1, v0
	s_cbranch_execnz .LBB35_80
.LBB35_98:
	s_or_b32 exec_lo, exec_lo, s0
	s_delay_alu instid0(SALU_CYCLE_1)
	s_mov_b32 s0, exec_lo
	v_cmpx_gt_i32_e64 s1, v0
	s_cbranch_execz .LBB35_81
.LBB35_99:
	v_add_nc_u32_e32 v1, s2, v0
	v_add_nc_u32_e32 v0, 0x100, v0
	global_store_b8 v1, v17, s[6:7]
	s_wait_xcnt 0x0
	s_or_b32 exec_lo, exec_lo, s0
	s_delay_alu instid0(SALU_CYCLE_1)
	s_mov_b32 s0, exec_lo
	v_cmpx_gt_i32_e64 s1, v0
	s_cbranch_execnz .LBB35_82
	s_branch .LBB35_83
	.section	.rodata,"a",@progbits
	.p2align	6, 0x0
	.amdhsa_kernel _ZN2at6native29vectorized_elementwise_kernelILi2EZZZNS0_12_GLOBAL__N_116addr_kernel_cudaERNS_14TensorIteratorERKN3c106ScalarES8_ENKUlvE_clEvENKUlvE0_clEvEUlaaaE_St5arrayIPcLm4EEEEviT0_T1_
		.amdhsa_group_segment_fixed_size 0
		.amdhsa_private_segment_fixed_size 0
		.amdhsa_kernarg_size 40
		.amdhsa_user_sgpr_count 2
		.amdhsa_user_sgpr_dispatch_ptr 0
		.amdhsa_user_sgpr_queue_ptr 0
		.amdhsa_user_sgpr_kernarg_segment_ptr 1
		.amdhsa_user_sgpr_dispatch_id 0
		.amdhsa_user_sgpr_kernarg_preload_length 0
		.amdhsa_user_sgpr_kernarg_preload_offset 0
		.amdhsa_user_sgpr_private_segment_size 0
		.amdhsa_wavefront_size32 1
		.amdhsa_uses_dynamic_stack 0
		.amdhsa_enable_private_segment 0
		.amdhsa_system_sgpr_workgroup_id_x 1
		.amdhsa_system_sgpr_workgroup_id_y 0
		.amdhsa_system_sgpr_workgroup_id_z 0
		.amdhsa_system_sgpr_workgroup_info 0
		.amdhsa_system_vgpr_workitem_id 0
		.amdhsa_next_free_vgpr 39
		.amdhsa_next_free_sgpr 22
		.amdhsa_named_barrier_count 0
		.amdhsa_reserve_vcc 1
		.amdhsa_float_round_mode_32 0
		.amdhsa_float_round_mode_16_64 0
		.amdhsa_float_denorm_mode_32 3
		.amdhsa_float_denorm_mode_16_64 3
		.amdhsa_fp16_overflow 0
		.amdhsa_memory_ordered 1
		.amdhsa_forward_progress 1
		.amdhsa_inst_pref_size 42
		.amdhsa_round_robin_scheduling 0
		.amdhsa_exception_fp_ieee_invalid_op 0
		.amdhsa_exception_fp_denorm_src 0
		.amdhsa_exception_fp_ieee_div_zero 0
		.amdhsa_exception_fp_ieee_overflow 0
		.amdhsa_exception_fp_ieee_underflow 0
		.amdhsa_exception_fp_ieee_inexact 0
		.amdhsa_exception_int_div_zero 0
	.end_amdhsa_kernel
	.section	.text._ZN2at6native29vectorized_elementwise_kernelILi2EZZZNS0_12_GLOBAL__N_116addr_kernel_cudaERNS_14TensorIteratorERKN3c106ScalarES8_ENKUlvE_clEvENKUlvE0_clEvEUlaaaE_St5arrayIPcLm4EEEEviT0_T1_,"axG",@progbits,_ZN2at6native29vectorized_elementwise_kernelILi2EZZZNS0_12_GLOBAL__N_116addr_kernel_cudaERNS_14TensorIteratorERKN3c106ScalarES8_ENKUlvE_clEvENKUlvE0_clEvEUlaaaE_St5arrayIPcLm4EEEEviT0_T1_,comdat
.Lfunc_end35:
	.size	_ZN2at6native29vectorized_elementwise_kernelILi2EZZZNS0_12_GLOBAL__N_116addr_kernel_cudaERNS_14TensorIteratorERKN3c106ScalarES8_ENKUlvE_clEvENKUlvE0_clEvEUlaaaE_St5arrayIPcLm4EEEEviT0_T1_, .Lfunc_end35-_ZN2at6native29vectorized_elementwise_kernelILi2EZZZNS0_12_GLOBAL__N_116addr_kernel_cudaERNS_14TensorIteratorERKN3c106ScalarES8_ENKUlvE_clEvENKUlvE0_clEvEUlaaaE_St5arrayIPcLm4EEEEviT0_T1_
                                        ; -- End function
	.set _ZN2at6native29vectorized_elementwise_kernelILi2EZZZNS0_12_GLOBAL__N_116addr_kernel_cudaERNS_14TensorIteratorERKN3c106ScalarES8_ENKUlvE_clEvENKUlvE0_clEvEUlaaaE_St5arrayIPcLm4EEEEviT0_T1_.num_vgpr, 39
	.set _ZN2at6native29vectorized_elementwise_kernelILi2EZZZNS0_12_GLOBAL__N_116addr_kernel_cudaERNS_14TensorIteratorERKN3c106ScalarES8_ENKUlvE_clEvENKUlvE0_clEvEUlaaaE_St5arrayIPcLm4EEEEviT0_T1_.num_agpr, 0
	.set _ZN2at6native29vectorized_elementwise_kernelILi2EZZZNS0_12_GLOBAL__N_116addr_kernel_cudaERNS_14TensorIteratorERKN3c106ScalarES8_ENKUlvE_clEvENKUlvE0_clEvEUlaaaE_St5arrayIPcLm4EEEEviT0_T1_.numbered_sgpr, 22
	.set _ZN2at6native29vectorized_elementwise_kernelILi2EZZZNS0_12_GLOBAL__N_116addr_kernel_cudaERNS_14TensorIteratorERKN3c106ScalarES8_ENKUlvE_clEvENKUlvE0_clEvEUlaaaE_St5arrayIPcLm4EEEEviT0_T1_.num_named_barrier, 0
	.set _ZN2at6native29vectorized_elementwise_kernelILi2EZZZNS0_12_GLOBAL__N_116addr_kernel_cudaERNS_14TensorIteratorERKN3c106ScalarES8_ENKUlvE_clEvENKUlvE0_clEvEUlaaaE_St5arrayIPcLm4EEEEviT0_T1_.private_seg_size, 0
	.set _ZN2at6native29vectorized_elementwise_kernelILi2EZZZNS0_12_GLOBAL__N_116addr_kernel_cudaERNS_14TensorIteratorERKN3c106ScalarES8_ENKUlvE_clEvENKUlvE0_clEvEUlaaaE_St5arrayIPcLm4EEEEviT0_T1_.uses_vcc, 1
	.set _ZN2at6native29vectorized_elementwise_kernelILi2EZZZNS0_12_GLOBAL__N_116addr_kernel_cudaERNS_14TensorIteratorERKN3c106ScalarES8_ENKUlvE_clEvENKUlvE0_clEvEUlaaaE_St5arrayIPcLm4EEEEviT0_T1_.uses_flat_scratch, 0
	.set _ZN2at6native29vectorized_elementwise_kernelILi2EZZZNS0_12_GLOBAL__N_116addr_kernel_cudaERNS_14TensorIteratorERKN3c106ScalarES8_ENKUlvE_clEvENKUlvE0_clEvEUlaaaE_St5arrayIPcLm4EEEEviT0_T1_.has_dyn_sized_stack, 0
	.set _ZN2at6native29vectorized_elementwise_kernelILi2EZZZNS0_12_GLOBAL__N_116addr_kernel_cudaERNS_14TensorIteratorERKN3c106ScalarES8_ENKUlvE_clEvENKUlvE0_clEvEUlaaaE_St5arrayIPcLm4EEEEviT0_T1_.has_recursion, 0
	.set _ZN2at6native29vectorized_elementwise_kernelILi2EZZZNS0_12_GLOBAL__N_116addr_kernel_cudaERNS_14TensorIteratorERKN3c106ScalarES8_ENKUlvE_clEvENKUlvE0_clEvEUlaaaE_St5arrayIPcLm4EEEEviT0_T1_.has_indirect_call, 0
	.section	.AMDGPU.csdata,"",@progbits
; Kernel info:
; codeLenInByte = 5360
; TotalNumSgprs: 24
; NumVgprs: 39
; ScratchSize: 0
; MemoryBound: 0
; FloatMode: 240
; IeeeMode: 1
; LDSByteSize: 0 bytes/workgroup (compile time only)
; SGPRBlocks: 0
; VGPRBlocks: 2
; NumSGPRsForWavesPerEU: 24
; NumVGPRsForWavesPerEU: 39
; NamedBarCnt: 0
; Occupancy: 16
; WaveLimiterHint : 1
; COMPUTE_PGM_RSRC2:SCRATCH_EN: 0
; COMPUTE_PGM_RSRC2:USER_SGPR: 2
; COMPUTE_PGM_RSRC2:TRAP_HANDLER: 0
; COMPUTE_PGM_RSRC2:TGID_X_EN: 1
; COMPUTE_PGM_RSRC2:TGID_Y_EN: 0
; COMPUTE_PGM_RSRC2:TGID_Z_EN: 0
; COMPUTE_PGM_RSRC2:TIDIG_COMP_CNT: 0
	.section	.text._ZN2at6native27unrolled_elementwise_kernelIZZZNS0_12_GLOBAL__N_116addr_kernel_cudaERNS_14TensorIteratorERKN3c106ScalarES8_ENKUlvE_clEvENKUlvE0_clEvEUlaaaE_St5arrayIPcLm4EELi4E23TrivialOffsetCalculatorILi3EjESF_ILi1EjENS0_6memory15LoadWithoutCastENSI_16StoreWithoutCastEEEviT_T0_T2_T3_T4_T5_,"axG",@progbits,_ZN2at6native27unrolled_elementwise_kernelIZZZNS0_12_GLOBAL__N_116addr_kernel_cudaERNS_14TensorIteratorERKN3c106ScalarES8_ENKUlvE_clEvENKUlvE0_clEvEUlaaaE_St5arrayIPcLm4EELi4E23TrivialOffsetCalculatorILi3EjESF_ILi1EjENS0_6memory15LoadWithoutCastENSI_16StoreWithoutCastEEEviT_T0_T2_T3_T4_T5_,comdat
	.globl	_ZN2at6native27unrolled_elementwise_kernelIZZZNS0_12_GLOBAL__N_116addr_kernel_cudaERNS_14TensorIteratorERKN3c106ScalarES8_ENKUlvE_clEvENKUlvE0_clEvEUlaaaE_St5arrayIPcLm4EELi4E23TrivialOffsetCalculatorILi3EjESF_ILi1EjENS0_6memory15LoadWithoutCastENSI_16StoreWithoutCastEEEviT_T0_T2_T3_T4_T5_ ; -- Begin function _ZN2at6native27unrolled_elementwise_kernelIZZZNS0_12_GLOBAL__N_116addr_kernel_cudaERNS_14TensorIteratorERKN3c106ScalarES8_ENKUlvE_clEvENKUlvE0_clEvEUlaaaE_St5arrayIPcLm4EELi4E23TrivialOffsetCalculatorILi3EjESF_ILi1EjENS0_6memory15LoadWithoutCastENSI_16StoreWithoutCastEEEviT_T0_T2_T3_T4_T5_
	.p2align	8
	.type	_ZN2at6native27unrolled_elementwise_kernelIZZZNS0_12_GLOBAL__N_116addr_kernel_cudaERNS_14TensorIteratorERKN3c106ScalarES8_ENKUlvE_clEvENKUlvE0_clEvEUlaaaE_St5arrayIPcLm4EELi4E23TrivialOffsetCalculatorILi3EjESF_ILi1EjENS0_6memory15LoadWithoutCastENSI_16StoreWithoutCastEEEviT_T0_T2_T3_T4_T5_,@function
_ZN2at6native27unrolled_elementwise_kernelIZZZNS0_12_GLOBAL__N_116addr_kernel_cudaERNS_14TensorIteratorERKN3c106ScalarES8_ENKUlvE_clEvENKUlvE0_clEvEUlaaaE_St5arrayIPcLm4EELi4E23TrivialOffsetCalculatorILi3EjESF_ILi1EjENS0_6memory15LoadWithoutCastENSI_16StoreWithoutCastEEEviT_T0_T2_T3_T4_T5_: ; @_ZN2at6native27unrolled_elementwise_kernelIZZZNS0_12_GLOBAL__N_116addr_kernel_cudaERNS_14TensorIteratorERKN3c106ScalarES8_ENKUlvE_clEvENKUlvE0_clEvEUlaaaE_St5arrayIPcLm4EELi4E23TrivialOffsetCalculatorILi3EjESF_ILi1EjENS0_6memory15LoadWithoutCastENSI_16StoreWithoutCastEEEviT_T0_T2_T3_T4_T5_
; %bb.0:
	s_load_b64 s[2:3], s[0:1], 0x0
	s_bfe_u32 s5, ttmp6, 0x4000c
	s_and_b32 s4, ttmp6, 15
	s_add_co_i32 s5, s5, 1
	s_getreg_b32 s6, hwreg(HW_REG_IB_STS2, 6, 4)
	s_mul_i32 s5, ttmp9, s5
	v_dual_mov_b32 v4, 0 :: v_dual_mov_b32 v3, 0
	s_add_co_i32 s4, s4, s5
	s_cmp_eq_u32 s6, 0
	v_dual_mov_b32 v6, 0 :: v_dual_mov_b32 v5, 0
	s_cselect_b32 s4, ttmp9, s4
	v_dual_mov_b32 v7, 0 :: v_dual_mov_b32 v8, 0
	s_lshl_b32 s8, s4, 10
	s_delay_alu instid0(SALU_CYCLE_1) | instskip(SKIP_4) | instid1(SALU_CYCLE_1)
	v_dual_mov_b32 v9, 0 :: v_dual_bitop2_b32 v2, s8, v0 bitop3:0x54
	v_or_b32_e32 v1, 0x100, v0
	v_mov_b32_e32 v10, 0
	s_wait_kmcnt 0x0
	s_sub_co_i32 s9, s2, s8
	v_cmp_gt_i32_e32 vcc_lo, s9, v0
	s_and_saveexec_b32 s10, vcc_lo
	s_cbranch_execz .LBB36_8
; %bb.1:
	s_add_nc_u64 s[12:13], s[0:1], 8
	v_or_b32_e32 v11, 0x100, v0
	s_load_b128 s[4:7], s[12:13], 0x10
	v_dual_mov_b32 v8, 0 :: v_dual_mov_b32 v7, 0
	v_dual_mov_b32 v5, 0 :: v_dual_mov_b32 v6, 0
	;; [unrolled: 1-line block ×3, first 2 shown]
	s_mov_b32 s11, exec_lo
	s_wait_kmcnt 0x0
	s_clause 0x1
	global_load_u8 v9, v2, s[4:5]
	global_load_u8 v10, v2, s[6:7]
	s_wait_xcnt 0x0
	v_cmpx_gt_u32_e64 s9, v11
	s_cbranch_execz .LBB36_7
; %bb.2:
	v_dual_add_nc_u32 v3, s8, v11 :: v_dual_mov_b32 v5, 0
	v_or_b32_e32 v11, 0x200, v0
	v_dual_mov_b32 v6, 0 :: v_dual_mov_b32 v4, 0
	s_clause 0x1
	global_load_u8 v7, v3, s[4:5]
	global_load_u8 v8, v3, s[6:7]
	s_wait_xcnt 0x0
	v_mov_b32_e32 v3, 0
	s_mov_b32 s12, exec_lo
	v_cmpx_gt_u32_e64 s9, v11
	s_cbranch_execz .LBB36_6
; %bb.3:
	v_dual_mov_b32 v4, 0 :: v_dual_add_nc_u32 v3, s8, v11
	v_or_b32_e32 v11, 0x300, v0
	s_mov_b32 s13, exec_lo
	s_clause 0x1
	global_load_u8 v6, v3, s[4:5]
	global_load_u8 v5, v3, s[6:7]
	s_wait_xcnt 0x0
	v_mov_b32_e32 v3, 0
	v_cmpx_gt_u32_e64 s9, v11
	s_cbranch_execz .LBB36_5
; %bb.4:
	v_add_nc_u32_e32 v11, s8, v11
	s_clause 0x1
	global_load_u8 v4, v11, s[4:5]
	global_load_u8 v3, v11, s[6:7]
.LBB36_5:
	s_wait_xcnt 0x0
	s_or_b32 exec_lo, exec_lo, s13
.LBB36_6:
	s_delay_alu instid0(SALU_CYCLE_1)
	s_or_b32 exec_lo, exec_lo, s12
.LBB36_7:
	s_delay_alu instid0(SALU_CYCLE_1) | instskip(NEXT) | instid1(SALU_CYCLE_1)
	s_or_b32 exec_lo, exec_lo, s11
	s_or_b32 exec_lo, exec_lo, s10
                                        ; implicit-def: $vgpr11
	s_and_saveexec_b32 s2, vcc_lo
	s_cbranch_execz .LBB36_10
	s_branch .LBB36_9
.LBB36_8:
	s_or_b32 exec_lo, exec_lo, s10
                                        ; implicit-def: $vgpr11
	s_and_saveexec_b32 s2, vcc_lo
	s_cbranch_execz .LBB36_10
.LBB36_9:
	s_wait_loadcnt 0x1
	v_mul_lo_u16 v9, v9, s3
	s_wait_loadcnt 0x0
	s_delay_alu instid0(VALU_DEP_1)
	v_mul_lo_u16 v11, v9, v10
.LBB36_10:
	s_or_b32 exec_lo, exec_lo, s2
	s_delay_alu instid0(SALU_CYCLE_1)
	s_mov_b32 s4, exec_lo
                                        ; implicit-def: $vgpr9
	v_cmpx_gt_i32_e64 s9, v1
	s_cbranch_execz .LBB36_12
; %bb.11:
	s_wait_loadcnt 0x1
	v_mul_lo_u16 v7, v7, s3
	s_wait_loadcnt 0x0
	s_delay_alu instid0(VALU_DEP_1)
	v_mul_lo_u16 v9, v7, v8
.LBB36_12:
	s_or_b32 exec_lo, exec_lo, s4
	s_wait_loadcnt 0x1
	v_or_b32_e32 v7, 0x200, v0
	s_delay_alu instid0(VALU_DEP_1)
	v_cmp_gt_i32_e64 s2, s9, v7
                                        ; implicit-def: $vgpr7
	s_and_saveexec_b32 s4, s2
	s_cbranch_execz .LBB36_14
; %bb.13:
	v_mul_lo_u16 v6, v6, s3
	s_wait_loadcnt 0x0
	s_delay_alu instid0(VALU_DEP_1)
	v_mul_lo_u16 v7, v6, v5
.LBB36_14:
	s_or_b32 exec_lo, exec_lo, s4
	s_load_b64 s[4:5], s[0:1], 0x8
	s_wait_loadcnt 0x0
	v_or_b32_e32 v5, 0x300, v0
	s_wait_xcnt 0x0
	s_delay_alu instid0(VALU_DEP_1)
	v_cmp_gt_i32_e64 s0, s9, v5
                                        ; implicit-def: $vgpr5
	s_and_saveexec_b32 s1, s0
	s_cbranch_execz .LBB36_20
; %bb.15:
	v_mul_lo_u16 v4, v4, s3
	s_delay_alu instid0(VALU_DEP_1) | instskip(SKIP_2) | instid1(SALU_CYCLE_1)
	v_mul_lo_u16 v5, v4, v3
	s_or_b32 exec_lo, exec_lo, s1
	s_and_saveexec_b32 s0, vcc_lo
	s_xor_b32 s0, exec_lo, s0
	s_cbranch_execnz .LBB36_21
.LBB36_16:
	s_or_b32 exec_lo, exec_lo, s0
	s_delay_alu instid0(SALU_CYCLE_1)
	s_mov_b32 s0, exec_lo
	v_cmpx_gt_i32_e64 s9, v0
	s_cbranch_execz .LBB36_22
.LBB36_17:
	v_add_nc_u32_e32 v1, 0x100, v0
	s_delay_alu instid0(VALU_DEP_1) | instskip(SKIP_4) | instid1(SALU_CYCLE_1)
	v_dual_add_nc_u32 v2, s8, v0 :: v_dual_mov_b32 v0, v1
	s_wait_kmcnt 0x0
	global_store_b8 v2, v9, s[4:5]
	s_wait_xcnt 0x0
	s_or_b32 exec_lo, exec_lo, s0
	s_mov_b32 s0, exec_lo
	v_cmpx_gt_i32_e64 s9, v0
	s_cbranch_execnz .LBB36_23
.LBB36_18:
	s_or_b32 exec_lo, exec_lo, s0
	s_delay_alu instid0(SALU_CYCLE_1)
	s_mov_b32 s0, exec_lo
	v_cmpx_gt_i32_e64 s9, v0
	s_cbranch_execz .LBB36_24
.LBB36_19:
	v_add_nc_u32_e32 v0, s8, v0
	s_wait_kmcnt 0x0
	global_store_b8 v0, v5, s[4:5]
	s_endpgm
.LBB36_20:
	s_or_b32 exec_lo, exec_lo, s1
	s_and_saveexec_b32 s0, vcc_lo
	s_delay_alu instid0(SALU_CYCLE_1)
	s_xor_b32 s0, exec_lo, s0
	s_cbranch_execz .LBB36_16
.LBB36_21:
	v_mov_b32_e32 v0, v1
	s_wait_kmcnt 0x0
	global_store_b8 v2, v11, s[4:5]
	s_wait_xcnt 0x0
	s_or_b32 exec_lo, exec_lo, s0
	s_delay_alu instid0(SALU_CYCLE_1)
	s_mov_b32 s0, exec_lo
	v_cmpx_gt_i32_e64 s9, v0
	s_cbranch_execnz .LBB36_17
.LBB36_22:
	s_or_b32 exec_lo, exec_lo, s0
	s_delay_alu instid0(SALU_CYCLE_1)
	s_mov_b32 s0, exec_lo
	v_cmpx_gt_i32_e64 s9, v0
	s_cbranch_execz .LBB36_18
.LBB36_23:
	v_add_nc_u32_e32 v1, 0x100, v0
	s_delay_alu instid0(VALU_DEP_1) | instskip(SKIP_4) | instid1(SALU_CYCLE_1)
	v_dual_add_nc_u32 v2, s8, v0 :: v_dual_mov_b32 v0, v1
	s_wait_kmcnt 0x0
	global_store_b8 v2, v7, s[4:5]
	s_wait_xcnt 0x0
	s_or_b32 exec_lo, exec_lo, s0
	s_mov_b32 s0, exec_lo
	v_cmpx_gt_i32_e64 s9, v0
	s_cbranch_execnz .LBB36_19
.LBB36_24:
	s_endpgm
	.section	.rodata,"a",@progbits
	.p2align	6, 0x0
	.amdhsa_kernel _ZN2at6native27unrolled_elementwise_kernelIZZZNS0_12_GLOBAL__N_116addr_kernel_cudaERNS_14TensorIteratorERKN3c106ScalarES8_ENKUlvE_clEvENKUlvE0_clEvEUlaaaE_St5arrayIPcLm4EELi4E23TrivialOffsetCalculatorILi3EjESF_ILi1EjENS0_6memory15LoadWithoutCastENSI_16StoreWithoutCastEEEviT_T0_T2_T3_T4_T5_
		.amdhsa_group_segment_fixed_size 0
		.amdhsa_private_segment_fixed_size 0
		.amdhsa_kernarg_size 44
		.amdhsa_user_sgpr_count 2
		.amdhsa_user_sgpr_dispatch_ptr 0
		.amdhsa_user_sgpr_queue_ptr 0
		.amdhsa_user_sgpr_kernarg_segment_ptr 1
		.amdhsa_user_sgpr_dispatch_id 0
		.amdhsa_user_sgpr_kernarg_preload_length 0
		.amdhsa_user_sgpr_kernarg_preload_offset 0
		.amdhsa_user_sgpr_private_segment_size 0
		.amdhsa_wavefront_size32 1
		.amdhsa_uses_dynamic_stack 0
		.amdhsa_enable_private_segment 0
		.amdhsa_system_sgpr_workgroup_id_x 1
		.amdhsa_system_sgpr_workgroup_id_y 0
		.amdhsa_system_sgpr_workgroup_id_z 0
		.amdhsa_system_sgpr_workgroup_info 0
		.amdhsa_system_vgpr_workitem_id 0
		.amdhsa_next_free_vgpr 12
		.amdhsa_next_free_sgpr 14
		.amdhsa_named_barrier_count 0
		.amdhsa_reserve_vcc 1
		.amdhsa_float_round_mode_32 0
		.amdhsa_float_round_mode_16_64 0
		.amdhsa_float_denorm_mode_32 3
		.amdhsa_float_denorm_mode_16_64 3
		.amdhsa_fp16_overflow 0
		.amdhsa_memory_ordered 1
		.amdhsa_forward_progress 1
		.amdhsa_inst_pref_size 8
		.amdhsa_round_robin_scheduling 0
		.amdhsa_exception_fp_ieee_invalid_op 0
		.amdhsa_exception_fp_denorm_src 0
		.amdhsa_exception_fp_ieee_div_zero 0
		.amdhsa_exception_fp_ieee_overflow 0
		.amdhsa_exception_fp_ieee_underflow 0
		.amdhsa_exception_fp_ieee_inexact 0
		.amdhsa_exception_int_div_zero 0
	.end_amdhsa_kernel
	.section	.text._ZN2at6native27unrolled_elementwise_kernelIZZZNS0_12_GLOBAL__N_116addr_kernel_cudaERNS_14TensorIteratorERKN3c106ScalarES8_ENKUlvE_clEvENKUlvE0_clEvEUlaaaE_St5arrayIPcLm4EELi4E23TrivialOffsetCalculatorILi3EjESF_ILi1EjENS0_6memory15LoadWithoutCastENSI_16StoreWithoutCastEEEviT_T0_T2_T3_T4_T5_,"axG",@progbits,_ZN2at6native27unrolled_elementwise_kernelIZZZNS0_12_GLOBAL__N_116addr_kernel_cudaERNS_14TensorIteratorERKN3c106ScalarES8_ENKUlvE_clEvENKUlvE0_clEvEUlaaaE_St5arrayIPcLm4EELi4E23TrivialOffsetCalculatorILi3EjESF_ILi1EjENS0_6memory15LoadWithoutCastENSI_16StoreWithoutCastEEEviT_T0_T2_T3_T4_T5_,comdat
.Lfunc_end36:
	.size	_ZN2at6native27unrolled_elementwise_kernelIZZZNS0_12_GLOBAL__N_116addr_kernel_cudaERNS_14TensorIteratorERKN3c106ScalarES8_ENKUlvE_clEvENKUlvE0_clEvEUlaaaE_St5arrayIPcLm4EELi4E23TrivialOffsetCalculatorILi3EjESF_ILi1EjENS0_6memory15LoadWithoutCastENSI_16StoreWithoutCastEEEviT_T0_T2_T3_T4_T5_, .Lfunc_end36-_ZN2at6native27unrolled_elementwise_kernelIZZZNS0_12_GLOBAL__N_116addr_kernel_cudaERNS_14TensorIteratorERKN3c106ScalarES8_ENKUlvE_clEvENKUlvE0_clEvEUlaaaE_St5arrayIPcLm4EELi4E23TrivialOffsetCalculatorILi3EjESF_ILi1EjENS0_6memory15LoadWithoutCastENSI_16StoreWithoutCastEEEviT_T0_T2_T3_T4_T5_
                                        ; -- End function
	.set _ZN2at6native27unrolled_elementwise_kernelIZZZNS0_12_GLOBAL__N_116addr_kernel_cudaERNS_14TensorIteratorERKN3c106ScalarES8_ENKUlvE_clEvENKUlvE0_clEvEUlaaaE_St5arrayIPcLm4EELi4E23TrivialOffsetCalculatorILi3EjESF_ILi1EjENS0_6memory15LoadWithoutCastENSI_16StoreWithoutCastEEEviT_T0_T2_T3_T4_T5_.num_vgpr, 12
	.set _ZN2at6native27unrolled_elementwise_kernelIZZZNS0_12_GLOBAL__N_116addr_kernel_cudaERNS_14TensorIteratorERKN3c106ScalarES8_ENKUlvE_clEvENKUlvE0_clEvEUlaaaE_St5arrayIPcLm4EELi4E23TrivialOffsetCalculatorILi3EjESF_ILi1EjENS0_6memory15LoadWithoutCastENSI_16StoreWithoutCastEEEviT_T0_T2_T3_T4_T5_.num_agpr, 0
	.set _ZN2at6native27unrolled_elementwise_kernelIZZZNS0_12_GLOBAL__N_116addr_kernel_cudaERNS_14TensorIteratorERKN3c106ScalarES8_ENKUlvE_clEvENKUlvE0_clEvEUlaaaE_St5arrayIPcLm4EELi4E23TrivialOffsetCalculatorILi3EjESF_ILi1EjENS0_6memory15LoadWithoutCastENSI_16StoreWithoutCastEEEviT_T0_T2_T3_T4_T5_.numbered_sgpr, 14
	.set _ZN2at6native27unrolled_elementwise_kernelIZZZNS0_12_GLOBAL__N_116addr_kernel_cudaERNS_14TensorIteratorERKN3c106ScalarES8_ENKUlvE_clEvENKUlvE0_clEvEUlaaaE_St5arrayIPcLm4EELi4E23TrivialOffsetCalculatorILi3EjESF_ILi1EjENS0_6memory15LoadWithoutCastENSI_16StoreWithoutCastEEEviT_T0_T2_T3_T4_T5_.num_named_barrier, 0
	.set _ZN2at6native27unrolled_elementwise_kernelIZZZNS0_12_GLOBAL__N_116addr_kernel_cudaERNS_14TensorIteratorERKN3c106ScalarES8_ENKUlvE_clEvENKUlvE0_clEvEUlaaaE_St5arrayIPcLm4EELi4E23TrivialOffsetCalculatorILi3EjESF_ILi1EjENS0_6memory15LoadWithoutCastENSI_16StoreWithoutCastEEEviT_T0_T2_T3_T4_T5_.private_seg_size, 0
	.set _ZN2at6native27unrolled_elementwise_kernelIZZZNS0_12_GLOBAL__N_116addr_kernel_cudaERNS_14TensorIteratorERKN3c106ScalarES8_ENKUlvE_clEvENKUlvE0_clEvEUlaaaE_St5arrayIPcLm4EELi4E23TrivialOffsetCalculatorILi3EjESF_ILi1EjENS0_6memory15LoadWithoutCastENSI_16StoreWithoutCastEEEviT_T0_T2_T3_T4_T5_.uses_vcc, 1
	.set _ZN2at6native27unrolled_elementwise_kernelIZZZNS0_12_GLOBAL__N_116addr_kernel_cudaERNS_14TensorIteratorERKN3c106ScalarES8_ENKUlvE_clEvENKUlvE0_clEvEUlaaaE_St5arrayIPcLm4EELi4E23TrivialOffsetCalculatorILi3EjESF_ILi1EjENS0_6memory15LoadWithoutCastENSI_16StoreWithoutCastEEEviT_T0_T2_T3_T4_T5_.uses_flat_scratch, 0
	.set _ZN2at6native27unrolled_elementwise_kernelIZZZNS0_12_GLOBAL__N_116addr_kernel_cudaERNS_14TensorIteratorERKN3c106ScalarES8_ENKUlvE_clEvENKUlvE0_clEvEUlaaaE_St5arrayIPcLm4EELi4E23TrivialOffsetCalculatorILi3EjESF_ILi1EjENS0_6memory15LoadWithoutCastENSI_16StoreWithoutCastEEEviT_T0_T2_T3_T4_T5_.has_dyn_sized_stack, 0
	.set _ZN2at6native27unrolled_elementwise_kernelIZZZNS0_12_GLOBAL__N_116addr_kernel_cudaERNS_14TensorIteratorERKN3c106ScalarES8_ENKUlvE_clEvENKUlvE0_clEvEUlaaaE_St5arrayIPcLm4EELi4E23TrivialOffsetCalculatorILi3EjESF_ILi1EjENS0_6memory15LoadWithoutCastENSI_16StoreWithoutCastEEEviT_T0_T2_T3_T4_T5_.has_recursion, 0
	.set _ZN2at6native27unrolled_elementwise_kernelIZZZNS0_12_GLOBAL__N_116addr_kernel_cudaERNS_14TensorIteratorERKN3c106ScalarES8_ENKUlvE_clEvENKUlvE0_clEvEUlaaaE_St5arrayIPcLm4EELi4E23TrivialOffsetCalculatorILi3EjESF_ILi1EjENS0_6memory15LoadWithoutCastENSI_16StoreWithoutCastEEEviT_T0_T2_T3_T4_T5_.has_indirect_call, 0
	.section	.AMDGPU.csdata,"",@progbits
; Kernel info:
; codeLenInByte = 972
; TotalNumSgprs: 16
; NumVgprs: 12
; ScratchSize: 0
; MemoryBound: 0
; FloatMode: 240
; IeeeMode: 1
; LDSByteSize: 0 bytes/workgroup (compile time only)
; SGPRBlocks: 0
; VGPRBlocks: 0
; NumSGPRsForWavesPerEU: 16
; NumVGPRsForWavesPerEU: 12
; NamedBarCnt: 0
; Occupancy: 16
; WaveLimiterHint : 0
; COMPUTE_PGM_RSRC2:SCRATCH_EN: 0
; COMPUTE_PGM_RSRC2:USER_SGPR: 2
; COMPUTE_PGM_RSRC2:TRAP_HANDLER: 0
; COMPUTE_PGM_RSRC2:TGID_X_EN: 1
; COMPUTE_PGM_RSRC2:TGID_Y_EN: 0
; COMPUTE_PGM_RSRC2:TGID_Z_EN: 0
; COMPUTE_PGM_RSRC2:TIDIG_COMP_CNT: 0
	.section	.text._ZN2at6native32elementwise_kernel_manual_unrollILi128ELi8EZNS0_22gpu_kernel_impl_nocastIZZZNS0_12_GLOBAL__N_116addr_kernel_cudaERNS_14TensorIteratorERKN3c106ScalarES9_ENKUlvE_clEvENKUlvE0_clEvEUlaaaE_EEvRNS_18TensorIteratorBaseERKT_EUlibE_EEviT1_,"axG",@progbits,_ZN2at6native32elementwise_kernel_manual_unrollILi128ELi8EZNS0_22gpu_kernel_impl_nocastIZZZNS0_12_GLOBAL__N_116addr_kernel_cudaERNS_14TensorIteratorERKN3c106ScalarES9_ENKUlvE_clEvENKUlvE0_clEvEUlaaaE_EEvRNS_18TensorIteratorBaseERKT_EUlibE_EEviT1_,comdat
	.globl	_ZN2at6native32elementwise_kernel_manual_unrollILi128ELi8EZNS0_22gpu_kernel_impl_nocastIZZZNS0_12_GLOBAL__N_116addr_kernel_cudaERNS_14TensorIteratorERKN3c106ScalarES9_ENKUlvE_clEvENKUlvE0_clEvEUlaaaE_EEvRNS_18TensorIteratorBaseERKT_EUlibE_EEviT1_ ; -- Begin function _ZN2at6native32elementwise_kernel_manual_unrollILi128ELi8EZNS0_22gpu_kernel_impl_nocastIZZZNS0_12_GLOBAL__N_116addr_kernel_cudaERNS_14TensorIteratorERKN3c106ScalarES9_ENKUlvE_clEvENKUlvE0_clEvEUlaaaE_EEvRNS_18TensorIteratorBaseERKT_EUlibE_EEviT1_
	.p2align	8
	.type	_ZN2at6native32elementwise_kernel_manual_unrollILi128ELi8EZNS0_22gpu_kernel_impl_nocastIZZZNS0_12_GLOBAL__N_116addr_kernel_cudaERNS_14TensorIteratorERKN3c106ScalarES9_ENKUlvE_clEvENKUlvE0_clEvEUlaaaE_EEvRNS_18TensorIteratorBaseERKT_EUlibE_EEviT1_,@function
_ZN2at6native32elementwise_kernel_manual_unrollILi128ELi8EZNS0_22gpu_kernel_impl_nocastIZZZNS0_12_GLOBAL__N_116addr_kernel_cudaERNS_14TensorIteratorERKN3c106ScalarES9_ENKUlvE_clEvENKUlvE0_clEvEUlaaaE_EEvRNS_18TensorIteratorBaseERKT_EUlibE_EEviT1_: ; @_ZN2at6native32elementwise_kernel_manual_unrollILi128ELi8EZNS0_22gpu_kernel_impl_nocastIZZZNS0_12_GLOBAL__N_116addr_kernel_cudaERNS_14TensorIteratorERKN3c106ScalarES9_ENKUlvE_clEvENKUlvE0_clEvEUlaaaE_EEvRNS_18TensorIteratorBaseERKT_EUlibE_EEviT1_
; %bb.0:
	s_clause 0x1
	s_load_b32 s11, s[0:1], 0x8
	s_load_b32 s36, s[0:1], 0x0
	s_bfe_u32 s2, ttmp6, 0x4000c
	s_and_b32 s3, ttmp6, 15
	s_add_co_i32 s2, s2, 1
	s_getreg_b32 s4, hwreg(HW_REG_IB_STS2, 6, 4)
	s_mul_i32 s2, ttmp9, s2
	s_add_nc_u64 s[12:13], s[0:1], 8
	s_add_co_i32 s3, s3, s2
	s_cmp_eq_u32 s4, 0
	s_mov_b32 s21, 0
	s_cselect_b32 s2, ttmp9, s3
	s_wait_xcnt 0x0
	s_mov_b32 s0, exec_lo
	v_lshl_or_b32 v0, s2, 10, v0
	s_delay_alu instid0(VALU_DEP_1) | instskip(SKIP_2) | instid1(SALU_CYCLE_1)
	v_or_b32_e32 v4, 0x380, v0
	s_wait_kmcnt 0x0
	s_add_co_i32 s28, s11, -1
	s_cmp_gt_u32 s28, 1
	s_cselect_b32 s29, -1, 0
	v_cmpx_le_i32_e64 s36, v4
	s_xor_b32 s30, exec_lo, s0
	s_cbranch_execz .LBB37_106
; %bb.1:
	s_clause 0x7
	s_load_b128 s[4:7], s[12:13], 0x4
	s_load_b64 s[16:17], s[12:13], 0x14
	s_load_b32 s33, s[12:13], 0xc4
	s_load_b96 s[8:10], s[12:13], 0xcc
	s_load_b64 s[18:19], s[12:13], 0xdc
	s_load_b64 s[14:15], s[12:13], 0x1c8
	s_load_b32 s31, s[12:13], 0x1e8
	s_load_b128 s[0:3], s[12:13], 0x1d8
	s_cmp_lg_u32 s11, 0
	s_mov_b32 s23, s21
	s_cselect_b32 s37, -1, 0
	s_min_u32 s35, s28, 15
	s_cmp_gt_u32 s11, 1
	s_cselect_b32 s34, -1, 0
	s_wait_kmcnt 0x0
	s_mov_b32 s20, s5
	s_mov_b32 s22, s16
	s_mov_b32 s5, exec_lo
	v_cmpx_gt_i32_e64 s36, v0
	s_cbranch_execnz .LBB37_9
; %bb.2:
	s_or_b32 exec_lo, exec_lo, s5
	s_delay_alu instid0(SALU_CYCLE_1)
	s_mov_b32 s5, exec_lo
	v_cmpx_gt_i32_e64 s36, v0
	s_cbranch_execnz .LBB37_21
.LBB37_3:
	s_or_b32 exec_lo, exec_lo, s5
	s_delay_alu instid0(SALU_CYCLE_1)
	s_mov_b32 s5, exec_lo
	v_cmpx_gt_i32_e64 s36, v0
	s_cbranch_execnz .LBB37_33
.LBB37_4:
	s_or_b32 exec_lo, exec_lo, s5
	s_delay_alu instid0(SALU_CYCLE_1)
	s_mov_b32 s5, exec_lo
	v_cmpx_gt_i32_e64 s36, v0
	s_cbranch_execnz .LBB37_45
.LBB37_5:
	s_or_b32 exec_lo, exec_lo, s5
	s_delay_alu instid0(SALU_CYCLE_1)
	s_mov_b32 s5, exec_lo
	v_cmpx_gt_i32_e64 s36, v0
	s_cbranch_execnz .LBB37_57
.LBB37_6:
	s_or_b32 exec_lo, exec_lo, s5
	s_delay_alu instid0(SALU_CYCLE_1)
	s_mov_b32 s5, exec_lo
	v_cmpx_gt_i32_e64 s36, v0
	s_cbranch_execnz .LBB37_69
.LBB37_7:
	s_or_b32 exec_lo, exec_lo, s5
	s_delay_alu instid0(SALU_CYCLE_1)
	s_mov_b32 s5, exec_lo
	v_cmpx_gt_i32_e64 s36, v0
	s_cbranch_execnz .LBB37_81
.LBB37_8:
	s_or_b32 exec_lo, exec_lo, s5
	s_delay_alu instid0(SALU_CYCLE_1)
	s_mov_b32 s5, exec_lo
	v_cmpx_gt_i32_e64 s36, v0
	s_cbranch_execnz .LBB37_93
	s_branch .LBB37_105
.LBB37_9:
	s_and_not1_b32 vcc_lo, exec_lo, s29
	s_cbranch_vccnz .LBB37_15
; %bb.10:
	s_and_not1_b32 vcc_lo, exec_lo, s37
	s_cbranch_vccnz .LBB37_16
; %bb.11:
	v_dual_mov_b32 v4, 0 :: v_dual_mov_b32 v1, v0
	v_dual_mov_b32 v6, 0 :: v_dual_mov_b32 v5, 0
	s_add_co_i32 s16, s35, 1
	s_mov_b64 s[24:25], 0xffffffffffffffe0
	s_and_b32 s16, s16, 30
	s_add_nc_u64 s[24:25], s[12:13], s[24:25]
	s_mov_b64 s[26:27], s[12:13]
.LBB37_12:                              ; =>This Inner Loop Header: Depth=1
	s_clause 0x1
	s_load_b128 s[40:43], s[26:27], 0x4
	s_load_b64 s[38:39], s[26:27], 0x14
	s_load_b32 s44, s[24:25], 0xe4
	s_add_co_i32 s16, s16, -2
	s_wait_xcnt 0x0
	s_add_nc_u64 s[26:27], s[26:27], 24
	s_cmp_lg_u32 s16, 0
	s_wait_kmcnt 0x0
	v_mul_hi_u32 v2, s41, v1
	s_delay_alu instid0(VALU_DEP_1) | instskip(NEXT) | instid1(VALU_DEP_1)
	v_add_nc_u32_e32 v2, v1, v2
	v_lshrrev_b32_e32 v2, s42, v2
	s_delay_alu instid0(VALU_DEP_1) | instskip(SKIP_2) | instid1(VALU_DEP_2)
	v_mul_hi_u32 v3, s38, v2
	v_mul_lo_u32 v7, v2, s40
	s_load_b96 s[40:42], s[24:25], 0xec
	v_add_nc_u32_e32 v3, v2, v3
	s_delay_alu instid0(VALU_DEP_2) | instskip(NEXT) | instid1(VALU_DEP_2)
	v_sub_nc_u32_e32 v7, v1, v7
	v_lshrrev_b32_e32 v1, s39, v3
	s_load_b64 s[38:39], s[24:25], 0xfc
	s_delay_alu instid0(VALU_DEP_2)
	v_mad_u32 v4, v7, s44, v4
	s_wait_xcnt 0x0
	s_add_nc_u64 s[24:25], s[24:25], 32
	v_mul_lo_u32 v3, v1, s43
	s_wait_kmcnt 0x0
	v_mad_u32 v5, v7, s41, v5
	v_mad_u32 v6, v7, s40, v6
	s_delay_alu instid0(VALU_DEP_3) | instskip(NEXT) | instid1(VALU_DEP_1)
	v_sub_nc_u32_e32 v2, v2, v3
	v_mad_u32 v4, v2, s42, v4
	s_delay_alu instid0(VALU_DEP_4) | instskip(NEXT) | instid1(VALU_DEP_4)
	v_mad_u32 v5, v2, s39, v5
	v_mad_u32 v6, v2, s38, v6
	s_cbranch_scc1 .LBB37_12
; %bb.13:
	s_bitcmp1_b32 s35, 0
	s_cselect_b32 s16, -1, 0
	s_delay_alu instid0(SALU_CYCLE_1)
	s_and_b32 vcc_lo, exec_lo, s16
	s_cbranch_vccnz .LBB37_17
; %bb.14:
	s_load_b96 s[40:42], s[26:27], 0x4
	s_load_b32 s16, s[24:25], 0xe4
	s_wait_xcnt 0x0
	s_load_b64 s[26:27], s[24:25], 0xec
	s_wait_kmcnt 0x0
	v_mul_hi_u32 v2, s41, v1
	s_delay_alu instid0(VALU_DEP_1) | instskip(NEXT) | instid1(VALU_DEP_1)
	v_add_nc_u32_e32 v2, v1, v2
	v_lshrrev_b32_e32 v2, s42, v2
	s_delay_alu instid0(VALU_DEP_1) | instskip(NEXT) | instid1(VALU_DEP_1)
	v_mul_lo_u32 v2, v2, s40
	v_sub_nc_u32_e32 v1, v1, v2
	s_delay_alu instid0(VALU_DEP_1)
	v_mad_u32 v4, v1, s16, v4
	v_mad_u32 v6, v1, s26, v6
	;; [unrolled: 1-line block ×3, first 2 shown]
	s_cbranch_execz .LBB37_18
	s_branch .LBB37_20
.LBB37_15:
                                        ; implicit-def: $vgpr5
                                        ; implicit-def: $vgpr6
                                        ; implicit-def: $vgpr4
	s_branch .LBB37_18
.LBB37_16:
	v_dual_mov_b32 v5, 0 :: v_dual_mov_b32 v6, 0
	v_mov_b32_e32 v4, 0
.LBB37_17:
	s_cbranch_execnz .LBB37_20
.LBB37_18:
	v_mov_b32_e32 v1, 0
	s_and_not1_b32 vcc_lo, exec_lo, s34
	s_delay_alu instid0(VALU_DEP_1) | instskip(NEXT) | instid1(VALU_DEP_1)
	v_mul_u64_e32 v[2:3], s[20:21], v[0:1]
	v_add_nc_u32_e32 v2, v0, v3
	s_delay_alu instid0(VALU_DEP_1) | instskip(NEXT) | instid1(VALU_DEP_1)
	v_lshrrev_b32_e32 v2, s6, v2
	v_mul_lo_u32 v3, v2, s4
	s_delay_alu instid0(VALU_DEP_1) | instskip(NEXT) | instid1(VALU_DEP_1)
	v_sub_nc_u32_e32 v3, v0, v3
	v_mul_lo_u32 v4, v3, s33
	v_mul_lo_u32 v5, v3, s9
	;; [unrolled: 1-line block ×3, first 2 shown]
	s_cbranch_vccnz .LBB37_20
; %bb.19:
	v_mov_b32_e32 v3, v1
	s_delay_alu instid0(VALU_DEP_1) | instskip(NEXT) | instid1(VALU_DEP_1)
	v_mul_u64_e32 v[8:9], s[22:23], v[2:3]
	v_add_nc_u32_e32 v1, v2, v9
	s_delay_alu instid0(VALU_DEP_1) | instskip(NEXT) | instid1(VALU_DEP_1)
	v_lshrrev_b32_e32 v1, s17, v1
	v_mul_lo_u32 v1, v1, s7
	s_delay_alu instid0(VALU_DEP_1) | instskip(NEXT) | instid1(VALU_DEP_1)
	v_sub_nc_u32_e32 v1, v2, v1
	v_mad_u32 v4, v1, s10, v4
	v_mad_u32 v6, v1, s18, v6
	;; [unrolled: 1-line block ×3, first 2 shown]
.LBB37_20:
	global_load_u8 v1, v6, s[0:1]
	global_load_u8 v2, v5, s[2:3]
	v_add_nc_u32_e32 v0, 0x80, v0
	s_wait_loadcnt 0x1
	v_mul_lo_u16 v1, v1, s31
	s_wait_loadcnt 0x0
	s_delay_alu instid0(VALU_DEP_1) | instskip(SKIP_3) | instid1(SALU_CYCLE_1)
	v_mul_lo_u16 v1, v1, v2
	global_store_b8 v4, v1, s[14:15]
	s_wait_xcnt 0x0
	s_or_b32 exec_lo, exec_lo, s5
	s_mov_b32 s5, exec_lo
	v_cmpx_gt_i32_e64 s36, v0
	s_cbranch_execz .LBB37_3
.LBB37_21:
	s_and_not1_b32 vcc_lo, exec_lo, s29
	s_cbranch_vccnz .LBB37_27
; %bb.22:
	s_and_not1_b32 vcc_lo, exec_lo, s37
	s_cbranch_vccnz .LBB37_28
; %bb.23:
	v_dual_mov_b32 v4, 0 :: v_dual_mov_b32 v1, v0
	v_dual_mov_b32 v6, 0 :: v_dual_mov_b32 v5, 0
	s_add_co_i32 s16, s35, 1
	s_mov_b64 s[24:25], 0xffffffffffffffe0
	s_and_b32 s16, s16, 30
	s_add_nc_u64 s[24:25], s[12:13], s[24:25]
	s_mov_b64 s[26:27], s[12:13]
.LBB37_24:                              ; =>This Inner Loop Header: Depth=1
	s_clause 0x1
	s_load_b128 s[40:43], s[26:27], 0x4
	s_load_b64 s[38:39], s[26:27], 0x14
	s_load_b32 s44, s[24:25], 0xe4
	s_add_co_i32 s16, s16, -2
	s_wait_xcnt 0x0
	s_add_nc_u64 s[26:27], s[26:27], 24
	s_cmp_eq_u32 s16, 0
	s_wait_kmcnt 0x0
	v_mul_hi_u32 v2, s41, v1
	s_delay_alu instid0(VALU_DEP_1) | instskip(NEXT) | instid1(VALU_DEP_1)
	v_add_nc_u32_e32 v2, v1, v2
	v_lshrrev_b32_e32 v2, s42, v2
	s_delay_alu instid0(VALU_DEP_1) | instskip(SKIP_2) | instid1(VALU_DEP_2)
	v_mul_hi_u32 v3, s38, v2
	v_mul_lo_u32 v7, v2, s40
	s_load_b96 s[40:42], s[24:25], 0xec
	v_add_nc_u32_e32 v3, v2, v3
	s_delay_alu instid0(VALU_DEP_2) | instskip(NEXT) | instid1(VALU_DEP_2)
	v_sub_nc_u32_e32 v7, v1, v7
	v_lshrrev_b32_e32 v1, s39, v3
	s_load_b64 s[38:39], s[24:25], 0xfc
	s_delay_alu instid0(VALU_DEP_2)
	v_mad_u32 v4, v7, s44, v4
	s_wait_xcnt 0x0
	s_add_nc_u64 s[24:25], s[24:25], 32
	v_mul_lo_u32 v3, v1, s43
	s_wait_kmcnt 0x0
	v_mad_u32 v5, v7, s41, v5
	v_mad_u32 v6, v7, s40, v6
	s_delay_alu instid0(VALU_DEP_3) | instskip(NEXT) | instid1(VALU_DEP_1)
	v_sub_nc_u32_e32 v2, v2, v3
	v_mad_u32 v4, v2, s42, v4
	s_delay_alu instid0(VALU_DEP_4) | instskip(NEXT) | instid1(VALU_DEP_4)
	v_mad_u32 v5, v2, s39, v5
	v_mad_u32 v6, v2, s38, v6
	s_cbranch_scc0 .LBB37_24
; %bb.25:
	s_bitcmp1_b32 s35, 0
	s_cselect_b32 s16, -1, 0
	s_delay_alu instid0(SALU_CYCLE_1)
	s_and_b32 vcc_lo, exec_lo, s16
	s_cbranch_vccnz .LBB37_29
; %bb.26:
	s_load_b96 s[40:42], s[26:27], 0x4
	s_load_b32 s16, s[24:25], 0xe4
	s_wait_xcnt 0x0
	s_load_b64 s[26:27], s[24:25], 0xec
	s_wait_kmcnt 0x0
	v_mul_hi_u32 v2, s41, v1
	s_delay_alu instid0(VALU_DEP_1) | instskip(NEXT) | instid1(VALU_DEP_1)
	v_add_nc_u32_e32 v2, v1, v2
	v_lshrrev_b32_e32 v2, s42, v2
	s_delay_alu instid0(VALU_DEP_1) | instskip(NEXT) | instid1(VALU_DEP_1)
	v_mul_lo_u32 v2, v2, s40
	v_sub_nc_u32_e32 v1, v1, v2
	s_delay_alu instid0(VALU_DEP_1)
	v_mad_u32 v4, v1, s16, v4
	v_mad_u32 v6, v1, s26, v6
	;; [unrolled: 1-line block ×3, first 2 shown]
	s_branch .LBB37_29
.LBB37_27:
                                        ; implicit-def: $vgpr5
                                        ; implicit-def: $vgpr6
                                        ; implicit-def: $vgpr4
	s_branch .LBB37_30
.LBB37_28:
	v_dual_mov_b32 v5, 0 :: v_dual_mov_b32 v6, 0
	v_mov_b32_e32 v4, 0
.LBB37_29:
	s_cbranch_execnz .LBB37_32
.LBB37_30:
	v_mov_b32_e32 v1, 0
	s_and_not1_b32 vcc_lo, exec_lo, s34
	s_delay_alu instid0(VALU_DEP_1) | instskip(NEXT) | instid1(VALU_DEP_1)
	v_mul_u64_e32 v[2:3], s[20:21], v[0:1]
	v_add_nc_u32_e32 v2, v0, v3
	s_delay_alu instid0(VALU_DEP_1) | instskip(NEXT) | instid1(VALU_DEP_1)
	v_lshrrev_b32_e32 v2, s6, v2
	v_mul_lo_u32 v3, v2, s4
	s_delay_alu instid0(VALU_DEP_1) | instskip(NEXT) | instid1(VALU_DEP_1)
	v_sub_nc_u32_e32 v3, v0, v3
	v_mul_lo_u32 v4, v3, s33
	v_mul_lo_u32 v5, v3, s9
	;; [unrolled: 1-line block ×3, first 2 shown]
	s_cbranch_vccnz .LBB37_32
; %bb.31:
	v_mov_b32_e32 v3, v1
	s_delay_alu instid0(VALU_DEP_1) | instskip(NEXT) | instid1(VALU_DEP_1)
	v_mul_u64_e32 v[8:9], s[22:23], v[2:3]
	v_add_nc_u32_e32 v1, v2, v9
	s_delay_alu instid0(VALU_DEP_1) | instskip(NEXT) | instid1(VALU_DEP_1)
	v_lshrrev_b32_e32 v1, s17, v1
	v_mul_lo_u32 v1, v1, s7
	s_delay_alu instid0(VALU_DEP_1) | instskip(NEXT) | instid1(VALU_DEP_1)
	v_sub_nc_u32_e32 v1, v2, v1
	v_mad_u32 v4, v1, s10, v4
	v_mad_u32 v6, v1, s18, v6
	v_mad_u32 v5, v1, s19, v5
.LBB37_32:
	global_load_u8 v1, v6, s[0:1]
	global_load_u8 v2, v5, s[2:3]
	v_add_nc_u32_e32 v0, 0x80, v0
	s_wait_loadcnt 0x1
	v_mul_lo_u16 v1, v1, s31
	s_wait_loadcnt 0x0
	s_delay_alu instid0(VALU_DEP_1) | instskip(SKIP_3) | instid1(SALU_CYCLE_1)
	v_mul_lo_u16 v1, v1, v2
	global_store_b8 v4, v1, s[14:15]
	s_wait_xcnt 0x0
	s_or_b32 exec_lo, exec_lo, s5
	s_mov_b32 s5, exec_lo
	v_cmpx_gt_i32_e64 s36, v0
	s_cbranch_execz .LBB37_4
.LBB37_33:
	s_and_not1_b32 vcc_lo, exec_lo, s29
	s_cbranch_vccnz .LBB37_39
; %bb.34:
	s_and_not1_b32 vcc_lo, exec_lo, s37
	s_cbranch_vccnz .LBB37_40
; %bb.35:
	v_dual_mov_b32 v4, 0 :: v_dual_mov_b32 v1, v0
	v_dual_mov_b32 v6, 0 :: v_dual_mov_b32 v5, 0
	s_add_co_i32 s16, s35, 1
	s_mov_b64 s[24:25], 0xffffffffffffffe0
	s_and_b32 s16, s16, 30
	s_add_nc_u64 s[24:25], s[12:13], s[24:25]
	s_mov_b64 s[26:27], s[12:13]
.LBB37_36:                              ; =>This Inner Loop Header: Depth=1
	s_clause 0x1
	s_load_b128 s[40:43], s[26:27], 0x4
	s_load_b64 s[38:39], s[26:27], 0x14
	s_load_b32 s44, s[24:25], 0xe4
	s_add_co_i32 s16, s16, -2
	s_wait_xcnt 0x0
	s_add_nc_u64 s[26:27], s[26:27], 24
	s_cmp_eq_u32 s16, 0
	s_wait_kmcnt 0x0
	v_mul_hi_u32 v2, s41, v1
	s_delay_alu instid0(VALU_DEP_1) | instskip(NEXT) | instid1(VALU_DEP_1)
	v_add_nc_u32_e32 v2, v1, v2
	v_lshrrev_b32_e32 v2, s42, v2
	s_delay_alu instid0(VALU_DEP_1) | instskip(SKIP_2) | instid1(VALU_DEP_2)
	v_mul_hi_u32 v3, s38, v2
	v_mul_lo_u32 v7, v2, s40
	s_load_b96 s[40:42], s[24:25], 0xec
	v_add_nc_u32_e32 v3, v2, v3
	s_delay_alu instid0(VALU_DEP_2) | instskip(NEXT) | instid1(VALU_DEP_2)
	v_sub_nc_u32_e32 v7, v1, v7
	v_lshrrev_b32_e32 v1, s39, v3
	s_load_b64 s[38:39], s[24:25], 0xfc
	s_delay_alu instid0(VALU_DEP_2)
	v_mad_u32 v4, v7, s44, v4
	s_wait_xcnt 0x0
	s_add_nc_u64 s[24:25], s[24:25], 32
	v_mul_lo_u32 v3, v1, s43
	s_wait_kmcnt 0x0
	v_mad_u32 v5, v7, s41, v5
	v_mad_u32 v6, v7, s40, v6
	s_delay_alu instid0(VALU_DEP_3) | instskip(NEXT) | instid1(VALU_DEP_1)
	v_sub_nc_u32_e32 v2, v2, v3
	v_mad_u32 v4, v2, s42, v4
	s_delay_alu instid0(VALU_DEP_4) | instskip(NEXT) | instid1(VALU_DEP_4)
	v_mad_u32 v5, v2, s39, v5
	v_mad_u32 v6, v2, s38, v6
	s_cbranch_scc0 .LBB37_36
; %bb.37:
	s_bitcmp1_b32 s35, 0
	s_cselect_b32 s16, -1, 0
	s_delay_alu instid0(SALU_CYCLE_1)
	s_and_b32 vcc_lo, exec_lo, s16
	s_cbranch_vccnz .LBB37_41
; %bb.38:
	s_load_b96 s[40:42], s[26:27], 0x4
	s_load_b32 s16, s[24:25], 0xe4
	s_wait_xcnt 0x0
	s_load_b64 s[26:27], s[24:25], 0xec
	s_wait_kmcnt 0x0
	v_mul_hi_u32 v2, s41, v1
	s_delay_alu instid0(VALU_DEP_1) | instskip(NEXT) | instid1(VALU_DEP_1)
	v_add_nc_u32_e32 v2, v1, v2
	v_lshrrev_b32_e32 v2, s42, v2
	s_delay_alu instid0(VALU_DEP_1) | instskip(NEXT) | instid1(VALU_DEP_1)
	v_mul_lo_u32 v2, v2, s40
	v_sub_nc_u32_e32 v1, v1, v2
	s_delay_alu instid0(VALU_DEP_1)
	v_mad_u32 v4, v1, s16, v4
	v_mad_u32 v6, v1, s26, v6
	;; [unrolled: 1-line block ×3, first 2 shown]
	s_branch .LBB37_41
.LBB37_39:
                                        ; implicit-def: $vgpr5
                                        ; implicit-def: $vgpr6
                                        ; implicit-def: $vgpr4
	s_branch .LBB37_42
.LBB37_40:
	v_dual_mov_b32 v5, 0 :: v_dual_mov_b32 v6, 0
	v_mov_b32_e32 v4, 0
.LBB37_41:
	s_cbranch_execnz .LBB37_44
.LBB37_42:
	v_mov_b32_e32 v1, 0
	s_and_not1_b32 vcc_lo, exec_lo, s34
	s_delay_alu instid0(VALU_DEP_1) | instskip(NEXT) | instid1(VALU_DEP_1)
	v_mul_u64_e32 v[2:3], s[20:21], v[0:1]
	v_add_nc_u32_e32 v2, v0, v3
	s_delay_alu instid0(VALU_DEP_1) | instskip(NEXT) | instid1(VALU_DEP_1)
	v_lshrrev_b32_e32 v2, s6, v2
	v_mul_lo_u32 v3, v2, s4
	s_delay_alu instid0(VALU_DEP_1) | instskip(NEXT) | instid1(VALU_DEP_1)
	v_sub_nc_u32_e32 v3, v0, v3
	v_mul_lo_u32 v4, v3, s33
	v_mul_lo_u32 v5, v3, s9
	;; [unrolled: 1-line block ×3, first 2 shown]
	s_cbranch_vccnz .LBB37_44
; %bb.43:
	v_mov_b32_e32 v3, v1
	s_delay_alu instid0(VALU_DEP_1) | instskip(NEXT) | instid1(VALU_DEP_1)
	v_mul_u64_e32 v[8:9], s[22:23], v[2:3]
	v_add_nc_u32_e32 v1, v2, v9
	s_delay_alu instid0(VALU_DEP_1) | instskip(NEXT) | instid1(VALU_DEP_1)
	v_lshrrev_b32_e32 v1, s17, v1
	v_mul_lo_u32 v1, v1, s7
	s_delay_alu instid0(VALU_DEP_1) | instskip(NEXT) | instid1(VALU_DEP_1)
	v_sub_nc_u32_e32 v1, v2, v1
	v_mad_u32 v4, v1, s10, v4
	v_mad_u32 v6, v1, s18, v6
	;; [unrolled: 1-line block ×3, first 2 shown]
.LBB37_44:
	global_load_u8 v1, v6, s[0:1]
	global_load_u8 v2, v5, s[2:3]
	v_add_nc_u32_e32 v0, 0x80, v0
	s_wait_loadcnt 0x1
	v_mul_lo_u16 v1, v1, s31
	s_wait_loadcnt 0x0
	s_delay_alu instid0(VALU_DEP_1) | instskip(SKIP_3) | instid1(SALU_CYCLE_1)
	v_mul_lo_u16 v1, v1, v2
	global_store_b8 v4, v1, s[14:15]
	s_wait_xcnt 0x0
	s_or_b32 exec_lo, exec_lo, s5
	s_mov_b32 s5, exec_lo
	v_cmpx_gt_i32_e64 s36, v0
	s_cbranch_execz .LBB37_5
.LBB37_45:
	s_and_not1_b32 vcc_lo, exec_lo, s29
	s_cbranch_vccnz .LBB37_51
; %bb.46:
	s_and_not1_b32 vcc_lo, exec_lo, s37
	s_cbranch_vccnz .LBB37_52
; %bb.47:
	v_dual_mov_b32 v4, 0 :: v_dual_mov_b32 v1, v0
	v_dual_mov_b32 v6, 0 :: v_dual_mov_b32 v5, 0
	s_add_co_i32 s16, s35, 1
	s_mov_b64 s[24:25], 0xffffffffffffffe0
	s_and_b32 s16, s16, 30
	s_add_nc_u64 s[24:25], s[12:13], s[24:25]
	s_mov_b64 s[26:27], s[12:13]
.LBB37_48:                              ; =>This Inner Loop Header: Depth=1
	s_clause 0x1
	s_load_b128 s[40:43], s[26:27], 0x4
	s_load_b64 s[38:39], s[26:27], 0x14
	s_load_b32 s44, s[24:25], 0xe4
	s_add_co_i32 s16, s16, -2
	s_wait_xcnt 0x0
	s_add_nc_u64 s[26:27], s[26:27], 24
	s_cmp_eq_u32 s16, 0
	s_wait_kmcnt 0x0
	v_mul_hi_u32 v2, s41, v1
	s_delay_alu instid0(VALU_DEP_1) | instskip(NEXT) | instid1(VALU_DEP_1)
	v_add_nc_u32_e32 v2, v1, v2
	v_lshrrev_b32_e32 v2, s42, v2
	s_delay_alu instid0(VALU_DEP_1) | instskip(SKIP_2) | instid1(VALU_DEP_2)
	v_mul_hi_u32 v3, s38, v2
	v_mul_lo_u32 v7, v2, s40
	s_load_b96 s[40:42], s[24:25], 0xec
	v_add_nc_u32_e32 v3, v2, v3
	s_delay_alu instid0(VALU_DEP_2) | instskip(NEXT) | instid1(VALU_DEP_2)
	v_sub_nc_u32_e32 v7, v1, v7
	v_lshrrev_b32_e32 v1, s39, v3
	s_load_b64 s[38:39], s[24:25], 0xfc
	s_delay_alu instid0(VALU_DEP_2)
	v_mad_u32 v4, v7, s44, v4
	s_wait_xcnt 0x0
	s_add_nc_u64 s[24:25], s[24:25], 32
	v_mul_lo_u32 v3, v1, s43
	s_wait_kmcnt 0x0
	v_mad_u32 v5, v7, s41, v5
	v_mad_u32 v6, v7, s40, v6
	s_delay_alu instid0(VALU_DEP_3) | instskip(NEXT) | instid1(VALU_DEP_1)
	v_sub_nc_u32_e32 v2, v2, v3
	v_mad_u32 v4, v2, s42, v4
	s_delay_alu instid0(VALU_DEP_4) | instskip(NEXT) | instid1(VALU_DEP_4)
	v_mad_u32 v5, v2, s39, v5
	v_mad_u32 v6, v2, s38, v6
	s_cbranch_scc0 .LBB37_48
; %bb.49:
	s_bitcmp1_b32 s35, 0
	s_cselect_b32 s16, -1, 0
	s_delay_alu instid0(SALU_CYCLE_1)
	s_and_b32 vcc_lo, exec_lo, s16
	s_cbranch_vccnz .LBB37_53
; %bb.50:
	s_load_b96 s[40:42], s[26:27], 0x4
	s_load_b32 s16, s[24:25], 0xe4
	s_wait_xcnt 0x0
	s_load_b64 s[26:27], s[24:25], 0xec
	s_wait_kmcnt 0x0
	v_mul_hi_u32 v2, s41, v1
	s_delay_alu instid0(VALU_DEP_1) | instskip(NEXT) | instid1(VALU_DEP_1)
	v_add_nc_u32_e32 v2, v1, v2
	v_lshrrev_b32_e32 v2, s42, v2
	s_delay_alu instid0(VALU_DEP_1) | instskip(NEXT) | instid1(VALU_DEP_1)
	v_mul_lo_u32 v2, v2, s40
	v_sub_nc_u32_e32 v1, v1, v2
	s_delay_alu instid0(VALU_DEP_1)
	v_mad_u32 v4, v1, s16, v4
	v_mad_u32 v6, v1, s26, v6
	;; [unrolled: 1-line block ×3, first 2 shown]
	s_branch .LBB37_53
.LBB37_51:
                                        ; implicit-def: $vgpr5
                                        ; implicit-def: $vgpr6
                                        ; implicit-def: $vgpr4
	s_branch .LBB37_54
.LBB37_52:
	v_dual_mov_b32 v5, 0 :: v_dual_mov_b32 v6, 0
	v_mov_b32_e32 v4, 0
.LBB37_53:
	s_cbranch_execnz .LBB37_56
.LBB37_54:
	v_mov_b32_e32 v1, 0
	s_and_not1_b32 vcc_lo, exec_lo, s34
	s_delay_alu instid0(VALU_DEP_1) | instskip(NEXT) | instid1(VALU_DEP_1)
	v_mul_u64_e32 v[2:3], s[20:21], v[0:1]
	v_add_nc_u32_e32 v2, v0, v3
	s_delay_alu instid0(VALU_DEP_1) | instskip(NEXT) | instid1(VALU_DEP_1)
	v_lshrrev_b32_e32 v2, s6, v2
	v_mul_lo_u32 v3, v2, s4
	s_delay_alu instid0(VALU_DEP_1) | instskip(NEXT) | instid1(VALU_DEP_1)
	v_sub_nc_u32_e32 v3, v0, v3
	v_mul_lo_u32 v4, v3, s33
	v_mul_lo_u32 v5, v3, s9
	;; [unrolled: 1-line block ×3, first 2 shown]
	s_cbranch_vccnz .LBB37_56
; %bb.55:
	v_mov_b32_e32 v3, v1
	s_delay_alu instid0(VALU_DEP_1) | instskip(NEXT) | instid1(VALU_DEP_1)
	v_mul_u64_e32 v[8:9], s[22:23], v[2:3]
	v_add_nc_u32_e32 v1, v2, v9
	s_delay_alu instid0(VALU_DEP_1) | instskip(NEXT) | instid1(VALU_DEP_1)
	v_lshrrev_b32_e32 v1, s17, v1
	v_mul_lo_u32 v1, v1, s7
	s_delay_alu instid0(VALU_DEP_1) | instskip(NEXT) | instid1(VALU_DEP_1)
	v_sub_nc_u32_e32 v1, v2, v1
	v_mad_u32 v4, v1, s10, v4
	v_mad_u32 v6, v1, s18, v6
	;; [unrolled: 1-line block ×3, first 2 shown]
.LBB37_56:
	global_load_u8 v1, v6, s[0:1]
	global_load_u8 v2, v5, s[2:3]
	v_add_nc_u32_e32 v0, 0x80, v0
	s_wait_loadcnt 0x1
	v_mul_lo_u16 v1, v1, s31
	s_wait_loadcnt 0x0
	s_delay_alu instid0(VALU_DEP_1) | instskip(SKIP_3) | instid1(SALU_CYCLE_1)
	v_mul_lo_u16 v1, v1, v2
	global_store_b8 v4, v1, s[14:15]
	s_wait_xcnt 0x0
	s_or_b32 exec_lo, exec_lo, s5
	s_mov_b32 s5, exec_lo
	v_cmpx_gt_i32_e64 s36, v0
	s_cbranch_execz .LBB37_6
.LBB37_57:
	s_and_not1_b32 vcc_lo, exec_lo, s29
	s_cbranch_vccnz .LBB37_63
; %bb.58:
	s_and_not1_b32 vcc_lo, exec_lo, s37
	s_cbranch_vccnz .LBB37_64
; %bb.59:
	v_dual_mov_b32 v4, 0 :: v_dual_mov_b32 v1, v0
	v_dual_mov_b32 v6, 0 :: v_dual_mov_b32 v5, 0
	s_add_co_i32 s16, s35, 1
	s_mov_b64 s[24:25], 0xffffffffffffffe0
	s_and_b32 s16, s16, 30
	s_add_nc_u64 s[24:25], s[12:13], s[24:25]
	s_mov_b64 s[26:27], s[12:13]
.LBB37_60:                              ; =>This Inner Loop Header: Depth=1
	s_clause 0x1
	s_load_b128 s[40:43], s[26:27], 0x4
	s_load_b64 s[38:39], s[26:27], 0x14
	s_load_b32 s44, s[24:25], 0xe4
	s_add_co_i32 s16, s16, -2
	s_wait_xcnt 0x0
	s_add_nc_u64 s[26:27], s[26:27], 24
	s_cmp_eq_u32 s16, 0
	s_wait_kmcnt 0x0
	v_mul_hi_u32 v2, s41, v1
	s_delay_alu instid0(VALU_DEP_1) | instskip(NEXT) | instid1(VALU_DEP_1)
	v_add_nc_u32_e32 v2, v1, v2
	v_lshrrev_b32_e32 v2, s42, v2
	s_delay_alu instid0(VALU_DEP_1) | instskip(SKIP_2) | instid1(VALU_DEP_2)
	v_mul_hi_u32 v3, s38, v2
	v_mul_lo_u32 v7, v2, s40
	s_load_b96 s[40:42], s[24:25], 0xec
	v_add_nc_u32_e32 v3, v2, v3
	s_delay_alu instid0(VALU_DEP_2) | instskip(NEXT) | instid1(VALU_DEP_2)
	v_sub_nc_u32_e32 v7, v1, v7
	v_lshrrev_b32_e32 v1, s39, v3
	s_load_b64 s[38:39], s[24:25], 0xfc
	s_delay_alu instid0(VALU_DEP_2)
	v_mad_u32 v4, v7, s44, v4
	s_wait_xcnt 0x0
	s_add_nc_u64 s[24:25], s[24:25], 32
	v_mul_lo_u32 v3, v1, s43
	s_wait_kmcnt 0x0
	v_mad_u32 v5, v7, s41, v5
	v_mad_u32 v6, v7, s40, v6
	s_delay_alu instid0(VALU_DEP_3) | instskip(NEXT) | instid1(VALU_DEP_1)
	v_sub_nc_u32_e32 v2, v2, v3
	v_mad_u32 v4, v2, s42, v4
	s_delay_alu instid0(VALU_DEP_4) | instskip(NEXT) | instid1(VALU_DEP_4)
	v_mad_u32 v5, v2, s39, v5
	v_mad_u32 v6, v2, s38, v6
	s_cbranch_scc0 .LBB37_60
; %bb.61:
	s_bitcmp1_b32 s35, 0
	s_cselect_b32 s16, -1, 0
	s_delay_alu instid0(SALU_CYCLE_1)
	s_and_b32 vcc_lo, exec_lo, s16
	s_cbranch_vccnz .LBB37_65
; %bb.62:
	s_load_b96 s[40:42], s[26:27], 0x4
	s_load_b32 s16, s[24:25], 0xe4
	s_wait_xcnt 0x0
	s_load_b64 s[26:27], s[24:25], 0xec
	s_wait_kmcnt 0x0
	v_mul_hi_u32 v2, s41, v1
	s_delay_alu instid0(VALU_DEP_1) | instskip(NEXT) | instid1(VALU_DEP_1)
	v_add_nc_u32_e32 v2, v1, v2
	v_lshrrev_b32_e32 v2, s42, v2
	s_delay_alu instid0(VALU_DEP_1) | instskip(NEXT) | instid1(VALU_DEP_1)
	v_mul_lo_u32 v2, v2, s40
	v_sub_nc_u32_e32 v1, v1, v2
	s_delay_alu instid0(VALU_DEP_1)
	v_mad_u32 v4, v1, s16, v4
	v_mad_u32 v6, v1, s26, v6
	;; [unrolled: 1-line block ×3, first 2 shown]
	s_branch .LBB37_65
.LBB37_63:
                                        ; implicit-def: $vgpr5
                                        ; implicit-def: $vgpr6
                                        ; implicit-def: $vgpr4
	s_branch .LBB37_66
.LBB37_64:
	v_dual_mov_b32 v5, 0 :: v_dual_mov_b32 v6, 0
	v_mov_b32_e32 v4, 0
.LBB37_65:
	s_cbranch_execnz .LBB37_68
.LBB37_66:
	v_mov_b32_e32 v1, 0
	s_and_not1_b32 vcc_lo, exec_lo, s34
	s_delay_alu instid0(VALU_DEP_1) | instskip(NEXT) | instid1(VALU_DEP_1)
	v_mul_u64_e32 v[2:3], s[20:21], v[0:1]
	v_add_nc_u32_e32 v2, v0, v3
	s_delay_alu instid0(VALU_DEP_1) | instskip(NEXT) | instid1(VALU_DEP_1)
	v_lshrrev_b32_e32 v2, s6, v2
	v_mul_lo_u32 v3, v2, s4
	s_delay_alu instid0(VALU_DEP_1) | instskip(NEXT) | instid1(VALU_DEP_1)
	v_sub_nc_u32_e32 v3, v0, v3
	v_mul_lo_u32 v4, v3, s33
	v_mul_lo_u32 v5, v3, s9
	;; [unrolled: 1-line block ×3, first 2 shown]
	s_cbranch_vccnz .LBB37_68
; %bb.67:
	v_mov_b32_e32 v3, v1
	s_delay_alu instid0(VALU_DEP_1) | instskip(NEXT) | instid1(VALU_DEP_1)
	v_mul_u64_e32 v[8:9], s[22:23], v[2:3]
	v_add_nc_u32_e32 v1, v2, v9
	s_delay_alu instid0(VALU_DEP_1) | instskip(NEXT) | instid1(VALU_DEP_1)
	v_lshrrev_b32_e32 v1, s17, v1
	v_mul_lo_u32 v1, v1, s7
	s_delay_alu instid0(VALU_DEP_1) | instskip(NEXT) | instid1(VALU_DEP_1)
	v_sub_nc_u32_e32 v1, v2, v1
	v_mad_u32 v4, v1, s10, v4
	v_mad_u32 v6, v1, s18, v6
	;; [unrolled: 1-line block ×3, first 2 shown]
.LBB37_68:
	global_load_u8 v1, v6, s[0:1]
	global_load_u8 v2, v5, s[2:3]
	v_add_nc_u32_e32 v0, 0x80, v0
	s_wait_loadcnt 0x1
	v_mul_lo_u16 v1, v1, s31
	s_wait_loadcnt 0x0
	s_delay_alu instid0(VALU_DEP_1) | instskip(SKIP_3) | instid1(SALU_CYCLE_1)
	v_mul_lo_u16 v1, v1, v2
	global_store_b8 v4, v1, s[14:15]
	s_wait_xcnt 0x0
	s_or_b32 exec_lo, exec_lo, s5
	s_mov_b32 s5, exec_lo
	v_cmpx_gt_i32_e64 s36, v0
	s_cbranch_execz .LBB37_7
.LBB37_69:
	s_and_not1_b32 vcc_lo, exec_lo, s29
	s_cbranch_vccnz .LBB37_75
; %bb.70:
	s_and_not1_b32 vcc_lo, exec_lo, s37
	s_cbranch_vccnz .LBB37_76
; %bb.71:
	v_dual_mov_b32 v4, 0 :: v_dual_mov_b32 v1, v0
	v_dual_mov_b32 v6, 0 :: v_dual_mov_b32 v5, 0
	s_add_co_i32 s16, s35, 1
	s_mov_b64 s[24:25], 0xffffffffffffffe0
	s_and_b32 s16, s16, 30
	s_add_nc_u64 s[24:25], s[12:13], s[24:25]
	s_mov_b64 s[26:27], s[12:13]
.LBB37_72:                              ; =>This Inner Loop Header: Depth=1
	s_clause 0x1
	s_load_b128 s[40:43], s[26:27], 0x4
	s_load_b64 s[38:39], s[26:27], 0x14
	s_load_b32 s44, s[24:25], 0xe4
	s_add_co_i32 s16, s16, -2
	s_wait_xcnt 0x0
	s_add_nc_u64 s[26:27], s[26:27], 24
	s_cmp_eq_u32 s16, 0
	s_wait_kmcnt 0x0
	v_mul_hi_u32 v2, s41, v1
	s_delay_alu instid0(VALU_DEP_1) | instskip(NEXT) | instid1(VALU_DEP_1)
	v_add_nc_u32_e32 v2, v1, v2
	v_lshrrev_b32_e32 v2, s42, v2
	s_delay_alu instid0(VALU_DEP_1) | instskip(SKIP_2) | instid1(VALU_DEP_2)
	v_mul_hi_u32 v3, s38, v2
	v_mul_lo_u32 v7, v2, s40
	s_load_b96 s[40:42], s[24:25], 0xec
	v_add_nc_u32_e32 v3, v2, v3
	s_delay_alu instid0(VALU_DEP_2) | instskip(NEXT) | instid1(VALU_DEP_2)
	v_sub_nc_u32_e32 v7, v1, v7
	v_lshrrev_b32_e32 v1, s39, v3
	s_load_b64 s[38:39], s[24:25], 0xfc
	s_delay_alu instid0(VALU_DEP_2)
	v_mad_u32 v4, v7, s44, v4
	s_wait_xcnt 0x0
	s_add_nc_u64 s[24:25], s[24:25], 32
	v_mul_lo_u32 v3, v1, s43
	s_wait_kmcnt 0x0
	v_mad_u32 v5, v7, s41, v5
	v_mad_u32 v6, v7, s40, v6
	s_delay_alu instid0(VALU_DEP_3) | instskip(NEXT) | instid1(VALU_DEP_1)
	v_sub_nc_u32_e32 v2, v2, v3
	v_mad_u32 v4, v2, s42, v4
	s_delay_alu instid0(VALU_DEP_4) | instskip(NEXT) | instid1(VALU_DEP_4)
	v_mad_u32 v5, v2, s39, v5
	v_mad_u32 v6, v2, s38, v6
	s_cbranch_scc0 .LBB37_72
; %bb.73:
	s_bitcmp1_b32 s35, 0
	s_cselect_b32 s16, -1, 0
	s_delay_alu instid0(SALU_CYCLE_1)
	s_and_b32 vcc_lo, exec_lo, s16
	s_cbranch_vccnz .LBB37_77
; %bb.74:
	s_load_b96 s[40:42], s[26:27], 0x4
	s_load_b32 s16, s[24:25], 0xe4
	s_wait_xcnt 0x0
	s_load_b64 s[26:27], s[24:25], 0xec
	s_wait_kmcnt 0x0
	v_mul_hi_u32 v2, s41, v1
	s_delay_alu instid0(VALU_DEP_1) | instskip(NEXT) | instid1(VALU_DEP_1)
	v_add_nc_u32_e32 v2, v1, v2
	v_lshrrev_b32_e32 v2, s42, v2
	s_delay_alu instid0(VALU_DEP_1) | instskip(NEXT) | instid1(VALU_DEP_1)
	v_mul_lo_u32 v2, v2, s40
	v_sub_nc_u32_e32 v1, v1, v2
	s_delay_alu instid0(VALU_DEP_1)
	v_mad_u32 v4, v1, s16, v4
	v_mad_u32 v6, v1, s26, v6
	v_mad_u32 v5, v1, s27, v5
	s_branch .LBB37_77
.LBB37_75:
                                        ; implicit-def: $vgpr5
                                        ; implicit-def: $vgpr6
                                        ; implicit-def: $vgpr4
	s_branch .LBB37_78
.LBB37_76:
	v_dual_mov_b32 v5, 0 :: v_dual_mov_b32 v6, 0
	v_mov_b32_e32 v4, 0
.LBB37_77:
	s_cbranch_execnz .LBB37_80
.LBB37_78:
	v_mov_b32_e32 v1, 0
	s_and_not1_b32 vcc_lo, exec_lo, s34
	s_delay_alu instid0(VALU_DEP_1) | instskip(NEXT) | instid1(VALU_DEP_1)
	v_mul_u64_e32 v[2:3], s[20:21], v[0:1]
	v_add_nc_u32_e32 v2, v0, v3
	s_delay_alu instid0(VALU_DEP_1) | instskip(NEXT) | instid1(VALU_DEP_1)
	v_lshrrev_b32_e32 v2, s6, v2
	v_mul_lo_u32 v3, v2, s4
	s_delay_alu instid0(VALU_DEP_1) | instskip(NEXT) | instid1(VALU_DEP_1)
	v_sub_nc_u32_e32 v3, v0, v3
	v_mul_lo_u32 v4, v3, s33
	v_mul_lo_u32 v5, v3, s9
	;; [unrolled: 1-line block ×3, first 2 shown]
	s_cbranch_vccnz .LBB37_80
; %bb.79:
	v_mov_b32_e32 v3, v1
	s_delay_alu instid0(VALU_DEP_1) | instskip(NEXT) | instid1(VALU_DEP_1)
	v_mul_u64_e32 v[8:9], s[22:23], v[2:3]
	v_add_nc_u32_e32 v1, v2, v9
	s_delay_alu instid0(VALU_DEP_1) | instskip(NEXT) | instid1(VALU_DEP_1)
	v_lshrrev_b32_e32 v1, s17, v1
	v_mul_lo_u32 v1, v1, s7
	s_delay_alu instid0(VALU_DEP_1) | instskip(NEXT) | instid1(VALU_DEP_1)
	v_sub_nc_u32_e32 v1, v2, v1
	v_mad_u32 v4, v1, s10, v4
	v_mad_u32 v6, v1, s18, v6
	;; [unrolled: 1-line block ×3, first 2 shown]
.LBB37_80:
	global_load_u8 v1, v6, s[0:1]
	global_load_u8 v2, v5, s[2:3]
	v_add_nc_u32_e32 v0, 0x80, v0
	s_wait_loadcnt 0x1
	v_mul_lo_u16 v1, v1, s31
	s_wait_loadcnt 0x0
	s_delay_alu instid0(VALU_DEP_1) | instskip(SKIP_3) | instid1(SALU_CYCLE_1)
	v_mul_lo_u16 v1, v1, v2
	global_store_b8 v4, v1, s[14:15]
	s_wait_xcnt 0x0
	s_or_b32 exec_lo, exec_lo, s5
	s_mov_b32 s5, exec_lo
	v_cmpx_gt_i32_e64 s36, v0
	s_cbranch_execz .LBB37_8
.LBB37_81:
	s_and_not1_b32 vcc_lo, exec_lo, s29
	s_cbranch_vccnz .LBB37_87
; %bb.82:
	s_and_not1_b32 vcc_lo, exec_lo, s37
	s_cbranch_vccnz .LBB37_88
; %bb.83:
	v_dual_mov_b32 v4, 0 :: v_dual_mov_b32 v1, v0
	v_dual_mov_b32 v6, 0 :: v_dual_mov_b32 v5, 0
	s_add_co_i32 s16, s35, 1
	s_mov_b64 s[24:25], 0xffffffffffffffe0
	s_and_b32 s16, s16, 30
	s_add_nc_u64 s[24:25], s[12:13], s[24:25]
	s_mov_b64 s[26:27], s[12:13]
.LBB37_84:                              ; =>This Inner Loop Header: Depth=1
	s_clause 0x1
	s_load_b128 s[40:43], s[26:27], 0x4
	s_load_b64 s[38:39], s[26:27], 0x14
	s_load_b32 s44, s[24:25], 0xe4
	s_add_co_i32 s16, s16, -2
	s_wait_xcnt 0x0
	s_add_nc_u64 s[26:27], s[26:27], 24
	s_cmp_eq_u32 s16, 0
	s_wait_kmcnt 0x0
	v_mul_hi_u32 v2, s41, v1
	s_delay_alu instid0(VALU_DEP_1) | instskip(NEXT) | instid1(VALU_DEP_1)
	v_add_nc_u32_e32 v2, v1, v2
	v_lshrrev_b32_e32 v2, s42, v2
	s_delay_alu instid0(VALU_DEP_1) | instskip(SKIP_2) | instid1(VALU_DEP_2)
	v_mul_hi_u32 v3, s38, v2
	v_mul_lo_u32 v7, v2, s40
	s_load_b96 s[40:42], s[24:25], 0xec
	v_add_nc_u32_e32 v3, v2, v3
	s_delay_alu instid0(VALU_DEP_2) | instskip(NEXT) | instid1(VALU_DEP_2)
	v_sub_nc_u32_e32 v7, v1, v7
	v_lshrrev_b32_e32 v1, s39, v3
	s_load_b64 s[38:39], s[24:25], 0xfc
	s_delay_alu instid0(VALU_DEP_2)
	v_mad_u32 v4, v7, s44, v4
	s_wait_xcnt 0x0
	s_add_nc_u64 s[24:25], s[24:25], 32
	v_mul_lo_u32 v3, v1, s43
	s_wait_kmcnt 0x0
	v_mad_u32 v5, v7, s41, v5
	v_mad_u32 v6, v7, s40, v6
	s_delay_alu instid0(VALU_DEP_3) | instskip(NEXT) | instid1(VALU_DEP_1)
	v_sub_nc_u32_e32 v2, v2, v3
	v_mad_u32 v4, v2, s42, v4
	s_delay_alu instid0(VALU_DEP_4) | instskip(NEXT) | instid1(VALU_DEP_4)
	v_mad_u32 v5, v2, s39, v5
	v_mad_u32 v6, v2, s38, v6
	s_cbranch_scc0 .LBB37_84
; %bb.85:
	s_bitcmp1_b32 s35, 0
	s_cselect_b32 s16, -1, 0
	s_delay_alu instid0(SALU_CYCLE_1)
	s_and_b32 vcc_lo, exec_lo, s16
	s_cbranch_vccnz .LBB37_89
; %bb.86:
	s_load_b96 s[40:42], s[26:27], 0x4
	s_load_b32 s16, s[24:25], 0xe4
	s_wait_xcnt 0x0
	s_load_b64 s[26:27], s[24:25], 0xec
	s_wait_kmcnt 0x0
	v_mul_hi_u32 v2, s41, v1
	s_delay_alu instid0(VALU_DEP_1) | instskip(NEXT) | instid1(VALU_DEP_1)
	v_add_nc_u32_e32 v2, v1, v2
	v_lshrrev_b32_e32 v2, s42, v2
	s_delay_alu instid0(VALU_DEP_1) | instskip(NEXT) | instid1(VALU_DEP_1)
	v_mul_lo_u32 v2, v2, s40
	v_sub_nc_u32_e32 v1, v1, v2
	s_delay_alu instid0(VALU_DEP_1)
	v_mad_u32 v4, v1, s16, v4
	v_mad_u32 v6, v1, s26, v6
	;; [unrolled: 1-line block ×3, first 2 shown]
	s_branch .LBB37_89
.LBB37_87:
                                        ; implicit-def: $vgpr5
                                        ; implicit-def: $vgpr6
                                        ; implicit-def: $vgpr4
	s_branch .LBB37_90
.LBB37_88:
	v_dual_mov_b32 v5, 0 :: v_dual_mov_b32 v6, 0
	v_mov_b32_e32 v4, 0
.LBB37_89:
	s_cbranch_execnz .LBB37_92
.LBB37_90:
	v_mov_b32_e32 v1, 0
	s_and_not1_b32 vcc_lo, exec_lo, s34
	s_delay_alu instid0(VALU_DEP_1) | instskip(NEXT) | instid1(VALU_DEP_1)
	v_mul_u64_e32 v[2:3], s[20:21], v[0:1]
	v_add_nc_u32_e32 v2, v0, v3
	s_delay_alu instid0(VALU_DEP_1) | instskip(NEXT) | instid1(VALU_DEP_1)
	v_lshrrev_b32_e32 v2, s6, v2
	v_mul_lo_u32 v3, v2, s4
	s_delay_alu instid0(VALU_DEP_1) | instskip(NEXT) | instid1(VALU_DEP_1)
	v_sub_nc_u32_e32 v3, v0, v3
	v_mul_lo_u32 v4, v3, s33
	v_mul_lo_u32 v5, v3, s9
	;; [unrolled: 1-line block ×3, first 2 shown]
	s_cbranch_vccnz .LBB37_92
; %bb.91:
	v_mov_b32_e32 v3, v1
	s_delay_alu instid0(VALU_DEP_1) | instskip(NEXT) | instid1(VALU_DEP_1)
	v_mul_u64_e32 v[8:9], s[22:23], v[2:3]
	v_add_nc_u32_e32 v1, v2, v9
	s_delay_alu instid0(VALU_DEP_1) | instskip(NEXT) | instid1(VALU_DEP_1)
	v_lshrrev_b32_e32 v1, s17, v1
	v_mul_lo_u32 v1, v1, s7
	s_delay_alu instid0(VALU_DEP_1) | instskip(NEXT) | instid1(VALU_DEP_1)
	v_sub_nc_u32_e32 v1, v2, v1
	v_mad_u32 v4, v1, s10, v4
	v_mad_u32 v6, v1, s18, v6
	;; [unrolled: 1-line block ×3, first 2 shown]
.LBB37_92:
	global_load_u8 v1, v6, s[0:1]
	global_load_u8 v2, v5, s[2:3]
	v_add_nc_u32_e32 v0, 0x80, v0
	s_wait_loadcnt 0x1
	v_mul_lo_u16 v1, v1, s31
	s_wait_loadcnt 0x0
	s_delay_alu instid0(VALU_DEP_1) | instskip(SKIP_3) | instid1(SALU_CYCLE_1)
	v_mul_lo_u16 v1, v1, v2
	global_store_b8 v4, v1, s[14:15]
	s_wait_xcnt 0x0
	s_or_b32 exec_lo, exec_lo, s5
	s_mov_b32 s5, exec_lo
	v_cmpx_gt_i32_e64 s36, v0
	s_cbranch_execz .LBB37_105
.LBB37_93:
	s_and_not1_b32 vcc_lo, exec_lo, s29
	s_cbranch_vccnz .LBB37_99
; %bb.94:
	s_and_not1_b32 vcc_lo, exec_lo, s37
	s_cbranch_vccnz .LBB37_100
; %bb.95:
	v_dual_mov_b32 v4, 0 :: v_dual_mov_b32 v1, v0
	v_dual_mov_b32 v6, 0 :: v_dual_mov_b32 v5, 0
	s_add_co_i32 s16, s35, 1
	s_mov_b64 s[24:25], 0xffffffffffffffe0
	s_and_b32 s16, s16, 30
	s_add_nc_u64 s[24:25], s[12:13], s[24:25]
	s_mov_b64 s[26:27], s[12:13]
.LBB37_96:                              ; =>This Inner Loop Header: Depth=1
	s_clause 0x1
	s_load_b128 s[36:39], s[26:27], 0x4
	s_load_b64 s[40:41], s[26:27], 0x14
	s_load_b32 s42, s[24:25], 0xe4
	s_add_co_i32 s16, s16, -2
	s_wait_xcnt 0x0
	s_add_nc_u64 s[26:27], s[26:27], 24
	s_cmp_eq_u32 s16, 0
	s_wait_kmcnt 0x0
	v_mul_hi_u32 v2, s37, v1
	s_delay_alu instid0(VALU_DEP_1) | instskip(NEXT) | instid1(VALU_DEP_1)
	v_add_nc_u32_e32 v2, v1, v2
	v_lshrrev_b32_e32 v2, s38, v2
	s_delay_alu instid0(VALU_DEP_1) | instskip(SKIP_2) | instid1(VALU_DEP_2)
	v_mul_hi_u32 v3, s40, v2
	v_mul_lo_u32 v7, v2, s36
	s_load_b96 s[36:38], s[24:25], 0xec
	v_add_nc_u32_e32 v3, v2, v3
	s_delay_alu instid0(VALU_DEP_2) | instskip(NEXT) | instid1(VALU_DEP_2)
	v_sub_nc_u32_e32 v7, v1, v7
	v_lshrrev_b32_e32 v1, s41, v3
	s_load_b64 s[40:41], s[24:25], 0xfc
	s_delay_alu instid0(VALU_DEP_2)
	v_mad_u32 v4, v7, s42, v4
	s_wait_xcnt 0x0
	s_add_nc_u64 s[24:25], s[24:25], 32
	v_mul_lo_u32 v3, v1, s39
	s_wait_kmcnt 0x0
	v_mad_u32 v5, v7, s37, v5
	v_mad_u32 v6, v7, s36, v6
	s_delay_alu instid0(VALU_DEP_3) | instskip(NEXT) | instid1(VALU_DEP_1)
	v_sub_nc_u32_e32 v2, v2, v3
	v_mad_u32 v4, v2, s38, v4
	s_delay_alu instid0(VALU_DEP_4) | instskip(NEXT) | instid1(VALU_DEP_4)
	v_mad_u32 v5, v2, s41, v5
	v_mad_u32 v6, v2, s40, v6
	s_cbranch_scc0 .LBB37_96
; %bb.97:
	s_bitcmp1_b32 s35, 0
	s_cselect_b32 s16, -1, 0
	s_delay_alu instid0(SALU_CYCLE_1)
	s_and_b32 vcc_lo, exec_lo, s16
	s_cbranch_vccnz .LBB37_101
; %bb.98:
	s_load_b96 s[36:38], s[26:27], 0x4
	s_load_b32 s16, s[24:25], 0xe4
	s_wait_xcnt 0x0
	s_load_b64 s[26:27], s[24:25], 0xec
	s_wait_kmcnt 0x0
	v_mul_hi_u32 v2, s37, v1
	s_delay_alu instid0(VALU_DEP_1) | instskip(NEXT) | instid1(VALU_DEP_1)
	v_add_nc_u32_e32 v2, v1, v2
	v_lshrrev_b32_e32 v2, s38, v2
	s_delay_alu instid0(VALU_DEP_1) | instskip(NEXT) | instid1(VALU_DEP_1)
	v_mul_lo_u32 v2, v2, s36
	v_sub_nc_u32_e32 v1, v1, v2
	s_delay_alu instid0(VALU_DEP_1)
	v_mad_u32 v4, v1, s16, v4
	v_mad_u32 v6, v1, s26, v6
	;; [unrolled: 1-line block ×3, first 2 shown]
	s_branch .LBB37_101
.LBB37_99:
                                        ; implicit-def: $vgpr5
                                        ; implicit-def: $vgpr6
                                        ; implicit-def: $vgpr4
	s_branch .LBB37_102
.LBB37_100:
	v_dual_mov_b32 v5, 0 :: v_dual_mov_b32 v6, 0
	v_mov_b32_e32 v4, 0
.LBB37_101:
	s_cbranch_execnz .LBB37_104
.LBB37_102:
	v_mov_b32_e32 v1, 0
	s_and_not1_b32 vcc_lo, exec_lo, s34
	s_delay_alu instid0(VALU_DEP_1) | instskip(NEXT) | instid1(VALU_DEP_1)
	v_mul_u64_e32 v[2:3], s[20:21], v[0:1]
	v_add_nc_u32_e32 v2, v0, v3
	s_delay_alu instid0(VALU_DEP_1) | instskip(NEXT) | instid1(VALU_DEP_1)
	v_lshrrev_b32_e32 v2, s6, v2
	v_mul_lo_u32 v3, v2, s4
	s_delay_alu instid0(VALU_DEP_1) | instskip(NEXT) | instid1(VALU_DEP_1)
	v_sub_nc_u32_e32 v0, v0, v3
	v_mul_lo_u32 v4, v0, s33
	v_mul_lo_u32 v5, v0, s9
	;; [unrolled: 1-line block ×3, first 2 shown]
	s_cbranch_vccnz .LBB37_104
; %bb.103:
	v_mov_b32_e32 v3, v1
	s_delay_alu instid0(VALU_DEP_1) | instskip(NEXT) | instid1(VALU_DEP_1)
	v_mul_u64_e32 v[0:1], s[22:23], v[2:3]
	v_add_nc_u32_e32 v0, v2, v1
	s_delay_alu instid0(VALU_DEP_1) | instskip(NEXT) | instid1(VALU_DEP_1)
	v_lshrrev_b32_e32 v0, s17, v0
	v_mul_lo_u32 v0, v0, s7
	s_delay_alu instid0(VALU_DEP_1) | instskip(NEXT) | instid1(VALU_DEP_1)
	v_sub_nc_u32_e32 v0, v2, v0
	v_mad_u32 v4, v0, s10, v4
	v_mad_u32 v6, v0, s18, v6
	v_mad_u32 v5, v0, s19, v5
.LBB37_104:
	global_load_u8 v0, v6, s[0:1]
	global_load_u8 v1, v5, s[2:3]
	s_wait_loadcnt 0x1
	v_mul_lo_u16 v0, v0, s31
	s_wait_loadcnt 0x0
	s_delay_alu instid0(VALU_DEP_1)
	v_mul_lo_u16 v0, v0, v1
	global_store_b8 v4, v0, s[14:15]
.LBB37_105:
	s_wait_xcnt 0x0
	s_or_b32 exec_lo, exec_lo, s5
                                        ; implicit-def: $vgpr4
                                        ; implicit-def: $vgpr0
.LBB37_106:
	s_and_not1_saveexec_b32 s0, s30
	s_cbranch_execz .LBB37_113
; %bb.107:
	v_cndmask_b32_e64 v7, 0, 1, s29
	s_and_not1_b32 vcc_lo, exec_lo, s29
	s_cbranch_vccnz .LBB37_114
; %bb.108:
	s_cmp_lg_u32 s11, 0
	s_mov_b32 s4, 0
	s_cbranch_scc0 .LBB37_118
; %bb.109:
	s_min_u32 s5, s28, 15
	v_dual_mov_b32 v1, 0 :: v_dual_mov_b32 v5, v0
	v_dual_mov_b32 v3, 0 :: v_dual_mov_b32 v2, 0
	s_add_co_i32 s2, s5, 1
	s_mov_b64 s[0:1], 0xffffffffffffffe0
	s_and_b32 s6, s2, 30
	s_add_nc_u64 s[0:1], s[12:13], s[0:1]
	s_mov_b64 s[2:3], s[12:13]
.LBB37_110:                             ; =>This Inner Loop Header: Depth=1
	s_clause 0x1
	s_load_b128 s[16:19], s[2:3], 0x4
	s_load_b64 s[14:15], s[2:3], 0x14
	s_clause 0x1
	s_load_b32 s7, s[0:1], 0xe4
	s_load_b96 s[8:10], s[0:1], 0xec
	s_add_co_i32 s6, s6, -2
	s_wait_xcnt 0x0
	s_add_nc_u64 s[2:3], s[2:3], 24
	s_cmp_lg_u32 s6, 0
	s_wait_kmcnt 0x0
	v_mul_hi_u32 v6, s17, v5
	s_delay_alu instid0(VALU_DEP_1) | instskip(NEXT) | instid1(VALU_DEP_1)
	v_add_nc_u32_e32 v6, v5, v6
	v_lshrrev_b32_e32 v6, s18, v6
	s_delay_alu instid0(VALU_DEP_1) | instskip(SKIP_1) | instid1(VALU_DEP_1)
	v_mul_hi_u32 v8, s14, v6
	v_mul_lo_u32 v9, v6, s16
	v_dual_add_nc_u32 v8, v6, v8 :: v_dual_sub_nc_u32 v9, v5, v9
	s_delay_alu instid0(VALU_DEP_1) | instskip(SKIP_1) | instid1(VALU_DEP_2)
	v_lshrrev_b32_e32 v5, s15, v8
	s_load_b64 s[14:15], s[0:1], 0xfc
	v_mad_u32 v1, v9, s7, v1
	v_mad_u32 v2, v9, s9, v2
	;; [unrolled: 1-line block ×3, first 2 shown]
	v_mul_lo_u32 v8, v5, s19
	s_wait_xcnt 0x0
	s_add_nc_u64 s[0:1], s[0:1], 32
	s_delay_alu instid0(VALU_DEP_1) | instskip(NEXT) | instid1(VALU_DEP_1)
	v_sub_nc_u32_e32 v6, v6, v8
	v_mad_u32 v1, v6, s10, v1
	s_wait_kmcnt 0x0
	v_mad_u32 v2, v6, s15, v2
	v_mad_u32 v3, v6, s14, v3
	s_cbranch_scc1 .LBB37_110
; %bb.111:
	s_bitcmp1_b32 s5, 0
	s_cselect_b32 s5, -1, 0
	s_delay_alu instid0(SALU_CYCLE_1)
	s_and_b32 vcc_lo, exec_lo, s5
	s_cbranch_vccnz .LBB37_115
; %bb.112:
	s_load_b96 s[8:10], s[2:3], 0x4
	s_load_b32 s5, s[0:1], 0xe4
	s_wait_xcnt 0x0
	s_load_b64 s[2:3], s[0:1], 0xec
	s_wait_kmcnt 0x0
	v_mul_hi_u32 v6, s9, v5
	s_delay_alu instid0(VALU_DEP_1) | instskip(NEXT) | instid1(VALU_DEP_1)
	v_add_nc_u32_e32 v6, v5, v6
	v_lshrrev_b32_e32 v6, s10, v6
	s_delay_alu instid0(VALU_DEP_1) | instskip(NEXT) | instid1(VALU_DEP_1)
	v_mul_lo_u32 v6, v6, s8
	v_sub_nc_u32_e32 v5, v5, v6
	s_delay_alu instid0(VALU_DEP_1)
	v_mad_u32 v1, v5, s5, v1
	v_mad_u32 v3, v5, s2, v3
	v_mad_u32 v2, v5, s3, v2
	s_and_not1_b32 vcc_lo, exec_lo, s4
	s_cbranch_vccz .LBB37_116
	s_branch .LBB37_119
.LBB37_113:
	s_endpgm
.LBB37_114:
	s_mov_b32 s4, -1
                                        ; implicit-def: $vgpr2
                                        ; implicit-def: $vgpr3
                                        ; implicit-def: $vgpr1
.LBB37_115:
	s_delay_alu instid0(SALU_CYCLE_1)
	s_and_not1_b32 vcc_lo, exec_lo, s4
	s_cbranch_vccnz .LBB37_119
.LBB37_116:
	s_clause 0x2
	s_load_b96 s[0:2], s[12:13], 0x4
	s_load_b32 s3, s[12:13], 0xc4
	s_load_b64 s[4:5], s[12:13], 0xcc
	s_cmp_lt_u32 s11, 2
	s_wait_kmcnt 0x0
	v_mul_hi_u32 v1, s1, v0
	s_delay_alu instid0(VALU_DEP_1) | instskip(NEXT) | instid1(VALU_DEP_1)
	v_add_nc_u32_e32 v1, v0, v1
	v_lshrrev_b32_e32 v5, s2, v1
	s_delay_alu instid0(VALU_DEP_1) | instskip(NEXT) | instid1(VALU_DEP_1)
	v_mul_lo_u32 v1, v5, s0
	v_sub_nc_u32_e32 v3, v0, v1
	s_delay_alu instid0(VALU_DEP_1)
	v_mul_lo_u32 v1, v3, s3
	v_mul_lo_u32 v2, v3, s5
	;; [unrolled: 1-line block ×3, first 2 shown]
	s_cbranch_scc1 .LBB37_119
; %bb.117:
	s_clause 0x2
	s_load_b96 s[0:2], s[12:13], 0x10
	s_load_b32 s3, s[12:13], 0xd4
	s_load_b64 s[4:5], s[12:13], 0xdc
	s_wait_kmcnt 0x0
	v_mul_hi_u32 v6, s1, v5
	s_delay_alu instid0(VALU_DEP_1) | instskip(NEXT) | instid1(VALU_DEP_1)
	v_add_nc_u32_e32 v6, v5, v6
	v_lshrrev_b32_e32 v6, s2, v6
	s_delay_alu instid0(VALU_DEP_1) | instskip(NEXT) | instid1(VALU_DEP_1)
	v_mul_lo_u32 v6, v6, s0
	v_sub_nc_u32_e32 v5, v5, v6
	s_delay_alu instid0(VALU_DEP_1)
	v_mad_u32 v1, v5, s3, v1
	v_mad_u32 v3, v5, s4, v3
	;; [unrolled: 1-line block ×3, first 2 shown]
	s_branch .LBB37_119
.LBB37_118:
	v_dual_mov_b32 v2, 0 :: v_dual_mov_b32 v3, 0
	v_mov_b32_e32 v1, 0
	s_and_not1_b32 vcc_lo, exec_lo, s4
	s_cbranch_vccz .LBB37_116
.LBB37_119:
	v_cmp_ne_u32_e32 vcc_lo, 1, v7
	v_add_nc_u32_e32 v9, 0x80, v0
	s_cbranch_vccnz .LBB37_125
; %bb.120:
	s_cmp_lg_u32 s11, 0
	s_mov_b32 s4, 0
	s_cbranch_scc0 .LBB37_129
; %bb.121:
	s_min_u32 s5, s28, 15
	v_dual_mov_b32 v5, 0 :: v_dual_mov_b32 v10, v9
	v_dual_mov_b32 v8, 0 :: v_dual_mov_b32 v6, 0
	s_add_co_i32 s2, s5, 1
	s_mov_b64 s[0:1], 0xffffffffffffffe0
	s_and_b32 s6, s2, 30
	s_add_nc_u64 s[0:1], s[12:13], s[0:1]
	s_mov_b64 s[2:3], s[12:13]
.LBB37_122:                             ; =>This Inner Loop Header: Depth=1
	s_clause 0x1
	s_load_b128 s[16:19], s[2:3], 0x4
	s_load_b64 s[14:15], s[2:3], 0x14
	s_clause 0x1
	s_load_b32 s7, s[0:1], 0xe4
	s_load_b96 s[8:10], s[0:1], 0xec
	s_add_co_i32 s6, s6, -2
	s_wait_xcnt 0x0
	s_add_nc_u64 s[2:3], s[2:3], 24
	s_cmp_lg_u32 s6, 0
	s_wait_kmcnt 0x0
	v_mul_hi_u32 v11, s17, v10
	s_delay_alu instid0(VALU_DEP_1) | instskip(NEXT) | instid1(VALU_DEP_1)
	v_add_nc_u32_e32 v11, v10, v11
	v_lshrrev_b32_e32 v11, s18, v11
	s_delay_alu instid0(VALU_DEP_1) | instskip(SKIP_1) | instid1(VALU_DEP_1)
	v_mul_hi_u32 v12, s14, v11
	v_mul_lo_u32 v13, v11, s16
	v_dual_add_nc_u32 v12, v11, v12 :: v_dual_sub_nc_u32 v13, v10, v13
	s_delay_alu instid0(VALU_DEP_1) | instskip(SKIP_1) | instid1(VALU_DEP_2)
	v_lshrrev_b32_e32 v10, s15, v12
	s_load_b64 s[14:15], s[0:1], 0xfc
	v_mad_u32 v5, v13, s7, v5
	v_mad_u32 v6, v13, s9, v6
	;; [unrolled: 1-line block ×3, first 2 shown]
	v_mul_lo_u32 v12, v10, s19
	s_wait_xcnt 0x0
	s_add_nc_u64 s[0:1], s[0:1], 32
	s_delay_alu instid0(VALU_DEP_1) | instskip(NEXT) | instid1(VALU_DEP_1)
	v_sub_nc_u32_e32 v11, v11, v12
	v_mad_u32 v5, v11, s10, v5
	s_wait_kmcnt 0x0
	v_mad_u32 v6, v11, s15, v6
	v_mad_u32 v8, v11, s14, v8
	s_cbranch_scc1 .LBB37_122
; %bb.123:
	s_bitcmp1_b32 s5, 0
	s_cselect_b32 s5, -1, 0
	s_delay_alu instid0(SALU_CYCLE_1)
	s_and_b32 vcc_lo, exec_lo, s5
	s_cbranch_vccnz .LBB37_126
; %bb.124:
	s_load_b96 s[8:10], s[2:3], 0x4
	s_load_b32 s5, s[0:1], 0xe4
	s_wait_xcnt 0x0
	s_load_b64 s[2:3], s[0:1], 0xec
	s_wait_kmcnt 0x0
	v_mul_hi_u32 v11, s9, v10
	s_delay_alu instid0(VALU_DEP_1) | instskip(NEXT) | instid1(VALU_DEP_1)
	v_add_nc_u32_e32 v11, v10, v11
	v_lshrrev_b32_e32 v11, s10, v11
	s_delay_alu instid0(VALU_DEP_1) | instskip(NEXT) | instid1(VALU_DEP_1)
	v_mul_lo_u32 v11, v11, s8
	v_sub_nc_u32_e32 v10, v10, v11
	s_delay_alu instid0(VALU_DEP_1)
	v_mad_u32 v5, v10, s5, v5
	v_mad_u32 v8, v10, s2, v8
	;; [unrolled: 1-line block ×3, first 2 shown]
	s_and_not1_b32 vcc_lo, exec_lo, s4
	s_cbranch_vccz .LBB37_127
	s_branch .LBB37_130
.LBB37_125:
	s_mov_b32 s4, -1
                                        ; implicit-def: $vgpr6
                                        ; implicit-def: $vgpr8
                                        ; implicit-def: $vgpr5
.LBB37_126:
	s_delay_alu instid0(SALU_CYCLE_1)
	s_and_not1_b32 vcc_lo, exec_lo, s4
	s_cbranch_vccnz .LBB37_130
.LBB37_127:
	s_clause 0x2
	s_load_b96 s[0:2], s[12:13], 0x4
	s_load_b32 s3, s[12:13], 0xc4
	s_load_b64 s[4:5], s[12:13], 0xcc
	s_cmp_lt_u32 s11, 2
	s_wait_kmcnt 0x0
	v_mul_hi_u32 v5, s1, v9
	s_delay_alu instid0(VALU_DEP_1) | instskip(NEXT) | instid1(VALU_DEP_1)
	v_add_nc_u32_e32 v5, v9, v5
	v_lshrrev_b32_e32 v10, s2, v5
	s_delay_alu instid0(VALU_DEP_1) | instskip(NEXT) | instid1(VALU_DEP_1)
	v_mul_lo_u32 v5, v10, s0
	v_sub_nc_u32_e32 v8, v9, v5
	s_delay_alu instid0(VALU_DEP_1)
	v_mul_lo_u32 v5, v8, s3
	v_mul_lo_u32 v6, v8, s5
	;; [unrolled: 1-line block ×3, first 2 shown]
	s_cbranch_scc1 .LBB37_130
; %bb.128:
	s_clause 0x2
	s_load_b96 s[0:2], s[12:13], 0x10
	s_load_b32 s3, s[12:13], 0xd4
	s_load_b64 s[4:5], s[12:13], 0xdc
	s_wait_kmcnt 0x0
	v_mul_hi_u32 v9, s1, v10
	s_delay_alu instid0(VALU_DEP_1) | instskip(NEXT) | instid1(VALU_DEP_1)
	v_add_nc_u32_e32 v9, v10, v9
	v_lshrrev_b32_e32 v9, s2, v9
	s_delay_alu instid0(VALU_DEP_1) | instskip(NEXT) | instid1(VALU_DEP_1)
	v_mul_lo_u32 v9, v9, s0
	v_sub_nc_u32_e32 v9, v10, v9
	s_delay_alu instid0(VALU_DEP_1)
	v_mad_u32 v5, v9, s3, v5
	v_mad_u32 v8, v9, s4, v8
	;; [unrolled: 1-line block ×3, first 2 shown]
	s_branch .LBB37_130
.LBB37_129:
	v_dual_mov_b32 v6, 0 :: v_dual_mov_b32 v8, 0
	v_mov_b32_e32 v5, 0
	s_and_not1_b32 vcc_lo, exec_lo, s4
	s_cbranch_vccz .LBB37_127
.LBB37_130:
	v_cmp_ne_u32_e32 vcc_lo, 1, v7
	v_add_nc_u32_e32 v12, 0x100, v0
	s_cbranch_vccnz .LBB37_136
; %bb.131:
	s_cmp_lg_u32 s11, 0
	s_mov_b32 s4, 0
	s_cbranch_scc0 .LBB37_140
; %bb.132:
	s_min_u32 s5, s28, 15
	v_dual_mov_b32 v9, 0 :: v_dual_mov_b32 v13, v12
	v_dual_mov_b32 v10, 0 :: v_dual_mov_b32 v11, 0
	s_add_co_i32 s2, s5, 1
	s_mov_b64 s[0:1], 0xffffffffffffffe0
	s_and_b32 s6, s2, 30
	s_add_nc_u64 s[0:1], s[12:13], s[0:1]
	s_mov_b64 s[2:3], s[12:13]
.LBB37_133:                             ; =>This Inner Loop Header: Depth=1
	s_clause 0x1
	s_load_b128 s[16:19], s[2:3], 0x4
	s_load_b64 s[14:15], s[2:3], 0x14
	s_clause 0x1
	s_load_b32 s7, s[0:1], 0xe4
	s_load_b96 s[8:10], s[0:1], 0xec
	s_add_co_i32 s6, s6, -2
	s_wait_xcnt 0x0
	s_add_nc_u64 s[2:3], s[2:3], 24
	s_cmp_lg_u32 s6, 0
	s_wait_kmcnt 0x0
	v_mul_hi_u32 v14, s17, v13
	s_delay_alu instid0(VALU_DEP_1) | instskip(NEXT) | instid1(VALU_DEP_1)
	v_add_nc_u32_e32 v14, v13, v14
	v_lshrrev_b32_e32 v14, s18, v14
	s_delay_alu instid0(VALU_DEP_1) | instskip(SKIP_1) | instid1(VALU_DEP_1)
	v_mul_hi_u32 v15, s14, v14
	v_mul_lo_u32 v16, v14, s16
	v_dual_add_nc_u32 v15, v14, v15 :: v_dual_sub_nc_u32 v16, v13, v16
	s_delay_alu instid0(VALU_DEP_1) | instskip(SKIP_1) | instid1(VALU_DEP_2)
	v_lshrrev_b32_e32 v13, s15, v15
	s_load_b64 s[14:15], s[0:1], 0xfc
	v_mad_u32 v9, v16, s7, v9
	v_mad_u32 v11, v16, s9, v11
	;; [unrolled: 1-line block ×3, first 2 shown]
	v_mul_lo_u32 v15, v13, s19
	s_wait_xcnt 0x0
	s_add_nc_u64 s[0:1], s[0:1], 32
	s_delay_alu instid0(VALU_DEP_1) | instskip(NEXT) | instid1(VALU_DEP_1)
	v_sub_nc_u32_e32 v14, v14, v15
	v_mad_u32 v9, v14, s10, v9
	s_wait_kmcnt 0x0
	v_mad_u32 v11, v14, s15, v11
	v_mad_u32 v10, v14, s14, v10
	s_cbranch_scc1 .LBB37_133
; %bb.134:
	s_bitcmp1_b32 s5, 0
	s_cselect_b32 s5, -1, 0
	s_delay_alu instid0(SALU_CYCLE_1)
	s_and_b32 vcc_lo, exec_lo, s5
	s_cbranch_vccnz .LBB37_137
; %bb.135:
	s_load_b96 s[8:10], s[2:3], 0x4
	s_load_b32 s5, s[0:1], 0xe4
	s_wait_xcnt 0x0
	s_load_b64 s[2:3], s[0:1], 0xec
	s_wait_kmcnt 0x0
	v_mul_hi_u32 v14, s9, v13
	s_delay_alu instid0(VALU_DEP_1) | instskip(NEXT) | instid1(VALU_DEP_1)
	v_add_nc_u32_e32 v14, v13, v14
	v_lshrrev_b32_e32 v14, s10, v14
	s_delay_alu instid0(VALU_DEP_1) | instskip(NEXT) | instid1(VALU_DEP_1)
	v_mul_lo_u32 v14, v14, s8
	v_sub_nc_u32_e32 v13, v13, v14
	s_delay_alu instid0(VALU_DEP_1)
	v_mad_u32 v9, v13, s5, v9
	v_mad_u32 v10, v13, s2, v10
	;; [unrolled: 1-line block ×3, first 2 shown]
	s_and_not1_b32 vcc_lo, exec_lo, s4
	s_cbranch_vccz .LBB37_138
	s_branch .LBB37_141
.LBB37_136:
	s_mov_b32 s4, -1
                                        ; implicit-def: $vgpr11
                                        ; implicit-def: $vgpr10
                                        ; implicit-def: $vgpr9
.LBB37_137:
	s_delay_alu instid0(SALU_CYCLE_1)
	s_and_not1_b32 vcc_lo, exec_lo, s4
	s_cbranch_vccnz .LBB37_141
.LBB37_138:
	s_clause 0x2
	s_load_b96 s[0:2], s[12:13], 0x4
	s_load_b32 s3, s[12:13], 0xc4
	s_load_b64 s[4:5], s[12:13], 0xcc
	s_cmp_lt_u32 s11, 2
	s_wait_kmcnt 0x0
	v_mul_hi_u32 v9, s1, v12
	s_delay_alu instid0(VALU_DEP_1) | instskip(NEXT) | instid1(VALU_DEP_1)
	v_add_nc_u32_e32 v9, v12, v9
	v_lshrrev_b32_e32 v13, s2, v9
	s_delay_alu instid0(VALU_DEP_1) | instskip(NEXT) | instid1(VALU_DEP_1)
	v_mul_lo_u32 v9, v13, s0
	v_sub_nc_u32_e32 v10, v12, v9
	s_delay_alu instid0(VALU_DEP_1)
	v_mul_lo_u32 v9, v10, s3
	v_mul_lo_u32 v11, v10, s5
	;; [unrolled: 1-line block ×3, first 2 shown]
	s_cbranch_scc1 .LBB37_141
; %bb.139:
	s_clause 0x2
	s_load_b96 s[0:2], s[12:13], 0x10
	s_load_b32 s3, s[12:13], 0xd4
	s_load_b64 s[4:5], s[12:13], 0xdc
	s_wait_kmcnt 0x0
	v_mul_hi_u32 v12, s1, v13
	s_delay_alu instid0(VALU_DEP_1) | instskip(NEXT) | instid1(VALU_DEP_1)
	v_add_nc_u32_e32 v12, v13, v12
	v_lshrrev_b32_e32 v12, s2, v12
	s_delay_alu instid0(VALU_DEP_1) | instskip(NEXT) | instid1(VALU_DEP_1)
	v_mul_lo_u32 v12, v12, s0
	v_sub_nc_u32_e32 v12, v13, v12
	s_delay_alu instid0(VALU_DEP_1)
	v_mad_u32 v9, v12, s3, v9
	v_mad_u32 v10, v12, s4, v10
	;; [unrolled: 1-line block ×3, first 2 shown]
	s_branch .LBB37_141
.LBB37_140:
	v_dual_mov_b32 v11, 0 :: v_dual_mov_b32 v10, 0
	v_mov_b32_e32 v9, 0
	s_and_not1_b32 vcc_lo, exec_lo, s4
	s_cbranch_vccz .LBB37_138
.LBB37_141:
	v_cmp_ne_u32_e32 vcc_lo, 1, v7
	v_add_nc_u32_e32 v15, 0x180, v0
	s_cbranch_vccnz .LBB37_147
; %bb.142:
	s_cmp_lg_u32 s11, 0
	s_mov_b32 s4, 0
	s_cbranch_scc0 .LBB37_151
; %bb.143:
	s_min_u32 s5, s28, 15
	v_dual_mov_b32 v12, 0 :: v_dual_mov_b32 v16, v15
	v_dual_mov_b32 v14, 0 :: v_dual_mov_b32 v13, 0
	s_add_co_i32 s2, s5, 1
	s_mov_b64 s[0:1], 0xffffffffffffffe0
	s_and_b32 s6, s2, 30
	s_add_nc_u64 s[0:1], s[12:13], s[0:1]
	s_mov_b64 s[2:3], s[12:13]
.LBB37_144:                             ; =>This Inner Loop Header: Depth=1
	s_clause 0x1
	s_load_b128 s[16:19], s[2:3], 0x4
	s_load_b64 s[14:15], s[2:3], 0x14
	s_clause 0x1
	s_load_b32 s7, s[0:1], 0xe4
	s_load_b96 s[8:10], s[0:1], 0xec
	s_add_co_i32 s6, s6, -2
	s_wait_xcnt 0x0
	s_add_nc_u64 s[2:3], s[2:3], 24
	s_cmp_lg_u32 s6, 0
	s_wait_kmcnt 0x0
	v_mul_hi_u32 v17, s17, v16
	s_delay_alu instid0(VALU_DEP_1) | instskip(NEXT) | instid1(VALU_DEP_1)
	v_add_nc_u32_e32 v17, v16, v17
	v_lshrrev_b32_e32 v17, s18, v17
	s_delay_alu instid0(VALU_DEP_1) | instskip(SKIP_1) | instid1(VALU_DEP_1)
	v_mul_hi_u32 v18, s14, v17
	v_mul_lo_u32 v19, v17, s16
	v_dual_add_nc_u32 v18, v17, v18 :: v_dual_sub_nc_u32 v19, v16, v19
	s_delay_alu instid0(VALU_DEP_1) | instskip(SKIP_1) | instid1(VALU_DEP_2)
	v_lshrrev_b32_e32 v16, s15, v18
	s_load_b64 s[14:15], s[0:1], 0xfc
	v_mad_u32 v12, v19, s7, v12
	v_mad_u32 v13, v19, s9, v13
	;; [unrolled: 1-line block ×3, first 2 shown]
	v_mul_lo_u32 v18, v16, s19
	s_wait_xcnt 0x0
	s_add_nc_u64 s[0:1], s[0:1], 32
	s_delay_alu instid0(VALU_DEP_1) | instskip(NEXT) | instid1(VALU_DEP_1)
	v_sub_nc_u32_e32 v17, v17, v18
	v_mad_u32 v12, v17, s10, v12
	s_wait_kmcnt 0x0
	v_mad_u32 v13, v17, s15, v13
	v_mad_u32 v14, v17, s14, v14
	s_cbranch_scc1 .LBB37_144
; %bb.145:
	s_bitcmp1_b32 s5, 0
	s_cselect_b32 s5, -1, 0
	s_delay_alu instid0(SALU_CYCLE_1)
	s_and_b32 vcc_lo, exec_lo, s5
	s_cbranch_vccnz .LBB37_148
; %bb.146:
	s_load_b96 s[8:10], s[2:3], 0x4
	s_load_b32 s5, s[0:1], 0xe4
	s_wait_xcnt 0x0
	s_load_b64 s[2:3], s[0:1], 0xec
	s_wait_kmcnt 0x0
	v_mul_hi_u32 v17, s9, v16
	s_delay_alu instid0(VALU_DEP_1) | instskip(NEXT) | instid1(VALU_DEP_1)
	v_add_nc_u32_e32 v17, v16, v17
	v_lshrrev_b32_e32 v17, s10, v17
	s_delay_alu instid0(VALU_DEP_1) | instskip(NEXT) | instid1(VALU_DEP_1)
	v_mul_lo_u32 v17, v17, s8
	v_sub_nc_u32_e32 v16, v16, v17
	s_delay_alu instid0(VALU_DEP_1)
	v_mad_u32 v12, v16, s5, v12
	v_mad_u32 v14, v16, s2, v14
	;; [unrolled: 1-line block ×3, first 2 shown]
	s_and_not1_b32 vcc_lo, exec_lo, s4
	s_cbranch_vccz .LBB37_149
	s_branch .LBB37_152
.LBB37_147:
	s_mov_b32 s4, -1
                                        ; implicit-def: $vgpr13
                                        ; implicit-def: $vgpr14
                                        ; implicit-def: $vgpr12
.LBB37_148:
	s_delay_alu instid0(SALU_CYCLE_1)
	s_and_not1_b32 vcc_lo, exec_lo, s4
	s_cbranch_vccnz .LBB37_152
.LBB37_149:
	s_clause 0x2
	s_load_b96 s[0:2], s[12:13], 0x4
	s_load_b32 s3, s[12:13], 0xc4
	s_load_b64 s[4:5], s[12:13], 0xcc
	s_cmp_lt_u32 s11, 2
	s_wait_kmcnt 0x0
	v_mul_hi_u32 v12, s1, v15
	s_delay_alu instid0(VALU_DEP_1) | instskip(NEXT) | instid1(VALU_DEP_1)
	v_add_nc_u32_e32 v12, v15, v12
	v_lshrrev_b32_e32 v16, s2, v12
	s_delay_alu instid0(VALU_DEP_1) | instskip(NEXT) | instid1(VALU_DEP_1)
	v_mul_lo_u32 v12, v16, s0
	v_sub_nc_u32_e32 v14, v15, v12
	s_delay_alu instid0(VALU_DEP_1)
	v_mul_lo_u32 v12, v14, s3
	v_mul_lo_u32 v13, v14, s5
	;; [unrolled: 1-line block ×3, first 2 shown]
	s_cbranch_scc1 .LBB37_152
; %bb.150:
	s_clause 0x2
	s_load_b96 s[0:2], s[12:13], 0x10
	s_load_b32 s3, s[12:13], 0xd4
	s_load_b64 s[4:5], s[12:13], 0xdc
	s_wait_kmcnt 0x0
	v_mul_hi_u32 v15, s1, v16
	s_delay_alu instid0(VALU_DEP_1) | instskip(NEXT) | instid1(VALU_DEP_1)
	v_add_nc_u32_e32 v15, v16, v15
	v_lshrrev_b32_e32 v15, s2, v15
	s_delay_alu instid0(VALU_DEP_1) | instskip(NEXT) | instid1(VALU_DEP_1)
	v_mul_lo_u32 v15, v15, s0
	v_sub_nc_u32_e32 v15, v16, v15
	s_delay_alu instid0(VALU_DEP_1)
	v_mad_u32 v12, v15, s3, v12
	v_mad_u32 v14, v15, s4, v14
	;; [unrolled: 1-line block ×3, first 2 shown]
	s_branch .LBB37_152
.LBB37_151:
	v_dual_mov_b32 v13, 0 :: v_dual_mov_b32 v14, 0
	v_mov_b32_e32 v12, 0
	s_and_not1_b32 vcc_lo, exec_lo, s4
	s_cbranch_vccz .LBB37_149
.LBB37_152:
	v_cmp_ne_u32_e32 vcc_lo, 1, v7
	v_add_nc_u32_e32 v18, 0x200, v0
	s_cbranch_vccnz .LBB37_158
; %bb.153:
	s_cmp_lg_u32 s11, 0
	s_mov_b32 s4, 0
	s_cbranch_scc0 .LBB37_162
; %bb.154:
	s_min_u32 s5, s28, 15
	v_dual_mov_b32 v15, 0 :: v_dual_mov_b32 v19, v18
	v_dual_mov_b32 v17, 0 :: v_dual_mov_b32 v16, 0
	s_add_co_i32 s2, s5, 1
	s_mov_b64 s[0:1], 0xffffffffffffffe0
	s_and_b32 s6, s2, 30
	s_add_nc_u64 s[0:1], s[12:13], s[0:1]
	s_mov_b64 s[2:3], s[12:13]
.LBB37_155:                             ; =>This Inner Loop Header: Depth=1
	s_clause 0x1
	s_load_b128 s[16:19], s[2:3], 0x4
	s_load_b64 s[14:15], s[2:3], 0x14
	s_clause 0x1
	s_load_b32 s7, s[0:1], 0xe4
	s_load_b96 s[8:10], s[0:1], 0xec
	s_add_co_i32 s6, s6, -2
	s_wait_xcnt 0x0
	s_add_nc_u64 s[2:3], s[2:3], 24
	s_cmp_lg_u32 s6, 0
	s_wait_kmcnt 0x0
	v_mul_hi_u32 v20, s17, v19
	s_delay_alu instid0(VALU_DEP_1) | instskip(NEXT) | instid1(VALU_DEP_1)
	v_add_nc_u32_e32 v20, v19, v20
	v_lshrrev_b32_e32 v20, s18, v20
	s_delay_alu instid0(VALU_DEP_1) | instskip(SKIP_1) | instid1(VALU_DEP_1)
	v_mul_hi_u32 v21, s14, v20
	v_mul_lo_u32 v22, v20, s16
	v_dual_add_nc_u32 v21, v20, v21 :: v_dual_sub_nc_u32 v22, v19, v22
	s_delay_alu instid0(VALU_DEP_1) | instskip(SKIP_1) | instid1(VALU_DEP_2)
	v_lshrrev_b32_e32 v19, s15, v21
	s_load_b64 s[14:15], s[0:1], 0xfc
	v_mad_u32 v15, v22, s7, v15
	v_mad_u32 v16, v22, s9, v16
	v_mad_u32 v17, v22, s8, v17
	v_mul_lo_u32 v21, v19, s19
	s_wait_xcnt 0x0
	s_add_nc_u64 s[0:1], s[0:1], 32
	s_delay_alu instid0(VALU_DEP_1) | instskip(NEXT) | instid1(VALU_DEP_1)
	v_sub_nc_u32_e32 v20, v20, v21
	v_mad_u32 v15, v20, s10, v15
	s_wait_kmcnt 0x0
	v_mad_u32 v16, v20, s15, v16
	v_mad_u32 v17, v20, s14, v17
	s_cbranch_scc1 .LBB37_155
; %bb.156:
	s_bitcmp1_b32 s5, 0
	s_cselect_b32 s5, -1, 0
	s_delay_alu instid0(SALU_CYCLE_1)
	s_and_b32 vcc_lo, exec_lo, s5
	s_cbranch_vccnz .LBB37_159
; %bb.157:
	s_load_b96 s[8:10], s[2:3], 0x4
	s_load_b32 s5, s[0:1], 0xe4
	s_wait_xcnt 0x0
	s_load_b64 s[2:3], s[0:1], 0xec
	s_wait_kmcnt 0x0
	v_mul_hi_u32 v20, s9, v19
	s_delay_alu instid0(VALU_DEP_1) | instskip(NEXT) | instid1(VALU_DEP_1)
	v_add_nc_u32_e32 v20, v19, v20
	v_lshrrev_b32_e32 v20, s10, v20
	s_delay_alu instid0(VALU_DEP_1) | instskip(NEXT) | instid1(VALU_DEP_1)
	v_mul_lo_u32 v20, v20, s8
	v_sub_nc_u32_e32 v19, v19, v20
	s_delay_alu instid0(VALU_DEP_1)
	v_mad_u32 v15, v19, s5, v15
	v_mad_u32 v17, v19, s2, v17
	;; [unrolled: 1-line block ×3, first 2 shown]
	s_and_not1_b32 vcc_lo, exec_lo, s4
	s_cbranch_vccz .LBB37_160
	s_branch .LBB37_163
.LBB37_158:
	s_mov_b32 s4, -1
                                        ; implicit-def: $vgpr16
                                        ; implicit-def: $vgpr17
                                        ; implicit-def: $vgpr15
.LBB37_159:
	s_delay_alu instid0(SALU_CYCLE_1)
	s_and_not1_b32 vcc_lo, exec_lo, s4
	s_cbranch_vccnz .LBB37_163
.LBB37_160:
	s_clause 0x2
	s_load_b96 s[0:2], s[12:13], 0x4
	s_load_b32 s3, s[12:13], 0xc4
	s_load_b64 s[4:5], s[12:13], 0xcc
	s_cmp_lt_u32 s11, 2
	s_wait_kmcnt 0x0
	v_mul_hi_u32 v15, s1, v18
	s_delay_alu instid0(VALU_DEP_1) | instskip(NEXT) | instid1(VALU_DEP_1)
	v_add_nc_u32_e32 v15, v18, v15
	v_lshrrev_b32_e32 v19, s2, v15
	s_delay_alu instid0(VALU_DEP_1) | instskip(NEXT) | instid1(VALU_DEP_1)
	v_mul_lo_u32 v15, v19, s0
	v_sub_nc_u32_e32 v17, v18, v15
	s_delay_alu instid0(VALU_DEP_1)
	v_mul_lo_u32 v15, v17, s3
	v_mul_lo_u32 v16, v17, s5
	;; [unrolled: 1-line block ×3, first 2 shown]
	s_cbranch_scc1 .LBB37_163
; %bb.161:
	s_clause 0x2
	s_load_b96 s[0:2], s[12:13], 0x10
	s_load_b32 s3, s[12:13], 0xd4
	s_load_b64 s[4:5], s[12:13], 0xdc
	s_wait_kmcnt 0x0
	v_mul_hi_u32 v18, s1, v19
	s_delay_alu instid0(VALU_DEP_1) | instskip(NEXT) | instid1(VALU_DEP_1)
	v_add_nc_u32_e32 v18, v19, v18
	v_lshrrev_b32_e32 v18, s2, v18
	s_delay_alu instid0(VALU_DEP_1) | instskip(NEXT) | instid1(VALU_DEP_1)
	v_mul_lo_u32 v18, v18, s0
	v_sub_nc_u32_e32 v18, v19, v18
	s_delay_alu instid0(VALU_DEP_1)
	v_mad_u32 v15, v18, s3, v15
	v_mad_u32 v17, v18, s4, v17
	v_mad_u32 v16, v18, s5, v16
	s_branch .LBB37_163
.LBB37_162:
	v_dual_mov_b32 v16, 0 :: v_dual_mov_b32 v17, 0
	v_mov_b32_e32 v15, 0
	s_and_not1_b32 vcc_lo, exec_lo, s4
	s_cbranch_vccz .LBB37_160
.LBB37_163:
	v_cmp_ne_u32_e32 vcc_lo, 1, v7
	v_add_nc_u32_e32 v21, 0x280, v0
	s_cbranch_vccnz .LBB37_169
; %bb.164:
	s_cmp_lg_u32 s11, 0
	s_mov_b32 s4, 0
	s_cbranch_scc0 .LBB37_173
; %bb.165:
	s_min_u32 s5, s28, 15
	v_dual_mov_b32 v18, 0 :: v_dual_mov_b32 v22, v21
	v_dual_mov_b32 v19, 0 :: v_dual_mov_b32 v20, 0
	s_add_co_i32 s2, s5, 1
	s_mov_b64 s[0:1], 0xffffffffffffffe0
	s_and_b32 s6, s2, 30
	s_add_nc_u64 s[0:1], s[12:13], s[0:1]
	s_mov_b64 s[2:3], s[12:13]
.LBB37_166:                             ; =>This Inner Loop Header: Depth=1
	s_clause 0x1
	s_load_b128 s[16:19], s[2:3], 0x4
	s_load_b64 s[14:15], s[2:3], 0x14
	s_clause 0x1
	s_load_b32 s7, s[0:1], 0xe4
	s_load_b96 s[8:10], s[0:1], 0xec
	s_add_co_i32 s6, s6, -2
	s_wait_xcnt 0x0
	s_add_nc_u64 s[2:3], s[2:3], 24
	s_cmp_lg_u32 s6, 0
	s_wait_kmcnt 0x0
	v_mul_hi_u32 v23, s17, v22
	s_delay_alu instid0(VALU_DEP_1) | instskip(NEXT) | instid1(VALU_DEP_1)
	v_add_nc_u32_e32 v23, v22, v23
	v_lshrrev_b32_e32 v23, s18, v23
	s_delay_alu instid0(VALU_DEP_1) | instskip(SKIP_1) | instid1(VALU_DEP_1)
	v_mul_hi_u32 v24, s14, v23
	v_mul_lo_u32 v25, v23, s16
	v_dual_add_nc_u32 v24, v23, v24 :: v_dual_sub_nc_u32 v25, v22, v25
	s_delay_alu instid0(VALU_DEP_1) | instskip(SKIP_1) | instid1(VALU_DEP_2)
	v_lshrrev_b32_e32 v22, s15, v24
	s_load_b64 s[14:15], s[0:1], 0xfc
	v_mad_u32 v18, v25, s7, v18
	v_mad_u32 v20, v25, s9, v20
	;; [unrolled: 1-line block ×3, first 2 shown]
	v_mul_lo_u32 v24, v22, s19
	s_wait_xcnt 0x0
	s_add_nc_u64 s[0:1], s[0:1], 32
	s_delay_alu instid0(VALU_DEP_1) | instskip(NEXT) | instid1(VALU_DEP_1)
	v_sub_nc_u32_e32 v23, v23, v24
	v_mad_u32 v18, v23, s10, v18
	s_wait_kmcnt 0x0
	v_mad_u32 v20, v23, s15, v20
	v_mad_u32 v19, v23, s14, v19
	s_cbranch_scc1 .LBB37_166
; %bb.167:
	s_bitcmp1_b32 s5, 0
	s_cselect_b32 s5, -1, 0
	s_delay_alu instid0(SALU_CYCLE_1)
	s_and_b32 vcc_lo, exec_lo, s5
	s_cbranch_vccnz .LBB37_170
; %bb.168:
	s_load_b96 s[8:10], s[2:3], 0x4
	s_load_b32 s5, s[0:1], 0xe4
	s_wait_xcnt 0x0
	s_load_b64 s[2:3], s[0:1], 0xec
	s_wait_kmcnt 0x0
	v_mul_hi_u32 v23, s9, v22
	s_delay_alu instid0(VALU_DEP_1) | instskip(NEXT) | instid1(VALU_DEP_1)
	v_add_nc_u32_e32 v23, v22, v23
	v_lshrrev_b32_e32 v23, s10, v23
	s_delay_alu instid0(VALU_DEP_1) | instskip(NEXT) | instid1(VALU_DEP_1)
	v_mul_lo_u32 v23, v23, s8
	v_sub_nc_u32_e32 v22, v22, v23
	s_delay_alu instid0(VALU_DEP_1)
	v_mad_u32 v18, v22, s5, v18
	v_mad_u32 v19, v22, s2, v19
	;; [unrolled: 1-line block ×3, first 2 shown]
	s_and_not1_b32 vcc_lo, exec_lo, s4
	s_cbranch_vccz .LBB37_171
	s_branch .LBB37_174
.LBB37_169:
	s_mov_b32 s4, -1
                                        ; implicit-def: $vgpr20
                                        ; implicit-def: $vgpr19
                                        ; implicit-def: $vgpr18
.LBB37_170:
	s_delay_alu instid0(SALU_CYCLE_1)
	s_and_not1_b32 vcc_lo, exec_lo, s4
	s_cbranch_vccnz .LBB37_174
.LBB37_171:
	s_clause 0x2
	s_load_b96 s[0:2], s[12:13], 0x4
	s_load_b32 s3, s[12:13], 0xc4
	s_load_b64 s[4:5], s[12:13], 0xcc
	s_cmp_lt_u32 s11, 2
	s_wait_kmcnt 0x0
	v_mul_hi_u32 v18, s1, v21
	s_delay_alu instid0(VALU_DEP_1) | instskip(NEXT) | instid1(VALU_DEP_1)
	v_add_nc_u32_e32 v18, v21, v18
	v_lshrrev_b32_e32 v22, s2, v18
	s_delay_alu instid0(VALU_DEP_1) | instskip(NEXT) | instid1(VALU_DEP_1)
	v_mul_lo_u32 v18, v22, s0
	v_sub_nc_u32_e32 v19, v21, v18
	s_delay_alu instid0(VALU_DEP_1)
	v_mul_lo_u32 v18, v19, s3
	v_mul_lo_u32 v20, v19, s5
	;; [unrolled: 1-line block ×3, first 2 shown]
	s_cbranch_scc1 .LBB37_174
; %bb.172:
	s_clause 0x2
	s_load_b96 s[0:2], s[12:13], 0x10
	s_load_b32 s3, s[12:13], 0xd4
	s_load_b64 s[4:5], s[12:13], 0xdc
	s_wait_kmcnt 0x0
	v_mul_hi_u32 v21, s1, v22
	s_delay_alu instid0(VALU_DEP_1) | instskip(NEXT) | instid1(VALU_DEP_1)
	v_add_nc_u32_e32 v21, v22, v21
	v_lshrrev_b32_e32 v21, s2, v21
	s_delay_alu instid0(VALU_DEP_1) | instskip(NEXT) | instid1(VALU_DEP_1)
	v_mul_lo_u32 v21, v21, s0
	v_sub_nc_u32_e32 v21, v22, v21
	s_delay_alu instid0(VALU_DEP_1)
	v_mad_u32 v18, v21, s3, v18
	v_mad_u32 v19, v21, s4, v19
	;; [unrolled: 1-line block ×3, first 2 shown]
	s_branch .LBB37_174
.LBB37_173:
	v_dual_mov_b32 v20, 0 :: v_dual_mov_b32 v19, 0
	v_mov_b32_e32 v18, 0
	s_and_not1_b32 vcc_lo, exec_lo, s4
	s_cbranch_vccz .LBB37_171
.LBB37_174:
	v_cmp_ne_u32_e32 vcc_lo, 1, v7
	v_add_nc_u32_e32 v23, 0x300, v0
	s_cbranch_vccnz .LBB37_180
; %bb.175:
	s_cmp_lg_u32 s11, 0
	s_mov_b32 s4, 0
	s_cbranch_scc0 .LBB37_184
; %bb.176:
	s_min_u32 s5, s28, 15
	v_dual_mov_b32 v0, 0 :: v_dual_mov_b32 v24, v23
	v_dual_mov_b32 v22, 0 :: v_dual_mov_b32 v21, 0
	s_add_co_i32 s2, s5, 1
	s_mov_b64 s[0:1], 0xffffffffffffffe0
	s_and_b32 s6, s2, 30
	s_add_nc_u64 s[0:1], s[12:13], s[0:1]
	s_mov_b64 s[2:3], s[12:13]
.LBB37_177:                             ; =>This Inner Loop Header: Depth=1
	s_clause 0x1
	s_load_b128 s[16:19], s[2:3], 0x4
	s_load_b64 s[14:15], s[2:3], 0x14
	s_clause 0x1
	s_load_b32 s7, s[0:1], 0xe4
	s_load_b96 s[8:10], s[0:1], 0xec
	s_add_co_i32 s6, s6, -2
	s_wait_xcnt 0x0
	s_add_nc_u64 s[2:3], s[2:3], 24
	s_cmp_lg_u32 s6, 0
	s_wait_kmcnt 0x0
	v_mul_hi_u32 v25, s17, v24
	s_delay_alu instid0(VALU_DEP_1) | instskip(NEXT) | instid1(VALU_DEP_1)
	v_add_nc_u32_e32 v25, v24, v25
	v_lshrrev_b32_e32 v25, s18, v25
	s_delay_alu instid0(VALU_DEP_1) | instskip(SKIP_1) | instid1(VALU_DEP_1)
	v_mul_hi_u32 v26, s14, v25
	v_mul_lo_u32 v27, v25, s16
	v_dual_add_nc_u32 v26, v25, v26 :: v_dual_sub_nc_u32 v27, v24, v27
	s_delay_alu instid0(VALU_DEP_1) | instskip(SKIP_1) | instid1(VALU_DEP_2)
	v_lshrrev_b32_e32 v24, s15, v26
	s_load_b64 s[14:15], s[0:1], 0xfc
	v_mad_u32 v0, v27, s7, v0
	v_mad_u32 v21, v27, s9, v21
	;; [unrolled: 1-line block ×3, first 2 shown]
	v_mul_lo_u32 v26, v24, s19
	s_wait_xcnt 0x0
	s_add_nc_u64 s[0:1], s[0:1], 32
	s_delay_alu instid0(VALU_DEP_1) | instskip(NEXT) | instid1(VALU_DEP_1)
	v_sub_nc_u32_e32 v25, v25, v26
	v_mad_u32 v0, v25, s10, v0
	s_wait_kmcnt 0x0
	v_mad_u32 v21, v25, s15, v21
	v_mad_u32 v22, v25, s14, v22
	s_cbranch_scc1 .LBB37_177
; %bb.178:
	s_bitcmp1_b32 s5, 0
	s_cselect_b32 s5, -1, 0
	s_delay_alu instid0(SALU_CYCLE_1)
	s_and_b32 vcc_lo, exec_lo, s5
	s_cbranch_vccnz .LBB37_181
; %bb.179:
	s_load_b96 s[8:10], s[2:3], 0x4
	s_load_b32 s5, s[0:1], 0xe4
	s_wait_xcnt 0x0
	s_load_b64 s[2:3], s[0:1], 0xec
	s_wait_kmcnt 0x0
	v_mul_hi_u32 v25, s9, v24
	s_delay_alu instid0(VALU_DEP_1) | instskip(NEXT) | instid1(VALU_DEP_1)
	v_add_nc_u32_e32 v25, v24, v25
	v_lshrrev_b32_e32 v25, s10, v25
	s_delay_alu instid0(VALU_DEP_1) | instskip(NEXT) | instid1(VALU_DEP_1)
	v_mul_lo_u32 v25, v25, s8
	v_sub_nc_u32_e32 v24, v24, v25
	s_delay_alu instid0(VALU_DEP_1)
	v_mad_u32 v0, v24, s5, v0
	v_mad_u32 v22, v24, s2, v22
	;; [unrolled: 1-line block ×3, first 2 shown]
	s_and_not1_b32 vcc_lo, exec_lo, s4
	s_cbranch_vccz .LBB37_182
	s_branch .LBB37_185
.LBB37_180:
	s_mov_b32 s4, -1
                                        ; implicit-def: $vgpr21
                                        ; implicit-def: $vgpr22
                                        ; implicit-def: $vgpr0
.LBB37_181:
	s_delay_alu instid0(SALU_CYCLE_1)
	s_and_not1_b32 vcc_lo, exec_lo, s4
	s_cbranch_vccnz .LBB37_185
.LBB37_182:
	s_clause 0x2
	s_load_b96 s[0:2], s[12:13], 0x4
	s_load_b32 s3, s[12:13], 0xc4
	s_load_b64 s[4:5], s[12:13], 0xcc
	s_cmp_lt_u32 s11, 2
	s_wait_kmcnt 0x0
	v_mul_hi_u32 v0, s1, v23
	s_delay_alu instid0(VALU_DEP_1) | instskip(NEXT) | instid1(VALU_DEP_1)
	v_add_nc_u32_e32 v0, v23, v0
	v_lshrrev_b32_e32 v24, s2, v0
	s_delay_alu instid0(VALU_DEP_1) | instskip(NEXT) | instid1(VALU_DEP_1)
	v_mul_lo_u32 v0, v24, s0
	v_sub_nc_u32_e32 v22, v23, v0
	s_delay_alu instid0(VALU_DEP_1)
	v_mul_lo_u32 v0, v22, s3
	v_mul_lo_u32 v21, v22, s5
	;; [unrolled: 1-line block ×3, first 2 shown]
	s_cbranch_scc1 .LBB37_185
; %bb.183:
	s_clause 0x2
	s_load_b96 s[0:2], s[12:13], 0x10
	s_load_b32 s3, s[12:13], 0xd4
	s_load_b64 s[4:5], s[12:13], 0xdc
	s_wait_kmcnt 0x0
	v_mul_hi_u32 v23, s1, v24
	s_delay_alu instid0(VALU_DEP_1) | instskip(NEXT) | instid1(VALU_DEP_1)
	v_add_nc_u32_e32 v23, v24, v23
	v_lshrrev_b32_e32 v23, s2, v23
	s_delay_alu instid0(VALU_DEP_1) | instskip(NEXT) | instid1(VALU_DEP_1)
	v_mul_lo_u32 v23, v23, s0
	v_sub_nc_u32_e32 v23, v24, v23
	s_delay_alu instid0(VALU_DEP_1)
	v_mad_u32 v0, v23, s3, v0
	v_mad_u32 v22, v23, s4, v22
	;; [unrolled: 1-line block ×3, first 2 shown]
	s_branch .LBB37_185
.LBB37_184:
	v_dual_mov_b32 v21, 0 :: v_dual_mov_b32 v22, 0
	v_mov_b32_e32 v0, 0
	s_and_not1_b32 vcc_lo, exec_lo, s4
	s_cbranch_vccz .LBB37_182
.LBB37_185:
	v_cmp_ne_u32_e32 vcc_lo, 1, v7
	s_cbranch_vccnz .LBB37_191
; %bb.186:
	s_cmp_lg_u32 s11, 0
	s_mov_b32 s4, 0
	s_cbranch_scc0 .LBB37_195
; %bb.187:
	s_min_u32 s5, s28, 15
	v_dual_mov_b32 v7, 0 :: v_dual_mov_b32 v25, v4
	v_dual_mov_b32 v24, 0 :: v_dual_mov_b32 v23, 0
	s_add_co_i32 s2, s5, 1
	s_mov_b64 s[0:1], 0xffffffffffffffe0
	s_and_b32 s6, s2, 30
	s_add_nc_u64 s[0:1], s[12:13], s[0:1]
	s_mov_b64 s[2:3], s[12:13]
.LBB37_188:                             ; =>This Inner Loop Header: Depth=1
	s_clause 0x1
	s_load_b128 s[16:19], s[2:3], 0x4
	s_load_b64 s[14:15], s[2:3], 0x14
	s_clause 0x1
	s_load_b32 s7, s[0:1], 0xe4
	s_load_b96 s[8:10], s[0:1], 0xec
	s_add_co_i32 s6, s6, -2
	s_wait_xcnt 0x0
	s_add_nc_u64 s[2:3], s[2:3], 24
	s_cmp_lg_u32 s6, 0
	s_wait_kmcnt 0x0
	v_mul_hi_u32 v26, s17, v25
	s_delay_alu instid0(VALU_DEP_1) | instskip(NEXT) | instid1(VALU_DEP_1)
	v_add_nc_u32_e32 v26, v25, v26
	v_lshrrev_b32_e32 v26, s18, v26
	s_delay_alu instid0(VALU_DEP_1) | instskip(SKIP_1) | instid1(VALU_DEP_1)
	v_mul_hi_u32 v27, s14, v26
	v_mul_lo_u32 v28, v26, s16
	v_dual_add_nc_u32 v27, v26, v27 :: v_dual_sub_nc_u32 v28, v25, v28
	s_delay_alu instid0(VALU_DEP_1) | instskip(SKIP_1) | instid1(VALU_DEP_2)
	v_lshrrev_b32_e32 v25, s15, v27
	s_load_b64 s[14:15], s[0:1], 0xfc
	v_mad_u32 v7, v28, s7, v7
	v_mad_u32 v23, v28, s9, v23
	;; [unrolled: 1-line block ×3, first 2 shown]
	v_mul_lo_u32 v27, v25, s19
	s_wait_xcnt 0x0
	s_add_nc_u64 s[0:1], s[0:1], 32
	s_delay_alu instid0(VALU_DEP_1) | instskip(NEXT) | instid1(VALU_DEP_1)
	v_sub_nc_u32_e32 v26, v26, v27
	v_mad_u32 v7, v26, s10, v7
	s_wait_kmcnt 0x0
	v_mad_u32 v23, v26, s15, v23
	v_mad_u32 v24, v26, s14, v24
	s_cbranch_scc1 .LBB37_188
; %bb.189:
	s_bitcmp1_b32 s5, 0
	s_cselect_b32 s5, -1, 0
	s_delay_alu instid0(SALU_CYCLE_1)
	s_and_b32 vcc_lo, exec_lo, s5
	s_cbranch_vccnz .LBB37_192
; %bb.190:
	s_load_b96 s[8:10], s[2:3], 0x4
	s_load_b32 s5, s[0:1], 0xe4
	s_wait_xcnt 0x0
	s_load_b64 s[2:3], s[0:1], 0xec
	s_wait_kmcnt 0x0
	v_mul_hi_u32 v26, s9, v25
	s_delay_alu instid0(VALU_DEP_1) | instskip(NEXT) | instid1(VALU_DEP_1)
	v_add_nc_u32_e32 v26, v25, v26
	v_lshrrev_b32_e32 v26, s10, v26
	s_delay_alu instid0(VALU_DEP_1) | instskip(NEXT) | instid1(VALU_DEP_1)
	v_mul_lo_u32 v26, v26, s8
	v_sub_nc_u32_e32 v25, v25, v26
	s_delay_alu instid0(VALU_DEP_1)
	v_mad_u32 v7, v25, s5, v7
	v_mad_u32 v24, v25, s2, v24
	;; [unrolled: 1-line block ×3, first 2 shown]
	s_and_not1_b32 vcc_lo, exec_lo, s4
	s_cbranch_vccz .LBB37_193
	s_branch .LBB37_196
.LBB37_191:
	s_mov_b32 s4, -1
                                        ; implicit-def: $vgpr23
                                        ; implicit-def: $vgpr24
                                        ; implicit-def: $vgpr7
.LBB37_192:
	s_delay_alu instid0(SALU_CYCLE_1)
	s_and_not1_b32 vcc_lo, exec_lo, s4
	s_cbranch_vccnz .LBB37_196
.LBB37_193:
	s_clause 0x2
	s_load_b96 s[0:2], s[12:13], 0x4
	s_load_b32 s3, s[12:13], 0xc4
	s_load_b64 s[4:5], s[12:13], 0xcc
	s_cmp_lt_u32 s11, 2
	s_wait_kmcnt 0x0
	v_mul_hi_u32 v7, s1, v4
	s_delay_alu instid0(VALU_DEP_1) | instskip(NEXT) | instid1(VALU_DEP_1)
	v_add_nc_u32_e32 v7, v4, v7
	v_lshrrev_b32_e32 v25, s2, v7
	s_delay_alu instid0(VALU_DEP_1) | instskip(NEXT) | instid1(VALU_DEP_1)
	v_mul_lo_u32 v7, v25, s0
	v_sub_nc_u32_e32 v4, v4, v7
	s_delay_alu instid0(VALU_DEP_1)
	v_mul_lo_u32 v7, v4, s3
	v_mul_lo_u32 v23, v4, s5
	;; [unrolled: 1-line block ×3, first 2 shown]
	s_cbranch_scc1 .LBB37_196
; %bb.194:
	s_clause 0x2
	s_load_b96 s[0:2], s[12:13], 0x10
	s_load_b32 s3, s[12:13], 0xd4
	s_load_b64 s[4:5], s[12:13], 0xdc
	s_wait_kmcnt 0x0
	v_mul_hi_u32 v4, s1, v25
	s_delay_alu instid0(VALU_DEP_1) | instskip(NEXT) | instid1(VALU_DEP_1)
	v_add_nc_u32_e32 v4, v25, v4
	v_lshrrev_b32_e32 v4, s2, v4
	s_delay_alu instid0(VALU_DEP_1) | instskip(NEXT) | instid1(VALU_DEP_1)
	v_mul_lo_u32 v4, v4, s0
	v_sub_nc_u32_e32 v4, v25, v4
	s_delay_alu instid0(VALU_DEP_1)
	v_mad_u32 v7, v4, s3, v7
	v_mad_u32 v24, v4, s4, v24
	;; [unrolled: 1-line block ×3, first 2 shown]
	s_branch .LBB37_196
.LBB37_195:
	v_dual_mov_b32 v23, 0 :: v_dual_mov_b32 v24, 0
	v_mov_b32_e32 v7, 0
	s_and_not1_b32 vcc_lo, exec_lo, s4
	s_cbranch_vccz .LBB37_193
.LBB37_196:
	s_load_b128 s[0:3], s[12:13], 0x1d8
	s_wait_kmcnt 0x0
	s_clause 0x7
	global_load_u8 v4, v3, s[0:1]
	global_load_u8 v25, v8, s[0:1]
	;; [unrolled: 1-line block ×8, first 2 shown]
	s_clause 0x7
	global_load_u8 v32, v2, s[2:3]
	global_load_u8 v33, v6, s[2:3]
	;; [unrolled: 1-line block ×7, first 2 shown]
	; meta instruction
	; meta instruction
	;; [unrolled: 1-line block ×16, first 2 shown]
	global_load_u8 v2, v23, s[2:3]
	s_wait_xcnt 0x0
	s_clause 0x1
	s_load_b32 s2, s[12:13], 0x1e8
	s_load_b64 s[0:1], s[12:13], 0x1c8
	s_wait_loadcnt 0xf
	s_wait_kmcnt 0x0
	v_mul_lo_u16 v3, v4, s2
	s_wait_loadcnt 0xe
	v_mul_lo_u16 v4, v25, s2
	s_wait_loadcnt 0xd
	;; [unrolled: 2-line block ×15, first 2 shown]
	v_mul_lo_u16 v2, v14, v2
	s_clause 0x7
	global_store_b8 v1, v3, s[0:1]
	global_store_b8 v5, v4, s[0:1]
	;; [unrolled: 1-line block ×8, first 2 shown]
	s_endpgm
	.section	.rodata,"a",@progbits
	.p2align	6, 0x0
	.amdhsa_kernel _ZN2at6native32elementwise_kernel_manual_unrollILi128ELi8EZNS0_22gpu_kernel_impl_nocastIZZZNS0_12_GLOBAL__N_116addr_kernel_cudaERNS_14TensorIteratorERKN3c106ScalarES9_ENKUlvE_clEvENKUlvE0_clEvEUlaaaE_EEvRNS_18TensorIteratorBaseERKT_EUlibE_EEviT1_
		.amdhsa_group_segment_fixed_size 0
		.amdhsa_private_segment_fixed_size 0
		.amdhsa_kernarg_size 504
		.amdhsa_user_sgpr_count 2
		.amdhsa_user_sgpr_dispatch_ptr 0
		.amdhsa_user_sgpr_queue_ptr 0
		.amdhsa_user_sgpr_kernarg_segment_ptr 1
		.amdhsa_user_sgpr_dispatch_id 0
		.amdhsa_user_sgpr_kernarg_preload_length 0
		.amdhsa_user_sgpr_kernarg_preload_offset 0
		.amdhsa_user_sgpr_private_segment_size 0
		.amdhsa_wavefront_size32 1
		.amdhsa_uses_dynamic_stack 0
		.amdhsa_enable_private_segment 0
		.amdhsa_system_sgpr_workgroup_id_x 1
		.amdhsa_system_sgpr_workgroup_id_y 0
		.amdhsa_system_sgpr_workgroup_id_z 0
		.amdhsa_system_sgpr_workgroup_info 0
		.amdhsa_system_vgpr_workitem_id 0
		.amdhsa_next_free_vgpr 39
		.amdhsa_next_free_sgpr 45
		.amdhsa_named_barrier_count 0
		.amdhsa_reserve_vcc 1
		.amdhsa_float_round_mode_32 0
		.amdhsa_float_round_mode_16_64 0
		.amdhsa_float_denorm_mode_32 3
		.amdhsa_float_denorm_mode_16_64 3
		.amdhsa_fp16_overflow 0
		.amdhsa_memory_ordered 1
		.amdhsa_forward_progress 1
		.amdhsa_inst_pref_size 88
		.amdhsa_round_robin_scheduling 0
		.amdhsa_exception_fp_ieee_invalid_op 0
		.amdhsa_exception_fp_denorm_src 0
		.amdhsa_exception_fp_ieee_div_zero 0
		.amdhsa_exception_fp_ieee_overflow 0
		.amdhsa_exception_fp_ieee_underflow 0
		.amdhsa_exception_fp_ieee_inexact 0
		.amdhsa_exception_int_div_zero 0
	.end_amdhsa_kernel
	.section	.text._ZN2at6native32elementwise_kernel_manual_unrollILi128ELi8EZNS0_22gpu_kernel_impl_nocastIZZZNS0_12_GLOBAL__N_116addr_kernel_cudaERNS_14TensorIteratorERKN3c106ScalarES9_ENKUlvE_clEvENKUlvE0_clEvEUlaaaE_EEvRNS_18TensorIteratorBaseERKT_EUlibE_EEviT1_,"axG",@progbits,_ZN2at6native32elementwise_kernel_manual_unrollILi128ELi8EZNS0_22gpu_kernel_impl_nocastIZZZNS0_12_GLOBAL__N_116addr_kernel_cudaERNS_14TensorIteratorERKN3c106ScalarES9_ENKUlvE_clEvENKUlvE0_clEvEUlaaaE_EEvRNS_18TensorIteratorBaseERKT_EUlibE_EEviT1_,comdat
.Lfunc_end37:
	.size	_ZN2at6native32elementwise_kernel_manual_unrollILi128ELi8EZNS0_22gpu_kernel_impl_nocastIZZZNS0_12_GLOBAL__N_116addr_kernel_cudaERNS_14TensorIteratorERKN3c106ScalarES9_ENKUlvE_clEvENKUlvE0_clEvEUlaaaE_EEvRNS_18TensorIteratorBaseERKT_EUlibE_EEviT1_, .Lfunc_end37-_ZN2at6native32elementwise_kernel_manual_unrollILi128ELi8EZNS0_22gpu_kernel_impl_nocastIZZZNS0_12_GLOBAL__N_116addr_kernel_cudaERNS_14TensorIteratorERKN3c106ScalarES9_ENKUlvE_clEvENKUlvE0_clEvEUlaaaE_EEvRNS_18TensorIteratorBaseERKT_EUlibE_EEviT1_
                                        ; -- End function
	.set _ZN2at6native32elementwise_kernel_manual_unrollILi128ELi8EZNS0_22gpu_kernel_impl_nocastIZZZNS0_12_GLOBAL__N_116addr_kernel_cudaERNS_14TensorIteratorERKN3c106ScalarES9_ENKUlvE_clEvENKUlvE0_clEvEUlaaaE_EEvRNS_18TensorIteratorBaseERKT_EUlibE_EEviT1_.num_vgpr, 39
	.set _ZN2at6native32elementwise_kernel_manual_unrollILi128ELi8EZNS0_22gpu_kernel_impl_nocastIZZZNS0_12_GLOBAL__N_116addr_kernel_cudaERNS_14TensorIteratorERKN3c106ScalarES9_ENKUlvE_clEvENKUlvE0_clEvEUlaaaE_EEvRNS_18TensorIteratorBaseERKT_EUlibE_EEviT1_.num_agpr, 0
	.set _ZN2at6native32elementwise_kernel_manual_unrollILi128ELi8EZNS0_22gpu_kernel_impl_nocastIZZZNS0_12_GLOBAL__N_116addr_kernel_cudaERNS_14TensorIteratorERKN3c106ScalarES9_ENKUlvE_clEvENKUlvE0_clEvEUlaaaE_EEvRNS_18TensorIteratorBaseERKT_EUlibE_EEviT1_.numbered_sgpr, 45
	.set _ZN2at6native32elementwise_kernel_manual_unrollILi128ELi8EZNS0_22gpu_kernel_impl_nocastIZZZNS0_12_GLOBAL__N_116addr_kernel_cudaERNS_14TensorIteratorERKN3c106ScalarES9_ENKUlvE_clEvENKUlvE0_clEvEUlaaaE_EEvRNS_18TensorIteratorBaseERKT_EUlibE_EEviT1_.num_named_barrier, 0
	.set _ZN2at6native32elementwise_kernel_manual_unrollILi128ELi8EZNS0_22gpu_kernel_impl_nocastIZZZNS0_12_GLOBAL__N_116addr_kernel_cudaERNS_14TensorIteratorERKN3c106ScalarES9_ENKUlvE_clEvENKUlvE0_clEvEUlaaaE_EEvRNS_18TensorIteratorBaseERKT_EUlibE_EEviT1_.private_seg_size, 0
	.set _ZN2at6native32elementwise_kernel_manual_unrollILi128ELi8EZNS0_22gpu_kernel_impl_nocastIZZZNS0_12_GLOBAL__N_116addr_kernel_cudaERNS_14TensorIteratorERKN3c106ScalarES9_ENKUlvE_clEvENKUlvE0_clEvEUlaaaE_EEvRNS_18TensorIteratorBaseERKT_EUlibE_EEviT1_.uses_vcc, 1
	.set _ZN2at6native32elementwise_kernel_manual_unrollILi128ELi8EZNS0_22gpu_kernel_impl_nocastIZZZNS0_12_GLOBAL__N_116addr_kernel_cudaERNS_14TensorIteratorERKN3c106ScalarES9_ENKUlvE_clEvENKUlvE0_clEvEUlaaaE_EEvRNS_18TensorIteratorBaseERKT_EUlibE_EEviT1_.uses_flat_scratch, 0
	.set _ZN2at6native32elementwise_kernel_manual_unrollILi128ELi8EZNS0_22gpu_kernel_impl_nocastIZZZNS0_12_GLOBAL__N_116addr_kernel_cudaERNS_14TensorIteratorERKN3c106ScalarES9_ENKUlvE_clEvENKUlvE0_clEvEUlaaaE_EEvRNS_18TensorIteratorBaseERKT_EUlibE_EEviT1_.has_dyn_sized_stack, 0
	.set _ZN2at6native32elementwise_kernel_manual_unrollILi128ELi8EZNS0_22gpu_kernel_impl_nocastIZZZNS0_12_GLOBAL__N_116addr_kernel_cudaERNS_14TensorIteratorERKN3c106ScalarES9_ENKUlvE_clEvENKUlvE0_clEvEUlaaaE_EEvRNS_18TensorIteratorBaseERKT_EUlibE_EEviT1_.has_recursion, 0
	.set _ZN2at6native32elementwise_kernel_manual_unrollILi128ELi8EZNS0_22gpu_kernel_impl_nocastIZZZNS0_12_GLOBAL__N_116addr_kernel_cudaERNS_14TensorIteratorERKN3c106ScalarES9_ENKUlvE_clEvENKUlvE0_clEvEUlaaaE_EEvRNS_18TensorIteratorBaseERKT_EUlibE_EEviT1_.has_indirect_call, 0
	.section	.AMDGPU.csdata,"",@progbits
; Kernel info:
; codeLenInByte = 11244
; TotalNumSgprs: 47
; NumVgprs: 39
; ScratchSize: 0
; MemoryBound: 0
; FloatMode: 240
; IeeeMode: 1
; LDSByteSize: 0 bytes/workgroup (compile time only)
; SGPRBlocks: 0
; VGPRBlocks: 2
; NumSGPRsForWavesPerEU: 47
; NumVGPRsForWavesPerEU: 39
; NamedBarCnt: 0
; Occupancy: 16
; WaveLimiterHint : 1
; COMPUTE_PGM_RSRC2:SCRATCH_EN: 0
; COMPUTE_PGM_RSRC2:USER_SGPR: 2
; COMPUTE_PGM_RSRC2:TRAP_HANDLER: 0
; COMPUTE_PGM_RSRC2:TGID_X_EN: 1
; COMPUTE_PGM_RSRC2:TGID_Y_EN: 0
; COMPUTE_PGM_RSRC2:TGID_Z_EN: 0
; COMPUTE_PGM_RSRC2:TIDIG_COMP_CNT: 0
	.section	.text._ZN2at6native32elementwise_kernel_manual_unrollILi128ELi4EZNS0_15gpu_kernel_implIZZZNS0_12_GLOBAL__N_116addr_kernel_cudaERNS_14TensorIteratorERKN3c106ScalarES9_ENKUlvE_clEvENKUlvE0_clEvEUlaaaE_EEvRNS_18TensorIteratorBaseERKT_EUlibE_EEviT1_,"axG",@progbits,_ZN2at6native32elementwise_kernel_manual_unrollILi128ELi4EZNS0_15gpu_kernel_implIZZZNS0_12_GLOBAL__N_116addr_kernel_cudaERNS_14TensorIteratorERKN3c106ScalarES9_ENKUlvE_clEvENKUlvE0_clEvEUlaaaE_EEvRNS_18TensorIteratorBaseERKT_EUlibE_EEviT1_,comdat
	.globl	_ZN2at6native32elementwise_kernel_manual_unrollILi128ELi4EZNS0_15gpu_kernel_implIZZZNS0_12_GLOBAL__N_116addr_kernel_cudaERNS_14TensorIteratorERKN3c106ScalarES9_ENKUlvE_clEvENKUlvE0_clEvEUlaaaE_EEvRNS_18TensorIteratorBaseERKT_EUlibE_EEviT1_ ; -- Begin function _ZN2at6native32elementwise_kernel_manual_unrollILi128ELi4EZNS0_15gpu_kernel_implIZZZNS0_12_GLOBAL__N_116addr_kernel_cudaERNS_14TensorIteratorERKN3c106ScalarES9_ENKUlvE_clEvENKUlvE0_clEvEUlaaaE_EEvRNS_18TensorIteratorBaseERKT_EUlibE_EEviT1_
	.p2align	8
	.type	_ZN2at6native32elementwise_kernel_manual_unrollILi128ELi4EZNS0_15gpu_kernel_implIZZZNS0_12_GLOBAL__N_116addr_kernel_cudaERNS_14TensorIteratorERKN3c106ScalarES9_ENKUlvE_clEvENKUlvE0_clEvEUlaaaE_EEvRNS_18TensorIteratorBaseERKT_EUlibE_EEviT1_,@function
_ZN2at6native32elementwise_kernel_manual_unrollILi128ELi4EZNS0_15gpu_kernel_implIZZZNS0_12_GLOBAL__N_116addr_kernel_cudaERNS_14TensorIteratorERKN3c106ScalarES9_ENKUlvE_clEvENKUlvE0_clEvEUlaaaE_EEvRNS_18TensorIteratorBaseERKT_EUlibE_EEviT1_: ; @_ZN2at6native32elementwise_kernel_manual_unrollILi128ELi4EZNS0_15gpu_kernel_implIZZZNS0_12_GLOBAL__N_116addr_kernel_cudaERNS_14TensorIteratorERKN3c106ScalarES9_ENKUlvE_clEvENKUlvE0_clEvEUlaaaE_EEvRNS_18TensorIteratorBaseERKT_EUlibE_EEviT1_
; %bb.0:
	s_load_b128 s[4:7], s[0:1], 0x30
	s_bfe_u32 s8, ttmp6, 0x4000c
	s_clause 0x1
	s_load_b32 s18, s[0:1], 0x0
	s_load_b64 s[2:3], s[0:1], 0x8
	s_add_co_i32 s12, s8, 1
	s_clause 0x1
	s_load_b128 s[8:11], s[0:1], 0x18
	s_load_b32 s14, s[0:1], 0x28
	s_and_b32 s16, ttmp6, 15
	s_wait_xcnt 0x0
	s_mul_i32 s0, ttmp9, s12
	s_getreg_b32 s17, hwreg(HW_REG_IB_STS2, 6, 4)
	s_add_co_i32 s16, s16, s0
	s_wait_kmcnt 0x0
	s_lshr_b32 s1, s6, 8
	s_lshr_b32 s15, s6, 16
	s_lshr_b64 s[12:13], s[6:7], 24
	s_cmp_eq_u32 s17, 0
	s_mov_b32 s13, 0
	s_cselect_b32 s0, ttmp9, s16
	s_mov_b32 s17, 0
	v_lshl_or_b32 v18, s0, 9, v0
	s_mov_b32 s0, exec_lo
	s_delay_alu instid0(VALU_DEP_1) | instskip(NEXT) | instid1(VALU_DEP_1)
	v_or_b32_e32 v0, 0x180, v18
	v_cmpx_le_i32_e64 s18, v0
	s_xor_b32 s16, exec_lo, s0
	s_cbranch_execz .LBB38_1592
; %bb.1:
	s_mov_b32 s0, -1
	s_mov_b32 s23, 0
	s_mov_b32 s21, 0
	;; [unrolled: 1-line block ×4, first 2 shown]
	s_mov_b32 s22, exec_lo
	v_cmpx_gt_i32_e64 s18, v18
	s_cbranch_execz .LBB38_394
; %bb.2:
	s_and_b32 s17, s15, 0xff
	s_delay_alu instid0(SALU_CYCLE_1)
	s_cmp_lt_i32 s17, 23
	s_cbranch_scc1 .LBB38_6
; %bb.3:
	s_and_b32 s19, 0xffff, s17
	s_delay_alu instid0(SALU_CYCLE_1)
	s_cmp_gt_i32 s19, 43
	s_cbranch_scc0 .LBB38_7
; %bb.4:
	s_cmp_gt_i32 s19, 45
	s_cbranch_scc0 .LBB38_8
; %bb.5:
	s_cmp_eq_u32 s19, 46
	s_mov_b32 s21, -1
	s_cselect_b32 s0, -1, 0
	s_branch .LBB38_9
.LBB38_6:
	s_mov_b32 s0, 0
	s_cbranch_execnz .LBB38_14
	s_branch .LBB38_18
.LBB38_7:
	s_mov_b32 s0, 0
	s_cbranch_execnz .LBB38_12
	s_branch .LBB38_13
.LBB38_8:
	s_mov_b32 s20, -1
	s_mov_b32 s0, 0
.LBB38_9:
	s_and_not1_b32 vcc_lo, exec_lo, s20
	s_cbranch_vccnz .LBB38_11
; %bb.10:
	s_cmp_eq_u32 s19, 44
	s_cselect_b32 s0, -1, 0
	s_cmp_lg_u32 s19, 44
	s_cselect_b32 s21, -1, 0
.LBB38_11:
	s_branch .LBB38_13
.LBB38_12:
	s_cmp_lt_i32 s19, 30
	s_cselect_b32 s0, -1, 0
	s_cmp_gt_i32 s19, 29
	s_cselect_b32 s21, -1, 0
.LBB38_13:
	s_branch .LBB38_18
.LBB38_14:
	s_and_b32 s17, 0xffff, s17
	s_mov_b32 s19, -1
	s_cmp_gt_i32 s17, 14
	s_cbranch_scc0 .LBB38_16
; %bb.15:
	s_cmp_eq_u32 s17, 15
	s_mov_b32 s19, 0
	s_cselect_b32 s0, -1, 0
	s_cmp_lg_u32 s17, 15
	s_cselect_b32 s21, -1, 0
.LBB38_16:
	s_and_not1_b32 vcc_lo, exec_lo, s19
	s_cbranch_vccnz .LBB38_18
; %bb.17:
	s_cmp_lt_i32 s17, 12
	s_cselect_b32 s0, -1, 0
	s_cmp_gt_i32 s17, 11
	s_cselect_b32 s21, -1, 0
.LBB38_18:
	s_and_b32 vcc_lo, exec_lo, s0
	s_cbranch_vccz .LBB38_26
; %bb.19:
	v_mul_lo_u32 v0, v18, s4
	s_and_b32 s0, s12, 0xff
	s_delay_alu instid0(SALU_CYCLE_1) | instskip(NEXT) | instid1(VALU_DEP_1)
	s_cmp_lt_i32 s0, 11
	v_ashrrev_i32_e32 v1, 31, v0
	s_delay_alu instid0(VALU_DEP_1)
	v_add_nc_u64_e32 v[2:3], s[8:9], v[0:1]
	s_cbranch_scc1 .LBB38_28
; %bb.20:
	s_and_b32 s17, 0xffff, s0
	s_delay_alu instid0(SALU_CYCLE_1)
	s_cmp_gt_i32 s17, 25
	s_cbranch_scc0 .LBB38_29
; %bb.21:
	s_cmp_gt_i32 s17, 28
	s_cbranch_scc0 .LBB38_30
; %bb.22:
	;; [unrolled: 3-line block ×4, first 2 shown]
	s_cmp_eq_u32 s17, 46
	s_mov_b32 s21, 0
	s_cbranch_scc0 .LBB38_33
; %bb.25:
	global_load_b32 v0, v[2:3], off
	s_mov_b32 s19, -1
	s_mov_b32 s20, 0
	s_wait_loadcnt 0x0
	v_lshlrev_b32_e32 v0, 16, v0
	s_delay_alu instid0(VALU_DEP_1)
	v_cvt_i32_f32_e32 v0, v0
	s_branch .LBB38_35
.LBB38_26:
	s_mov_b32 s0, 0
	s_mov_b32 s19, 0
	;; [unrolled: 1-line block ×3, first 2 shown]
.LBB38_27:
	s_mov_b32 s24, 0
                                        ; implicit-def: $vgpr18
	s_branch .LBB38_393
.LBB38_28:
	s_mov_b32 s20, 0
	s_mov_b32 s19, 0
                                        ; implicit-def: $vgpr0
	s_cbranch_execnz .LBB38_96
	s_branch .LBB38_144
.LBB38_29:
	s_mov_b32 s21, -1
	s_mov_b32 s20, 0
	s_mov_b32 s19, 0
                                        ; implicit-def: $vgpr0
	s_branch .LBB38_62
.LBB38_30:
	s_mov_b32 s21, -1
	s_mov_b32 s20, 0
	s_mov_b32 s19, 0
                                        ; implicit-def: $vgpr0
	s_branch .LBB38_45
.LBB38_31:
	s_mov_b32 s21, -1
	s_mov_b32 s20, 0
	s_mov_b32 s19, 0
                                        ; implicit-def: $vgpr0
	s_branch .LBB38_40
.LBB38_32:
	s_mov_b32 s21, -1
	s_mov_b32 s20, 0
	s_branch .LBB38_34
.LBB38_33:
	s_mov_b32 s20, -1
.LBB38_34:
	s_mov_b32 s19, 0
                                        ; implicit-def: $vgpr0
.LBB38_35:
	s_and_b32 vcc_lo, exec_lo, s21
	s_cbranch_vccz .LBB38_39
; %bb.36:
	s_cmp_eq_u32 s17, 44
	s_cbranch_scc0 .LBB38_38
; %bb.37:
	global_load_u8 v0, v[2:3], off
	s_mov_b32 s20, 0
	s_mov_b32 s19, -1
	s_wait_loadcnt 0x0
	v_lshlrev_b32_e32 v1, 23, v0
	v_cmp_ne_u32_e32 vcc_lo, 0, v0
	s_delay_alu instid0(VALU_DEP_2) | instskip(NEXT) | instid1(VALU_DEP_1)
	v_cvt_i32_f32_e32 v1, v1
	v_cndmask_b32_e32 v0, 0, v1, vcc_lo
	s_branch .LBB38_39
.LBB38_38:
	s_mov_b32 s20, -1
                                        ; implicit-def: $vgpr0
.LBB38_39:
	s_mov_b32 s21, 0
.LBB38_40:
	s_delay_alu instid0(SALU_CYCLE_1)
	s_and_b32 vcc_lo, exec_lo, s21
	s_cbranch_vccz .LBB38_44
; %bb.41:
	s_cmp_eq_u32 s17, 29
	s_cbranch_scc0 .LBB38_43
; %bb.42:
	global_load_b64 v[0:1], v[2:3], off
	s_mov_b32 s19, -1
	s_mov_b32 s20, 0
	s_branch .LBB38_44
.LBB38_43:
	s_mov_b32 s20, -1
                                        ; implicit-def: $vgpr0
.LBB38_44:
	s_mov_b32 s21, 0
.LBB38_45:
	s_delay_alu instid0(SALU_CYCLE_1)
	s_and_b32 vcc_lo, exec_lo, s21
	s_cbranch_vccz .LBB38_61
; %bb.46:
	s_cmp_lt_i32 s17, 27
	s_cbranch_scc1 .LBB38_49
; %bb.47:
	s_cmp_gt_i32 s17, 27
	s_cbranch_scc0 .LBB38_50
; %bb.48:
	s_wait_loadcnt 0x0
	global_load_b32 v0, v[2:3], off
	s_mov_b32 s19, 0
	s_branch .LBB38_51
.LBB38_49:
	s_mov_b32 s19, -1
                                        ; implicit-def: $vgpr0
	s_branch .LBB38_54
.LBB38_50:
	s_mov_b32 s19, -1
                                        ; implicit-def: $vgpr0
.LBB38_51:
	s_delay_alu instid0(SALU_CYCLE_1)
	s_and_not1_b32 vcc_lo, exec_lo, s19
	s_cbranch_vccnz .LBB38_53
; %bb.52:
	s_wait_loadcnt 0x0
	global_load_u16 v0, v[2:3], off
.LBB38_53:
	s_mov_b32 s19, 0
.LBB38_54:
	s_delay_alu instid0(SALU_CYCLE_1)
	s_and_not1_b32 vcc_lo, exec_lo, s19
	s_cbranch_vccnz .LBB38_60
; %bb.55:
	s_wait_loadcnt 0x0
	global_load_u8 v1, v[2:3], off
	s_mov_b32 s21, 0
	s_mov_b32 s19, exec_lo
	s_wait_loadcnt 0x0
	v_cmpx_lt_i16_e32 0x7f, v1
	s_xor_b32 s19, exec_lo, s19
	s_cbranch_execz .LBB38_72
; %bb.56:
	v_cmp_ne_u16_e32 vcc_lo, 0x80, v1
	s_and_b32 s21, vcc_lo, exec_lo
	s_and_not1_saveexec_b32 s19, s19
	s_cbranch_execnz .LBB38_73
.LBB38_57:
	s_or_b32 exec_lo, exec_lo, s19
	v_mov_b32_e32 v0, 0
	s_and_saveexec_b32 s19, s21
	s_cbranch_execz .LBB38_59
.LBB38_58:
	v_and_b32_e32 v0, 0xffff, v1
	s_delay_alu instid0(VALU_DEP_1) | instskip(SKIP_1) | instid1(VALU_DEP_2)
	v_and_b32_e32 v4, 7, v0
	v_bfe_u32 v7, v0, 3, 4
	v_clz_i32_u32_e32 v5, v4
	s_delay_alu instid0(VALU_DEP_2) | instskip(NEXT) | instid1(VALU_DEP_2)
	v_cmp_eq_u32_e32 vcc_lo, 0, v7
	v_min_u32_e32 v5, 32, v5
	s_delay_alu instid0(VALU_DEP_1) | instskip(NEXT) | instid1(VALU_DEP_1)
	v_subrev_nc_u32_e32 v6, 28, v5
	v_dual_lshlrev_b32 v0, v6, v0 :: v_dual_sub_nc_u32 v5, 29, v5
	s_delay_alu instid0(VALU_DEP_1) | instskip(NEXT) | instid1(VALU_DEP_1)
	v_dual_lshlrev_b32 v1, 24, v1 :: v_dual_bitop2_b32 v0, 7, v0 bitop3:0x40
	v_dual_cndmask_b32 v0, v4, v0 :: v_dual_cndmask_b32 v5, v7, v5
	s_delay_alu instid0(VALU_DEP_2) | instskip(NEXT) | instid1(VALU_DEP_2)
	v_and_b32_e32 v1, 0x80000000, v1
	v_lshlrev_b32_e32 v0, 20, v0
	s_delay_alu instid0(VALU_DEP_3) | instskip(NEXT) | instid1(VALU_DEP_1)
	v_lshl_add_u32 v4, v5, 23, 0x3b800000
	v_or3_b32 v0, v1, v4, v0
	s_delay_alu instid0(VALU_DEP_1)
	v_cvt_i32_f32_e32 v0, v0
.LBB38_59:
	s_or_b32 exec_lo, exec_lo, s19
.LBB38_60:
	s_mov_b32 s19, -1
.LBB38_61:
	s_mov_b32 s21, 0
.LBB38_62:
	s_delay_alu instid0(SALU_CYCLE_1)
	s_and_b32 vcc_lo, exec_lo, s21
	s_cbranch_vccz .LBB38_95
; %bb.63:
	s_cmp_gt_i32 s17, 22
	s_cbranch_scc0 .LBB38_71
; %bb.64:
	s_cmp_lt_i32 s17, 24
	s_cbranch_scc1 .LBB38_74
; %bb.65:
	s_cmp_gt_i32 s17, 24
	s_cbranch_scc0 .LBB38_75
; %bb.66:
	s_wait_loadcnt 0x0
	global_load_u8 v1, v[2:3], off
	s_mov_b32 s21, 0
	s_mov_b32 s19, exec_lo
	s_wait_loadcnt 0x0
	v_cmpx_lt_i16_e32 0x7f, v1
	s_xor_b32 s19, exec_lo, s19
	s_cbranch_execz .LBB38_87
; %bb.67:
	v_cmp_ne_u16_e32 vcc_lo, 0x80, v1
	s_and_b32 s21, vcc_lo, exec_lo
	s_and_not1_saveexec_b32 s19, s19
	s_cbranch_execnz .LBB38_88
.LBB38_68:
	s_or_b32 exec_lo, exec_lo, s19
	v_mov_b32_e32 v0, 0
	s_and_saveexec_b32 s19, s21
	s_cbranch_execz .LBB38_70
.LBB38_69:
	v_and_b32_e32 v0, 0xffff, v1
	s_delay_alu instid0(VALU_DEP_1) | instskip(SKIP_1) | instid1(VALU_DEP_2)
	v_and_b32_e32 v4, 3, v0
	v_bfe_u32 v7, v0, 2, 5
	v_clz_i32_u32_e32 v5, v4
	s_delay_alu instid0(VALU_DEP_2) | instskip(NEXT) | instid1(VALU_DEP_2)
	v_cmp_eq_u32_e32 vcc_lo, 0, v7
	v_min_u32_e32 v5, 32, v5
	s_delay_alu instid0(VALU_DEP_1) | instskip(NEXT) | instid1(VALU_DEP_1)
	v_subrev_nc_u32_e32 v6, 29, v5
	v_dual_lshlrev_b32 v0, v6, v0 :: v_dual_sub_nc_u32 v5, 30, v5
	s_delay_alu instid0(VALU_DEP_1) | instskip(NEXT) | instid1(VALU_DEP_1)
	v_dual_lshlrev_b32 v1, 24, v1 :: v_dual_bitop2_b32 v0, 3, v0 bitop3:0x40
	v_dual_cndmask_b32 v0, v4, v0 :: v_dual_cndmask_b32 v5, v7, v5
	s_delay_alu instid0(VALU_DEP_2) | instskip(NEXT) | instid1(VALU_DEP_2)
	v_and_b32_e32 v1, 0x80000000, v1
	v_lshlrev_b32_e32 v0, 21, v0
	s_delay_alu instid0(VALU_DEP_3) | instskip(NEXT) | instid1(VALU_DEP_1)
	v_lshl_add_u32 v4, v5, 23, 0x37800000
	v_or3_b32 v0, v1, v4, v0
	s_delay_alu instid0(VALU_DEP_1)
	v_cvt_i32_f32_e32 v0, v0
.LBB38_70:
	s_or_b32 exec_lo, exec_lo, s19
	s_mov_b32 s19, 0
	s_branch .LBB38_76
.LBB38_71:
	s_mov_b32 s21, -1
                                        ; implicit-def: $vgpr0
	s_branch .LBB38_82
.LBB38_72:
	s_and_not1_saveexec_b32 s19, s19
	s_cbranch_execz .LBB38_57
.LBB38_73:
	v_cmp_ne_u16_e32 vcc_lo, 0, v1
	s_and_not1_b32 s21, s21, exec_lo
	s_and_b32 s24, vcc_lo, exec_lo
	s_delay_alu instid0(SALU_CYCLE_1)
	s_or_b32 s21, s21, s24
	s_or_b32 exec_lo, exec_lo, s19
	v_mov_b32_e32 v0, 0
	s_and_saveexec_b32 s19, s21
	s_cbranch_execnz .LBB38_58
	s_branch .LBB38_59
.LBB38_74:
	s_mov_b32 s19, -1
                                        ; implicit-def: $vgpr0
	s_branch .LBB38_79
.LBB38_75:
	s_mov_b32 s19, -1
                                        ; implicit-def: $vgpr0
.LBB38_76:
	s_delay_alu instid0(SALU_CYCLE_1)
	s_and_b32 vcc_lo, exec_lo, s19
	s_cbranch_vccz .LBB38_78
; %bb.77:
	s_wait_loadcnt 0x0
	global_load_u8 v0, v[2:3], off
	s_wait_loadcnt 0x0
	v_lshlrev_b32_e32 v0, 24, v0
	s_delay_alu instid0(VALU_DEP_1) | instskip(NEXT) | instid1(VALU_DEP_1)
	v_and_b32_e32 v1, 0x7f000000, v0
	v_clz_i32_u32_e32 v4, v1
	v_cmp_ne_u32_e32 vcc_lo, 0, v1
	v_add_nc_u32_e32 v6, 0x1000000, v1
	s_delay_alu instid0(VALU_DEP_3) | instskip(NEXT) | instid1(VALU_DEP_1)
	v_min_u32_e32 v4, 32, v4
	v_sub_nc_u32_e64 v4, v4, 4 clamp
	s_delay_alu instid0(VALU_DEP_1) | instskip(NEXT) | instid1(VALU_DEP_1)
	v_dual_lshlrev_b32 v5, v4, v1 :: v_dual_lshlrev_b32 v4, 23, v4
	v_lshrrev_b32_e32 v5, 4, v5
	s_delay_alu instid0(VALU_DEP_1) | instskip(NEXT) | instid1(VALU_DEP_1)
	v_dual_sub_nc_u32 v4, v5, v4 :: v_dual_ashrrev_i32 v5, 8, v6
	v_add_nc_u32_e32 v4, 0x3c000000, v4
	s_delay_alu instid0(VALU_DEP_1) | instskip(NEXT) | instid1(VALU_DEP_1)
	v_and_or_b32 v4, 0x7f800000, v5, v4
	v_cndmask_b32_e32 v1, 0, v4, vcc_lo
	s_delay_alu instid0(VALU_DEP_1) | instskip(NEXT) | instid1(VALU_DEP_1)
	v_and_or_b32 v0, 0x80000000, v0, v1
	v_cvt_i32_f32_e32 v0, v0
.LBB38_78:
	s_mov_b32 s19, 0
.LBB38_79:
	s_delay_alu instid0(SALU_CYCLE_1)
	s_and_not1_b32 vcc_lo, exec_lo, s19
	s_cbranch_vccnz .LBB38_81
; %bb.80:
	s_wait_loadcnt 0x0
	global_load_u8 v0, v[2:3], off
	s_wait_loadcnt 0x0
	v_lshlrev_b32_e32 v1, 25, v0
	v_lshlrev_b16 v0, 8, v0
	s_delay_alu instid0(VALU_DEP_1) | instskip(SKIP_1) | instid1(VALU_DEP_2)
	v_and_or_b32 v5, 0x7f00, v0, 0.5
	v_bfe_i32 v0, v0, 0, 16
	v_add_f32_e32 v5, -0.5, v5
	v_lshrrev_b32_e32 v4, 4, v1
	v_cmp_gt_u32_e32 vcc_lo, 0x8000000, v1
	s_delay_alu instid0(VALU_DEP_2) | instskip(NEXT) | instid1(VALU_DEP_1)
	v_or_b32_e32 v4, 0x70000000, v4
	v_mul_f32_e32 v4, 0x7800000, v4
	s_delay_alu instid0(VALU_DEP_1) | instskip(NEXT) | instid1(VALU_DEP_1)
	v_cndmask_b32_e32 v1, v4, v5, vcc_lo
	v_and_or_b32 v0, 0x80000000, v0, v1
	s_delay_alu instid0(VALU_DEP_1)
	v_cvt_i32_f32_e32 v0, v0
.LBB38_81:
	s_mov_b32 s21, 0
	s_mov_b32 s19, -1
.LBB38_82:
	s_and_not1_b32 vcc_lo, exec_lo, s21
	s_cbranch_vccnz .LBB38_95
; %bb.83:
	s_cmp_gt_i32 s17, 14
	s_cbranch_scc0 .LBB38_86
; %bb.84:
	s_cmp_eq_u32 s17, 15
	s_cbranch_scc0 .LBB38_89
; %bb.85:
	s_wait_loadcnt 0x0
	global_load_u16 v0, v[2:3], off
	s_mov_b32 s19, -1
	s_mov_b32 s20, 0
	s_wait_loadcnt 0x0
	v_lshlrev_b32_e32 v0, 16, v0
	s_delay_alu instid0(VALU_DEP_1)
	v_cvt_i32_f32_e32 v0, v0
	s_branch .LBB38_90
.LBB38_86:
	s_mov_b32 s21, -1
                                        ; implicit-def: $vgpr0
	s_branch .LBB38_91
.LBB38_87:
	s_and_not1_saveexec_b32 s19, s19
	s_cbranch_execz .LBB38_68
.LBB38_88:
	v_cmp_ne_u16_e32 vcc_lo, 0, v1
	s_and_not1_b32 s21, s21, exec_lo
	s_and_b32 s24, vcc_lo, exec_lo
	s_delay_alu instid0(SALU_CYCLE_1)
	s_or_b32 s21, s21, s24
	s_or_b32 exec_lo, exec_lo, s19
	v_mov_b32_e32 v0, 0
	s_and_saveexec_b32 s19, s21
	s_cbranch_execnz .LBB38_69
	s_branch .LBB38_70
.LBB38_89:
	s_mov_b32 s20, -1
                                        ; implicit-def: $vgpr0
.LBB38_90:
	s_mov_b32 s21, 0
.LBB38_91:
	s_delay_alu instid0(SALU_CYCLE_1)
	s_and_b32 vcc_lo, exec_lo, s21
	s_cbranch_vccz .LBB38_95
; %bb.92:
	s_cmp_eq_u32 s17, 11
	s_cbranch_scc0 .LBB38_94
; %bb.93:
	s_wait_loadcnt 0x0
	global_load_u8 v0, v[2:3], off
	s_mov_b32 s20, 0
	s_mov_b32 s19, -1
	s_wait_loadcnt 0x0
	v_cmp_ne_u16_e32 vcc_lo, 0, v0
	v_cndmask_b32_e64 v0, 0, 1, vcc_lo
	s_branch .LBB38_95
.LBB38_94:
	s_mov_b32 s20, -1
                                        ; implicit-def: $vgpr0
.LBB38_95:
	s_branch .LBB38_144
.LBB38_96:
	s_and_b32 s0, 0xffff, s0
	s_delay_alu instid0(SALU_CYCLE_1)
	s_cmp_lt_i32 s0, 5
	s_cbranch_scc1 .LBB38_101
; %bb.97:
	s_cmp_lt_i32 s0, 8
	s_cbranch_scc1 .LBB38_102
; %bb.98:
	;; [unrolled: 3-line block ×3, first 2 shown]
	s_cmp_gt_i32 s0, 9
	s_cbranch_scc0 .LBB38_104
; %bb.100:
	s_wait_loadcnt 0x0
	global_load_b64 v[0:1], v[2:3], off
	s_mov_b32 s17, 0
	s_wait_loadcnt 0x0
	v_cvt_i32_f64_e32 v0, v[0:1]
	s_branch .LBB38_105
.LBB38_101:
	s_mov_b32 s17, -1
                                        ; implicit-def: $vgpr0
	s_branch .LBB38_123
.LBB38_102:
	s_mov_b32 s17, -1
                                        ; implicit-def: $vgpr0
	s_branch .LBB38_111
.LBB38_103:
	s_mov_b32 s17, -1
                                        ; implicit-def: $vgpr0
	s_branch .LBB38_108
.LBB38_104:
	s_mov_b32 s17, -1
                                        ; implicit-def: $vgpr0
.LBB38_105:
	s_delay_alu instid0(SALU_CYCLE_1)
	s_and_not1_b32 vcc_lo, exec_lo, s17
	s_cbranch_vccnz .LBB38_107
; %bb.106:
	s_wait_loadcnt 0x0
	global_load_b32 v0, v[2:3], off
	s_wait_loadcnt 0x0
	v_cvt_i32_f32_e32 v0, v0
.LBB38_107:
	s_mov_b32 s17, 0
.LBB38_108:
	s_delay_alu instid0(SALU_CYCLE_1)
	s_and_not1_b32 vcc_lo, exec_lo, s17
	s_cbranch_vccnz .LBB38_110
; %bb.109:
	s_wait_loadcnt 0x0
	global_load_b32 v0, v[2:3], off
	s_wait_loadcnt 0x0
	v_cvt_i16_f16_e32 v0, v0
.LBB38_110:
	s_mov_b32 s17, 0
.LBB38_111:
	s_delay_alu instid0(SALU_CYCLE_1)
	s_and_not1_b32 vcc_lo, exec_lo, s17
	s_cbranch_vccnz .LBB38_122
; %bb.112:
	s_cmp_lt_i32 s0, 6
	s_cbranch_scc1 .LBB38_115
; %bb.113:
	s_cmp_gt_i32 s0, 6
	s_cbranch_scc0 .LBB38_116
; %bb.114:
	s_wait_loadcnt 0x0
	global_load_b64 v[0:1], v[2:3], off
	s_mov_b32 s17, 0
	s_wait_loadcnt 0x0
	v_cvt_i32_f64_e32 v0, v[0:1]
	s_branch .LBB38_117
.LBB38_115:
	s_mov_b32 s17, -1
                                        ; implicit-def: $vgpr0
	s_branch .LBB38_120
.LBB38_116:
	s_mov_b32 s17, -1
                                        ; implicit-def: $vgpr0
.LBB38_117:
	s_delay_alu instid0(SALU_CYCLE_1)
	s_and_not1_b32 vcc_lo, exec_lo, s17
	s_cbranch_vccnz .LBB38_119
; %bb.118:
	s_wait_loadcnt 0x0
	global_load_b32 v0, v[2:3], off
	s_wait_loadcnt 0x0
	v_cvt_i32_f32_e32 v0, v0
.LBB38_119:
	s_mov_b32 s17, 0
.LBB38_120:
	s_delay_alu instid0(SALU_CYCLE_1)
	s_and_not1_b32 vcc_lo, exec_lo, s17
	s_cbranch_vccnz .LBB38_122
; %bb.121:
	s_wait_loadcnt 0x0
	global_load_u16 v0, v[2:3], off
	s_wait_loadcnt 0x0
	v_cvt_i16_f16_e32 v0, v0
.LBB38_122:
	s_mov_b32 s17, 0
.LBB38_123:
	s_delay_alu instid0(SALU_CYCLE_1)
	s_and_not1_b32 vcc_lo, exec_lo, s17
	s_cbranch_vccnz .LBB38_143
; %bb.124:
	s_cmp_lt_i32 s0, 2
	s_cbranch_scc1 .LBB38_128
; %bb.125:
	s_cmp_lt_i32 s0, 3
	s_cbranch_scc1 .LBB38_129
; %bb.126:
	s_cmp_gt_i32 s0, 3
	s_cbranch_scc0 .LBB38_130
; %bb.127:
	s_wait_loadcnt 0x0
	global_load_b64 v[0:1], v[2:3], off
	s_mov_b32 s17, 0
	s_branch .LBB38_131
.LBB38_128:
	s_mov_b32 s17, -1
                                        ; implicit-def: $vgpr0
	s_branch .LBB38_137
.LBB38_129:
	s_mov_b32 s17, -1
                                        ; implicit-def: $vgpr0
	s_branch .LBB38_134
.LBB38_130:
	s_mov_b32 s17, -1
                                        ; implicit-def: $vgpr0
.LBB38_131:
	s_delay_alu instid0(SALU_CYCLE_1)
	s_and_not1_b32 vcc_lo, exec_lo, s17
	s_cbranch_vccnz .LBB38_133
; %bb.132:
	s_wait_loadcnt 0x0
	global_load_b32 v0, v[2:3], off
.LBB38_133:
	s_mov_b32 s17, 0
.LBB38_134:
	s_delay_alu instid0(SALU_CYCLE_1)
	s_and_not1_b32 vcc_lo, exec_lo, s17
	s_cbranch_vccnz .LBB38_136
; %bb.135:
	s_wait_loadcnt 0x0
	global_load_u16 v0, v[2:3], off
.LBB38_136:
	s_mov_b32 s17, 0
.LBB38_137:
	s_delay_alu instid0(SALU_CYCLE_1)
	s_and_not1_b32 vcc_lo, exec_lo, s17
	s_cbranch_vccnz .LBB38_143
; %bb.138:
	s_cmp_gt_i32 s0, 0
	s_mov_b32 s0, 0
	s_cbranch_scc0 .LBB38_140
; %bb.139:
	s_wait_loadcnt 0x0
	global_load_u8 v0, v[2:3], off
	s_branch .LBB38_141
.LBB38_140:
	s_mov_b32 s0, -1
                                        ; implicit-def: $vgpr0
.LBB38_141:
	s_delay_alu instid0(SALU_CYCLE_1)
	s_and_not1_b32 vcc_lo, exec_lo, s0
	s_cbranch_vccnz .LBB38_143
; %bb.142:
	s_wait_loadcnt 0x0
	global_load_u8 v0, v[2:3], off
.LBB38_143:
	s_mov_b32 s19, -1
.LBB38_144:
	s_mov_b32 s21, 0
	s_mov_b32 s0, 0
	s_and_not1_b32 vcc_lo, exec_lo, s19
	s_mov_b32 s19, 0
	s_mov_b32 s24, 0
	s_cbranch_vccnz .LBB38_393
; %bb.145:
	s_wait_xcnt 0x0
	v_mul_lo_u32 v2, v18, s5
	s_and_b32 s0, s7, 0xff
	s_delay_alu instid0(SALU_CYCLE_1) | instskip(NEXT) | instid1(VALU_DEP_1)
	s_cmp_lt_i32 s0, 11
	v_ashrrev_i32_e32 v3, 31, v2
	s_delay_alu instid0(VALU_DEP_1)
	v_add_nc_u64_e32 v[2:3], s[10:11], v[2:3]
	s_cbranch_scc1 .LBB38_152
; %bb.146:
	s_and_b32 s17, 0xffff, s0
	s_delay_alu instid0(SALU_CYCLE_1)
	s_cmp_gt_i32 s17, 25
	s_cbranch_scc0 .LBB38_153
; %bb.147:
	s_cmp_gt_i32 s17, 28
	s_cbranch_scc0 .LBB38_154
; %bb.148:
	;; [unrolled: 3-line block ×4, first 2 shown]
	s_cmp_eq_u32 s17, 46
	s_mov_b32 s25, 0
	s_cbranch_scc0 .LBB38_157
; %bb.151:
	s_wait_loadcnt 0x0
	global_load_b32 v1, v[2:3], off
	s_mov_b32 s24, -1
	s_wait_loadcnt 0x0
	v_lshlrev_b32_e32 v1, 16, v1
	s_delay_alu instid0(VALU_DEP_1)
	v_cvt_i32_f32_e32 v4, v1
	s_branch .LBB38_159
.LBB38_152:
	s_mov_b32 s17, -1
                                        ; implicit-def: $vgpr4
	s_branch .LBB38_220
.LBB38_153:
	s_mov_b32 s25, -1
                                        ; implicit-def: $vgpr4
	s_branch .LBB38_186
.LBB38_154:
	s_mov_b32 s25, -1
                                        ; implicit-def: $vgpr4
	s_branch .LBB38_169
.LBB38_155:
	s_mov_b32 s25, -1
                                        ; implicit-def: $vgpr4
	s_branch .LBB38_164
.LBB38_156:
	s_mov_b32 s25, -1
	s_branch .LBB38_158
.LBB38_157:
	s_mov_b32 s19, -1
.LBB38_158:
                                        ; implicit-def: $vgpr4
.LBB38_159:
	s_and_b32 vcc_lo, exec_lo, s25
	s_cbranch_vccz .LBB38_163
; %bb.160:
	s_cmp_eq_u32 s17, 44
	s_cbranch_scc0 .LBB38_162
; %bb.161:
	s_wait_loadcnt 0x0
	global_load_u8 v1, v[2:3], off
	s_mov_b32 s19, 0
	s_mov_b32 s24, -1
	s_wait_loadcnt 0x0
	v_lshlrev_b32_e32 v4, 23, v1
	v_cmp_ne_u32_e32 vcc_lo, 0, v1
	s_delay_alu instid0(VALU_DEP_2) | instskip(NEXT) | instid1(VALU_DEP_1)
	v_cvt_i32_f32_e32 v4, v4
	v_cndmask_b32_e32 v4, 0, v4, vcc_lo
	s_branch .LBB38_163
.LBB38_162:
	s_mov_b32 s19, -1
                                        ; implicit-def: $vgpr4
.LBB38_163:
	s_mov_b32 s25, 0
.LBB38_164:
	s_delay_alu instid0(SALU_CYCLE_1)
	s_and_b32 vcc_lo, exec_lo, s25
	s_cbranch_vccz .LBB38_168
; %bb.165:
	s_cmp_eq_u32 s17, 29
	s_cbranch_scc0 .LBB38_167
; %bb.166:
	global_load_b64 v[4:5], v[2:3], off
	s_mov_b32 s24, -1
	s_mov_b32 s19, 0
	s_branch .LBB38_168
.LBB38_167:
	s_mov_b32 s19, -1
                                        ; implicit-def: $vgpr4
.LBB38_168:
	s_mov_b32 s25, 0
.LBB38_169:
	s_delay_alu instid0(SALU_CYCLE_1)
	s_and_b32 vcc_lo, exec_lo, s25
	s_cbranch_vccz .LBB38_185
; %bb.170:
	s_cmp_lt_i32 s17, 27
	s_cbranch_scc1 .LBB38_173
; %bb.171:
	s_cmp_gt_i32 s17, 27
	s_cbranch_scc0 .LBB38_174
; %bb.172:
	s_wait_loadcnt 0x0
	global_load_b32 v4, v[2:3], off
	s_mov_b32 s24, 0
	s_branch .LBB38_175
.LBB38_173:
	s_mov_b32 s24, -1
                                        ; implicit-def: $vgpr4
	s_branch .LBB38_178
.LBB38_174:
	s_mov_b32 s24, -1
                                        ; implicit-def: $vgpr4
.LBB38_175:
	s_delay_alu instid0(SALU_CYCLE_1)
	s_and_not1_b32 vcc_lo, exec_lo, s24
	s_cbranch_vccnz .LBB38_177
; %bb.176:
	s_wait_loadcnt 0x0
	global_load_u16 v4, v[2:3], off
.LBB38_177:
	s_mov_b32 s24, 0
.LBB38_178:
	s_delay_alu instid0(SALU_CYCLE_1)
	s_and_not1_b32 vcc_lo, exec_lo, s24
	s_cbranch_vccnz .LBB38_184
; %bb.179:
	s_wait_loadcnt 0x0
	global_load_u8 v1, v[2:3], off
	s_mov_b32 s25, 0
	s_mov_b32 s24, exec_lo
	s_wait_loadcnt 0x0
	v_cmpx_lt_i16_e32 0x7f, v1
	s_xor_b32 s24, exec_lo, s24
	s_cbranch_execz .LBB38_196
; %bb.180:
	v_cmp_ne_u16_e32 vcc_lo, 0x80, v1
	s_and_b32 s25, vcc_lo, exec_lo
	s_and_not1_saveexec_b32 s24, s24
	s_cbranch_execnz .LBB38_197
.LBB38_181:
	s_or_b32 exec_lo, exec_lo, s24
	v_mov_b32_e32 v4, 0
	s_and_saveexec_b32 s24, s25
	s_cbranch_execz .LBB38_183
.LBB38_182:
	v_and_b32_e32 v4, 0xffff, v1
	s_delay_alu instid0(VALU_DEP_1) | instskip(SKIP_1) | instid1(VALU_DEP_2)
	v_and_b32_e32 v5, 7, v4
	v_bfe_u32 v8, v4, 3, 4
	v_clz_i32_u32_e32 v6, v5
	s_delay_alu instid0(VALU_DEP_2) | instskip(NEXT) | instid1(VALU_DEP_2)
	v_cmp_eq_u32_e32 vcc_lo, 0, v8
	v_min_u32_e32 v6, 32, v6
	s_delay_alu instid0(VALU_DEP_1) | instskip(NEXT) | instid1(VALU_DEP_1)
	v_subrev_nc_u32_e32 v7, 28, v6
	v_dual_lshlrev_b32 v4, v7, v4 :: v_dual_sub_nc_u32 v6, 29, v6
	s_delay_alu instid0(VALU_DEP_1) | instskip(NEXT) | instid1(VALU_DEP_1)
	v_dual_lshlrev_b32 v1, 24, v1 :: v_dual_bitop2_b32 v4, 7, v4 bitop3:0x40
	v_dual_cndmask_b32 v6, v8, v6, vcc_lo :: v_dual_cndmask_b32 v4, v5, v4, vcc_lo
	s_delay_alu instid0(VALU_DEP_2) | instskip(NEXT) | instid1(VALU_DEP_2)
	v_and_b32_e32 v1, 0x80000000, v1
	v_lshl_add_u32 v5, v6, 23, 0x3b800000
	s_delay_alu instid0(VALU_DEP_3) | instskip(NEXT) | instid1(VALU_DEP_1)
	v_lshlrev_b32_e32 v4, 20, v4
	v_or3_b32 v1, v1, v5, v4
	s_delay_alu instid0(VALU_DEP_1)
	v_cvt_i32_f32_e32 v4, v1
.LBB38_183:
	s_or_b32 exec_lo, exec_lo, s24
.LBB38_184:
	s_mov_b32 s24, -1
.LBB38_185:
	s_mov_b32 s25, 0
.LBB38_186:
	s_delay_alu instid0(SALU_CYCLE_1)
	s_and_b32 vcc_lo, exec_lo, s25
	s_cbranch_vccz .LBB38_219
; %bb.187:
	s_cmp_gt_i32 s17, 22
	s_cbranch_scc0 .LBB38_195
; %bb.188:
	s_cmp_lt_i32 s17, 24
	s_cbranch_scc1 .LBB38_198
; %bb.189:
	s_cmp_gt_i32 s17, 24
	s_cbranch_scc0 .LBB38_199
; %bb.190:
	s_wait_loadcnt 0x0
	global_load_u8 v1, v[2:3], off
	s_mov_b32 s25, 0
	s_mov_b32 s24, exec_lo
	s_wait_loadcnt 0x0
	v_cmpx_lt_i16_e32 0x7f, v1
	s_xor_b32 s24, exec_lo, s24
	s_cbranch_execz .LBB38_211
; %bb.191:
	v_cmp_ne_u16_e32 vcc_lo, 0x80, v1
	s_and_b32 s25, vcc_lo, exec_lo
	s_and_not1_saveexec_b32 s24, s24
	s_cbranch_execnz .LBB38_212
.LBB38_192:
	s_or_b32 exec_lo, exec_lo, s24
	v_mov_b32_e32 v4, 0
	s_and_saveexec_b32 s24, s25
	s_cbranch_execz .LBB38_194
.LBB38_193:
	v_and_b32_e32 v4, 0xffff, v1
	s_delay_alu instid0(VALU_DEP_1) | instskip(SKIP_1) | instid1(VALU_DEP_2)
	v_and_b32_e32 v5, 3, v4
	v_bfe_u32 v8, v4, 2, 5
	v_clz_i32_u32_e32 v6, v5
	s_delay_alu instid0(VALU_DEP_2) | instskip(NEXT) | instid1(VALU_DEP_2)
	v_cmp_eq_u32_e32 vcc_lo, 0, v8
	v_min_u32_e32 v6, 32, v6
	s_delay_alu instid0(VALU_DEP_1) | instskip(NEXT) | instid1(VALU_DEP_1)
	v_subrev_nc_u32_e32 v7, 29, v6
	v_dual_lshlrev_b32 v4, v7, v4 :: v_dual_sub_nc_u32 v6, 30, v6
	s_delay_alu instid0(VALU_DEP_1) | instskip(NEXT) | instid1(VALU_DEP_1)
	v_dual_lshlrev_b32 v1, 24, v1 :: v_dual_bitop2_b32 v4, 3, v4 bitop3:0x40
	v_dual_cndmask_b32 v6, v8, v6, vcc_lo :: v_dual_cndmask_b32 v4, v5, v4, vcc_lo
	s_delay_alu instid0(VALU_DEP_2) | instskip(NEXT) | instid1(VALU_DEP_2)
	v_and_b32_e32 v1, 0x80000000, v1
	v_lshl_add_u32 v5, v6, 23, 0x37800000
	s_delay_alu instid0(VALU_DEP_3) | instskip(NEXT) | instid1(VALU_DEP_1)
	v_lshlrev_b32_e32 v4, 21, v4
	v_or3_b32 v1, v1, v5, v4
	s_delay_alu instid0(VALU_DEP_1)
	v_cvt_i32_f32_e32 v4, v1
.LBB38_194:
	s_or_b32 exec_lo, exec_lo, s24
	s_mov_b32 s24, 0
	s_branch .LBB38_200
.LBB38_195:
	s_mov_b32 s25, -1
                                        ; implicit-def: $vgpr4
	s_branch .LBB38_206
.LBB38_196:
	s_and_not1_saveexec_b32 s24, s24
	s_cbranch_execz .LBB38_181
.LBB38_197:
	v_cmp_ne_u16_e32 vcc_lo, 0, v1
	s_and_not1_b32 s25, s25, exec_lo
	s_and_b32 s26, vcc_lo, exec_lo
	s_delay_alu instid0(SALU_CYCLE_1)
	s_or_b32 s25, s25, s26
	s_or_b32 exec_lo, exec_lo, s24
	v_mov_b32_e32 v4, 0
	s_and_saveexec_b32 s24, s25
	s_cbranch_execnz .LBB38_182
	s_branch .LBB38_183
.LBB38_198:
	s_mov_b32 s24, -1
                                        ; implicit-def: $vgpr4
	s_branch .LBB38_203
.LBB38_199:
	s_mov_b32 s24, -1
                                        ; implicit-def: $vgpr4
.LBB38_200:
	s_delay_alu instid0(SALU_CYCLE_1)
	s_and_b32 vcc_lo, exec_lo, s24
	s_cbranch_vccz .LBB38_202
; %bb.201:
	s_wait_loadcnt 0x0
	global_load_u8 v1, v[2:3], off
	s_wait_loadcnt 0x0
	v_lshlrev_b32_e32 v1, 24, v1
	s_delay_alu instid0(VALU_DEP_1) | instskip(NEXT) | instid1(VALU_DEP_1)
	v_and_b32_e32 v4, 0x7f000000, v1
	v_clz_i32_u32_e32 v5, v4
	v_cmp_ne_u32_e32 vcc_lo, 0, v4
	v_add_nc_u32_e32 v7, 0x1000000, v4
	s_delay_alu instid0(VALU_DEP_3) | instskip(NEXT) | instid1(VALU_DEP_1)
	v_min_u32_e32 v5, 32, v5
	v_sub_nc_u32_e64 v5, v5, 4 clamp
	s_delay_alu instid0(VALU_DEP_1) | instskip(NEXT) | instid1(VALU_DEP_1)
	v_dual_lshlrev_b32 v6, v5, v4 :: v_dual_lshlrev_b32 v5, 23, v5
	v_lshrrev_b32_e32 v6, 4, v6
	s_delay_alu instid0(VALU_DEP_1) | instskip(NEXT) | instid1(VALU_DEP_1)
	v_dual_sub_nc_u32 v5, v6, v5 :: v_dual_ashrrev_i32 v6, 8, v7
	v_add_nc_u32_e32 v5, 0x3c000000, v5
	s_delay_alu instid0(VALU_DEP_1) | instskip(NEXT) | instid1(VALU_DEP_1)
	v_and_or_b32 v5, 0x7f800000, v6, v5
	v_cndmask_b32_e32 v4, 0, v5, vcc_lo
	s_delay_alu instid0(VALU_DEP_1) | instskip(NEXT) | instid1(VALU_DEP_1)
	v_and_or_b32 v1, 0x80000000, v1, v4
	v_cvt_i32_f32_e32 v4, v1
.LBB38_202:
	s_mov_b32 s24, 0
.LBB38_203:
	s_delay_alu instid0(SALU_CYCLE_1)
	s_and_not1_b32 vcc_lo, exec_lo, s24
	s_cbranch_vccnz .LBB38_205
; %bb.204:
	s_wait_loadcnt 0x0
	global_load_u8 v1, v[2:3], off
	s_wait_loadcnt 0x0
	v_lshlrev_b32_e32 v4, 25, v1
	v_lshlrev_b16 v1, 8, v1
	s_delay_alu instid0(VALU_DEP_1) | instskip(SKIP_1) | instid1(VALU_DEP_2)
	v_and_or_b32 v6, 0x7f00, v1, 0.5
	v_bfe_i32 v1, v1, 0, 16
	v_dual_add_f32 v6, -0.5, v6 :: v_dual_lshrrev_b32 v5, 4, v4
	v_cmp_gt_u32_e32 vcc_lo, 0x8000000, v4
	s_delay_alu instid0(VALU_DEP_2) | instskip(NEXT) | instid1(VALU_DEP_1)
	v_or_b32_e32 v5, 0x70000000, v5
	v_mul_f32_e32 v5, 0x7800000, v5
	s_delay_alu instid0(VALU_DEP_1) | instskip(NEXT) | instid1(VALU_DEP_1)
	v_cndmask_b32_e32 v4, v5, v6, vcc_lo
	v_and_or_b32 v1, 0x80000000, v1, v4
	s_delay_alu instid0(VALU_DEP_1)
	v_cvt_i32_f32_e32 v4, v1
.LBB38_205:
	s_mov_b32 s25, 0
	s_mov_b32 s24, -1
.LBB38_206:
	s_and_not1_b32 vcc_lo, exec_lo, s25
	s_cbranch_vccnz .LBB38_219
; %bb.207:
	s_cmp_gt_i32 s17, 14
	s_cbranch_scc0 .LBB38_210
; %bb.208:
	s_cmp_eq_u32 s17, 15
	s_cbranch_scc0 .LBB38_213
; %bb.209:
	s_wait_loadcnt 0x0
	global_load_u16 v1, v[2:3], off
	s_mov_b32 s24, -1
	s_mov_b32 s19, 0
	s_wait_loadcnt 0x0
	v_lshlrev_b32_e32 v1, 16, v1
	s_delay_alu instid0(VALU_DEP_1)
	v_cvt_i32_f32_e32 v4, v1
	s_branch .LBB38_214
.LBB38_210:
	s_mov_b32 s25, -1
                                        ; implicit-def: $vgpr4
	s_branch .LBB38_215
.LBB38_211:
	s_and_not1_saveexec_b32 s24, s24
	s_cbranch_execz .LBB38_192
.LBB38_212:
	v_cmp_ne_u16_e32 vcc_lo, 0, v1
	s_and_not1_b32 s25, s25, exec_lo
	s_and_b32 s26, vcc_lo, exec_lo
	s_delay_alu instid0(SALU_CYCLE_1)
	s_or_b32 s25, s25, s26
	s_or_b32 exec_lo, exec_lo, s24
	v_mov_b32_e32 v4, 0
	s_and_saveexec_b32 s24, s25
	s_cbranch_execnz .LBB38_193
	s_branch .LBB38_194
.LBB38_213:
	s_mov_b32 s19, -1
                                        ; implicit-def: $vgpr4
.LBB38_214:
	s_mov_b32 s25, 0
.LBB38_215:
	s_delay_alu instid0(SALU_CYCLE_1)
	s_and_b32 vcc_lo, exec_lo, s25
	s_cbranch_vccz .LBB38_219
; %bb.216:
	s_cmp_eq_u32 s17, 11
	s_cbranch_scc0 .LBB38_218
; %bb.217:
	s_wait_loadcnt 0x0
	global_load_u8 v1, v[2:3], off
	s_mov_b32 s19, 0
	s_mov_b32 s24, -1
	s_wait_loadcnt 0x0
	v_cmp_ne_u16_e32 vcc_lo, 0, v1
	v_cndmask_b32_e64 v4, 0, 1, vcc_lo
	s_branch .LBB38_219
.LBB38_218:
	s_mov_b32 s19, -1
                                        ; implicit-def: $vgpr4
.LBB38_219:
	s_mov_b32 s17, 0
.LBB38_220:
	s_delay_alu instid0(SALU_CYCLE_1)
	s_and_b32 vcc_lo, exec_lo, s17
	s_cbranch_vccz .LBB38_269
; %bb.221:
	s_and_b32 s0, 0xffff, s0
	s_delay_alu instid0(SALU_CYCLE_1)
	s_cmp_lt_i32 s0, 5
	s_cbranch_scc1 .LBB38_226
; %bb.222:
	s_cmp_lt_i32 s0, 8
	s_cbranch_scc1 .LBB38_227
; %bb.223:
	;; [unrolled: 3-line block ×3, first 2 shown]
	s_cmp_gt_i32 s0, 9
	s_cbranch_scc0 .LBB38_229
; %bb.225:
	s_wait_loadcnt 0x0
	global_load_b64 v[4:5], v[2:3], off
	s_mov_b32 s17, 0
	s_wait_loadcnt 0x0
	v_cvt_i32_f64_e32 v4, v[4:5]
	s_branch .LBB38_230
.LBB38_226:
	s_mov_b32 s17, -1
                                        ; implicit-def: $vgpr4
	s_branch .LBB38_248
.LBB38_227:
	s_mov_b32 s17, -1
                                        ; implicit-def: $vgpr4
	s_branch .LBB38_236
.LBB38_228:
	s_mov_b32 s17, -1
                                        ; implicit-def: $vgpr4
	s_branch .LBB38_233
.LBB38_229:
	s_mov_b32 s17, -1
                                        ; implicit-def: $vgpr4
.LBB38_230:
	s_delay_alu instid0(SALU_CYCLE_1)
	s_and_not1_b32 vcc_lo, exec_lo, s17
	s_cbranch_vccnz .LBB38_232
; %bb.231:
	s_wait_loadcnt 0x0
	global_load_b32 v1, v[2:3], off
	s_wait_loadcnt 0x0
	v_cvt_i32_f32_e32 v4, v1
.LBB38_232:
	s_mov_b32 s17, 0
.LBB38_233:
	s_delay_alu instid0(SALU_CYCLE_1)
	s_and_not1_b32 vcc_lo, exec_lo, s17
	s_cbranch_vccnz .LBB38_235
; %bb.234:
	s_wait_loadcnt 0x0
	global_load_b32 v1, v[2:3], off
	s_wait_loadcnt 0x0
	v_cvt_i16_f16_e32 v4, v1
.LBB38_235:
	s_mov_b32 s17, 0
.LBB38_236:
	s_delay_alu instid0(SALU_CYCLE_1)
	s_and_not1_b32 vcc_lo, exec_lo, s17
	s_cbranch_vccnz .LBB38_247
; %bb.237:
	s_cmp_lt_i32 s0, 6
	s_cbranch_scc1 .LBB38_240
; %bb.238:
	s_cmp_gt_i32 s0, 6
	s_cbranch_scc0 .LBB38_241
; %bb.239:
	s_wait_loadcnt 0x0
	global_load_b64 v[4:5], v[2:3], off
	s_mov_b32 s17, 0
	s_wait_loadcnt 0x0
	v_cvt_i32_f64_e32 v4, v[4:5]
	s_branch .LBB38_242
.LBB38_240:
	s_mov_b32 s17, -1
                                        ; implicit-def: $vgpr4
	s_branch .LBB38_245
.LBB38_241:
	s_mov_b32 s17, -1
                                        ; implicit-def: $vgpr4
.LBB38_242:
	s_delay_alu instid0(SALU_CYCLE_1)
	s_and_not1_b32 vcc_lo, exec_lo, s17
	s_cbranch_vccnz .LBB38_244
; %bb.243:
	s_wait_loadcnt 0x0
	global_load_b32 v1, v[2:3], off
	s_wait_loadcnt 0x0
	v_cvt_i32_f32_e32 v4, v1
.LBB38_244:
	s_mov_b32 s17, 0
.LBB38_245:
	s_delay_alu instid0(SALU_CYCLE_1)
	s_and_not1_b32 vcc_lo, exec_lo, s17
	s_cbranch_vccnz .LBB38_247
; %bb.246:
	s_wait_loadcnt 0x0
	global_load_u16 v1, v[2:3], off
	s_wait_loadcnt 0x0
	v_cvt_i16_f16_e32 v4, v1
.LBB38_247:
	s_mov_b32 s17, 0
.LBB38_248:
	s_delay_alu instid0(SALU_CYCLE_1)
	s_and_not1_b32 vcc_lo, exec_lo, s17
	s_cbranch_vccnz .LBB38_268
; %bb.249:
	s_cmp_lt_i32 s0, 2
	s_cbranch_scc1 .LBB38_253
; %bb.250:
	s_cmp_lt_i32 s0, 3
	s_cbranch_scc1 .LBB38_254
; %bb.251:
	s_cmp_gt_i32 s0, 3
	s_cbranch_scc0 .LBB38_255
; %bb.252:
	s_wait_loadcnt 0x0
	global_load_b64 v[4:5], v[2:3], off
	s_mov_b32 s17, 0
	s_branch .LBB38_256
.LBB38_253:
	s_mov_b32 s17, -1
                                        ; implicit-def: $vgpr4
	s_branch .LBB38_262
.LBB38_254:
	s_mov_b32 s17, -1
                                        ; implicit-def: $vgpr4
	s_branch .LBB38_259
.LBB38_255:
	s_mov_b32 s17, -1
                                        ; implicit-def: $vgpr4
.LBB38_256:
	s_delay_alu instid0(SALU_CYCLE_1)
	s_and_not1_b32 vcc_lo, exec_lo, s17
	s_cbranch_vccnz .LBB38_258
; %bb.257:
	s_wait_loadcnt 0x0
	global_load_b32 v4, v[2:3], off
.LBB38_258:
	s_mov_b32 s17, 0
.LBB38_259:
	s_delay_alu instid0(SALU_CYCLE_1)
	s_and_not1_b32 vcc_lo, exec_lo, s17
	s_cbranch_vccnz .LBB38_261
; %bb.260:
	s_wait_loadcnt 0x0
	global_load_u16 v4, v[2:3], off
.LBB38_261:
	s_mov_b32 s17, 0
.LBB38_262:
	s_delay_alu instid0(SALU_CYCLE_1)
	s_and_not1_b32 vcc_lo, exec_lo, s17
	s_cbranch_vccnz .LBB38_268
; %bb.263:
	s_cmp_gt_i32 s0, 0
	s_mov_b32 s0, 0
	s_cbranch_scc0 .LBB38_265
; %bb.264:
	s_wait_loadcnt 0x0
	global_load_u8 v4, v[2:3], off
	s_branch .LBB38_266
.LBB38_265:
	s_mov_b32 s0, -1
                                        ; implicit-def: $vgpr4
.LBB38_266:
	s_delay_alu instid0(SALU_CYCLE_1)
	s_and_not1_b32 vcc_lo, exec_lo, s0
	s_cbranch_vccnz .LBB38_268
; %bb.267:
	s_wait_loadcnt 0x0
	global_load_u8 v4, v[2:3], off
.LBB38_268:
	s_mov_b32 s24, -1
.LBB38_269:
	s_delay_alu instid0(SALU_CYCLE_1)
	s_and_not1_b32 vcc_lo, exec_lo, s24
	s_cbranch_vccnz .LBB38_277
; %bb.270:
	s_wait_xcnt 0x0
	v_mul_lo_u32 v2, v18, s14
	s_wait_loadcnt 0x0
	v_mul_lo_u16 v5, v0, s6
	s_and_b32 s17, s1, 0xff
	s_delay_alu instid0(SALU_CYCLE_1) | instskip(NEXT) | instid1(VALU_DEP_2)
	s_cmp_lt_i32 s17, 11
	v_ashrrev_i32_e32 v3, 31, v2
	s_delay_alu instid0(VALU_DEP_1)
	v_add_nc_u64_e32 v[0:1], s[2:3], v[2:3]
	v_mul_lo_u16 v2, v5, v4
	s_cbranch_scc1 .LBB38_278
; %bb.271:
	s_and_b32 s24, 0xffff, s17
	s_delay_alu instid0(SALU_CYCLE_1)
	s_cmp_gt_i32 s24, 25
	s_cbranch_scc0 .LBB38_279
; %bb.272:
	s_cmp_gt_i32 s24, 28
	s_cbranch_scc0 .LBB38_280
; %bb.273:
	s_cmp_gt_i32 s24, 43
	s_cbranch_scc0 .LBB38_281
; %bb.274:
	s_cmp_gt_i32 s24, 45
	s_cbranch_scc0 .LBB38_282
; %bb.275:
	s_mov_b32 s26, 0
	s_mov_b32 s0, -1
	s_cmp_eq_u32 s24, 46
	s_mov_b32 s25, 0
	s_cbranch_scc0 .LBB38_283
; %bb.276:
	v_bfe_i32 v3, v2, 0, 8
	s_mov_b32 s25, -1
	s_mov_b32 s0, 0
	s_delay_alu instid0(VALU_DEP_1) | instskip(NEXT) | instid1(VALU_DEP_1)
	v_bfe_i32 v3, v3, 0, 16
	v_cvt_f32_i32_e32 v3, v3
	s_delay_alu instid0(VALU_DEP_1) | instskip(NEXT) | instid1(VALU_DEP_1)
	v_bfe_u32 v4, v3, 16, 1
	v_add3_u32 v3, v3, v4, 0x7fff
	s_delay_alu instid0(VALU_DEP_1)
	v_lshrrev_b32_e32 v3, 16, v3
	global_store_b32 v[0:1], v3, off
	s_branch .LBB38_283
.LBB38_277:
	s_mov_b32 s0, 0
	s_mov_b32 s24, 0
                                        ; implicit-def: $vgpr18
	s_branch .LBB38_393
.LBB38_278:
	s_mov_b32 s24, -1
	s_mov_b32 s0, 0
	s_mov_b32 s25, 0
	s_branch .LBB38_352
.LBB38_279:
	s_mov_b32 s26, -1
	s_mov_b32 s0, 0
	s_mov_b32 s25, 0
	s_branch .LBB38_310
.LBB38_280:
	s_mov_b32 s26, -1
	s_mov_b32 s0, 0
	s_mov_b32 s25, 0
	s_branch .LBB38_293
.LBB38_281:
	s_mov_b32 s26, -1
	s_mov_b32 s0, 0
	s_mov_b32 s25, 0
	s_branch .LBB38_289
.LBB38_282:
	s_mov_b32 s26, -1
	s_mov_b32 s0, 0
	s_mov_b32 s25, 0
.LBB38_283:
	s_and_b32 vcc_lo, exec_lo, s26
	s_cbranch_vccz .LBB38_288
; %bb.284:
	s_cmp_eq_u32 s24, 44
	s_mov_b32 s0, -1
	s_cbranch_scc0 .LBB38_288
; %bb.285:
	s_wait_xcnt 0x0
	v_bfe_i32 v3, v2, 0, 8
	v_mov_b32_e32 v4, 0xff
	s_mov_b32 s25, exec_lo
	s_delay_alu instid0(VALU_DEP_2) | instskip(NEXT) | instid1(VALU_DEP_1)
	v_bfe_i32 v3, v3, 0, 16
	v_cvt_f32_i32_e32 v3, v3
	s_delay_alu instid0(VALU_DEP_1) | instskip(NEXT) | instid1(VALU_DEP_1)
	v_bfe_u32 v5, v3, 23, 8
	v_cmpx_ne_u32_e32 0xff, v5
	s_cbranch_execz .LBB38_287
; %bb.286:
	v_and_b32_e32 v4, 0x400000, v3
	v_and_or_b32 v5, 0x3fffff, v3, v5
	v_lshrrev_b32_e32 v3, 23, v3
	s_delay_alu instid0(VALU_DEP_3) | instskip(NEXT) | instid1(VALU_DEP_3)
	v_cmp_ne_u32_e32 vcc_lo, 0, v4
	v_cmp_ne_u32_e64 s0, 0, v5
	s_and_b32 s0, vcc_lo, s0
	s_delay_alu instid0(SALU_CYCLE_1) | instskip(NEXT) | instid1(VALU_DEP_1)
	v_cndmask_b32_e64 v4, 0, 1, s0
	v_add_nc_u32_e32 v4, v3, v4
.LBB38_287:
	s_or_b32 exec_lo, exec_lo, s25
	s_mov_b32 s25, -1
	s_mov_b32 s0, 0
	global_store_b8 v[0:1], v4, off
.LBB38_288:
	s_mov_b32 s26, 0
.LBB38_289:
	s_delay_alu instid0(SALU_CYCLE_1)
	s_and_b32 vcc_lo, exec_lo, s26
	s_cbranch_vccz .LBB38_292
; %bb.290:
	s_cmp_eq_u32 s24, 29
	s_mov_b32 s0, -1
	s_cbranch_scc0 .LBB38_292
; %bb.291:
	s_wait_xcnt 0x0
	v_bfe_i32 v4, v2, 0, 8
	s_mov_b32 s25, -1
	s_mov_b32 s0, 0
	s_mov_b32 s26, 0
	s_delay_alu instid0(VALU_DEP_1)
	v_ashrrev_i32_e32 v5, 31, v4
	global_store_b64 v[0:1], v[4:5], off
	s_branch .LBB38_293
.LBB38_292:
	s_mov_b32 s26, 0
.LBB38_293:
	s_delay_alu instid0(SALU_CYCLE_1)
	s_and_b32 vcc_lo, exec_lo, s26
	s_cbranch_vccz .LBB38_309
; %bb.294:
	s_cmp_lt_i32 s24, 27
	s_mov_b32 s25, -1
	s_cbranch_scc1 .LBB38_300
; %bb.295:
	s_cmp_gt_i32 s24, 27
	s_cbranch_scc0 .LBB38_297
; %bb.296:
	s_wait_xcnt 0x0
	v_bfe_i32 v3, v2, 0, 8
	s_mov_b32 s25, 0
	global_store_b32 v[0:1], v3, off
.LBB38_297:
	s_and_not1_b32 vcc_lo, exec_lo, s25
	s_cbranch_vccnz .LBB38_299
; %bb.298:
	s_wait_xcnt 0x0
	v_bfe_i32 v3, v2, 0, 8
	global_store_b16 v[0:1], v3, off
.LBB38_299:
	s_mov_b32 s25, 0
.LBB38_300:
	s_delay_alu instid0(SALU_CYCLE_1)
	s_and_not1_b32 vcc_lo, exec_lo, s25
	s_cbranch_vccnz .LBB38_308
; %bb.301:
	s_wait_xcnt 0x0
	v_bfe_i32 v3, v2, 0, 8
	v_mov_b32_e32 v5, 0x80
	s_mov_b32 s25, exec_lo
	s_delay_alu instid0(VALU_DEP_2) | instskip(NEXT) | instid1(VALU_DEP_1)
	v_bfe_i32 v3, v3, 0, 16
	v_cvt_f32_i32_e32 v3, v3
	s_delay_alu instid0(VALU_DEP_1) | instskip(NEXT) | instid1(VALU_DEP_1)
	v_and_b32_e32 v4, 0x7fffffff, v3
	v_cmpx_gt_u32_e32 0x43800000, v4
	s_cbranch_execz .LBB38_307
; %bb.302:
	v_cmp_lt_u32_e32 vcc_lo, 0x3bffffff, v4
	s_mov_b32 s26, 0
                                        ; implicit-def: $vgpr4
	s_and_saveexec_b32 s27, vcc_lo
	s_delay_alu instid0(SALU_CYCLE_1)
	s_xor_b32 s27, exec_lo, s27
	s_cbranch_execz .LBB38_428
; %bb.303:
	v_bfe_u32 v4, v3, 20, 1
	s_mov_b32 s26, exec_lo
	s_delay_alu instid0(VALU_DEP_1) | instskip(NEXT) | instid1(VALU_DEP_1)
	v_add3_u32 v4, v3, v4, 0x487ffff
	v_lshrrev_b32_e32 v4, 20, v4
	s_and_not1_saveexec_b32 s27, s27
	s_cbranch_execnz .LBB38_429
.LBB38_304:
	s_or_b32 exec_lo, exec_lo, s27
	v_mov_b32_e32 v5, 0
	s_and_saveexec_b32 s27, s26
.LBB38_305:
	v_lshrrev_b32_e32 v3, 24, v3
	s_delay_alu instid0(VALU_DEP_1)
	v_and_or_b32 v5, 0x80, v3, v4
.LBB38_306:
	s_or_b32 exec_lo, exec_lo, s27
.LBB38_307:
	s_delay_alu instid0(SALU_CYCLE_1)
	s_or_b32 exec_lo, exec_lo, s25
	global_store_b8 v[0:1], v5, off
.LBB38_308:
	s_mov_b32 s25, -1
.LBB38_309:
	s_mov_b32 s26, 0
.LBB38_310:
	s_delay_alu instid0(SALU_CYCLE_1)
	s_and_b32 vcc_lo, exec_lo, s26
	s_cbranch_vccz .LBB38_351
; %bb.311:
	s_cmp_gt_i32 s24, 22
	s_mov_b32 s26, -1
	s_cbranch_scc0 .LBB38_343
; %bb.312:
	s_cmp_lt_i32 s24, 24
	s_mov_b32 s25, -1
	s_cbranch_scc1 .LBB38_332
; %bb.313:
	s_cmp_gt_i32 s24, 24
	s_cbranch_scc0 .LBB38_321
; %bb.314:
	s_wait_xcnt 0x0
	v_bfe_i32 v3, v2, 0, 8
	v_mov_b32_e32 v5, 0x80
	s_mov_b32 s25, exec_lo
	s_delay_alu instid0(VALU_DEP_2) | instskip(NEXT) | instid1(VALU_DEP_1)
	v_bfe_i32 v3, v3, 0, 16
	v_cvt_f32_i32_e32 v3, v3
	s_delay_alu instid0(VALU_DEP_1) | instskip(NEXT) | instid1(VALU_DEP_1)
	v_and_b32_e32 v4, 0x7fffffff, v3
	v_cmpx_gt_u32_e32 0x47800000, v4
	s_cbranch_execz .LBB38_320
; %bb.315:
	v_cmp_lt_u32_e32 vcc_lo, 0x37ffffff, v4
	s_mov_b32 s26, 0
                                        ; implicit-def: $vgpr4
	s_and_saveexec_b32 s27, vcc_lo
	s_delay_alu instid0(SALU_CYCLE_1)
	s_xor_b32 s27, exec_lo, s27
	s_cbranch_execz .LBB38_555
; %bb.316:
	v_bfe_u32 v4, v3, 21, 1
	s_mov_b32 s26, exec_lo
	s_delay_alu instid0(VALU_DEP_1) | instskip(NEXT) | instid1(VALU_DEP_1)
	v_add3_u32 v4, v3, v4, 0x88fffff
	v_lshrrev_b32_e32 v4, 21, v4
	s_and_not1_saveexec_b32 s27, s27
	s_cbranch_execnz .LBB38_556
.LBB38_317:
	s_or_b32 exec_lo, exec_lo, s27
	v_mov_b32_e32 v5, 0
	s_and_saveexec_b32 s27, s26
.LBB38_318:
	v_lshrrev_b32_e32 v3, 24, v3
	s_delay_alu instid0(VALU_DEP_1)
	v_and_or_b32 v5, 0x80, v3, v4
.LBB38_319:
	s_or_b32 exec_lo, exec_lo, s27
.LBB38_320:
	s_delay_alu instid0(SALU_CYCLE_1)
	s_or_b32 exec_lo, exec_lo, s25
	s_mov_b32 s25, 0
	global_store_b8 v[0:1], v5, off
.LBB38_321:
	s_and_b32 vcc_lo, exec_lo, s25
	s_cbranch_vccz .LBB38_331
; %bb.322:
	s_wait_xcnt 0x0
	v_bfe_i32 v3, v2, 0, 8
	s_mov_b32 s25, exec_lo
                                        ; implicit-def: $vgpr4
	s_delay_alu instid0(VALU_DEP_1) | instskip(NEXT) | instid1(VALU_DEP_1)
	v_bfe_i32 v3, v3, 0, 16
	v_cvt_f32_i32_e32 v3, v3
	s_delay_alu instid0(VALU_DEP_1) | instskip(NEXT) | instid1(VALU_DEP_1)
	v_and_b32_e32 v5, 0x7fffffff, v3
	v_cmpx_gt_u32_e32 0x43f00000, v5
	s_xor_b32 s25, exec_lo, s25
	s_cbranch_execz .LBB38_328
; %bb.323:
	s_mov_b32 s26, exec_lo
                                        ; implicit-def: $vgpr4
	v_cmpx_lt_u32_e32 0x3c7fffff, v5
	s_xor_b32 s26, exec_lo, s26
; %bb.324:
	v_bfe_u32 v4, v3, 20, 1
	s_delay_alu instid0(VALU_DEP_1) | instskip(NEXT) | instid1(VALU_DEP_1)
	v_add3_u32 v4, v3, v4, 0x407ffff
	v_and_b32_e32 v5, 0xff00000, v4
	v_lshrrev_b32_e32 v4, 20, v4
	s_delay_alu instid0(VALU_DEP_2) | instskip(NEXT) | instid1(VALU_DEP_2)
	v_cmp_ne_u32_e32 vcc_lo, 0x7f00000, v5
	v_cndmask_b32_e32 v4, 0x7e, v4, vcc_lo
; %bb.325:
	s_and_not1_saveexec_b32 s26, s26
; %bb.326:
	v_add_f32_e64 v4, 0x46800000, |v3|
; %bb.327:
	s_or_b32 exec_lo, exec_lo, s26
                                        ; implicit-def: $vgpr5
.LBB38_328:
	s_and_not1_saveexec_b32 s25, s25
; %bb.329:
	v_mov_b32_e32 v4, 0x7f
	v_cmp_lt_u32_e32 vcc_lo, 0x7f800000, v5
	s_delay_alu instid0(VALU_DEP_2)
	v_cndmask_b32_e32 v4, 0x7e, v4, vcc_lo
; %bb.330:
	s_or_b32 exec_lo, exec_lo, s25
	v_lshrrev_b32_e32 v3, 24, v3
	s_delay_alu instid0(VALU_DEP_1)
	v_and_or_b32 v3, 0x80, v3, v4
	global_store_b8 v[0:1], v3, off
.LBB38_331:
	s_mov_b32 s25, 0
.LBB38_332:
	s_delay_alu instid0(SALU_CYCLE_1)
	s_and_not1_b32 vcc_lo, exec_lo, s25
	s_cbranch_vccnz .LBB38_342
; %bb.333:
	s_wait_xcnt 0x0
	v_bfe_i32 v3, v2, 0, 8
	s_mov_b32 s25, exec_lo
                                        ; implicit-def: $vgpr4
	s_delay_alu instid0(VALU_DEP_1) | instskip(NEXT) | instid1(VALU_DEP_1)
	v_bfe_i32 v3, v3, 0, 16
	v_cvt_f32_i32_e32 v3, v3
	s_delay_alu instid0(VALU_DEP_1) | instskip(NEXT) | instid1(VALU_DEP_1)
	v_and_b32_e32 v5, 0x7fffffff, v3
	v_cmpx_gt_u32_e32 0x47800000, v5
	s_xor_b32 s25, exec_lo, s25
	s_cbranch_execz .LBB38_339
; %bb.334:
	s_mov_b32 s26, exec_lo
                                        ; implicit-def: $vgpr4
	v_cmpx_lt_u32_e32 0x387fffff, v5
	s_xor_b32 s26, exec_lo, s26
; %bb.335:
	v_bfe_u32 v4, v3, 21, 1
	s_delay_alu instid0(VALU_DEP_1) | instskip(NEXT) | instid1(VALU_DEP_1)
	v_add3_u32 v4, v3, v4, 0x80fffff
	v_lshrrev_b32_e32 v4, 21, v4
; %bb.336:
	s_and_not1_saveexec_b32 s26, s26
; %bb.337:
	v_add_f32_e64 v4, 0x43000000, |v3|
; %bb.338:
	s_or_b32 exec_lo, exec_lo, s26
                                        ; implicit-def: $vgpr5
.LBB38_339:
	s_and_not1_saveexec_b32 s25, s25
; %bb.340:
	v_mov_b32_e32 v4, 0x7f
	v_cmp_lt_u32_e32 vcc_lo, 0x7f800000, v5
	s_delay_alu instid0(VALU_DEP_2)
	v_cndmask_b32_e32 v4, 0x7c, v4, vcc_lo
; %bb.341:
	s_or_b32 exec_lo, exec_lo, s25
	v_lshrrev_b32_e32 v3, 24, v3
	s_delay_alu instid0(VALU_DEP_1)
	v_and_or_b32 v3, 0x80, v3, v4
	global_store_b8 v[0:1], v3, off
.LBB38_342:
	s_mov_b32 s26, 0
	s_mov_b32 s25, -1
.LBB38_343:
	s_and_not1_b32 vcc_lo, exec_lo, s26
	s_cbranch_vccnz .LBB38_351
; %bb.344:
	s_cmp_gt_i32 s24, 14
	s_mov_b32 s26, -1
	s_cbranch_scc0 .LBB38_348
; %bb.345:
	s_cmp_eq_u32 s24, 15
	s_mov_b32 s0, -1
	s_cbranch_scc0 .LBB38_347
; %bb.346:
	s_wait_xcnt 0x0
	v_bfe_i32 v3, v2, 0, 8
	s_mov_b32 s25, -1
	s_mov_b32 s0, 0
	s_delay_alu instid0(VALU_DEP_1) | instskip(NEXT) | instid1(VALU_DEP_1)
	v_bfe_i32 v3, v3, 0, 16
	v_cvt_f32_i32_e32 v3, v3
	s_delay_alu instid0(VALU_DEP_1) | instskip(NEXT) | instid1(VALU_DEP_1)
	v_bfe_u32 v4, v3, 16, 1
	v_add3_u32 v3, v3, v4, 0x7fff
	global_store_d16_hi_b16 v[0:1], v3, off
.LBB38_347:
	s_mov_b32 s26, 0
.LBB38_348:
	s_delay_alu instid0(SALU_CYCLE_1)
	s_and_b32 vcc_lo, exec_lo, s26
	s_cbranch_vccz .LBB38_351
; %bb.349:
	s_cmp_eq_u32 s24, 11
	s_mov_b32 s0, -1
	s_cbranch_scc0 .LBB38_351
; %bb.350:
	s_wait_xcnt 0x0
	v_and_b32_e32 v3, 0xff, v2
	s_mov_b32 s0, 0
	s_mov_b32 s25, -1
	s_delay_alu instid0(VALU_DEP_1)
	v_cmp_ne_u16_e32 vcc_lo, 0, v3
	v_cndmask_b32_e64 v3, 0, 1, vcc_lo
	global_store_b8 v[0:1], v3, off
.LBB38_351:
	s_mov_b32 s24, 0
.LBB38_352:
	s_delay_alu instid0(SALU_CYCLE_1)
	s_and_b32 vcc_lo, exec_lo, s24
	s_cbranch_vccz .LBB38_391
; %bb.353:
	s_and_b32 s17, 0xffff, s17
	s_mov_b32 s24, -1
	s_cmp_lt_i32 s17, 5
	s_cbranch_scc1 .LBB38_374
; %bb.354:
	s_cmp_lt_i32 s17, 8
	s_cbranch_scc1 .LBB38_364
; %bb.355:
	;; [unrolled: 3-line block ×3, first 2 shown]
	s_cmp_gt_i32 s17, 9
	s_cbranch_scc0 .LBB38_358
; %bb.357:
	s_wait_xcnt 0x0
	v_bfe_i32 v3, v2, 0, 8
	v_mov_b32_e32 v6, 0
	s_mov_b32 s24, 0
	s_delay_alu instid0(VALU_DEP_2) | instskip(NEXT) | instid1(VALU_DEP_2)
	v_bfe_i32 v3, v3, 0, 16
	v_mov_b32_e32 v7, v6
	s_delay_alu instid0(VALU_DEP_2)
	v_cvt_f64_i32_e32 v[4:5], v3
	global_store_b128 v[0:1], v[4:7], off
.LBB38_358:
	s_and_not1_b32 vcc_lo, exec_lo, s24
	s_cbranch_vccnz .LBB38_360
; %bb.359:
	s_wait_xcnt 0x0
	v_bfe_i32 v3, v2, 0, 8
	v_mov_b32_e32 v5, 0
	s_delay_alu instid0(VALU_DEP_2) | instskip(NEXT) | instid1(VALU_DEP_1)
	v_bfe_i32 v3, v3, 0, 16
	v_cvt_f32_i32_e32 v4, v3
	global_store_b64 v[0:1], v[4:5], off
.LBB38_360:
	s_mov_b32 s24, 0
.LBB38_361:
	s_delay_alu instid0(SALU_CYCLE_1)
	s_and_not1_b32 vcc_lo, exec_lo, s24
	s_cbranch_vccnz .LBB38_363
; %bb.362:
	s_wait_xcnt 0x0
	v_bfe_i32 v3, v2, 0, 8
	s_delay_alu instid0(VALU_DEP_1) | instskip(NEXT) | instid1(VALU_DEP_1)
	v_cvt_f16_i16_e32 v3, v3
	v_and_b32_e32 v3, 0xffff, v3
	global_store_b32 v[0:1], v3, off
.LBB38_363:
	s_mov_b32 s24, 0
.LBB38_364:
	s_delay_alu instid0(SALU_CYCLE_1)
	s_and_not1_b32 vcc_lo, exec_lo, s24
	s_cbranch_vccnz .LBB38_373
; %bb.365:
	s_cmp_lt_i32 s17, 6
	s_mov_b32 s24, -1
	s_cbranch_scc1 .LBB38_371
; %bb.366:
	s_cmp_gt_i32 s17, 6
	s_cbranch_scc0 .LBB38_368
; %bb.367:
	s_wait_xcnt 0x0
	v_bfe_i32 v3, v2, 0, 8
	s_mov_b32 s24, 0
	s_delay_alu instid0(VALU_DEP_1) | instskip(NEXT) | instid1(VALU_DEP_1)
	v_bfe_i32 v3, v3, 0, 16
	v_cvt_f64_i32_e32 v[4:5], v3
	global_store_b64 v[0:1], v[4:5], off
.LBB38_368:
	s_and_not1_b32 vcc_lo, exec_lo, s24
	s_cbranch_vccnz .LBB38_370
; %bb.369:
	s_wait_xcnt 0x0
	v_bfe_i32 v3, v2, 0, 8
	s_delay_alu instid0(VALU_DEP_1) | instskip(NEXT) | instid1(VALU_DEP_1)
	v_bfe_i32 v3, v3, 0, 16
	v_cvt_f32_i32_e32 v3, v3
	global_store_b32 v[0:1], v3, off
.LBB38_370:
	s_mov_b32 s24, 0
.LBB38_371:
	s_delay_alu instid0(SALU_CYCLE_1)
	s_and_not1_b32 vcc_lo, exec_lo, s24
	s_cbranch_vccnz .LBB38_373
; %bb.372:
	s_wait_xcnt 0x0
	v_bfe_i32 v3, v2, 0, 8
	s_delay_alu instid0(VALU_DEP_1)
	v_cvt_f16_i16_e32 v3, v3
	global_store_b16 v[0:1], v3, off
.LBB38_373:
	s_mov_b32 s24, 0
.LBB38_374:
	s_delay_alu instid0(SALU_CYCLE_1)
	s_and_not1_b32 vcc_lo, exec_lo, s24
	s_cbranch_vccnz .LBB38_390
; %bb.375:
	s_cmp_lt_i32 s17, 2
	s_mov_b32 s24, -1
	s_cbranch_scc1 .LBB38_385
; %bb.376:
	s_cmp_lt_i32 s17, 3
	s_cbranch_scc1 .LBB38_382
; %bb.377:
	s_cmp_gt_i32 s17, 3
	s_cbranch_scc0 .LBB38_379
; %bb.378:
	s_wait_xcnt 0x0
	v_bfe_i32 v4, v2, 0, 8
	s_mov_b32 s24, 0
	s_delay_alu instid0(VALU_DEP_1)
	v_ashrrev_i32_e32 v5, 31, v4
	global_store_b64 v[0:1], v[4:5], off
.LBB38_379:
	s_and_not1_b32 vcc_lo, exec_lo, s24
	s_cbranch_vccnz .LBB38_381
; %bb.380:
	s_wait_xcnt 0x0
	v_bfe_i32 v3, v2, 0, 8
	global_store_b32 v[0:1], v3, off
.LBB38_381:
	s_mov_b32 s24, 0
.LBB38_382:
	s_delay_alu instid0(SALU_CYCLE_1)
	s_and_not1_b32 vcc_lo, exec_lo, s24
	s_cbranch_vccnz .LBB38_384
; %bb.383:
	s_wait_xcnt 0x0
	v_bfe_i32 v3, v2, 0, 8
	global_store_b16 v[0:1], v3, off
.LBB38_384:
	s_mov_b32 s24, 0
.LBB38_385:
	s_delay_alu instid0(SALU_CYCLE_1)
	s_and_not1_b32 vcc_lo, exec_lo, s24
	s_cbranch_vccnz .LBB38_390
; %bb.386:
	s_cmp_gt_i32 s17, 0
	s_mov_b32 s17, -1
	s_cbranch_scc0 .LBB38_388
; %bb.387:
	s_mov_b32 s17, 0
	global_store_b8 v[0:1], v2, off
.LBB38_388:
	s_and_not1_b32 vcc_lo, exec_lo, s17
	s_cbranch_vccnz .LBB38_390
; %bb.389:
	global_store_b8 v[0:1], v2, off
.LBB38_390:
	s_mov_b32 s25, -1
.LBB38_391:
	s_delay_alu instid0(SALU_CYCLE_1)
	s_and_not1_b32 vcc_lo, exec_lo, s25
	s_cbranch_vccnz .LBB38_27
; %bb.392:
	v_add_nc_u32_e32 v18, 0x80, v18
	s_mov_b32 s24, -1
.LBB38_393:
	s_and_b32 s17, s0, exec_lo
	s_and_b32 s19, s19, exec_lo
	;; [unrolled: 1-line block ×4, first 2 shown]
	s_or_not1_b32 s0, s24, exec_lo
.LBB38_394:
	s_wait_xcnt 0x0
	s_or_b32 exec_lo, exec_lo, s22
	s_and_saveexec_b32 s22, s0
	s_cbranch_execz .LBB38_1221
; %bb.395:
	s_mov_b32 s28, -1
	s_mov_b32 s23, s21
	s_mov_b32 s26, s20
	;; [unrolled: 1-line block ×4, first 2 shown]
	s_mov_b32 s27, exec_lo
	v_cmpx_gt_i32_e64 s18, v18
	s_cbranch_execz .LBB38_794
; %bb.396:
	s_and_b32 s23, s15, 0xff
	s_delay_alu instid0(SALU_CYCLE_1)
	s_cmp_lt_i32 s23, 23
	s_cbranch_scc1 .LBB38_400
; %bb.397:
	s_and_b32 s24, 0xffff, s23
	s_delay_alu instid0(SALU_CYCLE_1)
	s_cmp_gt_i32 s24, 43
	s_cbranch_scc0 .LBB38_401
; %bb.398:
	s_cmp_gt_i32 s24, 45
	s_cbranch_scc0 .LBB38_402
; %bb.399:
	s_cmp_eq_u32 s24, 46
	s_mov_b32 s25, 0
	s_cselect_b32 s0, -1, 0
	s_or_b32 s26, s21, exec_lo
	s_branch .LBB38_403
.LBB38_400:
	s_mov_b32 s0, 0
	s_mov_b32 s26, s21
	s_cbranch_execnz .LBB38_409
	s_branch .LBB38_413
.LBB38_401:
	s_mov_b32 s25, -1
	s_mov_b32 s0, 0
	s_mov_b32 s26, s21
	s_branch .LBB38_406
.LBB38_402:
	s_mov_b32 s25, -1
	s_mov_b32 s0, 0
	s_mov_b32 s26, s21
.LBB38_403:
	s_and_not1_b32 vcc_lo, exec_lo, s25
	s_cbranch_vccnz .LBB38_405
; %bb.404:
	s_cmp_eq_u32 s24, 44
	s_cselect_b32 s0, -1, 0
	s_cmp_lg_u32 s24, 44
	s_cselect_b32 s25, -1, 0
	s_and_not1_b32 s26, s26, exec_lo
	s_and_b32 s25, s25, exec_lo
	s_delay_alu instid0(SALU_CYCLE_1)
	s_or_b32 s26, s26, s25
.LBB38_405:
	s_mov_b32 s25, 0
.LBB38_406:
	s_delay_alu instid0(SALU_CYCLE_1)
	s_and_b32 vcc_lo, exec_lo, s25
	s_cbranch_vccz .LBB38_408
; %bb.407:
	s_cmp_lt_i32 s24, 30
	s_cselect_b32 s0, -1, 0
	s_cmp_gt_i32 s24, 29
	s_cselect_b32 s24, -1, 0
	s_and_not1_b32 s25, s26, exec_lo
	s_and_b32 s24, s24, exec_lo
	s_delay_alu instid0(SALU_CYCLE_1)
	s_or_b32 s26, s25, s24
.LBB38_408:
	s_branch .LBB38_413
.LBB38_409:
	s_and_b32 s23, 0xffff, s23
	s_mov_b32 s24, -1
	s_cmp_gt_i32 s23, 14
	s_cbranch_scc0 .LBB38_411
; %bb.410:
	s_cmp_eq_u32 s23, 15
	s_cselect_b32 s0, -1, 0
	s_cmp_lg_u32 s23, 15
	s_cselect_b32 s24, -1, 0
	s_and_not1_b32 s25, s26, exec_lo
	s_and_b32 s26, s24, exec_lo
	s_mov_b32 s24, 0
	s_or_b32 s26, s25, s26
.LBB38_411:
	s_and_not1_b32 vcc_lo, exec_lo, s24
	s_cbranch_vccnz .LBB38_413
; %bb.412:
	s_cmp_lt_i32 s23, 12
	s_cselect_b32 s0, -1, 0
	s_cmp_gt_i32 s23, 11
	s_cselect_b32 s23, -1, 0
	s_and_not1_b32 s24, s26, exec_lo
	s_and_b32 s23, s23, exec_lo
	s_delay_alu instid0(SALU_CYCLE_1)
	s_or_b32 s26, s24, s23
.LBB38_413:
	s_and_b32 vcc_lo, exec_lo, s0
	s_cbranch_vccz .LBB38_421
; %bb.414:
	s_wait_loadcnt 0x0
	v_mul_lo_u32 v0, v18, s4
	s_and_b32 s0, s12, 0xff
	s_delay_alu instid0(SALU_CYCLE_1) | instskip(NEXT) | instid1(VALU_DEP_1)
	s_cmp_lt_i32 s0, 11
	v_ashrrev_i32_e32 v1, 31, v0
	s_delay_alu instid0(VALU_DEP_1)
	v_add_nc_u64_e32 v[2:3], s[8:9], v[0:1]
	s_cbranch_scc1 .LBB38_423
; %bb.415:
	s_and_b32 s24, 0xffff, s0
	s_delay_alu instid0(SALU_CYCLE_1)
	s_cmp_gt_i32 s24, 25
	s_cbranch_scc0 .LBB38_424
; %bb.416:
	s_cmp_gt_i32 s24, 28
	s_cbranch_scc0 .LBB38_425
; %bb.417:
	;; [unrolled: 3-line block ×4, first 2 shown]
	s_cmp_eq_u32 s24, 46
	s_mov_b32 s26, 0
	s_cbranch_scc0 .LBB38_430
; %bb.420:
	global_load_b32 v0, v[2:3], off
	s_mov_b32 s25, -1
	s_mov_b32 s23, 0
	s_wait_loadcnt 0x0
	v_lshlrev_b32_e32 v0, 16, v0
	s_delay_alu instid0(VALU_DEP_1)
	v_cvt_i32_f32_e32 v0, v0
	s_branch .LBB38_432
.LBB38_421:
	s_mov_b32 s28, 0
	s_mov_b32 s0, s17
	;; [unrolled: 1-line block ×4, first 2 shown]
.LBB38_422:
                                        ; implicit-def: $vgpr18
	s_branch .LBB38_793
.LBB38_423:
	s_mov_b32 s24, -1
	s_mov_b32 s25, 0
	s_mov_b32 s23, s20
                                        ; implicit-def: $vgpr0
	s_branch .LBB38_493
.LBB38_424:
	s_mov_b32 s26, -1
	s_mov_b32 s25, 0
	s_mov_b32 s23, s20
                                        ; implicit-def: $vgpr0
	s_branch .LBB38_459
.LBB38_425:
	s_mov_b32 s26, -1
	s_mov_b32 s25, 0
	s_mov_b32 s23, s20
                                        ; implicit-def: $vgpr0
	s_branch .LBB38_442
.LBB38_426:
	s_mov_b32 s26, -1
	s_mov_b32 s25, 0
	s_mov_b32 s23, s20
                                        ; implicit-def: $vgpr0
	s_branch .LBB38_437
.LBB38_427:
	s_mov_b32 s26, -1
	s_mov_b32 s25, 0
	s_mov_b32 s23, s20
	s_branch .LBB38_431
.LBB38_428:
	s_and_not1_saveexec_b32 s27, s27
	s_cbranch_execz .LBB38_304
.LBB38_429:
	v_add_f32_e64 v4, 0x46000000, |v3|
	s_and_not1_b32 s26, s26, exec_lo
	s_delay_alu instid0(VALU_DEP_1) | instskip(NEXT) | instid1(VALU_DEP_1)
	v_and_b32_e32 v4, 0xff, v4
	v_cmp_ne_u32_e32 vcc_lo, 0, v4
	s_and_b32 s28, vcc_lo, exec_lo
	s_delay_alu instid0(SALU_CYCLE_1)
	s_or_b32 s26, s26, s28
	s_or_b32 exec_lo, exec_lo, s27
	v_mov_b32_e32 v5, 0
	s_and_saveexec_b32 s27, s26
	s_cbranch_execnz .LBB38_305
	s_branch .LBB38_306
.LBB38_430:
	s_mov_b32 s23, -1
	s_mov_b32 s25, 0
.LBB38_431:
                                        ; implicit-def: $vgpr0
.LBB38_432:
	s_and_b32 vcc_lo, exec_lo, s26
	s_cbranch_vccz .LBB38_436
; %bb.433:
	s_cmp_eq_u32 s24, 44
	s_cbranch_scc0 .LBB38_435
; %bb.434:
	global_load_u8 v0, v[2:3], off
	s_mov_b32 s23, 0
	s_mov_b32 s25, -1
	s_wait_loadcnt 0x0
	v_lshlrev_b32_e32 v1, 23, v0
	v_cmp_ne_u32_e32 vcc_lo, 0, v0
	s_delay_alu instid0(VALU_DEP_2) | instskip(NEXT) | instid1(VALU_DEP_1)
	v_cvt_i32_f32_e32 v1, v1
	v_cndmask_b32_e32 v0, 0, v1, vcc_lo
	s_branch .LBB38_436
.LBB38_435:
	s_mov_b32 s23, -1
                                        ; implicit-def: $vgpr0
.LBB38_436:
	s_mov_b32 s26, 0
.LBB38_437:
	s_delay_alu instid0(SALU_CYCLE_1)
	s_and_b32 vcc_lo, exec_lo, s26
	s_cbranch_vccz .LBB38_441
; %bb.438:
	s_cmp_eq_u32 s24, 29
	s_cbranch_scc0 .LBB38_440
; %bb.439:
	global_load_b64 v[0:1], v[2:3], off
	s_mov_b32 s25, -1
	s_mov_b32 s23, 0
	s_branch .LBB38_441
.LBB38_440:
	s_mov_b32 s23, -1
                                        ; implicit-def: $vgpr0
.LBB38_441:
	s_mov_b32 s26, 0
.LBB38_442:
	s_delay_alu instid0(SALU_CYCLE_1)
	s_and_b32 vcc_lo, exec_lo, s26
	s_cbranch_vccz .LBB38_458
; %bb.443:
	s_cmp_lt_i32 s24, 27
	s_cbranch_scc1 .LBB38_446
; %bb.444:
	s_cmp_gt_i32 s24, 27
	s_cbranch_scc0 .LBB38_447
; %bb.445:
	s_wait_loadcnt 0x0
	global_load_b32 v0, v[2:3], off
	s_mov_b32 s25, 0
	s_branch .LBB38_448
.LBB38_446:
	s_mov_b32 s25, -1
                                        ; implicit-def: $vgpr0
	s_branch .LBB38_451
.LBB38_447:
	s_mov_b32 s25, -1
                                        ; implicit-def: $vgpr0
.LBB38_448:
	s_delay_alu instid0(SALU_CYCLE_1)
	s_and_not1_b32 vcc_lo, exec_lo, s25
	s_cbranch_vccnz .LBB38_450
; %bb.449:
	s_wait_loadcnt 0x0
	global_load_u16 v0, v[2:3], off
.LBB38_450:
	s_mov_b32 s25, 0
.LBB38_451:
	s_delay_alu instid0(SALU_CYCLE_1)
	s_and_not1_b32 vcc_lo, exec_lo, s25
	s_cbranch_vccnz .LBB38_457
; %bb.452:
	s_wait_loadcnt 0x0
	global_load_u8 v1, v[2:3], off
	s_mov_b32 s26, 0
	s_mov_b32 s25, exec_lo
	s_wait_loadcnt 0x0
	v_cmpx_lt_i16_e32 0x7f, v1
	s_xor_b32 s25, exec_lo, s25
	s_cbranch_execz .LBB38_469
; %bb.453:
	v_cmp_ne_u16_e32 vcc_lo, 0x80, v1
	s_and_b32 s26, vcc_lo, exec_lo
	s_and_not1_saveexec_b32 s25, s25
	s_cbranch_execnz .LBB38_470
.LBB38_454:
	s_or_b32 exec_lo, exec_lo, s25
	v_mov_b32_e32 v0, 0
	s_and_saveexec_b32 s25, s26
	s_cbranch_execz .LBB38_456
.LBB38_455:
	v_and_b32_e32 v0, 0xffff, v1
	s_delay_alu instid0(VALU_DEP_1) | instskip(SKIP_1) | instid1(VALU_DEP_2)
	v_and_b32_e32 v4, 7, v0
	v_bfe_u32 v7, v0, 3, 4
	v_clz_i32_u32_e32 v5, v4
	s_delay_alu instid0(VALU_DEP_2) | instskip(NEXT) | instid1(VALU_DEP_2)
	v_cmp_eq_u32_e32 vcc_lo, 0, v7
	v_min_u32_e32 v5, 32, v5
	s_delay_alu instid0(VALU_DEP_1) | instskip(NEXT) | instid1(VALU_DEP_1)
	v_subrev_nc_u32_e32 v6, 28, v5
	v_dual_lshlrev_b32 v0, v6, v0 :: v_dual_sub_nc_u32 v5, 29, v5
	s_delay_alu instid0(VALU_DEP_1) | instskip(NEXT) | instid1(VALU_DEP_1)
	v_dual_lshlrev_b32 v1, 24, v1 :: v_dual_bitop2_b32 v0, 7, v0 bitop3:0x40
	v_dual_cndmask_b32 v0, v4, v0 :: v_dual_cndmask_b32 v5, v7, v5
	s_delay_alu instid0(VALU_DEP_2) | instskip(NEXT) | instid1(VALU_DEP_2)
	v_and_b32_e32 v1, 0x80000000, v1
	v_lshlrev_b32_e32 v0, 20, v0
	s_delay_alu instid0(VALU_DEP_3) | instskip(NEXT) | instid1(VALU_DEP_1)
	v_lshl_add_u32 v4, v5, 23, 0x3b800000
	v_or3_b32 v0, v1, v4, v0
	s_delay_alu instid0(VALU_DEP_1)
	v_cvt_i32_f32_e32 v0, v0
.LBB38_456:
	s_or_b32 exec_lo, exec_lo, s25
.LBB38_457:
	s_mov_b32 s25, -1
.LBB38_458:
	s_mov_b32 s26, 0
.LBB38_459:
	s_delay_alu instid0(SALU_CYCLE_1)
	s_and_b32 vcc_lo, exec_lo, s26
	s_cbranch_vccz .LBB38_492
; %bb.460:
	s_cmp_gt_i32 s24, 22
	s_cbranch_scc0 .LBB38_468
; %bb.461:
	s_cmp_lt_i32 s24, 24
	s_cbranch_scc1 .LBB38_471
; %bb.462:
	s_cmp_gt_i32 s24, 24
	s_cbranch_scc0 .LBB38_472
; %bb.463:
	s_wait_loadcnt 0x0
	global_load_u8 v1, v[2:3], off
	s_mov_b32 s26, 0
	s_mov_b32 s25, exec_lo
	s_wait_loadcnt 0x0
	v_cmpx_lt_i16_e32 0x7f, v1
	s_xor_b32 s25, exec_lo, s25
	s_cbranch_execz .LBB38_484
; %bb.464:
	v_cmp_ne_u16_e32 vcc_lo, 0x80, v1
	s_and_b32 s26, vcc_lo, exec_lo
	s_and_not1_saveexec_b32 s25, s25
	s_cbranch_execnz .LBB38_485
.LBB38_465:
	s_or_b32 exec_lo, exec_lo, s25
	v_mov_b32_e32 v0, 0
	s_and_saveexec_b32 s25, s26
	s_cbranch_execz .LBB38_467
.LBB38_466:
	v_and_b32_e32 v0, 0xffff, v1
	s_delay_alu instid0(VALU_DEP_1) | instskip(SKIP_1) | instid1(VALU_DEP_2)
	v_and_b32_e32 v4, 3, v0
	v_bfe_u32 v7, v0, 2, 5
	v_clz_i32_u32_e32 v5, v4
	s_delay_alu instid0(VALU_DEP_2) | instskip(NEXT) | instid1(VALU_DEP_2)
	v_cmp_eq_u32_e32 vcc_lo, 0, v7
	v_min_u32_e32 v5, 32, v5
	s_delay_alu instid0(VALU_DEP_1) | instskip(NEXT) | instid1(VALU_DEP_1)
	v_subrev_nc_u32_e32 v6, 29, v5
	v_dual_lshlrev_b32 v0, v6, v0 :: v_dual_sub_nc_u32 v5, 30, v5
	s_delay_alu instid0(VALU_DEP_1) | instskip(NEXT) | instid1(VALU_DEP_1)
	v_dual_lshlrev_b32 v1, 24, v1 :: v_dual_bitop2_b32 v0, 3, v0 bitop3:0x40
	v_dual_cndmask_b32 v0, v4, v0 :: v_dual_cndmask_b32 v5, v7, v5
	s_delay_alu instid0(VALU_DEP_2) | instskip(NEXT) | instid1(VALU_DEP_2)
	v_and_b32_e32 v1, 0x80000000, v1
	v_lshlrev_b32_e32 v0, 21, v0
	s_delay_alu instid0(VALU_DEP_3) | instskip(NEXT) | instid1(VALU_DEP_1)
	v_lshl_add_u32 v4, v5, 23, 0x37800000
	v_or3_b32 v0, v1, v4, v0
	s_delay_alu instid0(VALU_DEP_1)
	v_cvt_i32_f32_e32 v0, v0
.LBB38_467:
	s_or_b32 exec_lo, exec_lo, s25
	s_mov_b32 s25, 0
	s_branch .LBB38_473
.LBB38_468:
	s_mov_b32 s26, -1
                                        ; implicit-def: $vgpr0
	s_branch .LBB38_479
.LBB38_469:
	s_and_not1_saveexec_b32 s25, s25
	s_cbranch_execz .LBB38_454
.LBB38_470:
	v_cmp_ne_u16_e32 vcc_lo, 0, v1
	s_and_not1_b32 s26, s26, exec_lo
	s_and_b32 s28, vcc_lo, exec_lo
	s_delay_alu instid0(SALU_CYCLE_1)
	s_or_b32 s26, s26, s28
	s_or_b32 exec_lo, exec_lo, s25
	v_mov_b32_e32 v0, 0
	s_and_saveexec_b32 s25, s26
	s_cbranch_execnz .LBB38_455
	s_branch .LBB38_456
.LBB38_471:
	s_mov_b32 s25, -1
                                        ; implicit-def: $vgpr0
	s_branch .LBB38_476
.LBB38_472:
	s_mov_b32 s25, -1
                                        ; implicit-def: $vgpr0
.LBB38_473:
	s_delay_alu instid0(SALU_CYCLE_1)
	s_and_b32 vcc_lo, exec_lo, s25
	s_cbranch_vccz .LBB38_475
; %bb.474:
	s_wait_loadcnt 0x0
	global_load_u8 v0, v[2:3], off
	s_wait_loadcnt 0x0
	v_lshlrev_b32_e32 v0, 24, v0
	s_delay_alu instid0(VALU_DEP_1) | instskip(NEXT) | instid1(VALU_DEP_1)
	v_and_b32_e32 v1, 0x7f000000, v0
	v_clz_i32_u32_e32 v4, v1
	v_cmp_ne_u32_e32 vcc_lo, 0, v1
	v_add_nc_u32_e32 v6, 0x1000000, v1
	s_delay_alu instid0(VALU_DEP_3) | instskip(NEXT) | instid1(VALU_DEP_1)
	v_min_u32_e32 v4, 32, v4
	v_sub_nc_u32_e64 v4, v4, 4 clamp
	s_delay_alu instid0(VALU_DEP_1) | instskip(NEXT) | instid1(VALU_DEP_1)
	v_dual_lshlrev_b32 v5, v4, v1 :: v_dual_lshlrev_b32 v4, 23, v4
	v_lshrrev_b32_e32 v5, 4, v5
	s_delay_alu instid0(VALU_DEP_1) | instskip(NEXT) | instid1(VALU_DEP_1)
	v_dual_sub_nc_u32 v4, v5, v4 :: v_dual_ashrrev_i32 v5, 8, v6
	v_add_nc_u32_e32 v4, 0x3c000000, v4
	s_delay_alu instid0(VALU_DEP_1) | instskip(NEXT) | instid1(VALU_DEP_1)
	v_and_or_b32 v4, 0x7f800000, v5, v4
	v_cndmask_b32_e32 v1, 0, v4, vcc_lo
	s_delay_alu instid0(VALU_DEP_1) | instskip(NEXT) | instid1(VALU_DEP_1)
	v_and_or_b32 v0, 0x80000000, v0, v1
	v_cvt_i32_f32_e32 v0, v0
.LBB38_475:
	s_mov_b32 s25, 0
.LBB38_476:
	s_delay_alu instid0(SALU_CYCLE_1)
	s_and_not1_b32 vcc_lo, exec_lo, s25
	s_cbranch_vccnz .LBB38_478
; %bb.477:
	s_wait_loadcnt 0x0
	global_load_u8 v0, v[2:3], off
	s_wait_loadcnt 0x0
	v_lshlrev_b32_e32 v1, 25, v0
	v_lshlrev_b16 v0, 8, v0
	s_delay_alu instid0(VALU_DEP_1) | instskip(SKIP_1) | instid1(VALU_DEP_2)
	v_and_or_b32 v5, 0x7f00, v0, 0.5
	v_bfe_i32 v0, v0, 0, 16
	v_add_f32_e32 v5, -0.5, v5
	v_lshrrev_b32_e32 v4, 4, v1
	v_cmp_gt_u32_e32 vcc_lo, 0x8000000, v1
	s_delay_alu instid0(VALU_DEP_2) | instskip(NEXT) | instid1(VALU_DEP_1)
	v_or_b32_e32 v4, 0x70000000, v4
	v_mul_f32_e32 v4, 0x7800000, v4
	s_delay_alu instid0(VALU_DEP_1) | instskip(NEXT) | instid1(VALU_DEP_1)
	v_cndmask_b32_e32 v1, v4, v5, vcc_lo
	v_and_or_b32 v0, 0x80000000, v0, v1
	s_delay_alu instid0(VALU_DEP_1)
	v_cvt_i32_f32_e32 v0, v0
.LBB38_478:
	s_mov_b32 s26, 0
	s_mov_b32 s25, -1
.LBB38_479:
	s_and_not1_b32 vcc_lo, exec_lo, s26
	s_cbranch_vccnz .LBB38_492
; %bb.480:
	s_cmp_gt_i32 s24, 14
	s_cbranch_scc0 .LBB38_483
; %bb.481:
	s_cmp_eq_u32 s24, 15
	s_cbranch_scc0 .LBB38_486
; %bb.482:
	s_wait_loadcnt 0x0
	global_load_u16 v0, v[2:3], off
	s_mov_b32 s25, -1
	s_mov_b32 s23, 0
	s_wait_loadcnt 0x0
	v_lshlrev_b32_e32 v0, 16, v0
	s_delay_alu instid0(VALU_DEP_1)
	v_cvt_i32_f32_e32 v0, v0
	s_branch .LBB38_487
.LBB38_483:
	s_mov_b32 s26, -1
                                        ; implicit-def: $vgpr0
	s_branch .LBB38_488
.LBB38_484:
	s_and_not1_saveexec_b32 s25, s25
	s_cbranch_execz .LBB38_465
.LBB38_485:
	v_cmp_ne_u16_e32 vcc_lo, 0, v1
	s_and_not1_b32 s26, s26, exec_lo
	s_and_b32 s28, vcc_lo, exec_lo
	s_delay_alu instid0(SALU_CYCLE_1)
	s_or_b32 s26, s26, s28
	s_or_b32 exec_lo, exec_lo, s25
	v_mov_b32_e32 v0, 0
	s_and_saveexec_b32 s25, s26
	s_cbranch_execnz .LBB38_466
	s_branch .LBB38_467
.LBB38_486:
	s_mov_b32 s23, -1
                                        ; implicit-def: $vgpr0
.LBB38_487:
	s_mov_b32 s26, 0
.LBB38_488:
	s_delay_alu instid0(SALU_CYCLE_1)
	s_and_b32 vcc_lo, exec_lo, s26
	s_cbranch_vccz .LBB38_492
; %bb.489:
	s_cmp_eq_u32 s24, 11
	s_cbranch_scc0 .LBB38_491
; %bb.490:
	s_wait_loadcnt 0x0
	global_load_u8 v0, v[2:3], off
	s_mov_b32 s23, 0
	s_mov_b32 s25, -1
	s_wait_loadcnt 0x0
	v_cmp_ne_u16_e32 vcc_lo, 0, v0
	v_cndmask_b32_e64 v0, 0, 1, vcc_lo
	s_branch .LBB38_492
.LBB38_491:
	s_mov_b32 s23, -1
                                        ; implicit-def: $vgpr0
.LBB38_492:
	s_mov_b32 s24, 0
.LBB38_493:
	s_delay_alu instid0(SALU_CYCLE_1)
	s_and_b32 vcc_lo, exec_lo, s24
	s_cbranch_vccz .LBB38_542
; %bb.494:
	s_and_b32 s0, 0xffff, s0
	s_delay_alu instid0(SALU_CYCLE_1)
	s_cmp_lt_i32 s0, 5
	s_cbranch_scc1 .LBB38_499
; %bb.495:
	s_cmp_lt_i32 s0, 8
	s_cbranch_scc1 .LBB38_500
; %bb.496:
	;; [unrolled: 3-line block ×3, first 2 shown]
	s_cmp_gt_i32 s0, 9
	s_cbranch_scc0 .LBB38_502
; %bb.498:
	s_wait_loadcnt 0x0
	global_load_b64 v[0:1], v[2:3], off
	s_mov_b32 s24, 0
	s_wait_loadcnt 0x0
	v_cvt_i32_f64_e32 v0, v[0:1]
	s_branch .LBB38_503
.LBB38_499:
	s_mov_b32 s24, -1
                                        ; implicit-def: $vgpr0
	s_branch .LBB38_521
.LBB38_500:
	s_mov_b32 s24, -1
                                        ; implicit-def: $vgpr0
	s_branch .LBB38_509
.LBB38_501:
	s_mov_b32 s24, -1
                                        ; implicit-def: $vgpr0
	s_branch .LBB38_506
.LBB38_502:
	s_mov_b32 s24, -1
                                        ; implicit-def: $vgpr0
.LBB38_503:
	s_delay_alu instid0(SALU_CYCLE_1)
	s_and_not1_b32 vcc_lo, exec_lo, s24
	s_cbranch_vccnz .LBB38_505
; %bb.504:
	s_wait_loadcnt 0x0
	global_load_b32 v0, v[2:3], off
	s_wait_loadcnt 0x0
	v_cvt_i32_f32_e32 v0, v0
.LBB38_505:
	s_mov_b32 s24, 0
.LBB38_506:
	s_delay_alu instid0(SALU_CYCLE_1)
	s_and_not1_b32 vcc_lo, exec_lo, s24
	s_cbranch_vccnz .LBB38_508
; %bb.507:
	s_wait_loadcnt 0x0
	global_load_b32 v0, v[2:3], off
	s_wait_loadcnt 0x0
	v_cvt_i16_f16_e32 v0, v0
.LBB38_508:
	s_mov_b32 s24, 0
.LBB38_509:
	s_delay_alu instid0(SALU_CYCLE_1)
	s_and_not1_b32 vcc_lo, exec_lo, s24
	s_cbranch_vccnz .LBB38_520
; %bb.510:
	s_cmp_lt_i32 s0, 6
	s_cbranch_scc1 .LBB38_513
; %bb.511:
	s_cmp_gt_i32 s0, 6
	s_cbranch_scc0 .LBB38_514
; %bb.512:
	s_wait_loadcnt 0x0
	global_load_b64 v[0:1], v[2:3], off
	s_mov_b32 s24, 0
	s_wait_loadcnt 0x0
	v_cvt_i32_f64_e32 v0, v[0:1]
	s_branch .LBB38_515
.LBB38_513:
	s_mov_b32 s24, -1
                                        ; implicit-def: $vgpr0
	s_branch .LBB38_518
.LBB38_514:
	s_mov_b32 s24, -1
                                        ; implicit-def: $vgpr0
.LBB38_515:
	s_delay_alu instid0(SALU_CYCLE_1)
	s_and_not1_b32 vcc_lo, exec_lo, s24
	s_cbranch_vccnz .LBB38_517
; %bb.516:
	s_wait_loadcnt 0x0
	global_load_b32 v0, v[2:3], off
	s_wait_loadcnt 0x0
	v_cvt_i32_f32_e32 v0, v0
.LBB38_517:
	s_mov_b32 s24, 0
.LBB38_518:
	s_delay_alu instid0(SALU_CYCLE_1)
	s_and_not1_b32 vcc_lo, exec_lo, s24
	s_cbranch_vccnz .LBB38_520
; %bb.519:
	s_wait_loadcnt 0x0
	global_load_u16 v0, v[2:3], off
	s_wait_loadcnt 0x0
	v_cvt_i16_f16_e32 v0, v0
.LBB38_520:
	s_mov_b32 s24, 0
.LBB38_521:
	s_delay_alu instid0(SALU_CYCLE_1)
	s_and_not1_b32 vcc_lo, exec_lo, s24
	s_cbranch_vccnz .LBB38_541
; %bb.522:
	s_cmp_lt_i32 s0, 2
	s_cbranch_scc1 .LBB38_526
; %bb.523:
	s_cmp_lt_i32 s0, 3
	s_cbranch_scc1 .LBB38_527
; %bb.524:
	s_cmp_gt_i32 s0, 3
	s_cbranch_scc0 .LBB38_528
; %bb.525:
	s_wait_loadcnt 0x0
	global_load_b64 v[0:1], v[2:3], off
	s_mov_b32 s24, 0
	s_branch .LBB38_529
.LBB38_526:
	s_mov_b32 s24, -1
                                        ; implicit-def: $vgpr0
	s_branch .LBB38_535
.LBB38_527:
	s_mov_b32 s24, -1
                                        ; implicit-def: $vgpr0
	s_branch .LBB38_532
.LBB38_528:
	s_mov_b32 s24, -1
                                        ; implicit-def: $vgpr0
.LBB38_529:
	s_delay_alu instid0(SALU_CYCLE_1)
	s_and_not1_b32 vcc_lo, exec_lo, s24
	s_cbranch_vccnz .LBB38_531
; %bb.530:
	s_wait_loadcnt 0x0
	global_load_b32 v0, v[2:3], off
.LBB38_531:
	s_mov_b32 s24, 0
.LBB38_532:
	s_delay_alu instid0(SALU_CYCLE_1)
	s_and_not1_b32 vcc_lo, exec_lo, s24
	s_cbranch_vccnz .LBB38_534
; %bb.533:
	s_wait_loadcnt 0x0
	global_load_u16 v0, v[2:3], off
.LBB38_534:
	s_mov_b32 s24, 0
.LBB38_535:
	s_delay_alu instid0(SALU_CYCLE_1)
	s_and_not1_b32 vcc_lo, exec_lo, s24
	s_cbranch_vccnz .LBB38_541
; %bb.536:
	s_cmp_gt_i32 s0, 0
	s_mov_b32 s0, 0
	s_cbranch_scc0 .LBB38_538
; %bb.537:
	s_wait_loadcnt 0x0
	global_load_u8 v0, v[2:3], off
	s_branch .LBB38_539
.LBB38_538:
	s_mov_b32 s0, -1
                                        ; implicit-def: $vgpr0
.LBB38_539:
	s_delay_alu instid0(SALU_CYCLE_1)
	s_and_not1_b32 vcc_lo, exec_lo, s0
	s_cbranch_vccnz .LBB38_541
; %bb.540:
	s_wait_loadcnt 0x0
	global_load_u8 v0, v[2:3], off
.LBB38_541:
	s_mov_b32 s25, -1
.LBB38_542:
	s_mov_b32 s26, 0
	s_mov_b32 s0, s17
	s_and_not1_b32 vcc_lo, exec_lo, s25
	s_mov_b32 s24, s19
	s_mov_b32 s28, 0
	s_cbranch_vccnz .LBB38_793
; %bb.543:
	s_wait_xcnt 0x0
	v_mul_lo_u32 v2, v18, s5
	s_and_b32 s0, s7, 0xff
	s_delay_alu instid0(SALU_CYCLE_1) | instskip(NEXT) | instid1(VALU_DEP_1)
	s_cmp_lt_i32 s0, 11
	v_ashrrev_i32_e32 v3, 31, v2
	s_delay_alu instid0(VALU_DEP_1)
	v_add_nc_u64_e32 v[2:3], s[10:11], v[2:3]
	s_cbranch_scc1 .LBB38_550
; %bb.544:
	s_and_b32 s25, 0xffff, s0
	s_delay_alu instid0(SALU_CYCLE_1)
	s_cmp_gt_i32 s25, 25
	s_cbranch_scc0 .LBB38_551
; %bb.545:
	s_cmp_gt_i32 s25, 28
	s_cbranch_scc0 .LBB38_552
; %bb.546:
	;; [unrolled: 3-line block ×4, first 2 shown]
	s_cmp_eq_u32 s25, 46
	s_mov_b32 s29, 0
	s_cbranch_scc0 .LBB38_557
; %bb.549:
	s_wait_loadcnt 0x0
	global_load_b32 v1, v[2:3], off
	s_mov_b32 s28, -1
	s_mov_b32 s24, 0
	s_wait_loadcnt 0x0
	v_lshlrev_b32_e32 v1, 16, v1
	s_delay_alu instid0(VALU_DEP_1)
	v_cvt_i32_f32_e32 v4, v1
	s_branch .LBB38_559
.LBB38_550:
	s_mov_b32 s25, -1
	s_mov_b32 s24, s19
                                        ; implicit-def: $vgpr4
	s_branch .LBB38_620
.LBB38_551:
	s_mov_b32 s29, -1
	s_mov_b32 s24, s19
                                        ; implicit-def: $vgpr4
	s_branch .LBB38_586
.LBB38_552:
	s_mov_b32 s29, -1
	s_mov_b32 s24, s19
                                        ; implicit-def: $vgpr4
	s_branch .LBB38_569
.LBB38_553:
	s_mov_b32 s29, -1
	s_mov_b32 s24, s19
                                        ; implicit-def: $vgpr4
	s_branch .LBB38_564
.LBB38_554:
	s_mov_b32 s29, -1
	s_mov_b32 s24, s19
	s_branch .LBB38_558
.LBB38_555:
	s_and_not1_saveexec_b32 s27, s27
	s_cbranch_execz .LBB38_317
.LBB38_556:
	v_add_f32_e64 v4, 0x42800000, |v3|
	s_and_not1_b32 s26, s26, exec_lo
	s_delay_alu instid0(VALU_DEP_1) | instskip(NEXT) | instid1(VALU_DEP_1)
	v_and_b32_e32 v4, 0xff, v4
	v_cmp_ne_u32_e32 vcc_lo, 0, v4
	s_and_b32 s28, vcc_lo, exec_lo
	s_delay_alu instid0(SALU_CYCLE_1)
	s_or_b32 s26, s26, s28
	s_or_b32 exec_lo, exec_lo, s27
	v_mov_b32_e32 v5, 0
	s_and_saveexec_b32 s27, s26
	s_cbranch_execnz .LBB38_318
	s_branch .LBB38_319
.LBB38_557:
	s_mov_b32 s24, -1
.LBB38_558:
                                        ; implicit-def: $vgpr4
.LBB38_559:
	s_and_b32 vcc_lo, exec_lo, s29
	s_cbranch_vccz .LBB38_563
; %bb.560:
	s_cmp_eq_u32 s25, 44
	s_cbranch_scc0 .LBB38_562
; %bb.561:
	s_wait_loadcnt 0x0
	global_load_u8 v1, v[2:3], off
	s_mov_b32 s24, 0
	s_mov_b32 s28, -1
	s_wait_loadcnt 0x0
	v_lshlrev_b32_e32 v4, 23, v1
	v_cmp_ne_u32_e32 vcc_lo, 0, v1
	s_delay_alu instid0(VALU_DEP_2) | instskip(NEXT) | instid1(VALU_DEP_1)
	v_cvt_i32_f32_e32 v4, v4
	v_cndmask_b32_e32 v4, 0, v4, vcc_lo
	s_branch .LBB38_563
.LBB38_562:
	s_mov_b32 s24, -1
                                        ; implicit-def: $vgpr4
.LBB38_563:
	s_mov_b32 s29, 0
.LBB38_564:
	s_delay_alu instid0(SALU_CYCLE_1)
	s_and_b32 vcc_lo, exec_lo, s29
	s_cbranch_vccz .LBB38_568
; %bb.565:
	s_cmp_eq_u32 s25, 29
	s_cbranch_scc0 .LBB38_567
; %bb.566:
	global_load_b64 v[4:5], v[2:3], off
	s_mov_b32 s28, -1
	s_mov_b32 s24, 0
	s_branch .LBB38_568
.LBB38_567:
	s_mov_b32 s24, -1
                                        ; implicit-def: $vgpr4
.LBB38_568:
	s_mov_b32 s29, 0
.LBB38_569:
	s_delay_alu instid0(SALU_CYCLE_1)
	s_and_b32 vcc_lo, exec_lo, s29
	s_cbranch_vccz .LBB38_585
; %bb.570:
	s_cmp_lt_i32 s25, 27
	s_cbranch_scc1 .LBB38_573
; %bb.571:
	s_cmp_gt_i32 s25, 27
	s_cbranch_scc0 .LBB38_574
; %bb.572:
	s_wait_loadcnt 0x0
	global_load_b32 v4, v[2:3], off
	s_mov_b32 s28, 0
	s_branch .LBB38_575
.LBB38_573:
	s_mov_b32 s28, -1
                                        ; implicit-def: $vgpr4
	s_branch .LBB38_578
.LBB38_574:
	s_mov_b32 s28, -1
                                        ; implicit-def: $vgpr4
.LBB38_575:
	s_delay_alu instid0(SALU_CYCLE_1)
	s_and_not1_b32 vcc_lo, exec_lo, s28
	s_cbranch_vccnz .LBB38_577
; %bb.576:
	s_wait_loadcnt 0x0
	global_load_u16 v4, v[2:3], off
.LBB38_577:
	s_mov_b32 s28, 0
.LBB38_578:
	s_delay_alu instid0(SALU_CYCLE_1)
	s_and_not1_b32 vcc_lo, exec_lo, s28
	s_cbranch_vccnz .LBB38_584
; %bb.579:
	s_wait_loadcnt 0x0
	global_load_u8 v1, v[2:3], off
	s_mov_b32 s29, 0
	s_mov_b32 s28, exec_lo
	s_wait_loadcnt 0x0
	v_cmpx_lt_i16_e32 0x7f, v1
	s_xor_b32 s28, exec_lo, s28
	s_cbranch_execz .LBB38_596
; %bb.580:
	v_cmp_ne_u16_e32 vcc_lo, 0x80, v1
	s_and_b32 s29, vcc_lo, exec_lo
	s_and_not1_saveexec_b32 s28, s28
	s_cbranch_execnz .LBB38_597
.LBB38_581:
	s_or_b32 exec_lo, exec_lo, s28
	v_mov_b32_e32 v4, 0
	s_and_saveexec_b32 s28, s29
	s_cbranch_execz .LBB38_583
.LBB38_582:
	v_and_b32_e32 v4, 0xffff, v1
	s_delay_alu instid0(VALU_DEP_1) | instskip(SKIP_1) | instid1(VALU_DEP_2)
	v_and_b32_e32 v5, 7, v4
	v_bfe_u32 v8, v4, 3, 4
	v_clz_i32_u32_e32 v6, v5
	s_delay_alu instid0(VALU_DEP_2) | instskip(NEXT) | instid1(VALU_DEP_2)
	v_cmp_eq_u32_e32 vcc_lo, 0, v8
	v_min_u32_e32 v6, 32, v6
	s_delay_alu instid0(VALU_DEP_1) | instskip(NEXT) | instid1(VALU_DEP_1)
	v_subrev_nc_u32_e32 v7, 28, v6
	v_dual_lshlrev_b32 v4, v7, v4 :: v_dual_sub_nc_u32 v6, 29, v6
	s_delay_alu instid0(VALU_DEP_1) | instskip(NEXT) | instid1(VALU_DEP_1)
	v_dual_lshlrev_b32 v1, 24, v1 :: v_dual_bitop2_b32 v4, 7, v4 bitop3:0x40
	v_dual_cndmask_b32 v6, v8, v6, vcc_lo :: v_dual_cndmask_b32 v4, v5, v4, vcc_lo
	s_delay_alu instid0(VALU_DEP_2) | instskip(NEXT) | instid1(VALU_DEP_2)
	v_and_b32_e32 v1, 0x80000000, v1
	v_lshl_add_u32 v5, v6, 23, 0x3b800000
	s_delay_alu instid0(VALU_DEP_3) | instskip(NEXT) | instid1(VALU_DEP_1)
	v_lshlrev_b32_e32 v4, 20, v4
	v_or3_b32 v1, v1, v5, v4
	s_delay_alu instid0(VALU_DEP_1)
	v_cvt_i32_f32_e32 v4, v1
.LBB38_583:
	s_or_b32 exec_lo, exec_lo, s28
.LBB38_584:
	s_mov_b32 s28, -1
.LBB38_585:
	s_mov_b32 s29, 0
.LBB38_586:
	s_delay_alu instid0(SALU_CYCLE_1)
	s_and_b32 vcc_lo, exec_lo, s29
	s_cbranch_vccz .LBB38_619
; %bb.587:
	s_cmp_gt_i32 s25, 22
	s_cbranch_scc0 .LBB38_595
; %bb.588:
	s_cmp_lt_i32 s25, 24
	s_cbranch_scc1 .LBB38_598
; %bb.589:
	s_cmp_gt_i32 s25, 24
	s_cbranch_scc0 .LBB38_599
; %bb.590:
	s_wait_loadcnt 0x0
	global_load_u8 v1, v[2:3], off
	s_mov_b32 s29, 0
	s_mov_b32 s28, exec_lo
	s_wait_loadcnt 0x0
	v_cmpx_lt_i16_e32 0x7f, v1
	s_xor_b32 s28, exec_lo, s28
	s_cbranch_execz .LBB38_611
; %bb.591:
	v_cmp_ne_u16_e32 vcc_lo, 0x80, v1
	s_and_b32 s29, vcc_lo, exec_lo
	s_and_not1_saveexec_b32 s28, s28
	s_cbranch_execnz .LBB38_612
.LBB38_592:
	s_or_b32 exec_lo, exec_lo, s28
	v_mov_b32_e32 v4, 0
	s_and_saveexec_b32 s28, s29
	s_cbranch_execz .LBB38_594
.LBB38_593:
	v_and_b32_e32 v4, 0xffff, v1
	s_delay_alu instid0(VALU_DEP_1) | instskip(SKIP_1) | instid1(VALU_DEP_2)
	v_and_b32_e32 v5, 3, v4
	v_bfe_u32 v8, v4, 2, 5
	v_clz_i32_u32_e32 v6, v5
	s_delay_alu instid0(VALU_DEP_2) | instskip(NEXT) | instid1(VALU_DEP_2)
	v_cmp_eq_u32_e32 vcc_lo, 0, v8
	v_min_u32_e32 v6, 32, v6
	s_delay_alu instid0(VALU_DEP_1) | instskip(NEXT) | instid1(VALU_DEP_1)
	v_subrev_nc_u32_e32 v7, 29, v6
	v_dual_lshlrev_b32 v4, v7, v4 :: v_dual_sub_nc_u32 v6, 30, v6
	s_delay_alu instid0(VALU_DEP_1) | instskip(NEXT) | instid1(VALU_DEP_1)
	v_dual_lshlrev_b32 v1, 24, v1 :: v_dual_bitop2_b32 v4, 3, v4 bitop3:0x40
	v_dual_cndmask_b32 v6, v8, v6, vcc_lo :: v_dual_cndmask_b32 v4, v5, v4, vcc_lo
	s_delay_alu instid0(VALU_DEP_2) | instskip(NEXT) | instid1(VALU_DEP_2)
	v_and_b32_e32 v1, 0x80000000, v1
	v_lshl_add_u32 v5, v6, 23, 0x37800000
	s_delay_alu instid0(VALU_DEP_3) | instskip(NEXT) | instid1(VALU_DEP_1)
	v_lshlrev_b32_e32 v4, 21, v4
	v_or3_b32 v1, v1, v5, v4
	s_delay_alu instid0(VALU_DEP_1)
	v_cvt_i32_f32_e32 v4, v1
.LBB38_594:
	s_or_b32 exec_lo, exec_lo, s28
	s_mov_b32 s28, 0
	s_branch .LBB38_600
.LBB38_595:
	s_mov_b32 s29, -1
                                        ; implicit-def: $vgpr4
	s_branch .LBB38_606
.LBB38_596:
	s_and_not1_saveexec_b32 s28, s28
	s_cbranch_execz .LBB38_581
.LBB38_597:
	v_cmp_ne_u16_e32 vcc_lo, 0, v1
	s_and_not1_b32 s29, s29, exec_lo
	s_and_b32 s30, vcc_lo, exec_lo
	s_delay_alu instid0(SALU_CYCLE_1)
	s_or_b32 s29, s29, s30
	s_or_b32 exec_lo, exec_lo, s28
	v_mov_b32_e32 v4, 0
	s_and_saveexec_b32 s28, s29
	s_cbranch_execnz .LBB38_582
	s_branch .LBB38_583
.LBB38_598:
	s_mov_b32 s28, -1
                                        ; implicit-def: $vgpr4
	s_branch .LBB38_603
.LBB38_599:
	s_mov_b32 s28, -1
                                        ; implicit-def: $vgpr4
.LBB38_600:
	s_delay_alu instid0(SALU_CYCLE_1)
	s_and_b32 vcc_lo, exec_lo, s28
	s_cbranch_vccz .LBB38_602
; %bb.601:
	s_wait_loadcnt 0x0
	global_load_u8 v1, v[2:3], off
	s_wait_loadcnt 0x0
	v_lshlrev_b32_e32 v1, 24, v1
	s_delay_alu instid0(VALU_DEP_1) | instskip(NEXT) | instid1(VALU_DEP_1)
	v_and_b32_e32 v4, 0x7f000000, v1
	v_clz_i32_u32_e32 v5, v4
	v_cmp_ne_u32_e32 vcc_lo, 0, v4
	v_add_nc_u32_e32 v7, 0x1000000, v4
	s_delay_alu instid0(VALU_DEP_3) | instskip(NEXT) | instid1(VALU_DEP_1)
	v_min_u32_e32 v5, 32, v5
	v_sub_nc_u32_e64 v5, v5, 4 clamp
	s_delay_alu instid0(VALU_DEP_1) | instskip(NEXT) | instid1(VALU_DEP_1)
	v_dual_lshlrev_b32 v6, v5, v4 :: v_dual_lshlrev_b32 v5, 23, v5
	v_lshrrev_b32_e32 v6, 4, v6
	s_delay_alu instid0(VALU_DEP_1) | instskip(NEXT) | instid1(VALU_DEP_1)
	v_dual_sub_nc_u32 v5, v6, v5 :: v_dual_ashrrev_i32 v6, 8, v7
	v_add_nc_u32_e32 v5, 0x3c000000, v5
	s_delay_alu instid0(VALU_DEP_1) | instskip(NEXT) | instid1(VALU_DEP_1)
	v_and_or_b32 v5, 0x7f800000, v6, v5
	v_cndmask_b32_e32 v4, 0, v5, vcc_lo
	s_delay_alu instid0(VALU_DEP_1) | instskip(NEXT) | instid1(VALU_DEP_1)
	v_and_or_b32 v1, 0x80000000, v1, v4
	v_cvt_i32_f32_e32 v4, v1
.LBB38_602:
	s_mov_b32 s28, 0
.LBB38_603:
	s_delay_alu instid0(SALU_CYCLE_1)
	s_and_not1_b32 vcc_lo, exec_lo, s28
	s_cbranch_vccnz .LBB38_605
; %bb.604:
	s_wait_loadcnt 0x0
	global_load_u8 v1, v[2:3], off
	s_wait_loadcnt 0x0
	v_lshlrev_b32_e32 v4, 25, v1
	v_lshlrev_b16 v1, 8, v1
	s_delay_alu instid0(VALU_DEP_1) | instskip(SKIP_1) | instid1(VALU_DEP_2)
	v_and_or_b32 v6, 0x7f00, v1, 0.5
	v_bfe_i32 v1, v1, 0, 16
	v_dual_add_f32 v6, -0.5, v6 :: v_dual_lshrrev_b32 v5, 4, v4
	v_cmp_gt_u32_e32 vcc_lo, 0x8000000, v4
	s_delay_alu instid0(VALU_DEP_2) | instskip(NEXT) | instid1(VALU_DEP_1)
	v_or_b32_e32 v5, 0x70000000, v5
	v_mul_f32_e32 v5, 0x7800000, v5
	s_delay_alu instid0(VALU_DEP_1) | instskip(NEXT) | instid1(VALU_DEP_1)
	v_cndmask_b32_e32 v4, v5, v6, vcc_lo
	v_and_or_b32 v1, 0x80000000, v1, v4
	s_delay_alu instid0(VALU_DEP_1)
	v_cvt_i32_f32_e32 v4, v1
.LBB38_605:
	s_mov_b32 s29, 0
	s_mov_b32 s28, -1
.LBB38_606:
	s_and_not1_b32 vcc_lo, exec_lo, s29
	s_cbranch_vccnz .LBB38_619
; %bb.607:
	s_cmp_gt_i32 s25, 14
	s_cbranch_scc0 .LBB38_610
; %bb.608:
	s_cmp_eq_u32 s25, 15
	s_cbranch_scc0 .LBB38_613
; %bb.609:
	s_wait_loadcnt 0x0
	global_load_u16 v1, v[2:3], off
	s_mov_b32 s28, -1
	s_mov_b32 s24, 0
	s_wait_loadcnt 0x0
	v_lshlrev_b32_e32 v1, 16, v1
	s_delay_alu instid0(VALU_DEP_1)
	v_cvt_i32_f32_e32 v4, v1
	s_branch .LBB38_614
.LBB38_610:
	s_mov_b32 s29, -1
                                        ; implicit-def: $vgpr4
	s_branch .LBB38_615
.LBB38_611:
	s_and_not1_saveexec_b32 s28, s28
	s_cbranch_execz .LBB38_592
.LBB38_612:
	v_cmp_ne_u16_e32 vcc_lo, 0, v1
	s_and_not1_b32 s29, s29, exec_lo
	s_and_b32 s30, vcc_lo, exec_lo
	s_delay_alu instid0(SALU_CYCLE_1)
	s_or_b32 s29, s29, s30
	s_or_b32 exec_lo, exec_lo, s28
	v_mov_b32_e32 v4, 0
	s_and_saveexec_b32 s28, s29
	s_cbranch_execnz .LBB38_593
	s_branch .LBB38_594
.LBB38_613:
	s_mov_b32 s24, -1
                                        ; implicit-def: $vgpr4
.LBB38_614:
	s_mov_b32 s29, 0
.LBB38_615:
	s_delay_alu instid0(SALU_CYCLE_1)
	s_and_b32 vcc_lo, exec_lo, s29
	s_cbranch_vccz .LBB38_619
; %bb.616:
	s_cmp_eq_u32 s25, 11
	s_cbranch_scc0 .LBB38_618
; %bb.617:
	s_wait_loadcnt 0x0
	global_load_u8 v1, v[2:3], off
	s_mov_b32 s24, 0
	s_mov_b32 s28, -1
	s_wait_loadcnt 0x0
	v_cmp_ne_u16_e32 vcc_lo, 0, v1
	v_cndmask_b32_e64 v4, 0, 1, vcc_lo
	s_branch .LBB38_619
.LBB38_618:
	s_mov_b32 s24, -1
                                        ; implicit-def: $vgpr4
.LBB38_619:
	s_mov_b32 s25, 0
.LBB38_620:
	s_delay_alu instid0(SALU_CYCLE_1)
	s_and_b32 vcc_lo, exec_lo, s25
	s_cbranch_vccz .LBB38_669
; %bb.621:
	s_and_b32 s0, 0xffff, s0
	s_delay_alu instid0(SALU_CYCLE_1)
	s_cmp_lt_i32 s0, 5
	s_cbranch_scc1 .LBB38_626
; %bb.622:
	s_cmp_lt_i32 s0, 8
	s_cbranch_scc1 .LBB38_627
; %bb.623:
	;; [unrolled: 3-line block ×3, first 2 shown]
	s_cmp_gt_i32 s0, 9
	s_cbranch_scc0 .LBB38_629
; %bb.625:
	s_wait_loadcnt 0x0
	global_load_b64 v[4:5], v[2:3], off
	s_mov_b32 s25, 0
	s_wait_loadcnt 0x0
	v_cvt_i32_f64_e32 v4, v[4:5]
	s_branch .LBB38_630
.LBB38_626:
	s_mov_b32 s25, -1
                                        ; implicit-def: $vgpr4
	s_branch .LBB38_648
.LBB38_627:
	s_mov_b32 s25, -1
                                        ; implicit-def: $vgpr4
	s_branch .LBB38_636
.LBB38_628:
	s_mov_b32 s25, -1
                                        ; implicit-def: $vgpr4
	s_branch .LBB38_633
.LBB38_629:
	s_mov_b32 s25, -1
                                        ; implicit-def: $vgpr4
.LBB38_630:
	s_delay_alu instid0(SALU_CYCLE_1)
	s_and_not1_b32 vcc_lo, exec_lo, s25
	s_cbranch_vccnz .LBB38_632
; %bb.631:
	s_wait_loadcnt 0x0
	global_load_b32 v1, v[2:3], off
	s_wait_loadcnt 0x0
	v_cvt_i32_f32_e32 v4, v1
.LBB38_632:
	s_mov_b32 s25, 0
.LBB38_633:
	s_delay_alu instid0(SALU_CYCLE_1)
	s_and_not1_b32 vcc_lo, exec_lo, s25
	s_cbranch_vccnz .LBB38_635
; %bb.634:
	s_wait_loadcnt 0x0
	global_load_b32 v1, v[2:3], off
	s_wait_loadcnt 0x0
	v_cvt_i16_f16_e32 v4, v1
.LBB38_635:
	s_mov_b32 s25, 0
.LBB38_636:
	s_delay_alu instid0(SALU_CYCLE_1)
	s_and_not1_b32 vcc_lo, exec_lo, s25
	s_cbranch_vccnz .LBB38_647
; %bb.637:
	s_cmp_lt_i32 s0, 6
	s_cbranch_scc1 .LBB38_640
; %bb.638:
	s_cmp_gt_i32 s0, 6
	s_cbranch_scc0 .LBB38_641
; %bb.639:
	s_wait_loadcnt 0x0
	global_load_b64 v[4:5], v[2:3], off
	s_mov_b32 s25, 0
	s_wait_loadcnt 0x0
	v_cvt_i32_f64_e32 v4, v[4:5]
	s_branch .LBB38_642
.LBB38_640:
	s_mov_b32 s25, -1
                                        ; implicit-def: $vgpr4
	s_branch .LBB38_645
.LBB38_641:
	s_mov_b32 s25, -1
                                        ; implicit-def: $vgpr4
.LBB38_642:
	s_delay_alu instid0(SALU_CYCLE_1)
	s_and_not1_b32 vcc_lo, exec_lo, s25
	s_cbranch_vccnz .LBB38_644
; %bb.643:
	s_wait_loadcnt 0x0
	global_load_b32 v1, v[2:3], off
	s_wait_loadcnt 0x0
	v_cvt_i32_f32_e32 v4, v1
.LBB38_644:
	s_mov_b32 s25, 0
.LBB38_645:
	s_delay_alu instid0(SALU_CYCLE_1)
	s_and_not1_b32 vcc_lo, exec_lo, s25
	s_cbranch_vccnz .LBB38_647
; %bb.646:
	s_wait_loadcnt 0x0
	global_load_u16 v1, v[2:3], off
	s_wait_loadcnt 0x0
	v_cvt_i16_f16_e32 v4, v1
.LBB38_647:
	s_mov_b32 s25, 0
.LBB38_648:
	s_delay_alu instid0(SALU_CYCLE_1)
	s_and_not1_b32 vcc_lo, exec_lo, s25
	s_cbranch_vccnz .LBB38_668
; %bb.649:
	s_cmp_lt_i32 s0, 2
	s_cbranch_scc1 .LBB38_653
; %bb.650:
	s_cmp_lt_i32 s0, 3
	s_cbranch_scc1 .LBB38_654
; %bb.651:
	s_cmp_gt_i32 s0, 3
	s_cbranch_scc0 .LBB38_655
; %bb.652:
	s_wait_loadcnt 0x0
	global_load_b64 v[4:5], v[2:3], off
	s_mov_b32 s25, 0
	s_branch .LBB38_656
.LBB38_653:
	s_mov_b32 s25, -1
                                        ; implicit-def: $vgpr4
	s_branch .LBB38_662
.LBB38_654:
	s_mov_b32 s25, -1
                                        ; implicit-def: $vgpr4
	s_branch .LBB38_659
.LBB38_655:
	s_mov_b32 s25, -1
                                        ; implicit-def: $vgpr4
.LBB38_656:
	s_delay_alu instid0(SALU_CYCLE_1)
	s_and_not1_b32 vcc_lo, exec_lo, s25
	s_cbranch_vccnz .LBB38_658
; %bb.657:
	s_wait_loadcnt 0x0
	global_load_b32 v4, v[2:3], off
.LBB38_658:
	s_mov_b32 s25, 0
.LBB38_659:
	s_delay_alu instid0(SALU_CYCLE_1)
	s_and_not1_b32 vcc_lo, exec_lo, s25
	s_cbranch_vccnz .LBB38_661
; %bb.660:
	s_wait_loadcnt 0x0
	global_load_u16 v4, v[2:3], off
.LBB38_661:
	s_mov_b32 s25, 0
.LBB38_662:
	s_delay_alu instid0(SALU_CYCLE_1)
	s_and_not1_b32 vcc_lo, exec_lo, s25
	s_cbranch_vccnz .LBB38_668
; %bb.663:
	s_cmp_gt_i32 s0, 0
	s_mov_b32 s0, 0
	s_cbranch_scc0 .LBB38_665
; %bb.664:
	s_wait_loadcnt 0x0
	global_load_u8 v4, v[2:3], off
	s_branch .LBB38_666
.LBB38_665:
	s_mov_b32 s0, -1
                                        ; implicit-def: $vgpr4
.LBB38_666:
	s_delay_alu instid0(SALU_CYCLE_1)
	s_and_not1_b32 vcc_lo, exec_lo, s0
	s_cbranch_vccnz .LBB38_668
; %bb.667:
	s_wait_loadcnt 0x0
	global_load_u8 v4, v[2:3], off
.LBB38_668:
	s_mov_b32 s28, -1
.LBB38_669:
	s_delay_alu instid0(SALU_CYCLE_1)
	s_and_not1_b32 vcc_lo, exec_lo, s28
	s_cbranch_vccnz .LBB38_677
; %bb.670:
	s_wait_xcnt 0x0
	v_mul_lo_u32 v2, v18, s14
	s_wait_loadcnt 0x0
	v_mul_lo_u16 v5, v0, s6
	s_and_b32 s25, s1, 0xff
	s_delay_alu instid0(SALU_CYCLE_1) | instskip(NEXT) | instid1(VALU_DEP_2)
	s_cmp_lt_i32 s25, 11
	v_ashrrev_i32_e32 v3, 31, v2
	s_delay_alu instid0(VALU_DEP_1)
	v_add_nc_u64_e32 v[0:1], s[2:3], v[2:3]
	v_mul_lo_u16 v2, v5, v4
	s_cbranch_scc1 .LBB38_678
; %bb.671:
	s_and_b32 s28, 0xffff, s25
	s_delay_alu instid0(SALU_CYCLE_1)
	s_cmp_gt_i32 s28, 25
	s_cbranch_scc0 .LBB38_679
; %bb.672:
	s_cmp_gt_i32 s28, 28
	s_cbranch_scc0 .LBB38_680
; %bb.673:
	;; [unrolled: 3-line block ×4, first 2 shown]
	s_mov_b32 s30, 0
	s_mov_b32 s0, -1
	s_cmp_eq_u32 s28, 46
	s_mov_b32 s29, 0
	s_cbranch_scc0 .LBB38_683
; %bb.676:
	v_bfe_i32 v3, v2, 0, 8
	s_mov_b32 s29, -1
	s_mov_b32 s0, 0
	s_delay_alu instid0(VALU_DEP_1) | instskip(NEXT) | instid1(VALU_DEP_1)
	v_bfe_i32 v3, v3, 0, 16
	v_cvt_f32_i32_e32 v3, v3
	s_delay_alu instid0(VALU_DEP_1) | instskip(NEXT) | instid1(VALU_DEP_1)
	v_bfe_u32 v4, v3, 16, 1
	v_add3_u32 v3, v3, v4, 0x7fff
	s_delay_alu instid0(VALU_DEP_1)
	v_lshrrev_b32_e32 v3, 16, v3
	global_store_b32 v[0:1], v3, off
	s_branch .LBB38_683
.LBB38_677:
	s_mov_b32 s28, 0
	s_mov_b32 s0, s17
	s_branch .LBB38_422
.LBB38_678:
	s_mov_b32 s28, -1
	s_mov_b32 s29, 0
	s_mov_b32 s0, s17
	s_branch .LBB38_752
.LBB38_679:
	s_mov_b32 s30, -1
	s_mov_b32 s29, 0
	s_mov_b32 s0, s17
	s_branch .LBB38_710
.LBB38_680:
	s_mov_b32 s30, -1
	s_mov_b32 s29, 0
	s_mov_b32 s0, s17
	s_branch .LBB38_693
.LBB38_681:
	s_mov_b32 s30, -1
	s_mov_b32 s29, 0
	s_mov_b32 s0, s17
	s_branch .LBB38_689
.LBB38_682:
	s_mov_b32 s30, -1
	s_mov_b32 s29, 0
	s_mov_b32 s0, s17
.LBB38_683:
	s_and_b32 vcc_lo, exec_lo, s30
	s_cbranch_vccz .LBB38_688
; %bb.684:
	s_cmp_eq_u32 s28, 44
	s_mov_b32 s0, -1
	s_cbranch_scc0 .LBB38_688
; %bb.685:
	s_wait_xcnt 0x0
	v_bfe_i32 v3, v2, 0, 8
	v_mov_b32_e32 v4, 0xff
	s_mov_b32 s29, exec_lo
	s_delay_alu instid0(VALU_DEP_2) | instskip(NEXT) | instid1(VALU_DEP_1)
	v_bfe_i32 v3, v3, 0, 16
	v_cvt_f32_i32_e32 v3, v3
	s_delay_alu instid0(VALU_DEP_1) | instskip(NEXT) | instid1(VALU_DEP_1)
	v_bfe_u32 v5, v3, 23, 8
	v_cmpx_ne_u32_e32 0xff, v5
	s_cbranch_execz .LBB38_687
; %bb.686:
	v_and_b32_e32 v4, 0x400000, v3
	v_and_or_b32 v5, 0x3fffff, v3, v5
	v_lshrrev_b32_e32 v3, 23, v3
	s_delay_alu instid0(VALU_DEP_3) | instskip(NEXT) | instid1(VALU_DEP_3)
	v_cmp_ne_u32_e32 vcc_lo, 0, v4
	v_cmp_ne_u32_e64 s0, 0, v5
	s_and_b32 s0, vcc_lo, s0
	s_delay_alu instid0(SALU_CYCLE_1) | instskip(NEXT) | instid1(VALU_DEP_1)
	v_cndmask_b32_e64 v4, 0, 1, s0
	v_add_nc_u32_e32 v4, v3, v4
.LBB38_687:
	s_or_b32 exec_lo, exec_lo, s29
	s_mov_b32 s29, -1
	s_mov_b32 s0, 0
	global_store_b8 v[0:1], v4, off
.LBB38_688:
	s_mov_b32 s30, 0
.LBB38_689:
	s_delay_alu instid0(SALU_CYCLE_1)
	s_and_b32 vcc_lo, exec_lo, s30
	s_cbranch_vccz .LBB38_692
; %bb.690:
	s_cmp_eq_u32 s28, 29
	s_mov_b32 s0, -1
	s_cbranch_scc0 .LBB38_692
; %bb.691:
	s_wait_xcnt 0x0
	v_bfe_i32 v4, v2, 0, 8
	s_mov_b32 s29, -1
	s_mov_b32 s0, 0
	s_mov_b32 s30, 0
	s_delay_alu instid0(VALU_DEP_1)
	v_ashrrev_i32_e32 v5, 31, v4
	global_store_b64 v[0:1], v[4:5], off
	s_branch .LBB38_693
.LBB38_692:
	s_mov_b32 s30, 0
.LBB38_693:
	s_delay_alu instid0(SALU_CYCLE_1)
	s_and_b32 vcc_lo, exec_lo, s30
	s_cbranch_vccz .LBB38_709
; %bb.694:
	s_cmp_lt_i32 s28, 27
	s_mov_b32 s29, -1
	s_cbranch_scc1 .LBB38_700
; %bb.695:
	s_cmp_gt_i32 s28, 27
	s_cbranch_scc0 .LBB38_697
; %bb.696:
	s_wait_xcnt 0x0
	v_bfe_i32 v3, v2, 0, 8
	s_mov_b32 s29, 0
	global_store_b32 v[0:1], v3, off
.LBB38_697:
	s_and_not1_b32 vcc_lo, exec_lo, s29
	s_cbranch_vccnz .LBB38_699
; %bb.698:
	s_wait_xcnt 0x0
	v_bfe_i32 v3, v2, 0, 8
	global_store_b16 v[0:1], v3, off
.LBB38_699:
	s_mov_b32 s29, 0
.LBB38_700:
	s_delay_alu instid0(SALU_CYCLE_1)
	s_and_not1_b32 vcc_lo, exec_lo, s29
	s_cbranch_vccnz .LBB38_708
; %bb.701:
	s_wait_xcnt 0x0
	v_bfe_i32 v3, v2, 0, 8
	v_mov_b32_e32 v5, 0x80
	s_mov_b32 s29, exec_lo
	s_delay_alu instid0(VALU_DEP_2) | instskip(NEXT) | instid1(VALU_DEP_1)
	v_bfe_i32 v3, v3, 0, 16
	v_cvt_f32_i32_e32 v3, v3
	s_delay_alu instid0(VALU_DEP_1) | instskip(NEXT) | instid1(VALU_DEP_1)
	v_and_b32_e32 v4, 0x7fffffff, v3
	v_cmpx_gt_u32_e32 0x43800000, v4
	s_cbranch_execz .LBB38_707
; %bb.702:
	v_cmp_lt_u32_e32 vcc_lo, 0x3bffffff, v4
	s_mov_b32 s30, 0
                                        ; implicit-def: $vgpr4
	s_and_saveexec_b32 s31, vcc_lo
	s_delay_alu instid0(SALU_CYCLE_1)
	s_xor_b32 s31, exec_lo, s31
	s_cbranch_execz .LBB38_830
; %bb.703:
	v_bfe_u32 v4, v3, 20, 1
	s_mov_b32 s30, exec_lo
	s_delay_alu instid0(VALU_DEP_1) | instskip(NEXT) | instid1(VALU_DEP_1)
	v_add3_u32 v4, v3, v4, 0x487ffff
	v_lshrrev_b32_e32 v4, 20, v4
	s_and_not1_saveexec_b32 s31, s31
	s_cbranch_execnz .LBB38_831
.LBB38_704:
	s_or_b32 exec_lo, exec_lo, s31
	v_mov_b32_e32 v5, 0
	s_and_saveexec_b32 s31, s30
.LBB38_705:
	v_lshrrev_b32_e32 v3, 24, v3
	s_delay_alu instid0(VALU_DEP_1)
	v_and_or_b32 v5, 0x80, v3, v4
.LBB38_706:
	s_or_b32 exec_lo, exec_lo, s31
.LBB38_707:
	s_delay_alu instid0(SALU_CYCLE_1)
	s_or_b32 exec_lo, exec_lo, s29
	global_store_b8 v[0:1], v5, off
.LBB38_708:
	s_mov_b32 s29, -1
.LBB38_709:
	s_mov_b32 s30, 0
.LBB38_710:
	s_delay_alu instid0(SALU_CYCLE_1)
	s_and_b32 vcc_lo, exec_lo, s30
	s_cbranch_vccz .LBB38_751
; %bb.711:
	s_cmp_gt_i32 s28, 22
	s_mov_b32 s30, -1
	s_cbranch_scc0 .LBB38_743
; %bb.712:
	s_cmp_lt_i32 s28, 24
	s_mov_b32 s29, -1
	s_cbranch_scc1 .LBB38_732
; %bb.713:
	s_cmp_gt_i32 s28, 24
	s_cbranch_scc0 .LBB38_721
; %bb.714:
	s_wait_xcnt 0x0
	v_bfe_i32 v3, v2, 0, 8
	v_mov_b32_e32 v5, 0x80
	s_mov_b32 s29, exec_lo
	s_delay_alu instid0(VALU_DEP_2) | instskip(NEXT) | instid1(VALU_DEP_1)
	v_bfe_i32 v3, v3, 0, 16
	v_cvt_f32_i32_e32 v3, v3
	s_delay_alu instid0(VALU_DEP_1) | instskip(NEXT) | instid1(VALU_DEP_1)
	v_and_b32_e32 v4, 0x7fffffff, v3
	v_cmpx_gt_u32_e32 0x47800000, v4
	s_cbranch_execz .LBB38_720
; %bb.715:
	v_cmp_lt_u32_e32 vcc_lo, 0x37ffffff, v4
	s_mov_b32 s30, 0
                                        ; implicit-def: $vgpr4
	s_and_saveexec_b32 s31, vcc_lo
	s_delay_alu instid0(SALU_CYCLE_1)
	s_xor_b32 s31, exec_lo, s31
	s_cbranch_execz .LBB38_957
; %bb.716:
	v_bfe_u32 v4, v3, 21, 1
	s_mov_b32 s30, exec_lo
	s_delay_alu instid0(VALU_DEP_1) | instskip(NEXT) | instid1(VALU_DEP_1)
	v_add3_u32 v4, v3, v4, 0x88fffff
	v_lshrrev_b32_e32 v4, 21, v4
	s_and_not1_saveexec_b32 s31, s31
	s_cbranch_execnz .LBB38_958
.LBB38_717:
	s_or_b32 exec_lo, exec_lo, s31
	v_mov_b32_e32 v5, 0
	s_and_saveexec_b32 s31, s30
.LBB38_718:
	v_lshrrev_b32_e32 v3, 24, v3
	s_delay_alu instid0(VALU_DEP_1)
	v_and_or_b32 v5, 0x80, v3, v4
.LBB38_719:
	s_or_b32 exec_lo, exec_lo, s31
.LBB38_720:
	s_delay_alu instid0(SALU_CYCLE_1)
	s_or_b32 exec_lo, exec_lo, s29
	s_mov_b32 s29, 0
	global_store_b8 v[0:1], v5, off
.LBB38_721:
	s_and_b32 vcc_lo, exec_lo, s29
	s_cbranch_vccz .LBB38_731
; %bb.722:
	s_wait_xcnt 0x0
	v_bfe_i32 v3, v2, 0, 8
	s_mov_b32 s29, exec_lo
                                        ; implicit-def: $vgpr4
	s_delay_alu instid0(VALU_DEP_1) | instskip(NEXT) | instid1(VALU_DEP_1)
	v_bfe_i32 v3, v3, 0, 16
	v_cvt_f32_i32_e32 v3, v3
	s_delay_alu instid0(VALU_DEP_1) | instskip(NEXT) | instid1(VALU_DEP_1)
	v_and_b32_e32 v5, 0x7fffffff, v3
	v_cmpx_gt_u32_e32 0x43f00000, v5
	s_xor_b32 s29, exec_lo, s29
	s_cbranch_execz .LBB38_728
; %bb.723:
	s_mov_b32 s30, exec_lo
                                        ; implicit-def: $vgpr4
	v_cmpx_lt_u32_e32 0x3c7fffff, v5
	s_xor_b32 s30, exec_lo, s30
; %bb.724:
	v_bfe_u32 v4, v3, 20, 1
	s_delay_alu instid0(VALU_DEP_1) | instskip(NEXT) | instid1(VALU_DEP_1)
	v_add3_u32 v4, v3, v4, 0x407ffff
	v_and_b32_e32 v5, 0xff00000, v4
	v_lshrrev_b32_e32 v4, 20, v4
	s_delay_alu instid0(VALU_DEP_2) | instskip(NEXT) | instid1(VALU_DEP_2)
	v_cmp_ne_u32_e32 vcc_lo, 0x7f00000, v5
	v_cndmask_b32_e32 v4, 0x7e, v4, vcc_lo
; %bb.725:
	s_and_not1_saveexec_b32 s30, s30
; %bb.726:
	v_add_f32_e64 v4, 0x46800000, |v3|
; %bb.727:
	s_or_b32 exec_lo, exec_lo, s30
                                        ; implicit-def: $vgpr5
.LBB38_728:
	s_and_not1_saveexec_b32 s29, s29
; %bb.729:
	v_mov_b32_e32 v4, 0x7f
	v_cmp_lt_u32_e32 vcc_lo, 0x7f800000, v5
	s_delay_alu instid0(VALU_DEP_2)
	v_cndmask_b32_e32 v4, 0x7e, v4, vcc_lo
; %bb.730:
	s_or_b32 exec_lo, exec_lo, s29
	v_lshrrev_b32_e32 v3, 24, v3
	s_delay_alu instid0(VALU_DEP_1)
	v_and_or_b32 v3, 0x80, v3, v4
	global_store_b8 v[0:1], v3, off
.LBB38_731:
	s_mov_b32 s29, 0
.LBB38_732:
	s_delay_alu instid0(SALU_CYCLE_1)
	s_and_not1_b32 vcc_lo, exec_lo, s29
	s_cbranch_vccnz .LBB38_742
; %bb.733:
	s_wait_xcnt 0x0
	v_bfe_i32 v3, v2, 0, 8
	s_mov_b32 s29, exec_lo
                                        ; implicit-def: $vgpr4
	s_delay_alu instid0(VALU_DEP_1) | instskip(NEXT) | instid1(VALU_DEP_1)
	v_bfe_i32 v3, v3, 0, 16
	v_cvt_f32_i32_e32 v3, v3
	s_delay_alu instid0(VALU_DEP_1) | instskip(NEXT) | instid1(VALU_DEP_1)
	v_and_b32_e32 v5, 0x7fffffff, v3
	v_cmpx_gt_u32_e32 0x47800000, v5
	s_xor_b32 s29, exec_lo, s29
	s_cbranch_execz .LBB38_739
; %bb.734:
	s_mov_b32 s30, exec_lo
                                        ; implicit-def: $vgpr4
	v_cmpx_lt_u32_e32 0x387fffff, v5
	s_xor_b32 s30, exec_lo, s30
; %bb.735:
	v_bfe_u32 v4, v3, 21, 1
	s_delay_alu instid0(VALU_DEP_1) | instskip(NEXT) | instid1(VALU_DEP_1)
	v_add3_u32 v4, v3, v4, 0x80fffff
	v_lshrrev_b32_e32 v4, 21, v4
; %bb.736:
	s_and_not1_saveexec_b32 s30, s30
; %bb.737:
	v_add_f32_e64 v4, 0x43000000, |v3|
; %bb.738:
	s_or_b32 exec_lo, exec_lo, s30
                                        ; implicit-def: $vgpr5
.LBB38_739:
	s_and_not1_saveexec_b32 s29, s29
; %bb.740:
	v_mov_b32_e32 v4, 0x7f
	v_cmp_lt_u32_e32 vcc_lo, 0x7f800000, v5
	s_delay_alu instid0(VALU_DEP_2)
	v_cndmask_b32_e32 v4, 0x7c, v4, vcc_lo
; %bb.741:
	s_or_b32 exec_lo, exec_lo, s29
	v_lshrrev_b32_e32 v3, 24, v3
	s_delay_alu instid0(VALU_DEP_1)
	v_and_or_b32 v3, 0x80, v3, v4
	global_store_b8 v[0:1], v3, off
.LBB38_742:
	s_mov_b32 s30, 0
	s_mov_b32 s29, -1
.LBB38_743:
	s_and_not1_b32 vcc_lo, exec_lo, s30
	s_cbranch_vccnz .LBB38_751
; %bb.744:
	s_cmp_gt_i32 s28, 14
	s_mov_b32 s30, -1
	s_cbranch_scc0 .LBB38_748
; %bb.745:
	s_cmp_eq_u32 s28, 15
	s_mov_b32 s0, -1
	s_cbranch_scc0 .LBB38_747
; %bb.746:
	s_wait_xcnt 0x0
	v_bfe_i32 v3, v2, 0, 8
	s_mov_b32 s29, -1
	s_mov_b32 s0, 0
	s_delay_alu instid0(VALU_DEP_1) | instskip(NEXT) | instid1(VALU_DEP_1)
	v_bfe_i32 v3, v3, 0, 16
	v_cvt_f32_i32_e32 v3, v3
	s_delay_alu instid0(VALU_DEP_1) | instskip(NEXT) | instid1(VALU_DEP_1)
	v_bfe_u32 v4, v3, 16, 1
	v_add3_u32 v3, v3, v4, 0x7fff
	global_store_d16_hi_b16 v[0:1], v3, off
.LBB38_747:
	s_mov_b32 s30, 0
.LBB38_748:
	s_delay_alu instid0(SALU_CYCLE_1)
	s_and_b32 vcc_lo, exec_lo, s30
	s_cbranch_vccz .LBB38_751
; %bb.749:
	s_cmp_eq_u32 s28, 11
	s_mov_b32 s0, -1
	s_cbranch_scc0 .LBB38_751
; %bb.750:
	s_wait_xcnt 0x0
	v_and_b32_e32 v3, 0xff, v2
	s_mov_b32 s0, 0
	s_mov_b32 s29, -1
	s_delay_alu instid0(VALU_DEP_1)
	v_cmp_ne_u16_e32 vcc_lo, 0, v3
	v_cndmask_b32_e64 v3, 0, 1, vcc_lo
	global_store_b8 v[0:1], v3, off
.LBB38_751:
	s_mov_b32 s28, 0
.LBB38_752:
	s_delay_alu instid0(SALU_CYCLE_1)
	s_and_b32 vcc_lo, exec_lo, s28
	s_cbranch_vccz .LBB38_791
; %bb.753:
	s_and_b32 s25, 0xffff, s25
	s_mov_b32 s28, -1
	s_cmp_lt_i32 s25, 5
	s_cbranch_scc1 .LBB38_774
; %bb.754:
	s_cmp_lt_i32 s25, 8
	s_cbranch_scc1 .LBB38_764
; %bb.755:
	s_cmp_lt_i32 s25, 9
	s_cbranch_scc1 .LBB38_761
; %bb.756:
	s_cmp_gt_i32 s25, 9
	s_cbranch_scc0 .LBB38_758
; %bb.757:
	s_wait_xcnt 0x0
	v_bfe_i32 v3, v2, 0, 8
	v_mov_b32_e32 v6, 0
	s_mov_b32 s28, 0
	s_delay_alu instid0(VALU_DEP_2) | instskip(NEXT) | instid1(VALU_DEP_2)
	v_bfe_i32 v3, v3, 0, 16
	v_mov_b32_e32 v7, v6
	s_delay_alu instid0(VALU_DEP_2)
	v_cvt_f64_i32_e32 v[4:5], v3
	global_store_b128 v[0:1], v[4:7], off
.LBB38_758:
	s_and_not1_b32 vcc_lo, exec_lo, s28
	s_cbranch_vccnz .LBB38_760
; %bb.759:
	s_wait_xcnt 0x0
	v_bfe_i32 v3, v2, 0, 8
	v_mov_b32_e32 v5, 0
	s_delay_alu instid0(VALU_DEP_2) | instskip(NEXT) | instid1(VALU_DEP_1)
	v_bfe_i32 v3, v3, 0, 16
	v_cvt_f32_i32_e32 v4, v3
	global_store_b64 v[0:1], v[4:5], off
.LBB38_760:
	s_mov_b32 s28, 0
.LBB38_761:
	s_delay_alu instid0(SALU_CYCLE_1)
	s_and_not1_b32 vcc_lo, exec_lo, s28
	s_cbranch_vccnz .LBB38_763
; %bb.762:
	s_wait_xcnt 0x0
	v_bfe_i32 v3, v2, 0, 8
	s_delay_alu instid0(VALU_DEP_1) | instskip(NEXT) | instid1(VALU_DEP_1)
	v_cvt_f16_i16_e32 v3, v3
	v_and_b32_e32 v3, 0xffff, v3
	global_store_b32 v[0:1], v3, off
.LBB38_763:
	s_mov_b32 s28, 0
.LBB38_764:
	s_delay_alu instid0(SALU_CYCLE_1)
	s_and_not1_b32 vcc_lo, exec_lo, s28
	s_cbranch_vccnz .LBB38_773
; %bb.765:
	s_cmp_lt_i32 s25, 6
	s_mov_b32 s28, -1
	s_cbranch_scc1 .LBB38_771
; %bb.766:
	s_cmp_gt_i32 s25, 6
	s_cbranch_scc0 .LBB38_768
; %bb.767:
	s_wait_xcnt 0x0
	v_bfe_i32 v3, v2, 0, 8
	s_mov_b32 s28, 0
	s_delay_alu instid0(VALU_DEP_1) | instskip(NEXT) | instid1(VALU_DEP_1)
	v_bfe_i32 v3, v3, 0, 16
	v_cvt_f64_i32_e32 v[4:5], v3
	global_store_b64 v[0:1], v[4:5], off
.LBB38_768:
	s_and_not1_b32 vcc_lo, exec_lo, s28
	s_cbranch_vccnz .LBB38_770
; %bb.769:
	s_wait_xcnt 0x0
	v_bfe_i32 v3, v2, 0, 8
	s_delay_alu instid0(VALU_DEP_1) | instskip(NEXT) | instid1(VALU_DEP_1)
	v_bfe_i32 v3, v3, 0, 16
	v_cvt_f32_i32_e32 v3, v3
	global_store_b32 v[0:1], v3, off
.LBB38_770:
	s_mov_b32 s28, 0
.LBB38_771:
	s_delay_alu instid0(SALU_CYCLE_1)
	s_and_not1_b32 vcc_lo, exec_lo, s28
	s_cbranch_vccnz .LBB38_773
; %bb.772:
	s_wait_xcnt 0x0
	v_bfe_i32 v3, v2, 0, 8
	s_delay_alu instid0(VALU_DEP_1)
	v_cvt_f16_i16_e32 v3, v3
	global_store_b16 v[0:1], v3, off
.LBB38_773:
	s_mov_b32 s28, 0
.LBB38_774:
	s_delay_alu instid0(SALU_CYCLE_1)
	s_and_not1_b32 vcc_lo, exec_lo, s28
	s_cbranch_vccnz .LBB38_790
; %bb.775:
	s_cmp_lt_i32 s25, 2
	s_mov_b32 s28, -1
	s_cbranch_scc1 .LBB38_785
; %bb.776:
	s_cmp_lt_i32 s25, 3
	s_cbranch_scc1 .LBB38_782
; %bb.777:
	s_cmp_gt_i32 s25, 3
	s_cbranch_scc0 .LBB38_779
; %bb.778:
	s_wait_xcnt 0x0
	v_bfe_i32 v4, v2, 0, 8
	s_mov_b32 s28, 0
	s_delay_alu instid0(VALU_DEP_1)
	v_ashrrev_i32_e32 v5, 31, v4
	global_store_b64 v[0:1], v[4:5], off
.LBB38_779:
	s_and_not1_b32 vcc_lo, exec_lo, s28
	s_cbranch_vccnz .LBB38_781
; %bb.780:
	s_wait_xcnt 0x0
	v_bfe_i32 v3, v2, 0, 8
	global_store_b32 v[0:1], v3, off
.LBB38_781:
	s_mov_b32 s28, 0
.LBB38_782:
	s_delay_alu instid0(SALU_CYCLE_1)
	s_and_not1_b32 vcc_lo, exec_lo, s28
	s_cbranch_vccnz .LBB38_784
; %bb.783:
	s_wait_xcnt 0x0
	v_bfe_i32 v3, v2, 0, 8
	global_store_b16 v[0:1], v3, off
.LBB38_784:
	s_mov_b32 s28, 0
.LBB38_785:
	s_delay_alu instid0(SALU_CYCLE_1)
	s_and_not1_b32 vcc_lo, exec_lo, s28
	s_cbranch_vccnz .LBB38_790
; %bb.786:
	s_cmp_gt_i32 s25, 0
	s_mov_b32 s25, -1
	s_cbranch_scc0 .LBB38_788
; %bb.787:
	s_mov_b32 s25, 0
	global_store_b8 v[0:1], v2, off
.LBB38_788:
	s_and_not1_b32 vcc_lo, exec_lo, s25
	s_cbranch_vccnz .LBB38_790
; %bb.789:
	global_store_b8 v[0:1], v2, off
.LBB38_790:
	s_mov_b32 s29, -1
.LBB38_791:
	s_delay_alu instid0(SALU_CYCLE_1)
	s_and_not1_b32 vcc_lo, exec_lo, s29
	s_cbranch_vccnz .LBB38_802
; %bb.792:
	v_add_nc_u32_e32 v18, 0x80, v18
	s_mov_b32 s28, -1
.LBB38_793:
	s_and_not1_b32 s25, s17, exec_lo
	s_and_b32 s0, s0, exec_lo
	s_and_not1_b32 s29, s19, exec_lo
	s_and_b32 s30, s24, exec_lo
	s_or_b32 s24, s25, s0
	s_or_b32 s25, s29, s30
	s_and_not1_b32 s0, s20, exec_lo
	s_and_b32 s23, s23, exec_lo
	s_and_not1_b32 s29, s21, exec_lo
	s_and_b32 s30, s26, exec_lo
	s_or_b32 s26, s0, s23
	s_or_b32 s23, s29, s30
	s_or_not1_b32 s28, s28, exec_lo
.LBB38_794:
	s_wait_xcnt 0x0
	s_or_b32 exec_lo, exec_lo, s27
	s_mov_b32 s0, 0
	s_and_saveexec_b32 s27, s28
	s_cbranch_execz .LBB38_1220
; %bb.795:
	s_mov_b32 s30, -1
	s_mov_b32 s0, s23
	s_mov_b32 s29, s26
	;; [unrolled: 1-line block ×4, first 2 shown]
	s_mov_b32 s28, exec_lo
	v_cmpx_gt_i32_e64 s18, v18
	s_cbranch_execz .LBB38_1196
; %bb.796:
	s_and_b32 s29, s15, 0xff
	s_delay_alu instid0(SALU_CYCLE_1)
	s_cmp_lt_i32 s29, 23
	s_cbranch_scc1 .LBB38_800
; %bb.797:
	s_and_b32 s31, 0xffff, s29
	s_delay_alu instid0(SALU_CYCLE_1)
	s_cmp_gt_i32 s31, 43
	s_cbranch_scc0 .LBB38_801
; %bb.798:
	s_cmp_gt_i32 s31, 45
	s_cbranch_scc0 .LBB38_803
; %bb.799:
	s_cmp_eq_u32 s31, 46
	s_mov_b32 s33, 0
	s_cselect_b32 s0, -1, 0
	s_or_b32 s30, s23, exec_lo
	s_branch .LBB38_804
.LBB38_800:
	s_mov_b32 s31, -1
	s_mov_b32 s0, 0
	s_mov_b32 s30, s23
	s_branch .LBB38_810
.LBB38_801:
	s_mov_b32 s33, -1
	s_mov_b32 s0, 0
	s_mov_b32 s30, s23
	s_branch .LBB38_807
.LBB38_802:
	s_mov_b32 s28, 0
	s_branch .LBB38_422
.LBB38_803:
	s_mov_b32 s33, -1
	s_mov_b32 s0, 0
	s_mov_b32 s30, s23
.LBB38_804:
	s_and_not1_b32 vcc_lo, exec_lo, s33
	s_cbranch_vccnz .LBB38_806
; %bb.805:
	s_cmp_eq_u32 s31, 44
	s_cselect_b32 s0, -1, 0
	s_cmp_lg_u32 s31, 44
	s_cselect_b32 s33, -1, 0
	s_and_not1_b32 s30, s30, exec_lo
	s_and_b32 s33, s33, exec_lo
	s_delay_alu instid0(SALU_CYCLE_1)
	s_or_b32 s30, s30, s33
.LBB38_806:
	s_mov_b32 s33, 0
.LBB38_807:
	s_delay_alu instid0(SALU_CYCLE_1)
	s_and_b32 vcc_lo, exec_lo, s33
	s_cbranch_vccz .LBB38_809
; %bb.808:
	s_cmp_lt_i32 s31, 30
	s_cselect_b32 s0, -1, 0
	s_cmp_gt_i32 s31, 29
	s_cselect_b32 s31, -1, 0
	s_and_not1_b32 s30, s30, exec_lo
	s_and_b32 s31, s31, exec_lo
	s_delay_alu instid0(SALU_CYCLE_1)
	s_or_b32 s30, s30, s31
.LBB38_809:
	s_mov_b32 s31, 0
.LBB38_810:
	s_delay_alu instid0(SALU_CYCLE_1)
	s_and_b32 vcc_lo, exec_lo, s31
	s_cbranch_vccz .LBB38_815
; %bb.811:
	s_and_b32 s29, 0xffff, s29
	s_mov_b32 s31, -1
	s_cmp_gt_i32 s29, 14
	s_cbranch_scc0 .LBB38_813
; %bb.812:
	s_cmp_eq_u32 s29, 15
	s_cselect_b32 s0, -1, 0
	s_cmp_lg_u32 s29, 15
	s_cselect_b32 s31, -1, 0
	s_and_not1_b32 s30, s30, exec_lo
	s_and_b32 s33, s31, exec_lo
	s_mov_b32 s31, 0
	s_or_b32 s30, s30, s33
.LBB38_813:
	s_and_not1_b32 vcc_lo, exec_lo, s31
	s_cbranch_vccnz .LBB38_815
; %bb.814:
	s_cmp_lt_i32 s29, 12
	s_cselect_b32 s0, -1, 0
	s_cmp_gt_i32 s29, 11
	s_cselect_b32 s29, -1, 0
	s_and_not1_b32 s30, s30, exec_lo
	s_and_b32 s29, s29, exec_lo
	s_delay_alu instid0(SALU_CYCLE_1)
	s_or_b32 s30, s30, s29
.LBB38_815:
	s_and_b32 vcc_lo, exec_lo, s0
	s_cbranch_vccz .LBB38_823
; %bb.816:
	s_wait_loadcnt 0x0
	v_mul_lo_u32 v0, v18, s4
	s_and_b32 s0, s12, 0xff
	s_delay_alu instid0(SALU_CYCLE_1) | instskip(NEXT) | instid1(VALU_DEP_1)
	s_cmp_lt_i32 s0, 11
	v_ashrrev_i32_e32 v1, 31, v0
	s_delay_alu instid0(VALU_DEP_1)
	v_add_nc_u64_e32 v[2:3], s[8:9], v[0:1]
	s_cbranch_scc1 .LBB38_825
; %bb.817:
	s_and_b32 s30, 0xffff, s0
	s_delay_alu instid0(SALU_CYCLE_1)
	s_cmp_gt_i32 s30, 25
	s_cbranch_scc0 .LBB38_826
; %bb.818:
	s_cmp_gt_i32 s30, 28
	s_cbranch_scc0 .LBB38_827
; %bb.819:
	;; [unrolled: 3-line block ×4, first 2 shown]
	s_cmp_eq_u32 s30, 46
	s_mov_b32 s33, 0
	s_cbranch_scc0 .LBB38_832
; %bb.822:
	global_load_b32 v0, v[2:3], off
	s_mov_b32 s31, -1
	s_mov_b32 s29, 0
	s_wait_loadcnt 0x0
	v_lshlrev_b32_e32 v0, 16, v0
	s_delay_alu instid0(VALU_DEP_1)
	v_cvt_i32_f32_e32 v0, v0
	s_branch .LBB38_834
.LBB38_823:
	s_mov_b32 s34, 0
	s_mov_b32 s0, s24
	;; [unrolled: 1-line block ×4, first 2 shown]
.LBB38_824:
                                        ; implicit-def: $vgpr18
	s_branch .LBB38_1195
.LBB38_825:
	s_mov_b32 s30, -1
	s_mov_b32 s31, 0
	s_mov_b32 s29, s26
                                        ; implicit-def: $vgpr0
	s_branch .LBB38_895
.LBB38_826:
	s_mov_b32 s33, -1
	s_mov_b32 s31, 0
	s_mov_b32 s29, s26
                                        ; implicit-def: $vgpr0
	s_branch .LBB38_861
.LBB38_827:
	s_mov_b32 s33, -1
	s_mov_b32 s31, 0
	s_mov_b32 s29, s26
                                        ; implicit-def: $vgpr0
	s_branch .LBB38_844
.LBB38_828:
	s_mov_b32 s33, -1
	s_mov_b32 s31, 0
	s_mov_b32 s29, s26
                                        ; implicit-def: $vgpr0
	s_branch .LBB38_839
.LBB38_829:
	s_mov_b32 s33, -1
	s_mov_b32 s31, 0
	s_mov_b32 s29, s26
	s_branch .LBB38_833
.LBB38_830:
	s_and_not1_saveexec_b32 s31, s31
	s_cbranch_execz .LBB38_704
.LBB38_831:
	v_add_f32_e64 v4, 0x46000000, |v3|
	s_and_not1_b32 s30, s30, exec_lo
	s_delay_alu instid0(VALU_DEP_1) | instskip(NEXT) | instid1(VALU_DEP_1)
	v_and_b32_e32 v4, 0xff, v4
	v_cmp_ne_u32_e32 vcc_lo, 0, v4
	s_and_b32 s33, vcc_lo, exec_lo
	s_delay_alu instid0(SALU_CYCLE_1)
	s_or_b32 s30, s30, s33
	s_or_b32 exec_lo, exec_lo, s31
	v_mov_b32_e32 v5, 0
	s_and_saveexec_b32 s31, s30
	s_cbranch_execnz .LBB38_705
	s_branch .LBB38_706
.LBB38_832:
	s_mov_b32 s29, -1
	s_mov_b32 s31, 0
.LBB38_833:
                                        ; implicit-def: $vgpr0
.LBB38_834:
	s_and_b32 vcc_lo, exec_lo, s33
	s_cbranch_vccz .LBB38_838
; %bb.835:
	s_cmp_eq_u32 s30, 44
	s_cbranch_scc0 .LBB38_837
; %bb.836:
	global_load_u8 v0, v[2:3], off
	s_mov_b32 s29, 0
	s_mov_b32 s31, -1
	s_wait_loadcnt 0x0
	v_lshlrev_b32_e32 v1, 23, v0
	v_cmp_ne_u32_e32 vcc_lo, 0, v0
	s_delay_alu instid0(VALU_DEP_2) | instskip(NEXT) | instid1(VALU_DEP_1)
	v_cvt_i32_f32_e32 v1, v1
	v_cndmask_b32_e32 v0, 0, v1, vcc_lo
	s_branch .LBB38_838
.LBB38_837:
	s_mov_b32 s29, -1
                                        ; implicit-def: $vgpr0
.LBB38_838:
	s_mov_b32 s33, 0
.LBB38_839:
	s_delay_alu instid0(SALU_CYCLE_1)
	s_and_b32 vcc_lo, exec_lo, s33
	s_cbranch_vccz .LBB38_843
; %bb.840:
	s_cmp_eq_u32 s30, 29
	s_cbranch_scc0 .LBB38_842
; %bb.841:
	global_load_b64 v[0:1], v[2:3], off
	s_mov_b32 s31, -1
	s_mov_b32 s29, 0
	s_branch .LBB38_843
.LBB38_842:
	s_mov_b32 s29, -1
                                        ; implicit-def: $vgpr0
.LBB38_843:
	s_mov_b32 s33, 0
.LBB38_844:
	s_delay_alu instid0(SALU_CYCLE_1)
	s_and_b32 vcc_lo, exec_lo, s33
	s_cbranch_vccz .LBB38_860
; %bb.845:
	s_cmp_lt_i32 s30, 27
	s_cbranch_scc1 .LBB38_848
; %bb.846:
	s_cmp_gt_i32 s30, 27
	s_cbranch_scc0 .LBB38_849
; %bb.847:
	s_wait_loadcnt 0x0
	global_load_b32 v0, v[2:3], off
	s_mov_b32 s31, 0
	s_branch .LBB38_850
.LBB38_848:
	s_mov_b32 s31, -1
                                        ; implicit-def: $vgpr0
	s_branch .LBB38_853
.LBB38_849:
	s_mov_b32 s31, -1
                                        ; implicit-def: $vgpr0
.LBB38_850:
	s_delay_alu instid0(SALU_CYCLE_1)
	s_and_not1_b32 vcc_lo, exec_lo, s31
	s_cbranch_vccnz .LBB38_852
; %bb.851:
	s_wait_loadcnt 0x0
	global_load_u16 v0, v[2:3], off
.LBB38_852:
	s_mov_b32 s31, 0
.LBB38_853:
	s_delay_alu instid0(SALU_CYCLE_1)
	s_and_not1_b32 vcc_lo, exec_lo, s31
	s_cbranch_vccnz .LBB38_859
; %bb.854:
	s_wait_loadcnt 0x0
	global_load_u8 v1, v[2:3], off
	s_mov_b32 s33, 0
	s_mov_b32 s31, exec_lo
	s_wait_loadcnt 0x0
	v_cmpx_lt_i16_e32 0x7f, v1
	s_xor_b32 s31, exec_lo, s31
	s_cbranch_execz .LBB38_871
; %bb.855:
	v_cmp_ne_u16_e32 vcc_lo, 0x80, v1
	s_and_b32 s33, vcc_lo, exec_lo
	s_and_not1_saveexec_b32 s31, s31
	s_cbranch_execnz .LBB38_872
.LBB38_856:
	s_or_b32 exec_lo, exec_lo, s31
	v_mov_b32_e32 v0, 0
	s_and_saveexec_b32 s31, s33
	s_cbranch_execz .LBB38_858
.LBB38_857:
	v_and_b32_e32 v0, 0xffff, v1
	s_delay_alu instid0(VALU_DEP_1) | instskip(SKIP_1) | instid1(VALU_DEP_2)
	v_and_b32_e32 v4, 7, v0
	v_bfe_u32 v7, v0, 3, 4
	v_clz_i32_u32_e32 v5, v4
	s_delay_alu instid0(VALU_DEP_2) | instskip(NEXT) | instid1(VALU_DEP_2)
	v_cmp_eq_u32_e32 vcc_lo, 0, v7
	v_min_u32_e32 v5, 32, v5
	s_delay_alu instid0(VALU_DEP_1) | instskip(NEXT) | instid1(VALU_DEP_1)
	v_subrev_nc_u32_e32 v6, 28, v5
	v_dual_lshlrev_b32 v0, v6, v0 :: v_dual_sub_nc_u32 v5, 29, v5
	s_delay_alu instid0(VALU_DEP_1) | instskip(NEXT) | instid1(VALU_DEP_1)
	v_dual_lshlrev_b32 v1, 24, v1 :: v_dual_bitop2_b32 v0, 7, v0 bitop3:0x40
	v_dual_cndmask_b32 v0, v4, v0 :: v_dual_cndmask_b32 v5, v7, v5
	s_delay_alu instid0(VALU_DEP_2) | instskip(NEXT) | instid1(VALU_DEP_2)
	v_and_b32_e32 v1, 0x80000000, v1
	v_lshlrev_b32_e32 v0, 20, v0
	s_delay_alu instid0(VALU_DEP_3) | instskip(NEXT) | instid1(VALU_DEP_1)
	v_lshl_add_u32 v4, v5, 23, 0x3b800000
	v_or3_b32 v0, v1, v4, v0
	s_delay_alu instid0(VALU_DEP_1)
	v_cvt_i32_f32_e32 v0, v0
.LBB38_858:
	s_or_b32 exec_lo, exec_lo, s31
.LBB38_859:
	s_mov_b32 s31, -1
.LBB38_860:
	s_mov_b32 s33, 0
.LBB38_861:
	s_delay_alu instid0(SALU_CYCLE_1)
	s_and_b32 vcc_lo, exec_lo, s33
	s_cbranch_vccz .LBB38_894
; %bb.862:
	s_cmp_gt_i32 s30, 22
	s_cbranch_scc0 .LBB38_870
; %bb.863:
	s_cmp_lt_i32 s30, 24
	s_cbranch_scc1 .LBB38_873
; %bb.864:
	s_cmp_gt_i32 s30, 24
	s_cbranch_scc0 .LBB38_874
; %bb.865:
	s_wait_loadcnt 0x0
	global_load_u8 v1, v[2:3], off
	s_mov_b32 s33, 0
	s_mov_b32 s31, exec_lo
	s_wait_loadcnt 0x0
	v_cmpx_lt_i16_e32 0x7f, v1
	s_xor_b32 s31, exec_lo, s31
	s_cbranch_execz .LBB38_886
; %bb.866:
	v_cmp_ne_u16_e32 vcc_lo, 0x80, v1
	s_and_b32 s33, vcc_lo, exec_lo
	s_and_not1_saveexec_b32 s31, s31
	s_cbranch_execnz .LBB38_887
.LBB38_867:
	s_or_b32 exec_lo, exec_lo, s31
	v_mov_b32_e32 v0, 0
	s_and_saveexec_b32 s31, s33
	s_cbranch_execz .LBB38_869
.LBB38_868:
	v_and_b32_e32 v0, 0xffff, v1
	s_delay_alu instid0(VALU_DEP_1) | instskip(SKIP_1) | instid1(VALU_DEP_2)
	v_and_b32_e32 v4, 3, v0
	v_bfe_u32 v7, v0, 2, 5
	v_clz_i32_u32_e32 v5, v4
	s_delay_alu instid0(VALU_DEP_2) | instskip(NEXT) | instid1(VALU_DEP_2)
	v_cmp_eq_u32_e32 vcc_lo, 0, v7
	v_min_u32_e32 v5, 32, v5
	s_delay_alu instid0(VALU_DEP_1) | instskip(NEXT) | instid1(VALU_DEP_1)
	v_subrev_nc_u32_e32 v6, 29, v5
	v_dual_lshlrev_b32 v0, v6, v0 :: v_dual_sub_nc_u32 v5, 30, v5
	s_delay_alu instid0(VALU_DEP_1) | instskip(NEXT) | instid1(VALU_DEP_1)
	v_dual_lshlrev_b32 v1, 24, v1 :: v_dual_bitop2_b32 v0, 3, v0 bitop3:0x40
	v_dual_cndmask_b32 v0, v4, v0 :: v_dual_cndmask_b32 v5, v7, v5
	s_delay_alu instid0(VALU_DEP_2) | instskip(NEXT) | instid1(VALU_DEP_2)
	v_and_b32_e32 v1, 0x80000000, v1
	v_lshlrev_b32_e32 v0, 21, v0
	s_delay_alu instid0(VALU_DEP_3) | instskip(NEXT) | instid1(VALU_DEP_1)
	v_lshl_add_u32 v4, v5, 23, 0x37800000
	v_or3_b32 v0, v1, v4, v0
	s_delay_alu instid0(VALU_DEP_1)
	v_cvt_i32_f32_e32 v0, v0
.LBB38_869:
	s_or_b32 exec_lo, exec_lo, s31
	s_mov_b32 s31, 0
	s_branch .LBB38_875
.LBB38_870:
	s_mov_b32 s33, -1
                                        ; implicit-def: $vgpr0
	s_branch .LBB38_881
.LBB38_871:
	s_and_not1_saveexec_b32 s31, s31
	s_cbranch_execz .LBB38_856
.LBB38_872:
	v_cmp_ne_u16_e32 vcc_lo, 0, v1
	s_and_not1_b32 s33, s33, exec_lo
	s_and_b32 s34, vcc_lo, exec_lo
	s_delay_alu instid0(SALU_CYCLE_1)
	s_or_b32 s33, s33, s34
	s_or_b32 exec_lo, exec_lo, s31
	v_mov_b32_e32 v0, 0
	s_and_saveexec_b32 s31, s33
	s_cbranch_execnz .LBB38_857
	s_branch .LBB38_858
.LBB38_873:
	s_mov_b32 s31, -1
                                        ; implicit-def: $vgpr0
	s_branch .LBB38_878
.LBB38_874:
	s_mov_b32 s31, -1
                                        ; implicit-def: $vgpr0
.LBB38_875:
	s_delay_alu instid0(SALU_CYCLE_1)
	s_and_b32 vcc_lo, exec_lo, s31
	s_cbranch_vccz .LBB38_877
; %bb.876:
	s_wait_loadcnt 0x0
	global_load_u8 v0, v[2:3], off
	s_wait_loadcnt 0x0
	v_lshlrev_b32_e32 v0, 24, v0
	s_delay_alu instid0(VALU_DEP_1) | instskip(NEXT) | instid1(VALU_DEP_1)
	v_and_b32_e32 v1, 0x7f000000, v0
	v_clz_i32_u32_e32 v4, v1
	v_cmp_ne_u32_e32 vcc_lo, 0, v1
	v_add_nc_u32_e32 v6, 0x1000000, v1
	s_delay_alu instid0(VALU_DEP_3) | instskip(NEXT) | instid1(VALU_DEP_1)
	v_min_u32_e32 v4, 32, v4
	v_sub_nc_u32_e64 v4, v4, 4 clamp
	s_delay_alu instid0(VALU_DEP_1) | instskip(NEXT) | instid1(VALU_DEP_1)
	v_dual_lshlrev_b32 v5, v4, v1 :: v_dual_lshlrev_b32 v4, 23, v4
	v_lshrrev_b32_e32 v5, 4, v5
	s_delay_alu instid0(VALU_DEP_1) | instskip(NEXT) | instid1(VALU_DEP_1)
	v_dual_sub_nc_u32 v4, v5, v4 :: v_dual_ashrrev_i32 v5, 8, v6
	v_add_nc_u32_e32 v4, 0x3c000000, v4
	s_delay_alu instid0(VALU_DEP_1) | instskip(NEXT) | instid1(VALU_DEP_1)
	v_and_or_b32 v4, 0x7f800000, v5, v4
	v_cndmask_b32_e32 v1, 0, v4, vcc_lo
	s_delay_alu instid0(VALU_DEP_1) | instskip(NEXT) | instid1(VALU_DEP_1)
	v_and_or_b32 v0, 0x80000000, v0, v1
	v_cvt_i32_f32_e32 v0, v0
.LBB38_877:
	s_mov_b32 s31, 0
.LBB38_878:
	s_delay_alu instid0(SALU_CYCLE_1)
	s_and_not1_b32 vcc_lo, exec_lo, s31
	s_cbranch_vccnz .LBB38_880
; %bb.879:
	s_wait_loadcnt 0x0
	global_load_u8 v0, v[2:3], off
	s_wait_loadcnt 0x0
	v_lshlrev_b32_e32 v1, 25, v0
	v_lshlrev_b16 v0, 8, v0
	s_delay_alu instid0(VALU_DEP_1) | instskip(SKIP_1) | instid1(VALU_DEP_2)
	v_and_or_b32 v5, 0x7f00, v0, 0.5
	v_bfe_i32 v0, v0, 0, 16
	v_add_f32_e32 v5, -0.5, v5
	v_lshrrev_b32_e32 v4, 4, v1
	v_cmp_gt_u32_e32 vcc_lo, 0x8000000, v1
	s_delay_alu instid0(VALU_DEP_2) | instskip(NEXT) | instid1(VALU_DEP_1)
	v_or_b32_e32 v4, 0x70000000, v4
	v_mul_f32_e32 v4, 0x7800000, v4
	s_delay_alu instid0(VALU_DEP_1) | instskip(NEXT) | instid1(VALU_DEP_1)
	v_cndmask_b32_e32 v1, v4, v5, vcc_lo
	v_and_or_b32 v0, 0x80000000, v0, v1
	s_delay_alu instid0(VALU_DEP_1)
	v_cvt_i32_f32_e32 v0, v0
.LBB38_880:
	s_mov_b32 s33, 0
	s_mov_b32 s31, -1
.LBB38_881:
	s_and_not1_b32 vcc_lo, exec_lo, s33
	s_cbranch_vccnz .LBB38_894
; %bb.882:
	s_cmp_gt_i32 s30, 14
	s_cbranch_scc0 .LBB38_885
; %bb.883:
	s_cmp_eq_u32 s30, 15
	s_cbranch_scc0 .LBB38_888
; %bb.884:
	s_wait_loadcnt 0x0
	global_load_u16 v0, v[2:3], off
	s_mov_b32 s31, -1
	s_mov_b32 s29, 0
	s_wait_loadcnt 0x0
	v_lshlrev_b32_e32 v0, 16, v0
	s_delay_alu instid0(VALU_DEP_1)
	v_cvt_i32_f32_e32 v0, v0
	s_branch .LBB38_889
.LBB38_885:
	s_mov_b32 s33, -1
                                        ; implicit-def: $vgpr0
	s_branch .LBB38_890
.LBB38_886:
	s_and_not1_saveexec_b32 s31, s31
	s_cbranch_execz .LBB38_867
.LBB38_887:
	v_cmp_ne_u16_e32 vcc_lo, 0, v1
	s_and_not1_b32 s33, s33, exec_lo
	s_and_b32 s34, vcc_lo, exec_lo
	s_delay_alu instid0(SALU_CYCLE_1)
	s_or_b32 s33, s33, s34
	s_or_b32 exec_lo, exec_lo, s31
	v_mov_b32_e32 v0, 0
	s_and_saveexec_b32 s31, s33
	s_cbranch_execnz .LBB38_868
	s_branch .LBB38_869
.LBB38_888:
	s_mov_b32 s29, -1
                                        ; implicit-def: $vgpr0
.LBB38_889:
	s_mov_b32 s33, 0
.LBB38_890:
	s_delay_alu instid0(SALU_CYCLE_1)
	s_and_b32 vcc_lo, exec_lo, s33
	s_cbranch_vccz .LBB38_894
; %bb.891:
	s_cmp_eq_u32 s30, 11
	s_cbranch_scc0 .LBB38_893
; %bb.892:
	s_wait_loadcnt 0x0
	global_load_u8 v0, v[2:3], off
	s_mov_b32 s29, 0
	s_mov_b32 s31, -1
	s_wait_loadcnt 0x0
	v_cmp_ne_u16_e32 vcc_lo, 0, v0
	v_cndmask_b32_e64 v0, 0, 1, vcc_lo
	s_branch .LBB38_894
.LBB38_893:
	s_mov_b32 s29, -1
                                        ; implicit-def: $vgpr0
.LBB38_894:
	s_mov_b32 s30, 0
.LBB38_895:
	s_delay_alu instid0(SALU_CYCLE_1)
	s_and_b32 vcc_lo, exec_lo, s30
	s_cbranch_vccz .LBB38_944
; %bb.896:
	s_and_b32 s0, 0xffff, s0
	s_delay_alu instid0(SALU_CYCLE_1)
	s_cmp_lt_i32 s0, 5
	s_cbranch_scc1 .LBB38_901
; %bb.897:
	s_cmp_lt_i32 s0, 8
	s_cbranch_scc1 .LBB38_902
; %bb.898:
	;; [unrolled: 3-line block ×3, first 2 shown]
	s_cmp_gt_i32 s0, 9
	s_cbranch_scc0 .LBB38_904
; %bb.900:
	s_wait_loadcnt 0x0
	global_load_b64 v[0:1], v[2:3], off
	s_mov_b32 s30, 0
	s_wait_loadcnt 0x0
	v_cvt_i32_f64_e32 v0, v[0:1]
	s_branch .LBB38_905
.LBB38_901:
	s_mov_b32 s30, -1
                                        ; implicit-def: $vgpr0
	s_branch .LBB38_923
.LBB38_902:
	s_mov_b32 s30, -1
                                        ; implicit-def: $vgpr0
	s_branch .LBB38_911
.LBB38_903:
	s_mov_b32 s30, -1
                                        ; implicit-def: $vgpr0
	s_branch .LBB38_908
.LBB38_904:
	s_mov_b32 s30, -1
                                        ; implicit-def: $vgpr0
.LBB38_905:
	s_delay_alu instid0(SALU_CYCLE_1)
	s_and_not1_b32 vcc_lo, exec_lo, s30
	s_cbranch_vccnz .LBB38_907
; %bb.906:
	s_wait_loadcnt 0x0
	global_load_b32 v0, v[2:3], off
	s_wait_loadcnt 0x0
	v_cvt_i32_f32_e32 v0, v0
.LBB38_907:
	s_mov_b32 s30, 0
.LBB38_908:
	s_delay_alu instid0(SALU_CYCLE_1)
	s_and_not1_b32 vcc_lo, exec_lo, s30
	s_cbranch_vccnz .LBB38_910
; %bb.909:
	s_wait_loadcnt 0x0
	global_load_b32 v0, v[2:3], off
	s_wait_loadcnt 0x0
	v_cvt_i16_f16_e32 v0, v0
.LBB38_910:
	s_mov_b32 s30, 0
.LBB38_911:
	s_delay_alu instid0(SALU_CYCLE_1)
	s_and_not1_b32 vcc_lo, exec_lo, s30
	s_cbranch_vccnz .LBB38_922
; %bb.912:
	s_cmp_lt_i32 s0, 6
	s_cbranch_scc1 .LBB38_915
; %bb.913:
	s_cmp_gt_i32 s0, 6
	s_cbranch_scc0 .LBB38_916
; %bb.914:
	s_wait_loadcnt 0x0
	global_load_b64 v[0:1], v[2:3], off
	s_mov_b32 s30, 0
	s_wait_loadcnt 0x0
	v_cvt_i32_f64_e32 v0, v[0:1]
	s_branch .LBB38_917
.LBB38_915:
	s_mov_b32 s30, -1
                                        ; implicit-def: $vgpr0
	s_branch .LBB38_920
.LBB38_916:
	s_mov_b32 s30, -1
                                        ; implicit-def: $vgpr0
.LBB38_917:
	s_delay_alu instid0(SALU_CYCLE_1)
	s_and_not1_b32 vcc_lo, exec_lo, s30
	s_cbranch_vccnz .LBB38_919
; %bb.918:
	s_wait_loadcnt 0x0
	global_load_b32 v0, v[2:3], off
	s_wait_loadcnt 0x0
	v_cvt_i32_f32_e32 v0, v0
.LBB38_919:
	s_mov_b32 s30, 0
.LBB38_920:
	s_delay_alu instid0(SALU_CYCLE_1)
	s_and_not1_b32 vcc_lo, exec_lo, s30
	s_cbranch_vccnz .LBB38_922
; %bb.921:
	s_wait_loadcnt 0x0
	global_load_u16 v0, v[2:3], off
	s_wait_loadcnt 0x0
	v_cvt_i16_f16_e32 v0, v0
.LBB38_922:
	s_mov_b32 s30, 0
.LBB38_923:
	s_delay_alu instid0(SALU_CYCLE_1)
	s_and_not1_b32 vcc_lo, exec_lo, s30
	s_cbranch_vccnz .LBB38_943
; %bb.924:
	s_cmp_lt_i32 s0, 2
	s_cbranch_scc1 .LBB38_928
; %bb.925:
	s_cmp_lt_i32 s0, 3
	s_cbranch_scc1 .LBB38_929
; %bb.926:
	s_cmp_gt_i32 s0, 3
	s_cbranch_scc0 .LBB38_930
; %bb.927:
	s_wait_loadcnt 0x0
	global_load_b64 v[0:1], v[2:3], off
	s_mov_b32 s30, 0
	s_branch .LBB38_931
.LBB38_928:
	s_mov_b32 s30, -1
                                        ; implicit-def: $vgpr0
	s_branch .LBB38_937
.LBB38_929:
	s_mov_b32 s30, -1
                                        ; implicit-def: $vgpr0
	s_branch .LBB38_934
.LBB38_930:
	s_mov_b32 s30, -1
                                        ; implicit-def: $vgpr0
.LBB38_931:
	s_delay_alu instid0(SALU_CYCLE_1)
	s_and_not1_b32 vcc_lo, exec_lo, s30
	s_cbranch_vccnz .LBB38_933
; %bb.932:
	s_wait_loadcnt 0x0
	global_load_b32 v0, v[2:3], off
.LBB38_933:
	s_mov_b32 s30, 0
.LBB38_934:
	s_delay_alu instid0(SALU_CYCLE_1)
	s_and_not1_b32 vcc_lo, exec_lo, s30
	s_cbranch_vccnz .LBB38_936
; %bb.935:
	s_wait_loadcnt 0x0
	global_load_u16 v0, v[2:3], off
.LBB38_936:
	s_mov_b32 s30, 0
.LBB38_937:
	s_delay_alu instid0(SALU_CYCLE_1)
	s_and_not1_b32 vcc_lo, exec_lo, s30
	s_cbranch_vccnz .LBB38_943
; %bb.938:
	s_cmp_gt_i32 s0, 0
	s_mov_b32 s0, 0
	s_cbranch_scc0 .LBB38_940
; %bb.939:
	s_wait_loadcnt 0x0
	global_load_u8 v0, v[2:3], off
	s_branch .LBB38_941
.LBB38_940:
	s_mov_b32 s0, -1
                                        ; implicit-def: $vgpr0
.LBB38_941:
	s_delay_alu instid0(SALU_CYCLE_1)
	s_and_not1_b32 vcc_lo, exec_lo, s0
	s_cbranch_vccnz .LBB38_943
; %bb.942:
	s_wait_loadcnt 0x0
	global_load_u8 v0, v[2:3], off
.LBB38_943:
	s_mov_b32 s31, -1
.LBB38_944:
	s_mov_b32 s30, 0
	s_mov_b32 s0, s24
	s_and_not1_b32 vcc_lo, exec_lo, s31
	s_mov_b32 s31, s25
	s_mov_b32 s34, 0
	s_cbranch_vccnz .LBB38_1195
; %bb.945:
	s_wait_xcnt 0x0
	v_mul_lo_u32 v2, v18, s5
	s_and_b32 s0, s7, 0xff
	s_delay_alu instid0(SALU_CYCLE_1) | instskip(NEXT) | instid1(VALU_DEP_1)
	s_cmp_lt_i32 s0, 11
	v_ashrrev_i32_e32 v3, 31, v2
	s_delay_alu instid0(VALU_DEP_1)
	v_add_nc_u64_e32 v[2:3], s[10:11], v[2:3]
	s_cbranch_scc1 .LBB38_952
; %bb.946:
	s_and_b32 s33, 0xffff, s0
	s_delay_alu instid0(SALU_CYCLE_1)
	s_cmp_gt_i32 s33, 25
	s_cbranch_scc0 .LBB38_953
; %bb.947:
	s_cmp_gt_i32 s33, 28
	s_cbranch_scc0 .LBB38_954
; %bb.948:
	;; [unrolled: 3-line block ×4, first 2 shown]
	s_cmp_eq_u32 s33, 46
	s_mov_b32 s35, 0
	s_cbranch_scc0 .LBB38_959
; %bb.951:
	s_wait_loadcnt 0x0
	global_load_b32 v1, v[2:3], off
	s_mov_b32 s34, -1
	s_mov_b32 s31, 0
	s_wait_loadcnt 0x0
	v_lshlrev_b32_e32 v1, 16, v1
	s_delay_alu instid0(VALU_DEP_1)
	v_cvt_i32_f32_e32 v4, v1
	s_branch .LBB38_961
.LBB38_952:
	s_mov_b32 s33, -1
	s_mov_b32 s31, s25
                                        ; implicit-def: $vgpr4
	s_branch .LBB38_1022
.LBB38_953:
	s_mov_b32 s35, -1
	s_mov_b32 s31, s25
                                        ; implicit-def: $vgpr4
	s_branch .LBB38_988
.LBB38_954:
	s_mov_b32 s35, -1
	s_mov_b32 s31, s25
                                        ; implicit-def: $vgpr4
	s_branch .LBB38_971
.LBB38_955:
	s_mov_b32 s35, -1
	s_mov_b32 s31, s25
                                        ; implicit-def: $vgpr4
	s_branch .LBB38_966
.LBB38_956:
	s_mov_b32 s35, -1
	s_mov_b32 s31, s25
	s_branch .LBB38_960
.LBB38_957:
	s_and_not1_saveexec_b32 s31, s31
	s_cbranch_execz .LBB38_717
.LBB38_958:
	v_add_f32_e64 v4, 0x42800000, |v3|
	s_and_not1_b32 s30, s30, exec_lo
	s_delay_alu instid0(VALU_DEP_1) | instskip(NEXT) | instid1(VALU_DEP_1)
	v_and_b32_e32 v4, 0xff, v4
	v_cmp_ne_u32_e32 vcc_lo, 0, v4
	s_and_b32 s33, vcc_lo, exec_lo
	s_delay_alu instid0(SALU_CYCLE_1)
	s_or_b32 s30, s30, s33
	s_or_b32 exec_lo, exec_lo, s31
	v_mov_b32_e32 v5, 0
	s_and_saveexec_b32 s31, s30
	s_cbranch_execnz .LBB38_718
	s_branch .LBB38_719
.LBB38_959:
	s_mov_b32 s31, -1
.LBB38_960:
                                        ; implicit-def: $vgpr4
.LBB38_961:
	s_and_b32 vcc_lo, exec_lo, s35
	s_cbranch_vccz .LBB38_965
; %bb.962:
	s_cmp_eq_u32 s33, 44
	s_cbranch_scc0 .LBB38_964
; %bb.963:
	s_wait_loadcnt 0x0
	global_load_u8 v1, v[2:3], off
	s_mov_b32 s31, 0
	s_mov_b32 s34, -1
	s_wait_loadcnt 0x0
	v_lshlrev_b32_e32 v4, 23, v1
	v_cmp_ne_u32_e32 vcc_lo, 0, v1
	s_delay_alu instid0(VALU_DEP_2) | instskip(NEXT) | instid1(VALU_DEP_1)
	v_cvt_i32_f32_e32 v4, v4
	v_cndmask_b32_e32 v4, 0, v4, vcc_lo
	s_branch .LBB38_965
.LBB38_964:
	s_mov_b32 s31, -1
                                        ; implicit-def: $vgpr4
.LBB38_965:
	s_mov_b32 s35, 0
.LBB38_966:
	s_delay_alu instid0(SALU_CYCLE_1)
	s_and_b32 vcc_lo, exec_lo, s35
	s_cbranch_vccz .LBB38_970
; %bb.967:
	s_cmp_eq_u32 s33, 29
	s_cbranch_scc0 .LBB38_969
; %bb.968:
	global_load_b64 v[4:5], v[2:3], off
	s_mov_b32 s34, -1
	s_mov_b32 s31, 0
	s_branch .LBB38_970
.LBB38_969:
	s_mov_b32 s31, -1
                                        ; implicit-def: $vgpr4
.LBB38_970:
	s_mov_b32 s35, 0
.LBB38_971:
	s_delay_alu instid0(SALU_CYCLE_1)
	s_and_b32 vcc_lo, exec_lo, s35
	s_cbranch_vccz .LBB38_987
; %bb.972:
	s_cmp_lt_i32 s33, 27
	s_cbranch_scc1 .LBB38_975
; %bb.973:
	s_cmp_gt_i32 s33, 27
	s_cbranch_scc0 .LBB38_976
; %bb.974:
	s_wait_loadcnt 0x0
	global_load_b32 v4, v[2:3], off
	s_mov_b32 s34, 0
	s_branch .LBB38_977
.LBB38_975:
	s_mov_b32 s34, -1
                                        ; implicit-def: $vgpr4
	s_branch .LBB38_980
.LBB38_976:
	s_mov_b32 s34, -1
                                        ; implicit-def: $vgpr4
.LBB38_977:
	s_delay_alu instid0(SALU_CYCLE_1)
	s_and_not1_b32 vcc_lo, exec_lo, s34
	s_cbranch_vccnz .LBB38_979
; %bb.978:
	s_wait_loadcnt 0x0
	global_load_u16 v4, v[2:3], off
.LBB38_979:
	s_mov_b32 s34, 0
.LBB38_980:
	s_delay_alu instid0(SALU_CYCLE_1)
	s_and_not1_b32 vcc_lo, exec_lo, s34
	s_cbranch_vccnz .LBB38_986
; %bb.981:
	s_wait_loadcnt 0x0
	global_load_u8 v1, v[2:3], off
	s_mov_b32 s35, 0
	s_mov_b32 s34, exec_lo
	s_wait_loadcnt 0x0
	v_cmpx_lt_i16_e32 0x7f, v1
	s_xor_b32 s34, exec_lo, s34
	s_cbranch_execz .LBB38_998
; %bb.982:
	v_cmp_ne_u16_e32 vcc_lo, 0x80, v1
	s_and_b32 s35, vcc_lo, exec_lo
	s_and_not1_saveexec_b32 s34, s34
	s_cbranch_execnz .LBB38_999
.LBB38_983:
	s_or_b32 exec_lo, exec_lo, s34
	v_mov_b32_e32 v4, 0
	s_and_saveexec_b32 s34, s35
	s_cbranch_execz .LBB38_985
.LBB38_984:
	v_and_b32_e32 v4, 0xffff, v1
	s_delay_alu instid0(VALU_DEP_1) | instskip(SKIP_1) | instid1(VALU_DEP_2)
	v_and_b32_e32 v5, 7, v4
	v_bfe_u32 v8, v4, 3, 4
	v_clz_i32_u32_e32 v6, v5
	s_delay_alu instid0(VALU_DEP_2) | instskip(NEXT) | instid1(VALU_DEP_2)
	v_cmp_eq_u32_e32 vcc_lo, 0, v8
	v_min_u32_e32 v6, 32, v6
	s_delay_alu instid0(VALU_DEP_1) | instskip(NEXT) | instid1(VALU_DEP_1)
	v_subrev_nc_u32_e32 v7, 28, v6
	v_dual_lshlrev_b32 v4, v7, v4 :: v_dual_sub_nc_u32 v6, 29, v6
	s_delay_alu instid0(VALU_DEP_1) | instskip(NEXT) | instid1(VALU_DEP_1)
	v_dual_lshlrev_b32 v1, 24, v1 :: v_dual_bitop2_b32 v4, 7, v4 bitop3:0x40
	v_dual_cndmask_b32 v6, v8, v6, vcc_lo :: v_dual_cndmask_b32 v4, v5, v4, vcc_lo
	s_delay_alu instid0(VALU_DEP_2) | instskip(NEXT) | instid1(VALU_DEP_2)
	v_and_b32_e32 v1, 0x80000000, v1
	v_lshl_add_u32 v5, v6, 23, 0x3b800000
	s_delay_alu instid0(VALU_DEP_3) | instskip(NEXT) | instid1(VALU_DEP_1)
	v_lshlrev_b32_e32 v4, 20, v4
	v_or3_b32 v1, v1, v5, v4
	s_delay_alu instid0(VALU_DEP_1)
	v_cvt_i32_f32_e32 v4, v1
.LBB38_985:
	s_or_b32 exec_lo, exec_lo, s34
.LBB38_986:
	s_mov_b32 s34, -1
.LBB38_987:
	s_mov_b32 s35, 0
.LBB38_988:
	s_delay_alu instid0(SALU_CYCLE_1)
	s_and_b32 vcc_lo, exec_lo, s35
	s_cbranch_vccz .LBB38_1021
; %bb.989:
	s_cmp_gt_i32 s33, 22
	s_cbranch_scc0 .LBB38_997
; %bb.990:
	s_cmp_lt_i32 s33, 24
	s_cbranch_scc1 .LBB38_1000
; %bb.991:
	s_cmp_gt_i32 s33, 24
	s_cbranch_scc0 .LBB38_1001
; %bb.992:
	s_wait_loadcnt 0x0
	global_load_u8 v1, v[2:3], off
	s_mov_b32 s35, 0
	s_mov_b32 s34, exec_lo
	s_wait_loadcnt 0x0
	v_cmpx_lt_i16_e32 0x7f, v1
	s_xor_b32 s34, exec_lo, s34
	s_cbranch_execz .LBB38_1013
; %bb.993:
	v_cmp_ne_u16_e32 vcc_lo, 0x80, v1
	s_and_b32 s35, vcc_lo, exec_lo
	s_and_not1_saveexec_b32 s34, s34
	s_cbranch_execnz .LBB38_1014
.LBB38_994:
	s_or_b32 exec_lo, exec_lo, s34
	v_mov_b32_e32 v4, 0
	s_and_saveexec_b32 s34, s35
	s_cbranch_execz .LBB38_996
.LBB38_995:
	v_and_b32_e32 v4, 0xffff, v1
	s_delay_alu instid0(VALU_DEP_1) | instskip(SKIP_1) | instid1(VALU_DEP_2)
	v_and_b32_e32 v5, 3, v4
	v_bfe_u32 v8, v4, 2, 5
	v_clz_i32_u32_e32 v6, v5
	s_delay_alu instid0(VALU_DEP_2) | instskip(NEXT) | instid1(VALU_DEP_2)
	v_cmp_eq_u32_e32 vcc_lo, 0, v8
	v_min_u32_e32 v6, 32, v6
	s_delay_alu instid0(VALU_DEP_1) | instskip(NEXT) | instid1(VALU_DEP_1)
	v_subrev_nc_u32_e32 v7, 29, v6
	v_dual_lshlrev_b32 v4, v7, v4 :: v_dual_sub_nc_u32 v6, 30, v6
	s_delay_alu instid0(VALU_DEP_1) | instskip(NEXT) | instid1(VALU_DEP_1)
	v_dual_lshlrev_b32 v1, 24, v1 :: v_dual_bitop2_b32 v4, 3, v4 bitop3:0x40
	v_dual_cndmask_b32 v6, v8, v6, vcc_lo :: v_dual_cndmask_b32 v4, v5, v4, vcc_lo
	s_delay_alu instid0(VALU_DEP_2) | instskip(NEXT) | instid1(VALU_DEP_2)
	v_and_b32_e32 v1, 0x80000000, v1
	v_lshl_add_u32 v5, v6, 23, 0x37800000
	s_delay_alu instid0(VALU_DEP_3) | instskip(NEXT) | instid1(VALU_DEP_1)
	v_lshlrev_b32_e32 v4, 21, v4
	v_or3_b32 v1, v1, v5, v4
	s_delay_alu instid0(VALU_DEP_1)
	v_cvt_i32_f32_e32 v4, v1
.LBB38_996:
	s_or_b32 exec_lo, exec_lo, s34
	s_mov_b32 s34, 0
	s_branch .LBB38_1002
.LBB38_997:
	s_mov_b32 s35, -1
                                        ; implicit-def: $vgpr4
	s_branch .LBB38_1008
.LBB38_998:
	s_and_not1_saveexec_b32 s34, s34
	s_cbranch_execz .LBB38_983
.LBB38_999:
	v_cmp_ne_u16_e32 vcc_lo, 0, v1
	s_and_not1_b32 s35, s35, exec_lo
	s_and_b32 s36, vcc_lo, exec_lo
	s_delay_alu instid0(SALU_CYCLE_1)
	s_or_b32 s35, s35, s36
	s_or_b32 exec_lo, exec_lo, s34
	v_mov_b32_e32 v4, 0
	s_and_saveexec_b32 s34, s35
	s_cbranch_execnz .LBB38_984
	s_branch .LBB38_985
.LBB38_1000:
	s_mov_b32 s34, -1
                                        ; implicit-def: $vgpr4
	s_branch .LBB38_1005
.LBB38_1001:
	s_mov_b32 s34, -1
                                        ; implicit-def: $vgpr4
.LBB38_1002:
	s_delay_alu instid0(SALU_CYCLE_1)
	s_and_b32 vcc_lo, exec_lo, s34
	s_cbranch_vccz .LBB38_1004
; %bb.1003:
	s_wait_loadcnt 0x0
	global_load_u8 v1, v[2:3], off
	s_wait_loadcnt 0x0
	v_lshlrev_b32_e32 v1, 24, v1
	s_delay_alu instid0(VALU_DEP_1) | instskip(NEXT) | instid1(VALU_DEP_1)
	v_and_b32_e32 v4, 0x7f000000, v1
	v_clz_i32_u32_e32 v5, v4
	v_cmp_ne_u32_e32 vcc_lo, 0, v4
	v_add_nc_u32_e32 v7, 0x1000000, v4
	s_delay_alu instid0(VALU_DEP_3) | instskip(NEXT) | instid1(VALU_DEP_1)
	v_min_u32_e32 v5, 32, v5
	v_sub_nc_u32_e64 v5, v5, 4 clamp
	s_delay_alu instid0(VALU_DEP_1) | instskip(NEXT) | instid1(VALU_DEP_1)
	v_dual_lshlrev_b32 v6, v5, v4 :: v_dual_lshlrev_b32 v5, 23, v5
	v_lshrrev_b32_e32 v6, 4, v6
	s_delay_alu instid0(VALU_DEP_1) | instskip(NEXT) | instid1(VALU_DEP_1)
	v_dual_sub_nc_u32 v5, v6, v5 :: v_dual_ashrrev_i32 v6, 8, v7
	v_add_nc_u32_e32 v5, 0x3c000000, v5
	s_delay_alu instid0(VALU_DEP_1) | instskip(NEXT) | instid1(VALU_DEP_1)
	v_and_or_b32 v5, 0x7f800000, v6, v5
	v_cndmask_b32_e32 v4, 0, v5, vcc_lo
	s_delay_alu instid0(VALU_DEP_1) | instskip(NEXT) | instid1(VALU_DEP_1)
	v_and_or_b32 v1, 0x80000000, v1, v4
	v_cvt_i32_f32_e32 v4, v1
.LBB38_1004:
	s_mov_b32 s34, 0
.LBB38_1005:
	s_delay_alu instid0(SALU_CYCLE_1)
	s_and_not1_b32 vcc_lo, exec_lo, s34
	s_cbranch_vccnz .LBB38_1007
; %bb.1006:
	s_wait_loadcnt 0x0
	global_load_u8 v1, v[2:3], off
	s_wait_loadcnt 0x0
	v_lshlrev_b32_e32 v4, 25, v1
	v_lshlrev_b16 v1, 8, v1
	s_delay_alu instid0(VALU_DEP_1) | instskip(SKIP_1) | instid1(VALU_DEP_2)
	v_and_or_b32 v6, 0x7f00, v1, 0.5
	v_bfe_i32 v1, v1, 0, 16
	v_dual_add_f32 v6, -0.5, v6 :: v_dual_lshrrev_b32 v5, 4, v4
	v_cmp_gt_u32_e32 vcc_lo, 0x8000000, v4
	s_delay_alu instid0(VALU_DEP_2) | instskip(NEXT) | instid1(VALU_DEP_1)
	v_or_b32_e32 v5, 0x70000000, v5
	v_mul_f32_e32 v5, 0x7800000, v5
	s_delay_alu instid0(VALU_DEP_1) | instskip(NEXT) | instid1(VALU_DEP_1)
	v_cndmask_b32_e32 v4, v5, v6, vcc_lo
	v_and_or_b32 v1, 0x80000000, v1, v4
	s_delay_alu instid0(VALU_DEP_1)
	v_cvt_i32_f32_e32 v4, v1
.LBB38_1007:
	s_mov_b32 s35, 0
	s_mov_b32 s34, -1
.LBB38_1008:
	s_and_not1_b32 vcc_lo, exec_lo, s35
	s_cbranch_vccnz .LBB38_1021
; %bb.1009:
	s_cmp_gt_i32 s33, 14
	s_cbranch_scc0 .LBB38_1012
; %bb.1010:
	s_cmp_eq_u32 s33, 15
	s_cbranch_scc0 .LBB38_1015
; %bb.1011:
	s_wait_loadcnt 0x0
	global_load_u16 v1, v[2:3], off
	s_mov_b32 s34, -1
	s_mov_b32 s31, 0
	s_wait_loadcnt 0x0
	v_lshlrev_b32_e32 v1, 16, v1
	s_delay_alu instid0(VALU_DEP_1)
	v_cvt_i32_f32_e32 v4, v1
	s_branch .LBB38_1016
.LBB38_1012:
	s_mov_b32 s35, -1
                                        ; implicit-def: $vgpr4
	s_branch .LBB38_1017
.LBB38_1013:
	s_and_not1_saveexec_b32 s34, s34
	s_cbranch_execz .LBB38_994
.LBB38_1014:
	v_cmp_ne_u16_e32 vcc_lo, 0, v1
	s_and_not1_b32 s35, s35, exec_lo
	s_and_b32 s36, vcc_lo, exec_lo
	s_delay_alu instid0(SALU_CYCLE_1)
	s_or_b32 s35, s35, s36
	s_or_b32 exec_lo, exec_lo, s34
	v_mov_b32_e32 v4, 0
	s_and_saveexec_b32 s34, s35
	s_cbranch_execnz .LBB38_995
	s_branch .LBB38_996
.LBB38_1015:
	s_mov_b32 s31, -1
                                        ; implicit-def: $vgpr4
.LBB38_1016:
	s_mov_b32 s35, 0
.LBB38_1017:
	s_delay_alu instid0(SALU_CYCLE_1)
	s_and_b32 vcc_lo, exec_lo, s35
	s_cbranch_vccz .LBB38_1021
; %bb.1018:
	s_cmp_eq_u32 s33, 11
	s_cbranch_scc0 .LBB38_1020
; %bb.1019:
	s_wait_loadcnt 0x0
	global_load_u8 v1, v[2:3], off
	s_mov_b32 s31, 0
	s_mov_b32 s34, -1
	s_wait_loadcnt 0x0
	v_cmp_ne_u16_e32 vcc_lo, 0, v1
	v_cndmask_b32_e64 v4, 0, 1, vcc_lo
	s_branch .LBB38_1021
.LBB38_1020:
	s_mov_b32 s31, -1
                                        ; implicit-def: $vgpr4
.LBB38_1021:
	s_mov_b32 s33, 0
.LBB38_1022:
	s_delay_alu instid0(SALU_CYCLE_1)
	s_and_b32 vcc_lo, exec_lo, s33
	s_cbranch_vccz .LBB38_1071
; %bb.1023:
	s_and_b32 s0, 0xffff, s0
	s_delay_alu instid0(SALU_CYCLE_1)
	s_cmp_lt_i32 s0, 5
	s_cbranch_scc1 .LBB38_1028
; %bb.1024:
	s_cmp_lt_i32 s0, 8
	s_cbranch_scc1 .LBB38_1029
; %bb.1025:
	;; [unrolled: 3-line block ×3, first 2 shown]
	s_cmp_gt_i32 s0, 9
	s_cbranch_scc0 .LBB38_1031
; %bb.1027:
	s_wait_loadcnt 0x0
	global_load_b64 v[4:5], v[2:3], off
	s_mov_b32 s33, 0
	s_wait_loadcnt 0x0
	v_cvt_i32_f64_e32 v4, v[4:5]
	s_branch .LBB38_1032
.LBB38_1028:
	s_mov_b32 s33, -1
                                        ; implicit-def: $vgpr4
	s_branch .LBB38_1050
.LBB38_1029:
	s_mov_b32 s33, -1
                                        ; implicit-def: $vgpr4
	s_branch .LBB38_1038
.LBB38_1030:
	s_mov_b32 s33, -1
                                        ; implicit-def: $vgpr4
	s_branch .LBB38_1035
.LBB38_1031:
	s_mov_b32 s33, -1
                                        ; implicit-def: $vgpr4
.LBB38_1032:
	s_delay_alu instid0(SALU_CYCLE_1)
	s_and_not1_b32 vcc_lo, exec_lo, s33
	s_cbranch_vccnz .LBB38_1034
; %bb.1033:
	s_wait_loadcnt 0x0
	global_load_b32 v1, v[2:3], off
	s_wait_loadcnt 0x0
	v_cvt_i32_f32_e32 v4, v1
.LBB38_1034:
	s_mov_b32 s33, 0
.LBB38_1035:
	s_delay_alu instid0(SALU_CYCLE_1)
	s_and_not1_b32 vcc_lo, exec_lo, s33
	s_cbranch_vccnz .LBB38_1037
; %bb.1036:
	s_wait_loadcnt 0x0
	global_load_b32 v1, v[2:3], off
	s_wait_loadcnt 0x0
	v_cvt_i16_f16_e32 v4, v1
.LBB38_1037:
	s_mov_b32 s33, 0
.LBB38_1038:
	s_delay_alu instid0(SALU_CYCLE_1)
	s_and_not1_b32 vcc_lo, exec_lo, s33
	s_cbranch_vccnz .LBB38_1049
; %bb.1039:
	s_cmp_lt_i32 s0, 6
	s_cbranch_scc1 .LBB38_1042
; %bb.1040:
	s_cmp_gt_i32 s0, 6
	s_cbranch_scc0 .LBB38_1043
; %bb.1041:
	s_wait_loadcnt 0x0
	global_load_b64 v[4:5], v[2:3], off
	s_mov_b32 s33, 0
	s_wait_loadcnt 0x0
	v_cvt_i32_f64_e32 v4, v[4:5]
	s_branch .LBB38_1044
.LBB38_1042:
	s_mov_b32 s33, -1
                                        ; implicit-def: $vgpr4
	s_branch .LBB38_1047
.LBB38_1043:
	s_mov_b32 s33, -1
                                        ; implicit-def: $vgpr4
.LBB38_1044:
	s_delay_alu instid0(SALU_CYCLE_1)
	s_and_not1_b32 vcc_lo, exec_lo, s33
	s_cbranch_vccnz .LBB38_1046
; %bb.1045:
	s_wait_loadcnt 0x0
	global_load_b32 v1, v[2:3], off
	s_wait_loadcnt 0x0
	v_cvt_i32_f32_e32 v4, v1
.LBB38_1046:
	s_mov_b32 s33, 0
.LBB38_1047:
	s_delay_alu instid0(SALU_CYCLE_1)
	s_and_not1_b32 vcc_lo, exec_lo, s33
	s_cbranch_vccnz .LBB38_1049
; %bb.1048:
	s_wait_loadcnt 0x0
	global_load_u16 v1, v[2:3], off
	s_wait_loadcnt 0x0
	v_cvt_i16_f16_e32 v4, v1
.LBB38_1049:
	s_mov_b32 s33, 0
.LBB38_1050:
	s_delay_alu instid0(SALU_CYCLE_1)
	s_and_not1_b32 vcc_lo, exec_lo, s33
	s_cbranch_vccnz .LBB38_1070
; %bb.1051:
	s_cmp_lt_i32 s0, 2
	s_cbranch_scc1 .LBB38_1055
; %bb.1052:
	s_cmp_lt_i32 s0, 3
	s_cbranch_scc1 .LBB38_1056
; %bb.1053:
	s_cmp_gt_i32 s0, 3
	s_cbranch_scc0 .LBB38_1057
; %bb.1054:
	s_wait_loadcnt 0x0
	global_load_b64 v[4:5], v[2:3], off
	s_mov_b32 s33, 0
	s_branch .LBB38_1058
.LBB38_1055:
	s_mov_b32 s33, -1
                                        ; implicit-def: $vgpr4
	s_branch .LBB38_1064
.LBB38_1056:
	s_mov_b32 s33, -1
                                        ; implicit-def: $vgpr4
	s_branch .LBB38_1061
.LBB38_1057:
	s_mov_b32 s33, -1
                                        ; implicit-def: $vgpr4
.LBB38_1058:
	s_delay_alu instid0(SALU_CYCLE_1)
	s_and_not1_b32 vcc_lo, exec_lo, s33
	s_cbranch_vccnz .LBB38_1060
; %bb.1059:
	s_wait_loadcnt 0x0
	global_load_b32 v4, v[2:3], off
.LBB38_1060:
	s_mov_b32 s33, 0
.LBB38_1061:
	s_delay_alu instid0(SALU_CYCLE_1)
	s_and_not1_b32 vcc_lo, exec_lo, s33
	s_cbranch_vccnz .LBB38_1063
; %bb.1062:
	s_wait_loadcnt 0x0
	global_load_u16 v4, v[2:3], off
.LBB38_1063:
	s_mov_b32 s33, 0
.LBB38_1064:
	s_delay_alu instid0(SALU_CYCLE_1)
	s_and_not1_b32 vcc_lo, exec_lo, s33
	s_cbranch_vccnz .LBB38_1070
; %bb.1065:
	s_cmp_gt_i32 s0, 0
	s_mov_b32 s0, 0
	s_cbranch_scc0 .LBB38_1067
; %bb.1066:
	s_wait_loadcnt 0x0
	global_load_u8 v4, v[2:3], off
	s_branch .LBB38_1068
.LBB38_1067:
	s_mov_b32 s0, -1
                                        ; implicit-def: $vgpr4
.LBB38_1068:
	s_delay_alu instid0(SALU_CYCLE_1)
	s_and_not1_b32 vcc_lo, exec_lo, s0
	s_cbranch_vccnz .LBB38_1070
; %bb.1069:
	s_wait_loadcnt 0x0
	global_load_u8 v4, v[2:3], off
.LBB38_1070:
	s_mov_b32 s34, -1
.LBB38_1071:
	s_delay_alu instid0(SALU_CYCLE_1)
	s_and_not1_b32 vcc_lo, exec_lo, s34
	s_cbranch_vccnz .LBB38_1079
; %bb.1072:
	s_wait_xcnt 0x0
	v_mul_lo_u32 v2, v18, s14
	s_wait_loadcnt 0x0
	v_mul_lo_u16 v5, v0, s6
	s_and_b32 s33, s1, 0xff
	s_delay_alu instid0(SALU_CYCLE_1) | instskip(NEXT) | instid1(VALU_DEP_2)
	s_cmp_lt_i32 s33, 11
	v_ashrrev_i32_e32 v3, 31, v2
	s_delay_alu instid0(VALU_DEP_1)
	v_add_nc_u64_e32 v[0:1], s[2:3], v[2:3]
	v_mul_lo_u16 v2, v5, v4
	s_cbranch_scc1 .LBB38_1080
; %bb.1073:
	s_and_b32 s34, 0xffff, s33
	s_delay_alu instid0(SALU_CYCLE_1)
	s_cmp_gt_i32 s34, 25
	s_cbranch_scc0 .LBB38_1081
; %bb.1074:
	s_cmp_gt_i32 s34, 28
	s_cbranch_scc0 .LBB38_1082
; %bb.1075:
	;; [unrolled: 3-line block ×4, first 2 shown]
	s_mov_b32 s36, 0
	s_mov_b32 s0, -1
	s_cmp_eq_u32 s34, 46
	s_mov_b32 s35, 0
	s_cbranch_scc0 .LBB38_1085
; %bb.1078:
	v_bfe_i32 v3, v2, 0, 8
	s_mov_b32 s35, -1
	s_mov_b32 s0, 0
	s_delay_alu instid0(VALU_DEP_1) | instskip(NEXT) | instid1(VALU_DEP_1)
	v_bfe_i32 v3, v3, 0, 16
	v_cvt_f32_i32_e32 v3, v3
	s_delay_alu instid0(VALU_DEP_1) | instskip(NEXT) | instid1(VALU_DEP_1)
	v_bfe_u32 v4, v3, 16, 1
	v_add3_u32 v3, v3, v4, 0x7fff
	s_delay_alu instid0(VALU_DEP_1)
	v_lshrrev_b32_e32 v3, 16, v3
	global_store_b32 v[0:1], v3, off
	s_branch .LBB38_1085
.LBB38_1079:
	s_mov_b32 s34, 0
	s_mov_b32 s0, s24
	s_branch .LBB38_824
.LBB38_1080:
	s_mov_b32 s34, -1
	s_mov_b32 s35, 0
	s_mov_b32 s0, s24
	s_branch .LBB38_1154
.LBB38_1081:
	s_mov_b32 s36, -1
	s_mov_b32 s35, 0
	s_mov_b32 s0, s24
	s_branch .LBB38_1112
.LBB38_1082:
	s_mov_b32 s36, -1
	s_mov_b32 s35, 0
	s_mov_b32 s0, s24
	s_branch .LBB38_1095
.LBB38_1083:
	s_mov_b32 s36, -1
	s_mov_b32 s35, 0
	s_mov_b32 s0, s24
	s_branch .LBB38_1091
.LBB38_1084:
	s_mov_b32 s36, -1
	s_mov_b32 s35, 0
	s_mov_b32 s0, s24
.LBB38_1085:
	s_and_b32 vcc_lo, exec_lo, s36
	s_cbranch_vccz .LBB38_1090
; %bb.1086:
	s_cmp_eq_u32 s34, 44
	s_mov_b32 s0, -1
	s_cbranch_scc0 .LBB38_1090
; %bb.1087:
	s_wait_xcnt 0x0
	v_bfe_i32 v3, v2, 0, 8
	v_mov_b32_e32 v4, 0xff
	s_mov_b32 s35, exec_lo
	s_delay_alu instid0(VALU_DEP_2) | instskip(NEXT) | instid1(VALU_DEP_1)
	v_bfe_i32 v3, v3, 0, 16
	v_cvt_f32_i32_e32 v3, v3
	s_delay_alu instid0(VALU_DEP_1) | instskip(NEXT) | instid1(VALU_DEP_1)
	v_bfe_u32 v5, v3, 23, 8
	v_cmpx_ne_u32_e32 0xff, v5
	s_cbranch_execz .LBB38_1089
; %bb.1088:
	v_and_b32_e32 v4, 0x400000, v3
	v_and_or_b32 v5, 0x3fffff, v3, v5
	v_lshrrev_b32_e32 v3, 23, v3
	s_delay_alu instid0(VALU_DEP_3) | instskip(NEXT) | instid1(VALU_DEP_3)
	v_cmp_ne_u32_e32 vcc_lo, 0, v4
	v_cmp_ne_u32_e64 s0, 0, v5
	s_and_b32 s0, vcc_lo, s0
	s_delay_alu instid0(SALU_CYCLE_1) | instskip(NEXT) | instid1(VALU_DEP_1)
	v_cndmask_b32_e64 v4, 0, 1, s0
	v_add_nc_u32_e32 v4, v3, v4
.LBB38_1089:
	s_or_b32 exec_lo, exec_lo, s35
	s_mov_b32 s35, -1
	s_mov_b32 s0, 0
	global_store_b8 v[0:1], v4, off
.LBB38_1090:
	s_mov_b32 s36, 0
.LBB38_1091:
	s_delay_alu instid0(SALU_CYCLE_1)
	s_and_b32 vcc_lo, exec_lo, s36
	s_cbranch_vccz .LBB38_1094
; %bb.1092:
	s_cmp_eq_u32 s34, 29
	s_mov_b32 s0, -1
	s_cbranch_scc0 .LBB38_1094
; %bb.1093:
	s_wait_xcnt 0x0
	v_bfe_i32 v4, v2, 0, 8
	s_mov_b32 s35, -1
	s_mov_b32 s0, 0
	s_mov_b32 s36, 0
	s_delay_alu instid0(VALU_DEP_1)
	v_ashrrev_i32_e32 v5, 31, v4
	global_store_b64 v[0:1], v[4:5], off
	s_branch .LBB38_1095
.LBB38_1094:
	s_mov_b32 s36, 0
.LBB38_1095:
	s_delay_alu instid0(SALU_CYCLE_1)
	s_and_b32 vcc_lo, exec_lo, s36
	s_cbranch_vccz .LBB38_1111
; %bb.1096:
	s_cmp_lt_i32 s34, 27
	s_mov_b32 s35, -1
	s_cbranch_scc1 .LBB38_1102
; %bb.1097:
	s_cmp_gt_i32 s34, 27
	s_cbranch_scc0 .LBB38_1099
; %bb.1098:
	s_wait_xcnt 0x0
	v_bfe_i32 v3, v2, 0, 8
	s_mov_b32 s35, 0
	global_store_b32 v[0:1], v3, off
.LBB38_1099:
	s_and_not1_b32 vcc_lo, exec_lo, s35
	s_cbranch_vccnz .LBB38_1101
; %bb.1100:
	s_wait_xcnt 0x0
	v_bfe_i32 v3, v2, 0, 8
	global_store_b16 v[0:1], v3, off
.LBB38_1101:
	s_mov_b32 s35, 0
.LBB38_1102:
	s_delay_alu instid0(SALU_CYCLE_1)
	s_and_not1_b32 vcc_lo, exec_lo, s35
	s_cbranch_vccnz .LBB38_1110
; %bb.1103:
	s_wait_xcnt 0x0
	v_bfe_i32 v3, v2, 0, 8
	v_mov_b32_e32 v5, 0x80
	s_mov_b32 s35, exec_lo
	s_delay_alu instid0(VALU_DEP_2) | instskip(NEXT) | instid1(VALU_DEP_1)
	v_bfe_i32 v3, v3, 0, 16
	v_cvt_f32_i32_e32 v3, v3
	s_delay_alu instid0(VALU_DEP_1) | instskip(NEXT) | instid1(VALU_DEP_1)
	v_and_b32_e32 v4, 0x7fffffff, v3
	v_cmpx_gt_u32_e32 0x43800000, v4
	s_cbranch_execz .LBB38_1109
; %bb.1104:
	v_cmp_lt_u32_e32 vcc_lo, 0x3bffffff, v4
	s_mov_b32 s36, 0
                                        ; implicit-def: $vgpr4
	s_and_saveexec_b32 s37, vcc_lo
	s_delay_alu instid0(SALU_CYCLE_1)
	s_xor_b32 s37, exec_lo, s37
	s_cbranch_execz .LBB38_2025
; %bb.1105:
	v_bfe_u32 v4, v3, 20, 1
	s_mov_b32 s36, exec_lo
	s_delay_alu instid0(VALU_DEP_1) | instskip(NEXT) | instid1(VALU_DEP_1)
	v_add3_u32 v4, v3, v4, 0x487ffff
	v_lshrrev_b32_e32 v4, 20, v4
	s_and_not1_saveexec_b32 s37, s37
	s_cbranch_execnz .LBB38_2026
.LBB38_1106:
	s_or_b32 exec_lo, exec_lo, s37
	v_mov_b32_e32 v5, 0
	s_and_saveexec_b32 s37, s36
.LBB38_1107:
	v_lshrrev_b32_e32 v3, 24, v3
	s_delay_alu instid0(VALU_DEP_1)
	v_and_or_b32 v5, 0x80, v3, v4
.LBB38_1108:
	s_or_b32 exec_lo, exec_lo, s37
.LBB38_1109:
	s_delay_alu instid0(SALU_CYCLE_1)
	s_or_b32 exec_lo, exec_lo, s35
	global_store_b8 v[0:1], v5, off
.LBB38_1110:
	s_mov_b32 s35, -1
.LBB38_1111:
	s_mov_b32 s36, 0
.LBB38_1112:
	s_delay_alu instid0(SALU_CYCLE_1)
	s_and_b32 vcc_lo, exec_lo, s36
	s_cbranch_vccz .LBB38_1153
; %bb.1113:
	s_cmp_gt_i32 s34, 22
	s_mov_b32 s36, -1
	s_cbranch_scc0 .LBB38_1145
; %bb.1114:
	s_cmp_lt_i32 s34, 24
	s_mov_b32 s35, -1
	s_cbranch_scc1 .LBB38_1134
; %bb.1115:
	s_cmp_gt_i32 s34, 24
	s_cbranch_scc0 .LBB38_1123
; %bb.1116:
	s_wait_xcnt 0x0
	v_bfe_i32 v3, v2, 0, 8
	v_mov_b32_e32 v5, 0x80
	s_mov_b32 s35, exec_lo
	s_delay_alu instid0(VALU_DEP_2) | instskip(NEXT) | instid1(VALU_DEP_1)
	v_bfe_i32 v3, v3, 0, 16
	v_cvt_f32_i32_e32 v3, v3
	s_delay_alu instid0(VALU_DEP_1) | instskip(NEXT) | instid1(VALU_DEP_1)
	v_and_b32_e32 v4, 0x7fffffff, v3
	v_cmpx_gt_u32_e32 0x47800000, v4
	s_cbranch_execz .LBB38_1122
; %bb.1117:
	v_cmp_lt_u32_e32 vcc_lo, 0x37ffffff, v4
	s_mov_b32 s36, 0
                                        ; implicit-def: $vgpr4
	s_and_saveexec_b32 s37, vcc_lo
	s_delay_alu instid0(SALU_CYCLE_1)
	s_xor_b32 s37, exec_lo, s37
	s_cbranch_execz .LBB38_2174
; %bb.1118:
	v_bfe_u32 v4, v3, 21, 1
	s_mov_b32 s36, exec_lo
	s_delay_alu instid0(VALU_DEP_1) | instskip(NEXT) | instid1(VALU_DEP_1)
	v_add3_u32 v4, v3, v4, 0x88fffff
	v_lshrrev_b32_e32 v4, 21, v4
	s_and_not1_saveexec_b32 s37, s37
	s_cbranch_execnz .LBB38_2175
.LBB38_1119:
	s_or_b32 exec_lo, exec_lo, s37
	v_mov_b32_e32 v5, 0
	s_and_saveexec_b32 s37, s36
.LBB38_1120:
	v_lshrrev_b32_e32 v3, 24, v3
	s_delay_alu instid0(VALU_DEP_1)
	v_and_or_b32 v5, 0x80, v3, v4
.LBB38_1121:
	s_or_b32 exec_lo, exec_lo, s37
.LBB38_1122:
	s_delay_alu instid0(SALU_CYCLE_1)
	s_or_b32 exec_lo, exec_lo, s35
	s_mov_b32 s35, 0
	global_store_b8 v[0:1], v5, off
.LBB38_1123:
	s_and_b32 vcc_lo, exec_lo, s35
	s_cbranch_vccz .LBB38_1133
; %bb.1124:
	s_wait_xcnt 0x0
	v_bfe_i32 v3, v2, 0, 8
	s_mov_b32 s35, exec_lo
                                        ; implicit-def: $vgpr4
	s_delay_alu instid0(VALU_DEP_1) | instskip(NEXT) | instid1(VALU_DEP_1)
	v_bfe_i32 v3, v3, 0, 16
	v_cvt_f32_i32_e32 v3, v3
	s_delay_alu instid0(VALU_DEP_1) | instskip(NEXT) | instid1(VALU_DEP_1)
	v_and_b32_e32 v5, 0x7fffffff, v3
	v_cmpx_gt_u32_e32 0x43f00000, v5
	s_xor_b32 s35, exec_lo, s35
	s_cbranch_execz .LBB38_1130
; %bb.1125:
	s_mov_b32 s36, exec_lo
                                        ; implicit-def: $vgpr4
	v_cmpx_lt_u32_e32 0x3c7fffff, v5
	s_xor_b32 s36, exec_lo, s36
; %bb.1126:
	v_bfe_u32 v4, v3, 20, 1
	s_delay_alu instid0(VALU_DEP_1) | instskip(NEXT) | instid1(VALU_DEP_1)
	v_add3_u32 v4, v3, v4, 0x407ffff
	v_and_b32_e32 v5, 0xff00000, v4
	v_lshrrev_b32_e32 v4, 20, v4
	s_delay_alu instid0(VALU_DEP_2) | instskip(NEXT) | instid1(VALU_DEP_2)
	v_cmp_ne_u32_e32 vcc_lo, 0x7f00000, v5
	v_cndmask_b32_e32 v4, 0x7e, v4, vcc_lo
; %bb.1127:
	s_and_not1_saveexec_b32 s36, s36
; %bb.1128:
	v_add_f32_e64 v4, 0x46800000, |v3|
; %bb.1129:
	s_or_b32 exec_lo, exec_lo, s36
                                        ; implicit-def: $vgpr5
.LBB38_1130:
	s_and_not1_saveexec_b32 s35, s35
; %bb.1131:
	v_mov_b32_e32 v4, 0x7f
	v_cmp_lt_u32_e32 vcc_lo, 0x7f800000, v5
	s_delay_alu instid0(VALU_DEP_2)
	v_cndmask_b32_e32 v4, 0x7e, v4, vcc_lo
; %bb.1132:
	s_or_b32 exec_lo, exec_lo, s35
	v_lshrrev_b32_e32 v3, 24, v3
	s_delay_alu instid0(VALU_DEP_1)
	v_and_or_b32 v3, 0x80, v3, v4
	global_store_b8 v[0:1], v3, off
.LBB38_1133:
	s_mov_b32 s35, 0
.LBB38_1134:
	s_delay_alu instid0(SALU_CYCLE_1)
	s_and_not1_b32 vcc_lo, exec_lo, s35
	s_cbranch_vccnz .LBB38_1144
; %bb.1135:
	s_wait_xcnt 0x0
	v_bfe_i32 v3, v2, 0, 8
	s_mov_b32 s35, exec_lo
                                        ; implicit-def: $vgpr4
	s_delay_alu instid0(VALU_DEP_1) | instskip(NEXT) | instid1(VALU_DEP_1)
	v_bfe_i32 v3, v3, 0, 16
	v_cvt_f32_i32_e32 v3, v3
	s_delay_alu instid0(VALU_DEP_1) | instskip(NEXT) | instid1(VALU_DEP_1)
	v_and_b32_e32 v5, 0x7fffffff, v3
	v_cmpx_gt_u32_e32 0x47800000, v5
	s_xor_b32 s35, exec_lo, s35
	s_cbranch_execz .LBB38_1141
; %bb.1136:
	s_mov_b32 s36, exec_lo
                                        ; implicit-def: $vgpr4
	v_cmpx_lt_u32_e32 0x387fffff, v5
	s_xor_b32 s36, exec_lo, s36
; %bb.1137:
	v_bfe_u32 v4, v3, 21, 1
	s_delay_alu instid0(VALU_DEP_1) | instskip(NEXT) | instid1(VALU_DEP_1)
	v_add3_u32 v4, v3, v4, 0x80fffff
	v_lshrrev_b32_e32 v4, 21, v4
; %bb.1138:
	s_and_not1_saveexec_b32 s36, s36
; %bb.1139:
	v_add_f32_e64 v4, 0x43000000, |v3|
; %bb.1140:
	s_or_b32 exec_lo, exec_lo, s36
                                        ; implicit-def: $vgpr5
.LBB38_1141:
	s_and_not1_saveexec_b32 s35, s35
; %bb.1142:
	v_mov_b32_e32 v4, 0x7f
	v_cmp_lt_u32_e32 vcc_lo, 0x7f800000, v5
	s_delay_alu instid0(VALU_DEP_2)
	v_cndmask_b32_e32 v4, 0x7c, v4, vcc_lo
; %bb.1143:
	s_or_b32 exec_lo, exec_lo, s35
	v_lshrrev_b32_e32 v3, 24, v3
	s_delay_alu instid0(VALU_DEP_1)
	v_and_or_b32 v3, 0x80, v3, v4
	global_store_b8 v[0:1], v3, off
.LBB38_1144:
	s_mov_b32 s36, 0
	s_mov_b32 s35, -1
.LBB38_1145:
	s_and_not1_b32 vcc_lo, exec_lo, s36
	s_cbranch_vccnz .LBB38_1153
; %bb.1146:
	s_cmp_gt_i32 s34, 14
	s_mov_b32 s36, -1
	s_cbranch_scc0 .LBB38_1150
; %bb.1147:
	s_cmp_eq_u32 s34, 15
	s_mov_b32 s0, -1
	s_cbranch_scc0 .LBB38_1149
; %bb.1148:
	s_wait_xcnt 0x0
	v_bfe_i32 v3, v2, 0, 8
	s_mov_b32 s35, -1
	s_mov_b32 s0, 0
	s_delay_alu instid0(VALU_DEP_1) | instskip(NEXT) | instid1(VALU_DEP_1)
	v_bfe_i32 v3, v3, 0, 16
	v_cvt_f32_i32_e32 v3, v3
	s_delay_alu instid0(VALU_DEP_1) | instskip(NEXT) | instid1(VALU_DEP_1)
	v_bfe_u32 v4, v3, 16, 1
	v_add3_u32 v3, v3, v4, 0x7fff
	global_store_d16_hi_b16 v[0:1], v3, off
.LBB38_1149:
	s_mov_b32 s36, 0
.LBB38_1150:
	s_delay_alu instid0(SALU_CYCLE_1)
	s_and_b32 vcc_lo, exec_lo, s36
	s_cbranch_vccz .LBB38_1153
; %bb.1151:
	s_cmp_eq_u32 s34, 11
	s_mov_b32 s0, -1
	s_cbranch_scc0 .LBB38_1153
; %bb.1152:
	s_wait_xcnt 0x0
	v_and_b32_e32 v3, 0xff, v2
	s_mov_b32 s0, 0
	s_mov_b32 s35, -1
	s_delay_alu instid0(VALU_DEP_1)
	v_cmp_ne_u16_e32 vcc_lo, 0, v3
	v_cndmask_b32_e64 v3, 0, 1, vcc_lo
	global_store_b8 v[0:1], v3, off
.LBB38_1153:
	s_mov_b32 s34, 0
.LBB38_1154:
	s_delay_alu instid0(SALU_CYCLE_1)
	s_and_b32 vcc_lo, exec_lo, s34
	s_cbranch_vccz .LBB38_1193
; %bb.1155:
	s_and_b32 s33, 0xffff, s33
	s_mov_b32 s34, -1
	s_cmp_lt_i32 s33, 5
	s_cbranch_scc1 .LBB38_1176
; %bb.1156:
	s_cmp_lt_i32 s33, 8
	s_cbranch_scc1 .LBB38_1166
; %bb.1157:
	;; [unrolled: 3-line block ×3, first 2 shown]
	s_cmp_gt_i32 s33, 9
	s_cbranch_scc0 .LBB38_1160
; %bb.1159:
	s_wait_xcnt 0x0
	v_bfe_i32 v3, v2, 0, 8
	v_mov_b32_e32 v6, 0
	s_mov_b32 s34, 0
	s_delay_alu instid0(VALU_DEP_2) | instskip(NEXT) | instid1(VALU_DEP_2)
	v_bfe_i32 v3, v3, 0, 16
	v_mov_b32_e32 v7, v6
	s_delay_alu instid0(VALU_DEP_2)
	v_cvt_f64_i32_e32 v[4:5], v3
	global_store_b128 v[0:1], v[4:7], off
.LBB38_1160:
	s_and_not1_b32 vcc_lo, exec_lo, s34
	s_cbranch_vccnz .LBB38_1162
; %bb.1161:
	s_wait_xcnt 0x0
	v_bfe_i32 v3, v2, 0, 8
	v_mov_b32_e32 v5, 0
	s_delay_alu instid0(VALU_DEP_2) | instskip(NEXT) | instid1(VALU_DEP_1)
	v_bfe_i32 v3, v3, 0, 16
	v_cvt_f32_i32_e32 v4, v3
	global_store_b64 v[0:1], v[4:5], off
.LBB38_1162:
	s_mov_b32 s34, 0
.LBB38_1163:
	s_delay_alu instid0(SALU_CYCLE_1)
	s_and_not1_b32 vcc_lo, exec_lo, s34
	s_cbranch_vccnz .LBB38_1165
; %bb.1164:
	s_wait_xcnt 0x0
	v_bfe_i32 v3, v2, 0, 8
	s_delay_alu instid0(VALU_DEP_1) | instskip(NEXT) | instid1(VALU_DEP_1)
	v_cvt_f16_i16_e32 v3, v3
	v_and_b32_e32 v3, 0xffff, v3
	global_store_b32 v[0:1], v3, off
.LBB38_1165:
	s_mov_b32 s34, 0
.LBB38_1166:
	s_delay_alu instid0(SALU_CYCLE_1)
	s_and_not1_b32 vcc_lo, exec_lo, s34
	s_cbranch_vccnz .LBB38_1175
; %bb.1167:
	s_cmp_lt_i32 s33, 6
	s_mov_b32 s34, -1
	s_cbranch_scc1 .LBB38_1173
; %bb.1168:
	s_cmp_gt_i32 s33, 6
	s_cbranch_scc0 .LBB38_1170
; %bb.1169:
	s_wait_xcnt 0x0
	v_bfe_i32 v3, v2, 0, 8
	s_mov_b32 s34, 0
	s_delay_alu instid0(VALU_DEP_1) | instskip(NEXT) | instid1(VALU_DEP_1)
	v_bfe_i32 v3, v3, 0, 16
	v_cvt_f64_i32_e32 v[4:5], v3
	global_store_b64 v[0:1], v[4:5], off
.LBB38_1170:
	s_and_not1_b32 vcc_lo, exec_lo, s34
	s_cbranch_vccnz .LBB38_1172
; %bb.1171:
	s_wait_xcnt 0x0
	v_bfe_i32 v3, v2, 0, 8
	s_delay_alu instid0(VALU_DEP_1) | instskip(NEXT) | instid1(VALU_DEP_1)
	v_bfe_i32 v3, v3, 0, 16
	v_cvt_f32_i32_e32 v3, v3
	global_store_b32 v[0:1], v3, off
.LBB38_1172:
	s_mov_b32 s34, 0
.LBB38_1173:
	s_delay_alu instid0(SALU_CYCLE_1)
	s_and_not1_b32 vcc_lo, exec_lo, s34
	s_cbranch_vccnz .LBB38_1175
; %bb.1174:
	s_wait_xcnt 0x0
	v_bfe_i32 v3, v2, 0, 8
	s_delay_alu instid0(VALU_DEP_1)
	v_cvt_f16_i16_e32 v3, v3
	global_store_b16 v[0:1], v3, off
.LBB38_1175:
	s_mov_b32 s34, 0
.LBB38_1176:
	s_delay_alu instid0(SALU_CYCLE_1)
	s_and_not1_b32 vcc_lo, exec_lo, s34
	s_cbranch_vccnz .LBB38_1192
; %bb.1177:
	s_cmp_lt_i32 s33, 2
	s_mov_b32 s34, -1
	s_cbranch_scc1 .LBB38_1187
; %bb.1178:
	s_cmp_lt_i32 s33, 3
	s_cbranch_scc1 .LBB38_1184
; %bb.1179:
	s_cmp_gt_i32 s33, 3
	s_cbranch_scc0 .LBB38_1181
; %bb.1180:
	s_wait_xcnt 0x0
	v_bfe_i32 v4, v2, 0, 8
	s_mov_b32 s34, 0
	s_delay_alu instid0(VALU_DEP_1)
	v_ashrrev_i32_e32 v5, 31, v4
	global_store_b64 v[0:1], v[4:5], off
.LBB38_1181:
	s_and_not1_b32 vcc_lo, exec_lo, s34
	s_cbranch_vccnz .LBB38_1183
; %bb.1182:
	s_wait_xcnt 0x0
	v_bfe_i32 v3, v2, 0, 8
	global_store_b32 v[0:1], v3, off
.LBB38_1183:
	s_mov_b32 s34, 0
.LBB38_1184:
	s_delay_alu instid0(SALU_CYCLE_1)
	s_and_not1_b32 vcc_lo, exec_lo, s34
	s_cbranch_vccnz .LBB38_1186
; %bb.1185:
	s_wait_xcnt 0x0
	v_bfe_i32 v3, v2, 0, 8
	global_store_b16 v[0:1], v3, off
.LBB38_1186:
	s_mov_b32 s34, 0
.LBB38_1187:
	s_delay_alu instid0(SALU_CYCLE_1)
	s_and_not1_b32 vcc_lo, exec_lo, s34
	s_cbranch_vccnz .LBB38_1192
; %bb.1188:
	s_cmp_gt_i32 s33, 0
	s_mov_b32 s33, -1
	s_cbranch_scc0 .LBB38_1190
; %bb.1189:
	s_mov_b32 s33, 0
	global_store_b8 v[0:1], v2, off
.LBB38_1190:
	s_and_not1_b32 vcc_lo, exec_lo, s33
	s_cbranch_vccnz .LBB38_1192
; %bb.1191:
	global_store_b8 v[0:1], v2, off
.LBB38_1192:
	s_mov_b32 s35, -1
.LBB38_1193:
	s_delay_alu instid0(SALU_CYCLE_1)
	s_and_not1_b32 vcc_lo, exec_lo, s35
	s_cbranch_vccnz .LBB38_1204
; %bb.1194:
	v_add_nc_u32_e32 v18, 0x80, v18
	s_mov_b32 s34, -1
.LBB38_1195:
	s_and_not1_b32 s33, s24, exec_lo
	s_and_b32 s0, s0, exec_lo
	s_and_not1_b32 s35, s25, exec_lo
	s_and_b32 s31, s31, exec_lo
	s_or_b32 s33, s33, s0
	s_or_b32 s31, s35, s31
	s_and_not1_b32 s0, s26, exec_lo
	s_and_b32 s29, s29, exec_lo
	s_and_not1_b32 s35, s23, exec_lo
	s_and_b32 s30, s30, exec_lo
	s_or_b32 s29, s0, s29
	s_or_b32 s0, s35, s30
	s_or_not1_b32 s30, s34, exec_lo
.LBB38_1196:
	s_wait_xcnt 0x0
	s_or_b32 exec_lo, exec_lo, s28
	s_mov_b32 s34, 0
	s_and_saveexec_b32 s28, s30
	s_cbranch_execz .LBB38_1219
; %bb.1197:
	v_cmp_gt_i32_e32 vcc_lo, s18, v18
	s_mov_b32 s30, 0
	s_mov_b32 s34, s0
	s_and_saveexec_b32 s18, vcc_lo
	s_cbranch_execz .LBB38_1218
; %bb.1198:
	s_and_b32 s35, s15, 0xff
	s_delay_alu instid0(SALU_CYCLE_1)
	s_cmp_lt_i32 s35, 23
	s_cbranch_scc1 .LBB38_1202
; %bb.1199:
	s_and_b32 s36, 0xffff, s35
	s_delay_alu instid0(SALU_CYCLE_1)
	s_cmp_gt_i32 s36, 43
	s_cbranch_scc0 .LBB38_1203
; %bb.1200:
	s_cmp_gt_i32 s36, 45
	s_cbranch_scc0 .LBB38_1205
; %bb.1201:
	s_cmp_lg_u32 s36, 46
	s_mov_b32 s37, 0
	s_cselect_b32 s30, -1, 0
	s_and_not1_b32 s34, s0, exec_lo
	s_and_b32 s38, s30, exec_lo
	s_mov_b32 s30, -1
	s_or_b32 s34, s34, s38
	s_branch .LBB38_1206
.LBB38_1202:
	s_mov_b32 s36, -1
	s_mov_b32 s34, s0
	s_branch .LBB38_1212
.LBB38_1203:
	s_mov_b32 s37, -1
	s_mov_b32 s34, s0
	s_branch .LBB38_1209
.LBB38_1204:
	s_mov_b32 s34, 0
	s_branch .LBB38_824
.LBB38_1205:
	s_mov_b32 s37, -1
	s_mov_b32 s34, s0
.LBB38_1206:
	s_and_not1_b32 vcc_lo, exec_lo, s37
	s_cbranch_vccnz .LBB38_1208
; %bb.1207:
	s_cmp_eq_u32 s36, 44
	s_cselect_b32 s30, -1, 0
	s_cmp_lg_u32 s36, 44
	s_cselect_b32 s37, -1, 0
	s_and_not1_b32 s34, s34, exec_lo
	s_and_b32 s37, s37, exec_lo
	s_delay_alu instid0(SALU_CYCLE_1)
	s_or_b32 s34, s34, s37
.LBB38_1208:
	s_mov_b32 s37, 0
.LBB38_1209:
	s_delay_alu instid0(SALU_CYCLE_1)
	s_and_b32 vcc_lo, exec_lo, s37
	s_cbranch_vccz .LBB38_1211
; %bb.1210:
	s_cmp_lt_i32 s36, 30
	s_cselect_b32 s30, -1, 0
	s_cmp_gt_i32 s36, 29
	s_cselect_b32 s36, -1, 0
	s_and_not1_b32 s34, s34, exec_lo
	s_and_b32 s36, s36, exec_lo
	s_delay_alu instid0(SALU_CYCLE_1)
	s_or_b32 s34, s34, s36
.LBB38_1211:
	s_mov_b32 s36, 0
.LBB38_1212:
	s_delay_alu instid0(SALU_CYCLE_1)
	s_and_b32 vcc_lo, exec_lo, s36
	s_cbranch_vccz .LBB38_1217
; %bb.1213:
	s_and_b32 s35, 0xffff, s35
	s_mov_b32 s36, -1
	s_cmp_gt_i32 s35, 14
	s_cbranch_scc0 .LBB38_1215
; %bb.1214:
	s_cmp_eq_u32 s35, 15
	s_cselect_b32 s30, -1, 0
	s_cmp_lg_u32 s35, 15
	s_cselect_b32 s36, -1, 0
	s_and_not1_b32 s34, s34, exec_lo
	s_and_b32 s37, s36, exec_lo
	s_mov_b32 s36, 0
	s_or_b32 s34, s34, s37
.LBB38_1215:
	s_and_not1_b32 vcc_lo, exec_lo, s36
	s_cbranch_vccnz .LBB38_1217
; %bb.1216:
	s_cmp_lt_i32 s35, 12
	s_cselect_b32 s30, -1, 0
	s_cmp_gt_i32 s35, 11
	s_cselect_b32 s35, -1, 0
	s_and_not1_b32 s34, s34, exec_lo
	s_and_b32 s35, s35, exec_lo
	s_delay_alu instid0(SALU_CYCLE_1)
	s_or_b32 s34, s34, s35
.LBB38_1217:
	s_and_not1_b32 s35, s0, exec_lo
	s_and_b32 s34, s34, exec_lo
	s_and_b32 s30, s30, exec_lo
	s_or_b32 s34, s35, s34
.LBB38_1218:
	s_or_b32 exec_lo, exec_lo, s18
	s_delay_alu instid0(SALU_CYCLE_1)
	s_and_not1_b32 s0, s0, exec_lo
	s_and_b32 s18, s34, exec_lo
	s_and_b32 s34, s30, exec_lo
	s_or_b32 s0, s0, s18
.LBB38_1219:
	s_or_b32 exec_lo, exec_lo, s28
	s_delay_alu instid0(SALU_CYCLE_1)
	s_and_not1_b32 s18, s24, exec_lo
	s_and_b32 s24, s33, exec_lo
	s_and_not1_b32 s26, s26, exec_lo
	s_or_b32 s24, s18, s24
	s_and_not1_b32 s18, s25, exec_lo
	s_and_b32 s25, s31, exec_lo
	s_and_b32 s28, s29, exec_lo
	s_or_b32 s25, s18, s25
	s_and_not1_b32 s18, s23, exec_lo
	s_and_b32 s23, s0, exec_lo
	s_or_b32 s26, s26, s28
	s_and_b32 s0, s34, exec_lo
	s_or_b32 s23, s18, s23
.LBB38_1220:
	s_or_b32 exec_lo, exec_lo, s27
	s_delay_alu instid0(SALU_CYCLE_1)
	s_and_not1_b32 s17, s17, exec_lo
	s_and_b32 s18, s24, exec_lo
	s_and_not1_b32 s20, s20, exec_lo
	s_or_b32 s17, s17, s18
	s_and_not1_b32 s18, s19, exec_lo
	s_and_b32 s19, s25, exec_lo
	s_and_b32 s24, s26, exec_lo
	s_or_b32 s19, s18, s19
	s_and_not1_b32 s18, s21, exec_lo
	s_and_b32 s21, s23, exec_lo
	s_or_b32 s20, s20, s24
	s_and_b32 s23, s0, exec_lo
	s_or_b32 s21, s18, s21
.LBB38_1221:
	s_or_b32 exec_lo, exec_lo, s22
	s_mov_b32 s24, 0
	s_mov_b32 s18, 0
	s_and_saveexec_b32 s0, s21
	s_cbranch_execnz .LBB38_1236
.LBB38_1222:
	s_or_b32 exec_lo, exec_lo, s0
	s_mov_b32 s25, 0
	s_mov_b32 s22, 0
                                        ; implicit-def: $sgpr0
                                        ; implicit-def: $vgpr2_vgpr3
                                        ; implicit-def: $vgpr0
	s_and_saveexec_b32 s21, s23
	s_cbranch_execz .LBB38_1230
; %bb.1223:
	s_wait_loadcnt 0x0
	v_mul_lo_u32 v0, v18, s4
	s_and_b32 s0, s12, 0xff
	s_delay_alu instid0(SALU_CYCLE_1) | instskip(NEXT) | instid1(VALU_DEP_1)
	s_cmp_lt_i32 s0, 11
	v_ashrrev_i32_e32 v1, 31, v0
	s_delay_alu instid0(VALU_DEP_1)
	v_add_nc_u64_e32 v[2:3], s[8:9], v[0:1]
	s_cbranch_scc1 .LBB38_1233
; %bb.1224:
	s_and_b32 s22, 0xffff, s0
	s_delay_alu instid0(SALU_CYCLE_1)
	s_cmp_gt_i32 s22, 25
	s_cbranch_scc0 .LBB38_1234
; %bb.1225:
	s_cmp_gt_i32 s22, 28
	s_cbranch_scc0 .LBB38_1235
; %bb.1226:
	;; [unrolled: 3-line block ×4, first 2 shown]
	s_cmp_eq_u32 s22, 46
	s_mov_b32 s26, 0
	s_cbranch_scc0 .LBB38_1239
; %bb.1229:
	global_load_b32 v0, v[2:3], off
	s_mov_b32 s23, 0
	s_mov_b32 s25, -1
	s_wait_loadcnt 0x0
	v_lshlrev_b32_e32 v0, 16, v0
	s_delay_alu instid0(VALU_DEP_1)
	v_cvt_i32_f32_e32 v0, v0
	s_branch .LBB38_1241
.LBB38_1230:
	s_or_b32 exec_lo, exec_lo, s21
	s_and_saveexec_b32 s21, s20
	s_cbranch_execnz .LBB38_1300
.LBB38_1231:
	s_or_b32 exec_lo, exec_lo, s21
	s_and_saveexec_b32 s20, s24
	s_delay_alu instid0(SALU_CYCLE_1)
	s_xor_b32 s20, exec_lo, s20
	s_cbranch_execz .LBB38_1301
.LBB38_1232:
	s_wait_loadcnt 0x0
	global_load_u8 v0, v[2:3], off
	s_or_b32 s22, s22, exec_lo
	s_wait_loadcnt 0x0
	v_cmp_ne_u16_e32 vcc_lo, 0, v0
	v_cndmask_b32_e64 v0, 0, 1, vcc_lo
	s_wait_xcnt 0x0
	s_or_b32 exec_lo, exec_lo, s20
	s_and_saveexec_b32 s20, s25
	s_cbranch_execz .LBB38_1347
	s_branch .LBB38_1302
.LBB38_1233:
	s_mov_b32 s26, -1
	s_mov_b32 s23, s20
                                        ; implicit-def: $vgpr0
	s_branch .LBB38_1299
.LBB38_1234:
	s_mov_b32 s23, s20
                                        ; implicit-def: $vgpr0
	s_cbranch_execnz .LBB38_1268
	s_branch .LBB38_1298
.LBB38_1235:
	s_mov_b32 s26, -1
	s_mov_b32 s23, s20
                                        ; implicit-def: $vgpr0
	s_branch .LBB38_1251
.LBB38_1236:
	s_mov_b32 s18, exec_lo
	s_and_not1_b32 s23, s23, exec_lo
	s_trap 2
	s_branch .LBB38_1222
.LBB38_1237:
	s_mov_b32 s26, -1
	s_mov_b32 s23, s20
                                        ; implicit-def: $vgpr0
	s_branch .LBB38_1246
.LBB38_1238:
	s_mov_b32 s26, -1
	s_mov_b32 s23, s20
	s_branch .LBB38_1240
.LBB38_1239:
	s_mov_b32 s23, -1
.LBB38_1240:
                                        ; implicit-def: $vgpr0
.LBB38_1241:
	s_and_b32 vcc_lo, exec_lo, s26
	s_cbranch_vccz .LBB38_1245
; %bb.1242:
	s_cmp_eq_u32 s22, 44
	s_cbranch_scc0 .LBB38_1244
; %bb.1243:
	global_load_u8 v0, v[2:3], off
	s_mov_b32 s23, 0
	s_mov_b32 s25, -1
	s_wait_loadcnt 0x0
	v_lshlrev_b32_e32 v1, 23, v0
	v_cmp_ne_u32_e32 vcc_lo, 0, v0
	s_delay_alu instid0(VALU_DEP_2) | instskip(NEXT) | instid1(VALU_DEP_1)
	v_cvt_i32_f32_e32 v1, v1
	v_cndmask_b32_e32 v0, 0, v1, vcc_lo
	s_branch .LBB38_1245
.LBB38_1244:
	s_mov_b32 s23, -1
                                        ; implicit-def: $vgpr0
.LBB38_1245:
	s_mov_b32 s26, 0
.LBB38_1246:
	s_delay_alu instid0(SALU_CYCLE_1)
	s_and_b32 vcc_lo, exec_lo, s26
	s_cbranch_vccz .LBB38_1250
; %bb.1247:
	s_cmp_eq_u32 s22, 29
	s_cbranch_scc0 .LBB38_1249
; %bb.1248:
	global_load_b64 v[0:1], v[2:3], off
	s_mov_b32 s23, 0
	s_mov_b32 s25, -1
	s_branch .LBB38_1250
.LBB38_1249:
	s_mov_b32 s23, -1
                                        ; implicit-def: $vgpr0
.LBB38_1250:
	s_mov_b32 s26, 0
.LBB38_1251:
	s_delay_alu instid0(SALU_CYCLE_1)
	s_and_b32 vcc_lo, exec_lo, s26
	s_cbranch_vccz .LBB38_1267
; %bb.1252:
	s_cmp_lt_i32 s22, 27
	s_cbranch_scc1 .LBB38_1255
; %bb.1253:
	s_cmp_gt_i32 s22, 27
	s_cbranch_scc0 .LBB38_1256
; %bb.1254:
	s_wait_loadcnt 0x0
	global_load_b32 v0, v[2:3], off
	s_mov_b32 s25, 0
	s_branch .LBB38_1257
.LBB38_1255:
	s_mov_b32 s25, -1
                                        ; implicit-def: $vgpr0
	s_branch .LBB38_1260
.LBB38_1256:
	s_mov_b32 s25, -1
                                        ; implicit-def: $vgpr0
.LBB38_1257:
	s_delay_alu instid0(SALU_CYCLE_1)
	s_and_not1_b32 vcc_lo, exec_lo, s25
	s_cbranch_vccnz .LBB38_1259
; %bb.1258:
	s_wait_loadcnt 0x0
	global_load_u16 v0, v[2:3], off
.LBB38_1259:
	s_mov_b32 s25, 0
.LBB38_1260:
	s_delay_alu instid0(SALU_CYCLE_1)
	s_and_not1_b32 vcc_lo, exec_lo, s25
	s_cbranch_vccnz .LBB38_1266
; %bb.1261:
	s_wait_loadcnt 0x0
	global_load_u8 v1, v[2:3], off
	s_mov_b32 s26, 0
	s_mov_b32 s25, exec_lo
	s_wait_loadcnt 0x0
	v_cmpx_lt_i16_e32 0x7f, v1
	s_xor_b32 s25, exec_lo, s25
	s_cbranch_execz .LBB38_1277
; %bb.1262:
	v_cmp_ne_u16_e32 vcc_lo, 0x80, v1
	s_and_b32 s26, vcc_lo, exec_lo
	s_and_not1_saveexec_b32 s25, s25
	s_cbranch_execnz .LBB38_1278
.LBB38_1263:
	s_or_b32 exec_lo, exec_lo, s25
	v_mov_b32_e32 v0, 0
	s_and_saveexec_b32 s25, s26
	s_cbranch_execz .LBB38_1265
.LBB38_1264:
	v_and_b32_e32 v0, 0xffff, v1
	s_delay_alu instid0(VALU_DEP_1) | instskip(SKIP_1) | instid1(VALU_DEP_2)
	v_and_b32_e32 v4, 7, v0
	v_bfe_u32 v7, v0, 3, 4
	v_clz_i32_u32_e32 v5, v4
	s_delay_alu instid0(VALU_DEP_2) | instskip(NEXT) | instid1(VALU_DEP_2)
	v_cmp_eq_u32_e32 vcc_lo, 0, v7
	v_min_u32_e32 v5, 32, v5
	s_delay_alu instid0(VALU_DEP_1) | instskip(NEXT) | instid1(VALU_DEP_1)
	v_subrev_nc_u32_e32 v6, 28, v5
	v_dual_lshlrev_b32 v0, v6, v0 :: v_dual_sub_nc_u32 v5, 29, v5
	s_delay_alu instid0(VALU_DEP_1) | instskip(NEXT) | instid1(VALU_DEP_1)
	v_dual_lshlrev_b32 v1, 24, v1 :: v_dual_bitop2_b32 v0, 7, v0 bitop3:0x40
	v_dual_cndmask_b32 v0, v4, v0 :: v_dual_cndmask_b32 v5, v7, v5
	s_delay_alu instid0(VALU_DEP_2) | instskip(NEXT) | instid1(VALU_DEP_2)
	v_and_b32_e32 v1, 0x80000000, v1
	v_lshlrev_b32_e32 v0, 20, v0
	s_delay_alu instid0(VALU_DEP_3) | instskip(NEXT) | instid1(VALU_DEP_1)
	v_lshl_add_u32 v4, v5, 23, 0x3b800000
	v_or3_b32 v0, v1, v4, v0
	s_delay_alu instid0(VALU_DEP_1)
	v_cvt_i32_f32_e32 v0, v0
.LBB38_1265:
	s_or_b32 exec_lo, exec_lo, s25
.LBB38_1266:
	s_mov_b32 s25, -1
.LBB38_1267:
	s_branch .LBB38_1298
.LBB38_1268:
	s_cmp_gt_i32 s22, 22
	s_cbranch_scc0 .LBB38_1276
; %bb.1269:
	s_cmp_lt_i32 s22, 24
	s_cbranch_scc1 .LBB38_1279
; %bb.1270:
	s_cmp_gt_i32 s22, 24
	s_cbranch_scc0 .LBB38_1280
; %bb.1271:
	s_wait_loadcnt 0x0
	global_load_u8 v1, v[2:3], off
	s_mov_b32 s25, 0
	s_mov_b32 s24, exec_lo
	s_wait_loadcnt 0x0
	v_cmpx_lt_i16_e32 0x7f, v1
	s_xor_b32 s24, exec_lo, s24
	s_cbranch_execz .LBB38_1292
; %bb.1272:
	v_cmp_ne_u16_e32 vcc_lo, 0x80, v1
	s_and_b32 s25, vcc_lo, exec_lo
	s_and_not1_saveexec_b32 s24, s24
	s_cbranch_execnz .LBB38_1293
.LBB38_1273:
	s_or_b32 exec_lo, exec_lo, s24
	v_mov_b32_e32 v0, 0
	s_and_saveexec_b32 s24, s25
	s_cbranch_execz .LBB38_1275
.LBB38_1274:
	v_and_b32_e32 v0, 0xffff, v1
	s_delay_alu instid0(VALU_DEP_1) | instskip(SKIP_1) | instid1(VALU_DEP_2)
	v_and_b32_e32 v4, 3, v0
	v_bfe_u32 v7, v0, 2, 5
	v_clz_i32_u32_e32 v5, v4
	s_delay_alu instid0(VALU_DEP_2) | instskip(NEXT) | instid1(VALU_DEP_2)
	v_cmp_eq_u32_e32 vcc_lo, 0, v7
	v_min_u32_e32 v5, 32, v5
	s_delay_alu instid0(VALU_DEP_1) | instskip(NEXT) | instid1(VALU_DEP_1)
	v_subrev_nc_u32_e32 v6, 29, v5
	v_dual_lshlrev_b32 v0, v6, v0 :: v_dual_sub_nc_u32 v5, 30, v5
	s_delay_alu instid0(VALU_DEP_1) | instskip(NEXT) | instid1(VALU_DEP_1)
	v_dual_lshlrev_b32 v1, 24, v1 :: v_dual_bitop2_b32 v0, 3, v0 bitop3:0x40
	v_dual_cndmask_b32 v0, v4, v0 :: v_dual_cndmask_b32 v5, v7, v5
	s_delay_alu instid0(VALU_DEP_2) | instskip(NEXT) | instid1(VALU_DEP_2)
	v_and_b32_e32 v1, 0x80000000, v1
	v_lshlrev_b32_e32 v0, 21, v0
	s_delay_alu instid0(VALU_DEP_3) | instskip(NEXT) | instid1(VALU_DEP_1)
	v_lshl_add_u32 v4, v5, 23, 0x37800000
	v_or3_b32 v0, v1, v4, v0
	s_delay_alu instid0(VALU_DEP_1)
	v_cvt_i32_f32_e32 v0, v0
.LBB38_1275:
	s_or_b32 exec_lo, exec_lo, s24
	s_mov_b32 s24, 0
	s_branch .LBB38_1281
.LBB38_1276:
	s_mov_b32 s24, -1
                                        ; implicit-def: $vgpr0
	s_branch .LBB38_1287
.LBB38_1277:
	s_and_not1_saveexec_b32 s25, s25
	s_cbranch_execz .LBB38_1263
.LBB38_1278:
	v_cmp_ne_u16_e32 vcc_lo, 0, v1
	s_and_not1_b32 s26, s26, exec_lo
	s_and_b32 s27, vcc_lo, exec_lo
	s_delay_alu instid0(SALU_CYCLE_1)
	s_or_b32 s26, s26, s27
	s_or_b32 exec_lo, exec_lo, s25
	v_mov_b32_e32 v0, 0
	s_and_saveexec_b32 s25, s26
	s_cbranch_execnz .LBB38_1264
	s_branch .LBB38_1265
.LBB38_1279:
	s_mov_b32 s24, -1
                                        ; implicit-def: $vgpr0
	s_branch .LBB38_1284
.LBB38_1280:
	s_mov_b32 s24, -1
                                        ; implicit-def: $vgpr0
.LBB38_1281:
	s_delay_alu instid0(SALU_CYCLE_1)
	s_and_b32 vcc_lo, exec_lo, s24
	s_cbranch_vccz .LBB38_1283
; %bb.1282:
	s_wait_loadcnt 0x0
	global_load_u8 v0, v[2:3], off
	s_wait_loadcnt 0x0
	v_lshlrev_b32_e32 v0, 24, v0
	s_delay_alu instid0(VALU_DEP_1) | instskip(NEXT) | instid1(VALU_DEP_1)
	v_and_b32_e32 v1, 0x7f000000, v0
	v_clz_i32_u32_e32 v4, v1
	v_cmp_ne_u32_e32 vcc_lo, 0, v1
	v_add_nc_u32_e32 v6, 0x1000000, v1
	s_delay_alu instid0(VALU_DEP_3) | instskip(NEXT) | instid1(VALU_DEP_1)
	v_min_u32_e32 v4, 32, v4
	v_sub_nc_u32_e64 v4, v4, 4 clamp
	s_delay_alu instid0(VALU_DEP_1) | instskip(NEXT) | instid1(VALU_DEP_1)
	v_dual_lshlrev_b32 v5, v4, v1 :: v_dual_lshlrev_b32 v4, 23, v4
	v_lshrrev_b32_e32 v5, 4, v5
	s_delay_alu instid0(VALU_DEP_1) | instskip(NEXT) | instid1(VALU_DEP_1)
	v_dual_sub_nc_u32 v4, v5, v4 :: v_dual_ashrrev_i32 v5, 8, v6
	v_add_nc_u32_e32 v4, 0x3c000000, v4
	s_delay_alu instid0(VALU_DEP_1) | instskip(NEXT) | instid1(VALU_DEP_1)
	v_and_or_b32 v4, 0x7f800000, v5, v4
	v_cndmask_b32_e32 v1, 0, v4, vcc_lo
	s_delay_alu instid0(VALU_DEP_1) | instskip(NEXT) | instid1(VALU_DEP_1)
	v_and_or_b32 v0, 0x80000000, v0, v1
	v_cvt_i32_f32_e32 v0, v0
.LBB38_1283:
	s_mov_b32 s24, 0
.LBB38_1284:
	s_delay_alu instid0(SALU_CYCLE_1)
	s_and_not1_b32 vcc_lo, exec_lo, s24
	s_cbranch_vccnz .LBB38_1286
; %bb.1285:
	s_wait_loadcnt 0x0
	global_load_u8 v0, v[2:3], off
	s_wait_loadcnt 0x0
	v_lshlrev_b32_e32 v1, 25, v0
	v_lshlrev_b16 v0, 8, v0
	s_delay_alu instid0(VALU_DEP_1) | instskip(SKIP_1) | instid1(VALU_DEP_2)
	v_and_or_b32 v5, 0x7f00, v0, 0.5
	v_bfe_i32 v0, v0, 0, 16
	v_add_f32_e32 v5, -0.5, v5
	v_lshrrev_b32_e32 v4, 4, v1
	v_cmp_gt_u32_e32 vcc_lo, 0x8000000, v1
	s_delay_alu instid0(VALU_DEP_2) | instskip(NEXT) | instid1(VALU_DEP_1)
	v_or_b32_e32 v4, 0x70000000, v4
	v_mul_f32_e32 v4, 0x7800000, v4
	s_delay_alu instid0(VALU_DEP_1) | instskip(NEXT) | instid1(VALU_DEP_1)
	v_cndmask_b32_e32 v1, v4, v5, vcc_lo
	v_and_or_b32 v0, 0x80000000, v0, v1
	s_delay_alu instid0(VALU_DEP_1)
	v_cvt_i32_f32_e32 v0, v0
.LBB38_1286:
	s_mov_b32 s24, 0
	s_mov_b32 s25, -1
.LBB38_1287:
	s_and_not1_b32 vcc_lo, exec_lo, s24
	s_mov_b32 s24, 0
	s_cbranch_vccnz .LBB38_1298
; %bb.1288:
	s_cmp_gt_i32 s22, 14
	s_cbranch_scc0 .LBB38_1291
; %bb.1289:
	s_cmp_eq_u32 s22, 15
	s_cbranch_scc0 .LBB38_1294
; %bb.1290:
	s_wait_loadcnt 0x0
	global_load_u16 v0, v[2:3], off
	s_mov_b32 s23, 0
	s_mov_b32 s25, -1
	s_wait_loadcnt 0x0
	v_lshlrev_b32_e32 v0, 16, v0
	s_delay_alu instid0(VALU_DEP_1)
	v_cvt_i32_f32_e32 v0, v0
	s_branch .LBB38_1296
.LBB38_1291:
	s_mov_b32 s24, -1
	s_branch .LBB38_1295
.LBB38_1292:
	s_and_not1_saveexec_b32 s24, s24
	s_cbranch_execz .LBB38_1273
.LBB38_1293:
	v_cmp_ne_u16_e32 vcc_lo, 0, v1
	s_and_not1_b32 s25, s25, exec_lo
	s_and_b32 s26, vcc_lo, exec_lo
	s_delay_alu instid0(SALU_CYCLE_1)
	s_or_b32 s25, s25, s26
	s_or_b32 exec_lo, exec_lo, s24
	v_mov_b32_e32 v0, 0
	s_and_saveexec_b32 s24, s25
	s_cbranch_execnz .LBB38_1274
	s_branch .LBB38_1275
.LBB38_1294:
	s_mov_b32 s23, -1
.LBB38_1295:
                                        ; implicit-def: $vgpr0
.LBB38_1296:
	s_and_b32 vcc_lo, exec_lo, s24
	s_mov_b32 s24, 0
	s_cbranch_vccz .LBB38_1298
; %bb.1297:
	s_cmp_lg_u32 s22, 11
	s_mov_b32 s24, -1
	s_cselect_b32 s22, -1, 0
	s_and_not1_b32 s23, s23, exec_lo
	s_and_b32 s22, s22, exec_lo
	s_delay_alu instid0(SALU_CYCLE_1)
	s_or_b32 s23, s23, s22
.LBB38_1298:
	s_mov_b32 s26, 0
.LBB38_1299:
	s_and_not1_b32 s20, s20, exec_lo
	s_and_b32 s23, s23, exec_lo
	s_and_b32 s22, s25, exec_lo
	;; [unrolled: 1-line block ×4, first 2 shown]
	s_or_b32 s20, s20, s23
	s_wait_xcnt 0x0
	s_or_b32 exec_lo, exec_lo, s21
	s_and_saveexec_b32 s21, s20
	s_cbranch_execz .LBB38_1231
.LBB38_1300:
	s_or_b32 s18, s18, exec_lo
	s_and_not1_b32 s24, s24, exec_lo
	s_trap 2
	s_or_b32 exec_lo, exec_lo, s21
	s_and_saveexec_b32 s20, s24
	s_delay_alu instid0(SALU_CYCLE_1)
	s_xor_b32 s20, exec_lo, s20
	s_cbranch_execnz .LBB38_1232
.LBB38_1301:
	s_or_b32 exec_lo, exec_lo, s20
	s_and_saveexec_b32 s20, s25
	s_cbranch_execz .LBB38_1347
.LBB38_1302:
	s_sext_i32_i16 s21, s0
	s_delay_alu instid0(SALU_CYCLE_1)
	s_cmp_lt_i32 s21, 5
	s_cbranch_scc1 .LBB38_1307
; %bb.1303:
	s_cmp_lt_i32 s21, 8
	s_cbranch_scc1 .LBB38_1308
; %bb.1304:
	;; [unrolled: 3-line block ×3, first 2 shown]
	s_cmp_gt_i32 s21, 9
	s_cbranch_scc0 .LBB38_1310
; %bb.1306:
	s_wait_loadcnt 0x0
	global_load_b64 v[0:1], v[2:3], off
	s_mov_b32 s21, 0
	s_wait_loadcnt 0x0
	v_cvt_i32_f64_e32 v0, v[0:1]
	s_branch .LBB38_1311
.LBB38_1307:
                                        ; implicit-def: $vgpr0
	s_branch .LBB38_1328
.LBB38_1308:
                                        ; implicit-def: $vgpr0
	s_branch .LBB38_1317
.LBB38_1309:
	s_mov_b32 s21, -1
                                        ; implicit-def: $vgpr0
	s_branch .LBB38_1314
.LBB38_1310:
	s_mov_b32 s21, -1
                                        ; implicit-def: $vgpr0
.LBB38_1311:
	s_delay_alu instid0(SALU_CYCLE_1)
	s_and_not1_b32 vcc_lo, exec_lo, s21
	s_cbranch_vccnz .LBB38_1313
; %bb.1312:
	s_wait_loadcnt 0x0
	global_load_b32 v0, v[2:3], off
	s_wait_loadcnt 0x0
	v_cvt_i32_f32_e32 v0, v0
.LBB38_1313:
	s_mov_b32 s21, 0
.LBB38_1314:
	s_delay_alu instid0(SALU_CYCLE_1)
	s_and_not1_b32 vcc_lo, exec_lo, s21
	s_cbranch_vccnz .LBB38_1316
; %bb.1315:
	s_wait_loadcnt 0x0
	global_load_b32 v0, v[2:3], off
	s_wait_loadcnt 0x0
	v_cvt_i16_f16_e32 v0, v0
.LBB38_1316:
	s_cbranch_execnz .LBB38_1327
.LBB38_1317:
	s_sext_i32_i16 s21, s0
	s_delay_alu instid0(SALU_CYCLE_1)
	s_cmp_lt_i32 s21, 6
	s_cbranch_scc1 .LBB38_1320
; %bb.1318:
	s_cmp_gt_i32 s21, 6
	s_cbranch_scc0 .LBB38_1321
; %bb.1319:
	s_wait_loadcnt 0x0
	global_load_b64 v[0:1], v[2:3], off
	s_mov_b32 s21, 0
	s_wait_loadcnt 0x0
	v_cvt_i32_f64_e32 v0, v[0:1]
	s_branch .LBB38_1322
.LBB38_1320:
	s_mov_b32 s21, -1
                                        ; implicit-def: $vgpr0
	s_branch .LBB38_1325
.LBB38_1321:
	s_mov_b32 s21, -1
                                        ; implicit-def: $vgpr0
.LBB38_1322:
	s_delay_alu instid0(SALU_CYCLE_1)
	s_and_not1_b32 vcc_lo, exec_lo, s21
	s_cbranch_vccnz .LBB38_1324
; %bb.1323:
	s_wait_loadcnt 0x0
	global_load_b32 v0, v[2:3], off
	s_wait_loadcnt 0x0
	v_cvt_i32_f32_e32 v0, v0
.LBB38_1324:
	s_mov_b32 s21, 0
.LBB38_1325:
	s_delay_alu instid0(SALU_CYCLE_1)
	s_and_not1_b32 vcc_lo, exec_lo, s21
	s_cbranch_vccnz .LBB38_1327
; %bb.1326:
	s_wait_loadcnt 0x0
	global_load_u16 v0, v[2:3], off
	s_wait_loadcnt 0x0
	v_cvt_i16_f16_e32 v0, v0
.LBB38_1327:
	s_cbranch_execnz .LBB38_1346
.LBB38_1328:
	s_sext_i32_i16 s21, s0
	s_delay_alu instid0(SALU_CYCLE_1)
	s_cmp_lt_i32 s21, 2
	s_cbranch_scc1 .LBB38_1332
; %bb.1329:
	s_cmp_lt_i32 s21, 3
	s_cbranch_scc1 .LBB38_1333
; %bb.1330:
	s_cmp_gt_i32 s21, 3
	s_cbranch_scc0 .LBB38_1334
; %bb.1331:
	s_wait_loadcnt 0x0
	global_load_b64 v[0:1], v[2:3], off
	s_mov_b32 s21, 0
	s_branch .LBB38_1335
.LBB38_1332:
                                        ; implicit-def: $vgpr0
	s_branch .LBB38_1341
.LBB38_1333:
	s_mov_b32 s21, -1
                                        ; implicit-def: $vgpr0
	s_branch .LBB38_1338
.LBB38_1334:
	s_mov_b32 s21, -1
                                        ; implicit-def: $vgpr0
.LBB38_1335:
	s_delay_alu instid0(SALU_CYCLE_1)
	s_and_not1_b32 vcc_lo, exec_lo, s21
	s_cbranch_vccnz .LBB38_1337
; %bb.1336:
	s_wait_loadcnt 0x0
	global_load_b32 v0, v[2:3], off
.LBB38_1337:
	s_mov_b32 s21, 0
.LBB38_1338:
	s_delay_alu instid0(SALU_CYCLE_1)
	s_and_not1_b32 vcc_lo, exec_lo, s21
	s_cbranch_vccnz .LBB38_1340
; %bb.1339:
	s_wait_loadcnt 0x0
	global_load_u16 v0, v[2:3], off
.LBB38_1340:
	s_cbranch_execnz .LBB38_1346
.LBB38_1341:
	s_sext_i32_i16 s0, s0
	s_delay_alu instid0(SALU_CYCLE_1)
	s_cmp_gt_i32 s0, 0
	s_mov_b32 s0, 0
	s_cbranch_scc0 .LBB38_1343
; %bb.1342:
	s_wait_loadcnt 0x0
	global_load_u8 v0, v[2:3], off
	s_branch .LBB38_1344
.LBB38_1343:
	s_mov_b32 s0, -1
                                        ; implicit-def: $vgpr0
.LBB38_1344:
	s_delay_alu instid0(SALU_CYCLE_1)
	s_and_not1_b32 vcc_lo, exec_lo, s0
	s_cbranch_vccnz .LBB38_1346
; %bb.1345:
	s_wait_loadcnt 0x0
	global_load_u8 v0, v[2:3], off
.LBB38_1346:
	s_or_b32 s22, s22, exec_lo
.LBB38_1347:
	s_wait_xcnt 0x0
	s_or_b32 exec_lo, exec_lo, s20
	s_mov_b32 s23, 0
	s_mov_b32 s24, 0
	;; [unrolled: 1-line block ×3, first 2 shown]
                                        ; implicit-def: $sgpr0
                                        ; implicit-def: $vgpr2_vgpr3
                                        ; implicit-def: $vgpr4
	s_and_saveexec_b32 s20, s22
	s_cbranch_execz .LBB38_1355
; %bb.1348:
	v_mul_lo_u32 v2, v18, s5
	s_and_b32 s0, s7, 0xff
	s_delay_alu instid0(SALU_CYCLE_1) | instskip(NEXT) | instid1(VALU_DEP_1)
	s_cmp_lt_i32 s0, 11
	v_ashrrev_i32_e32 v3, 31, v2
	s_delay_alu instid0(VALU_DEP_1)
	v_add_nc_u64_e32 v[2:3], s[10:11], v[2:3]
	s_cbranch_scc1 .LBB38_1358
; %bb.1349:
	s_and_b32 s21, 0xffff, s0
	s_delay_alu instid0(SALU_CYCLE_1)
	s_cmp_gt_i32 s21, 25
	s_cbranch_scc0 .LBB38_1359
; %bb.1350:
	s_cmp_gt_i32 s21, 28
	s_cbranch_scc0 .LBB38_1360
; %bb.1351:
	s_cmp_gt_i32 s21, 43
	s_cbranch_scc0 .LBB38_1361
; %bb.1352:
	s_cmp_gt_i32 s21, 45
	s_cbranch_scc0 .LBB38_1362
; %bb.1353:
	s_cmp_eq_u32 s21, 46
	s_mov_b32 s25, 0
	s_cbranch_scc0 .LBB38_1363
; %bb.1354:
	s_wait_loadcnt 0x0
	global_load_b32 v1, v[2:3], off
	s_mov_b32 s22, 0
	s_mov_b32 s24, -1
	s_wait_loadcnt 0x0
	v_lshlrev_b32_e32 v1, 16, v1
	s_delay_alu instid0(VALU_DEP_1)
	v_cvt_i32_f32_e32 v4, v1
	s_branch .LBB38_1365
.LBB38_1355:
	s_or_b32 exec_lo, exec_lo, s20
	s_and_saveexec_b32 s20, s19
	s_cbranch_execnz .LBB38_1424
.LBB38_1356:
	s_or_b32 exec_lo, exec_lo, s20
	s_and_saveexec_b32 s19, s23
	s_delay_alu instid0(SALU_CYCLE_1)
	s_xor_b32 s19, exec_lo, s19
	s_cbranch_execz .LBB38_1425
.LBB38_1357:
	s_wait_loadcnt 0x0
	global_load_u8 v1, v[2:3], off
	s_or_b32 s21, s21, exec_lo
	s_wait_loadcnt 0x0
	v_cmp_ne_u16_e32 vcc_lo, 0, v1
	v_cndmask_b32_e64 v4, 0, 1, vcc_lo
	s_wait_xcnt 0x0
	s_or_b32 exec_lo, exec_lo, s19
	s_and_saveexec_b32 s19, s24
	s_cbranch_execz .LBB38_1471
	s_branch .LBB38_1426
.LBB38_1358:
	s_mov_b32 s25, -1
	s_mov_b32 s22, s19
                                        ; implicit-def: $vgpr4
	s_branch .LBB38_1423
.LBB38_1359:
	s_mov_b32 s22, s19
                                        ; implicit-def: $vgpr4
	s_cbranch_execnz .LBB38_1392
	s_branch .LBB38_1422
.LBB38_1360:
	s_mov_b32 s25, -1
	s_mov_b32 s22, s19
                                        ; implicit-def: $vgpr4
	s_branch .LBB38_1375
.LBB38_1361:
	s_mov_b32 s25, -1
	s_mov_b32 s22, s19
                                        ; implicit-def: $vgpr4
	s_branch .LBB38_1370
.LBB38_1362:
	s_mov_b32 s25, -1
	s_mov_b32 s22, s19
	s_branch .LBB38_1364
.LBB38_1363:
	s_mov_b32 s22, -1
.LBB38_1364:
                                        ; implicit-def: $vgpr4
.LBB38_1365:
	s_and_b32 vcc_lo, exec_lo, s25
	s_cbranch_vccz .LBB38_1369
; %bb.1366:
	s_cmp_eq_u32 s21, 44
	s_cbranch_scc0 .LBB38_1368
; %bb.1367:
	s_wait_loadcnt 0x0
	global_load_u8 v1, v[2:3], off
	s_mov_b32 s22, 0
	s_mov_b32 s24, -1
	s_wait_loadcnt 0x0
	v_lshlrev_b32_e32 v4, 23, v1
	v_cmp_ne_u32_e32 vcc_lo, 0, v1
	s_delay_alu instid0(VALU_DEP_2) | instskip(NEXT) | instid1(VALU_DEP_1)
	v_cvt_i32_f32_e32 v4, v4
	v_cndmask_b32_e32 v4, 0, v4, vcc_lo
	s_branch .LBB38_1369
.LBB38_1368:
	s_mov_b32 s22, -1
                                        ; implicit-def: $vgpr4
.LBB38_1369:
	s_mov_b32 s25, 0
.LBB38_1370:
	s_delay_alu instid0(SALU_CYCLE_1)
	s_and_b32 vcc_lo, exec_lo, s25
	s_cbranch_vccz .LBB38_1374
; %bb.1371:
	s_cmp_eq_u32 s21, 29
	s_cbranch_scc0 .LBB38_1373
; %bb.1372:
	s_wait_loadcnt 0x0
	global_load_b64 v[4:5], v[2:3], off
	s_mov_b32 s22, 0
	s_mov_b32 s24, -1
	s_branch .LBB38_1374
.LBB38_1373:
	s_mov_b32 s22, -1
                                        ; implicit-def: $vgpr4
.LBB38_1374:
	s_mov_b32 s25, 0
.LBB38_1375:
	s_delay_alu instid0(SALU_CYCLE_1)
	s_and_b32 vcc_lo, exec_lo, s25
	s_cbranch_vccz .LBB38_1391
; %bb.1376:
	s_cmp_lt_i32 s21, 27
	s_cbranch_scc1 .LBB38_1379
; %bb.1377:
	s_cmp_gt_i32 s21, 27
	s_cbranch_scc0 .LBB38_1380
; %bb.1378:
	s_wait_loadcnt 0x0
	global_load_b32 v4, v[2:3], off
	s_mov_b32 s24, 0
	s_branch .LBB38_1381
.LBB38_1379:
	s_mov_b32 s24, -1
                                        ; implicit-def: $vgpr4
	s_branch .LBB38_1384
.LBB38_1380:
	s_mov_b32 s24, -1
                                        ; implicit-def: $vgpr4
.LBB38_1381:
	s_delay_alu instid0(SALU_CYCLE_1)
	s_and_not1_b32 vcc_lo, exec_lo, s24
	s_cbranch_vccnz .LBB38_1383
; %bb.1382:
	s_wait_loadcnt 0x0
	global_load_u16 v4, v[2:3], off
.LBB38_1383:
	s_mov_b32 s24, 0
.LBB38_1384:
	s_delay_alu instid0(SALU_CYCLE_1)
	s_and_not1_b32 vcc_lo, exec_lo, s24
	s_cbranch_vccnz .LBB38_1390
; %bb.1385:
	s_wait_loadcnt 0x0
	global_load_u8 v1, v[2:3], off
	s_mov_b32 s25, 0
	s_mov_b32 s24, exec_lo
	s_wait_loadcnt 0x0
	v_cmpx_lt_i16_e32 0x7f, v1
	s_xor_b32 s24, exec_lo, s24
	s_cbranch_execz .LBB38_1401
; %bb.1386:
	v_cmp_ne_u16_e32 vcc_lo, 0x80, v1
	s_and_b32 s25, vcc_lo, exec_lo
	s_and_not1_saveexec_b32 s24, s24
	s_cbranch_execnz .LBB38_1402
.LBB38_1387:
	s_or_b32 exec_lo, exec_lo, s24
	v_mov_b32_e32 v4, 0
	s_and_saveexec_b32 s24, s25
	s_cbranch_execz .LBB38_1389
.LBB38_1388:
	v_and_b32_e32 v4, 0xffff, v1
	s_delay_alu instid0(VALU_DEP_1) | instskip(SKIP_1) | instid1(VALU_DEP_2)
	v_and_b32_e32 v5, 7, v4
	v_bfe_u32 v8, v4, 3, 4
	v_clz_i32_u32_e32 v6, v5
	s_delay_alu instid0(VALU_DEP_2) | instskip(NEXT) | instid1(VALU_DEP_2)
	v_cmp_eq_u32_e32 vcc_lo, 0, v8
	v_min_u32_e32 v6, 32, v6
	s_delay_alu instid0(VALU_DEP_1) | instskip(NEXT) | instid1(VALU_DEP_1)
	v_subrev_nc_u32_e32 v7, 28, v6
	v_dual_lshlrev_b32 v4, v7, v4 :: v_dual_sub_nc_u32 v6, 29, v6
	s_delay_alu instid0(VALU_DEP_1) | instskip(NEXT) | instid1(VALU_DEP_1)
	v_dual_lshlrev_b32 v1, 24, v1 :: v_dual_bitop2_b32 v4, 7, v4 bitop3:0x40
	v_dual_cndmask_b32 v6, v8, v6, vcc_lo :: v_dual_cndmask_b32 v4, v5, v4, vcc_lo
	s_delay_alu instid0(VALU_DEP_2) | instskip(NEXT) | instid1(VALU_DEP_2)
	v_and_b32_e32 v1, 0x80000000, v1
	v_lshl_add_u32 v5, v6, 23, 0x3b800000
	s_delay_alu instid0(VALU_DEP_3) | instskip(NEXT) | instid1(VALU_DEP_1)
	v_lshlrev_b32_e32 v4, 20, v4
	v_or3_b32 v1, v1, v5, v4
	s_delay_alu instid0(VALU_DEP_1)
	v_cvt_i32_f32_e32 v4, v1
.LBB38_1389:
	s_or_b32 exec_lo, exec_lo, s24
.LBB38_1390:
	s_mov_b32 s24, -1
.LBB38_1391:
	s_branch .LBB38_1422
.LBB38_1392:
	s_cmp_gt_i32 s21, 22
	s_cbranch_scc0 .LBB38_1400
; %bb.1393:
	s_cmp_lt_i32 s21, 24
	s_cbranch_scc1 .LBB38_1403
; %bb.1394:
	s_cmp_gt_i32 s21, 24
	s_cbranch_scc0 .LBB38_1404
; %bb.1395:
	s_wait_loadcnt 0x0
	global_load_u8 v1, v[2:3], off
	s_mov_b32 s24, 0
	s_mov_b32 s23, exec_lo
	s_wait_loadcnt 0x0
	v_cmpx_lt_i16_e32 0x7f, v1
	s_xor_b32 s23, exec_lo, s23
	s_cbranch_execz .LBB38_1416
; %bb.1396:
	v_cmp_ne_u16_e32 vcc_lo, 0x80, v1
	s_and_b32 s24, vcc_lo, exec_lo
	s_and_not1_saveexec_b32 s23, s23
	s_cbranch_execnz .LBB38_1417
.LBB38_1397:
	s_or_b32 exec_lo, exec_lo, s23
	v_mov_b32_e32 v4, 0
	s_and_saveexec_b32 s23, s24
	s_cbranch_execz .LBB38_1399
.LBB38_1398:
	v_and_b32_e32 v4, 0xffff, v1
	s_delay_alu instid0(VALU_DEP_1) | instskip(SKIP_1) | instid1(VALU_DEP_2)
	v_and_b32_e32 v5, 3, v4
	v_bfe_u32 v8, v4, 2, 5
	v_clz_i32_u32_e32 v6, v5
	s_delay_alu instid0(VALU_DEP_2) | instskip(NEXT) | instid1(VALU_DEP_2)
	v_cmp_eq_u32_e32 vcc_lo, 0, v8
	v_min_u32_e32 v6, 32, v6
	s_delay_alu instid0(VALU_DEP_1) | instskip(NEXT) | instid1(VALU_DEP_1)
	v_subrev_nc_u32_e32 v7, 29, v6
	v_dual_lshlrev_b32 v4, v7, v4 :: v_dual_sub_nc_u32 v6, 30, v6
	s_delay_alu instid0(VALU_DEP_1) | instskip(NEXT) | instid1(VALU_DEP_1)
	v_dual_lshlrev_b32 v1, 24, v1 :: v_dual_bitop2_b32 v4, 3, v4 bitop3:0x40
	v_dual_cndmask_b32 v6, v8, v6, vcc_lo :: v_dual_cndmask_b32 v4, v5, v4, vcc_lo
	s_delay_alu instid0(VALU_DEP_2) | instskip(NEXT) | instid1(VALU_DEP_2)
	v_and_b32_e32 v1, 0x80000000, v1
	v_lshl_add_u32 v5, v6, 23, 0x37800000
	s_delay_alu instid0(VALU_DEP_3) | instskip(NEXT) | instid1(VALU_DEP_1)
	v_lshlrev_b32_e32 v4, 21, v4
	v_or3_b32 v1, v1, v5, v4
	s_delay_alu instid0(VALU_DEP_1)
	v_cvt_i32_f32_e32 v4, v1
.LBB38_1399:
	s_or_b32 exec_lo, exec_lo, s23
	s_mov_b32 s23, 0
	s_branch .LBB38_1405
.LBB38_1400:
	s_mov_b32 s23, -1
                                        ; implicit-def: $vgpr4
	s_branch .LBB38_1411
.LBB38_1401:
	s_and_not1_saveexec_b32 s24, s24
	s_cbranch_execz .LBB38_1387
.LBB38_1402:
	v_cmp_ne_u16_e32 vcc_lo, 0, v1
	s_and_not1_b32 s25, s25, exec_lo
	s_and_b32 s26, vcc_lo, exec_lo
	s_delay_alu instid0(SALU_CYCLE_1)
	s_or_b32 s25, s25, s26
	s_or_b32 exec_lo, exec_lo, s24
	v_mov_b32_e32 v4, 0
	s_and_saveexec_b32 s24, s25
	s_cbranch_execnz .LBB38_1388
	s_branch .LBB38_1389
.LBB38_1403:
	s_mov_b32 s23, -1
                                        ; implicit-def: $vgpr4
	s_branch .LBB38_1408
.LBB38_1404:
	s_mov_b32 s23, -1
                                        ; implicit-def: $vgpr4
.LBB38_1405:
	s_delay_alu instid0(SALU_CYCLE_1)
	s_and_b32 vcc_lo, exec_lo, s23
	s_cbranch_vccz .LBB38_1407
; %bb.1406:
	s_wait_loadcnt 0x0
	global_load_u8 v1, v[2:3], off
	s_wait_loadcnt 0x0
	v_lshlrev_b32_e32 v1, 24, v1
	s_delay_alu instid0(VALU_DEP_1) | instskip(NEXT) | instid1(VALU_DEP_1)
	v_and_b32_e32 v4, 0x7f000000, v1
	v_clz_i32_u32_e32 v5, v4
	v_cmp_ne_u32_e32 vcc_lo, 0, v4
	v_add_nc_u32_e32 v7, 0x1000000, v4
	s_delay_alu instid0(VALU_DEP_3) | instskip(NEXT) | instid1(VALU_DEP_1)
	v_min_u32_e32 v5, 32, v5
	v_sub_nc_u32_e64 v5, v5, 4 clamp
	s_delay_alu instid0(VALU_DEP_1) | instskip(NEXT) | instid1(VALU_DEP_1)
	v_dual_lshlrev_b32 v6, v5, v4 :: v_dual_lshlrev_b32 v5, 23, v5
	v_lshrrev_b32_e32 v6, 4, v6
	s_delay_alu instid0(VALU_DEP_1) | instskip(NEXT) | instid1(VALU_DEP_1)
	v_dual_sub_nc_u32 v5, v6, v5 :: v_dual_ashrrev_i32 v6, 8, v7
	v_add_nc_u32_e32 v5, 0x3c000000, v5
	s_delay_alu instid0(VALU_DEP_1) | instskip(NEXT) | instid1(VALU_DEP_1)
	v_and_or_b32 v5, 0x7f800000, v6, v5
	v_cndmask_b32_e32 v4, 0, v5, vcc_lo
	s_delay_alu instid0(VALU_DEP_1) | instskip(NEXT) | instid1(VALU_DEP_1)
	v_and_or_b32 v1, 0x80000000, v1, v4
	v_cvt_i32_f32_e32 v4, v1
.LBB38_1407:
	s_mov_b32 s23, 0
.LBB38_1408:
	s_delay_alu instid0(SALU_CYCLE_1)
	s_and_not1_b32 vcc_lo, exec_lo, s23
	s_cbranch_vccnz .LBB38_1410
; %bb.1409:
	s_wait_loadcnt 0x0
	global_load_u8 v1, v[2:3], off
	s_wait_loadcnt 0x0
	v_lshlrev_b32_e32 v4, 25, v1
	v_lshlrev_b16 v1, 8, v1
	s_delay_alu instid0(VALU_DEP_1) | instskip(SKIP_1) | instid1(VALU_DEP_2)
	v_and_or_b32 v6, 0x7f00, v1, 0.5
	v_bfe_i32 v1, v1, 0, 16
	v_dual_add_f32 v6, -0.5, v6 :: v_dual_lshrrev_b32 v5, 4, v4
	v_cmp_gt_u32_e32 vcc_lo, 0x8000000, v4
	s_delay_alu instid0(VALU_DEP_2) | instskip(NEXT) | instid1(VALU_DEP_1)
	v_or_b32_e32 v5, 0x70000000, v5
	v_mul_f32_e32 v5, 0x7800000, v5
	s_delay_alu instid0(VALU_DEP_1) | instskip(NEXT) | instid1(VALU_DEP_1)
	v_cndmask_b32_e32 v4, v5, v6, vcc_lo
	v_and_or_b32 v1, 0x80000000, v1, v4
	s_delay_alu instid0(VALU_DEP_1)
	v_cvt_i32_f32_e32 v4, v1
.LBB38_1410:
	s_mov_b32 s23, 0
	s_mov_b32 s24, -1
.LBB38_1411:
	s_and_not1_b32 vcc_lo, exec_lo, s23
	s_mov_b32 s23, 0
	s_cbranch_vccnz .LBB38_1422
; %bb.1412:
	s_cmp_gt_i32 s21, 14
	s_cbranch_scc0 .LBB38_1415
; %bb.1413:
	s_cmp_eq_u32 s21, 15
	s_cbranch_scc0 .LBB38_1418
; %bb.1414:
	s_wait_loadcnt 0x0
	global_load_u16 v1, v[2:3], off
	s_mov_b32 s22, 0
	s_mov_b32 s24, -1
	s_wait_loadcnt 0x0
	v_lshlrev_b32_e32 v1, 16, v1
	s_delay_alu instid0(VALU_DEP_1)
	v_cvt_i32_f32_e32 v4, v1
	s_branch .LBB38_1420
.LBB38_1415:
	s_mov_b32 s23, -1
	s_branch .LBB38_1419
.LBB38_1416:
	s_and_not1_saveexec_b32 s23, s23
	s_cbranch_execz .LBB38_1397
.LBB38_1417:
	v_cmp_ne_u16_e32 vcc_lo, 0, v1
	s_and_not1_b32 s24, s24, exec_lo
	s_and_b32 s25, vcc_lo, exec_lo
	s_delay_alu instid0(SALU_CYCLE_1)
	s_or_b32 s24, s24, s25
	s_or_b32 exec_lo, exec_lo, s23
	v_mov_b32_e32 v4, 0
	s_and_saveexec_b32 s23, s24
	s_cbranch_execnz .LBB38_1398
	s_branch .LBB38_1399
.LBB38_1418:
	s_mov_b32 s22, -1
.LBB38_1419:
                                        ; implicit-def: $vgpr4
.LBB38_1420:
	s_and_b32 vcc_lo, exec_lo, s23
	s_mov_b32 s23, 0
	s_cbranch_vccz .LBB38_1422
; %bb.1421:
	s_cmp_lg_u32 s21, 11
	s_mov_b32 s23, -1
	s_cselect_b32 s21, -1, 0
	s_and_not1_b32 s22, s22, exec_lo
	s_and_b32 s21, s21, exec_lo
	s_delay_alu instid0(SALU_CYCLE_1)
	s_or_b32 s22, s22, s21
.LBB38_1422:
	s_mov_b32 s25, 0
.LBB38_1423:
	s_and_not1_b32 s19, s19, exec_lo
	s_and_b32 s22, s22, exec_lo
	s_and_b32 s21, s24, exec_lo
	;; [unrolled: 1-line block ×4, first 2 shown]
	s_or_b32 s19, s19, s22
	s_wait_xcnt 0x0
	s_or_b32 exec_lo, exec_lo, s20
	s_and_saveexec_b32 s20, s19
	s_cbranch_execz .LBB38_1356
.LBB38_1424:
	s_or_b32 s18, s18, exec_lo
	s_and_not1_b32 s23, s23, exec_lo
	s_trap 2
	s_or_b32 exec_lo, exec_lo, s20
	s_and_saveexec_b32 s19, s23
	s_delay_alu instid0(SALU_CYCLE_1)
	s_xor_b32 s19, exec_lo, s19
	s_cbranch_execnz .LBB38_1357
.LBB38_1425:
	s_or_b32 exec_lo, exec_lo, s19
	s_and_saveexec_b32 s19, s24
	s_cbranch_execz .LBB38_1471
.LBB38_1426:
	s_sext_i32_i16 s20, s0
	s_delay_alu instid0(SALU_CYCLE_1)
	s_cmp_lt_i32 s20, 5
	s_cbranch_scc1 .LBB38_1431
; %bb.1427:
	s_cmp_lt_i32 s20, 8
	s_cbranch_scc1 .LBB38_1432
; %bb.1428:
	;; [unrolled: 3-line block ×3, first 2 shown]
	s_cmp_gt_i32 s20, 9
	s_cbranch_scc0 .LBB38_1434
; %bb.1430:
	s_wait_loadcnt 0x0
	global_load_b64 v[4:5], v[2:3], off
	s_mov_b32 s20, 0
	s_wait_loadcnt 0x0
	v_cvt_i32_f64_e32 v4, v[4:5]
	s_branch .LBB38_1435
.LBB38_1431:
                                        ; implicit-def: $vgpr4
	s_branch .LBB38_1452
.LBB38_1432:
                                        ; implicit-def: $vgpr4
	s_branch .LBB38_1441
.LBB38_1433:
	s_mov_b32 s20, -1
                                        ; implicit-def: $vgpr4
	s_branch .LBB38_1438
.LBB38_1434:
	s_mov_b32 s20, -1
                                        ; implicit-def: $vgpr4
.LBB38_1435:
	s_delay_alu instid0(SALU_CYCLE_1)
	s_and_not1_b32 vcc_lo, exec_lo, s20
	s_cbranch_vccnz .LBB38_1437
; %bb.1436:
	s_wait_loadcnt 0x0
	global_load_b32 v1, v[2:3], off
	s_wait_loadcnt 0x0
	v_cvt_i32_f32_e32 v4, v1
.LBB38_1437:
	s_mov_b32 s20, 0
.LBB38_1438:
	s_delay_alu instid0(SALU_CYCLE_1)
	s_and_not1_b32 vcc_lo, exec_lo, s20
	s_cbranch_vccnz .LBB38_1440
; %bb.1439:
	s_wait_loadcnt 0x0
	global_load_b32 v1, v[2:3], off
	s_wait_loadcnt 0x0
	v_cvt_i16_f16_e32 v4, v1
.LBB38_1440:
	s_cbranch_execnz .LBB38_1451
.LBB38_1441:
	s_sext_i32_i16 s20, s0
	s_delay_alu instid0(SALU_CYCLE_1)
	s_cmp_lt_i32 s20, 6
	s_cbranch_scc1 .LBB38_1444
; %bb.1442:
	s_cmp_gt_i32 s20, 6
	s_cbranch_scc0 .LBB38_1445
; %bb.1443:
	s_wait_loadcnt 0x0
	global_load_b64 v[4:5], v[2:3], off
	s_mov_b32 s20, 0
	s_wait_loadcnt 0x0
	v_cvt_i32_f64_e32 v4, v[4:5]
	s_branch .LBB38_1446
.LBB38_1444:
	s_mov_b32 s20, -1
                                        ; implicit-def: $vgpr4
	s_branch .LBB38_1449
.LBB38_1445:
	s_mov_b32 s20, -1
                                        ; implicit-def: $vgpr4
.LBB38_1446:
	s_delay_alu instid0(SALU_CYCLE_1)
	s_and_not1_b32 vcc_lo, exec_lo, s20
	s_cbranch_vccnz .LBB38_1448
; %bb.1447:
	s_wait_loadcnt 0x0
	global_load_b32 v1, v[2:3], off
	s_wait_loadcnt 0x0
	v_cvt_i32_f32_e32 v4, v1
.LBB38_1448:
	s_mov_b32 s20, 0
.LBB38_1449:
	s_delay_alu instid0(SALU_CYCLE_1)
	s_and_not1_b32 vcc_lo, exec_lo, s20
	s_cbranch_vccnz .LBB38_1451
; %bb.1450:
	s_wait_loadcnt 0x0
	global_load_u16 v1, v[2:3], off
	s_wait_loadcnt 0x0
	v_cvt_i16_f16_e32 v4, v1
.LBB38_1451:
	s_cbranch_execnz .LBB38_1470
.LBB38_1452:
	s_sext_i32_i16 s20, s0
	s_delay_alu instid0(SALU_CYCLE_1)
	s_cmp_lt_i32 s20, 2
	s_cbranch_scc1 .LBB38_1456
; %bb.1453:
	s_cmp_lt_i32 s20, 3
	s_cbranch_scc1 .LBB38_1457
; %bb.1454:
	s_cmp_gt_i32 s20, 3
	s_cbranch_scc0 .LBB38_1458
; %bb.1455:
	s_wait_loadcnt 0x0
	global_load_b64 v[4:5], v[2:3], off
	s_mov_b32 s20, 0
	s_branch .LBB38_1459
.LBB38_1456:
                                        ; implicit-def: $vgpr4
	s_branch .LBB38_1465
.LBB38_1457:
	s_mov_b32 s20, -1
                                        ; implicit-def: $vgpr4
	s_branch .LBB38_1462
.LBB38_1458:
	s_mov_b32 s20, -1
                                        ; implicit-def: $vgpr4
.LBB38_1459:
	s_delay_alu instid0(SALU_CYCLE_1)
	s_and_not1_b32 vcc_lo, exec_lo, s20
	s_cbranch_vccnz .LBB38_1461
; %bb.1460:
	s_wait_loadcnt 0x0
	global_load_b32 v4, v[2:3], off
.LBB38_1461:
	s_mov_b32 s20, 0
.LBB38_1462:
	s_delay_alu instid0(SALU_CYCLE_1)
	s_and_not1_b32 vcc_lo, exec_lo, s20
	s_cbranch_vccnz .LBB38_1464
; %bb.1463:
	s_wait_loadcnt 0x0
	global_load_u16 v4, v[2:3], off
.LBB38_1464:
	s_cbranch_execnz .LBB38_1470
.LBB38_1465:
	s_sext_i32_i16 s0, s0
	s_delay_alu instid0(SALU_CYCLE_1)
	s_cmp_gt_i32 s0, 0
	s_mov_b32 s0, 0
	s_cbranch_scc0 .LBB38_1467
; %bb.1466:
	s_wait_loadcnt 0x0
	global_load_u8 v4, v[2:3], off
	s_branch .LBB38_1468
.LBB38_1467:
	s_mov_b32 s0, -1
                                        ; implicit-def: $vgpr4
.LBB38_1468:
	s_delay_alu instid0(SALU_CYCLE_1)
	s_and_not1_b32 vcc_lo, exec_lo, s0
	s_cbranch_vccnz .LBB38_1470
; %bb.1469:
	s_wait_loadcnt 0x0
	global_load_u8 v4, v[2:3], off
.LBB38_1470:
	s_or_b32 s21, s21, exec_lo
.LBB38_1471:
	s_wait_xcnt 0x0
	s_or_b32 exec_lo, exec_lo, s19
	s_mov_b32 s0, 0
	s_mov_b32 s22, 0
                                        ; implicit-def: $sgpr19
                                        ; implicit-def: $vgpr2_vgpr3
                                        ; implicit-def: $vgpr1
	s_and_saveexec_b32 s20, s21
	s_cbranch_execz .LBB38_1479
; %bb.1472:
	v_mul_lo_u32 v2, v18, s14
	s_wait_loadcnt 0x0
	v_mul_lo_u16 v0, v0, s6
	s_and_b32 s19, s1, 0xff
	s_delay_alu instid0(SALU_CYCLE_1) | instskip(NEXT) | instid1(VALU_DEP_1)
	s_cmp_lt_i32 s19, 11
	v_mul_lo_u16 v1, v0, v4
	s_delay_alu instid0(VALU_DEP_3) | instskip(NEXT) | instid1(VALU_DEP_1)
	v_ashrrev_i32_e32 v3, 31, v2
	v_add_nc_u64_e32 v[2:3], s[2:3], v[2:3]
	s_cbranch_scc1 .LBB38_1482
; %bb.1473:
	s_and_b32 s21, 0xffff, s19
	s_mov_b32 s22, -1
	s_cmp_gt_i32 s21, 25
	s_mov_b32 s0, s17
	s_cbranch_scc0 .LBB38_1510
; %bb.1474:
	s_cmp_gt_i32 s21, 28
	s_mov_b32 s0, s17
	s_cbranch_scc0 .LBB38_1494
; %bb.1475:
	;; [unrolled: 4-line block ×4, first 2 shown]
	s_cmp_eq_u32 s21, 46
	s_mov_b32 s0, -1
	s_cbranch_scc0 .LBB38_1483
; %bb.1478:
	v_bfe_i32 v0, v1, 0, 8
	s_mov_b32 s0, 0
	s_mov_b32 s22, 0
	s_delay_alu instid0(VALU_DEP_1) | instskip(NEXT) | instid1(VALU_DEP_1)
	v_bfe_i32 v0, v0, 0, 16
	v_cvt_f32_i32_e32 v0, v0
	s_delay_alu instid0(VALU_DEP_1) | instskip(NEXT) | instid1(VALU_DEP_1)
	v_bfe_u32 v4, v0, 16, 1
	v_add3_u32 v0, v0, v4, 0x7fff
	s_delay_alu instid0(VALU_DEP_1)
	v_lshrrev_b32_e32 v0, 16, v0
	global_store_b32 v[2:3], v0, off
	s_branch .LBB38_1484
.LBB38_1479:
	s_or_b32 exec_lo, exec_lo, s20
	s_and_saveexec_b32 s20, s17
	s_cbranch_execnz .LBB38_1552
.LBB38_1480:
	s_or_b32 exec_lo, exec_lo, s20
	s_and_saveexec_b32 s17, s0
	s_delay_alu instid0(SALU_CYCLE_1)
	s_xor_b32 s0, exec_lo, s17
	s_cbranch_execz .LBB38_1553
.LBB38_1481:
	s_wait_loadcnt 0x0
	v_and_b32_e32 v0, 0xff, v1
	s_delay_alu instid0(VALU_DEP_1)
	v_cmp_ne_u16_e32 vcc_lo, 0, v0
	v_cndmask_b32_e64 v0, 0, 1, vcc_lo
	global_store_b8 v[2:3], v0, off
	s_wait_xcnt 0x0
	s_or_b32 exec_lo, exec_lo, s0
	s_and_saveexec_b32 s0, s22
	s_delay_alu instid0(SALU_CYCLE_1)
	s_xor_b32 s0, exec_lo, s0
	s_cbranch_execz .LBB38_1591
	s_branch .LBB38_1554
.LBB38_1482:
	s_mov_b32 s23, 0
	s_mov_b32 s22, -1
	s_mov_b32 s0, s17
	s_branch .LBB38_1551
.LBB38_1483:
	s_mov_b32 s22, 0
.LBB38_1484:
	s_delay_alu instid0(SALU_CYCLE_1)
	s_and_b32 vcc_lo, exec_lo, s22
	s_cbranch_vccz .LBB38_1489
; %bb.1485:
	s_cmp_eq_u32 s21, 44
	s_mov_b32 s0, -1
	s_cbranch_scc0 .LBB38_1489
; %bb.1486:
	s_wait_xcnt 0x0
	v_bfe_i32 v0, v1, 0, 8
	v_mov_b32_e32 v4, 0xff
	s_mov_b32 s22, exec_lo
	s_delay_alu instid0(VALU_DEP_2) | instskip(NEXT) | instid1(VALU_DEP_1)
	v_bfe_i32 v0, v0, 0, 16
	v_cvt_f32_i32_e32 v0, v0
	s_delay_alu instid0(VALU_DEP_1) | instskip(NEXT) | instid1(VALU_DEP_1)
	v_bfe_u32 v5, v0, 23, 8
	v_cmpx_ne_u32_e32 0xff, v5
	s_cbranch_execz .LBB38_1488
; %bb.1487:
	v_and_b32_e32 v4, 0x400000, v0
	v_and_or_b32 v5, 0x3fffff, v0, v5
	v_lshrrev_b32_e32 v0, 23, v0
	s_delay_alu instid0(VALU_DEP_3) | instskip(NEXT) | instid1(VALU_DEP_3)
	v_cmp_ne_u32_e32 vcc_lo, 0, v4
	v_cmp_ne_u32_e64 s0, 0, v5
	s_and_b32 s0, vcc_lo, s0
	s_delay_alu instid0(SALU_CYCLE_1) | instskip(NEXT) | instid1(VALU_DEP_1)
	v_cndmask_b32_e64 v4, 0, 1, s0
	v_add_nc_u32_e32 v4, v0, v4
.LBB38_1488:
	s_or_b32 exec_lo, exec_lo, s22
	s_mov_b32 s0, 0
	global_store_b8 v[2:3], v4, off
.LBB38_1489:
	s_mov_b32 s22, 0
.LBB38_1490:
	s_delay_alu instid0(SALU_CYCLE_1)
	s_and_b32 vcc_lo, exec_lo, s22
	s_cbranch_vccz .LBB38_1493
; %bb.1491:
	s_cmp_eq_u32 s21, 29
	s_mov_b32 s0, -1
	s_cbranch_scc0 .LBB38_1493
; %bb.1492:
	s_wait_xcnt 0x0
	v_bfe_i32 v4, v1, 0, 8
	s_mov_b32 s0, 0
	s_mov_b32 s22, 0
	s_delay_alu instid0(VALU_DEP_1)
	v_ashrrev_i32_e32 v5, 31, v4
	global_store_b64 v[2:3], v[4:5], off
	s_branch .LBB38_1494
.LBB38_1493:
	s_mov_b32 s22, 0
.LBB38_1494:
	s_delay_alu instid0(SALU_CYCLE_1)
	s_and_b32 vcc_lo, exec_lo, s22
	s_cbranch_vccz .LBB38_1509
; %bb.1495:
	s_cmp_lt_i32 s21, 27
	s_mov_b32 s22, -1
	s_cbranch_scc1 .LBB38_1501
; %bb.1496:
	s_cmp_gt_i32 s21, 27
	s_cbranch_scc0 .LBB38_1498
; %bb.1497:
	s_wait_xcnt 0x0
	v_bfe_i32 v0, v1, 0, 8
	s_mov_b32 s22, 0
	global_store_b32 v[2:3], v0, off
.LBB38_1498:
	s_and_not1_b32 vcc_lo, exec_lo, s22
	s_cbranch_vccnz .LBB38_1500
; %bb.1499:
	s_wait_xcnt 0x0
	v_bfe_i32 v0, v1, 0, 8
	global_store_b16 v[2:3], v0, off
.LBB38_1500:
	s_mov_b32 s22, 0
.LBB38_1501:
	s_delay_alu instid0(SALU_CYCLE_1)
	s_and_not1_b32 vcc_lo, exec_lo, s22
	s_cbranch_vccnz .LBB38_1509
; %bb.1502:
	s_wait_xcnt 0x0
	v_bfe_i32 v0, v1, 0, 8
	v_mov_b32_e32 v5, 0x80
	s_mov_b32 s22, exec_lo
	s_delay_alu instid0(VALU_DEP_2) | instskip(NEXT) | instid1(VALU_DEP_1)
	v_bfe_i32 v0, v0, 0, 16
	v_cvt_f32_i32_e32 v0, v0
	s_delay_alu instid0(VALU_DEP_1) | instskip(NEXT) | instid1(VALU_DEP_1)
	v_and_b32_e32 v4, 0x7fffffff, v0
	v_cmpx_gt_u32_e32 0x43800000, v4
	s_cbranch_execz .LBB38_1508
; %bb.1503:
	v_cmp_lt_u32_e32 vcc_lo, 0x3bffffff, v4
	s_mov_b32 s23, 0
                                        ; implicit-def: $vgpr4
	s_and_saveexec_b32 s24, vcc_lo
	s_delay_alu instid0(SALU_CYCLE_1)
	s_xor_b32 s24, exec_lo, s24
	s_cbranch_execz .LBB38_1623
; %bb.1504:
	v_bfe_u32 v4, v0, 20, 1
	s_mov_b32 s23, exec_lo
	s_delay_alu instid0(VALU_DEP_1) | instskip(NEXT) | instid1(VALU_DEP_1)
	v_add3_u32 v4, v0, v4, 0x487ffff
	v_lshrrev_b32_e32 v4, 20, v4
	s_and_not1_saveexec_b32 s24, s24
	s_cbranch_execnz .LBB38_1624
.LBB38_1505:
	s_or_b32 exec_lo, exec_lo, s24
	v_mov_b32_e32 v5, 0
	s_and_saveexec_b32 s24, s23
.LBB38_1506:
	v_lshrrev_b32_e32 v0, 24, v0
	s_delay_alu instid0(VALU_DEP_1)
	v_and_or_b32 v5, 0x80, v0, v4
.LBB38_1507:
	s_or_b32 exec_lo, exec_lo, s24
.LBB38_1508:
	s_delay_alu instid0(SALU_CYCLE_1)
	s_or_b32 exec_lo, exec_lo, s22
	global_store_b8 v[2:3], v5, off
.LBB38_1509:
	s_mov_b32 s22, 0
.LBB38_1510:
	s_delay_alu instid0(SALU_CYCLE_1)
	s_and_b32 vcc_lo, exec_lo, s22
	s_mov_b32 s22, 0
	s_cbranch_vccz .LBB38_1550
; %bb.1511:
	s_cmp_gt_i32 s21, 22
	s_mov_b32 s23, -1
	s_cbranch_scc0 .LBB38_1543
; %bb.1512:
	s_cmp_lt_i32 s21, 24
	s_cbranch_scc1 .LBB38_1532
; %bb.1513:
	s_cmp_gt_i32 s21, 24
	s_cbranch_scc0 .LBB38_1521
; %bb.1514:
	s_wait_xcnt 0x0
	v_bfe_i32 v0, v1, 0, 8
	v_mov_b32_e32 v5, 0x80
	s_mov_b32 s23, exec_lo
	s_delay_alu instid0(VALU_DEP_2) | instskip(NEXT) | instid1(VALU_DEP_1)
	v_bfe_i32 v0, v0, 0, 16
	v_cvt_f32_i32_e32 v0, v0
	s_delay_alu instid0(VALU_DEP_1) | instskip(NEXT) | instid1(VALU_DEP_1)
	v_and_b32_e32 v4, 0x7fffffff, v0
	v_cmpx_gt_u32_e32 0x47800000, v4
	s_cbranch_execz .LBB38_1520
; %bb.1515:
	v_cmp_lt_u32_e32 vcc_lo, 0x37ffffff, v4
	s_mov_b32 s24, 0
                                        ; implicit-def: $vgpr4
	s_and_saveexec_b32 s25, vcc_lo
	s_delay_alu instid0(SALU_CYCLE_1)
	s_xor_b32 s25, exec_lo, s25
	s_cbranch_execz .LBB38_1626
; %bb.1516:
	v_bfe_u32 v4, v0, 21, 1
	s_mov_b32 s24, exec_lo
	s_delay_alu instid0(VALU_DEP_1) | instskip(NEXT) | instid1(VALU_DEP_1)
	v_add3_u32 v4, v0, v4, 0x88fffff
	v_lshrrev_b32_e32 v4, 21, v4
	s_and_not1_saveexec_b32 s25, s25
	s_cbranch_execnz .LBB38_1627
.LBB38_1517:
	s_or_b32 exec_lo, exec_lo, s25
	v_mov_b32_e32 v5, 0
	s_and_saveexec_b32 s25, s24
.LBB38_1518:
	v_lshrrev_b32_e32 v0, 24, v0
	s_delay_alu instid0(VALU_DEP_1)
	v_and_or_b32 v5, 0x80, v0, v4
.LBB38_1519:
	s_or_b32 exec_lo, exec_lo, s25
.LBB38_1520:
	s_delay_alu instid0(SALU_CYCLE_1)
	s_or_b32 exec_lo, exec_lo, s23
	s_mov_b32 s23, 0
	global_store_b8 v[2:3], v5, off
.LBB38_1521:
	s_and_b32 vcc_lo, exec_lo, s23
	s_cbranch_vccz .LBB38_1531
; %bb.1522:
	s_wait_xcnt 0x0
	v_bfe_i32 v0, v1, 0, 8
	s_mov_b32 s23, exec_lo
                                        ; implicit-def: $vgpr4
	s_delay_alu instid0(VALU_DEP_1) | instskip(NEXT) | instid1(VALU_DEP_1)
	v_bfe_i32 v0, v0, 0, 16
	v_cvt_f32_i32_e32 v0, v0
	s_delay_alu instid0(VALU_DEP_1) | instskip(NEXT) | instid1(VALU_DEP_1)
	v_and_b32_e32 v5, 0x7fffffff, v0
	v_cmpx_gt_u32_e32 0x43f00000, v5
	s_xor_b32 s23, exec_lo, s23
	s_cbranch_execz .LBB38_1528
; %bb.1523:
	s_mov_b32 s24, exec_lo
                                        ; implicit-def: $vgpr4
	v_cmpx_lt_u32_e32 0x3c7fffff, v5
	s_xor_b32 s24, exec_lo, s24
; %bb.1524:
	v_bfe_u32 v4, v0, 20, 1
	s_delay_alu instid0(VALU_DEP_1) | instskip(NEXT) | instid1(VALU_DEP_1)
	v_add3_u32 v4, v0, v4, 0x407ffff
	v_and_b32_e32 v5, 0xff00000, v4
	v_lshrrev_b32_e32 v4, 20, v4
	s_delay_alu instid0(VALU_DEP_2) | instskip(NEXT) | instid1(VALU_DEP_2)
	v_cmp_ne_u32_e32 vcc_lo, 0x7f00000, v5
	v_cndmask_b32_e32 v4, 0x7e, v4, vcc_lo
; %bb.1525:
	s_and_not1_saveexec_b32 s24, s24
; %bb.1526:
	v_add_f32_e64 v4, 0x46800000, |v0|
; %bb.1527:
	s_or_b32 exec_lo, exec_lo, s24
                                        ; implicit-def: $vgpr5
.LBB38_1528:
	s_and_not1_saveexec_b32 s23, s23
; %bb.1529:
	v_mov_b32_e32 v4, 0x7f
	v_cmp_lt_u32_e32 vcc_lo, 0x7f800000, v5
	s_delay_alu instid0(VALU_DEP_2)
	v_cndmask_b32_e32 v4, 0x7e, v4, vcc_lo
; %bb.1530:
	s_or_b32 exec_lo, exec_lo, s23
	v_lshrrev_b32_e32 v0, 24, v0
	s_delay_alu instid0(VALU_DEP_1)
	v_and_or_b32 v0, 0x80, v0, v4
	global_store_b8 v[2:3], v0, off
.LBB38_1531:
	s_mov_b32 s23, 0
.LBB38_1532:
	s_delay_alu instid0(SALU_CYCLE_1)
	s_and_not1_b32 vcc_lo, exec_lo, s23
	s_cbranch_vccnz .LBB38_1542
; %bb.1533:
	s_wait_xcnt 0x0
	v_bfe_i32 v0, v1, 0, 8
	s_mov_b32 s23, exec_lo
                                        ; implicit-def: $vgpr4
	s_delay_alu instid0(VALU_DEP_1) | instskip(NEXT) | instid1(VALU_DEP_1)
	v_bfe_i32 v0, v0, 0, 16
	v_cvt_f32_i32_e32 v0, v0
	s_delay_alu instid0(VALU_DEP_1) | instskip(NEXT) | instid1(VALU_DEP_1)
	v_and_b32_e32 v5, 0x7fffffff, v0
	v_cmpx_gt_u32_e32 0x47800000, v5
	s_xor_b32 s23, exec_lo, s23
	s_cbranch_execz .LBB38_1539
; %bb.1534:
	s_mov_b32 s24, exec_lo
                                        ; implicit-def: $vgpr4
	v_cmpx_lt_u32_e32 0x387fffff, v5
	s_xor_b32 s24, exec_lo, s24
; %bb.1535:
	v_bfe_u32 v4, v0, 21, 1
	s_delay_alu instid0(VALU_DEP_1) | instskip(NEXT) | instid1(VALU_DEP_1)
	v_add3_u32 v4, v0, v4, 0x80fffff
	v_lshrrev_b32_e32 v4, 21, v4
; %bb.1536:
	s_and_not1_saveexec_b32 s24, s24
; %bb.1537:
	v_add_f32_e64 v4, 0x43000000, |v0|
; %bb.1538:
	s_or_b32 exec_lo, exec_lo, s24
                                        ; implicit-def: $vgpr5
.LBB38_1539:
	s_and_not1_saveexec_b32 s23, s23
; %bb.1540:
	v_mov_b32_e32 v4, 0x7f
	v_cmp_lt_u32_e32 vcc_lo, 0x7f800000, v5
	s_delay_alu instid0(VALU_DEP_2)
	v_cndmask_b32_e32 v4, 0x7c, v4, vcc_lo
; %bb.1541:
	s_or_b32 exec_lo, exec_lo, s23
	v_lshrrev_b32_e32 v0, 24, v0
	s_delay_alu instid0(VALU_DEP_1)
	v_and_or_b32 v0, 0x80, v0, v4
	global_store_b8 v[2:3], v0, off
.LBB38_1542:
	s_mov_b32 s23, 0
.LBB38_1543:
	s_delay_alu instid0(SALU_CYCLE_1)
	s_and_not1_b32 vcc_lo, exec_lo, s23
	s_mov_b32 s23, 0
	s_cbranch_vccnz .LBB38_1551
; %bb.1544:
	s_cmp_gt_i32 s21, 14
	s_mov_b32 s23, -1
	s_cbranch_scc0 .LBB38_1548
; %bb.1545:
	s_cmp_eq_u32 s21, 15
	s_mov_b32 s0, -1
	s_cbranch_scc0 .LBB38_1547
; %bb.1546:
	s_wait_xcnt 0x0
	v_bfe_i32 v0, v1, 0, 8
	s_mov_b32 s0, 0
	s_delay_alu instid0(VALU_DEP_1) | instskip(NEXT) | instid1(VALU_DEP_1)
	v_bfe_i32 v0, v0, 0, 16
	v_cvt_f32_i32_e32 v0, v0
	s_delay_alu instid0(VALU_DEP_1) | instskip(NEXT) | instid1(VALU_DEP_1)
	v_bfe_u32 v4, v0, 16, 1
	v_add3_u32 v0, v0, v4, 0x7fff
	global_store_d16_hi_b16 v[2:3], v0, off
.LBB38_1547:
	s_mov_b32 s23, 0
.LBB38_1548:
	s_delay_alu instid0(SALU_CYCLE_1)
	s_and_b32 vcc_lo, exec_lo, s23
	s_mov_b32 s23, 0
	s_cbranch_vccz .LBB38_1551
; %bb.1549:
	s_cmp_lg_u32 s21, 11
	s_mov_b32 s23, -1
	s_cselect_b32 s21, -1, 0
	s_and_not1_b32 s0, s0, exec_lo
	s_and_b32 s21, s21, exec_lo
	s_delay_alu instid0(SALU_CYCLE_1)
	s_or_b32 s0, s0, s21
	s_branch .LBB38_1551
.LBB38_1550:
	s_mov_b32 s23, 0
.LBB38_1551:
	s_and_not1_b32 s17, s17, exec_lo
	s_and_b32 s21, s0, exec_lo
	s_and_b32 s22, s22, exec_lo
	;; [unrolled: 1-line block ×3, first 2 shown]
	s_or_b32 s17, s17, s21
	s_wait_xcnt 0x0
	s_or_b32 exec_lo, exec_lo, s20
	s_and_saveexec_b32 s20, s17
	s_cbranch_execz .LBB38_1480
.LBB38_1552:
	s_or_b32 s18, s18, exec_lo
	s_and_not1_b32 s0, s0, exec_lo
	s_trap 2
	s_or_b32 exec_lo, exec_lo, s20
	s_and_saveexec_b32 s17, s0
	s_delay_alu instid0(SALU_CYCLE_1)
	s_xor_b32 s0, exec_lo, s17
	s_cbranch_execnz .LBB38_1481
.LBB38_1553:
	s_or_b32 exec_lo, exec_lo, s0
	s_and_saveexec_b32 s0, s22
	s_delay_alu instid0(SALU_CYCLE_1)
	s_xor_b32 s0, exec_lo, s0
	s_cbranch_execz .LBB38_1591
.LBB38_1554:
	s_sext_i32_i16 s20, s19
	s_mov_b32 s17, -1
	s_cmp_lt_i32 s20, 5
	s_cbranch_scc1 .LBB38_1575
; %bb.1555:
	s_cmp_lt_i32 s20, 8
	s_cbranch_scc1 .LBB38_1565
; %bb.1556:
	;; [unrolled: 3-line block ×3, first 2 shown]
	s_cmp_gt_i32 s20, 9
	s_cbranch_scc0 .LBB38_1559
; %bb.1558:
	s_wait_loadcnt 0x0
	v_bfe_i32 v0, v1, 0, 8
	v_mov_b32_e32 v6, 0
	s_mov_b32 s17, 0
	s_delay_alu instid0(VALU_DEP_2) | instskip(NEXT) | instid1(VALU_DEP_2)
	v_bfe_i32 v0, v0, 0, 16
	v_mov_b32_e32 v7, v6
	s_delay_alu instid0(VALU_DEP_2)
	v_cvt_f64_i32_e32 v[4:5], v0
	global_store_b128 v[2:3], v[4:7], off
.LBB38_1559:
	s_and_not1_b32 vcc_lo, exec_lo, s17
	s_cbranch_vccnz .LBB38_1561
; %bb.1560:
	s_wait_loadcnt 0x0
	v_bfe_i32 v0, v1, 0, 8
	s_wait_xcnt 0x0
	v_mov_b32_e32 v5, 0
	s_delay_alu instid0(VALU_DEP_2) | instskip(NEXT) | instid1(VALU_DEP_1)
	v_bfe_i32 v0, v0, 0, 16
	v_cvt_f32_i32_e32 v4, v0
	global_store_b64 v[2:3], v[4:5], off
.LBB38_1561:
	s_mov_b32 s17, 0
.LBB38_1562:
	s_delay_alu instid0(SALU_CYCLE_1)
	s_and_not1_b32 vcc_lo, exec_lo, s17
	s_cbranch_vccnz .LBB38_1564
; %bb.1563:
	s_wait_loadcnt 0x0
	v_bfe_i32 v0, v1, 0, 8
	s_delay_alu instid0(VALU_DEP_1) | instskip(NEXT) | instid1(VALU_DEP_1)
	v_cvt_f16_i16_e32 v0, v0
	v_and_b32_e32 v0, 0xffff, v0
	global_store_b32 v[2:3], v0, off
.LBB38_1564:
	s_mov_b32 s17, 0
.LBB38_1565:
	s_delay_alu instid0(SALU_CYCLE_1)
	s_and_not1_b32 vcc_lo, exec_lo, s17
	s_cbranch_vccnz .LBB38_1574
; %bb.1566:
	s_sext_i32_i16 s20, s19
	s_mov_b32 s17, -1
	s_cmp_lt_i32 s20, 6
	s_cbranch_scc1 .LBB38_1572
; %bb.1567:
	s_cmp_gt_i32 s20, 6
	s_cbranch_scc0 .LBB38_1569
; %bb.1568:
	s_wait_loadcnt 0x0
	v_bfe_i32 v0, v1, 0, 8
	s_mov_b32 s17, 0
	s_delay_alu instid0(VALU_DEP_1) | instskip(NEXT) | instid1(VALU_DEP_1)
	v_bfe_i32 v0, v0, 0, 16
	v_cvt_f64_i32_e32 v[4:5], v0
	global_store_b64 v[2:3], v[4:5], off
.LBB38_1569:
	s_and_not1_b32 vcc_lo, exec_lo, s17
	s_cbranch_vccnz .LBB38_1571
; %bb.1570:
	s_wait_loadcnt 0x0
	v_bfe_i32 v0, v1, 0, 8
	s_delay_alu instid0(VALU_DEP_1) | instskip(NEXT) | instid1(VALU_DEP_1)
	v_bfe_i32 v0, v0, 0, 16
	v_cvt_f32_i32_e32 v0, v0
	global_store_b32 v[2:3], v0, off
.LBB38_1571:
	s_mov_b32 s17, 0
.LBB38_1572:
	s_delay_alu instid0(SALU_CYCLE_1)
	s_and_not1_b32 vcc_lo, exec_lo, s17
	s_cbranch_vccnz .LBB38_1574
; %bb.1573:
	s_wait_loadcnt 0x0
	v_bfe_i32 v0, v1, 0, 8
	s_delay_alu instid0(VALU_DEP_1)
	v_cvt_f16_i16_e32 v0, v0
	global_store_b16 v[2:3], v0, off
.LBB38_1574:
	s_mov_b32 s17, 0
.LBB38_1575:
	s_delay_alu instid0(SALU_CYCLE_1)
	s_and_not1_b32 vcc_lo, exec_lo, s17
	s_cbranch_vccnz .LBB38_1591
; %bb.1576:
	s_sext_i32_i16 s20, s19
	s_mov_b32 s17, -1
	s_cmp_lt_i32 s20, 2
	s_cbranch_scc1 .LBB38_1586
; %bb.1577:
	s_cmp_lt_i32 s20, 3
	s_cbranch_scc1 .LBB38_1583
; %bb.1578:
	s_cmp_gt_i32 s20, 3
	s_cbranch_scc0 .LBB38_1580
; %bb.1579:
	s_wait_loadcnt 0x0
	v_bfe_i32 v4, v1, 0, 8
	s_mov_b32 s17, 0
	s_delay_alu instid0(VALU_DEP_1)
	v_ashrrev_i32_e32 v5, 31, v4
	global_store_b64 v[2:3], v[4:5], off
.LBB38_1580:
	s_and_not1_b32 vcc_lo, exec_lo, s17
	s_cbranch_vccnz .LBB38_1582
; %bb.1581:
	s_wait_loadcnt 0x0
	v_bfe_i32 v0, v1, 0, 8
	global_store_b32 v[2:3], v0, off
.LBB38_1582:
	s_mov_b32 s17, 0
.LBB38_1583:
	s_delay_alu instid0(SALU_CYCLE_1)
	s_and_not1_b32 vcc_lo, exec_lo, s17
	s_cbranch_vccnz .LBB38_1585
; %bb.1584:
	s_wait_loadcnt 0x0
	v_bfe_i32 v0, v1, 0, 8
	global_store_b16 v[2:3], v0, off
.LBB38_1585:
	s_mov_b32 s17, 0
.LBB38_1586:
	s_delay_alu instid0(SALU_CYCLE_1)
	s_and_not1_b32 vcc_lo, exec_lo, s17
	s_cbranch_vccnz .LBB38_1591
; %bb.1587:
	s_sext_i32_i16 s17, s19
	s_delay_alu instid0(SALU_CYCLE_1)
	s_cmp_gt_i32 s17, 0
	s_mov_b32 s17, -1
	s_cbranch_scc0 .LBB38_1589
; %bb.1588:
	s_mov_b32 s17, 0
	s_wait_loadcnt 0x0
	global_store_b8 v[2:3], v1, off
.LBB38_1589:
	s_and_not1_b32 vcc_lo, exec_lo, s17
	s_cbranch_vccnz .LBB38_1591
; %bb.1590:
	s_wait_loadcnt 0x0
	global_store_b8 v[2:3], v1, off
.LBB38_1591:
	s_wait_xcnt 0x0
	s_or_b32 exec_lo, exec_lo, s0
	s_delay_alu instid0(SALU_CYCLE_1)
	s_and_b32 s17, s18, exec_lo
                                        ; implicit-def: $vgpr18
.LBB38_1592:
	s_or_saveexec_b32 s16, s16
	s_mov_b32 s0, 0
                                        ; implicit-def: $sgpr18
                                        ; implicit-def: $vgpr0_vgpr1
                                        ; implicit-def: $vgpr2
	s_xor_b32 exec_lo, exec_lo, s16
	s_cbranch_execz .LBB38_3128
; %bb.1593:
	s_and_b32 s15, s15, 0xff
	s_delay_alu instid0(SALU_CYCLE_1)
	s_cmp_lt_i32 s15, 23
	s_cbranch_scc1 .LBB38_1597
; %bb.1594:
	s_and_b32 s18, 0xffff, s15
	s_delay_alu instid0(SALU_CYCLE_1)
	s_cmp_gt_i32 s18, 43
	s_cbranch_scc0 .LBB38_1598
; %bb.1595:
	s_cmp_gt_i32 s18, 45
	s_cbranch_scc0 .LBB38_1599
; %bb.1596:
	s_cmp_lg_u32 s18, 46
	s_mov_b32 s0, -1
	s_cselect_b32 s13, -1, 0
	s_cbranch_execz .LBB38_1600
	s_branch .LBB38_1601
.LBB38_1597:
	s_cbranch_execnz .LBB38_1604
	s_branch .LBB38_1608
.LBB38_1598:
	s_cbranch_execnz .LBB38_1602
	s_branch .LBB38_1603
.LBB38_1599:
.LBB38_1600:
	s_cmp_eq_u32 s18, 44
	s_cselect_b32 s0, -1, 0
	s_cmp_lg_u32 s18, 44
	s_cselect_b32 s13, -1, 0
.LBB38_1601:
	s_branch .LBB38_1603
.LBB38_1602:
	s_cmp_lt_i32 s18, 30
	s_cselect_b32 s0, -1, 0
	s_cmp_gt_i32 s18, 29
	s_cselect_b32 s13, -1, 0
.LBB38_1603:
	s_branch .LBB38_1608
.LBB38_1604:
	s_and_b32 s18, 0xffff, s15
	s_mov_b32 s19, -1
	s_cmp_gt_i32 s18, 14
	s_cbranch_scc0 .LBB38_1606
; %bb.1605:
	s_cmp_eq_u32 s18, 15
	s_mov_b32 s19, 0
	s_cselect_b32 s0, -1, 0
	s_cmp_lg_u32 s18, 15
	s_cselect_b32 s13, -1, 0
.LBB38_1606:
	s_and_not1_b32 vcc_lo, exec_lo, s19
	s_cbranch_vccnz .LBB38_1608
; %bb.1607:
	s_cmp_lt_i32 s18, 12
	s_cselect_b32 s0, -1, 0
	s_cmp_gt_i32 s18, 11
	s_cselect_b32 s13, -1, 0
.LBB38_1608:
	s_delay_alu instid0(SALU_CYCLE_1)
	s_and_b32 vcc_lo, exec_lo, s13
	s_mov_b32 s13, s17
	s_cbranch_vccnz .LBB38_1621
; %bb.1609:
	s_and_not1_b32 vcc_lo, exec_lo, s0
	s_cbranch_vccnz .LBB38_3126
.LBB38_1610:
	s_wait_loadcnt 0x0
	v_mul_lo_u32 v4, s4, v18
	s_and_b32 s0, s12, 0xff
	s_delay_alu instid0(SALU_CYCLE_1) | instskip(NEXT) | instid1(VALU_DEP_1)
	s_cmp_lt_i32 s0, 11
	v_ashrrev_i32_e32 v5, 31, v4
	s_delay_alu instid0(VALU_DEP_1)
	v_add_nc_u64_e32 v[2:3], s[8:9], v[4:5]
	s_cbranch_scc1 .LBB38_1617
; %bb.1611:
	s_and_b32 s12, 0xffff, s0
	s_mov_b32 s19, 0
	s_cmp_gt_i32 s12, 25
	s_cbranch_scc0 .LBB38_1619
; %bb.1612:
	s_cmp_gt_i32 s12, 28
	s_cbranch_scc0 .LBB38_1620
; %bb.1613:
	;; [unrolled: 3-line block ×4, first 2 shown]
	s_cmp_eq_u32 s12, 46
	s_mov_b32 s21, 0
	s_cbranch_scc0 .LBB38_1628
; %bb.1616:
	global_load_b32 v0, v[2:3], off
	s_mov_b32 s18, 0
	s_mov_b32 s20, -1
	s_wait_loadcnt 0x0
	v_lshlrev_b32_e32 v0, 16, v0
	s_delay_alu instid0(VALU_DEP_1)
	v_cvt_i32_f32_e32 v0, v0
	s_branch .LBB38_1630
.LBB38_1617:
	s_mov_b32 s20, 0
                                        ; implicit-def: $vgpr0
	s_cbranch_execnz .LBB38_1691
.LBB38_1618:
	s_and_not1_b32 vcc_lo, exec_lo, s20
	s_cbranch_vccz .LBB38_1738
	s_branch .LBB38_3126
.LBB38_1619:
	s_mov_b32 s20, 0
	s_mov_b32 s18, 0
                                        ; implicit-def: $vgpr0
	s_cbranch_execnz .LBB38_1657
	s_branch .LBB38_1687
.LBB38_1620:
	s_mov_b32 s21, -1
	s_mov_b32 s20, 0
	s_mov_b32 s18, 0
                                        ; implicit-def: $vgpr0
	s_branch .LBB38_1640
.LBB38_1621:
	s_or_b32 s13, s17, exec_lo
	s_trap 2
	s_cbranch_execz .LBB38_1610
	s_branch .LBB38_3126
.LBB38_1622:
	s_mov_b32 s21, -1
	s_mov_b32 s20, 0
	s_mov_b32 s18, 0
                                        ; implicit-def: $vgpr0
	s_branch .LBB38_1635
.LBB38_1623:
	s_and_not1_saveexec_b32 s24, s24
	s_cbranch_execz .LBB38_1505
.LBB38_1624:
	v_add_f32_e64 v4, 0x46000000, |v0|
	s_and_not1_b32 s23, s23, exec_lo
	s_delay_alu instid0(VALU_DEP_1) | instskip(NEXT) | instid1(VALU_DEP_1)
	v_and_b32_e32 v4, 0xff, v4
	v_cmp_ne_u32_e32 vcc_lo, 0, v4
	s_and_b32 s25, vcc_lo, exec_lo
	s_delay_alu instid0(SALU_CYCLE_1)
	s_or_b32 s23, s23, s25
	s_or_b32 exec_lo, exec_lo, s24
	v_mov_b32_e32 v5, 0
	s_and_saveexec_b32 s24, s23
	s_cbranch_execnz .LBB38_1506
	s_branch .LBB38_1507
.LBB38_1625:
	s_mov_b32 s21, -1
	s_mov_b32 s20, 0
	s_mov_b32 s18, 0
	s_branch .LBB38_1629
.LBB38_1626:
	s_and_not1_saveexec_b32 s25, s25
	s_cbranch_execz .LBB38_1517
.LBB38_1627:
	v_add_f32_e64 v4, 0x42800000, |v0|
	s_and_not1_b32 s24, s24, exec_lo
	s_delay_alu instid0(VALU_DEP_1) | instskip(NEXT) | instid1(VALU_DEP_1)
	v_and_b32_e32 v4, 0xff, v4
	v_cmp_ne_u32_e32 vcc_lo, 0, v4
	s_and_b32 s26, vcc_lo, exec_lo
	s_delay_alu instid0(SALU_CYCLE_1)
	s_or_b32 s24, s24, s26
	s_or_b32 exec_lo, exec_lo, s25
	v_mov_b32_e32 v5, 0
	s_and_saveexec_b32 s25, s24
	s_cbranch_execnz .LBB38_1518
	s_branch .LBB38_1519
.LBB38_1628:
	s_mov_b32 s18, -1
	s_mov_b32 s20, 0
.LBB38_1629:
                                        ; implicit-def: $vgpr0
.LBB38_1630:
	s_and_b32 vcc_lo, exec_lo, s21
	s_cbranch_vccz .LBB38_1634
; %bb.1631:
	s_cmp_eq_u32 s12, 44
	s_cbranch_scc0 .LBB38_1633
; %bb.1632:
	global_load_u8 v0, v[2:3], off
	s_mov_b32 s18, 0
	s_mov_b32 s20, -1
	s_wait_loadcnt 0x0
	v_lshlrev_b32_e32 v1, 23, v0
	v_cmp_ne_u32_e32 vcc_lo, 0, v0
	s_delay_alu instid0(VALU_DEP_2) | instskip(NEXT) | instid1(VALU_DEP_1)
	v_cvt_i32_f32_e32 v1, v1
	v_cndmask_b32_e32 v0, 0, v1, vcc_lo
	s_branch .LBB38_1634
.LBB38_1633:
	s_mov_b32 s18, -1
                                        ; implicit-def: $vgpr0
.LBB38_1634:
	s_mov_b32 s21, 0
.LBB38_1635:
	s_delay_alu instid0(SALU_CYCLE_1)
	s_and_b32 vcc_lo, exec_lo, s21
	s_cbranch_vccz .LBB38_1639
; %bb.1636:
	s_cmp_eq_u32 s12, 29
	s_cbranch_scc0 .LBB38_1638
; %bb.1637:
	global_load_b64 v[0:1], v[2:3], off
	s_mov_b32 s18, 0
	s_mov_b32 s20, -1
	s_branch .LBB38_1639
.LBB38_1638:
	s_mov_b32 s18, -1
                                        ; implicit-def: $vgpr0
.LBB38_1639:
	s_mov_b32 s21, 0
.LBB38_1640:
	s_delay_alu instid0(SALU_CYCLE_1)
	s_and_b32 vcc_lo, exec_lo, s21
	s_cbranch_vccz .LBB38_1656
; %bb.1641:
	s_cmp_lt_i32 s12, 27
	s_cbranch_scc1 .LBB38_1644
; %bb.1642:
	s_cmp_gt_i32 s12, 27
	s_cbranch_scc0 .LBB38_1645
; %bb.1643:
	s_wait_loadcnt 0x0
	global_load_b32 v0, v[2:3], off
	s_mov_b32 s20, 0
	s_branch .LBB38_1646
.LBB38_1644:
	s_mov_b32 s20, -1
                                        ; implicit-def: $vgpr0
	s_branch .LBB38_1649
.LBB38_1645:
	s_mov_b32 s20, -1
                                        ; implicit-def: $vgpr0
.LBB38_1646:
	s_delay_alu instid0(SALU_CYCLE_1)
	s_and_not1_b32 vcc_lo, exec_lo, s20
	s_cbranch_vccnz .LBB38_1648
; %bb.1647:
	s_wait_loadcnt 0x0
	global_load_u16 v0, v[2:3], off
.LBB38_1648:
	s_mov_b32 s20, 0
.LBB38_1649:
	s_delay_alu instid0(SALU_CYCLE_1)
	s_and_not1_b32 vcc_lo, exec_lo, s20
	s_cbranch_vccnz .LBB38_1655
; %bb.1650:
	s_wait_loadcnt 0x0
	global_load_u8 v1, v[2:3], off
	s_mov_b32 s21, 0
	s_mov_b32 s20, exec_lo
	s_wait_loadcnt 0x0
	v_cmpx_lt_i16_e32 0x7f, v1
	s_xor_b32 s20, exec_lo, s20
	s_cbranch_execz .LBB38_1666
; %bb.1651:
	v_cmp_ne_u16_e32 vcc_lo, 0x80, v1
	s_and_b32 s21, vcc_lo, exec_lo
	s_and_not1_saveexec_b32 s20, s20
	s_cbranch_execnz .LBB38_1667
.LBB38_1652:
	s_or_b32 exec_lo, exec_lo, s20
	v_mov_b32_e32 v0, 0
	s_and_saveexec_b32 s20, s21
	s_cbranch_execz .LBB38_1654
.LBB38_1653:
	v_and_b32_e32 v0, 0xffff, v1
	s_delay_alu instid0(VALU_DEP_1) | instskip(SKIP_1) | instid1(VALU_DEP_2)
	v_and_b32_e32 v5, 7, v0
	v_bfe_u32 v8, v0, 3, 4
	v_clz_i32_u32_e32 v6, v5
	s_delay_alu instid0(VALU_DEP_2) | instskip(NEXT) | instid1(VALU_DEP_2)
	v_cmp_eq_u32_e32 vcc_lo, 0, v8
	v_min_u32_e32 v6, 32, v6
	s_delay_alu instid0(VALU_DEP_1) | instskip(NEXT) | instid1(VALU_DEP_1)
	v_subrev_nc_u32_e32 v7, 28, v6
	v_dual_lshlrev_b32 v0, v7, v0 :: v_dual_sub_nc_u32 v6, 29, v6
	s_delay_alu instid0(VALU_DEP_1) | instskip(NEXT) | instid1(VALU_DEP_1)
	v_dual_lshlrev_b32 v1, 24, v1 :: v_dual_bitop2_b32 v0, 7, v0 bitop3:0x40
	v_dual_cndmask_b32 v6, v8, v6, vcc_lo :: v_dual_cndmask_b32 v0, v5, v0, vcc_lo
	s_delay_alu instid0(VALU_DEP_2) | instskip(NEXT) | instid1(VALU_DEP_2)
	v_and_b32_e32 v1, 0x80000000, v1
	v_lshl_add_u32 v5, v6, 23, 0x3b800000
	s_delay_alu instid0(VALU_DEP_3) | instskip(NEXT) | instid1(VALU_DEP_1)
	v_lshlrev_b32_e32 v0, 20, v0
	v_or3_b32 v0, v1, v5, v0
	s_delay_alu instid0(VALU_DEP_1)
	v_cvt_i32_f32_e32 v0, v0
.LBB38_1654:
	s_or_b32 exec_lo, exec_lo, s20
.LBB38_1655:
	s_mov_b32 s20, -1
.LBB38_1656:
	s_branch .LBB38_1687
.LBB38_1657:
	s_cmp_gt_i32 s12, 22
	s_cbranch_scc0 .LBB38_1665
; %bb.1658:
	s_cmp_lt_i32 s12, 24
	s_cbranch_scc1 .LBB38_1668
; %bb.1659:
	s_cmp_gt_i32 s12, 24
	s_cbranch_scc0 .LBB38_1669
; %bb.1660:
	s_wait_loadcnt 0x0
	global_load_u8 v1, v[2:3], off
	s_mov_b32 s20, 0
	s_mov_b32 s19, exec_lo
	s_wait_loadcnt 0x0
	v_cmpx_lt_i16_e32 0x7f, v1
	s_xor_b32 s19, exec_lo, s19
	s_cbranch_execz .LBB38_1681
; %bb.1661:
	v_cmp_ne_u16_e32 vcc_lo, 0x80, v1
	s_and_b32 s20, vcc_lo, exec_lo
	s_and_not1_saveexec_b32 s19, s19
	s_cbranch_execnz .LBB38_1682
.LBB38_1662:
	s_or_b32 exec_lo, exec_lo, s19
	v_mov_b32_e32 v0, 0
	s_and_saveexec_b32 s19, s20
	s_cbranch_execz .LBB38_1664
.LBB38_1663:
	v_and_b32_e32 v0, 0xffff, v1
	s_delay_alu instid0(VALU_DEP_1) | instskip(SKIP_1) | instid1(VALU_DEP_2)
	v_and_b32_e32 v5, 3, v0
	v_bfe_u32 v8, v0, 2, 5
	v_clz_i32_u32_e32 v6, v5
	s_delay_alu instid0(VALU_DEP_2) | instskip(NEXT) | instid1(VALU_DEP_2)
	v_cmp_eq_u32_e32 vcc_lo, 0, v8
	v_min_u32_e32 v6, 32, v6
	s_delay_alu instid0(VALU_DEP_1) | instskip(NEXT) | instid1(VALU_DEP_1)
	v_subrev_nc_u32_e32 v7, 29, v6
	v_dual_lshlrev_b32 v0, v7, v0 :: v_dual_sub_nc_u32 v6, 30, v6
	s_delay_alu instid0(VALU_DEP_1) | instskip(NEXT) | instid1(VALU_DEP_1)
	v_dual_lshlrev_b32 v1, 24, v1 :: v_dual_bitop2_b32 v0, 3, v0 bitop3:0x40
	v_dual_cndmask_b32 v6, v8, v6, vcc_lo :: v_dual_cndmask_b32 v0, v5, v0, vcc_lo
	s_delay_alu instid0(VALU_DEP_2) | instskip(NEXT) | instid1(VALU_DEP_2)
	v_and_b32_e32 v1, 0x80000000, v1
	v_lshl_add_u32 v5, v6, 23, 0x37800000
	s_delay_alu instid0(VALU_DEP_3) | instskip(NEXT) | instid1(VALU_DEP_1)
	v_lshlrev_b32_e32 v0, 21, v0
	v_or3_b32 v0, v1, v5, v0
	s_delay_alu instid0(VALU_DEP_1)
	v_cvt_i32_f32_e32 v0, v0
.LBB38_1664:
	s_or_b32 exec_lo, exec_lo, s19
	s_mov_b32 s19, 0
	s_branch .LBB38_1670
.LBB38_1665:
	s_mov_b32 s19, -1
                                        ; implicit-def: $vgpr0
	s_branch .LBB38_1676
.LBB38_1666:
	s_and_not1_saveexec_b32 s20, s20
	s_cbranch_execz .LBB38_1652
.LBB38_1667:
	v_cmp_ne_u16_e32 vcc_lo, 0, v1
	s_and_not1_b32 s21, s21, exec_lo
	s_and_b32 s22, vcc_lo, exec_lo
	s_delay_alu instid0(SALU_CYCLE_1)
	s_or_b32 s21, s21, s22
	s_or_b32 exec_lo, exec_lo, s20
	v_mov_b32_e32 v0, 0
	s_and_saveexec_b32 s20, s21
	s_cbranch_execnz .LBB38_1653
	s_branch .LBB38_1654
.LBB38_1668:
	s_mov_b32 s19, -1
                                        ; implicit-def: $vgpr0
	s_branch .LBB38_1673
.LBB38_1669:
	s_mov_b32 s19, -1
                                        ; implicit-def: $vgpr0
.LBB38_1670:
	s_delay_alu instid0(SALU_CYCLE_1)
	s_and_b32 vcc_lo, exec_lo, s19
	s_cbranch_vccz .LBB38_1672
; %bb.1671:
	s_wait_loadcnt 0x0
	global_load_u8 v0, v[2:3], off
	s_wait_loadcnt 0x0
	v_lshlrev_b32_e32 v0, 24, v0
	s_delay_alu instid0(VALU_DEP_1) | instskip(NEXT) | instid1(VALU_DEP_1)
	v_and_b32_e32 v1, 0x7f000000, v0
	v_clz_i32_u32_e32 v5, v1
	v_add_nc_u32_e32 v7, 0x1000000, v1
	v_cmp_ne_u32_e32 vcc_lo, 0, v1
	s_delay_alu instid0(VALU_DEP_3) | instskip(NEXT) | instid1(VALU_DEP_1)
	v_min_u32_e32 v5, 32, v5
	v_sub_nc_u32_e64 v5, v5, 4 clamp
	s_delay_alu instid0(VALU_DEP_1) | instskip(NEXT) | instid1(VALU_DEP_1)
	v_lshlrev_b32_e32 v6, v5, v1
	v_dual_lshlrev_b32 v5, 23, v5 :: v_dual_lshrrev_b32 v6, 4, v6
	s_delay_alu instid0(VALU_DEP_1) | instskip(NEXT) | instid1(VALU_DEP_1)
	v_dual_sub_nc_u32 v5, v6, v5 :: v_dual_ashrrev_i32 v6, 8, v7
	v_add_nc_u32_e32 v5, 0x3c000000, v5
	s_delay_alu instid0(VALU_DEP_1) | instskip(NEXT) | instid1(VALU_DEP_1)
	v_and_or_b32 v5, 0x7f800000, v6, v5
	v_cndmask_b32_e32 v1, 0, v5, vcc_lo
	s_delay_alu instid0(VALU_DEP_1) | instskip(NEXT) | instid1(VALU_DEP_1)
	v_and_or_b32 v0, 0x80000000, v0, v1
	v_cvt_i32_f32_e32 v0, v0
.LBB38_1672:
	s_mov_b32 s19, 0
.LBB38_1673:
	s_delay_alu instid0(SALU_CYCLE_1)
	s_and_not1_b32 vcc_lo, exec_lo, s19
	s_cbranch_vccnz .LBB38_1675
; %bb.1674:
	s_wait_loadcnt 0x0
	global_load_u8 v0, v[2:3], off
	s_wait_loadcnt 0x0
	v_lshlrev_b32_e32 v1, 25, v0
	v_lshlrev_b16 v0, 8, v0
	s_delay_alu instid0(VALU_DEP_1) | instskip(SKIP_1) | instid1(VALU_DEP_2)
	v_and_or_b32 v6, 0x7f00, v0, 0.5
	v_bfe_i32 v0, v0, 0, 16
	v_dual_add_f32 v6, -0.5, v6 :: v_dual_lshrrev_b32 v5, 4, v1
	v_cmp_gt_u32_e32 vcc_lo, 0x8000000, v1
	s_delay_alu instid0(VALU_DEP_2) | instskip(NEXT) | instid1(VALU_DEP_1)
	v_or_b32_e32 v5, 0x70000000, v5
	v_mul_f32_e32 v5, 0x7800000, v5
	s_delay_alu instid0(VALU_DEP_1) | instskip(NEXT) | instid1(VALU_DEP_1)
	v_cndmask_b32_e32 v1, v5, v6, vcc_lo
	v_and_or_b32 v0, 0x80000000, v0, v1
	s_delay_alu instid0(VALU_DEP_1)
	v_cvt_i32_f32_e32 v0, v0
.LBB38_1675:
	s_mov_b32 s19, 0
	s_mov_b32 s20, -1
.LBB38_1676:
	s_and_not1_b32 vcc_lo, exec_lo, s19
	s_mov_b32 s19, 0
	s_cbranch_vccnz .LBB38_1687
; %bb.1677:
	s_cmp_gt_i32 s12, 14
	s_cbranch_scc0 .LBB38_1680
; %bb.1678:
	s_cmp_eq_u32 s12, 15
	s_cbranch_scc0 .LBB38_1683
; %bb.1679:
	s_wait_loadcnt 0x0
	global_load_u16 v0, v[2:3], off
	s_mov_b32 s18, 0
	s_mov_b32 s20, -1
	s_wait_loadcnt 0x0
	v_lshlrev_b32_e32 v0, 16, v0
	s_delay_alu instid0(VALU_DEP_1)
	v_cvt_i32_f32_e32 v0, v0
	s_branch .LBB38_1685
.LBB38_1680:
	s_mov_b32 s19, -1
	s_branch .LBB38_1684
.LBB38_1681:
	s_and_not1_saveexec_b32 s19, s19
	s_cbranch_execz .LBB38_1662
.LBB38_1682:
	v_cmp_ne_u16_e32 vcc_lo, 0, v1
	s_and_not1_b32 s20, s20, exec_lo
	s_and_b32 s21, vcc_lo, exec_lo
	s_delay_alu instid0(SALU_CYCLE_1)
	s_or_b32 s20, s20, s21
	s_or_b32 exec_lo, exec_lo, s19
	v_mov_b32_e32 v0, 0
	s_and_saveexec_b32 s19, s20
	s_cbranch_execnz .LBB38_1663
	s_branch .LBB38_1664
.LBB38_1683:
	s_mov_b32 s18, -1
.LBB38_1684:
                                        ; implicit-def: $vgpr0
.LBB38_1685:
	s_and_b32 vcc_lo, exec_lo, s19
	s_mov_b32 s19, 0
	s_cbranch_vccz .LBB38_1687
; %bb.1686:
	s_cmp_lg_u32 s12, 11
	s_mov_b32 s19, -1
	s_cselect_b32 s18, -1, 0
.LBB38_1687:
	s_delay_alu instid0(SALU_CYCLE_1)
	s_and_b32 vcc_lo, exec_lo, s18
	s_cbranch_vccnz .LBB38_1750
; %bb.1688:
	s_and_not1_b32 vcc_lo, exec_lo, s19
	s_cbranch_vccnz .LBB38_1690
.LBB38_1689:
	s_wait_loadcnt 0x0
	global_load_u8 v0, v[2:3], off
	s_mov_b32 s20, -1
	s_wait_loadcnt 0x0
	v_cmp_ne_u16_e32 vcc_lo, 0, v0
	v_cndmask_b32_e64 v0, 0, 1, vcc_lo
.LBB38_1690:
	s_branch .LBB38_1618
.LBB38_1691:
	s_and_b32 s12, 0xffff, s0
	s_delay_alu instid0(SALU_CYCLE_1)
	s_cmp_lt_i32 s12, 5
	s_cbranch_scc1 .LBB38_1696
; %bb.1692:
	s_cmp_lt_i32 s12, 8
	s_cbranch_scc1 .LBB38_1697
; %bb.1693:
	;; [unrolled: 3-line block ×3, first 2 shown]
	s_cmp_gt_i32 s12, 9
	s_cbranch_scc0 .LBB38_1699
; %bb.1695:
	s_wait_loadcnt 0x0
	global_load_b64 v[0:1], v[2:3], off
	s_mov_b32 s18, 0
	s_wait_loadcnt 0x0
	v_cvt_i32_f64_e32 v0, v[0:1]
	s_branch .LBB38_1700
.LBB38_1696:
                                        ; implicit-def: $vgpr0
	s_branch .LBB38_1718
.LBB38_1697:
	s_mov_b32 s18, -1
                                        ; implicit-def: $vgpr0
	s_branch .LBB38_1706
.LBB38_1698:
	s_mov_b32 s18, -1
                                        ; implicit-def: $vgpr0
	s_branch .LBB38_1703
.LBB38_1699:
	s_mov_b32 s18, -1
                                        ; implicit-def: $vgpr0
.LBB38_1700:
	s_delay_alu instid0(SALU_CYCLE_1)
	s_and_not1_b32 vcc_lo, exec_lo, s18
	s_cbranch_vccnz .LBB38_1702
; %bb.1701:
	s_wait_loadcnt 0x0
	global_load_b32 v0, v[2:3], off
	s_wait_loadcnt 0x0
	v_cvt_i32_f32_e32 v0, v0
.LBB38_1702:
	s_mov_b32 s18, 0
.LBB38_1703:
	s_delay_alu instid0(SALU_CYCLE_1)
	s_and_not1_b32 vcc_lo, exec_lo, s18
	s_cbranch_vccnz .LBB38_1705
; %bb.1704:
	s_wait_loadcnt 0x0
	global_load_b32 v0, v[2:3], off
	s_wait_loadcnt 0x0
	v_cvt_i16_f16_e32 v0, v0
.LBB38_1705:
	s_mov_b32 s18, 0
.LBB38_1706:
	s_delay_alu instid0(SALU_CYCLE_1)
	s_and_not1_b32 vcc_lo, exec_lo, s18
	s_cbranch_vccnz .LBB38_1717
; %bb.1707:
	s_cmp_lt_i32 s12, 6
	s_cbranch_scc1 .LBB38_1710
; %bb.1708:
	s_cmp_gt_i32 s12, 6
	s_cbranch_scc0 .LBB38_1711
; %bb.1709:
	s_wait_loadcnt 0x0
	global_load_b64 v[0:1], v[2:3], off
	s_mov_b32 s18, 0
	s_wait_loadcnt 0x0
	v_cvt_i32_f64_e32 v0, v[0:1]
	s_branch .LBB38_1712
.LBB38_1710:
	s_mov_b32 s18, -1
                                        ; implicit-def: $vgpr0
	s_branch .LBB38_1715
.LBB38_1711:
	s_mov_b32 s18, -1
                                        ; implicit-def: $vgpr0
.LBB38_1712:
	s_delay_alu instid0(SALU_CYCLE_1)
	s_and_not1_b32 vcc_lo, exec_lo, s18
	s_cbranch_vccnz .LBB38_1714
; %bb.1713:
	s_wait_loadcnt 0x0
	global_load_b32 v0, v[2:3], off
	s_wait_loadcnt 0x0
	v_cvt_i32_f32_e32 v0, v0
.LBB38_1714:
	s_mov_b32 s18, 0
.LBB38_1715:
	s_delay_alu instid0(SALU_CYCLE_1)
	s_and_not1_b32 vcc_lo, exec_lo, s18
	s_cbranch_vccnz .LBB38_1717
; %bb.1716:
	s_wait_loadcnt 0x0
	global_load_u16 v0, v[2:3], off
	s_wait_loadcnt 0x0
	v_cvt_i16_f16_e32 v0, v0
.LBB38_1717:
	s_cbranch_execnz .LBB38_1737
.LBB38_1718:
	s_cmp_lt_i32 s12, 2
	s_cbranch_scc1 .LBB38_1722
; %bb.1719:
	s_cmp_lt_i32 s12, 3
	s_cbranch_scc1 .LBB38_1723
; %bb.1720:
	s_cmp_gt_i32 s12, 3
	s_cbranch_scc0 .LBB38_1724
; %bb.1721:
	s_wait_loadcnt 0x0
	global_load_b64 v[0:1], v[2:3], off
	s_mov_b32 s18, 0
	s_branch .LBB38_1725
.LBB38_1722:
	s_mov_b32 s18, -1
                                        ; implicit-def: $vgpr0
	s_branch .LBB38_1731
.LBB38_1723:
	s_mov_b32 s18, -1
                                        ; implicit-def: $vgpr0
	s_branch .LBB38_1728
.LBB38_1724:
	s_mov_b32 s18, -1
                                        ; implicit-def: $vgpr0
.LBB38_1725:
	s_delay_alu instid0(SALU_CYCLE_1)
	s_and_not1_b32 vcc_lo, exec_lo, s18
	s_cbranch_vccnz .LBB38_1727
; %bb.1726:
	s_wait_loadcnt 0x0
	global_load_b32 v0, v[2:3], off
.LBB38_1727:
	s_mov_b32 s18, 0
.LBB38_1728:
	s_delay_alu instid0(SALU_CYCLE_1)
	s_and_not1_b32 vcc_lo, exec_lo, s18
	s_cbranch_vccnz .LBB38_1730
; %bb.1729:
	s_wait_loadcnt 0x0
	global_load_u16 v0, v[2:3], off
.LBB38_1730:
	s_mov_b32 s18, 0
.LBB38_1731:
	s_delay_alu instid0(SALU_CYCLE_1)
	s_and_not1_b32 vcc_lo, exec_lo, s18
	s_cbranch_vccnz .LBB38_1737
; %bb.1732:
	s_cmp_gt_i32 s12, 0
	s_mov_b32 s12, 0
	s_cbranch_scc0 .LBB38_1734
; %bb.1733:
	s_wait_loadcnt 0x0
	global_load_u8 v0, v[2:3], off
	s_branch .LBB38_1735
.LBB38_1734:
	s_mov_b32 s12, -1
                                        ; implicit-def: $vgpr0
.LBB38_1735:
	s_delay_alu instid0(SALU_CYCLE_1)
	s_and_not1_b32 vcc_lo, exec_lo, s12
	s_cbranch_vccnz .LBB38_1737
; %bb.1736:
	s_wait_loadcnt 0x0
	global_load_u8 v0, v[2:3], off
.LBB38_1737:
.LBB38_1738:
	v_mul_lo_u32 v6, s5, v18
	s_and_b32 s7, s7, 0xff
	s_delay_alu instid0(SALU_CYCLE_1) | instskip(NEXT) | instid1(VALU_DEP_1)
	s_cmp_lt_i32 s7, 11
	v_ashrrev_i32_e32 v7, 31, v6
	s_delay_alu instid0(VALU_DEP_1)
	v_add_nc_u64_e32 v[8:9], s[10:11], v[6:7]
	s_cbranch_scc1 .LBB38_1745
; %bb.1739:
	s_and_b32 s12, 0xffff, s7
	s_mov_b32 s19, 0
	s_cmp_gt_i32 s12, 25
	s_cbranch_scc0 .LBB38_1747
; %bb.1740:
	s_cmp_gt_i32 s12, 28
	s_cbranch_scc0 .LBB38_1748
; %bb.1741:
	;; [unrolled: 3-line block ×4, first 2 shown]
	s_cmp_eq_u32 s12, 46
	s_mov_b32 s21, 0
	s_cbranch_scc0 .LBB38_1752
; %bb.1744:
	s_wait_loadcnt 0x0
	global_load_b32 v1, v[8:9], off
	s_mov_b32 s18, 0
	s_mov_b32 s20, -1
	s_wait_loadcnt 0x0
	v_lshlrev_b32_e32 v1, 16, v1
	s_wait_xcnt 0x1
	s_delay_alu instid0(VALU_DEP_1)
	v_cvt_i32_f32_e32 v2, v1
	s_branch .LBB38_1754
.LBB38_1745:
	s_mov_b32 s20, 0
                                        ; implicit-def: $vgpr2
	s_cbranch_execnz .LBB38_1816
.LBB38_1746:
	s_and_not1_b32 vcc_lo, exec_lo, s20
	s_cbranch_vccz .LBB38_1864
	s_branch .LBB38_3126
.LBB38_1747:
	s_mov_b32 s21, -1
	s_mov_b32 s20, 0
	s_mov_b32 s18, 0
                                        ; implicit-def: $vgpr2
	s_branch .LBB38_1781
.LBB38_1748:
	s_mov_b32 s21, -1
	s_mov_b32 s20, 0
	s_mov_b32 s18, 0
                                        ; implicit-def: $vgpr2
	s_branch .LBB38_1764
.LBB38_1749:
	s_mov_b32 s21, -1
	s_mov_b32 s20, 0
	s_mov_b32 s18, 0
                                        ; implicit-def: $vgpr2
	s_branch .LBB38_1759
.LBB38_1750:
	s_or_b32 s13, s13, exec_lo
	s_trap 2
	s_cbranch_execz .LBB38_1689
	s_branch .LBB38_1690
.LBB38_1751:
	s_mov_b32 s21, -1
	s_mov_b32 s20, 0
	s_mov_b32 s18, 0
	s_branch .LBB38_1753
.LBB38_1752:
	s_mov_b32 s18, -1
	s_mov_b32 s20, 0
.LBB38_1753:
                                        ; implicit-def: $vgpr2
.LBB38_1754:
	s_and_b32 vcc_lo, exec_lo, s21
	s_cbranch_vccz .LBB38_1758
; %bb.1755:
	s_cmp_eq_u32 s12, 44
	s_cbranch_scc0 .LBB38_1757
; %bb.1756:
	s_wait_loadcnt 0x0
	global_load_u8 v1, v[8:9], off
	s_mov_b32 s18, 0
	s_mov_b32 s20, -1
	s_wait_loadcnt 0x0
	s_wait_xcnt 0x1
	v_lshlrev_b32_e32 v2, 23, v1
	v_cmp_ne_u32_e32 vcc_lo, 0, v1
	s_delay_alu instid0(VALU_DEP_2) | instskip(NEXT) | instid1(VALU_DEP_1)
	v_cvt_i32_f32_e32 v2, v2
	v_cndmask_b32_e32 v2, 0, v2, vcc_lo
	s_branch .LBB38_1758
.LBB38_1757:
	s_mov_b32 s18, -1
                                        ; implicit-def: $vgpr2
.LBB38_1758:
	s_mov_b32 s21, 0
.LBB38_1759:
	s_delay_alu instid0(SALU_CYCLE_1)
	s_and_b32 vcc_lo, exec_lo, s21
	s_cbranch_vccz .LBB38_1763
; %bb.1760:
	s_cmp_eq_u32 s12, 29
	s_cbranch_scc0 .LBB38_1762
; %bb.1761:
	global_load_b64 v[2:3], v[8:9], off
	s_mov_b32 s18, 0
	s_mov_b32 s20, -1
	s_branch .LBB38_1763
.LBB38_1762:
	s_mov_b32 s18, -1
                                        ; implicit-def: $vgpr2
.LBB38_1763:
	s_mov_b32 s21, 0
.LBB38_1764:
	s_delay_alu instid0(SALU_CYCLE_1)
	s_and_b32 vcc_lo, exec_lo, s21
	s_cbranch_vccz .LBB38_1780
; %bb.1765:
	s_cmp_lt_i32 s12, 27
	s_cbranch_scc1 .LBB38_1768
; %bb.1766:
	s_cmp_gt_i32 s12, 27
	s_cbranch_scc0 .LBB38_1769
; %bb.1767:
	s_wait_loadcnt 0x0
	global_load_b32 v2, v[8:9], off
	s_mov_b32 s20, 0
	s_branch .LBB38_1770
.LBB38_1768:
	s_mov_b32 s20, -1
                                        ; implicit-def: $vgpr2
	s_branch .LBB38_1773
.LBB38_1769:
	s_mov_b32 s20, -1
                                        ; implicit-def: $vgpr2
.LBB38_1770:
	s_delay_alu instid0(SALU_CYCLE_1)
	s_and_not1_b32 vcc_lo, exec_lo, s20
	s_cbranch_vccnz .LBB38_1772
; %bb.1771:
	s_wait_loadcnt 0x0
	global_load_u16 v2, v[8:9], off
.LBB38_1772:
	s_mov_b32 s20, 0
.LBB38_1773:
	s_delay_alu instid0(SALU_CYCLE_1)
	s_and_not1_b32 vcc_lo, exec_lo, s20
	s_cbranch_vccnz .LBB38_1779
; %bb.1774:
	s_wait_loadcnt 0x0
	global_load_u8 v1, v[8:9], off
	s_mov_b32 s21, 0
	s_mov_b32 s20, exec_lo
	s_wait_loadcnt 0x0
	v_cmpx_lt_i16_e32 0x7f, v1
	s_xor_b32 s20, exec_lo, s20
	s_cbranch_execz .LBB38_1791
; %bb.1775:
	v_cmp_ne_u16_e32 vcc_lo, 0x80, v1
	s_and_b32 s21, vcc_lo, exec_lo
	s_and_not1_saveexec_b32 s20, s20
	s_cbranch_execnz .LBB38_1792
.LBB38_1776:
	s_or_b32 exec_lo, exec_lo, s20
	v_mov_b32_e32 v2, 0
	s_and_saveexec_b32 s20, s21
	s_cbranch_execz .LBB38_1778
.LBB38_1777:
	v_and_b32_e32 v2, 0xffff, v1
	s_delay_alu instid0(VALU_DEP_1) | instskip(SKIP_1) | instid1(VALU_DEP_2)
	v_and_b32_e32 v3, 7, v2
	v_bfe_u32 v10, v2, 3, 4
	v_clz_i32_u32_e32 v5, v3
	s_delay_alu instid0(VALU_DEP_2) | instskip(NEXT) | instid1(VALU_DEP_2)
	v_cmp_eq_u32_e32 vcc_lo, 0, v10
	v_min_u32_e32 v5, 32, v5
	s_delay_alu instid0(VALU_DEP_1) | instskip(NEXT) | instid1(VALU_DEP_1)
	v_subrev_nc_u32_e32 v7, 28, v5
	v_dual_lshlrev_b32 v2, v7, v2 :: v_dual_sub_nc_u32 v5, 29, v5
	s_delay_alu instid0(VALU_DEP_1) | instskip(NEXT) | instid1(VALU_DEP_1)
	v_dual_lshlrev_b32 v1, 24, v1 :: v_dual_bitop2_b32 v2, 7, v2 bitop3:0x40
	v_dual_cndmask_b32 v2, v3, v2 :: v_dual_cndmask_b32 v5, v10, v5
	s_delay_alu instid0(VALU_DEP_2) | instskip(NEXT) | instid1(VALU_DEP_2)
	v_and_b32_e32 v1, 0x80000000, v1
	v_lshlrev_b32_e32 v2, 20, v2
	s_delay_alu instid0(VALU_DEP_3) | instskip(NEXT) | instid1(VALU_DEP_1)
	v_lshl_add_u32 v3, v5, 23, 0x3b800000
	v_or3_b32 v1, v1, v3, v2
	s_delay_alu instid0(VALU_DEP_1)
	v_cvt_i32_f32_e32 v2, v1
.LBB38_1778:
	s_or_b32 exec_lo, exec_lo, s20
.LBB38_1779:
	s_mov_b32 s20, -1
.LBB38_1780:
	s_mov_b32 s21, 0
.LBB38_1781:
	s_delay_alu instid0(SALU_CYCLE_1)
	s_and_b32 vcc_lo, exec_lo, s21
	s_cbranch_vccz .LBB38_1812
; %bb.1782:
	s_cmp_gt_i32 s12, 22
	s_cbranch_scc0 .LBB38_1790
; %bb.1783:
	s_cmp_lt_i32 s12, 24
	s_cbranch_scc1 .LBB38_1793
; %bb.1784:
	s_cmp_gt_i32 s12, 24
	s_cbranch_scc0 .LBB38_1794
; %bb.1785:
	s_wait_loadcnt 0x0
	global_load_u8 v1, v[8:9], off
	s_mov_b32 s20, 0
	s_mov_b32 s19, exec_lo
	s_wait_loadcnt 0x0
	v_cmpx_lt_i16_e32 0x7f, v1
	s_xor_b32 s19, exec_lo, s19
	s_cbranch_execz .LBB38_1806
; %bb.1786:
	v_cmp_ne_u16_e32 vcc_lo, 0x80, v1
	s_and_b32 s20, vcc_lo, exec_lo
	s_and_not1_saveexec_b32 s19, s19
	s_cbranch_execnz .LBB38_1807
.LBB38_1787:
	s_or_b32 exec_lo, exec_lo, s19
	v_mov_b32_e32 v2, 0
	s_and_saveexec_b32 s19, s20
	s_cbranch_execz .LBB38_1789
.LBB38_1788:
	v_and_b32_e32 v2, 0xffff, v1
	s_delay_alu instid0(VALU_DEP_1) | instskip(SKIP_1) | instid1(VALU_DEP_2)
	v_and_b32_e32 v3, 3, v2
	v_bfe_u32 v10, v2, 2, 5
	v_clz_i32_u32_e32 v5, v3
	s_delay_alu instid0(VALU_DEP_2) | instskip(NEXT) | instid1(VALU_DEP_2)
	v_cmp_eq_u32_e32 vcc_lo, 0, v10
	v_min_u32_e32 v5, 32, v5
	s_delay_alu instid0(VALU_DEP_1) | instskip(NEXT) | instid1(VALU_DEP_1)
	v_subrev_nc_u32_e32 v7, 29, v5
	v_dual_lshlrev_b32 v2, v7, v2 :: v_dual_sub_nc_u32 v5, 30, v5
	s_delay_alu instid0(VALU_DEP_1) | instskip(NEXT) | instid1(VALU_DEP_1)
	v_dual_lshlrev_b32 v1, 24, v1 :: v_dual_bitop2_b32 v2, 3, v2 bitop3:0x40
	v_dual_cndmask_b32 v2, v3, v2 :: v_dual_cndmask_b32 v5, v10, v5
	s_delay_alu instid0(VALU_DEP_2) | instskip(NEXT) | instid1(VALU_DEP_2)
	v_and_b32_e32 v1, 0x80000000, v1
	v_lshlrev_b32_e32 v2, 21, v2
	s_delay_alu instid0(VALU_DEP_3) | instskip(NEXT) | instid1(VALU_DEP_1)
	v_lshl_add_u32 v3, v5, 23, 0x37800000
	v_or3_b32 v1, v1, v3, v2
	s_delay_alu instid0(VALU_DEP_1)
	v_cvt_i32_f32_e32 v2, v1
.LBB38_1789:
	s_or_b32 exec_lo, exec_lo, s19
	s_mov_b32 s19, 0
	s_branch .LBB38_1795
.LBB38_1790:
	s_mov_b32 s19, -1
                                        ; implicit-def: $vgpr2
	s_branch .LBB38_1801
.LBB38_1791:
	s_and_not1_saveexec_b32 s20, s20
	s_cbranch_execz .LBB38_1776
.LBB38_1792:
	v_cmp_ne_u16_e32 vcc_lo, 0, v1
	s_and_not1_b32 s21, s21, exec_lo
	s_and_b32 s22, vcc_lo, exec_lo
	s_delay_alu instid0(SALU_CYCLE_1)
	s_or_b32 s21, s21, s22
	s_or_b32 exec_lo, exec_lo, s20
	v_mov_b32_e32 v2, 0
	s_and_saveexec_b32 s20, s21
	s_cbranch_execnz .LBB38_1777
	s_branch .LBB38_1778
.LBB38_1793:
	s_mov_b32 s19, -1
                                        ; implicit-def: $vgpr2
	s_branch .LBB38_1798
.LBB38_1794:
	s_mov_b32 s19, -1
                                        ; implicit-def: $vgpr2
.LBB38_1795:
	s_delay_alu instid0(SALU_CYCLE_1)
	s_and_b32 vcc_lo, exec_lo, s19
	s_cbranch_vccz .LBB38_1797
; %bb.1796:
	s_wait_loadcnt 0x0
	global_load_u8 v1, v[8:9], off
	s_wait_loadcnt 0x0
	v_lshlrev_b32_e32 v1, 24, v1
	s_wait_xcnt 0x1
	s_delay_alu instid0(VALU_DEP_1) | instskip(NEXT) | instid1(VALU_DEP_1)
	v_and_b32_e32 v2, 0x7f000000, v1
	v_clz_i32_u32_e32 v3, v2
	v_cmp_ne_u32_e32 vcc_lo, 0, v2
	v_add_nc_u32_e32 v7, 0x1000000, v2
	s_delay_alu instid0(VALU_DEP_3) | instskip(NEXT) | instid1(VALU_DEP_1)
	v_min_u32_e32 v3, 32, v3
	v_sub_nc_u32_e64 v3, v3, 4 clamp
	s_delay_alu instid0(VALU_DEP_1) | instskip(NEXT) | instid1(VALU_DEP_1)
	v_dual_lshlrev_b32 v5, v3, v2 :: v_dual_lshlrev_b32 v3, 23, v3
	v_lshrrev_b32_e32 v5, 4, v5
	s_delay_alu instid0(VALU_DEP_1) | instskip(SKIP_1) | instid1(VALU_DEP_2)
	v_sub_nc_u32_e32 v3, v5, v3
	v_ashrrev_i32_e32 v5, 8, v7
	v_add_nc_u32_e32 v3, 0x3c000000, v3
	s_delay_alu instid0(VALU_DEP_1) | instskip(NEXT) | instid1(VALU_DEP_1)
	v_and_or_b32 v3, 0x7f800000, v5, v3
	v_cndmask_b32_e32 v2, 0, v3, vcc_lo
	s_delay_alu instid0(VALU_DEP_1) | instskip(NEXT) | instid1(VALU_DEP_1)
	v_and_or_b32 v1, 0x80000000, v1, v2
	v_cvt_i32_f32_e32 v2, v1
.LBB38_1797:
	s_mov_b32 s19, 0
.LBB38_1798:
	s_delay_alu instid0(SALU_CYCLE_1)
	s_and_not1_b32 vcc_lo, exec_lo, s19
	s_cbranch_vccnz .LBB38_1800
; %bb.1799:
	s_wait_loadcnt 0x0
	global_load_u8 v1, v[8:9], off
	s_wait_loadcnt 0x0
	s_wait_xcnt 0x1
	v_lshlrev_b32_e32 v2, 25, v1
	v_lshlrev_b16 v1, 8, v1
	s_delay_alu instid0(VALU_DEP_1) | instskip(NEXT) | instid1(VALU_DEP_3)
	v_and_or_b32 v5, 0x7f00, v1, 0.5
	v_lshrrev_b32_e32 v3, 4, v2
	v_bfe_i32 v1, v1, 0, 16
	s_delay_alu instid0(VALU_DEP_3) | instskip(NEXT) | instid1(VALU_DEP_3)
	v_add_f32_e32 v5, -0.5, v5
	v_or_b32_e32 v3, 0x70000000, v3
	s_delay_alu instid0(VALU_DEP_1) | instskip(SKIP_1) | instid1(VALU_DEP_2)
	v_mul_f32_e32 v3, 0x7800000, v3
	v_cmp_gt_u32_e32 vcc_lo, 0x8000000, v2
	v_cndmask_b32_e32 v2, v3, v5, vcc_lo
	s_delay_alu instid0(VALU_DEP_1) | instskip(NEXT) | instid1(VALU_DEP_1)
	v_and_or_b32 v1, 0x80000000, v1, v2
	v_cvt_i32_f32_e32 v2, v1
.LBB38_1800:
	s_mov_b32 s19, 0
	s_mov_b32 s20, -1
.LBB38_1801:
	s_and_not1_b32 vcc_lo, exec_lo, s19
	s_mov_b32 s19, 0
	s_cbranch_vccnz .LBB38_1812
; %bb.1802:
	s_cmp_gt_i32 s12, 14
	s_cbranch_scc0 .LBB38_1805
; %bb.1803:
	s_cmp_eq_u32 s12, 15
	s_cbranch_scc0 .LBB38_1808
; %bb.1804:
	s_wait_loadcnt 0x0
	global_load_u16 v1, v[8:9], off
	s_mov_b32 s18, 0
	s_mov_b32 s20, -1
	s_wait_loadcnt 0x0
	v_lshlrev_b32_e32 v1, 16, v1
	s_wait_xcnt 0x1
	s_delay_alu instid0(VALU_DEP_1)
	v_cvt_i32_f32_e32 v2, v1
	s_branch .LBB38_1810
.LBB38_1805:
	s_mov_b32 s19, -1
	s_branch .LBB38_1809
.LBB38_1806:
	s_and_not1_saveexec_b32 s19, s19
	s_cbranch_execz .LBB38_1787
.LBB38_1807:
	v_cmp_ne_u16_e32 vcc_lo, 0, v1
	s_and_not1_b32 s20, s20, exec_lo
	s_and_b32 s21, vcc_lo, exec_lo
	s_delay_alu instid0(SALU_CYCLE_1)
	s_or_b32 s20, s20, s21
	s_or_b32 exec_lo, exec_lo, s19
	v_mov_b32_e32 v2, 0
	s_and_saveexec_b32 s19, s20
	s_cbranch_execnz .LBB38_1788
	s_branch .LBB38_1789
.LBB38_1808:
	s_mov_b32 s18, -1
.LBB38_1809:
                                        ; implicit-def: $vgpr2
.LBB38_1810:
	s_and_b32 vcc_lo, exec_lo, s19
	s_mov_b32 s19, 0
	s_cbranch_vccz .LBB38_1812
; %bb.1811:
	s_cmp_lg_u32 s12, 11
	s_mov_b32 s19, -1
	s_cselect_b32 s18, -1, 0
.LBB38_1812:
	s_delay_alu instid0(SALU_CYCLE_1)
	s_and_b32 vcc_lo, exec_lo, s18
	s_cbranch_vccnz .LBB38_1894
; %bb.1813:
	s_and_not1_b32 vcc_lo, exec_lo, s19
	s_cbranch_vccnz .LBB38_1815
.LBB38_1814:
	s_wait_loadcnt 0x0
	global_load_u8 v1, v[8:9], off
	s_mov_b32 s20, -1
	s_wait_loadcnt 0x0
	v_cmp_ne_u16_e32 vcc_lo, 0, v1
	s_wait_xcnt 0x1
	v_cndmask_b32_e64 v2, 0, 1, vcc_lo
.LBB38_1815:
	s_branch .LBB38_1746
.LBB38_1816:
	s_and_b32 s12, 0xffff, s7
	s_delay_alu instid0(SALU_CYCLE_1)
	s_cmp_lt_i32 s12, 5
	s_cbranch_scc1 .LBB38_1821
; %bb.1817:
	s_cmp_lt_i32 s12, 8
	s_cbranch_scc1 .LBB38_1822
; %bb.1818:
	;; [unrolled: 3-line block ×3, first 2 shown]
	s_cmp_gt_i32 s12, 9
	s_cbranch_scc0 .LBB38_1824
; %bb.1820:
	s_wait_loadcnt 0x0
	global_load_b64 v[2:3], v[8:9], off
	s_mov_b32 s18, 0
	s_wait_loadcnt 0x0
	v_cvt_i32_f64_e32 v2, v[2:3]
	s_branch .LBB38_1825
.LBB38_1821:
	s_mov_b32 s18, -1
                                        ; implicit-def: $vgpr2
	s_branch .LBB38_1843
.LBB38_1822:
	s_mov_b32 s18, -1
                                        ; implicit-def: $vgpr2
	s_branch .LBB38_1831
.LBB38_1823:
	s_mov_b32 s18, -1
                                        ; implicit-def: $vgpr2
	s_branch .LBB38_1828
.LBB38_1824:
	s_mov_b32 s18, -1
                                        ; implicit-def: $vgpr2
.LBB38_1825:
	s_delay_alu instid0(SALU_CYCLE_1)
	s_and_not1_b32 vcc_lo, exec_lo, s18
	s_cbranch_vccnz .LBB38_1827
; %bb.1826:
	s_wait_loadcnt 0x0
	global_load_b32 v1, v[8:9], off
	s_wait_loadcnt 0x0
	s_wait_xcnt 0x1
	v_cvt_i32_f32_e32 v2, v1
.LBB38_1827:
	s_mov_b32 s18, 0
.LBB38_1828:
	s_delay_alu instid0(SALU_CYCLE_1)
	s_and_not1_b32 vcc_lo, exec_lo, s18
	s_cbranch_vccnz .LBB38_1830
; %bb.1829:
	s_wait_loadcnt 0x0
	global_load_b32 v1, v[8:9], off
	s_wait_loadcnt 0x0
	s_wait_xcnt 0x1
	v_cvt_i16_f16_e32 v2, v1
.LBB38_1830:
	s_mov_b32 s18, 0
.LBB38_1831:
	s_delay_alu instid0(SALU_CYCLE_1)
	s_and_not1_b32 vcc_lo, exec_lo, s18
	s_cbranch_vccnz .LBB38_1842
; %bb.1832:
	s_cmp_lt_i32 s12, 6
	s_cbranch_scc1 .LBB38_1835
; %bb.1833:
	s_cmp_gt_i32 s12, 6
	s_cbranch_scc0 .LBB38_1836
; %bb.1834:
	s_wait_loadcnt 0x0
	global_load_b64 v[2:3], v[8:9], off
	s_mov_b32 s18, 0
	s_wait_loadcnt 0x0
	v_cvt_i32_f64_e32 v2, v[2:3]
	s_branch .LBB38_1837
.LBB38_1835:
	s_mov_b32 s18, -1
                                        ; implicit-def: $vgpr2
	s_branch .LBB38_1840
.LBB38_1836:
	s_mov_b32 s18, -1
                                        ; implicit-def: $vgpr2
.LBB38_1837:
	s_delay_alu instid0(SALU_CYCLE_1)
	s_and_not1_b32 vcc_lo, exec_lo, s18
	s_cbranch_vccnz .LBB38_1839
; %bb.1838:
	s_wait_loadcnt 0x0
	global_load_b32 v1, v[8:9], off
	s_wait_loadcnt 0x0
	s_wait_xcnt 0x1
	v_cvt_i32_f32_e32 v2, v1
.LBB38_1839:
	s_mov_b32 s18, 0
.LBB38_1840:
	s_delay_alu instid0(SALU_CYCLE_1)
	s_and_not1_b32 vcc_lo, exec_lo, s18
	s_cbranch_vccnz .LBB38_1842
; %bb.1841:
	s_wait_loadcnt 0x0
	global_load_u16 v1, v[8:9], off
	s_wait_loadcnt 0x0
	s_wait_xcnt 0x1
	v_cvt_i16_f16_e32 v2, v1
.LBB38_1842:
	s_mov_b32 s18, 0
.LBB38_1843:
	s_delay_alu instid0(SALU_CYCLE_1)
	s_and_not1_b32 vcc_lo, exec_lo, s18
	s_cbranch_vccnz .LBB38_1863
; %bb.1844:
	s_cmp_lt_i32 s12, 2
	s_cbranch_scc1 .LBB38_1848
; %bb.1845:
	s_cmp_lt_i32 s12, 3
	s_cbranch_scc1 .LBB38_1849
; %bb.1846:
	s_cmp_gt_i32 s12, 3
	s_cbranch_scc0 .LBB38_1850
; %bb.1847:
	s_wait_loadcnt 0x0
	global_load_b64 v[2:3], v[8:9], off
	s_mov_b32 s18, 0
	s_branch .LBB38_1851
.LBB38_1848:
	s_mov_b32 s18, -1
                                        ; implicit-def: $vgpr2
	s_branch .LBB38_1857
.LBB38_1849:
	s_mov_b32 s18, -1
                                        ; implicit-def: $vgpr2
	s_branch .LBB38_1854
.LBB38_1850:
	s_mov_b32 s18, -1
                                        ; implicit-def: $vgpr2
.LBB38_1851:
	s_delay_alu instid0(SALU_CYCLE_1)
	s_and_not1_b32 vcc_lo, exec_lo, s18
	s_cbranch_vccnz .LBB38_1853
; %bb.1852:
	s_wait_loadcnt 0x0
	global_load_b32 v2, v[8:9], off
.LBB38_1853:
	s_mov_b32 s18, 0
.LBB38_1854:
	s_delay_alu instid0(SALU_CYCLE_1)
	s_and_not1_b32 vcc_lo, exec_lo, s18
	s_cbranch_vccnz .LBB38_1856
; %bb.1855:
	s_wait_loadcnt 0x0
	global_load_u16 v2, v[8:9], off
.LBB38_1856:
	s_mov_b32 s18, 0
.LBB38_1857:
	s_delay_alu instid0(SALU_CYCLE_1)
	s_and_not1_b32 vcc_lo, exec_lo, s18
	s_cbranch_vccnz .LBB38_1863
; %bb.1858:
	s_cmp_gt_i32 s12, 0
	s_mov_b32 s12, 0
	s_cbranch_scc0 .LBB38_1860
; %bb.1859:
	s_wait_loadcnt 0x0
	global_load_u8 v2, v[8:9], off
	s_branch .LBB38_1861
.LBB38_1860:
	s_mov_b32 s12, -1
                                        ; implicit-def: $vgpr2
.LBB38_1861:
	s_delay_alu instid0(SALU_CYCLE_1)
	s_and_not1_b32 vcc_lo, exec_lo, s12
	s_cbranch_vccnz .LBB38_1863
; %bb.1862:
	s_wait_loadcnt 0x0
	global_load_u8 v2, v[8:9], off
.LBB38_1863:
.LBB38_1864:
	s_cmp_lt_i32 s15, 23
	s_cbranch_scc1 .LBB38_1868
; %bb.1865:
	s_and_b32 s19, 0xffff, s15
	s_delay_alu instid0(SALU_CYCLE_1)
	s_cmp_gt_i32 s19, 43
	s_cbranch_scc0 .LBB38_1869
; %bb.1866:
	s_cmp_gt_i32 s19, 45
	s_cbranch_scc0 .LBB38_1870
; %bb.1867:
	s_cmp_lg_u32 s19, 46
	s_mov_b32 s20, 0
	s_mov_b32 s12, -1
	s_cselect_b32 s18, -1, 0
	s_branch .LBB38_1871
.LBB38_1868:
	s_mov_b32 s19, -1
	s_mov_b32 s12, 0
	s_mov_b32 s18, 0
	s_branch .LBB38_1877
.LBB38_1869:
	s_mov_b32 s20, -1
	s_mov_b32 s12, 0
	s_mov_b32 s18, 0
	s_branch .LBB38_1874
.LBB38_1870:
	s_mov_b32 s20, -1
	s_mov_b32 s12, 0
	s_mov_b32 s18, 0
.LBB38_1871:
	s_and_not1_b32 vcc_lo, exec_lo, s20
	s_cbranch_vccnz .LBB38_1873
; %bb.1872:
	s_cmp_eq_u32 s19, 44
	s_cselect_b32 s12, -1, 0
	s_cmp_lg_u32 s19, 44
	s_cselect_b32 s18, -1, 0
.LBB38_1873:
	s_mov_b32 s20, 0
.LBB38_1874:
	s_delay_alu instid0(SALU_CYCLE_1)
	s_and_b32 vcc_lo, exec_lo, s20
	s_cbranch_vccz .LBB38_1876
; %bb.1875:
	s_cmp_lt_i32 s19, 30
	s_cselect_b32 s12, -1, 0
	s_cmp_gt_i32 s19, 29
	s_cselect_b32 s18, -1, 0
.LBB38_1876:
	s_mov_b32 s19, 0
.LBB38_1877:
	s_delay_alu instid0(SALU_CYCLE_1)
	s_and_b32 vcc_lo, exec_lo, s19
	s_cbranch_vccz .LBB38_1882
; %bb.1878:
	s_and_b32 s19, 0xffff, s15
	s_mov_b32 s20, -1
	s_cmp_gt_i32 s19, 14
	s_cbranch_scc0 .LBB38_1880
; %bb.1879:
	s_cmp_eq_u32 s19, 15
	s_mov_b32 s20, 0
	s_cselect_b32 s12, -1, 0
	s_cmp_lg_u32 s19, 15
	s_cselect_b32 s18, -1, 0
.LBB38_1880:
	s_and_not1_b32 vcc_lo, exec_lo, s20
	s_cbranch_vccnz .LBB38_1882
; %bb.1881:
	s_cmp_lt_i32 s19, 12
	s_cselect_b32 s12, -1, 0
	s_cmp_gt_i32 s19, 11
	s_cselect_b32 s18, -1, 0
.LBB38_1882:
	s_delay_alu instid0(SALU_CYCLE_1)
	s_and_b32 vcc_lo, exec_lo, s18
	s_cbranch_vccnz .LBB38_1895
; %bb.1883:
	s_and_not1_b32 vcc_lo, exec_lo, s12
	s_cbranch_vccnz .LBB38_3126
.LBB38_1884:
	s_lshl_b32 s4, s4, 7
	s_cmp_lt_i32 s0, 11
	s_wait_xcnt 0x0
	v_add_nc_u32_e32 v8, s4, v4
	s_delay_alu instid0(VALU_DEP_1) | instskip(NEXT) | instid1(VALU_DEP_1)
	v_ashrrev_i32_e32 v9, 31, v8
	v_add_nc_u64_e32 v[10:11], s[8:9], v[8:9]
	s_cbranch_scc1 .LBB38_1891
; %bb.1885:
	s_and_b32 s12, 0xffff, s0
	s_mov_b32 s19, 0
	s_cmp_gt_i32 s12, 25
	s_cbranch_scc0 .LBB38_1892
; %bb.1886:
	s_cmp_gt_i32 s12, 28
	s_cbranch_scc0 .LBB38_1893
; %bb.1887:
	;; [unrolled: 3-line block ×4, first 2 shown]
	s_cmp_eq_u32 s12, 46
	s_mov_b32 s21, 0
	s_cbranch_scc0 .LBB38_1898
; %bb.1890:
	s_wait_loadcnt 0x0
	global_load_b32 v1, v[10:11], off
	s_mov_b32 s18, 0
	s_mov_b32 s20, -1
	s_wait_loadcnt 0x0
	v_lshlrev_b32_e32 v1, 16, v1
	s_delay_alu instid0(VALU_DEP_1)
	v_cvt_i32_f32_e32 v4, v1
	s_branch .LBB38_1900
.LBB38_1891:
	s_mov_b32 s12, -1
	s_mov_b32 s20, 0
                                        ; implicit-def: $vgpr4
	s_branch .LBB38_1962
.LBB38_1892:
	s_mov_b32 s21, -1
	s_mov_b32 s20, 0
	s_mov_b32 s18, 0
                                        ; implicit-def: $vgpr4
	s_branch .LBB38_1927
.LBB38_1893:
	s_mov_b32 s21, -1
	s_mov_b32 s20, 0
	s_mov_b32 s18, 0
                                        ; implicit-def: $vgpr4
	s_branch .LBB38_1910
.LBB38_1894:
	s_or_b32 s13, s13, exec_lo
	s_trap 2
	s_cbranch_execz .LBB38_1814
	s_branch .LBB38_1815
.LBB38_1895:
	s_or_b32 s13, s13, exec_lo
	s_trap 2
	s_cbranch_execz .LBB38_1884
	s_branch .LBB38_3126
.LBB38_1896:
	s_mov_b32 s21, -1
	s_mov_b32 s20, 0
	s_mov_b32 s18, 0
                                        ; implicit-def: $vgpr4
	s_branch .LBB38_1905
.LBB38_1897:
	s_mov_b32 s21, -1
	s_mov_b32 s20, 0
	s_mov_b32 s18, 0
	s_branch .LBB38_1899
.LBB38_1898:
	s_mov_b32 s18, -1
	s_mov_b32 s20, 0
.LBB38_1899:
                                        ; implicit-def: $vgpr4
.LBB38_1900:
	s_and_b32 vcc_lo, exec_lo, s21
	s_cbranch_vccz .LBB38_1904
; %bb.1901:
	s_cmp_eq_u32 s12, 44
	s_cbranch_scc0 .LBB38_1903
; %bb.1902:
	s_wait_loadcnt 0x0
	global_load_u8 v1, v[10:11], off
	s_mov_b32 s18, 0
	s_mov_b32 s20, -1
	s_wait_loadcnt 0x0
	v_lshlrev_b32_e32 v3, 23, v1
	v_cmp_ne_u32_e32 vcc_lo, 0, v1
	s_delay_alu instid0(VALU_DEP_2) | instskip(NEXT) | instid1(VALU_DEP_1)
	v_cvt_i32_f32_e32 v3, v3
	v_cndmask_b32_e32 v4, 0, v3, vcc_lo
	s_branch .LBB38_1904
.LBB38_1903:
	s_mov_b32 s18, -1
                                        ; implicit-def: $vgpr4
.LBB38_1904:
	s_mov_b32 s21, 0
.LBB38_1905:
	s_delay_alu instid0(SALU_CYCLE_1)
	s_and_b32 vcc_lo, exec_lo, s21
	s_cbranch_vccz .LBB38_1909
; %bb.1906:
	s_cmp_eq_u32 s12, 29
	s_cbranch_scc0 .LBB38_1908
; %bb.1907:
	global_load_b64 v[4:5], v[10:11], off
	s_mov_b32 s18, 0
	s_mov_b32 s20, -1
	s_branch .LBB38_1909
.LBB38_1908:
	s_mov_b32 s18, -1
                                        ; implicit-def: $vgpr4
.LBB38_1909:
	s_mov_b32 s21, 0
.LBB38_1910:
	s_delay_alu instid0(SALU_CYCLE_1)
	s_and_b32 vcc_lo, exec_lo, s21
	s_cbranch_vccz .LBB38_1926
; %bb.1911:
	s_cmp_lt_i32 s12, 27
	s_cbranch_scc1 .LBB38_1914
; %bb.1912:
	s_cmp_gt_i32 s12, 27
	s_cbranch_scc0 .LBB38_1915
; %bb.1913:
	s_wait_loadcnt 0x0
	global_load_b32 v4, v[10:11], off
	s_mov_b32 s20, 0
	s_branch .LBB38_1916
.LBB38_1914:
	s_mov_b32 s20, -1
                                        ; implicit-def: $vgpr4
	s_branch .LBB38_1919
.LBB38_1915:
	s_mov_b32 s20, -1
                                        ; implicit-def: $vgpr4
.LBB38_1916:
	s_delay_alu instid0(SALU_CYCLE_1)
	s_and_not1_b32 vcc_lo, exec_lo, s20
	s_cbranch_vccnz .LBB38_1918
; %bb.1917:
	s_wait_loadcnt 0x0
	global_load_u16 v4, v[10:11], off
.LBB38_1918:
	s_mov_b32 s20, 0
.LBB38_1919:
	s_delay_alu instid0(SALU_CYCLE_1)
	s_and_not1_b32 vcc_lo, exec_lo, s20
	s_cbranch_vccnz .LBB38_1925
; %bb.1920:
	s_wait_loadcnt 0x0
	global_load_u8 v1, v[10:11], off
	s_mov_b32 s21, 0
	s_mov_b32 s20, exec_lo
	s_wait_loadcnt 0x0
	v_cmpx_lt_i16_e32 0x7f, v1
	s_xor_b32 s20, exec_lo, s20
	s_cbranch_execz .LBB38_1937
; %bb.1921:
	v_cmp_ne_u16_e32 vcc_lo, 0x80, v1
	s_and_b32 s21, vcc_lo, exec_lo
	s_and_not1_saveexec_b32 s20, s20
	s_cbranch_execnz .LBB38_1938
.LBB38_1922:
	s_or_b32 exec_lo, exec_lo, s20
	v_mov_b32_e32 v4, 0
	s_and_saveexec_b32 s20, s21
	s_cbranch_execz .LBB38_1924
.LBB38_1923:
	v_and_b32_e32 v3, 0xffff, v1
	s_delay_alu instid0(VALU_DEP_1) | instskip(SKIP_1) | instid1(VALU_DEP_2)
	v_and_b32_e32 v4, 7, v3
	v_bfe_u32 v9, v3, 3, 4
	v_clz_i32_u32_e32 v5, v4
	s_delay_alu instid0(VALU_DEP_2) | instskip(NEXT) | instid1(VALU_DEP_2)
	v_cmp_eq_u32_e32 vcc_lo, 0, v9
	v_min_u32_e32 v5, 32, v5
	s_delay_alu instid0(VALU_DEP_1) | instskip(NEXT) | instid1(VALU_DEP_1)
	v_subrev_nc_u32_e32 v7, 28, v5
	v_dual_lshlrev_b32 v3, v7, v3 :: v_dual_sub_nc_u32 v5, 29, v5
	s_delay_alu instid0(VALU_DEP_1) | instskip(NEXT) | instid1(VALU_DEP_1)
	v_dual_lshlrev_b32 v1, 24, v1 :: v_dual_bitop2_b32 v3, 7, v3 bitop3:0x40
	v_dual_cndmask_b32 v3, v4, v3, vcc_lo :: v_dual_cndmask_b32 v5, v9, v5, vcc_lo
	s_delay_alu instid0(VALU_DEP_2) | instskip(NEXT) | instid1(VALU_DEP_2)
	v_and_b32_e32 v1, 0x80000000, v1
	v_lshlrev_b32_e32 v3, 20, v3
	s_delay_alu instid0(VALU_DEP_3) | instskip(NEXT) | instid1(VALU_DEP_1)
	v_lshl_add_u32 v4, v5, 23, 0x3b800000
	v_or3_b32 v1, v1, v4, v3
	s_delay_alu instid0(VALU_DEP_1)
	v_cvt_i32_f32_e32 v4, v1
.LBB38_1924:
	s_or_b32 exec_lo, exec_lo, s20
.LBB38_1925:
	s_mov_b32 s20, -1
.LBB38_1926:
	s_mov_b32 s21, 0
.LBB38_1927:
	s_delay_alu instid0(SALU_CYCLE_1)
	s_and_b32 vcc_lo, exec_lo, s21
	s_cbranch_vccz .LBB38_1958
; %bb.1928:
	s_cmp_gt_i32 s12, 22
	s_cbranch_scc0 .LBB38_1936
; %bb.1929:
	s_cmp_lt_i32 s12, 24
	s_cbranch_scc1 .LBB38_1939
; %bb.1930:
	s_cmp_gt_i32 s12, 24
	s_cbranch_scc0 .LBB38_1940
; %bb.1931:
	s_wait_loadcnt 0x0
	global_load_u8 v1, v[10:11], off
	s_mov_b32 s20, 0
	s_mov_b32 s19, exec_lo
	s_wait_loadcnt 0x0
	v_cmpx_lt_i16_e32 0x7f, v1
	s_xor_b32 s19, exec_lo, s19
	s_cbranch_execz .LBB38_1952
; %bb.1932:
	v_cmp_ne_u16_e32 vcc_lo, 0x80, v1
	s_and_b32 s20, vcc_lo, exec_lo
	s_and_not1_saveexec_b32 s19, s19
	s_cbranch_execnz .LBB38_1953
.LBB38_1933:
	s_or_b32 exec_lo, exec_lo, s19
	v_mov_b32_e32 v4, 0
	s_and_saveexec_b32 s19, s20
	s_cbranch_execz .LBB38_1935
.LBB38_1934:
	v_and_b32_e32 v3, 0xffff, v1
	s_delay_alu instid0(VALU_DEP_1) | instskip(SKIP_1) | instid1(VALU_DEP_2)
	v_and_b32_e32 v4, 3, v3
	v_bfe_u32 v9, v3, 2, 5
	v_clz_i32_u32_e32 v5, v4
	s_delay_alu instid0(VALU_DEP_2) | instskip(NEXT) | instid1(VALU_DEP_2)
	v_cmp_eq_u32_e32 vcc_lo, 0, v9
	v_min_u32_e32 v5, 32, v5
	s_delay_alu instid0(VALU_DEP_1) | instskip(NEXT) | instid1(VALU_DEP_1)
	v_subrev_nc_u32_e32 v7, 29, v5
	v_dual_lshlrev_b32 v3, v7, v3 :: v_dual_sub_nc_u32 v5, 30, v5
	s_delay_alu instid0(VALU_DEP_1) | instskip(NEXT) | instid1(VALU_DEP_1)
	v_dual_lshlrev_b32 v1, 24, v1 :: v_dual_bitop2_b32 v3, 3, v3 bitop3:0x40
	v_dual_cndmask_b32 v3, v4, v3, vcc_lo :: v_dual_cndmask_b32 v5, v9, v5, vcc_lo
	s_delay_alu instid0(VALU_DEP_2) | instskip(NEXT) | instid1(VALU_DEP_2)
	v_and_b32_e32 v1, 0x80000000, v1
	v_lshlrev_b32_e32 v3, 21, v3
	s_delay_alu instid0(VALU_DEP_3) | instskip(NEXT) | instid1(VALU_DEP_1)
	v_lshl_add_u32 v4, v5, 23, 0x37800000
	v_or3_b32 v1, v1, v4, v3
	s_delay_alu instid0(VALU_DEP_1)
	v_cvt_i32_f32_e32 v4, v1
.LBB38_1935:
	s_or_b32 exec_lo, exec_lo, s19
	s_mov_b32 s19, 0
	s_branch .LBB38_1941
.LBB38_1936:
	s_mov_b32 s19, -1
                                        ; implicit-def: $vgpr4
	s_branch .LBB38_1947
.LBB38_1937:
	s_and_not1_saveexec_b32 s20, s20
	s_cbranch_execz .LBB38_1922
.LBB38_1938:
	v_cmp_ne_u16_e32 vcc_lo, 0, v1
	s_and_not1_b32 s21, s21, exec_lo
	s_and_b32 s22, vcc_lo, exec_lo
	s_delay_alu instid0(SALU_CYCLE_1)
	s_or_b32 s21, s21, s22
	s_or_b32 exec_lo, exec_lo, s20
	v_mov_b32_e32 v4, 0
	s_and_saveexec_b32 s20, s21
	s_cbranch_execnz .LBB38_1923
	s_branch .LBB38_1924
.LBB38_1939:
	s_mov_b32 s19, -1
                                        ; implicit-def: $vgpr4
	s_branch .LBB38_1944
.LBB38_1940:
	s_mov_b32 s19, -1
                                        ; implicit-def: $vgpr4
.LBB38_1941:
	s_delay_alu instid0(SALU_CYCLE_1)
	s_and_b32 vcc_lo, exec_lo, s19
	s_cbranch_vccz .LBB38_1943
; %bb.1942:
	s_wait_loadcnt 0x0
	global_load_u8 v1, v[10:11], off
	s_wait_loadcnt 0x0
	v_lshlrev_b32_e32 v1, 24, v1
	s_delay_alu instid0(VALU_DEP_1) | instskip(NEXT) | instid1(VALU_DEP_1)
	v_and_b32_e32 v3, 0x7f000000, v1
	v_clz_i32_u32_e32 v4, v3
	v_add_nc_u32_e32 v7, 0x1000000, v3
	v_cmp_ne_u32_e32 vcc_lo, 0, v3
	s_delay_alu instid0(VALU_DEP_3) | instskip(NEXT) | instid1(VALU_DEP_1)
	v_min_u32_e32 v4, 32, v4
	v_sub_nc_u32_e64 v4, v4, 4 clamp
	s_delay_alu instid0(VALU_DEP_1) | instskip(NEXT) | instid1(VALU_DEP_1)
	v_dual_lshlrev_b32 v5, v4, v3 :: v_dual_lshlrev_b32 v4, 23, v4
	v_lshrrev_b32_e32 v5, 4, v5
	s_delay_alu instid0(VALU_DEP_1) | instskip(NEXT) | instid1(VALU_DEP_1)
	v_dual_sub_nc_u32 v4, v5, v4 :: v_dual_ashrrev_i32 v5, 8, v7
	v_add_nc_u32_e32 v4, 0x3c000000, v4
	s_delay_alu instid0(VALU_DEP_1) | instskip(NEXT) | instid1(VALU_DEP_1)
	v_and_or_b32 v4, 0x7f800000, v5, v4
	v_cndmask_b32_e32 v3, 0, v4, vcc_lo
	s_delay_alu instid0(VALU_DEP_1) | instskip(NEXT) | instid1(VALU_DEP_1)
	v_and_or_b32 v1, 0x80000000, v1, v3
	v_cvt_i32_f32_e32 v4, v1
.LBB38_1943:
	s_mov_b32 s19, 0
.LBB38_1944:
	s_delay_alu instid0(SALU_CYCLE_1)
	s_and_not1_b32 vcc_lo, exec_lo, s19
	s_cbranch_vccnz .LBB38_1946
; %bb.1945:
	s_wait_loadcnt 0x0
	global_load_u8 v1, v[10:11], off
	s_wait_loadcnt 0x0
	v_lshlrev_b32_e32 v3, 25, v1
	v_lshlrev_b16 v1, 8, v1
	s_delay_alu instid0(VALU_DEP_1) | instskip(NEXT) | instid1(VALU_DEP_3)
	v_and_or_b32 v5, 0x7f00, v1, 0.5
	v_lshrrev_b32_e32 v4, 4, v3
	v_bfe_i32 v1, v1, 0, 16
	s_delay_alu instid0(VALU_DEP_3) | instskip(NEXT) | instid1(VALU_DEP_3)
	v_add_f32_e32 v5, -0.5, v5
	v_or_b32_e32 v4, 0x70000000, v4
	s_delay_alu instid0(VALU_DEP_1) | instskip(SKIP_1) | instid1(VALU_DEP_2)
	v_mul_f32_e32 v4, 0x7800000, v4
	v_cmp_gt_u32_e32 vcc_lo, 0x8000000, v3
	v_cndmask_b32_e32 v3, v4, v5, vcc_lo
	s_delay_alu instid0(VALU_DEP_1) | instskip(NEXT) | instid1(VALU_DEP_1)
	v_and_or_b32 v1, 0x80000000, v1, v3
	v_cvt_i32_f32_e32 v4, v1
.LBB38_1946:
	s_mov_b32 s19, 0
	s_mov_b32 s20, -1
.LBB38_1947:
	s_and_not1_b32 vcc_lo, exec_lo, s19
	s_mov_b32 s19, 0
	s_cbranch_vccnz .LBB38_1958
; %bb.1948:
	s_cmp_gt_i32 s12, 14
	s_cbranch_scc0 .LBB38_1951
; %bb.1949:
	s_cmp_eq_u32 s12, 15
	s_cbranch_scc0 .LBB38_1954
; %bb.1950:
	s_wait_loadcnt 0x0
	global_load_u16 v1, v[10:11], off
	s_mov_b32 s18, 0
	s_mov_b32 s20, -1
	s_wait_loadcnt 0x0
	v_lshlrev_b32_e32 v1, 16, v1
	s_delay_alu instid0(VALU_DEP_1)
	v_cvt_i32_f32_e32 v4, v1
	s_branch .LBB38_1956
.LBB38_1951:
	s_mov_b32 s19, -1
	s_branch .LBB38_1955
.LBB38_1952:
	s_and_not1_saveexec_b32 s19, s19
	s_cbranch_execz .LBB38_1933
.LBB38_1953:
	v_cmp_ne_u16_e32 vcc_lo, 0, v1
	s_and_not1_b32 s20, s20, exec_lo
	s_and_b32 s21, vcc_lo, exec_lo
	s_delay_alu instid0(SALU_CYCLE_1)
	s_or_b32 s20, s20, s21
	s_or_b32 exec_lo, exec_lo, s19
	v_mov_b32_e32 v4, 0
	s_and_saveexec_b32 s19, s20
	s_cbranch_execnz .LBB38_1934
	s_branch .LBB38_1935
.LBB38_1954:
	s_mov_b32 s18, -1
.LBB38_1955:
                                        ; implicit-def: $vgpr4
.LBB38_1956:
	s_and_b32 vcc_lo, exec_lo, s19
	s_mov_b32 s19, 0
	s_cbranch_vccz .LBB38_1958
; %bb.1957:
	s_cmp_lg_u32 s12, 11
	s_mov_b32 s19, -1
	s_cselect_b32 s18, -1, 0
.LBB38_1958:
	s_delay_alu instid0(SALU_CYCLE_1)
	s_and_b32 vcc_lo, exec_lo, s18
	s_cbranch_vccnz .LBB38_2023
; %bb.1959:
	s_and_not1_b32 vcc_lo, exec_lo, s19
	s_cbranch_vccnz .LBB38_1961
.LBB38_1960:
	s_wait_loadcnt 0x0
	global_load_u8 v1, v[10:11], off
	s_mov_b32 s20, -1
	s_wait_loadcnt 0x0
	v_cmp_ne_u16_e32 vcc_lo, 0, v1
	v_cndmask_b32_e64 v4, 0, 1, vcc_lo
.LBB38_1961:
	s_mov_b32 s12, 0
.LBB38_1962:
	s_delay_alu instid0(SALU_CYCLE_1)
	s_and_b32 vcc_lo, exec_lo, s12
	s_cbranch_vccz .LBB38_2011
; %bb.1963:
	s_and_b32 s12, 0xffff, s0
	s_delay_alu instid0(SALU_CYCLE_1)
	s_cmp_lt_i32 s12, 5
	s_cbranch_scc1 .LBB38_1968
; %bb.1964:
	s_cmp_lt_i32 s12, 8
	s_cbranch_scc1 .LBB38_1969
; %bb.1965:
	;; [unrolled: 3-line block ×3, first 2 shown]
	s_cmp_gt_i32 s12, 9
	s_cbranch_scc0 .LBB38_1971
; %bb.1967:
	s_wait_loadcnt 0x0
	global_load_b64 v[4:5], v[10:11], off
	s_mov_b32 s18, 0
	s_wait_loadcnt 0x0
	v_cvt_i32_f64_e32 v4, v[4:5]
	s_branch .LBB38_1972
.LBB38_1968:
	s_mov_b32 s18, -1
                                        ; implicit-def: $vgpr4
	s_branch .LBB38_1990
.LBB38_1969:
	s_mov_b32 s18, -1
                                        ; implicit-def: $vgpr4
	s_branch .LBB38_1978
.LBB38_1970:
	s_mov_b32 s18, -1
                                        ; implicit-def: $vgpr4
	s_branch .LBB38_1975
.LBB38_1971:
	s_mov_b32 s18, -1
                                        ; implicit-def: $vgpr4
.LBB38_1972:
	s_delay_alu instid0(SALU_CYCLE_1)
	s_and_not1_b32 vcc_lo, exec_lo, s18
	s_cbranch_vccnz .LBB38_1974
; %bb.1973:
	s_wait_loadcnt 0x0
	global_load_b32 v1, v[10:11], off
	s_wait_loadcnt 0x0
	v_cvt_i32_f32_e32 v4, v1
.LBB38_1974:
	s_mov_b32 s18, 0
.LBB38_1975:
	s_delay_alu instid0(SALU_CYCLE_1)
	s_and_not1_b32 vcc_lo, exec_lo, s18
	s_cbranch_vccnz .LBB38_1977
; %bb.1976:
	s_wait_loadcnt 0x0
	global_load_b32 v1, v[10:11], off
	s_wait_loadcnt 0x0
	v_cvt_i16_f16_e32 v4, v1
.LBB38_1977:
	s_mov_b32 s18, 0
.LBB38_1978:
	s_delay_alu instid0(SALU_CYCLE_1)
	s_and_not1_b32 vcc_lo, exec_lo, s18
	s_cbranch_vccnz .LBB38_1989
; %bb.1979:
	s_cmp_lt_i32 s12, 6
	s_cbranch_scc1 .LBB38_1982
; %bb.1980:
	s_cmp_gt_i32 s12, 6
	s_cbranch_scc0 .LBB38_1983
; %bb.1981:
	s_wait_loadcnt 0x0
	global_load_b64 v[4:5], v[10:11], off
	s_mov_b32 s18, 0
	s_wait_loadcnt 0x0
	v_cvt_i32_f64_e32 v4, v[4:5]
	s_branch .LBB38_1984
.LBB38_1982:
	s_mov_b32 s18, -1
                                        ; implicit-def: $vgpr4
	s_branch .LBB38_1987
.LBB38_1983:
	s_mov_b32 s18, -1
                                        ; implicit-def: $vgpr4
.LBB38_1984:
	s_delay_alu instid0(SALU_CYCLE_1)
	s_and_not1_b32 vcc_lo, exec_lo, s18
	s_cbranch_vccnz .LBB38_1986
; %bb.1985:
	s_wait_loadcnt 0x0
	global_load_b32 v1, v[10:11], off
	s_wait_loadcnt 0x0
	v_cvt_i32_f32_e32 v4, v1
.LBB38_1986:
	s_mov_b32 s18, 0
.LBB38_1987:
	s_delay_alu instid0(SALU_CYCLE_1)
	s_and_not1_b32 vcc_lo, exec_lo, s18
	s_cbranch_vccnz .LBB38_1989
; %bb.1988:
	s_wait_loadcnt 0x0
	global_load_u16 v1, v[10:11], off
	s_wait_loadcnt 0x0
	v_cvt_i16_f16_e32 v4, v1
.LBB38_1989:
	s_mov_b32 s18, 0
.LBB38_1990:
	s_delay_alu instid0(SALU_CYCLE_1)
	s_and_not1_b32 vcc_lo, exec_lo, s18
	s_cbranch_vccnz .LBB38_2010
; %bb.1991:
	s_cmp_lt_i32 s12, 2
	s_cbranch_scc1 .LBB38_1995
; %bb.1992:
	s_cmp_lt_i32 s12, 3
	s_cbranch_scc1 .LBB38_1996
; %bb.1993:
	s_cmp_gt_i32 s12, 3
	s_cbranch_scc0 .LBB38_1997
; %bb.1994:
	s_wait_loadcnt 0x0
	global_load_b64 v[4:5], v[10:11], off
	s_mov_b32 s18, 0
	s_branch .LBB38_1998
.LBB38_1995:
	s_mov_b32 s18, -1
                                        ; implicit-def: $vgpr4
	s_branch .LBB38_2004
.LBB38_1996:
	s_mov_b32 s18, -1
                                        ; implicit-def: $vgpr4
	s_branch .LBB38_2001
.LBB38_1997:
	s_mov_b32 s18, -1
                                        ; implicit-def: $vgpr4
.LBB38_1998:
	s_delay_alu instid0(SALU_CYCLE_1)
	s_and_not1_b32 vcc_lo, exec_lo, s18
	s_cbranch_vccnz .LBB38_2000
; %bb.1999:
	s_wait_loadcnt 0x0
	global_load_b32 v4, v[10:11], off
.LBB38_2000:
	s_mov_b32 s18, 0
.LBB38_2001:
	s_delay_alu instid0(SALU_CYCLE_1)
	s_and_not1_b32 vcc_lo, exec_lo, s18
	s_cbranch_vccnz .LBB38_2003
; %bb.2002:
	s_wait_loadcnt 0x0
	global_load_u16 v4, v[10:11], off
.LBB38_2003:
	s_mov_b32 s18, 0
.LBB38_2004:
	s_delay_alu instid0(SALU_CYCLE_1)
	s_and_not1_b32 vcc_lo, exec_lo, s18
	s_cbranch_vccnz .LBB38_2010
; %bb.2005:
	s_cmp_gt_i32 s12, 0
	s_mov_b32 s12, 0
	s_cbranch_scc0 .LBB38_2007
; %bb.2006:
	s_wait_loadcnt 0x0
	global_load_u8 v4, v[10:11], off
	s_branch .LBB38_2008
.LBB38_2007:
	s_mov_b32 s12, -1
                                        ; implicit-def: $vgpr4
.LBB38_2008:
	s_delay_alu instid0(SALU_CYCLE_1)
	s_and_not1_b32 vcc_lo, exec_lo, s12
	s_cbranch_vccnz .LBB38_2010
; %bb.2009:
	s_wait_loadcnt 0x0
	global_load_u8 v4, v[10:11], off
.LBB38_2010:
	s_mov_b32 s20, -1
.LBB38_2011:
	s_delay_alu instid0(SALU_CYCLE_1)
	s_and_not1_b32 vcc_lo, exec_lo, s20
	s_cbranch_vccnz .LBB38_3126
; %bb.2012:
	s_lshl_b32 s5, s5, 7
	s_cmp_lt_i32 s7, 11
	s_wait_xcnt 0x0
	v_add_nc_u32_e32 v10, s5, v6
	s_delay_alu instid0(VALU_DEP_1) | instskip(NEXT) | instid1(VALU_DEP_1)
	v_ashrrev_i32_e32 v11, 31, v10
	v_add_nc_u64_e32 v[12:13], s[10:11], v[10:11]
	s_cbranch_scc1 .LBB38_2019
; %bb.2013:
	s_and_b32 s12, 0xffff, s7
	s_mov_b32 s19, 0
	s_cmp_gt_i32 s12, 25
	s_cbranch_scc0 .LBB38_2020
; %bb.2014:
	s_cmp_gt_i32 s12, 28
	s_cbranch_scc0 .LBB38_2021
; %bb.2015:
	;; [unrolled: 3-line block ×4, first 2 shown]
	s_cmp_eq_u32 s12, 46
	s_mov_b32 s21, 0
	s_cbranch_scc0 .LBB38_2027
; %bb.2018:
	s_wait_loadcnt 0x0
	global_load_b32 v1, v[12:13], off
	s_mov_b32 s18, 0
	s_mov_b32 s20, -1
	s_wait_loadcnt 0x0
	v_lshlrev_b32_e32 v1, 16, v1
	s_delay_alu instid0(VALU_DEP_1)
	v_cvt_i32_f32_e32 v6, v1
	s_branch .LBB38_2029
.LBB38_2019:
	s_mov_b32 s12, -1
	s_mov_b32 s20, 0
                                        ; implicit-def: $vgpr6
	s_branch .LBB38_2091
.LBB38_2020:
	s_mov_b32 s21, -1
	s_mov_b32 s20, 0
	s_mov_b32 s18, 0
                                        ; implicit-def: $vgpr6
	s_branch .LBB38_2056
.LBB38_2021:
	s_mov_b32 s21, -1
	s_mov_b32 s20, 0
	s_mov_b32 s18, 0
                                        ; implicit-def: $vgpr6
	s_branch .LBB38_2039
.LBB38_2022:
	s_mov_b32 s21, -1
	s_mov_b32 s20, 0
	s_mov_b32 s18, 0
                                        ; implicit-def: $vgpr6
	s_branch .LBB38_2034
.LBB38_2023:
	s_or_b32 s13, s13, exec_lo
	s_trap 2
	s_cbranch_execz .LBB38_1960
	s_branch .LBB38_1961
.LBB38_2024:
	s_mov_b32 s21, -1
	s_mov_b32 s20, 0
	s_mov_b32 s18, 0
	s_branch .LBB38_2028
.LBB38_2025:
	s_and_not1_saveexec_b32 s37, s37
	s_cbranch_execz .LBB38_1106
.LBB38_2026:
	v_add_f32_e64 v4, 0x46000000, |v3|
	s_and_not1_b32 s36, s36, exec_lo
	s_delay_alu instid0(VALU_DEP_1) | instskip(NEXT) | instid1(VALU_DEP_1)
	v_and_b32_e32 v4, 0xff, v4
	v_cmp_ne_u32_e32 vcc_lo, 0, v4
	s_and_b32 s38, vcc_lo, exec_lo
	s_delay_alu instid0(SALU_CYCLE_1)
	s_or_b32 s36, s36, s38
	s_or_b32 exec_lo, exec_lo, s37
	v_mov_b32_e32 v5, 0
	s_and_saveexec_b32 s37, s36
	s_cbranch_execnz .LBB38_1107
	s_branch .LBB38_1108
.LBB38_2027:
	s_mov_b32 s18, -1
	s_mov_b32 s20, 0
.LBB38_2028:
                                        ; implicit-def: $vgpr6
.LBB38_2029:
	s_and_b32 vcc_lo, exec_lo, s21
	s_cbranch_vccz .LBB38_2033
; %bb.2030:
	s_cmp_eq_u32 s12, 44
	s_cbranch_scc0 .LBB38_2032
; %bb.2031:
	s_wait_loadcnt 0x0
	global_load_u8 v1, v[12:13], off
	s_mov_b32 s18, 0
	s_mov_b32 s20, -1
	s_wait_loadcnt 0x0
	v_lshlrev_b32_e32 v3, 23, v1
	v_cmp_ne_u32_e32 vcc_lo, 0, v1
	s_delay_alu instid0(VALU_DEP_2) | instskip(NEXT) | instid1(VALU_DEP_1)
	v_cvt_i32_f32_e32 v3, v3
	v_cndmask_b32_e32 v6, 0, v3, vcc_lo
	s_branch .LBB38_2033
.LBB38_2032:
	s_mov_b32 s18, -1
                                        ; implicit-def: $vgpr6
.LBB38_2033:
	s_mov_b32 s21, 0
.LBB38_2034:
	s_delay_alu instid0(SALU_CYCLE_1)
	s_and_b32 vcc_lo, exec_lo, s21
	s_cbranch_vccz .LBB38_2038
; %bb.2035:
	s_cmp_eq_u32 s12, 29
	s_cbranch_scc0 .LBB38_2037
; %bb.2036:
	global_load_b64 v[6:7], v[12:13], off
	s_mov_b32 s18, 0
	s_mov_b32 s20, -1
	s_branch .LBB38_2038
.LBB38_2037:
	s_mov_b32 s18, -1
                                        ; implicit-def: $vgpr6
.LBB38_2038:
	s_mov_b32 s21, 0
.LBB38_2039:
	s_delay_alu instid0(SALU_CYCLE_1)
	s_and_b32 vcc_lo, exec_lo, s21
	s_cbranch_vccz .LBB38_2055
; %bb.2040:
	s_cmp_lt_i32 s12, 27
	s_cbranch_scc1 .LBB38_2043
; %bb.2041:
	s_cmp_gt_i32 s12, 27
	s_cbranch_scc0 .LBB38_2044
; %bb.2042:
	s_wait_loadcnt 0x0
	global_load_b32 v6, v[12:13], off
	s_mov_b32 s20, 0
	s_branch .LBB38_2045
.LBB38_2043:
	s_mov_b32 s20, -1
                                        ; implicit-def: $vgpr6
	s_branch .LBB38_2048
.LBB38_2044:
	s_mov_b32 s20, -1
                                        ; implicit-def: $vgpr6
.LBB38_2045:
	s_delay_alu instid0(SALU_CYCLE_1)
	s_and_not1_b32 vcc_lo, exec_lo, s20
	s_cbranch_vccnz .LBB38_2047
; %bb.2046:
	s_wait_loadcnt 0x0
	global_load_u16 v6, v[12:13], off
.LBB38_2047:
	s_mov_b32 s20, 0
.LBB38_2048:
	s_delay_alu instid0(SALU_CYCLE_1)
	s_and_not1_b32 vcc_lo, exec_lo, s20
	s_cbranch_vccnz .LBB38_2054
; %bb.2049:
	s_wait_loadcnt 0x0
	global_load_u8 v1, v[12:13], off
	s_mov_b32 s21, 0
	s_mov_b32 s20, exec_lo
	s_wait_loadcnt 0x0
	v_cmpx_lt_i16_e32 0x7f, v1
	s_xor_b32 s20, exec_lo, s20
	s_cbranch_execz .LBB38_2066
; %bb.2050:
	v_cmp_ne_u16_e32 vcc_lo, 0x80, v1
	s_and_b32 s21, vcc_lo, exec_lo
	s_and_not1_saveexec_b32 s20, s20
	s_cbranch_execnz .LBB38_2067
.LBB38_2051:
	s_or_b32 exec_lo, exec_lo, s20
	v_mov_b32_e32 v6, 0
	s_and_saveexec_b32 s20, s21
	s_cbranch_execz .LBB38_2053
.LBB38_2052:
	v_and_b32_e32 v3, 0xffff, v1
	s_delay_alu instid0(VALU_DEP_1) | instskip(SKIP_1) | instid1(VALU_DEP_2)
	v_and_b32_e32 v5, 7, v3
	v_bfe_u32 v9, v3, 3, 4
	v_clz_i32_u32_e32 v6, v5
	s_delay_alu instid0(VALU_DEP_2) | instskip(NEXT) | instid1(VALU_DEP_2)
	v_cmp_eq_u32_e32 vcc_lo, 0, v9
	v_min_u32_e32 v6, 32, v6
	s_delay_alu instid0(VALU_DEP_1) | instskip(NEXT) | instid1(VALU_DEP_1)
	v_subrev_nc_u32_e32 v7, 28, v6
	v_dual_lshlrev_b32 v3, v7, v3 :: v_dual_sub_nc_u32 v6, 29, v6
	s_delay_alu instid0(VALU_DEP_1) | instskip(NEXT) | instid1(VALU_DEP_2)
	v_dual_lshlrev_b32 v1, 24, v1 :: v_dual_bitop2_b32 v3, 7, v3 bitop3:0x40
	v_cndmask_b32_e32 v6, v9, v6, vcc_lo
	s_delay_alu instid0(VALU_DEP_2) | instskip(NEXT) | instid1(VALU_DEP_3)
	v_cndmask_b32_e32 v3, v5, v3, vcc_lo
	v_and_b32_e32 v1, 0x80000000, v1
	s_delay_alu instid0(VALU_DEP_3) | instskip(NEXT) | instid1(VALU_DEP_3)
	v_lshl_add_u32 v5, v6, 23, 0x3b800000
	v_lshlrev_b32_e32 v3, 20, v3
	s_delay_alu instid0(VALU_DEP_1) | instskip(NEXT) | instid1(VALU_DEP_1)
	v_or3_b32 v1, v1, v5, v3
	v_cvt_i32_f32_e32 v6, v1
.LBB38_2053:
	s_or_b32 exec_lo, exec_lo, s20
.LBB38_2054:
	s_mov_b32 s20, -1
.LBB38_2055:
	s_mov_b32 s21, 0
.LBB38_2056:
	s_delay_alu instid0(SALU_CYCLE_1)
	s_and_b32 vcc_lo, exec_lo, s21
	s_cbranch_vccz .LBB38_2087
; %bb.2057:
	s_cmp_gt_i32 s12, 22
	s_cbranch_scc0 .LBB38_2065
; %bb.2058:
	s_cmp_lt_i32 s12, 24
	s_cbranch_scc1 .LBB38_2068
; %bb.2059:
	s_cmp_gt_i32 s12, 24
	s_cbranch_scc0 .LBB38_2069
; %bb.2060:
	s_wait_loadcnt 0x0
	global_load_u8 v1, v[12:13], off
	s_mov_b32 s20, 0
	s_mov_b32 s19, exec_lo
	s_wait_loadcnt 0x0
	v_cmpx_lt_i16_e32 0x7f, v1
	s_xor_b32 s19, exec_lo, s19
	s_cbranch_execz .LBB38_2081
; %bb.2061:
	v_cmp_ne_u16_e32 vcc_lo, 0x80, v1
	s_and_b32 s20, vcc_lo, exec_lo
	s_and_not1_saveexec_b32 s19, s19
	s_cbranch_execnz .LBB38_2082
.LBB38_2062:
	s_or_b32 exec_lo, exec_lo, s19
	v_mov_b32_e32 v6, 0
	s_and_saveexec_b32 s19, s20
	s_cbranch_execz .LBB38_2064
.LBB38_2063:
	v_and_b32_e32 v3, 0xffff, v1
	s_delay_alu instid0(VALU_DEP_1) | instskip(SKIP_1) | instid1(VALU_DEP_2)
	v_and_b32_e32 v5, 3, v3
	v_bfe_u32 v9, v3, 2, 5
	v_clz_i32_u32_e32 v6, v5
	s_delay_alu instid0(VALU_DEP_2) | instskip(NEXT) | instid1(VALU_DEP_2)
	v_cmp_eq_u32_e32 vcc_lo, 0, v9
	v_min_u32_e32 v6, 32, v6
	s_delay_alu instid0(VALU_DEP_1) | instskip(NEXT) | instid1(VALU_DEP_1)
	v_subrev_nc_u32_e32 v7, 29, v6
	v_dual_lshlrev_b32 v3, v7, v3 :: v_dual_sub_nc_u32 v6, 30, v6
	s_delay_alu instid0(VALU_DEP_1) | instskip(NEXT) | instid1(VALU_DEP_2)
	v_dual_lshlrev_b32 v1, 24, v1 :: v_dual_bitop2_b32 v3, 3, v3 bitop3:0x40
	v_cndmask_b32_e32 v6, v9, v6, vcc_lo
	s_delay_alu instid0(VALU_DEP_2) | instskip(NEXT) | instid1(VALU_DEP_3)
	v_cndmask_b32_e32 v3, v5, v3, vcc_lo
	v_and_b32_e32 v1, 0x80000000, v1
	s_delay_alu instid0(VALU_DEP_3) | instskip(NEXT) | instid1(VALU_DEP_3)
	v_lshl_add_u32 v5, v6, 23, 0x37800000
	v_lshlrev_b32_e32 v3, 21, v3
	s_delay_alu instid0(VALU_DEP_1) | instskip(NEXT) | instid1(VALU_DEP_1)
	v_or3_b32 v1, v1, v5, v3
	v_cvt_i32_f32_e32 v6, v1
.LBB38_2064:
	s_or_b32 exec_lo, exec_lo, s19
	s_mov_b32 s19, 0
	s_branch .LBB38_2070
.LBB38_2065:
	s_mov_b32 s19, -1
                                        ; implicit-def: $vgpr6
	s_branch .LBB38_2076
.LBB38_2066:
	s_and_not1_saveexec_b32 s20, s20
	s_cbranch_execz .LBB38_2051
.LBB38_2067:
	v_cmp_ne_u16_e32 vcc_lo, 0, v1
	s_and_not1_b32 s21, s21, exec_lo
	s_and_b32 s22, vcc_lo, exec_lo
	s_delay_alu instid0(SALU_CYCLE_1)
	s_or_b32 s21, s21, s22
	s_or_b32 exec_lo, exec_lo, s20
	v_mov_b32_e32 v6, 0
	s_and_saveexec_b32 s20, s21
	s_cbranch_execnz .LBB38_2052
	s_branch .LBB38_2053
.LBB38_2068:
	s_mov_b32 s19, -1
                                        ; implicit-def: $vgpr6
	s_branch .LBB38_2073
.LBB38_2069:
	s_mov_b32 s19, -1
                                        ; implicit-def: $vgpr6
.LBB38_2070:
	s_delay_alu instid0(SALU_CYCLE_1)
	s_and_b32 vcc_lo, exec_lo, s19
	s_cbranch_vccz .LBB38_2072
; %bb.2071:
	s_wait_loadcnt 0x0
	global_load_u8 v1, v[12:13], off
	s_wait_loadcnt 0x0
	v_lshlrev_b32_e32 v1, 24, v1
	s_delay_alu instid0(VALU_DEP_1) | instskip(NEXT) | instid1(VALU_DEP_1)
	v_and_b32_e32 v3, 0x7f000000, v1
	v_clz_i32_u32_e32 v5, v3
	v_add_nc_u32_e32 v7, 0x1000000, v3
	v_cmp_ne_u32_e32 vcc_lo, 0, v3
	s_delay_alu instid0(VALU_DEP_3) | instskip(NEXT) | instid1(VALU_DEP_1)
	v_min_u32_e32 v5, 32, v5
	v_sub_nc_u32_e64 v5, v5, 4 clamp
	s_delay_alu instid0(VALU_DEP_1) | instskip(NEXT) | instid1(VALU_DEP_1)
	v_dual_lshlrev_b32 v6, v5, v3 :: v_dual_lshlrev_b32 v5, 23, v5
	v_lshrrev_b32_e32 v6, 4, v6
	s_delay_alu instid0(VALU_DEP_1) | instskip(NEXT) | instid1(VALU_DEP_1)
	v_dual_sub_nc_u32 v5, v6, v5 :: v_dual_ashrrev_i32 v6, 8, v7
	v_add_nc_u32_e32 v5, 0x3c000000, v5
	s_delay_alu instid0(VALU_DEP_1) | instskip(NEXT) | instid1(VALU_DEP_1)
	v_and_or_b32 v5, 0x7f800000, v6, v5
	v_cndmask_b32_e32 v3, 0, v5, vcc_lo
	s_delay_alu instid0(VALU_DEP_1) | instskip(NEXT) | instid1(VALU_DEP_1)
	v_and_or_b32 v1, 0x80000000, v1, v3
	v_cvt_i32_f32_e32 v6, v1
.LBB38_2072:
	s_mov_b32 s19, 0
.LBB38_2073:
	s_delay_alu instid0(SALU_CYCLE_1)
	s_and_not1_b32 vcc_lo, exec_lo, s19
	s_cbranch_vccnz .LBB38_2075
; %bb.2074:
	s_wait_loadcnt 0x0
	global_load_u8 v1, v[12:13], off
	s_wait_loadcnt 0x0
	v_lshlrev_b32_e32 v3, 25, v1
	v_lshlrev_b16 v1, 8, v1
	s_delay_alu instid0(VALU_DEP_1) | instskip(SKIP_1) | instid1(VALU_DEP_2)
	v_and_or_b32 v6, 0x7f00, v1, 0.5
	v_bfe_i32 v1, v1, 0, 16
	v_dual_add_f32 v6, -0.5, v6 :: v_dual_lshrrev_b32 v5, 4, v3
	v_cmp_gt_u32_e32 vcc_lo, 0x8000000, v3
	s_delay_alu instid0(VALU_DEP_2) | instskip(NEXT) | instid1(VALU_DEP_1)
	v_or_b32_e32 v5, 0x70000000, v5
	v_mul_f32_e32 v5, 0x7800000, v5
	s_delay_alu instid0(VALU_DEP_1) | instskip(NEXT) | instid1(VALU_DEP_1)
	v_cndmask_b32_e32 v3, v5, v6, vcc_lo
	v_and_or_b32 v1, 0x80000000, v1, v3
	s_delay_alu instid0(VALU_DEP_1)
	v_cvt_i32_f32_e32 v6, v1
.LBB38_2075:
	s_mov_b32 s19, 0
	s_mov_b32 s20, -1
.LBB38_2076:
	s_and_not1_b32 vcc_lo, exec_lo, s19
	s_mov_b32 s19, 0
	s_cbranch_vccnz .LBB38_2087
; %bb.2077:
	s_cmp_gt_i32 s12, 14
	s_cbranch_scc0 .LBB38_2080
; %bb.2078:
	s_cmp_eq_u32 s12, 15
	s_cbranch_scc0 .LBB38_2083
; %bb.2079:
	s_wait_loadcnt 0x0
	global_load_u16 v1, v[12:13], off
	s_mov_b32 s18, 0
	s_mov_b32 s20, -1
	s_wait_loadcnt 0x0
	v_lshlrev_b32_e32 v1, 16, v1
	s_delay_alu instid0(VALU_DEP_1)
	v_cvt_i32_f32_e32 v6, v1
	s_branch .LBB38_2085
.LBB38_2080:
	s_mov_b32 s19, -1
	s_branch .LBB38_2084
.LBB38_2081:
	s_and_not1_saveexec_b32 s19, s19
	s_cbranch_execz .LBB38_2062
.LBB38_2082:
	v_cmp_ne_u16_e32 vcc_lo, 0, v1
	s_and_not1_b32 s20, s20, exec_lo
	s_and_b32 s21, vcc_lo, exec_lo
	s_delay_alu instid0(SALU_CYCLE_1)
	s_or_b32 s20, s20, s21
	s_or_b32 exec_lo, exec_lo, s19
	v_mov_b32_e32 v6, 0
	s_and_saveexec_b32 s19, s20
	s_cbranch_execnz .LBB38_2063
	s_branch .LBB38_2064
.LBB38_2083:
	s_mov_b32 s18, -1
.LBB38_2084:
                                        ; implicit-def: $vgpr6
.LBB38_2085:
	s_and_b32 vcc_lo, exec_lo, s19
	s_mov_b32 s19, 0
	s_cbranch_vccz .LBB38_2087
; %bb.2086:
	s_cmp_lg_u32 s12, 11
	s_mov_b32 s19, -1
	s_cselect_b32 s18, -1, 0
.LBB38_2087:
	s_delay_alu instid0(SALU_CYCLE_1)
	s_and_b32 vcc_lo, exec_lo, s18
	s_cbranch_vccnz .LBB38_2171
; %bb.2088:
	s_and_not1_b32 vcc_lo, exec_lo, s19
	s_cbranch_vccnz .LBB38_2090
.LBB38_2089:
	s_wait_loadcnt 0x0
	global_load_u8 v1, v[12:13], off
	s_mov_b32 s20, -1
	s_wait_loadcnt 0x0
	v_cmp_ne_u16_e32 vcc_lo, 0, v1
	v_cndmask_b32_e64 v6, 0, 1, vcc_lo
.LBB38_2090:
	s_mov_b32 s12, 0
.LBB38_2091:
	s_delay_alu instid0(SALU_CYCLE_1)
	s_and_b32 vcc_lo, exec_lo, s12
	s_cbranch_vccz .LBB38_2140
; %bb.2092:
	s_and_b32 s12, 0xffff, s7
	s_delay_alu instid0(SALU_CYCLE_1)
	s_cmp_lt_i32 s12, 5
	s_cbranch_scc1 .LBB38_2097
; %bb.2093:
	s_cmp_lt_i32 s12, 8
	s_cbranch_scc1 .LBB38_2098
; %bb.2094:
	;; [unrolled: 3-line block ×3, first 2 shown]
	s_cmp_gt_i32 s12, 9
	s_cbranch_scc0 .LBB38_2100
; %bb.2096:
	s_wait_loadcnt 0x0
	global_load_b64 v[6:7], v[12:13], off
	s_mov_b32 s18, 0
	s_wait_loadcnt 0x0
	v_cvt_i32_f64_e32 v6, v[6:7]
	s_branch .LBB38_2101
.LBB38_2097:
	s_mov_b32 s18, -1
                                        ; implicit-def: $vgpr6
	s_branch .LBB38_2119
.LBB38_2098:
	s_mov_b32 s18, -1
                                        ; implicit-def: $vgpr6
	s_branch .LBB38_2107
.LBB38_2099:
	s_mov_b32 s18, -1
                                        ; implicit-def: $vgpr6
	s_branch .LBB38_2104
.LBB38_2100:
	s_mov_b32 s18, -1
                                        ; implicit-def: $vgpr6
.LBB38_2101:
	s_delay_alu instid0(SALU_CYCLE_1)
	s_and_not1_b32 vcc_lo, exec_lo, s18
	s_cbranch_vccnz .LBB38_2103
; %bb.2102:
	s_wait_loadcnt 0x0
	global_load_b32 v1, v[12:13], off
	s_wait_loadcnt 0x0
	v_cvt_i32_f32_e32 v6, v1
.LBB38_2103:
	s_mov_b32 s18, 0
.LBB38_2104:
	s_delay_alu instid0(SALU_CYCLE_1)
	s_and_not1_b32 vcc_lo, exec_lo, s18
	s_cbranch_vccnz .LBB38_2106
; %bb.2105:
	s_wait_loadcnt 0x0
	global_load_b32 v1, v[12:13], off
	s_wait_loadcnt 0x0
	v_cvt_i16_f16_e32 v6, v1
.LBB38_2106:
	s_mov_b32 s18, 0
.LBB38_2107:
	s_delay_alu instid0(SALU_CYCLE_1)
	s_and_not1_b32 vcc_lo, exec_lo, s18
	s_cbranch_vccnz .LBB38_2118
; %bb.2108:
	s_cmp_lt_i32 s12, 6
	s_cbranch_scc1 .LBB38_2111
; %bb.2109:
	s_cmp_gt_i32 s12, 6
	s_cbranch_scc0 .LBB38_2112
; %bb.2110:
	s_wait_loadcnt 0x0
	global_load_b64 v[6:7], v[12:13], off
	s_mov_b32 s18, 0
	s_wait_loadcnt 0x0
	v_cvt_i32_f64_e32 v6, v[6:7]
	s_branch .LBB38_2113
.LBB38_2111:
	s_mov_b32 s18, -1
                                        ; implicit-def: $vgpr6
	s_branch .LBB38_2116
.LBB38_2112:
	s_mov_b32 s18, -1
                                        ; implicit-def: $vgpr6
.LBB38_2113:
	s_delay_alu instid0(SALU_CYCLE_1)
	s_and_not1_b32 vcc_lo, exec_lo, s18
	s_cbranch_vccnz .LBB38_2115
; %bb.2114:
	s_wait_loadcnt 0x0
	global_load_b32 v1, v[12:13], off
	s_wait_loadcnt 0x0
	v_cvt_i32_f32_e32 v6, v1
.LBB38_2115:
	s_mov_b32 s18, 0
.LBB38_2116:
	s_delay_alu instid0(SALU_CYCLE_1)
	s_and_not1_b32 vcc_lo, exec_lo, s18
	s_cbranch_vccnz .LBB38_2118
; %bb.2117:
	s_wait_loadcnt 0x0
	global_load_u16 v1, v[12:13], off
	s_wait_loadcnt 0x0
	v_cvt_i16_f16_e32 v6, v1
.LBB38_2118:
	s_mov_b32 s18, 0
.LBB38_2119:
	s_delay_alu instid0(SALU_CYCLE_1)
	s_and_not1_b32 vcc_lo, exec_lo, s18
	s_cbranch_vccnz .LBB38_2139
; %bb.2120:
	s_cmp_lt_i32 s12, 2
	s_cbranch_scc1 .LBB38_2124
; %bb.2121:
	s_cmp_lt_i32 s12, 3
	s_cbranch_scc1 .LBB38_2125
; %bb.2122:
	s_cmp_gt_i32 s12, 3
	s_cbranch_scc0 .LBB38_2126
; %bb.2123:
	s_wait_loadcnt 0x0
	global_load_b64 v[6:7], v[12:13], off
	s_mov_b32 s18, 0
	s_branch .LBB38_2127
.LBB38_2124:
	s_mov_b32 s18, -1
                                        ; implicit-def: $vgpr6
	s_branch .LBB38_2133
.LBB38_2125:
	s_mov_b32 s18, -1
                                        ; implicit-def: $vgpr6
	s_branch .LBB38_2130
.LBB38_2126:
	s_mov_b32 s18, -1
                                        ; implicit-def: $vgpr6
.LBB38_2127:
	s_delay_alu instid0(SALU_CYCLE_1)
	s_and_not1_b32 vcc_lo, exec_lo, s18
	s_cbranch_vccnz .LBB38_2129
; %bb.2128:
	s_wait_loadcnt 0x0
	global_load_b32 v6, v[12:13], off
.LBB38_2129:
	s_mov_b32 s18, 0
.LBB38_2130:
	s_delay_alu instid0(SALU_CYCLE_1)
	s_and_not1_b32 vcc_lo, exec_lo, s18
	s_cbranch_vccnz .LBB38_2132
; %bb.2131:
	s_wait_loadcnt 0x0
	global_load_u16 v6, v[12:13], off
.LBB38_2132:
	s_mov_b32 s18, 0
.LBB38_2133:
	s_delay_alu instid0(SALU_CYCLE_1)
	s_and_not1_b32 vcc_lo, exec_lo, s18
	s_cbranch_vccnz .LBB38_2139
; %bb.2134:
	s_cmp_gt_i32 s12, 0
	s_mov_b32 s12, 0
	s_cbranch_scc0 .LBB38_2136
; %bb.2135:
	s_wait_loadcnt 0x0
	global_load_u8 v6, v[12:13], off
	s_branch .LBB38_2137
.LBB38_2136:
	s_mov_b32 s12, -1
                                        ; implicit-def: $vgpr6
.LBB38_2137:
	s_delay_alu instid0(SALU_CYCLE_1)
	s_and_not1_b32 vcc_lo, exec_lo, s12
	s_cbranch_vccnz .LBB38_2139
; %bb.2138:
	s_wait_loadcnt 0x0
	global_load_u8 v6, v[12:13], off
.LBB38_2139:
	s_mov_b32 s20, -1
.LBB38_2140:
	s_delay_alu instid0(SALU_CYCLE_1)
	s_and_not1_b32 vcc_lo, exec_lo, s20
	s_cbranch_vccnz .LBB38_3126
; %bb.2141:
	s_cmp_lt_i32 s15, 23
	s_cbranch_scc1 .LBB38_2145
; %bb.2142:
	s_and_b32 s19, 0xffff, s15
	s_delay_alu instid0(SALU_CYCLE_1)
	s_cmp_gt_i32 s19, 43
	s_cbranch_scc0 .LBB38_2146
; %bb.2143:
	s_cmp_gt_i32 s19, 45
	s_cbranch_scc0 .LBB38_2147
; %bb.2144:
	s_cmp_lg_u32 s19, 46
	s_mov_b32 s20, 0
	s_mov_b32 s12, -1
	s_cselect_b32 s18, -1, 0
	s_branch .LBB38_2148
.LBB38_2145:
	s_mov_b32 s19, -1
	s_mov_b32 s12, 0
	s_mov_b32 s18, 0
	s_branch .LBB38_2154
.LBB38_2146:
	s_mov_b32 s20, -1
	s_mov_b32 s12, 0
	s_mov_b32 s18, 0
	s_branch .LBB38_2151
.LBB38_2147:
	s_mov_b32 s20, -1
	s_mov_b32 s12, 0
	s_mov_b32 s18, 0
.LBB38_2148:
	s_and_not1_b32 vcc_lo, exec_lo, s20
	s_cbranch_vccnz .LBB38_2150
; %bb.2149:
	s_cmp_eq_u32 s19, 44
	s_cselect_b32 s12, -1, 0
	s_cmp_lg_u32 s19, 44
	s_cselect_b32 s18, -1, 0
.LBB38_2150:
	s_mov_b32 s20, 0
.LBB38_2151:
	s_delay_alu instid0(SALU_CYCLE_1)
	s_and_b32 vcc_lo, exec_lo, s20
	s_cbranch_vccz .LBB38_2153
; %bb.2152:
	s_cmp_lt_i32 s19, 30
	s_cselect_b32 s12, -1, 0
	s_cmp_gt_i32 s19, 29
	s_cselect_b32 s18, -1, 0
.LBB38_2153:
	s_mov_b32 s19, 0
.LBB38_2154:
	s_delay_alu instid0(SALU_CYCLE_1)
	s_and_b32 vcc_lo, exec_lo, s19
	s_cbranch_vccz .LBB38_2159
; %bb.2155:
	s_and_b32 s19, 0xffff, s15
	s_mov_b32 s20, -1
	s_cmp_gt_i32 s19, 14
	s_cbranch_scc0 .LBB38_2157
; %bb.2156:
	s_cmp_eq_u32 s19, 15
	s_mov_b32 s20, 0
	s_cselect_b32 s12, -1, 0
	s_cmp_lg_u32 s19, 15
	s_cselect_b32 s18, -1, 0
.LBB38_2157:
	s_and_not1_b32 vcc_lo, exec_lo, s20
	s_cbranch_vccnz .LBB38_2159
; %bb.2158:
	s_cmp_lt_i32 s19, 12
	s_cselect_b32 s12, -1, 0
	s_cmp_gt_i32 s19, 11
	s_cselect_b32 s18, -1, 0
.LBB38_2159:
	s_delay_alu instid0(SALU_CYCLE_1)
	s_and_b32 vcc_lo, exec_lo, s18
	s_cbranch_vccnz .LBB38_2172
; %bb.2160:
	s_and_not1_b32 vcc_lo, exec_lo, s12
	s_cbranch_vccnz .LBB38_3126
.LBB38_2161:
	s_wait_xcnt 0x0
	v_add_nc_u32_e32 v12, s4, v8
	s_cmp_lt_i32 s0, 11
	s_delay_alu instid0(VALU_DEP_1) | instskip(NEXT) | instid1(VALU_DEP_1)
	v_ashrrev_i32_e32 v13, 31, v12
	v_add_nc_u64_e32 v[14:15], s[8:9], v[12:13]
	s_cbranch_scc1 .LBB38_2168
; %bb.2162:
	s_and_b32 s12, 0xffff, s0
	s_mov_b32 s19, 0
	s_cmp_gt_i32 s12, 25
	s_cbranch_scc0 .LBB38_2169
; %bb.2163:
	s_cmp_gt_i32 s12, 28
	s_cbranch_scc0 .LBB38_2170
; %bb.2164:
	;; [unrolled: 3-line block ×4, first 2 shown]
	s_cmp_eq_u32 s12, 46
	s_mov_b32 s21, 0
	s_cbranch_scc0 .LBB38_2177
; %bb.2167:
	s_wait_loadcnt 0x0
	global_load_b32 v1, v[14:15], off
	s_mov_b32 s18, 0
	s_mov_b32 s20, -1
	s_wait_loadcnt 0x0
	v_lshlrev_b32_e32 v1, 16, v1
	s_delay_alu instid0(VALU_DEP_1)
	v_cvt_i32_f32_e32 v8, v1
	s_branch .LBB38_2179
.LBB38_2168:
	s_mov_b32 s12, -1
	s_mov_b32 s20, 0
                                        ; implicit-def: $vgpr8
	s_branch .LBB38_2241
.LBB38_2169:
	s_mov_b32 s21, -1
	s_mov_b32 s20, 0
	s_mov_b32 s18, 0
                                        ; implicit-def: $vgpr8
	s_branch .LBB38_2206
.LBB38_2170:
	s_mov_b32 s21, -1
	s_mov_b32 s20, 0
	s_mov_b32 s18, 0
                                        ; implicit-def: $vgpr8
	s_branch .LBB38_2189
.LBB38_2171:
	s_or_b32 s13, s13, exec_lo
	s_trap 2
	s_cbranch_execz .LBB38_2089
	s_branch .LBB38_2090
.LBB38_2172:
	s_or_b32 s13, s13, exec_lo
	s_trap 2
	s_cbranch_execz .LBB38_2161
	s_branch .LBB38_3126
.LBB38_2173:
	s_mov_b32 s21, -1
	s_mov_b32 s20, 0
	s_mov_b32 s18, 0
                                        ; implicit-def: $vgpr8
	s_branch .LBB38_2184
.LBB38_2174:
	s_and_not1_saveexec_b32 s37, s37
	s_cbranch_execz .LBB38_1119
.LBB38_2175:
	v_add_f32_e64 v4, 0x42800000, |v3|
	s_and_not1_b32 s36, s36, exec_lo
	s_delay_alu instid0(VALU_DEP_1) | instskip(NEXT) | instid1(VALU_DEP_1)
	v_and_b32_e32 v4, 0xff, v4
	v_cmp_ne_u32_e32 vcc_lo, 0, v4
	s_and_b32 s38, vcc_lo, exec_lo
	s_delay_alu instid0(SALU_CYCLE_1)
	s_or_b32 s36, s36, s38
	s_or_b32 exec_lo, exec_lo, s37
	v_mov_b32_e32 v5, 0
	s_and_saveexec_b32 s37, s36
	s_cbranch_execnz .LBB38_1120
	s_branch .LBB38_1121
.LBB38_2176:
	s_mov_b32 s21, -1
	s_mov_b32 s20, 0
	s_mov_b32 s18, 0
	s_branch .LBB38_2178
.LBB38_2177:
	s_mov_b32 s18, -1
	s_mov_b32 s20, 0
.LBB38_2178:
                                        ; implicit-def: $vgpr8
.LBB38_2179:
	s_and_b32 vcc_lo, exec_lo, s21
	s_cbranch_vccz .LBB38_2183
; %bb.2180:
	s_cmp_eq_u32 s12, 44
	s_cbranch_scc0 .LBB38_2182
; %bb.2181:
	s_wait_loadcnt 0x0
	global_load_u8 v1, v[14:15], off
	s_mov_b32 s18, 0
	s_mov_b32 s20, -1
	s_wait_loadcnt 0x0
	v_lshlrev_b32_e32 v3, 23, v1
	v_cmp_ne_u32_e32 vcc_lo, 0, v1
	s_delay_alu instid0(VALU_DEP_2) | instskip(NEXT) | instid1(VALU_DEP_1)
	v_cvt_i32_f32_e32 v3, v3
	v_cndmask_b32_e32 v8, 0, v3, vcc_lo
	s_branch .LBB38_2183
.LBB38_2182:
	s_mov_b32 s18, -1
                                        ; implicit-def: $vgpr8
.LBB38_2183:
	s_mov_b32 s21, 0
.LBB38_2184:
	s_delay_alu instid0(SALU_CYCLE_1)
	s_and_b32 vcc_lo, exec_lo, s21
	s_cbranch_vccz .LBB38_2188
; %bb.2185:
	s_cmp_eq_u32 s12, 29
	s_cbranch_scc0 .LBB38_2187
; %bb.2186:
	global_load_b64 v[8:9], v[14:15], off
	s_mov_b32 s18, 0
	s_mov_b32 s20, -1
	s_branch .LBB38_2188
.LBB38_2187:
	s_mov_b32 s18, -1
                                        ; implicit-def: $vgpr8
.LBB38_2188:
	s_mov_b32 s21, 0
.LBB38_2189:
	s_delay_alu instid0(SALU_CYCLE_1)
	s_and_b32 vcc_lo, exec_lo, s21
	s_cbranch_vccz .LBB38_2205
; %bb.2190:
	s_cmp_lt_i32 s12, 27
	s_cbranch_scc1 .LBB38_2193
; %bb.2191:
	s_cmp_gt_i32 s12, 27
	s_cbranch_scc0 .LBB38_2194
; %bb.2192:
	s_wait_loadcnt 0x0
	global_load_b32 v8, v[14:15], off
	s_mov_b32 s20, 0
	s_branch .LBB38_2195
.LBB38_2193:
	s_mov_b32 s20, -1
                                        ; implicit-def: $vgpr8
	s_branch .LBB38_2198
.LBB38_2194:
	s_mov_b32 s20, -1
                                        ; implicit-def: $vgpr8
.LBB38_2195:
	s_delay_alu instid0(SALU_CYCLE_1)
	s_and_not1_b32 vcc_lo, exec_lo, s20
	s_cbranch_vccnz .LBB38_2197
; %bb.2196:
	s_wait_loadcnt 0x0
	global_load_u16 v8, v[14:15], off
.LBB38_2197:
	s_mov_b32 s20, 0
.LBB38_2198:
	s_delay_alu instid0(SALU_CYCLE_1)
	s_and_not1_b32 vcc_lo, exec_lo, s20
	s_cbranch_vccnz .LBB38_2204
; %bb.2199:
	s_wait_loadcnt 0x0
	global_load_u8 v1, v[14:15], off
	s_mov_b32 s21, 0
	s_mov_b32 s20, exec_lo
	s_wait_loadcnt 0x0
	v_cmpx_lt_i16_e32 0x7f, v1
	s_xor_b32 s20, exec_lo, s20
	s_cbranch_execz .LBB38_2216
; %bb.2200:
	v_cmp_ne_u16_e32 vcc_lo, 0x80, v1
	s_and_b32 s21, vcc_lo, exec_lo
	s_and_not1_saveexec_b32 s20, s20
	s_cbranch_execnz .LBB38_2217
.LBB38_2201:
	s_or_b32 exec_lo, exec_lo, s20
	v_mov_b32_e32 v8, 0
	s_and_saveexec_b32 s20, s21
	s_cbranch_execz .LBB38_2203
.LBB38_2202:
	v_and_b32_e32 v3, 0xffff, v1
	s_delay_alu instid0(VALU_DEP_1) | instskip(SKIP_1) | instid1(VALU_DEP_2)
	v_dual_lshlrev_b32 v1, 24, v1 :: v_dual_bitop2_b32 v5, 7, v3 bitop3:0x40
	v_bfe_u32 v9, v3, 3, 4
	v_and_b32_e32 v1, 0x80000000, v1
	s_delay_alu instid0(VALU_DEP_3) | instskip(NEXT) | instid1(VALU_DEP_3)
	v_clz_i32_u32_e32 v7, v5
	v_cmp_eq_u32_e32 vcc_lo, 0, v9
	s_delay_alu instid0(VALU_DEP_2) | instskip(NEXT) | instid1(VALU_DEP_1)
	v_min_u32_e32 v7, 32, v7
	v_subrev_nc_u32_e32 v8, 28, v7
	v_sub_nc_u32_e32 v7, 29, v7
	s_delay_alu instid0(VALU_DEP_2) | instskip(NEXT) | instid1(VALU_DEP_2)
	v_lshlrev_b32_e32 v3, v8, v3
	v_cndmask_b32_e32 v7, v9, v7, vcc_lo
	s_delay_alu instid0(VALU_DEP_2) | instskip(NEXT) | instid1(VALU_DEP_1)
	v_and_b32_e32 v3, 7, v3
	v_cndmask_b32_e32 v3, v5, v3, vcc_lo
	s_delay_alu instid0(VALU_DEP_3) | instskip(NEXT) | instid1(VALU_DEP_2)
	v_lshl_add_u32 v5, v7, 23, 0x3b800000
	v_lshlrev_b32_e32 v3, 20, v3
	s_delay_alu instid0(VALU_DEP_1) | instskip(NEXT) | instid1(VALU_DEP_1)
	v_or3_b32 v1, v1, v5, v3
	v_cvt_i32_f32_e32 v8, v1
.LBB38_2203:
	s_or_b32 exec_lo, exec_lo, s20
.LBB38_2204:
	s_mov_b32 s20, -1
.LBB38_2205:
	s_mov_b32 s21, 0
.LBB38_2206:
	s_delay_alu instid0(SALU_CYCLE_1)
	s_and_b32 vcc_lo, exec_lo, s21
	s_cbranch_vccz .LBB38_2237
; %bb.2207:
	s_cmp_gt_i32 s12, 22
	s_cbranch_scc0 .LBB38_2215
; %bb.2208:
	s_cmp_lt_i32 s12, 24
	s_cbranch_scc1 .LBB38_2218
; %bb.2209:
	s_cmp_gt_i32 s12, 24
	s_cbranch_scc0 .LBB38_2219
; %bb.2210:
	s_wait_loadcnt 0x0
	global_load_u8 v1, v[14:15], off
	s_mov_b32 s20, 0
	s_mov_b32 s19, exec_lo
	s_wait_loadcnt 0x0
	v_cmpx_lt_i16_e32 0x7f, v1
	s_xor_b32 s19, exec_lo, s19
	s_cbranch_execz .LBB38_2231
; %bb.2211:
	v_cmp_ne_u16_e32 vcc_lo, 0x80, v1
	s_and_b32 s20, vcc_lo, exec_lo
	s_and_not1_saveexec_b32 s19, s19
	s_cbranch_execnz .LBB38_2232
.LBB38_2212:
	s_or_b32 exec_lo, exec_lo, s19
	v_mov_b32_e32 v8, 0
	s_and_saveexec_b32 s19, s20
	s_cbranch_execz .LBB38_2214
.LBB38_2213:
	v_and_b32_e32 v3, 0xffff, v1
	s_delay_alu instid0(VALU_DEP_1) | instskip(SKIP_1) | instid1(VALU_DEP_2)
	v_dual_lshlrev_b32 v1, 24, v1 :: v_dual_bitop2_b32 v5, 3, v3 bitop3:0x40
	v_bfe_u32 v9, v3, 2, 5
	v_and_b32_e32 v1, 0x80000000, v1
	s_delay_alu instid0(VALU_DEP_3) | instskip(NEXT) | instid1(VALU_DEP_3)
	v_clz_i32_u32_e32 v7, v5
	v_cmp_eq_u32_e32 vcc_lo, 0, v9
	s_delay_alu instid0(VALU_DEP_2) | instskip(NEXT) | instid1(VALU_DEP_1)
	v_min_u32_e32 v7, 32, v7
	v_subrev_nc_u32_e32 v8, 29, v7
	v_sub_nc_u32_e32 v7, 30, v7
	s_delay_alu instid0(VALU_DEP_2) | instskip(NEXT) | instid1(VALU_DEP_2)
	v_lshlrev_b32_e32 v3, v8, v3
	v_cndmask_b32_e32 v7, v9, v7, vcc_lo
	s_delay_alu instid0(VALU_DEP_2) | instskip(NEXT) | instid1(VALU_DEP_1)
	v_and_b32_e32 v3, 3, v3
	v_cndmask_b32_e32 v3, v5, v3, vcc_lo
	s_delay_alu instid0(VALU_DEP_3) | instskip(NEXT) | instid1(VALU_DEP_2)
	v_lshl_add_u32 v5, v7, 23, 0x37800000
	v_lshlrev_b32_e32 v3, 21, v3
	s_delay_alu instid0(VALU_DEP_1) | instskip(NEXT) | instid1(VALU_DEP_1)
	v_or3_b32 v1, v1, v5, v3
	v_cvt_i32_f32_e32 v8, v1
.LBB38_2214:
	s_or_b32 exec_lo, exec_lo, s19
	s_mov_b32 s19, 0
	s_branch .LBB38_2220
.LBB38_2215:
	s_mov_b32 s19, -1
                                        ; implicit-def: $vgpr8
	s_branch .LBB38_2226
.LBB38_2216:
	s_and_not1_saveexec_b32 s20, s20
	s_cbranch_execz .LBB38_2201
.LBB38_2217:
	v_cmp_ne_u16_e32 vcc_lo, 0, v1
	s_and_not1_b32 s21, s21, exec_lo
	s_and_b32 s22, vcc_lo, exec_lo
	s_delay_alu instid0(SALU_CYCLE_1)
	s_or_b32 s21, s21, s22
	s_or_b32 exec_lo, exec_lo, s20
	v_mov_b32_e32 v8, 0
	s_and_saveexec_b32 s20, s21
	s_cbranch_execnz .LBB38_2202
	s_branch .LBB38_2203
.LBB38_2218:
	s_mov_b32 s19, -1
                                        ; implicit-def: $vgpr8
	s_branch .LBB38_2223
.LBB38_2219:
	s_mov_b32 s19, -1
                                        ; implicit-def: $vgpr8
.LBB38_2220:
	s_delay_alu instid0(SALU_CYCLE_1)
	s_and_b32 vcc_lo, exec_lo, s19
	s_cbranch_vccz .LBB38_2222
; %bb.2221:
	s_wait_loadcnt 0x0
	global_load_u8 v1, v[14:15], off
	s_wait_loadcnt 0x0
	v_lshlrev_b32_e32 v1, 24, v1
	s_delay_alu instid0(VALU_DEP_1) | instskip(NEXT) | instid1(VALU_DEP_1)
	v_and_b32_e32 v3, 0x7f000000, v1
	v_clz_i32_u32_e32 v5, v3
	v_cmp_ne_u32_e32 vcc_lo, 0, v3
	v_add_nc_u32_e32 v8, 0x1000000, v3
	s_delay_alu instid0(VALU_DEP_3) | instskip(NEXT) | instid1(VALU_DEP_1)
	v_min_u32_e32 v5, 32, v5
	v_sub_nc_u32_e64 v5, v5, 4 clamp
	s_delay_alu instid0(VALU_DEP_1) | instskip(NEXT) | instid1(VALU_DEP_1)
	v_dual_lshlrev_b32 v7, v5, v3 :: v_dual_lshlrev_b32 v5, 23, v5
	v_lshrrev_b32_e32 v7, 4, v7
	s_delay_alu instid0(VALU_DEP_1) | instskip(NEXT) | instid1(VALU_DEP_1)
	v_dual_sub_nc_u32 v5, v7, v5 :: v_dual_ashrrev_i32 v7, 8, v8
	v_add_nc_u32_e32 v5, 0x3c000000, v5
	s_delay_alu instid0(VALU_DEP_1) | instskip(NEXT) | instid1(VALU_DEP_1)
	v_and_or_b32 v5, 0x7f800000, v7, v5
	v_cndmask_b32_e32 v3, 0, v5, vcc_lo
	s_delay_alu instid0(VALU_DEP_1) | instskip(NEXT) | instid1(VALU_DEP_1)
	v_and_or_b32 v1, 0x80000000, v1, v3
	v_cvt_i32_f32_e32 v8, v1
.LBB38_2222:
	s_mov_b32 s19, 0
.LBB38_2223:
	s_delay_alu instid0(SALU_CYCLE_1)
	s_and_not1_b32 vcc_lo, exec_lo, s19
	s_cbranch_vccnz .LBB38_2225
; %bb.2224:
	s_wait_loadcnt 0x0
	global_load_u8 v1, v[14:15], off
	s_wait_loadcnt 0x0
	v_lshlrev_b32_e32 v3, 25, v1
	v_lshlrev_b16 v1, 8, v1
	s_delay_alu instid0(VALU_DEP_1) | instskip(SKIP_1) | instid1(VALU_DEP_2)
	v_and_or_b32 v7, 0x7f00, v1, 0.5
	v_bfe_i32 v1, v1, 0, 16
	v_add_f32_e32 v7, -0.5, v7
	v_lshrrev_b32_e32 v5, 4, v3
	v_cmp_gt_u32_e32 vcc_lo, 0x8000000, v3
	s_delay_alu instid0(VALU_DEP_2) | instskip(NEXT) | instid1(VALU_DEP_1)
	v_or_b32_e32 v5, 0x70000000, v5
	v_mul_f32_e32 v5, 0x7800000, v5
	s_delay_alu instid0(VALU_DEP_1) | instskip(NEXT) | instid1(VALU_DEP_1)
	v_cndmask_b32_e32 v3, v5, v7, vcc_lo
	v_and_or_b32 v1, 0x80000000, v1, v3
	s_delay_alu instid0(VALU_DEP_1)
	v_cvt_i32_f32_e32 v8, v1
.LBB38_2225:
	s_mov_b32 s19, 0
	s_mov_b32 s20, -1
.LBB38_2226:
	s_and_not1_b32 vcc_lo, exec_lo, s19
	s_mov_b32 s19, 0
	s_cbranch_vccnz .LBB38_2237
; %bb.2227:
	s_cmp_gt_i32 s12, 14
	s_cbranch_scc0 .LBB38_2230
; %bb.2228:
	s_cmp_eq_u32 s12, 15
	s_cbranch_scc0 .LBB38_2233
; %bb.2229:
	s_wait_loadcnt 0x0
	global_load_u16 v1, v[14:15], off
	s_mov_b32 s18, 0
	s_mov_b32 s20, -1
	s_wait_loadcnt 0x0
	v_lshlrev_b32_e32 v1, 16, v1
	s_delay_alu instid0(VALU_DEP_1)
	v_cvt_i32_f32_e32 v8, v1
	s_branch .LBB38_2235
.LBB38_2230:
	s_mov_b32 s19, -1
	s_branch .LBB38_2234
.LBB38_2231:
	s_and_not1_saveexec_b32 s19, s19
	s_cbranch_execz .LBB38_2212
.LBB38_2232:
	v_cmp_ne_u16_e32 vcc_lo, 0, v1
	s_and_not1_b32 s20, s20, exec_lo
	s_and_b32 s21, vcc_lo, exec_lo
	s_delay_alu instid0(SALU_CYCLE_1)
	s_or_b32 s20, s20, s21
	s_or_b32 exec_lo, exec_lo, s19
	v_mov_b32_e32 v8, 0
	s_and_saveexec_b32 s19, s20
	s_cbranch_execnz .LBB38_2213
	s_branch .LBB38_2214
.LBB38_2233:
	s_mov_b32 s18, -1
.LBB38_2234:
                                        ; implicit-def: $vgpr8
.LBB38_2235:
	s_and_b32 vcc_lo, exec_lo, s19
	s_mov_b32 s19, 0
	s_cbranch_vccz .LBB38_2237
; %bb.2236:
	s_cmp_lg_u32 s12, 11
	s_mov_b32 s19, -1
	s_cselect_b32 s18, -1, 0
.LBB38_2237:
	s_delay_alu instid0(SALU_CYCLE_1)
	s_and_b32 vcc_lo, exec_lo, s18
	s_cbranch_vccnz .LBB38_2302
; %bb.2238:
	s_and_not1_b32 vcc_lo, exec_lo, s19
	s_cbranch_vccnz .LBB38_2240
.LBB38_2239:
	s_wait_loadcnt 0x0
	global_load_u8 v1, v[14:15], off
	s_mov_b32 s20, -1
	s_wait_loadcnt 0x0
	v_cmp_ne_u16_e32 vcc_lo, 0, v1
	v_cndmask_b32_e64 v8, 0, 1, vcc_lo
.LBB38_2240:
	s_mov_b32 s12, 0
.LBB38_2241:
	s_delay_alu instid0(SALU_CYCLE_1)
	s_and_b32 vcc_lo, exec_lo, s12
	s_cbranch_vccz .LBB38_2290
; %bb.2242:
	s_and_b32 s12, 0xffff, s0
	s_delay_alu instid0(SALU_CYCLE_1)
	s_cmp_lt_i32 s12, 5
	s_cbranch_scc1 .LBB38_2247
; %bb.2243:
	s_cmp_lt_i32 s12, 8
	s_cbranch_scc1 .LBB38_2248
; %bb.2244:
	;; [unrolled: 3-line block ×3, first 2 shown]
	s_cmp_gt_i32 s12, 9
	s_cbranch_scc0 .LBB38_2250
; %bb.2246:
	s_wait_loadcnt 0x0
	global_load_b64 v[8:9], v[14:15], off
	s_mov_b32 s18, 0
	s_wait_loadcnt 0x0
	v_cvt_i32_f64_e32 v8, v[8:9]
	s_branch .LBB38_2251
.LBB38_2247:
	s_mov_b32 s18, -1
                                        ; implicit-def: $vgpr8
	s_branch .LBB38_2269
.LBB38_2248:
	s_mov_b32 s18, -1
                                        ; implicit-def: $vgpr8
	s_branch .LBB38_2257
.LBB38_2249:
	s_mov_b32 s18, -1
                                        ; implicit-def: $vgpr8
	s_branch .LBB38_2254
.LBB38_2250:
	s_mov_b32 s18, -1
                                        ; implicit-def: $vgpr8
.LBB38_2251:
	s_delay_alu instid0(SALU_CYCLE_1)
	s_and_not1_b32 vcc_lo, exec_lo, s18
	s_cbranch_vccnz .LBB38_2253
; %bb.2252:
	s_wait_loadcnt 0x0
	global_load_b32 v1, v[14:15], off
	s_wait_loadcnt 0x0
	v_cvt_i32_f32_e32 v8, v1
.LBB38_2253:
	s_mov_b32 s18, 0
.LBB38_2254:
	s_delay_alu instid0(SALU_CYCLE_1)
	s_and_not1_b32 vcc_lo, exec_lo, s18
	s_cbranch_vccnz .LBB38_2256
; %bb.2255:
	s_wait_loadcnt 0x0
	global_load_b32 v1, v[14:15], off
	s_wait_loadcnt 0x0
	v_cvt_i16_f16_e32 v8, v1
.LBB38_2256:
	s_mov_b32 s18, 0
.LBB38_2257:
	s_delay_alu instid0(SALU_CYCLE_1)
	s_and_not1_b32 vcc_lo, exec_lo, s18
	s_cbranch_vccnz .LBB38_2268
; %bb.2258:
	s_cmp_lt_i32 s12, 6
	s_cbranch_scc1 .LBB38_2261
; %bb.2259:
	s_cmp_gt_i32 s12, 6
	s_cbranch_scc0 .LBB38_2262
; %bb.2260:
	s_wait_loadcnt 0x0
	global_load_b64 v[8:9], v[14:15], off
	s_mov_b32 s18, 0
	s_wait_loadcnt 0x0
	v_cvt_i32_f64_e32 v8, v[8:9]
	s_branch .LBB38_2263
.LBB38_2261:
	s_mov_b32 s18, -1
                                        ; implicit-def: $vgpr8
	s_branch .LBB38_2266
.LBB38_2262:
	s_mov_b32 s18, -1
                                        ; implicit-def: $vgpr8
.LBB38_2263:
	s_delay_alu instid0(SALU_CYCLE_1)
	s_and_not1_b32 vcc_lo, exec_lo, s18
	s_cbranch_vccnz .LBB38_2265
; %bb.2264:
	s_wait_loadcnt 0x0
	global_load_b32 v1, v[14:15], off
	s_wait_loadcnt 0x0
	v_cvt_i32_f32_e32 v8, v1
.LBB38_2265:
	s_mov_b32 s18, 0
.LBB38_2266:
	s_delay_alu instid0(SALU_CYCLE_1)
	s_and_not1_b32 vcc_lo, exec_lo, s18
	s_cbranch_vccnz .LBB38_2268
; %bb.2267:
	s_wait_loadcnt 0x0
	global_load_u16 v1, v[14:15], off
	s_wait_loadcnt 0x0
	v_cvt_i16_f16_e32 v8, v1
.LBB38_2268:
	s_mov_b32 s18, 0
.LBB38_2269:
	s_delay_alu instid0(SALU_CYCLE_1)
	s_and_not1_b32 vcc_lo, exec_lo, s18
	s_cbranch_vccnz .LBB38_2289
; %bb.2270:
	s_cmp_lt_i32 s12, 2
	s_cbranch_scc1 .LBB38_2274
; %bb.2271:
	s_cmp_lt_i32 s12, 3
	s_cbranch_scc1 .LBB38_2275
; %bb.2272:
	s_cmp_gt_i32 s12, 3
	s_cbranch_scc0 .LBB38_2276
; %bb.2273:
	s_wait_loadcnt 0x0
	global_load_b64 v[8:9], v[14:15], off
	s_mov_b32 s18, 0
	s_branch .LBB38_2277
.LBB38_2274:
	s_mov_b32 s18, -1
                                        ; implicit-def: $vgpr8
	s_branch .LBB38_2283
.LBB38_2275:
	s_mov_b32 s18, -1
                                        ; implicit-def: $vgpr8
	s_branch .LBB38_2280
.LBB38_2276:
	s_mov_b32 s18, -1
                                        ; implicit-def: $vgpr8
.LBB38_2277:
	s_delay_alu instid0(SALU_CYCLE_1)
	s_and_not1_b32 vcc_lo, exec_lo, s18
	s_cbranch_vccnz .LBB38_2279
; %bb.2278:
	s_wait_loadcnt 0x0
	global_load_b32 v8, v[14:15], off
.LBB38_2279:
	s_mov_b32 s18, 0
.LBB38_2280:
	s_delay_alu instid0(SALU_CYCLE_1)
	s_and_not1_b32 vcc_lo, exec_lo, s18
	s_cbranch_vccnz .LBB38_2282
; %bb.2281:
	s_wait_loadcnt 0x0
	global_load_u16 v8, v[14:15], off
.LBB38_2282:
	s_mov_b32 s18, 0
.LBB38_2283:
	s_delay_alu instid0(SALU_CYCLE_1)
	s_and_not1_b32 vcc_lo, exec_lo, s18
	s_cbranch_vccnz .LBB38_2289
; %bb.2284:
	s_cmp_gt_i32 s12, 0
	s_mov_b32 s12, 0
	s_cbranch_scc0 .LBB38_2286
; %bb.2285:
	s_wait_loadcnt 0x0
	global_load_u8 v8, v[14:15], off
	s_branch .LBB38_2287
.LBB38_2286:
	s_mov_b32 s12, -1
                                        ; implicit-def: $vgpr8
.LBB38_2287:
	s_delay_alu instid0(SALU_CYCLE_1)
	s_and_not1_b32 vcc_lo, exec_lo, s12
	s_cbranch_vccnz .LBB38_2289
; %bb.2288:
	s_wait_loadcnt 0x0
	global_load_u8 v8, v[14:15], off
.LBB38_2289:
	s_mov_b32 s20, -1
.LBB38_2290:
	s_delay_alu instid0(SALU_CYCLE_1)
	s_and_not1_b32 vcc_lo, exec_lo, s20
	s_cbranch_vccnz .LBB38_3126
; %bb.2291:
	s_wait_xcnt 0x0
	v_add_nc_u32_e32 v14, s5, v10
	s_cmp_lt_i32 s7, 11
	s_delay_alu instid0(VALU_DEP_1) | instskip(NEXT) | instid1(VALU_DEP_1)
	v_ashrrev_i32_e32 v15, 31, v14
	v_add_nc_u64_e32 v[16:17], s[10:11], v[14:15]
	s_cbranch_scc1 .LBB38_2298
; %bb.2292:
	s_and_b32 s12, 0xffff, s7
	s_mov_b32 s19, 0
	s_cmp_gt_i32 s12, 25
	s_cbranch_scc0 .LBB38_2299
; %bb.2293:
	s_cmp_gt_i32 s12, 28
	s_cbranch_scc0 .LBB38_2300
; %bb.2294:
	;; [unrolled: 3-line block ×4, first 2 shown]
	s_cmp_eq_u32 s12, 46
	s_mov_b32 s21, 0
	s_cbranch_scc0 .LBB38_2304
; %bb.2297:
	s_wait_loadcnt 0x0
	global_load_b32 v1, v[16:17], off
	s_mov_b32 s18, 0
	s_mov_b32 s20, -1
	s_wait_loadcnt 0x0
	v_lshlrev_b32_e32 v1, 16, v1
	s_delay_alu instid0(VALU_DEP_1)
	v_cvt_i32_f32_e32 v10, v1
	s_branch .LBB38_2306
.LBB38_2298:
	s_mov_b32 s12, -1
	s_mov_b32 s20, 0
                                        ; implicit-def: $vgpr10
	s_branch .LBB38_2368
.LBB38_2299:
	s_mov_b32 s21, -1
	s_mov_b32 s20, 0
	s_mov_b32 s18, 0
                                        ; implicit-def: $vgpr10
	s_branch .LBB38_2333
.LBB38_2300:
	s_mov_b32 s21, -1
	s_mov_b32 s20, 0
	s_mov_b32 s18, 0
                                        ; implicit-def: $vgpr10
	s_branch .LBB38_2316
.LBB38_2301:
	s_mov_b32 s21, -1
	s_mov_b32 s20, 0
	s_mov_b32 s18, 0
                                        ; implicit-def: $vgpr10
	s_branch .LBB38_2311
.LBB38_2302:
	s_or_b32 s13, s13, exec_lo
	s_trap 2
	s_cbranch_execz .LBB38_2239
	s_branch .LBB38_2240
.LBB38_2303:
	s_mov_b32 s21, -1
	s_mov_b32 s20, 0
	s_mov_b32 s18, 0
	s_branch .LBB38_2305
.LBB38_2304:
	s_mov_b32 s18, -1
	s_mov_b32 s20, 0
.LBB38_2305:
                                        ; implicit-def: $vgpr10
.LBB38_2306:
	s_and_b32 vcc_lo, exec_lo, s21
	s_cbranch_vccz .LBB38_2310
; %bb.2307:
	s_cmp_eq_u32 s12, 44
	s_cbranch_scc0 .LBB38_2309
; %bb.2308:
	s_wait_loadcnt 0x0
	global_load_u8 v1, v[16:17], off
	s_mov_b32 s18, 0
	s_mov_b32 s20, -1
	s_wait_loadcnt 0x0
	v_lshlrev_b32_e32 v3, 23, v1
	v_cmp_ne_u32_e32 vcc_lo, 0, v1
	s_delay_alu instid0(VALU_DEP_2) | instskip(NEXT) | instid1(VALU_DEP_1)
	v_cvt_i32_f32_e32 v3, v3
	v_cndmask_b32_e32 v10, 0, v3, vcc_lo
	s_branch .LBB38_2310
.LBB38_2309:
	s_mov_b32 s18, -1
                                        ; implicit-def: $vgpr10
.LBB38_2310:
	s_mov_b32 s21, 0
.LBB38_2311:
	s_delay_alu instid0(SALU_CYCLE_1)
	s_and_b32 vcc_lo, exec_lo, s21
	s_cbranch_vccz .LBB38_2315
; %bb.2312:
	s_cmp_eq_u32 s12, 29
	s_cbranch_scc0 .LBB38_2314
; %bb.2313:
	global_load_b64 v[10:11], v[16:17], off
	s_mov_b32 s18, 0
	s_mov_b32 s20, -1
	s_branch .LBB38_2315
.LBB38_2314:
	s_mov_b32 s18, -1
                                        ; implicit-def: $vgpr10
.LBB38_2315:
	s_mov_b32 s21, 0
.LBB38_2316:
	s_delay_alu instid0(SALU_CYCLE_1)
	s_and_b32 vcc_lo, exec_lo, s21
	s_cbranch_vccz .LBB38_2332
; %bb.2317:
	s_cmp_lt_i32 s12, 27
	s_cbranch_scc1 .LBB38_2320
; %bb.2318:
	s_cmp_gt_i32 s12, 27
	s_cbranch_scc0 .LBB38_2321
; %bb.2319:
	s_wait_loadcnt 0x0
	global_load_b32 v10, v[16:17], off
	s_mov_b32 s20, 0
	s_branch .LBB38_2322
.LBB38_2320:
	s_mov_b32 s20, -1
                                        ; implicit-def: $vgpr10
	s_branch .LBB38_2325
.LBB38_2321:
	s_mov_b32 s20, -1
                                        ; implicit-def: $vgpr10
.LBB38_2322:
	s_delay_alu instid0(SALU_CYCLE_1)
	s_and_not1_b32 vcc_lo, exec_lo, s20
	s_cbranch_vccnz .LBB38_2324
; %bb.2323:
	s_wait_loadcnt 0x0
	global_load_u16 v10, v[16:17], off
.LBB38_2324:
	s_mov_b32 s20, 0
.LBB38_2325:
	s_delay_alu instid0(SALU_CYCLE_1)
	s_and_not1_b32 vcc_lo, exec_lo, s20
	s_cbranch_vccnz .LBB38_2331
; %bb.2326:
	s_wait_loadcnt 0x0
	global_load_u8 v1, v[16:17], off
	s_mov_b32 s21, 0
	s_mov_b32 s20, exec_lo
	s_wait_loadcnt 0x0
	v_cmpx_lt_i16_e32 0x7f, v1
	s_xor_b32 s20, exec_lo, s20
	s_cbranch_execz .LBB38_2343
; %bb.2327:
	v_cmp_ne_u16_e32 vcc_lo, 0x80, v1
	s_and_b32 s21, vcc_lo, exec_lo
	s_and_not1_saveexec_b32 s20, s20
	s_cbranch_execnz .LBB38_2344
.LBB38_2328:
	s_or_b32 exec_lo, exec_lo, s20
	v_mov_b32_e32 v10, 0
	s_and_saveexec_b32 s20, s21
	s_cbranch_execz .LBB38_2330
.LBB38_2329:
	v_and_b32_e32 v3, 0xffff, v1
	s_delay_alu instid0(VALU_DEP_1) | instskip(SKIP_1) | instid1(VALU_DEP_2)
	v_dual_lshlrev_b32 v1, 24, v1 :: v_dual_bitop2_b32 v5, 7, v3 bitop3:0x40
	v_bfe_u32 v10, v3, 3, 4
	v_and_b32_e32 v1, 0x80000000, v1
	s_delay_alu instid0(VALU_DEP_3) | instskip(NEXT) | instid1(VALU_DEP_3)
	v_clz_i32_u32_e32 v7, v5
	v_cmp_eq_u32_e32 vcc_lo, 0, v10
	s_delay_alu instid0(VALU_DEP_2) | instskip(NEXT) | instid1(VALU_DEP_1)
	v_min_u32_e32 v7, 32, v7
	v_subrev_nc_u32_e32 v9, 28, v7
	v_sub_nc_u32_e32 v7, 29, v7
	s_delay_alu instid0(VALU_DEP_2) | instskip(NEXT) | instid1(VALU_DEP_2)
	v_lshlrev_b32_e32 v3, v9, v3
	v_cndmask_b32_e32 v7, v10, v7, vcc_lo
	s_delay_alu instid0(VALU_DEP_2) | instskip(NEXT) | instid1(VALU_DEP_1)
	v_and_b32_e32 v3, 7, v3
	v_cndmask_b32_e32 v3, v5, v3, vcc_lo
	s_delay_alu instid0(VALU_DEP_3) | instskip(NEXT) | instid1(VALU_DEP_2)
	v_lshl_add_u32 v5, v7, 23, 0x3b800000
	v_lshlrev_b32_e32 v3, 20, v3
	s_delay_alu instid0(VALU_DEP_1) | instskip(NEXT) | instid1(VALU_DEP_1)
	v_or3_b32 v1, v1, v5, v3
	v_cvt_i32_f32_e32 v10, v1
.LBB38_2330:
	s_or_b32 exec_lo, exec_lo, s20
.LBB38_2331:
	s_mov_b32 s20, -1
.LBB38_2332:
	s_mov_b32 s21, 0
.LBB38_2333:
	s_delay_alu instid0(SALU_CYCLE_1)
	s_and_b32 vcc_lo, exec_lo, s21
	s_cbranch_vccz .LBB38_2364
; %bb.2334:
	s_cmp_gt_i32 s12, 22
	s_cbranch_scc0 .LBB38_2342
; %bb.2335:
	s_cmp_lt_i32 s12, 24
	s_cbranch_scc1 .LBB38_2345
; %bb.2336:
	s_cmp_gt_i32 s12, 24
	s_cbranch_scc0 .LBB38_2346
; %bb.2337:
	s_wait_loadcnt 0x0
	global_load_u8 v1, v[16:17], off
	s_mov_b32 s20, 0
	s_mov_b32 s19, exec_lo
	s_wait_loadcnt 0x0
	v_cmpx_lt_i16_e32 0x7f, v1
	s_xor_b32 s19, exec_lo, s19
	s_cbranch_execz .LBB38_2358
; %bb.2338:
	v_cmp_ne_u16_e32 vcc_lo, 0x80, v1
	s_and_b32 s20, vcc_lo, exec_lo
	s_and_not1_saveexec_b32 s19, s19
	s_cbranch_execnz .LBB38_2359
.LBB38_2339:
	s_or_b32 exec_lo, exec_lo, s19
	v_mov_b32_e32 v10, 0
	s_and_saveexec_b32 s19, s20
	s_cbranch_execz .LBB38_2341
.LBB38_2340:
	v_and_b32_e32 v3, 0xffff, v1
	s_delay_alu instid0(VALU_DEP_1) | instskip(SKIP_1) | instid1(VALU_DEP_2)
	v_dual_lshlrev_b32 v1, 24, v1 :: v_dual_bitop2_b32 v5, 3, v3 bitop3:0x40
	v_bfe_u32 v10, v3, 2, 5
	v_and_b32_e32 v1, 0x80000000, v1
	s_delay_alu instid0(VALU_DEP_3) | instskip(NEXT) | instid1(VALU_DEP_3)
	v_clz_i32_u32_e32 v7, v5
	v_cmp_eq_u32_e32 vcc_lo, 0, v10
	s_delay_alu instid0(VALU_DEP_2) | instskip(NEXT) | instid1(VALU_DEP_1)
	v_min_u32_e32 v7, 32, v7
	v_subrev_nc_u32_e32 v9, 29, v7
	v_sub_nc_u32_e32 v7, 30, v7
	s_delay_alu instid0(VALU_DEP_2) | instskip(NEXT) | instid1(VALU_DEP_2)
	v_lshlrev_b32_e32 v3, v9, v3
	v_cndmask_b32_e32 v7, v10, v7, vcc_lo
	s_delay_alu instid0(VALU_DEP_2) | instskip(NEXT) | instid1(VALU_DEP_1)
	v_and_b32_e32 v3, 3, v3
	v_cndmask_b32_e32 v3, v5, v3, vcc_lo
	s_delay_alu instid0(VALU_DEP_3) | instskip(NEXT) | instid1(VALU_DEP_2)
	v_lshl_add_u32 v5, v7, 23, 0x37800000
	v_lshlrev_b32_e32 v3, 21, v3
	s_delay_alu instid0(VALU_DEP_1) | instskip(NEXT) | instid1(VALU_DEP_1)
	v_or3_b32 v1, v1, v5, v3
	v_cvt_i32_f32_e32 v10, v1
.LBB38_2341:
	s_or_b32 exec_lo, exec_lo, s19
	s_mov_b32 s19, 0
	s_branch .LBB38_2347
.LBB38_2342:
	s_mov_b32 s19, -1
                                        ; implicit-def: $vgpr10
	s_branch .LBB38_2353
.LBB38_2343:
	s_and_not1_saveexec_b32 s20, s20
	s_cbranch_execz .LBB38_2328
.LBB38_2344:
	v_cmp_ne_u16_e32 vcc_lo, 0, v1
	s_and_not1_b32 s21, s21, exec_lo
	s_and_b32 s22, vcc_lo, exec_lo
	s_delay_alu instid0(SALU_CYCLE_1)
	s_or_b32 s21, s21, s22
	s_or_b32 exec_lo, exec_lo, s20
	v_mov_b32_e32 v10, 0
	s_and_saveexec_b32 s20, s21
	s_cbranch_execnz .LBB38_2329
	s_branch .LBB38_2330
.LBB38_2345:
	s_mov_b32 s19, -1
                                        ; implicit-def: $vgpr10
	s_branch .LBB38_2350
.LBB38_2346:
	s_mov_b32 s19, -1
                                        ; implicit-def: $vgpr10
.LBB38_2347:
	s_delay_alu instid0(SALU_CYCLE_1)
	s_and_b32 vcc_lo, exec_lo, s19
	s_cbranch_vccz .LBB38_2349
; %bb.2348:
	s_wait_loadcnt 0x0
	global_load_u8 v1, v[16:17], off
	s_wait_loadcnt 0x0
	v_lshlrev_b32_e32 v1, 24, v1
	s_delay_alu instid0(VALU_DEP_1) | instskip(NEXT) | instid1(VALU_DEP_1)
	v_and_b32_e32 v3, 0x7f000000, v1
	v_clz_i32_u32_e32 v5, v3
	v_add_nc_u32_e32 v9, 0x1000000, v3
	v_cmp_ne_u32_e32 vcc_lo, 0, v3
	s_delay_alu instid0(VALU_DEP_3) | instskip(NEXT) | instid1(VALU_DEP_1)
	v_min_u32_e32 v5, 32, v5
	v_sub_nc_u32_e64 v5, v5, 4 clamp
	s_delay_alu instid0(VALU_DEP_1) | instskip(NEXT) | instid1(VALU_DEP_1)
	v_dual_lshlrev_b32 v7, v5, v3 :: v_dual_lshlrev_b32 v5, 23, v5
	v_lshrrev_b32_e32 v7, 4, v7
	s_delay_alu instid0(VALU_DEP_1) | instskip(SKIP_1) | instid1(VALU_DEP_2)
	v_sub_nc_u32_e32 v5, v7, v5
	v_ashrrev_i32_e32 v7, 8, v9
	v_add_nc_u32_e32 v5, 0x3c000000, v5
	s_delay_alu instid0(VALU_DEP_1) | instskip(NEXT) | instid1(VALU_DEP_1)
	v_and_or_b32 v5, 0x7f800000, v7, v5
	v_cndmask_b32_e32 v3, 0, v5, vcc_lo
	s_delay_alu instid0(VALU_DEP_1) | instskip(NEXT) | instid1(VALU_DEP_1)
	v_and_or_b32 v1, 0x80000000, v1, v3
	v_cvt_i32_f32_e32 v10, v1
.LBB38_2349:
	s_mov_b32 s19, 0
.LBB38_2350:
	s_delay_alu instid0(SALU_CYCLE_1)
	s_and_not1_b32 vcc_lo, exec_lo, s19
	s_cbranch_vccnz .LBB38_2352
; %bb.2351:
	s_wait_loadcnt 0x0
	global_load_u8 v1, v[16:17], off
	s_wait_loadcnt 0x0
	v_lshlrev_b32_e32 v3, 25, v1
	v_lshlrev_b16 v1, 8, v1
	s_delay_alu instid0(VALU_DEP_1) | instskip(SKIP_1) | instid1(VALU_DEP_2)
	v_and_or_b32 v7, 0x7f00, v1, 0.5
	v_bfe_i32 v1, v1, 0, 16
	v_add_f32_e32 v7, -0.5, v7
	v_lshrrev_b32_e32 v5, 4, v3
	v_cmp_gt_u32_e32 vcc_lo, 0x8000000, v3
	s_delay_alu instid0(VALU_DEP_2) | instskip(NEXT) | instid1(VALU_DEP_1)
	v_or_b32_e32 v5, 0x70000000, v5
	v_mul_f32_e32 v5, 0x7800000, v5
	s_delay_alu instid0(VALU_DEP_1) | instskip(NEXT) | instid1(VALU_DEP_1)
	v_cndmask_b32_e32 v3, v5, v7, vcc_lo
	v_and_or_b32 v1, 0x80000000, v1, v3
	s_delay_alu instid0(VALU_DEP_1)
	v_cvt_i32_f32_e32 v10, v1
.LBB38_2352:
	s_mov_b32 s19, 0
	s_mov_b32 s20, -1
.LBB38_2353:
	s_and_not1_b32 vcc_lo, exec_lo, s19
	s_mov_b32 s19, 0
	s_cbranch_vccnz .LBB38_2364
; %bb.2354:
	s_cmp_gt_i32 s12, 14
	s_cbranch_scc0 .LBB38_2357
; %bb.2355:
	s_cmp_eq_u32 s12, 15
	s_cbranch_scc0 .LBB38_2360
; %bb.2356:
	s_wait_loadcnt 0x0
	global_load_u16 v1, v[16:17], off
	s_mov_b32 s18, 0
	s_mov_b32 s20, -1
	s_wait_loadcnt 0x0
	v_lshlrev_b32_e32 v1, 16, v1
	s_delay_alu instid0(VALU_DEP_1)
	v_cvt_i32_f32_e32 v10, v1
	s_branch .LBB38_2362
.LBB38_2357:
	s_mov_b32 s19, -1
	s_branch .LBB38_2361
.LBB38_2358:
	s_and_not1_saveexec_b32 s19, s19
	s_cbranch_execz .LBB38_2339
.LBB38_2359:
	v_cmp_ne_u16_e32 vcc_lo, 0, v1
	s_and_not1_b32 s20, s20, exec_lo
	s_and_b32 s21, vcc_lo, exec_lo
	s_delay_alu instid0(SALU_CYCLE_1)
	s_or_b32 s20, s20, s21
	s_or_b32 exec_lo, exec_lo, s19
	v_mov_b32_e32 v10, 0
	s_and_saveexec_b32 s19, s20
	s_cbranch_execnz .LBB38_2340
	s_branch .LBB38_2341
.LBB38_2360:
	s_mov_b32 s18, -1
.LBB38_2361:
                                        ; implicit-def: $vgpr10
.LBB38_2362:
	s_and_b32 vcc_lo, exec_lo, s19
	s_mov_b32 s19, 0
	s_cbranch_vccz .LBB38_2364
; %bb.2363:
	s_cmp_lg_u32 s12, 11
	s_mov_b32 s19, -1
	s_cselect_b32 s18, -1, 0
.LBB38_2364:
	s_delay_alu instid0(SALU_CYCLE_1)
	s_and_b32 vcc_lo, exec_lo, s18
	s_cbranch_vccnz .LBB38_2448
; %bb.2365:
	s_and_not1_b32 vcc_lo, exec_lo, s19
	s_cbranch_vccnz .LBB38_2367
.LBB38_2366:
	s_wait_loadcnt 0x0
	global_load_u8 v1, v[16:17], off
	s_mov_b32 s20, -1
	s_wait_loadcnt 0x0
	v_cmp_ne_u16_e32 vcc_lo, 0, v1
	v_cndmask_b32_e64 v10, 0, 1, vcc_lo
.LBB38_2367:
	s_mov_b32 s12, 0
.LBB38_2368:
	s_delay_alu instid0(SALU_CYCLE_1)
	s_and_b32 vcc_lo, exec_lo, s12
	s_cbranch_vccz .LBB38_2417
; %bb.2369:
	s_and_b32 s12, 0xffff, s7
	s_delay_alu instid0(SALU_CYCLE_1)
	s_cmp_lt_i32 s12, 5
	s_cbranch_scc1 .LBB38_2374
; %bb.2370:
	s_cmp_lt_i32 s12, 8
	s_cbranch_scc1 .LBB38_2375
; %bb.2371:
	;; [unrolled: 3-line block ×3, first 2 shown]
	s_cmp_gt_i32 s12, 9
	s_cbranch_scc0 .LBB38_2377
; %bb.2373:
	s_wait_loadcnt 0x0
	global_load_b64 v[10:11], v[16:17], off
	s_mov_b32 s18, 0
	s_wait_loadcnt 0x0
	v_cvt_i32_f64_e32 v10, v[10:11]
	s_branch .LBB38_2378
.LBB38_2374:
	s_mov_b32 s18, -1
                                        ; implicit-def: $vgpr10
	s_branch .LBB38_2396
.LBB38_2375:
	s_mov_b32 s18, -1
                                        ; implicit-def: $vgpr10
	s_branch .LBB38_2384
.LBB38_2376:
	s_mov_b32 s18, -1
                                        ; implicit-def: $vgpr10
	s_branch .LBB38_2381
.LBB38_2377:
	s_mov_b32 s18, -1
                                        ; implicit-def: $vgpr10
.LBB38_2378:
	s_delay_alu instid0(SALU_CYCLE_1)
	s_and_not1_b32 vcc_lo, exec_lo, s18
	s_cbranch_vccnz .LBB38_2380
; %bb.2379:
	s_wait_loadcnt 0x0
	global_load_b32 v1, v[16:17], off
	s_wait_loadcnt 0x0
	v_cvt_i32_f32_e32 v10, v1
.LBB38_2380:
	s_mov_b32 s18, 0
.LBB38_2381:
	s_delay_alu instid0(SALU_CYCLE_1)
	s_and_not1_b32 vcc_lo, exec_lo, s18
	s_cbranch_vccnz .LBB38_2383
; %bb.2382:
	s_wait_loadcnt 0x0
	global_load_b32 v1, v[16:17], off
	s_wait_loadcnt 0x0
	v_cvt_i16_f16_e32 v10, v1
.LBB38_2383:
	s_mov_b32 s18, 0
.LBB38_2384:
	s_delay_alu instid0(SALU_CYCLE_1)
	s_and_not1_b32 vcc_lo, exec_lo, s18
	s_cbranch_vccnz .LBB38_2395
; %bb.2385:
	s_cmp_lt_i32 s12, 6
	s_cbranch_scc1 .LBB38_2388
; %bb.2386:
	s_cmp_gt_i32 s12, 6
	s_cbranch_scc0 .LBB38_2389
; %bb.2387:
	s_wait_loadcnt 0x0
	global_load_b64 v[10:11], v[16:17], off
	s_mov_b32 s18, 0
	s_wait_loadcnt 0x0
	v_cvt_i32_f64_e32 v10, v[10:11]
	s_branch .LBB38_2390
.LBB38_2388:
	s_mov_b32 s18, -1
                                        ; implicit-def: $vgpr10
	s_branch .LBB38_2393
.LBB38_2389:
	s_mov_b32 s18, -1
                                        ; implicit-def: $vgpr10
.LBB38_2390:
	s_delay_alu instid0(SALU_CYCLE_1)
	s_and_not1_b32 vcc_lo, exec_lo, s18
	s_cbranch_vccnz .LBB38_2392
; %bb.2391:
	s_wait_loadcnt 0x0
	global_load_b32 v1, v[16:17], off
	s_wait_loadcnt 0x0
	v_cvt_i32_f32_e32 v10, v1
.LBB38_2392:
	s_mov_b32 s18, 0
.LBB38_2393:
	s_delay_alu instid0(SALU_CYCLE_1)
	s_and_not1_b32 vcc_lo, exec_lo, s18
	s_cbranch_vccnz .LBB38_2395
; %bb.2394:
	s_wait_loadcnt 0x0
	global_load_u16 v1, v[16:17], off
	s_wait_loadcnt 0x0
	v_cvt_i16_f16_e32 v10, v1
.LBB38_2395:
	s_mov_b32 s18, 0
.LBB38_2396:
	s_delay_alu instid0(SALU_CYCLE_1)
	s_and_not1_b32 vcc_lo, exec_lo, s18
	s_cbranch_vccnz .LBB38_2416
; %bb.2397:
	s_cmp_lt_i32 s12, 2
	s_cbranch_scc1 .LBB38_2401
; %bb.2398:
	s_cmp_lt_i32 s12, 3
	s_cbranch_scc1 .LBB38_2402
; %bb.2399:
	s_cmp_gt_i32 s12, 3
	s_cbranch_scc0 .LBB38_2403
; %bb.2400:
	s_wait_loadcnt 0x0
	global_load_b64 v[10:11], v[16:17], off
	s_mov_b32 s18, 0
	s_branch .LBB38_2404
.LBB38_2401:
	s_mov_b32 s18, -1
                                        ; implicit-def: $vgpr10
	s_branch .LBB38_2410
.LBB38_2402:
	s_mov_b32 s18, -1
                                        ; implicit-def: $vgpr10
	s_branch .LBB38_2407
.LBB38_2403:
	s_mov_b32 s18, -1
                                        ; implicit-def: $vgpr10
.LBB38_2404:
	s_delay_alu instid0(SALU_CYCLE_1)
	s_and_not1_b32 vcc_lo, exec_lo, s18
	s_cbranch_vccnz .LBB38_2406
; %bb.2405:
	s_wait_loadcnt 0x0
	global_load_b32 v10, v[16:17], off
.LBB38_2406:
	s_mov_b32 s18, 0
.LBB38_2407:
	s_delay_alu instid0(SALU_CYCLE_1)
	s_and_not1_b32 vcc_lo, exec_lo, s18
	s_cbranch_vccnz .LBB38_2409
; %bb.2408:
	s_wait_loadcnt 0x0
	global_load_u16 v10, v[16:17], off
.LBB38_2409:
	s_mov_b32 s18, 0
.LBB38_2410:
	s_delay_alu instid0(SALU_CYCLE_1)
	s_and_not1_b32 vcc_lo, exec_lo, s18
	s_cbranch_vccnz .LBB38_2416
; %bb.2411:
	s_cmp_gt_i32 s12, 0
	s_mov_b32 s12, 0
	s_cbranch_scc0 .LBB38_2413
; %bb.2412:
	s_wait_loadcnt 0x0
	global_load_u8 v10, v[16:17], off
	s_branch .LBB38_2414
.LBB38_2413:
	s_mov_b32 s12, -1
                                        ; implicit-def: $vgpr10
.LBB38_2414:
	s_delay_alu instid0(SALU_CYCLE_1)
	s_and_not1_b32 vcc_lo, exec_lo, s12
	s_cbranch_vccnz .LBB38_2416
; %bb.2415:
	s_wait_loadcnt 0x0
	global_load_u8 v10, v[16:17], off
.LBB38_2416:
	s_mov_b32 s20, -1
.LBB38_2417:
	s_delay_alu instid0(SALU_CYCLE_1)
	s_and_not1_b32 vcc_lo, exec_lo, s20
	s_cbranch_vccnz .LBB38_3126
; %bb.2418:
	s_cmp_lt_i32 s15, 23
	s_cbranch_scc1 .LBB38_2422
; %bb.2419:
	s_and_b32 s19, 0xffff, s15
	s_delay_alu instid0(SALU_CYCLE_1)
	s_cmp_gt_i32 s19, 43
	s_cbranch_scc0 .LBB38_2423
; %bb.2420:
	s_cmp_gt_i32 s19, 45
	s_cbranch_scc0 .LBB38_2424
; %bb.2421:
	s_cmp_lg_u32 s19, 46
	s_mov_b32 s20, 0
	s_mov_b32 s12, -1
	s_cselect_b32 s18, -1, 0
	s_branch .LBB38_2425
.LBB38_2422:
	s_mov_b32 s19, -1
	s_mov_b32 s12, 0
	s_mov_b32 s18, 0
	s_branch .LBB38_2431
.LBB38_2423:
	s_mov_b32 s20, -1
	s_mov_b32 s12, 0
	s_mov_b32 s18, 0
	s_branch .LBB38_2428
.LBB38_2424:
	s_mov_b32 s20, -1
	s_mov_b32 s12, 0
	s_mov_b32 s18, 0
.LBB38_2425:
	s_and_not1_b32 vcc_lo, exec_lo, s20
	s_cbranch_vccnz .LBB38_2427
; %bb.2426:
	s_cmp_eq_u32 s19, 44
	s_cselect_b32 s12, -1, 0
	s_cmp_lg_u32 s19, 44
	s_cselect_b32 s18, -1, 0
.LBB38_2427:
	s_mov_b32 s20, 0
.LBB38_2428:
	s_delay_alu instid0(SALU_CYCLE_1)
	s_and_b32 vcc_lo, exec_lo, s20
	s_cbranch_vccz .LBB38_2430
; %bb.2429:
	s_cmp_lt_i32 s19, 30
	s_cselect_b32 s12, -1, 0
	s_cmp_gt_i32 s19, 29
	s_cselect_b32 s18, -1, 0
.LBB38_2430:
	s_mov_b32 s19, 0
.LBB38_2431:
	s_delay_alu instid0(SALU_CYCLE_1)
	s_and_b32 vcc_lo, exec_lo, s19
	s_cbranch_vccz .LBB38_2436
; %bb.2432:
	s_and_b32 s15, 0xffff, s15
	s_mov_b32 s19, -1
	s_cmp_gt_i32 s15, 14
	s_cbranch_scc0 .LBB38_2434
; %bb.2433:
	s_cmp_eq_u32 s15, 15
	s_mov_b32 s19, 0
	s_cselect_b32 s12, -1, 0
	s_cmp_lg_u32 s15, 15
	s_cselect_b32 s18, -1, 0
.LBB38_2434:
	s_and_not1_b32 vcc_lo, exec_lo, s19
	s_cbranch_vccnz .LBB38_2436
; %bb.2435:
	s_cmp_lt_i32 s15, 12
	s_cselect_b32 s12, -1, 0
	s_cmp_gt_i32 s15, 11
	s_cselect_b32 s18, -1, 0
.LBB38_2436:
	s_delay_alu instid0(SALU_CYCLE_1)
	s_and_b32 vcc_lo, exec_lo, s18
	s_cbranch_vccnz .LBB38_2449
; %bb.2437:
	s_and_not1_b32 vcc_lo, exec_lo, s12
	s_cbranch_vccnz .LBB38_3126
.LBB38_2438:
	v_add_nc_u32_e32 v12, s4, v12
	s_cmp_lt_i32 s0, 11
	s_delay_alu instid0(VALU_DEP_1) | instskip(SKIP_1) | instid1(VALU_DEP_1)
	v_ashrrev_i32_e32 v13, 31, v12
	s_wait_xcnt 0x0
	v_add_nc_u64_e32 v[16:17], s[8:9], v[12:13]
	s_cbranch_scc1 .LBB38_2445
; %bb.2439:
	s_and_b32 s4, 0xffff, s0
	s_mov_b32 s9, 0
	s_cmp_gt_i32 s4, 25
	s_cbranch_scc0 .LBB38_2446
; %bb.2440:
	s_cmp_gt_i32 s4, 28
	s_cbranch_scc0 .LBB38_2447
; %bb.2441:
	;; [unrolled: 3-line block ×4, first 2 shown]
	s_cmp_eq_u32 s4, 46
	s_mov_b32 s15, 0
	s_cbranch_scc0 .LBB38_2452
; %bb.2444:
	s_wait_loadcnt 0x0
	global_load_b32 v1, v[16:17], off
	s_mov_b32 s8, 0
	s_mov_b32 s12, -1
	s_wait_loadcnt 0x0
	v_lshlrev_b32_e32 v1, 16, v1
	s_delay_alu instid0(VALU_DEP_1)
	v_cvt_i32_f32_e32 v12, v1
	s_branch .LBB38_2454
.LBB38_2445:
	s_mov_b32 s4, -1
	s_mov_b32 s12, 0
                                        ; implicit-def: $vgpr12
	s_branch .LBB38_2516
.LBB38_2446:
	s_mov_b32 s15, -1
	s_mov_b32 s12, 0
	s_mov_b32 s8, 0
                                        ; implicit-def: $vgpr12
	s_branch .LBB38_2481
.LBB38_2447:
	s_mov_b32 s15, -1
	s_mov_b32 s12, 0
	s_mov_b32 s8, 0
                                        ; implicit-def: $vgpr12
	s_branch .LBB38_2464
.LBB38_2448:
	s_or_b32 s13, s13, exec_lo
	s_trap 2
	s_cbranch_execz .LBB38_2366
	s_branch .LBB38_2367
.LBB38_2449:
	s_or_b32 s13, s13, exec_lo
	s_trap 2
	s_cbranch_execz .LBB38_2438
	s_branch .LBB38_3126
.LBB38_2450:
	s_mov_b32 s15, -1
	s_mov_b32 s12, 0
	s_mov_b32 s8, 0
                                        ; implicit-def: $vgpr12
	s_branch .LBB38_2459
.LBB38_2451:
	s_mov_b32 s15, -1
	s_mov_b32 s12, 0
	s_mov_b32 s8, 0
	s_branch .LBB38_2453
.LBB38_2452:
	s_mov_b32 s8, -1
	s_mov_b32 s12, 0
.LBB38_2453:
                                        ; implicit-def: $vgpr12
.LBB38_2454:
	s_and_b32 vcc_lo, exec_lo, s15
	s_cbranch_vccz .LBB38_2458
; %bb.2455:
	s_cmp_eq_u32 s4, 44
	s_cbranch_scc0 .LBB38_2457
; %bb.2456:
	s_wait_loadcnt 0x0
	global_load_u8 v1, v[16:17], off
	s_mov_b32 s8, 0
	s_mov_b32 s12, -1
	s_wait_loadcnt 0x0
	v_lshlrev_b32_e32 v3, 23, v1
	v_cmp_ne_u32_e32 vcc_lo, 0, v1
	s_delay_alu instid0(VALU_DEP_2) | instskip(NEXT) | instid1(VALU_DEP_1)
	v_cvt_i32_f32_e32 v3, v3
	v_cndmask_b32_e32 v12, 0, v3, vcc_lo
	s_branch .LBB38_2458
.LBB38_2457:
	s_mov_b32 s8, -1
                                        ; implicit-def: $vgpr12
.LBB38_2458:
	s_mov_b32 s15, 0
.LBB38_2459:
	s_delay_alu instid0(SALU_CYCLE_1)
	s_and_b32 vcc_lo, exec_lo, s15
	s_cbranch_vccz .LBB38_2463
; %bb.2460:
	s_cmp_eq_u32 s4, 29
	s_cbranch_scc0 .LBB38_2462
; %bb.2461:
	global_load_b64 v[12:13], v[16:17], off
	s_mov_b32 s8, 0
	s_mov_b32 s12, -1
	s_branch .LBB38_2463
.LBB38_2462:
	s_mov_b32 s8, -1
                                        ; implicit-def: $vgpr12
.LBB38_2463:
	s_mov_b32 s15, 0
.LBB38_2464:
	s_delay_alu instid0(SALU_CYCLE_1)
	s_and_b32 vcc_lo, exec_lo, s15
	s_cbranch_vccz .LBB38_2480
; %bb.2465:
	s_cmp_lt_i32 s4, 27
	s_cbranch_scc1 .LBB38_2468
; %bb.2466:
	s_cmp_gt_i32 s4, 27
	s_cbranch_scc0 .LBB38_2469
; %bb.2467:
	s_wait_loadcnt 0x0
	global_load_b32 v12, v[16:17], off
	s_mov_b32 s12, 0
	s_branch .LBB38_2470
.LBB38_2468:
	s_mov_b32 s12, -1
                                        ; implicit-def: $vgpr12
	s_branch .LBB38_2473
.LBB38_2469:
	s_mov_b32 s12, -1
                                        ; implicit-def: $vgpr12
.LBB38_2470:
	s_delay_alu instid0(SALU_CYCLE_1)
	s_and_not1_b32 vcc_lo, exec_lo, s12
	s_cbranch_vccnz .LBB38_2472
; %bb.2471:
	s_wait_loadcnt 0x0
	global_load_u16 v12, v[16:17], off
.LBB38_2472:
	s_mov_b32 s12, 0
.LBB38_2473:
	s_delay_alu instid0(SALU_CYCLE_1)
	s_and_not1_b32 vcc_lo, exec_lo, s12
	s_cbranch_vccnz .LBB38_2479
; %bb.2474:
	s_wait_loadcnt 0x0
	global_load_u8 v1, v[16:17], off
	s_mov_b32 s15, 0
	s_mov_b32 s12, exec_lo
	s_wait_loadcnt 0x0
	v_cmpx_lt_i16_e32 0x7f, v1
	s_xor_b32 s12, exec_lo, s12
	s_cbranch_execz .LBB38_2491
; %bb.2475:
	v_cmp_ne_u16_e32 vcc_lo, 0x80, v1
	s_and_b32 s15, vcc_lo, exec_lo
	s_and_not1_saveexec_b32 s12, s12
	s_cbranch_execnz .LBB38_2492
.LBB38_2476:
	s_or_b32 exec_lo, exec_lo, s12
	v_mov_b32_e32 v12, 0
	s_and_saveexec_b32 s12, s15
	s_cbranch_execz .LBB38_2478
.LBB38_2477:
	v_and_b32_e32 v3, 0xffff, v1
	s_delay_alu instid0(VALU_DEP_1) | instskip(SKIP_1) | instid1(VALU_DEP_2)
	v_dual_lshlrev_b32 v1, 24, v1 :: v_dual_bitop2_b32 v5, 7, v3 bitop3:0x40
	v_bfe_u32 v11, v3, 3, 4
	v_and_b32_e32 v1, 0x80000000, v1
	s_delay_alu instid0(VALU_DEP_3) | instskip(NEXT) | instid1(VALU_DEP_3)
	v_clz_i32_u32_e32 v7, v5
	v_cmp_eq_u32_e32 vcc_lo, 0, v11
	s_delay_alu instid0(VALU_DEP_2) | instskip(NEXT) | instid1(VALU_DEP_1)
	v_min_u32_e32 v7, 32, v7
	v_subrev_nc_u32_e32 v9, 28, v7
	v_sub_nc_u32_e32 v7, 29, v7
	s_delay_alu instid0(VALU_DEP_2) | instskip(NEXT) | instid1(VALU_DEP_2)
	v_lshlrev_b32_e32 v3, v9, v3
	v_cndmask_b32_e32 v7, v11, v7, vcc_lo
	s_delay_alu instid0(VALU_DEP_2) | instskip(NEXT) | instid1(VALU_DEP_1)
	v_and_b32_e32 v3, 7, v3
	v_cndmask_b32_e32 v3, v5, v3, vcc_lo
	s_delay_alu instid0(VALU_DEP_3) | instskip(NEXT) | instid1(VALU_DEP_2)
	v_lshl_add_u32 v5, v7, 23, 0x3b800000
	v_lshlrev_b32_e32 v3, 20, v3
	s_delay_alu instid0(VALU_DEP_1) | instskip(NEXT) | instid1(VALU_DEP_1)
	v_or3_b32 v1, v1, v5, v3
	v_cvt_i32_f32_e32 v12, v1
.LBB38_2478:
	s_or_b32 exec_lo, exec_lo, s12
.LBB38_2479:
	s_mov_b32 s12, -1
.LBB38_2480:
	s_mov_b32 s15, 0
.LBB38_2481:
	s_delay_alu instid0(SALU_CYCLE_1)
	s_and_b32 vcc_lo, exec_lo, s15
	s_cbranch_vccz .LBB38_2512
; %bb.2482:
	s_cmp_gt_i32 s4, 22
	s_cbranch_scc0 .LBB38_2490
; %bb.2483:
	s_cmp_lt_i32 s4, 24
	s_cbranch_scc1 .LBB38_2493
; %bb.2484:
	s_cmp_gt_i32 s4, 24
	s_cbranch_scc0 .LBB38_2494
; %bb.2485:
	s_wait_loadcnt 0x0
	global_load_u8 v1, v[16:17], off
	s_mov_b32 s12, 0
	s_mov_b32 s9, exec_lo
	s_wait_loadcnt 0x0
	v_cmpx_lt_i16_e32 0x7f, v1
	s_xor_b32 s9, exec_lo, s9
	s_cbranch_execz .LBB38_2506
; %bb.2486:
	v_cmp_ne_u16_e32 vcc_lo, 0x80, v1
	s_and_b32 s12, vcc_lo, exec_lo
	s_and_not1_saveexec_b32 s9, s9
	s_cbranch_execnz .LBB38_2507
.LBB38_2487:
	s_or_b32 exec_lo, exec_lo, s9
	v_mov_b32_e32 v12, 0
	s_and_saveexec_b32 s9, s12
	s_cbranch_execz .LBB38_2489
.LBB38_2488:
	v_and_b32_e32 v3, 0xffff, v1
	s_delay_alu instid0(VALU_DEP_1) | instskip(SKIP_1) | instid1(VALU_DEP_2)
	v_dual_lshlrev_b32 v1, 24, v1 :: v_dual_bitop2_b32 v5, 3, v3 bitop3:0x40
	v_bfe_u32 v11, v3, 2, 5
	v_and_b32_e32 v1, 0x80000000, v1
	s_delay_alu instid0(VALU_DEP_3) | instskip(NEXT) | instid1(VALU_DEP_3)
	v_clz_i32_u32_e32 v7, v5
	v_cmp_eq_u32_e32 vcc_lo, 0, v11
	s_delay_alu instid0(VALU_DEP_2) | instskip(NEXT) | instid1(VALU_DEP_1)
	v_min_u32_e32 v7, 32, v7
	v_subrev_nc_u32_e32 v9, 29, v7
	v_sub_nc_u32_e32 v7, 30, v7
	s_delay_alu instid0(VALU_DEP_2) | instskip(NEXT) | instid1(VALU_DEP_2)
	v_lshlrev_b32_e32 v3, v9, v3
	v_cndmask_b32_e32 v7, v11, v7, vcc_lo
	s_delay_alu instid0(VALU_DEP_2) | instskip(NEXT) | instid1(VALU_DEP_1)
	v_and_b32_e32 v3, 3, v3
	v_cndmask_b32_e32 v3, v5, v3, vcc_lo
	s_delay_alu instid0(VALU_DEP_3) | instskip(NEXT) | instid1(VALU_DEP_2)
	v_lshl_add_u32 v5, v7, 23, 0x37800000
	v_lshlrev_b32_e32 v3, 21, v3
	s_delay_alu instid0(VALU_DEP_1) | instskip(NEXT) | instid1(VALU_DEP_1)
	v_or3_b32 v1, v1, v5, v3
	v_cvt_i32_f32_e32 v12, v1
.LBB38_2489:
	s_or_b32 exec_lo, exec_lo, s9
	s_mov_b32 s9, 0
	s_branch .LBB38_2495
.LBB38_2490:
	s_mov_b32 s9, -1
                                        ; implicit-def: $vgpr12
	s_branch .LBB38_2501
.LBB38_2491:
	s_and_not1_saveexec_b32 s12, s12
	s_cbranch_execz .LBB38_2476
.LBB38_2492:
	v_cmp_ne_u16_e32 vcc_lo, 0, v1
	s_and_not1_b32 s15, s15, exec_lo
	s_and_b32 s18, vcc_lo, exec_lo
	s_delay_alu instid0(SALU_CYCLE_1)
	s_or_b32 s15, s15, s18
	s_or_b32 exec_lo, exec_lo, s12
	v_mov_b32_e32 v12, 0
	s_and_saveexec_b32 s12, s15
	s_cbranch_execnz .LBB38_2477
	s_branch .LBB38_2478
.LBB38_2493:
	s_mov_b32 s9, -1
                                        ; implicit-def: $vgpr12
	s_branch .LBB38_2498
.LBB38_2494:
	s_mov_b32 s9, -1
                                        ; implicit-def: $vgpr12
.LBB38_2495:
	s_delay_alu instid0(SALU_CYCLE_1)
	s_and_b32 vcc_lo, exec_lo, s9
	s_cbranch_vccz .LBB38_2497
; %bb.2496:
	s_wait_loadcnt 0x0
	global_load_u8 v1, v[16:17], off
	s_wait_loadcnt 0x0
	v_lshlrev_b32_e32 v1, 24, v1
	s_delay_alu instid0(VALU_DEP_1) | instskip(NEXT) | instid1(VALU_DEP_1)
	v_and_b32_e32 v3, 0x7f000000, v1
	v_clz_i32_u32_e32 v5, v3
	v_add_nc_u32_e32 v9, 0x1000000, v3
	v_cmp_ne_u32_e32 vcc_lo, 0, v3
	s_delay_alu instid0(VALU_DEP_3) | instskip(NEXT) | instid1(VALU_DEP_1)
	v_min_u32_e32 v5, 32, v5
	v_sub_nc_u32_e64 v5, v5, 4 clamp
	s_delay_alu instid0(VALU_DEP_1) | instskip(NEXT) | instid1(VALU_DEP_1)
	v_dual_lshlrev_b32 v7, v5, v3 :: v_dual_lshlrev_b32 v5, 23, v5
	v_lshrrev_b32_e32 v7, 4, v7
	s_delay_alu instid0(VALU_DEP_1) | instskip(SKIP_1) | instid1(VALU_DEP_2)
	v_sub_nc_u32_e32 v5, v7, v5
	v_ashrrev_i32_e32 v7, 8, v9
	v_add_nc_u32_e32 v5, 0x3c000000, v5
	s_delay_alu instid0(VALU_DEP_1) | instskip(NEXT) | instid1(VALU_DEP_1)
	v_and_or_b32 v5, 0x7f800000, v7, v5
	v_cndmask_b32_e32 v3, 0, v5, vcc_lo
	s_delay_alu instid0(VALU_DEP_1) | instskip(NEXT) | instid1(VALU_DEP_1)
	v_and_or_b32 v1, 0x80000000, v1, v3
	v_cvt_i32_f32_e32 v12, v1
.LBB38_2497:
	s_mov_b32 s9, 0
.LBB38_2498:
	s_delay_alu instid0(SALU_CYCLE_1)
	s_and_not1_b32 vcc_lo, exec_lo, s9
	s_cbranch_vccnz .LBB38_2500
; %bb.2499:
	s_wait_loadcnt 0x0
	global_load_u8 v1, v[16:17], off
	s_wait_loadcnt 0x0
	v_lshlrev_b32_e32 v3, 25, v1
	v_lshlrev_b16 v1, 8, v1
	s_delay_alu instid0(VALU_DEP_1) | instskip(SKIP_1) | instid1(VALU_DEP_2)
	v_and_or_b32 v7, 0x7f00, v1, 0.5
	v_bfe_i32 v1, v1, 0, 16
	v_add_f32_e32 v7, -0.5, v7
	v_lshrrev_b32_e32 v5, 4, v3
	v_cmp_gt_u32_e32 vcc_lo, 0x8000000, v3
	s_delay_alu instid0(VALU_DEP_2) | instskip(NEXT) | instid1(VALU_DEP_1)
	v_or_b32_e32 v5, 0x70000000, v5
	v_mul_f32_e32 v5, 0x7800000, v5
	s_delay_alu instid0(VALU_DEP_1) | instskip(NEXT) | instid1(VALU_DEP_1)
	v_cndmask_b32_e32 v3, v5, v7, vcc_lo
	v_and_or_b32 v1, 0x80000000, v1, v3
	s_delay_alu instid0(VALU_DEP_1)
	v_cvt_i32_f32_e32 v12, v1
.LBB38_2500:
	s_mov_b32 s9, 0
	s_mov_b32 s12, -1
.LBB38_2501:
	s_and_not1_b32 vcc_lo, exec_lo, s9
	s_mov_b32 s9, 0
	s_cbranch_vccnz .LBB38_2512
; %bb.2502:
	s_cmp_gt_i32 s4, 14
	s_cbranch_scc0 .LBB38_2505
; %bb.2503:
	s_cmp_eq_u32 s4, 15
	s_cbranch_scc0 .LBB38_2508
; %bb.2504:
	s_wait_loadcnt 0x0
	global_load_u16 v1, v[16:17], off
	s_mov_b32 s8, 0
	s_mov_b32 s12, -1
	s_wait_loadcnt 0x0
	v_lshlrev_b32_e32 v1, 16, v1
	s_delay_alu instid0(VALU_DEP_1)
	v_cvt_i32_f32_e32 v12, v1
	s_branch .LBB38_2510
.LBB38_2505:
	s_mov_b32 s9, -1
	s_branch .LBB38_2509
.LBB38_2506:
	s_and_not1_saveexec_b32 s9, s9
	s_cbranch_execz .LBB38_2487
.LBB38_2507:
	v_cmp_ne_u16_e32 vcc_lo, 0, v1
	s_and_not1_b32 s12, s12, exec_lo
	s_and_b32 s15, vcc_lo, exec_lo
	s_delay_alu instid0(SALU_CYCLE_1)
	s_or_b32 s12, s12, s15
	s_or_b32 exec_lo, exec_lo, s9
	v_mov_b32_e32 v12, 0
	s_and_saveexec_b32 s9, s12
	s_cbranch_execnz .LBB38_2488
	s_branch .LBB38_2489
.LBB38_2508:
	s_mov_b32 s8, -1
.LBB38_2509:
                                        ; implicit-def: $vgpr12
.LBB38_2510:
	s_and_b32 vcc_lo, exec_lo, s9
	s_mov_b32 s9, 0
	s_cbranch_vccz .LBB38_2512
; %bb.2511:
	s_cmp_lg_u32 s4, 11
	s_mov_b32 s9, -1
	s_cselect_b32 s8, -1, 0
.LBB38_2512:
	s_delay_alu instid0(SALU_CYCLE_1)
	s_and_b32 vcc_lo, exec_lo, s8
	s_cbranch_vccnz .LBB38_2577
; %bb.2513:
	s_and_not1_b32 vcc_lo, exec_lo, s9
	s_cbranch_vccnz .LBB38_2515
.LBB38_2514:
	s_wait_loadcnt 0x0
	global_load_u8 v1, v[16:17], off
	s_mov_b32 s12, -1
	s_wait_loadcnt 0x0
	v_cmp_ne_u16_e32 vcc_lo, 0, v1
	v_cndmask_b32_e64 v12, 0, 1, vcc_lo
.LBB38_2515:
	s_mov_b32 s4, 0
.LBB38_2516:
	s_delay_alu instid0(SALU_CYCLE_1)
	s_and_b32 vcc_lo, exec_lo, s4
	s_cbranch_vccz .LBB38_2565
; %bb.2517:
	s_and_b32 s0, 0xffff, s0
	s_delay_alu instid0(SALU_CYCLE_1)
	s_cmp_lt_i32 s0, 5
	s_cbranch_scc1 .LBB38_2522
; %bb.2518:
	s_cmp_lt_i32 s0, 8
	s_cbranch_scc1 .LBB38_2523
; %bb.2519:
	;; [unrolled: 3-line block ×3, first 2 shown]
	s_cmp_gt_i32 s0, 9
	s_cbranch_scc0 .LBB38_2525
; %bb.2521:
	s_wait_loadcnt 0x0
	global_load_b64 v[12:13], v[16:17], off
	s_mov_b32 s4, 0
	s_wait_loadcnt 0x0
	v_cvt_i32_f64_e32 v12, v[12:13]
	s_branch .LBB38_2526
.LBB38_2522:
	s_mov_b32 s4, -1
                                        ; implicit-def: $vgpr12
	s_branch .LBB38_2544
.LBB38_2523:
	s_mov_b32 s4, -1
                                        ; implicit-def: $vgpr12
	s_branch .LBB38_2532
.LBB38_2524:
	s_mov_b32 s4, -1
                                        ; implicit-def: $vgpr12
	s_branch .LBB38_2529
.LBB38_2525:
	s_mov_b32 s4, -1
                                        ; implicit-def: $vgpr12
.LBB38_2526:
	s_delay_alu instid0(SALU_CYCLE_1)
	s_and_not1_b32 vcc_lo, exec_lo, s4
	s_cbranch_vccnz .LBB38_2528
; %bb.2527:
	s_wait_loadcnt 0x0
	global_load_b32 v1, v[16:17], off
	s_wait_loadcnt 0x0
	v_cvt_i32_f32_e32 v12, v1
.LBB38_2528:
	s_mov_b32 s4, 0
.LBB38_2529:
	s_delay_alu instid0(SALU_CYCLE_1)
	s_and_not1_b32 vcc_lo, exec_lo, s4
	s_cbranch_vccnz .LBB38_2531
; %bb.2530:
	s_wait_loadcnt 0x0
	global_load_b32 v1, v[16:17], off
	s_wait_loadcnt 0x0
	v_cvt_i16_f16_e32 v12, v1
.LBB38_2531:
	s_mov_b32 s4, 0
.LBB38_2532:
	s_delay_alu instid0(SALU_CYCLE_1)
	s_and_not1_b32 vcc_lo, exec_lo, s4
	s_cbranch_vccnz .LBB38_2543
; %bb.2533:
	s_cmp_lt_i32 s0, 6
	s_cbranch_scc1 .LBB38_2536
; %bb.2534:
	s_cmp_gt_i32 s0, 6
	s_cbranch_scc0 .LBB38_2537
; %bb.2535:
	s_wait_loadcnt 0x0
	global_load_b64 v[12:13], v[16:17], off
	s_mov_b32 s4, 0
	s_wait_loadcnt 0x0
	v_cvt_i32_f64_e32 v12, v[12:13]
	s_branch .LBB38_2538
.LBB38_2536:
	s_mov_b32 s4, -1
                                        ; implicit-def: $vgpr12
	s_branch .LBB38_2541
.LBB38_2537:
	s_mov_b32 s4, -1
                                        ; implicit-def: $vgpr12
.LBB38_2538:
	s_delay_alu instid0(SALU_CYCLE_1)
	s_and_not1_b32 vcc_lo, exec_lo, s4
	s_cbranch_vccnz .LBB38_2540
; %bb.2539:
	s_wait_loadcnt 0x0
	global_load_b32 v1, v[16:17], off
	s_wait_loadcnt 0x0
	v_cvt_i32_f32_e32 v12, v1
.LBB38_2540:
	s_mov_b32 s4, 0
.LBB38_2541:
	s_delay_alu instid0(SALU_CYCLE_1)
	s_and_not1_b32 vcc_lo, exec_lo, s4
	s_cbranch_vccnz .LBB38_2543
; %bb.2542:
	s_wait_loadcnt 0x0
	global_load_u16 v1, v[16:17], off
	s_wait_loadcnt 0x0
	v_cvt_i16_f16_e32 v12, v1
.LBB38_2543:
	s_mov_b32 s4, 0
.LBB38_2544:
	s_delay_alu instid0(SALU_CYCLE_1)
	s_and_not1_b32 vcc_lo, exec_lo, s4
	s_cbranch_vccnz .LBB38_2564
; %bb.2545:
	s_cmp_lt_i32 s0, 2
	s_cbranch_scc1 .LBB38_2549
; %bb.2546:
	s_cmp_lt_i32 s0, 3
	s_cbranch_scc1 .LBB38_2550
; %bb.2547:
	s_cmp_gt_i32 s0, 3
	s_cbranch_scc0 .LBB38_2551
; %bb.2548:
	s_wait_loadcnt 0x0
	global_load_b64 v[12:13], v[16:17], off
	s_mov_b32 s4, 0
	s_branch .LBB38_2552
.LBB38_2549:
	s_mov_b32 s4, -1
                                        ; implicit-def: $vgpr12
	s_branch .LBB38_2558
.LBB38_2550:
	s_mov_b32 s4, -1
                                        ; implicit-def: $vgpr12
	s_branch .LBB38_2555
.LBB38_2551:
	s_mov_b32 s4, -1
                                        ; implicit-def: $vgpr12
.LBB38_2552:
	s_delay_alu instid0(SALU_CYCLE_1)
	s_and_not1_b32 vcc_lo, exec_lo, s4
	s_cbranch_vccnz .LBB38_2554
; %bb.2553:
	s_wait_loadcnt 0x0
	global_load_b32 v12, v[16:17], off
.LBB38_2554:
	s_mov_b32 s4, 0
.LBB38_2555:
	s_delay_alu instid0(SALU_CYCLE_1)
	s_and_not1_b32 vcc_lo, exec_lo, s4
	s_cbranch_vccnz .LBB38_2557
; %bb.2556:
	s_wait_loadcnt 0x0
	global_load_u16 v12, v[16:17], off
.LBB38_2557:
	s_mov_b32 s4, 0
.LBB38_2558:
	s_delay_alu instid0(SALU_CYCLE_1)
	s_and_not1_b32 vcc_lo, exec_lo, s4
	s_cbranch_vccnz .LBB38_2564
; %bb.2559:
	s_cmp_gt_i32 s0, 0
	s_mov_b32 s0, 0
	s_cbranch_scc0 .LBB38_2561
; %bb.2560:
	s_wait_loadcnt 0x0
	global_load_u8 v12, v[16:17], off
	s_branch .LBB38_2562
.LBB38_2561:
	s_mov_b32 s0, -1
                                        ; implicit-def: $vgpr12
.LBB38_2562:
	s_delay_alu instid0(SALU_CYCLE_1)
	s_and_not1_b32 vcc_lo, exec_lo, s0
	s_cbranch_vccnz .LBB38_2564
; %bb.2563:
	s_wait_loadcnt 0x0
	global_load_u8 v12, v[16:17], off
.LBB38_2564:
	s_mov_b32 s12, -1
.LBB38_2565:
	s_delay_alu instid0(SALU_CYCLE_1)
	s_and_not1_b32 vcc_lo, exec_lo, s12
	s_cbranch_vccnz .LBB38_3126
; %bb.2566:
	v_add_nc_u32_e32 v14, s5, v14
	s_cmp_lt_i32 s7, 11
	s_delay_alu instid0(VALU_DEP_1) | instskip(SKIP_1) | instid1(VALU_DEP_1)
	v_ashrrev_i32_e32 v15, 31, v14
	s_wait_xcnt 0x0
	v_add_nc_u64_e32 v[16:17], s[10:11], v[14:15]
	s_cbranch_scc1 .LBB38_2573
; %bb.2567:
	s_and_b32 s0, 0xffff, s7
	s_mov_b32 s5, 0
	s_cmp_gt_i32 s0, 25
	s_cbranch_scc0 .LBB38_2574
; %bb.2568:
	s_cmp_gt_i32 s0, 28
	s_cbranch_scc0 .LBB38_2575
; %bb.2569:
	;; [unrolled: 3-line block ×4, first 2 shown]
	s_cmp_eq_u32 s0, 46
	s_mov_b32 s9, 0
	s_cbranch_scc0 .LBB38_2579
; %bb.2572:
	s_wait_loadcnt 0x0
	global_load_b32 v1, v[16:17], off
	s_mov_b32 s4, 0
	s_mov_b32 s8, -1
	s_wait_loadcnt 0x0
	v_lshlrev_b32_e32 v1, 16, v1
	s_delay_alu instid0(VALU_DEP_1)
	v_cvt_i32_f32_e32 v14, v1
	s_branch .LBB38_2581
.LBB38_2573:
	s_mov_b32 s0, -1
	s_mov_b32 s8, 0
                                        ; implicit-def: $vgpr14
	s_branch .LBB38_2643
.LBB38_2574:
	s_mov_b32 s9, -1
	s_mov_b32 s8, 0
	s_mov_b32 s4, 0
                                        ; implicit-def: $vgpr14
	s_branch .LBB38_2608
.LBB38_2575:
	s_mov_b32 s9, -1
	s_mov_b32 s8, 0
	s_mov_b32 s4, 0
                                        ; implicit-def: $vgpr14
	s_branch .LBB38_2591
.LBB38_2576:
	s_mov_b32 s9, -1
	s_mov_b32 s8, 0
	s_mov_b32 s4, 0
                                        ; implicit-def: $vgpr14
	s_branch .LBB38_2586
.LBB38_2577:
	s_or_b32 s13, s13, exec_lo
	s_trap 2
	s_cbranch_execz .LBB38_2514
	s_branch .LBB38_2515
.LBB38_2578:
	s_mov_b32 s9, -1
	s_mov_b32 s8, 0
	s_mov_b32 s4, 0
	s_branch .LBB38_2580
.LBB38_2579:
	s_mov_b32 s4, -1
	s_mov_b32 s8, 0
.LBB38_2580:
                                        ; implicit-def: $vgpr14
.LBB38_2581:
	s_and_b32 vcc_lo, exec_lo, s9
	s_cbranch_vccz .LBB38_2585
; %bb.2582:
	s_cmp_eq_u32 s0, 44
	s_cbranch_scc0 .LBB38_2584
; %bb.2583:
	s_wait_loadcnt 0x0
	global_load_u8 v1, v[16:17], off
	s_mov_b32 s4, 0
	s_mov_b32 s8, -1
	s_wait_loadcnt 0x0
	v_lshlrev_b32_e32 v3, 23, v1
	v_cmp_ne_u32_e32 vcc_lo, 0, v1
	s_delay_alu instid0(VALU_DEP_2) | instskip(NEXT) | instid1(VALU_DEP_1)
	v_cvt_i32_f32_e32 v3, v3
	v_cndmask_b32_e32 v14, 0, v3, vcc_lo
	s_branch .LBB38_2585
.LBB38_2584:
	s_mov_b32 s4, -1
                                        ; implicit-def: $vgpr14
.LBB38_2585:
	s_mov_b32 s9, 0
.LBB38_2586:
	s_delay_alu instid0(SALU_CYCLE_1)
	s_and_b32 vcc_lo, exec_lo, s9
	s_cbranch_vccz .LBB38_2590
; %bb.2587:
	s_cmp_eq_u32 s0, 29
	s_cbranch_scc0 .LBB38_2589
; %bb.2588:
	global_load_b64 v[14:15], v[16:17], off
	s_mov_b32 s4, 0
	s_mov_b32 s8, -1
	s_branch .LBB38_2590
.LBB38_2589:
	s_mov_b32 s4, -1
                                        ; implicit-def: $vgpr14
.LBB38_2590:
	s_mov_b32 s9, 0
.LBB38_2591:
	s_delay_alu instid0(SALU_CYCLE_1)
	s_and_b32 vcc_lo, exec_lo, s9
	s_cbranch_vccz .LBB38_2607
; %bb.2592:
	s_cmp_lt_i32 s0, 27
	s_cbranch_scc1 .LBB38_2595
; %bb.2593:
	s_cmp_gt_i32 s0, 27
	s_cbranch_scc0 .LBB38_2596
; %bb.2594:
	s_wait_loadcnt 0x0
	global_load_b32 v14, v[16:17], off
	s_mov_b32 s8, 0
	s_branch .LBB38_2597
.LBB38_2595:
	s_mov_b32 s8, -1
                                        ; implicit-def: $vgpr14
	s_branch .LBB38_2600
.LBB38_2596:
	s_mov_b32 s8, -1
                                        ; implicit-def: $vgpr14
.LBB38_2597:
	s_delay_alu instid0(SALU_CYCLE_1)
	s_and_not1_b32 vcc_lo, exec_lo, s8
	s_cbranch_vccnz .LBB38_2599
; %bb.2598:
	s_wait_loadcnt 0x0
	global_load_u16 v14, v[16:17], off
.LBB38_2599:
	s_mov_b32 s8, 0
.LBB38_2600:
	s_delay_alu instid0(SALU_CYCLE_1)
	s_and_not1_b32 vcc_lo, exec_lo, s8
	s_cbranch_vccnz .LBB38_2606
; %bb.2601:
	s_wait_loadcnt 0x0
	global_load_u8 v1, v[16:17], off
	s_mov_b32 s9, 0
	s_mov_b32 s8, exec_lo
	s_wait_loadcnt 0x0
	v_cmpx_lt_i16_e32 0x7f, v1
	s_xor_b32 s8, exec_lo, s8
	s_cbranch_execz .LBB38_2618
; %bb.2602:
	v_cmp_ne_u16_e32 vcc_lo, 0x80, v1
	s_and_b32 s9, vcc_lo, exec_lo
	s_and_not1_saveexec_b32 s8, s8
	s_cbranch_execnz .LBB38_2619
.LBB38_2603:
	s_or_b32 exec_lo, exec_lo, s8
	v_mov_b32_e32 v14, 0
	s_and_saveexec_b32 s8, s9
	s_cbranch_execz .LBB38_2605
.LBB38_2604:
	v_and_b32_e32 v3, 0xffff, v1
	s_delay_alu instid0(VALU_DEP_1) | instskip(SKIP_1) | instid1(VALU_DEP_2)
	v_dual_lshlrev_b32 v1, 24, v1 :: v_dual_bitop2_b32 v5, 7, v3 bitop3:0x40
	v_bfe_u32 v11, v3, 3, 4
	v_and_b32_e32 v1, 0x80000000, v1
	s_delay_alu instid0(VALU_DEP_3) | instskip(NEXT) | instid1(VALU_DEP_3)
	v_clz_i32_u32_e32 v7, v5
	v_cmp_eq_u32_e32 vcc_lo, 0, v11
	s_delay_alu instid0(VALU_DEP_2) | instskip(NEXT) | instid1(VALU_DEP_1)
	v_min_u32_e32 v7, 32, v7
	v_subrev_nc_u32_e32 v9, 28, v7
	v_sub_nc_u32_e32 v7, 29, v7
	s_delay_alu instid0(VALU_DEP_2) | instskip(NEXT) | instid1(VALU_DEP_2)
	v_lshlrev_b32_e32 v3, v9, v3
	v_cndmask_b32_e32 v7, v11, v7, vcc_lo
	s_delay_alu instid0(VALU_DEP_2) | instskip(NEXT) | instid1(VALU_DEP_1)
	v_and_b32_e32 v3, 7, v3
	v_cndmask_b32_e32 v3, v5, v3, vcc_lo
	s_delay_alu instid0(VALU_DEP_3) | instskip(NEXT) | instid1(VALU_DEP_2)
	v_lshl_add_u32 v5, v7, 23, 0x3b800000
	v_lshlrev_b32_e32 v3, 20, v3
	s_delay_alu instid0(VALU_DEP_1) | instskip(NEXT) | instid1(VALU_DEP_1)
	v_or3_b32 v1, v1, v5, v3
	v_cvt_i32_f32_e32 v14, v1
.LBB38_2605:
	s_or_b32 exec_lo, exec_lo, s8
.LBB38_2606:
	s_mov_b32 s8, -1
.LBB38_2607:
	s_mov_b32 s9, 0
.LBB38_2608:
	s_delay_alu instid0(SALU_CYCLE_1)
	s_and_b32 vcc_lo, exec_lo, s9
	s_cbranch_vccz .LBB38_2639
; %bb.2609:
	s_cmp_gt_i32 s0, 22
	s_cbranch_scc0 .LBB38_2617
; %bb.2610:
	s_cmp_lt_i32 s0, 24
	s_cbranch_scc1 .LBB38_2620
; %bb.2611:
	s_cmp_gt_i32 s0, 24
	s_cbranch_scc0 .LBB38_2621
; %bb.2612:
	s_wait_loadcnt 0x0
	global_load_u8 v1, v[16:17], off
	s_mov_b32 s8, 0
	s_mov_b32 s5, exec_lo
	s_wait_loadcnt 0x0
	v_cmpx_lt_i16_e32 0x7f, v1
	s_xor_b32 s5, exec_lo, s5
	s_cbranch_execz .LBB38_2633
; %bb.2613:
	v_cmp_ne_u16_e32 vcc_lo, 0x80, v1
	s_and_b32 s8, vcc_lo, exec_lo
	s_and_not1_saveexec_b32 s5, s5
	s_cbranch_execnz .LBB38_2634
.LBB38_2614:
	s_or_b32 exec_lo, exec_lo, s5
	v_mov_b32_e32 v14, 0
	s_and_saveexec_b32 s5, s8
	s_cbranch_execz .LBB38_2616
.LBB38_2615:
	v_and_b32_e32 v3, 0xffff, v1
	s_delay_alu instid0(VALU_DEP_1) | instskip(SKIP_1) | instid1(VALU_DEP_2)
	v_dual_lshlrev_b32 v1, 24, v1 :: v_dual_bitop2_b32 v5, 3, v3 bitop3:0x40
	v_bfe_u32 v11, v3, 2, 5
	v_and_b32_e32 v1, 0x80000000, v1
	s_delay_alu instid0(VALU_DEP_3) | instskip(NEXT) | instid1(VALU_DEP_3)
	v_clz_i32_u32_e32 v7, v5
	v_cmp_eq_u32_e32 vcc_lo, 0, v11
	s_delay_alu instid0(VALU_DEP_2) | instskip(NEXT) | instid1(VALU_DEP_1)
	v_min_u32_e32 v7, 32, v7
	v_subrev_nc_u32_e32 v9, 29, v7
	v_sub_nc_u32_e32 v7, 30, v7
	s_delay_alu instid0(VALU_DEP_2) | instskip(NEXT) | instid1(VALU_DEP_2)
	v_lshlrev_b32_e32 v3, v9, v3
	v_cndmask_b32_e32 v7, v11, v7, vcc_lo
	s_delay_alu instid0(VALU_DEP_2) | instskip(NEXT) | instid1(VALU_DEP_1)
	v_and_b32_e32 v3, 3, v3
	v_cndmask_b32_e32 v3, v5, v3, vcc_lo
	s_delay_alu instid0(VALU_DEP_3) | instskip(NEXT) | instid1(VALU_DEP_2)
	v_lshl_add_u32 v5, v7, 23, 0x37800000
	v_lshlrev_b32_e32 v3, 21, v3
	s_delay_alu instid0(VALU_DEP_1) | instskip(NEXT) | instid1(VALU_DEP_1)
	v_or3_b32 v1, v1, v5, v3
	v_cvt_i32_f32_e32 v14, v1
.LBB38_2616:
	s_or_b32 exec_lo, exec_lo, s5
	s_mov_b32 s5, 0
	s_branch .LBB38_2622
.LBB38_2617:
	s_mov_b32 s5, -1
                                        ; implicit-def: $vgpr14
	s_branch .LBB38_2628
.LBB38_2618:
	s_and_not1_saveexec_b32 s8, s8
	s_cbranch_execz .LBB38_2603
.LBB38_2619:
	v_cmp_ne_u16_e32 vcc_lo, 0, v1
	s_and_not1_b32 s9, s9, exec_lo
	s_and_b32 s10, vcc_lo, exec_lo
	s_delay_alu instid0(SALU_CYCLE_1)
	s_or_b32 s9, s9, s10
	s_or_b32 exec_lo, exec_lo, s8
	v_mov_b32_e32 v14, 0
	s_and_saveexec_b32 s8, s9
	s_cbranch_execnz .LBB38_2604
	s_branch .LBB38_2605
.LBB38_2620:
	s_mov_b32 s5, -1
                                        ; implicit-def: $vgpr14
	s_branch .LBB38_2625
.LBB38_2621:
	s_mov_b32 s5, -1
                                        ; implicit-def: $vgpr14
.LBB38_2622:
	s_delay_alu instid0(SALU_CYCLE_1)
	s_and_b32 vcc_lo, exec_lo, s5
	s_cbranch_vccz .LBB38_2624
; %bb.2623:
	s_wait_loadcnt 0x0
	global_load_u8 v1, v[16:17], off
	s_wait_loadcnt 0x0
	v_lshlrev_b32_e32 v1, 24, v1
	s_delay_alu instid0(VALU_DEP_1) | instskip(NEXT) | instid1(VALU_DEP_1)
	v_and_b32_e32 v3, 0x7f000000, v1
	v_clz_i32_u32_e32 v5, v3
	v_add_nc_u32_e32 v9, 0x1000000, v3
	v_cmp_ne_u32_e32 vcc_lo, 0, v3
	s_delay_alu instid0(VALU_DEP_3) | instskip(NEXT) | instid1(VALU_DEP_1)
	v_min_u32_e32 v5, 32, v5
	v_sub_nc_u32_e64 v5, v5, 4 clamp
	s_delay_alu instid0(VALU_DEP_1) | instskip(NEXT) | instid1(VALU_DEP_1)
	v_dual_lshlrev_b32 v7, v5, v3 :: v_dual_lshlrev_b32 v5, 23, v5
	v_lshrrev_b32_e32 v7, 4, v7
	s_delay_alu instid0(VALU_DEP_1) | instskip(SKIP_1) | instid1(VALU_DEP_2)
	v_sub_nc_u32_e32 v5, v7, v5
	v_ashrrev_i32_e32 v7, 8, v9
	v_add_nc_u32_e32 v5, 0x3c000000, v5
	s_delay_alu instid0(VALU_DEP_1) | instskip(NEXT) | instid1(VALU_DEP_1)
	v_and_or_b32 v5, 0x7f800000, v7, v5
	v_cndmask_b32_e32 v3, 0, v5, vcc_lo
	s_delay_alu instid0(VALU_DEP_1) | instskip(NEXT) | instid1(VALU_DEP_1)
	v_and_or_b32 v1, 0x80000000, v1, v3
	v_cvt_i32_f32_e32 v14, v1
.LBB38_2624:
	s_mov_b32 s5, 0
.LBB38_2625:
	s_delay_alu instid0(SALU_CYCLE_1)
	s_and_not1_b32 vcc_lo, exec_lo, s5
	s_cbranch_vccnz .LBB38_2627
; %bb.2626:
	s_wait_loadcnt 0x0
	global_load_u8 v1, v[16:17], off
	s_wait_loadcnt 0x0
	v_lshlrev_b32_e32 v3, 25, v1
	v_lshlrev_b16 v1, 8, v1
	s_delay_alu instid0(VALU_DEP_1) | instskip(SKIP_1) | instid1(VALU_DEP_2)
	v_and_or_b32 v7, 0x7f00, v1, 0.5
	v_bfe_i32 v1, v1, 0, 16
	v_add_f32_e32 v7, -0.5, v7
	v_lshrrev_b32_e32 v5, 4, v3
	v_cmp_gt_u32_e32 vcc_lo, 0x8000000, v3
	s_delay_alu instid0(VALU_DEP_2) | instskip(NEXT) | instid1(VALU_DEP_1)
	v_or_b32_e32 v5, 0x70000000, v5
	v_mul_f32_e32 v5, 0x7800000, v5
	s_delay_alu instid0(VALU_DEP_1) | instskip(NEXT) | instid1(VALU_DEP_1)
	v_cndmask_b32_e32 v3, v5, v7, vcc_lo
	v_and_or_b32 v1, 0x80000000, v1, v3
	s_delay_alu instid0(VALU_DEP_1)
	v_cvt_i32_f32_e32 v14, v1
.LBB38_2627:
	s_mov_b32 s5, 0
	s_mov_b32 s8, -1
.LBB38_2628:
	s_and_not1_b32 vcc_lo, exec_lo, s5
	s_mov_b32 s5, 0
	s_cbranch_vccnz .LBB38_2639
; %bb.2629:
	s_cmp_gt_i32 s0, 14
	s_cbranch_scc0 .LBB38_2632
; %bb.2630:
	s_cmp_eq_u32 s0, 15
	s_cbranch_scc0 .LBB38_2635
; %bb.2631:
	s_wait_loadcnt 0x0
	global_load_u16 v1, v[16:17], off
	s_mov_b32 s4, 0
	s_mov_b32 s8, -1
	s_wait_loadcnt 0x0
	v_lshlrev_b32_e32 v1, 16, v1
	s_delay_alu instid0(VALU_DEP_1)
	v_cvt_i32_f32_e32 v14, v1
	s_branch .LBB38_2637
.LBB38_2632:
	s_mov_b32 s5, -1
	s_branch .LBB38_2636
.LBB38_2633:
	s_and_not1_saveexec_b32 s5, s5
	s_cbranch_execz .LBB38_2614
.LBB38_2634:
	v_cmp_ne_u16_e32 vcc_lo, 0, v1
	s_and_not1_b32 s8, s8, exec_lo
	s_and_b32 s9, vcc_lo, exec_lo
	s_delay_alu instid0(SALU_CYCLE_1)
	s_or_b32 s8, s8, s9
	s_or_b32 exec_lo, exec_lo, s5
	v_mov_b32_e32 v14, 0
	s_and_saveexec_b32 s5, s8
	s_cbranch_execnz .LBB38_2615
	s_branch .LBB38_2616
.LBB38_2635:
	s_mov_b32 s4, -1
.LBB38_2636:
                                        ; implicit-def: $vgpr14
.LBB38_2637:
	s_and_b32 vcc_lo, exec_lo, s5
	s_mov_b32 s5, 0
	s_cbranch_vccz .LBB38_2639
; %bb.2638:
	s_cmp_lg_u32 s0, 11
	s_mov_b32 s5, -1
	s_cselect_b32 s4, -1, 0
.LBB38_2639:
	s_delay_alu instid0(SALU_CYCLE_1)
	s_and_b32 vcc_lo, exec_lo, s4
	s_cbranch_vccnz .LBB38_3172
; %bb.2640:
	s_and_not1_b32 vcc_lo, exec_lo, s5
	s_cbranch_vccnz .LBB38_2642
.LBB38_2641:
	s_wait_loadcnt 0x0
	global_load_u8 v1, v[16:17], off
	s_mov_b32 s8, -1
	s_wait_loadcnt 0x0
	v_cmp_ne_u16_e32 vcc_lo, 0, v1
	v_cndmask_b32_e64 v14, 0, 1, vcc_lo
.LBB38_2642:
	s_mov_b32 s0, 0
.LBB38_2643:
	s_delay_alu instid0(SALU_CYCLE_1)
	s_and_b32 vcc_lo, exec_lo, s0
	s_cbranch_vccz .LBB38_2692
; %bb.2644:
	s_and_b32 s0, 0xffff, s7
	s_delay_alu instid0(SALU_CYCLE_1)
	s_cmp_lt_i32 s0, 5
	s_cbranch_scc1 .LBB38_2649
; %bb.2645:
	s_cmp_lt_i32 s0, 8
	s_cbranch_scc1 .LBB38_2650
; %bb.2646:
	;; [unrolled: 3-line block ×3, first 2 shown]
	s_cmp_gt_i32 s0, 9
	s_cbranch_scc0 .LBB38_2652
; %bb.2648:
	s_wait_loadcnt 0x0
	global_load_b64 v[14:15], v[16:17], off
	s_mov_b32 s4, 0
	s_wait_loadcnt 0x0
	v_cvt_i32_f64_e32 v14, v[14:15]
	s_branch .LBB38_2653
.LBB38_2649:
	s_mov_b32 s4, -1
                                        ; implicit-def: $vgpr14
	s_branch .LBB38_2671
.LBB38_2650:
	s_mov_b32 s4, -1
                                        ; implicit-def: $vgpr14
	s_branch .LBB38_2659
.LBB38_2651:
	s_mov_b32 s4, -1
                                        ; implicit-def: $vgpr14
	s_branch .LBB38_2656
.LBB38_2652:
	s_mov_b32 s4, -1
                                        ; implicit-def: $vgpr14
.LBB38_2653:
	s_delay_alu instid0(SALU_CYCLE_1)
	s_and_not1_b32 vcc_lo, exec_lo, s4
	s_cbranch_vccnz .LBB38_2655
; %bb.2654:
	s_wait_loadcnt 0x0
	global_load_b32 v1, v[16:17], off
	s_wait_loadcnt 0x0
	v_cvt_i32_f32_e32 v14, v1
.LBB38_2655:
	s_mov_b32 s4, 0
.LBB38_2656:
	s_delay_alu instid0(SALU_CYCLE_1)
	s_and_not1_b32 vcc_lo, exec_lo, s4
	s_cbranch_vccnz .LBB38_2658
; %bb.2657:
	s_wait_loadcnt 0x0
	global_load_b32 v1, v[16:17], off
	s_wait_loadcnt 0x0
	v_cvt_i16_f16_e32 v14, v1
.LBB38_2658:
	s_mov_b32 s4, 0
.LBB38_2659:
	s_delay_alu instid0(SALU_CYCLE_1)
	s_and_not1_b32 vcc_lo, exec_lo, s4
	s_cbranch_vccnz .LBB38_2670
; %bb.2660:
	s_cmp_lt_i32 s0, 6
	s_cbranch_scc1 .LBB38_2663
; %bb.2661:
	s_cmp_gt_i32 s0, 6
	s_cbranch_scc0 .LBB38_2664
; %bb.2662:
	s_wait_loadcnt 0x0
	global_load_b64 v[14:15], v[16:17], off
	s_mov_b32 s4, 0
	s_wait_loadcnt 0x0
	v_cvt_i32_f64_e32 v14, v[14:15]
	s_branch .LBB38_2665
.LBB38_2663:
	s_mov_b32 s4, -1
                                        ; implicit-def: $vgpr14
	s_branch .LBB38_2668
.LBB38_2664:
	s_mov_b32 s4, -1
                                        ; implicit-def: $vgpr14
.LBB38_2665:
	s_delay_alu instid0(SALU_CYCLE_1)
	s_and_not1_b32 vcc_lo, exec_lo, s4
	s_cbranch_vccnz .LBB38_2667
; %bb.2666:
	s_wait_loadcnt 0x0
	global_load_b32 v1, v[16:17], off
	s_wait_loadcnt 0x0
	v_cvt_i32_f32_e32 v14, v1
.LBB38_2667:
	s_mov_b32 s4, 0
.LBB38_2668:
	s_delay_alu instid0(SALU_CYCLE_1)
	s_and_not1_b32 vcc_lo, exec_lo, s4
	s_cbranch_vccnz .LBB38_2670
; %bb.2669:
	s_wait_loadcnt 0x0
	global_load_u16 v1, v[16:17], off
	s_wait_loadcnt 0x0
	v_cvt_i16_f16_e32 v14, v1
.LBB38_2670:
	s_mov_b32 s4, 0
.LBB38_2671:
	s_delay_alu instid0(SALU_CYCLE_1)
	s_and_not1_b32 vcc_lo, exec_lo, s4
	s_cbranch_vccnz .LBB38_2691
; %bb.2672:
	s_cmp_lt_i32 s0, 2
	s_cbranch_scc1 .LBB38_2676
; %bb.2673:
	s_cmp_lt_i32 s0, 3
	s_cbranch_scc1 .LBB38_2677
; %bb.2674:
	s_cmp_gt_i32 s0, 3
	s_cbranch_scc0 .LBB38_2678
; %bb.2675:
	s_wait_loadcnt 0x0
	global_load_b64 v[14:15], v[16:17], off
	s_mov_b32 s4, 0
	s_branch .LBB38_2679
.LBB38_2676:
	s_mov_b32 s4, -1
                                        ; implicit-def: $vgpr14
	s_branch .LBB38_2685
.LBB38_2677:
	s_mov_b32 s4, -1
                                        ; implicit-def: $vgpr14
	s_branch .LBB38_2682
.LBB38_2678:
	s_mov_b32 s4, -1
                                        ; implicit-def: $vgpr14
.LBB38_2679:
	s_delay_alu instid0(SALU_CYCLE_1)
	s_and_not1_b32 vcc_lo, exec_lo, s4
	s_cbranch_vccnz .LBB38_2681
; %bb.2680:
	s_wait_loadcnt 0x0
	global_load_b32 v14, v[16:17], off
.LBB38_2681:
	s_mov_b32 s4, 0
.LBB38_2682:
	s_delay_alu instid0(SALU_CYCLE_1)
	s_and_not1_b32 vcc_lo, exec_lo, s4
	s_cbranch_vccnz .LBB38_2684
; %bb.2683:
	s_wait_loadcnt 0x0
	global_load_u16 v14, v[16:17], off
.LBB38_2684:
	s_mov_b32 s4, 0
.LBB38_2685:
	s_delay_alu instid0(SALU_CYCLE_1)
	s_and_not1_b32 vcc_lo, exec_lo, s4
	s_cbranch_vccnz .LBB38_2691
; %bb.2686:
	s_cmp_gt_i32 s0, 0
	s_mov_b32 s0, 0
	s_cbranch_scc0 .LBB38_2688
; %bb.2687:
	s_wait_loadcnt 0x0
	global_load_u8 v14, v[16:17], off
	s_branch .LBB38_2689
.LBB38_2688:
	s_mov_b32 s0, -1
                                        ; implicit-def: $vgpr14
.LBB38_2689:
	s_delay_alu instid0(SALU_CYCLE_1)
	s_and_not1_b32 vcc_lo, exec_lo, s0
	s_cbranch_vccnz .LBB38_2691
; %bb.2690:
	s_wait_loadcnt 0x0
	global_load_u8 v14, v[16:17], off
.LBB38_2691:
	s_mov_b32 s8, -1
.LBB38_2692:
	s_delay_alu instid0(SALU_CYCLE_1)
	s_and_not1_b32 vcc_lo, exec_lo, s8
	s_cbranch_vccnz .LBB38_3126
; %bb.2693:
	s_wait_xcnt 0x0
	v_mul_lo_u32 v16, s14, v18
	s_wait_loadcnt 0x0
	v_mul_lo_u16 v3, v0, s6
	s_and_b32 s18, s1, 0xff
	s_delay_alu instid0(SALU_CYCLE_1) | instskip(NEXT) | instid1(VALU_DEP_1)
	s_cmp_lt_i32 s18, 11
	v_mul_lo_u16 v2, v3, v2
	s_delay_alu instid0(VALU_DEP_3) | instskip(NEXT) | instid1(VALU_DEP_1)
	v_ashrrev_i32_e32 v17, 31, v16
	v_add_nc_u64_e32 v[0:1], s[2:3], v[16:17]
	s_cbranch_scc1 .LBB38_2771
; %bb.2694:
	s_and_b32 s1, 0xffff, s18
	s_mov_b32 s7, -1
	s_mov_b32 s4, 0
	s_cmp_gt_i32 s1, 25
	s_mov_b32 s5, 0
	s_mov_b32 s0, 0
	s_cbranch_scc0 .LBB38_2727
; %bb.2695:
	s_cmp_gt_i32 s1, 28
	s_cbranch_scc0 .LBB38_2710
; %bb.2696:
	s_cmp_gt_i32 s1, 43
	;; [unrolled: 3-line block ×3, first 2 shown]
	s_cbranch_scc0 .LBB38_2700
; %bb.2698:
	s_mov_b32 s0, -1
	s_mov_b32 s7, 0
	s_cmp_eq_u32 s1, 46
	s_cbranch_scc0 .LBB38_2700
; %bb.2699:
	v_bfe_i32 v3, v2, 0, 8
	s_mov_b32 s0, 0
	s_mov_b32 s5, -1
	s_delay_alu instid0(VALU_DEP_1) | instskip(NEXT) | instid1(VALU_DEP_1)
	v_bfe_i32 v3, v3, 0, 16
	v_cvt_f32_i32_e32 v3, v3
	s_delay_alu instid0(VALU_DEP_1) | instskip(NEXT) | instid1(VALU_DEP_1)
	v_bfe_u32 v5, v3, 16, 1
	v_add3_u32 v3, v3, v5, 0x7fff
	s_delay_alu instid0(VALU_DEP_1)
	v_lshrrev_b32_e32 v3, 16, v3
	global_store_b32 v[0:1], v3, off
.LBB38_2700:
	s_and_b32 vcc_lo, exec_lo, s7
	s_cbranch_vccz .LBB38_2705
; %bb.2701:
	s_cmp_eq_u32 s1, 44
	s_mov_b32 s0, -1
	s_cbranch_scc0 .LBB38_2705
; %bb.2702:
	s_wait_xcnt 0x0
	v_bfe_i32 v3, v2, 0, 8
	v_mov_b32_e32 v5, 0xff
	s_mov_b32 s5, exec_lo
	s_delay_alu instid0(VALU_DEP_2) | instskip(NEXT) | instid1(VALU_DEP_1)
	v_bfe_i32 v3, v3, 0, 16
	v_cvt_f32_i32_e32 v3, v3
	s_delay_alu instid0(VALU_DEP_1) | instskip(NEXT) | instid1(VALU_DEP_1)
	v_bfe_u32 v7, v3, 23, 8
	v_cmpx_ne_u32_e32 0xff, v7
	s_cbranch_execz .LBB38_2704
; %bb.2703:
	v_and_b32_e32 v5, 0x400000, v3
	v_and_or_b32 v7, 0x3fffff, v3, v7
	v_lshrrev_b32_e32 v3, 23, v3
	s_delay_alu instid0(VALU_DEP_3) | instskip(NEXT) | instid1(VALU_DEP_3)
	v_cmp_ne_u32_e32 vcc_lo, 0, v5
	v_cmp_ne_u32_e64 s0, 0, v7
	s_and_b32 s0, vcc_lo, s0
	s_delay_alu instid0(SALU_CYCLE_1) | instskip(NEXT) | instid1(VALU_DEP_1)
	v_cndmask_b32_e64 v5, 0, 1, s0
	v_add_nc_u32_e32 v5, v3, v5
.LBB38_2704:
	s_or_b32 exec_lo, exec_lo, s5
	s_mov_b32 s0, 0
	s_mov_b32 s5, -1
	global_store_b8 v[0:1], v5, off
.LBB38_2705:
	s_mov_b32 s7, 0
.LBB38_2706:
	s_delay_alu instid0(SALU_CYCLE_1)
	s_and_b32 vcc_lo, exec_lo, s7
	s_cbranch_vccz .LBB38_2709
; %bb.2707:
	s_cmp_eq_u32 s1, 29
	s_mov_b32 s0, -1
	s_cbranch_scc0 .LBB38_2709
; %bb.2708:
	v_bfe_i32 v18, v2, 0, 8
	s_mov_b32 s0, 0
	s_mov_b32 s5, -1
	s_delay_alu instid0(VALU_DEP_1)
	v_ashrrev_i32_e32 v19, 31, v18
	global_store_b64 v[0:1], v[18:19], off
.LBB38_2709:
	s_mov_b32 s7, 0
.LBB38_2710:
	s_delay_alu instid0(SALU_CYCLE_1)
	s_and_b32 vcc_lo, exec_lo, s7
	s_cbranch_vccz .LBB38_2726
; %bb.2711:
	s_cmp_lt_i32 s1, 27
	s_mov_b32 s5, -1
	s_cbranch_scc1 .LBB38_2717
; %bb.2712:
	s_cmp_gt_i32 s1, 27
	s_cbranch_scc0 .LBB38_2714
; %bb.2713:
	s_wait_xcnt 0x0
	v_bfe_i32 v3, v2, 0, 8
	s_mov_b32 s5, 0
	global_store_b32 v[0:1], v3, off
.LBB38_2714:
	s_and_not1_b32 vcc_lo, exec_lo, s5
	s_cbranch_vccnz .LBB38_2716
; %bb.2715:
	s_wait_xcnt 0x0
	v_bfe_i32 v3, v2, 0, 8
	global_store_b16 v[0:1], v3, off
.LBB38_2716:
	s_mov_b32 s5, 0
.LBB38_2717:
	s_delay_alu instid0(SALU_CYCLE_1)
	s_and_not1_b32 vcc_lo, exec_lo, s5
	s_cbranch_vccnz .LBB38_2725
; %bb.2718:
	s_wait_xcnt 0x0
	v_bfe_i32 v3, v2, 0, 8
	v_mov_b32_e32 v7, 0x80
	s_mov_b32 s5, exec_lo
	s_delay_alu instid0(VALU_DEP_2) | instskip(NEXT) | instid1(VALU_DEP_1)
	v_bfe_i32 v3, v3, 0, 16
	v_cvt_f32_i32_e32 v3, v3
	s_delay_alu instid0(VALU_DEP_1) | instskip(NEXT) | instid1(VALU_DEP_1)
	v_and_b32_e32 v5, 0x7fffffff, v3
	v_cmpx_gt_u32_e32 0x43800000, v5
	s_cbranch_execz .LBB38_2724
; %bb.2719:
	v_cmp_lt_u32_e32 vcc_lo, 0x3bffffff, v5
	s_mov_b32 s7, 0
                                        ; implicit-def: $vgpr5
	s_and_saveexec_b32 s8, vcc_lo
	s_delay_alu instid0(SALU_CYCLE_1)
	s_xor_b32 s8, exec_lo, s8
	s_cbranch_execz .LBB38_3173
; %bb.2720:
	v_bfe_u32 v5, v3, 20, 1
	s_mov_b32 s7, exec_lo
	s_delay_alu instid0(VALU_DEP_1) | instskip(NEXT) | instid1(VALU_DEP_1)
	v_add3_u32 v5, v3, v5, 0x487ffff
	v_lshrrev_b32_e32 v5, 20, v5
	s_and_not1_saveexec_b32 s8, s8
	s_cbranch_execnz .LBB38_3174
.LBB38_2721:
	s_or_b32 exec_lo, exec_lo, s8
	v_mov_b32_e32 v7, 0
	s_and_saveexec_b32 s8, s7
.LBB38_2722:
	v_lshrrev_b32_e32 v3, 24, v3
	s_delay_alu instid0(VALU_DEP_1)
	v_and_or_b32 v7, 0x80, v3, v5
.LBB38_2723:
	s_or_b32 exec_lo, exec_lo, s8
.LBB38_2724:
	s_delay_alu instid0(SALU_CYCLE_1)
	s_or_b32 exec_lo, exec_lo, s5
	global_store_b8 v[0:1], v7, off
.LBB38_2725:
	s_mov_b32 s5, -1
.LBB38_2726:
	s_mov_b32 s7, 0
.LBB38_2727:
	s_delay_alu instid0(SALU_CYCLE_1)
	s_and_b32 vcc_lo, exec_lo, s7
	s_cbranch_vccz .LBB38_2767
; %bb.2728:
	s_cmp_gt_i32 s1, 22
	s_mov_b32 s4, -1
	s_cbranch_scc0 .LBB38_2760
; %bb.2729:
	s_cmp_lt_i32 s1, 24
	s_cbranch_scc1 .LBB38_2749
; %bb.2730:
	s_cmp_gt_i32 s1, 24
	s_cbranch_scc0 .LBB38_2738
; %bb.2731:
	s_wait_xcnt 0x0
	v_bfe_i32 v3, v2, 0, 8
	v_mov_b32_e32 v7, 0x80
	s_mov_b32 s4, exec_lo
	s_delay_alu instid0(VALU_DEP_2) | instskip(NEXT) | instid1(VALU_DEP_1)
	v_bfe_i32 v3, v3, 0, 16
	v_cvt_f32_i32_e32 v3, v3
	s_delay_alu instid0(VALU_DEP_1) | instskip(NEXT) | instid1(VALU_DEP_1)
	v_and_b32_e32 v5, 0x7fffffff, v3
	v_cmpx_gt_u32_e32 0x47800000, v5
	s_cbranch_execz .LBB38_2737
; %bb.2732:
	v_cmp_lt_u32_e32 vcc_lo, 0x37ffffff, v5
	s_mov_b32 s5, 0
                                        ; implicit-def: $vgpr5
	s_and_saveexec_b32 s7, vcc_lo
	s_delay_alu instid0(SALU_CYCLE_1)
	s_xor_b32 s7, exec_lo, s7
	s_cbranch_execz .LBB38_3176
; %bb.2733:
	v_bfe_u32 v5, v3, 21, 1
	s_mov_b32 s5, exec_lo
	s_delay_alu instid0(VALU_DEP_1) | instskip(NEXT) | instid1(VALU_DEP_1)
	v_add3_u32 v5, v3, v5, 0x88fffff
	v_lshrrev_b32_e32 v5, 21, v5
	s_and_not1_saveexec_b32 s7, s7
	s_cbranch_execnz .LBB38_3177
.LBB38_2734:
	s_or_b32 exec_lo, exec_lo, s7
	v_mov_b32_e32 v7, 0
	s_and_saveexec_b32 s7, s5
.LBB38_2735:
	v_lshrrev_b32_e32 v3, 24, v3
	s_delay_alu instid0(VALU_DEP_1)
	v_and_or_b32 v7, 0x80, v3, v5
.LBB38_2736:
	s_or_b32 exec_lo, exec_lo, s7
.LBB38_2737:
	s_delay_alu instid0(SALU_CYCLE_1)
	s_or_b32 exec_lo, exec_lo, s4
	s_mov_b32 s4, 0
	global_store_b8 v[0:1], v7, off
.LBB38_2738:
	s_and_b32 vcc_lo, exec_lo, s4
	s_cbranch_vccz .LBB38_2748
; %bb.2739:
	s_wait_xcnt 0x0
	v_bfe_i32 v3, v2, 0, 8
	s_mov_b32 s4, exec_lo
                                        ; implicit-def: $vgpr5
	s_delay_alu instid0(VALU_DEP_1) | instskip(NEXT) | instid1(VALU_DEP_1)
	v_bfe_i32 v3, v3, 0, 16
	v_cvt_f32_i32_e32 v3, v3
	s_delay_alu instid0(VALU_DEP_1) | instskip(NEXT) | instid1(VALU_DEP_1)
	v_and_b32_e32 v7, 0x7fffffff, v3
	v_cmpx_gt_u32_e32 0x43f00000, v7
	s_xor_b32 s4, exec_lo, s4
	s_cbranch_execz .LBB38_2745
; %bb.2740:
	s_mov_b32 s5, exec_lo
                                        ; implicit-def: $vgpr5
	v_cmpx_lt_u32_e32 0x3c7fffff, v7
	s_xor_b32 s5, exec_lo, s5
; %bb.2741:
	v_bfe_u32 v5, v3, 20, 1
	s_delay_alu instid0(VALU_DEP_1) | instskip(NEXT) | instid1(VALU_DEP_1)
	v_add3_u32 v5, v3, v5, 0x407ffff
	v_and_b32_e32 v7, 0xff00000, v5
	v_lshrrev_b32_e32 v5, 20, v5
	s_delay_alu instid0(VALU_DEP_2) | instskip(NEXT) | instid1(VALU_DEP_2)
	v_cmp_ne_u32_e32 vcc_lo, 0x7f00000, v7
	v_cndmask_b32_e32 v5, 0x7e, v5, vcc_lo
; %bb.2742:
	s_and_not1_saveexec_b32 s5, s5
; %bb.2743:
	v_add_f32_e64 v5, 0x46800000, |v3|
; %bb.2744:
	s_or_b32 exec_lo, exec_lo, s5
                                        ; implicit-def: $vgpr7
.LBB38_2745:
	s_and_not1_saveexec_b32 s4, s4
; %bb.2746:
	v_mov_b32_e32 v5, 0x7f
	v_cmp_lt_u32_e32 vcc_lo, 0x7f800000, v7
	s_delay_alu instid0(VALU_DEP_2)
	v_cndmask_b32_e32 v5, 0x7e, v5, vcc_lo
; %bb.2747:
	s_or_b32 exec_lo, exec_lo, s4
	v_lshrrev_b32_e32 v3, 24, v3
	s_delay_alu instid0(VALU_DEP_1)
	v_and_or_b32 v3, 0x80, v3, v5
	global_store_b8 v[0:1], v3, off
.LBB38_2748:
	s_mov_b32 s4, 0
.LBB38_2749:
	s_delay_alu instid0(SALU_CYCLE_1)
	s_and_not1_b32 vcc_lo, exec_lo, s4
	s_cbranch_vccnz .LBB38_2759
; %bb.2750:
	s_wait_xcnt 0x0
	v_bfe_i32 v3, v2, 0, 8
	s_mov_b32 s4, exec_lo
                                        ; implicit-def: $vgpr5
	s_delay_alu instid0(VALU_DEP_1) | instskip(NEXT) | instid1(VALU_DEP_1)
	v_bfe_i32 v3, v3, 0, 16
	v_cvt_f32_i32_e32 v3, v3
	s_delay_alu instid0(VALU_DEP_1) | instskip(NEXT) | instid1(VALU_DEP_1)
	v_and_b32_e32 v7, 0x7fffffff, v3
	v_cmpx_gt_u32_e32 0x47800000, v7
	s_xor_b32 s4, exec_lo, s4
	s_cbranch_execz .LBB38_2756
; %bb.2751:
	s_mov_b32 s5, exec_lo
                                        ; implicit-def: $vgpr5
	v_cmpx_lt_u32_e32 0x387fffff, v7
	s_xor_b32 s5, exec_lo, s5
; %bb.2752:
	v_bfe_u32 v5, v3, 21, 1
	s_delay_alu instid0(VALU_DEP_1) | instskip(NEXT) | instid1(VALU_DEP_1)
	v_add3_u32 v5, v3, v5, 0x80fffff
	v_lshrrev_b32_e32 v5, 21, v5
; %bb.2753:
	s_and_not1_saveexec_b32 s5, s5
; %bb.2754:
	v_add_f32_e64 v5, 0x43000000, |v3|
; %bb.2755:
	s_or_b32 exec_lo, exec_lo, s5
                                        ; implicit-def: $vgpr7
.LBB38_2756:
	s_and_not1_saveexec_b32 s4, s4
; %bb.2757:
	v_mov_b32_e32 v5, 0x7f
	v_cmp_lt_u32_e32 vcc_lo, 0x7f800000, v7
	s_delay_alu instid0(VALU_DEP_2)
	v_cndmask_b32_e32 v5, 0x7c, v5, vcc_lo
; %bb.2758:
	s_or_b32 exec_lo, exec_lo, s4
	v_lshrrev_b32_e32 v3, 24, v3
	s_delay_alu instid0(VALU_DEP_1)
	v_and_or_b32 v3, 0x80, v3, v5
	global_store_b8 v[0:1], v3, off
.LBB38_2759:
	s_mov_b32 s4, 0
	s_mov_b32 s5, -1
.LBB38_2760:
	s_and_not1_b32 vcc_lo, exec_lo, s4
	s_mov_b32 s4, 0
	s_cbranch_vccnz .LBB38_2767
; %bb.2761:
	s_cmp_gt_i32 s1, 14
	s_mov_b32 s4, -1
	s_cbranch_scc0 .LBB38_2765
; %bb.2762:
	s_cmp_eq_u32 s1, 15
	s_mov_b32 s0, -1
	s_cbranch_scc0 .LBB38_2764
; %bb.2763:
	s_wait_xcnt 0x0
	v_bfe_i32 v3, v2, 0, 8
	s_mov_b32 s0, 0
	s_mov_b32 s5, -1
	s_delay_alu instid0(VALU_DEP_1) | instskip(NEXT) | instid1(VALU_DEP_1)
	v_bfe_i32 v3, v3, 0, 16
	v_cvt_f32_i32_e32 v3, v3
	s_delay_alu instid0(VALU_DEP_1) | instskip(NEXT) | instid1(VALU_DEP_1)
	v_bfe_u32 v5, v3, 16, 1
	v_add3_u32 v3, v3, v5, 0x7fff
	global_store_d16_hi_b16 v[0:1], v3, off
.LBB38_2764:
	s_mov_b32 s4, 0
.LBB38_2765:
	s_delay_alu instid0(SALU_CYCLE_1)
	s_and_b32 vcc_lo, exec_lo, s4
	s_mov_b32 s4, 0
	s_cbranch_vccz .LBB38_2767
; %bb.2766:
	s_cmp_lg_u32 s1, 11
	s_mov_b32 s4, -1
	s_cselect_b32 s0, -1, 0
.LBB38_2767:
	s_delay_alu instid0(SALU_CYCLE_1)
	s_and_b32 vcc_lo, exec_lo, s0
	s_cbranch_vccnz .LBB38_3175
; %bb.2768:
	s_and_not1_b32 vcc_lo, exec_lo, s4
	s_cbranch_vccnz .LBB38_2770
.LBB38_2769:
	s_wait_xcnt 0x0
	v_and_b32_e32 v3, 0xff, v2
	s_mov_b32 s5, -1
	s_delay_alu instid0(VALU_DEP_1)
	v_cmp_ne_u16_e32 vcc_lo, 0, v3
	v_cndmask_b32_e64 v3, 0, 1, vcc_lo
	global_store_b8 v[0:1], v3, off
.LBB38_2770:
	s_mov_b32 s0, 0
	s_branch .LBB38_2772
.LBB38_2771:
	s_mov_b32 s0, -1
	s_mov_b32 s5, 0
.LBB38_2772:
	s_and_b32 vcc_lo, exec_lo, s0
	s_cbranch_vccz .LBB38_2811
; %bb.2773:
	s_and_b32 s0, 0xffff, s18
	s_mov_b32 s1, -1
	s_cmp_lt_i32 s0, 5
	s_cbranch_scc1 .LBB38_2794
; %bb.2774:
	s_cmp_lt_i32 s0, 8
	s_cbranch_scc1 .LBB38_2784
; %bb.2775:
	;; [unrolled: 3-line block ×3, first 2 shown]
	s_cmp_gt_i32 s0, 9
	s_cbranch_scc0 .LBB38_2778
; %bb.2777:
	s_wait_xcnt 0x0
	v_bfe_i32 v3, v2, 0, 8
	v_mov_b32_e32 v20, 0
	s_mov_b32 s1, 0
	s_delay_alu instid0(VALU_DEP_2) | instskip(NEXT) | instid1(VALU_DEP_2)
	v_bfe_i32 v3, v3, 0, 16
	v_mov_b32_e32 v21, v20
	s_delay_alu instid0(VALU_DEP_2)
	v_cvt_f64_i32_e32 v[18:19], v3
	global_store_b128 v[0:1], v[18:21], off
.LBB38_2778:
	s_and_not1_b32 vcc_lo, exec_lo, s1
	s_cbranch_vccnz .LBB38_2780
; %bb.2779:
	s_wait_xcnt 0x0
	v_bfe_i32 v3, v2, 0, 8
	v_mov_b32_e32 v19, 0
	s_delay_alu instid0(VALU_DEP_2) | instskip(NEXT) | instid1(VALU_DEP_1)
	v_bfe_i32 v3, v3, 0, 16
	v_cvt_f32_i32_e32 v18, v3
	global_store_b64 v[0:1], v[18:19], off
.LBB38_2780:
	s_mov_b32 s1, 0
.LBB38_2781:
	s_delay_alu instid0(SALU_CYCLE_1)
	s_and_not1_b32 vcc_lo, exec_lo, s1
	s_cbranch_vccnz .LBB38_2783
; %bb.2782:
	s_wait_xcnt 0x0
	v_bfe_i32 v3, v2, 0, 8
	s_delay_alu instid0(VALU_DEP_1) | instskip(NEXT) | instid1(VALU_DEP_1)
	v_cvt_f16_i16_e32 v3, v3
	v_and_b32_e32 v3, 0xffff, v3
	global_store_b32 v[0:1], v3, off
.LBB38_2783:
	s_mov_b32 s1, 0
.LBB38_2784:
	s_delay_alu instid0(SALU_CYCLE_1)
	s_and_not1_b32 vcc_lo, exec_lo, s1
	s_cbranch_vccnz .LBB38_2793
; %bb.2785:
	s_cmp_lt_i32 s0, 6
	s_mov_b32 s1, -1
	s_cbranch_scc1 .LBB38_2791
; %bb.2786:
	s_cmp_gt_i32 s0, 6
	s_cbranch_scc0 .LBB38_2788
; %bb.2787:
	s_wait_xcnt 0x0
	v_bfe_i32 v3, v2, 0, 8
	s_mov_b32 s1, 0
	s_delay_alu instid0(VALU_DEP_1) | instskip(NEXT) | instid1(VALU_DEP_1)
	v_bfe_i32 v3, v3, 0, 16
	v_cvt_f64_i32_e32 v[18:19], v3
	global_store_b64 v[0:1], v[18:19], off
.LBB38_2788:
	s_and_not1_b32 vcc_lo, exec_lo, s1
	s_cbranch_vccnz .LBB38_2790
; %bb.2789:
	s_wait_xcnt 0x0
	v_bfe_i32 v3, v2, 0, 8
	s_delay_alu instid0(VALU_DEP_1) | instskip(NEXT) | instid1(VALU_DEP_1)
	v_bfe_i32 v3, v3, 0, 16
	v_cvt_f32_i32_e32 v3, v3
	global_store_b32 v[0:1], v3, off
.LBB38_2790:
	s_mov_b32 s1, 0
.LBB38_2791:
	s_delay_alu instid0(SALU_CYCLE_1)
	s_and_not1_b32 vcc_lo, exec_lo, s1
	s_cbranch_vccnz .LBB38_2793
; %bb.2792:
	s_wait_xcnt 0x0
	v_bfe_i32 v3, v2, 0, 8
	s_delay_alu instid0(VALU_DEP_1)
	v_cvt_f16_i16_e32 v3, v3
	global_store_b16 v[0:1], v3, off
.LBB38_2793:
	s_mov_b32 s1, 0
.LBB38_2794:
	s_delay_alu instid0(SALU_CYCLE_1)
	s_and_not1_b32 vcc_lo, exec_lo, s1
	s_cbranch_vccnz .LBB38_2810
; %bb.2795:
	s_cmp_lt_i32 s0, 2
	s_mov_b32 s1, -1
	s_cbranch_scc1 .LBB38_2805
; %bb.2796:
	s_cmp_lt_i32 s0, 3
	s_cbranch_scc1 .LBB38_2802
; %bb.2797:
	s_cmp_gt_i32 s0, 3
	s_cbranch_scc0 .LBB38_2799
; %bb.2798:
	s_wait_xcnt 0x0
	v_bfe_i32 v18, v2, 0, 8
	s_mov_b32 s1, 0
	s_delay_alu instid0(VALU_DEP_1)
	v_ashrrev_i32_e32 v19, 31, v18
	global_store_b64 v[0:1], v[18:19], off
.LBB38_2799:
	s_and_not1_b32 vcc_lo, exec_lo, s1
	s_cbranch_vccnz .LBB38_2801
; %bb.2800:
	s_wait_xcnt 0x0
	v_bfe_i32 v3, v2, 0, 8
	global_store_b32 v[0:1], v3, off
.LBB38_2801:
	s_mov_b32 s1, 0
.LBB38_2802:
	s_delay_alu instid0(SALU_CYCLE_1)
	s_and_not1_b32 vcc_lo, exec_lo, s1
	s_cbranch_vccnz .LBB38_2804
; %bb.2803:
	s_wait_xcnt 0x0
	v_bfe_i32 v3, v2, 0, 8
	global_store_b16 v[0:1], v3, off
.LBB38_2804:
	s_mov_b32 s1, 0
.LBB38_2805:
	s_delay_alu instid0(SALU_CYCLE_1)
	s_and_not1_b32 vcc_lo, exec_lo, s1
	s_cbranch_vccnz .LBB38_2810
; %bb.2806:
	s_cmp_gt_i32 s0, 0
	s_mov_b32 s0, -1
	s_cbranch_scc0 .LBB38_2808
; %bb.2807:
	s_mov_b32 s0, 0
	global_store_b8 v[0:1], v2, off
.LBB38_2808:
	s_and_not1_b32 vcc_lo, exec_lo, s0
	s_cbranch_vccnz .LBB38_2810
; %bb.2809:
	global_store_b8 v[0:1], v2, off
.LBB38_2810:
	s_mov_b32 s5, -1
.LBB38_2811:
	s_delay_alu instid0(SALU_CYCLE_1)
	s_and_not1_b32 vcc_lo, exec_lo, s5
	s_cbranch_vccnz .LBB38_3126
; %bb.2812:
	s_lshl_b32 s1, s14, 7
	v_mul_lo_u16 v4, v4, s6
	s_wait_xcnt 0x0
	v_add_nc_u32_e32 v0, s1, v16
	s_cmp_lt_i32 s18, 11
	s_delay_alu instid0(VALU_DEP_1) | instskip(NEXT) | instid1(VALU_DEP_1)
	v_ashrrev_i32_e32 v1, 31, v0
	v_add_nc_u64_e32 v[2:3], s[2:3], v[0:1]
	v_mul_lo_u16 v1, v4, v6
	s_cbranch_scc1 .LBB38_2890
; %bb.2813:
	s_and_b32 s4, 0xffff, s18
	s_mov_b32 s8, -1
	s_mov_b32 s5, 0
	s_cmp_gt_i32 s4, 25
	s_mov_b32 s7, 0
	s_mov_b32 s0, 0
	s_cbranch_scc0 .LBB38_2846
; %bb.2814:
	s_cmp_gt_i32 s4, 28
	s_cbranch_scc0 .LBB38_2829
; %bb.2815:
	s_cmp_gt_i32 s4, 43
	;; [unrolled: 3-line block ×3, first 2 shown]
	s_cbranch_scc0 .LBB38_2819
; %bb.2817:
	s_mov_b32 s0, -1
	s_mov_b32 s8, 0
	s_cmp_eq_u32 s4, 46
	s_cbranch_scc0 .LBB38_2819
; %bb.2818:
	v_bfe_i32 v4, v1, 0, 8
	s_mov_b32 s0, 0
	s_mov_b32 s7, -1
	s_delay_alu instid0(VALU_DEP_1) | instskip(NEXT) | instid1(VALU_DEP_1)
	v_bfe_i32 v4, v4, 0, 16
	v_cvt_f32_i32_e32 v4, v4
	s_delay_alu instid0(VALU_DEP_1) | instskip(NEXT) | instid1(VALU_DEP_1)
	v_bfe_u32 v5, v4, 16, 1
	v_add3_u32 v4, v4, v5, 0x7fff
	s_delay_alu instid0(VALU_DEP_1)
	v_lshrrev_b32_e32 v4, 16, v4
	global_store_b32 v[2:3], v4, off
.LBB38_2819:
	s_and_b32 vcc_lo, exec_lo, s8
	s_cbranch_vccz .LBB38_2824
; %bb.2820:
	s_cmp_eq_u32 s4, 44
	s_mov_b32 s0, -1
	s_cbranch_scc0 .LBB38_2824
; %bb.2821:
	s_wait_xcnt 0x0
	v_bfe_i32 v4, v1, 0, 8
	v_mov_b32_e32 v5, 0xff
	s_mov_b32 s7, exec_lo
	s_delay_alu instid0(VALU_DEP_2) | instskip(NEXT) | instid1(VALU_DEP_1)
	v_bfe_i32 v4, v4, 0, 16
	v_cvt_f32_i32_e32 v4, v4
	s_delay_alu instid0(VALU_DEP_1) | instskip(NEXT) | instid1(VALU_DEP_1)
	v_bfe_u32 v6, v4, 23, 8
	v_cmpx_ne_u32_e32 0xff, v6
	s_cbranch_execz .LBB38_2823
; %bb.2822:
	v_and_b32_e32 v5, 0x400000, v4
	v_and_or_b32 v6, 0x3fffff, v4, v6
	v_lshrrev_b32_e32 v4, 23, v4
	s_delay_alu instid0(VALU_DEP_3) | instskip(NEXT) | instid1(VALU_DEP_3)
	v_cmp_ne_u32_e32 vcc_lo, 0, v5
	v_cmp_ne_u32_e64 s0, 0, v6
	s_and_b32 s0, vcc_lo, s0
	s_delay_alu instid0(SALU_CYCLE_1) | instskip(NEXT) | instid1(VALU_DEP_1)
	v_cndmask_b32_e64 v5, 0, 1, s0
	v_add_nc_u32_e32 v5, v4, v5
.LBB38_2823:
	s_or_b32 exec_lo, exec_lo, s7
	s_mov_b32 s0, 0
	s_mov_b32 s7, -1
	global_store_b8 v[2:3], v5, off
.LBB38_2824:
	s_mov_b32 s8, 0
.LBB38_2825:
	s_delay_alu instid0(SALU_CYCLE_1)
	s_and_b32 vcc_lo, exec_lo, s8
	s_cbranch_vccz .LBB38_2828
; %bb.2826:
	s_cmp_eq_u32 s4, 29
	s_mov_b32 s0, -1
	s_cbranch_scc0 .LBB38_2828
; %bb.2827:
	s_wait_xcnt 0x0
	v_bfe_i32 v4, v1, 0, 8
	s_mov_b32 s0, 0
	s_mov_b32 s7, -1
	s_delay_alu instid0(VALU_DEP_1)
	v_ashrrev_i32_e32 v5, 31, v4
	global_store_b64 v[2:3], v[4:5], off
.LBB38_2828:
	s_mov_b32 s8, 0
.LBB38_2829:
	s_delay_alu instid0(SALU_CYCLE_1)
	s_and_b32 vcc_lo, exec_lo, s8
	s_cbranch_vccz .LBB38_2845
; %bb.2830:
	s_cmp_lt_i32 s4, 27
	s_mov_b32 s7, -1
	s_cbranch_scc1 .LBB38_2836
; %bb.2831:
	s_cmp_gt_i32 s4, 27
	s_cbranch_scc0 .LBB38_2833
; %bb.2832:
	s_wait_xcnt 0x0
	v_bfe_i32 v4, v1, 0, 8
	s_mov_b32 s7, 0
	global_store_b32 v[2:3], v4, off
.LBB38_2833:
	s_and_not1_b32 vcc_lo, exec_lo, s7
	s_cbranch_vccnz .LBB38_2835
; %bb.2834:
	s_wait_xcnt 0x0
	v_bfe_i32 v4, v1, 0, 8
	global_store_b16 v[2:3], v4, off
.LBB38_2835:
	s_mov_b32 s7, 0
.LBB38_2836:
	s_delay_alu instid0(SALU_CYCLE_1)
	s_and_not1_b32 vcc_lo, exec_lo, s7
	s_cbranch_vccnz .LBB38_2844
; %bb.2837:
	s_wait_xcnt 0x0
	v_bfe_i32 v4, v1, 0, 8
	v_mov_b32_e32 v6, 0x80
	s_mov_b32 s7, exec_lo
	s_delay_alu instid0(VALU_DEP_2) | instskip(NEXT) | instid1(VALU_DEP_1)
	v_bfe_i32 v4, v4, 0, 16
	v_cvt_f32_i32_e32 v4, v4
	s_delay_alu instid0(VALU_DEP_1) | instskip(NEXT) | instid1(VALU_DEP_1)
	v_and_b32_e32 v5, 0x7fffffff, v4
	v_cmpx_gt_u32_e32 0x43800000, v5
	s_cbranch_execz .LBB38_2843
; %bb.2838:
	v_cmp_lt_u32_e32 vcc_lo, 0x3bffffff, v5
	s_mov_b32 s8, 0
                                        ; implicit-def: $vgpr5
	s_and_saveexec_b32 s9, vcc_lo
	s_delay_alu instid0(SALU_CYCLE_1)
	s_xor_b32 s9, exec_lo, s9
	s_cbranch_execz .LBB38_3178
; %bb.2839:
	v_bfe_u32 v5, v4, 20, 1
	s_mov_b32 s8, exec_lo
	s_delay_alu instid0(VALU_DEP_1) | instskip(NEXT) | instid1(VALU_DEP_1)
	v_add3_u32 v5, v4, v5, 0x487ffff
	v_lshrrev_b32_e32 v5, 20, v5
	s_and_not1_saveexec_b32 s9, s9
	s_cbranch_execnz .LBB38_3179
.LBB38_2840:
	s_or_b32 exec_lo, exec_lo, s9
	v_mov_b32_e32 v6, 0
	s_and_saveexec_b32 s9, s8
.LBB38_2841:
	v_lshrrev_b32_e32 v4, 24, v4
	s_delay_alu instid0(VALU_DEP_1)
	v_and_or_b32 v6, 0x80, v4, v5
.LBB38_2842:
	s_or_b32 exec_lo, exec_lo, s9
.LBB38_2843:
	s_delay_alu instid0(SALU_CYCLE_1)
	s_or_b32 exec_lo, exec_lo, s7
	global_store_b8 v[2:3], v6, off
.LBB38_2844:
	s_mov_b32 s7, -1
.LBB38_2845:
	s_mov_b32 s8, 0
.LBB38_2846:
	s_delay_alu instid0(SALU_CYCLE_1)
	s_and_b32 vcc_lo, exec_lo, s8
	s_cbranch_vccz .LBB38_2886
; %bb.2847:
	s_cmp_gt_i32 s4, 22
	s_mov_b32 s5, -1
	s_cbranch_scc0 .LBB38_2879
; %bb.2848:
	s_cmp_lt_i32 s4, 24
	s_cbranch_scc1 .LBB38_2868
; %bb.2849:
	s_cmp_gt_i32 s4, 24
	s_cbranch_scc0 .LBB38_2857
; %bb.2850:
	s_wait_xcnt 0x0
	v_bfe_i32 v4, v1, 0, 8
	v_mov_b32_e32 v6, 0x80
	s_mov_b32 s5, exec_lo
	s_delay_alu instid0(VALU_DEP_2) | instskip(NEXT) | instid1(VALU_DEP_1)
	v_bfe_i32 v4, v4, 0, 16
	v_cvt_f32_i32_e32 v4, v4
	s_delay_alu instid0(VALU_DEP_1) | instskip(NEXT) | instid1(VALU_DEP_1)
	v_and_b32_e32 v5, 0x7fffffff, v4
	v_cmpx_gt_u32_e32 0x47800000, v5
	s_cbranch_execz .LBB38_2856
; %bb.2851:
	v_cmp_lt_u32_e32 vcc_lo, 0x37ffffff, v5
	s_mov_b32 s7, 0
                                        ; implicit-def: $vgpr5
	s_and_saveexec_b32 s8, vcc_lo
	s_delay_alu instid0(SALU_CYCLE_1)
	s_xor_b32 s8, exec_lo, s8
	s_cbranch_execz .LBB38_3181
; %bb.2852:
	v_bfe_u32 v5, v4, 21, 1
	s_mov_b32 s7, exec_lo
	s_delay_alu instid0(VALU_DEP_1) | instskip(NEXT) | instid1(VALU_DEP_1)
	v_add3_u32 v5, v4, v5, 0x88fffff
	v_lshrrev_b32_e32 v5, 21, v5
	s_and_not1_saveexec_b32 s8, s8
	s_cbranch_execnz .LBB38_3182
.LBB38_2853:
	s_or_b32 exec_lo, exec_lo, s8
	v_mov_b32_e32 v6, 0
	s_and_saveexec_b32 s8, s7
.LBB38_2854:
	v_lshrrev_b32_e32 v4, 24, v4
	s_delay_alu instid0(VALU_DEP_1)
	v_and_or_b32 v6, 0x80, v4, v5
.LBB38_2855:
	s_or_b32 exec_lo, exec_lo, s8
.LBB38_2856:
	s_delay_alu instid0(SALU_CYCLE_1)
	s_or_b32 exec_lo, exec_lo, s5
	s_mov_b32 s5, 0
	global_store_b8 v[2:3], v6, off
.LBB38_2857:
	s_and_b32 vcc_lo, exec_lo, s5
	s_cbranch_vccz .LBB38_2867
; %bb.2858:
	s_wait_xcnt 0x0
	v_bfe_i32 v4, v1, 0, 8
	s_mov_b32 s5, exec_lo
                                        ; implicit-def: $vgpr5
	s_delay_alu instid0(VALU_DEP_1) | instskip(NEXT) | instid1(VALU_DEP_1)
	v_bfe_i32 v4, v4, 0, 16
	v_cvt_f32_i32_e32 v4, v4
	s_delay_alu instid0(VALU_DEP_1) | instskip(NEXT) | instid1(VALU_DEP_1)
	v_and_b32_e32 v6, 0x7fffffff, v4
	v_cmpx_gt_u32_e32 0x43f00000, v6
	s_xor_b32 s5, exec_lo, s5
	s_cbranch_execz .LBB38_2864
; %bb.2859:
	s_mov_b32 s7, exec_lo
                                        ; implicit-def: $vgpr5
	v_cmpx_lt_u32_e32 0x3c7fffff, v6
	s_xor_b32 s7, exec_lo, s7
; %bb.2860:
	v_bfe_u32 v5, v4, 20, 1
	s_delay_alu instid0(VALU_DEP_1) | instskip(NEXT) | instid1(VALU_DEP_1)
	v_add3_u32 v5, v4, v5, 0x407ffff
	v_and_b32_e32 v6, 0xff00000, v5
	v_lshrrev_b32_e32 v5, 20, v5
	s_delay_alu instid0(VALU_DEP_2) | instskip(NEXT) | instid1(VALU_DEP_2)
	v_cmp_ne_u32_e32 vcc_lo, 0x7f00000, v6
	v_cndmask_b32_e32 v5, 0x7e, v5, vcc_lo
; %bb.2861:
	s_and_not1_saveexec_b32 s7, s7
; %bb.2862:
	v_add_f32_e64 v5, 0x46800000, |v4|
; %bb.2863:
	s_or_b32 exec_lo, exec_lo, s7
                                        ; implicit-def: $vgpr6
.LBB38_2864:
	s_and_not1_saveexec_b32 s5, s5
; %bb.2865:
	v_mov_b32_e32 v5, 0x7f
	v_cmp_lt_u32_e32 vcc_lo, 0x7f800000, v6
	s_delay_alu instid0(VALU_DEP_2)
	v_cndmask_b32_e32 v5, 0x7e, v5, vcc_lo
; %bb.2866:
	s_or_b32 exec_lo, exec_lo, s5
	v_lshrrev_b32_e32 v4, 24, v4
	s_delay_alu instid0(VALU_DEP_1)
	v_and_or_b32 v4, 0x80, v4, v5
	global_store_b8 v[2:3], v4, off
.LBB38_2867:
	s_mov_b32 s5, 0
.LBB38_2868:
	s_delay_alu instid0(SALU_CYCLE_1)
	s_and_not1_b32 vcc_lo, exec_lo, s5
	s_cbranch_vccnz .LBB38_2878
; %bb.2869:
	s_wait_xcnt 0x0
	v_bfe_i32 v4, v1, 0, 8
	s_mov_b32 s5, exec_lo
                                        ; implicit-def: $vgpr5
	s_delay_alu instid0(VALU_DEP_1) | instskip(NEXT) | instid1(VALU_DEP_1)
	v_bfe_i32 v4, v4, 0, 16
	v_cvt_f32_i32_e32 v4, v4
	s_delay_alu instid0(VALU_DEP_1) | instskip(NEXT) | instid1(VALU_DEP_1)
	v_and_b32_e32 v6, 0x7fffffff, v4
	v_cmpx_gt_u32_e32 0x47800000, v6
	s_xor_b32 s5, exec_lo, s5
	s_cbranch_execz .LBB38_2875
; %bb.2870:
	s_mov_b32 s7, exec_lo
                                        ; implicit-def: $vgpr5
	v_cmpx_lt_u32_e32 0x387fffff, v6
	s_xor_b32 s7, exec_lo, s7
; %bb.2871:
	v_bfe_u32 v5, v4, 21, 1
	s_delay_alu instid0(VALU_DEP_1) | instskip(NEXT) | instid1(VALU_DEP_1)
	v_add3_u32 v5, v4, v5, 0x80fffff
	v_lshrrev_b32_e32 v5, 21, v5
; %bb.2872:
	s_and_not1_saveexec_b32 s7, s7
; %bb.2873:
	v_add_f32_e64 v5, 0x43000000, |v4|
; %bb.2874:
	s_or_b32 exec_lo, exec_lo, s7
                                        ; implicit-def: $vgpr6
.LBB38_2875:
	s_and_not1_saveexec_b32 s5, s5
; %bb.2876:
	v_mov_b32_e32 v5, 0x7f
	v_cmp_lt_u32_e32 vcc_lo, 0x7f800000, v6
	s_delay_alu instid0(VALU_DEP_2)
	v_cndmask_b32_e32 v5, 0x7c, v5, vcc_lo
; %bb.2877:
	s_or_b32 exec_lo, exec_lo, s5
	v_lshrrev_b32_e32 v4, 24, v4
	s_delay_alu instid0(VALU_DEP_1)
	v_and_or_b32 v4, 0x80, v4, v5
	global_store_b8 v[2:3], v4, off
.LBB38_2878:
	s_mov_b32 s5, 0
	s_mov_b32 s7, -1
.LBB38_2879:
	s_and_not1_b32 vcc_lo, exec_lo, s5
	s_mov_b32 s5, 0
	s_cbranch_vccnz .LBB38_2886
; %bb.2880:
	s_cmp_gt_i32 s4, 14
	s_mov_b32 s5, -1
	s_cbranch_scc0 .LBB38_2884
; %bb.2881:
	s_cmp_eq_u32 s4, 15
	s_mov_b32 s0, -1
	s_cbranch_scc0 .LBB38_2883
; %bb.2882:
	s_wait_xcnt 0x0
	v_bfe_i32 v4, v1, 0, 8
	s_mov_b32 s0, 0
	s_mov_b32 s7, -1
	s_delay_alu instid0(VALU_DEP_1) | instskip(NEXT) | instid1(VALU_DEP_1)
	v_bfe_i32 v4, v4, 0, 16
	v_cvt_f32_i32_e32 v4, v4
	s_delay_alu instid0(VALU_DEP_1) | instskip(NEXT) | instid1(VALU_DEP_1)
	v_bfe_u32 v5, v4, 16, 1
	v_add3_u32 v4, v4, v5, 0x7fff
	global_store_d16_hi_b16 v[2:3], v4, off
.LBB38_2883:
	s_mov_b32 s5, 0
.LBB38_2884:
	s_delay_alu instid0(SALU_CYCLE_1)
	s_and_b32 vcc_lo, exec_lo, s5
	s_mov_b32 s5, 0
	s_cbranch_vccz .LBB38_2886
; %bb.2885:
	s_cmp_lg_u32 s4, 11
	s_mov_b32 s5, -1
	s_cselect_b32 s0, -1, 0
.LBB38_2886:
	s_delay_alu instid0(SALU_CYCLE_1)
	s_and_b32 vcc_lo, exec_lo, s0
	s_cbranch_vccnz .LBB38_3180
; %bb.2887:
	s_and_not1_b32 vcc_lo, exec_lo, s5
	s_cbranch_vccnz .LBB38_2889
.LBB38_2888:
	s_wait_xcnt 0x0
	v_and_b32_e32 v4, 0xff, v1
	s_mov_b32 s7, -1
	s_delay_alu instid0(VALU_DEP_1)
	v_cmp_ne_u16_e32 vcc_lo, 0, v4
	v_cndmask_b32_e64 v4, 0, 1, vcc_lo
	global_store_b8 v[2:3], v4, off
.LBB38_2889:
	s_mov_b32 s0, 0
	s_branch .LBB38_2891
.LBB38_2890:
	s_mov_b32 s0, -1
	s_mov_b32 s7, 0
.LBB38_2891:
	s_and_b32 vcc_lo, exec_lo, s0
	s_cbranch_vccz .LBB38_2930
; %bb.2892:
	s_and_b32 s0, 0xffff, s18
	s_mov_b32 s4, -1
	s_cmp_lt_i32 s0, 5
	s_cbranch_scc1 .LBB38_2913
; %bb.2893:
	s_cmp_lt_i32 s0, 8
	s_cbranch_scc1 .LBB38_2903
; %bb.2894:
	;; [unrolled: 3-line block ×3, first 2 shown]
	s_cmp_gt_i32 s0, 9
	s_cbranch_scc0 .LBB38_2897
; %bb.2896:
	s_wait_xcnt 0x0
	v_bfe_i32 v4, v1, 0, 8
	v_mov_b32_e32 v6, 0
	s_mov_b32 s4, 0
	s_delay_alu instid0(VALU_DEP_2) | instskip(NEXT) | instid1(VALU_DEP_2)
	v_bfe_i32 v4, v4, 0, 16
	v_mov_b32_e32 v7, v6
	s_delay_alu instid0(VALU_DEP_2)
	v_cvt_f64_i32_e32 v[4:5], v4
	global_store_b128 v[2:3], v[4:7], off
.LBB38_2897:
	s_and_not1_b32 vcc_lo, exec_lo, s4
	s_cbranch_vccnz .LBB38_2899
; %bb.2898:
	s_wait_xcnt 0x0
	v_bfe_i32 v4, v1, 0, 8
	v_mov_b32_e32 v5, 0
	s_delay_alu instid0(VALU_DEP_2) | instskip(NEXT) | instid1(VALU_DEP_1)
	v_bfe_i32 v4, v4, 0, 16
	v_cvt_f32_i32_e32 v4, v4
	global_store_b64 v[2:3], v[4:5], off
.LBB38_2899:
	s_mov_b32 s4, 0
.LBB38_2900:
	s_delay_alu instid0(SALU_CYCLE_1)
	s_and_not1_b32 vcc_lo, exec_lo, s4
	s_cbranch_vccnz .LBB38_2902
; %bb.2901:
	s_wait_xcnt 0x0
	v_bfe_i32 v4, v1, 0, 8
	s_delay_alu instid0(VALU_DEP_1) | instskip(NEXT) | instid1(VALU_DEP_1)
	v_cvt_f16_i16_e32 v4, v4
	v_and_b32_e32 v4, 0xffff, v4
	global_store_b32 v[2:3], v4, off
.LBB38_2902:
	s_mov_b32 s4, 0
.LBB38_2903:
	s_delay_alu instid0(SALU_CYCLE_1)
	s_and_not1_b32 vcc_lo, exec_lo, s4
	s_cbranch_vccnz .LBB38_2912
; %bb.2904:
	s_cmp_lt_i32 s0, 6
	s_mov_b32 s4, -1
	s_cbranch_scc1 .LBB38_2910
; %bb.2905:
	s_cmp_gt_i32 s0, 6
	s_cbranch_scc0 .LBB38_2907
; %bb.2906:
	s_wait_xcnt 0x0
	v_bfe_i32 v4, v1, 0, 8
	s_mov_b32 s4, 0
	s_delay_alu instid0(VALU_DEP_1) | instskip(NEXT) | instid1(VALU_DEP_1)
	v_bfe_i32 v4, v4, 0, 16
	v_cvt_f64_i32_e32 v[4:5], v4
	global_store_b64 v[2:3], v[4:5], off
.LBB38_2907:
	s_and_not1_b32 vcc_lo, exec_lo, s4
	s_cbranch_vccnz .LBB38_2909
; %bb.2908:
	s_wait_xcnt 0x0
	v_bfe_i32 v4, v1, 0, 8
	s_delay_alu instid0(VALU_DEP_1) | instskip(NEXT) | instid1(VALU_DEP_1)
	v_bfe_i32 v4, v4, 0, 16
	v_cvt_f32_i32_e32 v4, v4
	global_store_b32 v[2:3], v4, off
.LBB38_2909:
	s_mov_b32 s4, 0
.LBB38_2910:
	s_delay_alu instid0(SALU_CYCLE_1)
	s_and_not1_b32 vcc_lo, exec_lo, s4
	s_cbranch_vccnz .LBB38_2912
; %bb.2911:
	s_wait_xcnt 0x0
	v_bfe_i32 v4, v1, 0, 8
	s_delay_alu instid0(VALU_DEP_1)
	v_cvt_f16_i16_e32 v4, v4
	global_store_b16 v[2:3], v4, off
.LBB38_2912:
	s_mov_b32 s4, 0
.LBB38_2913:
	s_delay_alu instid0(SALU_CYCLE_1)
	s_and_not1_b32 vcc_lo, exec_lo, s4
	s_cbranch_vccnz .LBB38_2929
; %bb.2914:
	s_cmp_lt_i32 s0, 2
	s_mov_b32 s4, -1
	s_cbranch_scc1 .LBB38_2924
; %bb.2915:
	s_cmp_lt_i32 s0, 3
	s_cbranch_scc1 .LBB38_2921
; %bb.2916:
	s_cmp_gt_i32 s0, 3
	s_cbranch_scc0 .LBB38_2918
; %bb.2917:
	s_wait_xcnt 0x0
	v_bfe_i32 v4, v1, 0, 8
	s_mov_b32 s4, 0
	s_delay_alu instid0(VALU_DEP_1)
	v_ashrrev_i32_e32 v5, 31, v4
	global_store_b64 v[2:3], v[4:5], off
.LBB38_2918:
	s_and_not1_b32 vcc_lo, exec_lo, s4
	s_cbranch_vccnz .LBB38_2920
; %bb.2919:
	s_wait_xcnt 0x0
	v_bfe_i32 v4, v1, 0, 8
	global_store_b32 v[2:3], v4, off
.LBB38_2920:
	s_mov_b32 s4, 0
.LBB38_2921:
	s_delay_alu instid0(SALU_CYCLE_1)
	s_and_not1_b32 vcc_lo, exec_lo, s4
	s_cbranch_vccnz .LBB38_2923
; %bb.2922:
	s_wait_xcnt 0x0
	v_bfe_i32 v4, v1, 0, 8
	global_store_b16 v[2:3], v4, off
.LBB38_2923:
	s_mov_b32 s4, 0
.LBB38_2924:
	s_delay_alu instid0(SALU_CYCLE_1)
	s_and_not1_b32 vcc_lo, exec_lo, s4
	s_cbranch_vccnz .LBB38_2929
; %bb.2925:
	s_cmp_gt_i32 s0, 0
	s_mov_b32 s0, -1
	s_cbranch_scc0 .LBB38_2927
; %bb.2926:
	s_mov_b32 s0, 0
	global_store_b8 v[2:3], v1, off
.LBB38_2927:
	s_and_not1_b32 vcc_lo, exec_lo, s0
	s_cbranch_vccnz .LBB38_2929
; %bb.2928:
	global_store_b8 v[2:3], v1, off
.LBB38_2929:
	s_mov_b32 s7, -1
.LBB38_2930:
	s_delay_alu instid0(SALU_CYCLE_1)
	s_and_not1_b32 vcc_lo, exec_lo, s7
	s_cbranch_vccnz .LBB38_3126
; %bb.2931:
	v_add_nc_u32_e32 v0, s1, v0
	s_wait_xcnt 0x0
	v_mul_lo_u16 v4, v8, s6
	s_cmp_lt_i32 s18, 11
	s_delay_alu instid0(VALU_DEP_2) | instskip(NEXT) | instid1(VALU_DEP_1)
	v_ashrrev_i32_e32 v1, 31, v0
	v_add_nc_u64_e32 v[2:3], s[2:3], v[0:1]
	s_delay_alu instid0(VALU_DEP_3)
	v_mul_lo_u16 v1, v4, v10
	s_cbranch_scc1 .LBB38_3009
; %bb.2932:
	s_and_b32 s4, 0xffff, s18
	s_mov_b32 s8, -1
	s_mov_b32 s5, 0
	s_cmp_gt_i32 s4, 25
	s_mov_b32 s7, 0
	s_mov_b32 s0, 0
	s_cbranch_scc0 .LBB38_2965
; %bb.2933:
	s_cmp_gt_i32 s4, 28
	s_cbranch_scc0 .LBB38_2948
; %bb.2934:
	s_cmp_gt_i32 s4, 43
	;; [unrolled: 3-line block ×3, first 2 shown]
	s_cbranch_scc0 .LBB38_2938
; %bb.2936:
	s_mov_b32 s0, -1
	s_mov_b32 s8, 0
	s_cmp_eq_u32 s4, 46
	s_cbranch_scc0 .LBB38_2938
; %bb.2937:
	v_bfe_i32 v4, v1, 0, 8
	s_mov_b32 s0, 0
	s_mov_b32 s7, -1
	s_delay_alu instid0(VALU_DEP_1) | instskip(NEXT) | instid1(VALU_DEP_1)
	v_bfe_i32 v4, v4, 0, 16
	v_cvt_f32_i32_e32 v4, v4
	s_delay_alu instid0(VALU_DEP_1) | instskip(NEXT) | instid1(VALU_DEP_1)
	v_bfe_u32 v5, v4, 16, 1
	v_add3_u32 v4, v4, v5, 0x7fff
	s_delay_alu instid0(VALU_DEP_1)
	v_lshrrev_b32_e32 v4, 16, v4
	global_store_b32 v[2:3], v4, off
.LBB38_2938:
	s_and_b32 vcc_lo, exec_lo, s8
	s_cbranch_vccz .LBB38_2943
; %bb.2939:
	s_cmp_eq_u32 s4, 44
	s_mov_b32 s0, -1
	s_cbranch_scc0 .LBB38_2943
; %bb.2940:
	s_wait_xcnt 0x0
	v_bfe_i32 v4, v1, 0, 8
	v_mov_b32_e32 v5, 0xff
	s_mov_b32 s7, exec_lo
	s_delay_alu instid0(VALU_DEP_2) | instskip(NEXT) | instid1(VALU_DEP_1)
	v_bfe_i32 v4, v4, 0, 16
	v_cvt_f32_i32_e32 v4, v4
	s_delay_alu instid0(VALU_DEP_1) | instskip(NEXT) | instid1(VALU_DEP_1)
	v_bfe_u32 v6, v4, 23, 8
	v_cmpx_ne_u32_e32 0xff, v6
	s_cbranch_execz .LBB38_2942
; %bb.2941:
	v_and_b32_e32 v5, 0x400000, v4
	v_and_or_b32 v6, 0x3fffff, v4, v6
	v_lshrrev_b32_e32 v4, 23, v4
	s_delay_alu instid0(VALU_DEP_3) | instskip(NEXT) | instid1(VALU_DEP_3)
	v_cmp_ne_u32_e32 vcc_lo, 0, v5
	v_cmp_ne_u32_e64 s0, 0, v6
	s_and_b32 s0, vcc_lo, s0
	s_delay_alu instid0(SALU_CYCLE_1) | instskip(NEXT) | instid1(VALU_DEP_1)
	v_cndmask_b32_e64 v5, 0, 1, s0
	v_add_nc_u32_e32 v5, v4, v5
.LBB38_2942:
	s_or_b32 exec_lo, exec_lo, s7
	s_mov_b32 s0, 0
	s_mov_b32 s7, -1
	global_store_b8 v[2:3], v5, off
.LBB38_2943:
	s_mov_b32 s8, 0
.LBB38_2944:
	s_delay_alu instid0(SALU_CYCLE_1)
	s_and_b32 vcc_lo, exec_lo, s8
	s_cbranch_vccz .LBB38_2947
; %bb.2945:
	s_cmp_eq_u32 s4, 29
	s_mov_b32 s0, -1
	s_cbranch_scc0 .LBB38_2947
; %bb.2946:
	s_wait_xcnt 0x0
	v_bfe_i32 v4, v1, 0, 8
	s_mov_b32 s0, 0
	s_mov_b32 s7, -1
	s_delay_alu instid0(VALU_DEP_1)
	v_ashrrev_i32_e32 v5, 31, v4
	global_store_b64 v[2:3], v[4:5], off
.LBB38_2947:
	s_mov_b32 s8, 0
.LBB38_2948:
	s_delay_alu instid0(SALU_CYCLE_1)
	s_and_b32 vcc_lo, exec_lo, s8
	s_cbranch_vccz .LBB38_2964
; %bb.2949:
	s_cmp_lt_i32 s4, 27
	s_mov_b32 s7, -1
	s_cbranch_scc1 .LBB38_2955
; %bb.2950:
	s_cmp_gt_i32 s4, 27
	s_cbranch_scc0 .LBB38_2952
; %bb.2951:
	s_wait_xcnt 0x0
	v_bfe_i32 v4, v1, 0, 8
	s_mov_b32 s7, 0
	global_store_b32 v[2:3], v4, off
.LBB38_2952:
	s_and_not1_b32 vcc_lo, exec_lo, s7
	s_cbranch_vccnz .LBB38_2954
; %bb.2953:
	s_wait_xcnt 0x0
	v_bfe_i32 v4, v1, 0, 8
	global_store_b16 v[2:3], v4, off
.LBB38_2954:
	s_mov_b32 s7, 0
.LBB38_2955:
	s_delay_alu instid0(SALU_CYCLE_1)
	s_and_not1_b32 vcc_lo, exec_lo, s7
	s_cbranch_vccnz .LBB38_2963
; %bb.2956:
	s_wait_xcnt 0x0
	v_bfe_i32 v4, v1, 0, 8
	v_mov_b32_e32 v6, 0x80
	s_mov_b32 s7, exec_lo
	s_delay_alu instid0(VALU_DEP_2) | instskip(NEXT) | instid1(VALU_DEP_1)
	v_bfe_i32 v4, v4, 0, 16
	v_cvt_f32_i32_e32 v4, v4
	s_delay_alu instid0(VALU_DEP_1) | instskip(NEXT) | instid1(VALU_DEP_1)
	v_and_b32_e32 v5, 0x7fffffff, v4
	v_cmpx_gt_u32_e32 0x43800000, v5
	s_cbranch_execz .LBB38_2962
; %bb.2957:
	v_cmp_lt_u32_e32 vcc_lo, 0x3bffffff, v5
	s_mov_b32 s8, 0
                                        ; implicit-def: $vgpr5
	s_and_saveexec_b32 s9, vcc_lo
	s_delay_alu instid0(SALU_CYCLE_1)
	s_xor_b32 s9, exec_lo, s9
	s_cbranch_execz .LBB38_3183
; %bb.2958:
	v_bfe_u32 v5, v4, 20, 1
	s_mov_b32 s8, exec_lo
	s_delay_alu instid0(VALU_DEP_1) | instskip(NEXT) | instid1(VALU_DEP_1)
	v_add3_u32 v5, v4, v5, 0x487ffff
	v_lshrrev_b32_e32 v5, 20, v5
	s_and_not1_saveexec_b32 s9, s9
	s_cbranch_execnz .LBB38_3184
.LBB38_2959:
	s_or_b32 exec_lo, exec_lo, s9
	v_mov_b32_e32 v6, 0
	s_and_saveexec_b32 s9, s8
.LBB38_2960:
	v_lshrrev_b32_e32 v4, 24, v4
	s_delay_alu instid0(VALU_DEP_1)
	v_and_or_b32 v6, 0x80, v4, v5
.LBB38_2961:
	s_or_b32 exec_lo, exec_lo, s9
.LBB38_2962:
	s_delay_alu instid0(SALU_CYCLE_1)
	s_or_b32 exec_lo, exec_lo, s7
	global_store_b8 v[2:3], v6, off
.LBB38_2963:
	s_mov_b32 s7, -1
.LBB38_2964:
	s_mov_b32 s8, 0
.LBB38_2965:
	s_delay_alu instid0(SALU_CYCLE_1)
	s_and_b32 vcc_lo, exec_lo, s8
	s_cbranch_vccz .LBB38_3005
; %bb.2966:
	s_cmp_gt_i32 s4, 22
	s_mov_b32 s5, -1
	s_cbranch_scc0 .LBB38_2998
; %bb.2967:
	s_cmp_lt_i32 s4, 24
	s_cbranch_scc1 .LBB38_2987
; %bb.2968:
	s_cmp_gt_i32 s4, 24
	s_cbranch_scc0 .LBB38_2976
; %bb.2969:
	s_wait_xcnt 0x0
	v_bfe_i32 v4, v1, 0, 8
	v_mov_b32_e32 v6, 0x80
	s_mov_b32 s5, exec_lo
	s_delay_alu instid0(VALU_DEP_2) | instskip(NEXT) | instid1(VALU_DEP_1)
	v_bfe_i32 v4, v4, 0, 16
	v_cvt_f32_i32_e32 v4, v4
	s_delay_alu instid0(VALU_DEP_1) | instskip(NEXT) | instid1(VALU_DEP_1)
	v_and_b32_e32 v5, 0x7fffffff, v4
	v_cmpx_gt_u32_e32 0x47800000, v5
	s_cbranch_execz .LBB38_2975
; %bb.2970:
	v_cmp_lt_u32_e32 vcc_lo, 0x37ffffff, v5
	s_mov_b32 s7, 0
                                        ; implicit-def: $vgpr5
	s_and_saveexec_b32 s8, vcc_lo
	s_delay_alu instid0(SALU_CYCLE_1)
	s_xor_b32 s8, exec_lo, s8
	s_cbranch_execz .LBB38_3186
; %bb.2971:
	v_bfe_u32 v5, v4, 21, 1
	s_mov_b32 s7, exec_lo
	s_delay_alu instid0(VALU_DEP_1) | instskip(NEXT) | instid1(VALU_DEP_1)
	v_add3_u32 v5, v4, v5, 0x88fffff
	v_lshrrev_b32_e32 v5, 21, v5
	s_and_not1_saveexec_b32 s8, s8
	s_cbranch_execnz .LBB38_3187
.LBB38_2972:
	s_or_b32 exec_lo, exec_lo, s8
	v_mov_b32_e32 v6, 0
	s_and_saveexec_b32 s8, s7
.LBB38_2973:
	v_lshrrev_b32_e32 v4, 24, v4
	s_delay_alu instid0(VALU_DEP_1)
	v_and_or_b32 v6, 0x80, v4, v5
.LBB38_2974:
	s_or_b32 exec_lo, exec_lo, s8
.LBB38_2975:
	s_delay_alu instid0(SALU_CYCLE_1)
	s_or_b32 exec_lo, exec_lo, s5
	s_mov_b32 s5, 0
	global_store_b8 v[2:3], v6, off
.LBB38_2976:
	s_and_b32 vcc_lo, exec_lo, s5
	s_cbranch_vccz .LBB38_2986
; %bb.2977:
	s_wait_xcnt 0x0
	v_bfe_i32 v4, v1, 0, 8
	s_mov_b32 s5, exec_lo
                                        ; implicit-def: $vgpr5
	s_delay_alu instid0(VALU_DEP_1) | instskip(NEXT) | instid1(VALU_DEP_1)
	v_bfe_i32 v4, v4, 0, 16
	v_cvt_f32_i32_e32 v4, v4
	s_delay_alu instid0(VALU_DEP_1) | instskip(NEXT) | instid1(VALU_DEP_1)
	v_and_b32_e32 v6, 0x7fffffff, v4
	v_cmpx_gt_u32_e32 0x43f00000, v6
	s_xor_b32 s5, exec_lo, s5
	s_cbranch_execz .LBB38_2983
; %bb.2978:
	s_mov_b32 s7, exec_lo
                                        ; implicit-def: $vgpr5
	v_cmpx_lt_u32_e32 0x3c7fffff, v6
	s_xor_b32 s7, exec_lo, s7
; %bb.2979:
	v_bfe_u32 v5, v4, 20, 1
	s_delay_alu instid0(VALU_DEP_1) | instskip(NEXT) | instid1(VALU_DEP_1)
	v_add3_u32 v5, v4, v5, 0x407ffff
	v_and_b32_e32 v6, 0xff00000, v5
	v_lshrrev_b32_e32 v5, 20, v5
	s_delay_alu instid0(VALU_DEP_2) | instskip(NEXT) | instid1(VALU_DEP_2)
	v_cmp_ne_u32_e32 vcc_lo, 0x7f00000, v6
	v_cndmask_b32_e32 v5, 0x7e, v5, vcc_lo
; %bb.2980:
	s_and_not1_saveexec_b32 s7, s7
; %bb.2981:
	v_add_f32_e64 v5, 0x46800000, |v4|
; %bb.2982:
	s_or_b32 exec_lo, exec_lo, s7
                                        ; implicit-def: $vgpr6
.LBB38_2983:
	s_and_not1_saveexec_b32 s5, s5
; %bb.2984:
	v_mov_b32_e32 v5, 0x7f
	v_cmp_lt_u32_e32 vcc_lo, 0x7f800000, v6
	s_delay_alu instid0(VALU_DEP_2)
	v_cndmask_b32_e32 v5, 0x7e, v5, vcc_lo
; %bb.2985:
	s_or_b32 exec_lo, exec_lo, s5
	v_lshrrev_b32_e32 v4, 24, v4
	s_delay_alu instid0(VALU_DEP_1)
	v_and_or_b32 v4, 0x80, v4, v5
	global_store_b8 v[2:3], v4, off
.LBB38_2986:
	s_mov_b32 s5, 0
.LBB38_2987:
	s_delay_alu instid0(SALU_CYCLE_1)
	s_and_not1_b32 vcc_lo, exec_lo, s5
	s_cbranch_vccnz .LBB38_2997
; %bb.2988:
	s_wait_xcnt 0x0
	v_bfe_i32 v4, v1, 0, 8
	s_mov_b32 s5, exec_lo
                                        ; implicit-def: $vgpr5
	s_delay_alu instid0(VALU_DEP_1) | instskip(NEXT) | instid1(VALU_DEP_1)
	v_bfe_i32 v4, v4, 0, 16
	v_cvt_f32_i32_e32 v4, v4
	s_delay_alu instid0(VALU_DEP_1) | instskip(NEXT) | instid1(VALU_DEP_1)
	v_and_b32_e32 v6, 0x7fffffff, v4
	v_cmpx_gt_u32_e32 0x47800000, v6
	s_xor_b32 s5, exec_lo, s5
	s_cbranch_execz .LBB38_2994
; %bb.2989:
	s_mov_b32 s7, exec_lo
                                        ; implicit-def: $vgpr5
	v_cmpx_lt_u32_e32 0x387fffff, v6
	s_xor_b32 s7, exec_lo, s7
; %bb.2990:
	v_bfe_u32 v5, v4, 21, 1
	s_delay_alu instid0(VALU_DEP_1) | instskip(NEXT) | instid1(VALU_DEP_1)
	v_add3_u32 v5, v4, v5, 0x80fffff
	v_lshrrev_b32_e32 v5, 21, v5
; %bb.2991:
	s_and_not1_saveexec_b32 s7, s7
; %bb.2992:
	v_add_f32_e64 v5, 0x43000000, |v4|
; %bb.2993:
	s_or_b32 exec_lo, exec_lo, s7
                                        ; implicit-def: $vgpr6
.LBB38_2994:
	s_and_not1_saveexec_b32 s5, s5
; %bb.2995:
	v_mov_b32_e32 v5, 0x7f
	v_cmp_lt_u32_e32 vcc_lo, 0x7f800000, v6
	s_delay_alu instid0(VALU_DEP_2)
	v_cndmask_b32_e32 v5, 0x7c, v5, vcc_lo
; %bb.2996:
	s_or_b32 exec_lo, exec_lo, s5
	v_lshrrev_b32_e32 v4, 24, v4
	s_delay_alu instid0(VALU_DEP_1)
	v_and_or_b32 v4, 0x80, v4, v5
	global_store_b8 v[2:3], v4, off
.LBB38_2997:
	s_mov_b32 s5, 0
	s_mov_b32 s7, -1
.LBB38_2998:
	s_and_not1_b32 vcc_lo, exec_lo, s5
	s_mov_b32 s5, 0
	s_cbranch_vccnz .LBB38_3005
; %bb.2999:
	s_cmp_gt_i32 s4, 14
	s_mov_b32 s5, -1
	s_cbranch_scc0 .LBB38_3003
; %bb.3000:
	s_cmp_eq_u32 s4, 15
	s_mov_b32 s0, -1
	s_cbranch_scc0 .LBB38_3002
; %bb.3001:
	s_wait_xcnt 0x0
	v_bfe_i32 v4, v1, 0, 8
	s_mov_b32 s0, 0
	s_mov_b32 s7, -1
	s_delay_alu instid0(VALU_DEP_1) | instskip(NEXT) | instid1(VALU_DEP_1)
	v_bfe_i32 v4, v4, 0, 16
	v_cvt_f32_i32_e32 v4, v4
	s_delay_alu instid0(VALU_DEP_1) | instskip(NEXT) | instid1(VALU_DEP_1)
	v_bfe_u32 v5, v4, 16, 1
	v_add3_u32 v4, v4, v5, 0x7fff
	global_store_d16_hi_b16 v[2:3], v4, off
.LBB38_3002:
	s_mov_b32 s5, 0
.LBB38_3003:
	s_delay_alu instid0(SALU_CYCLE_1)
	s_and_b32 vcc_lo, exec_lo, s5
	s_mov_b32 s5, 0
	s_cbranch_vccz .LBB38_3005
; %bb.3004:
	s_cmp_lg_u32 s4, 11
	s_mov_b32 s5, -1
	s_cselect_b32 s0, -1, 0
.LBB38_3005:
	s_delay_alu instid0(SALU_CYCLE_1)
	s_and_b32 vcc_lo, exec_lo, s0
	s_cbranch_vccnz .LBB38_3185
; %bb.3006:
	s_and_not1_b32 vcc_lo, exec_lo, s5
	s_cbranch_vccnz .LBB38_3008
.LBB38_3007:
	s_wait_xcnt 0x0
	v_and_b32_e32 v4, 0xff, v1
	s_mov_b32 s7, -1
	s_delay_alu instid0(VALU_DEP_1)
	v_cmp_ne_u16_e32 vcc_lo, 0, v4
	v_cndmask_b32_e64 v4, 0, 1, vcc_lo
	global_store_b8 v[2:3], v4, off
.LBB38_3008:
	s_mov_b32 s0, 0
	s_branch .LBB38_3010
.LBB38_3009:
	s_mov_b32 s0, -1
	s_mov_b32 s7, 0
.LBB38_3010:
	s_and_b32 vcc_lo, exec_lo, s0
	s_cbranch_vccz .LBB38_3049
; %bb.3011:
	s_and_b32 s0, 0xffff, s18
	s_mov_b32 s4, -1
	s_cmp_lt_i32 s0, 5
	s_cbranch_scc1 .LBB38_3032
; %bb.3012:
	s_cmp_lt_i32 s0, 8
	s_cbranch_scc1 .LBB38_3022
; %bb.3013:
	;; [unrolled: 3-line block ×3, first 2 shown]
	s_cmp_gt_i32 s0, 9
	s_cbranch_scc0 .LBB38_3016
; %bb.3015:
	s_wait_xcnt 0x0
	v_bfe_i32 v4, v1, 0, 8
	v_mov_b32_e32 v6, 0
	s_mov_b32 s4, 0
	s_delay_alu instid0(VALU_DEP_2) | instskip(NEXT) | instid1(VALU_DEP_2)
	v_bfe_i32 v4, v4, 0, 16
	v_mov_b32_e32 v7, v6
	s_delay_alu instid0(VALU_DEP_2)
	v_cvt_f64_i32_e32 v[4:5], v4
	global_store_b128 v[2:3], v[4:7], off
.LBB38_3016:
	s_and_not1_b32 vcc_lo, exec_lo, s4
	s_cbranch_vccnz .LBB38_3018
; %bb.3017:
	s_wait_xcnt 0x0
	v_bfe_i32 v4, v1, 0, 8
	v_mov_b32_e32 v5, 0
	s_delay_alu instid0(VALU_DEP_2) | instskip(NEXT) | instid1(VALU_DEP_1)
	v_bfe_i32 v4, v4, 0, 16
	v_cvt_f32_i32_e32 v4, v4
	global_store_b64 v[2:3], v[4:5], off
.LBB38_3018:
	s_mov_b32 s4, 0
.LBB38_3019:
	s_delay_alu instid0(SALU_CYCLE_1)
	s_and_not1_b32 vcc_lo, exec_lo, s4
	s_cbranch_vccnz .LBB38_3021
; %bb.3020:
	s_wait_xcnt 0x0
	v_bfe_i32 v4, v1, 0, 8
	s_delay_alu instid0(VALU_DEP_1) | instskip(NEXT) | instid1(VALU_DEP_1)
	v_cvt_f16_i16_e32 v4, v4
	v_and_b32_e32 v4, 0xffff, v4
	global_store_b32 v[2:3], v4, off
.LBB38_3021:
	s_mov_b32 s4, 0
.LBB38_3022:
	s_delay_alu instid0(SALU_CYCLE_1)
	s_and_not1_b32 vcc_lo, exec_lo, s4
	s_cbranch_vccnz .LBB38_3031
; %bb.3023:
	s_cmp_lt_i32 s0, 6
	s_mov_b32 s4, -1
	s_cbranch_scc1 .LBB38_3029
; %bb.3024:
	s_cmp_gt_i32 s0, 6
	s_cbranch_scc0 .LBB38_3026
; %bb.3025:
	s_wait_xcnt 0x0
	v_bfe_i32 v4, v1, 0, 8
	s_mov_b32 s4, 0
	s_delay_alu instid0(VALU_DEP_1) | instskip(NEXT) | instid1(VALU_DEP_1)
	v_bfe_i32 v4, v4, 0, 16
	v_cvt_f64_i32_e32 v[4:5], v4
	global_store_b64 v[2:3], v[4:5], off
.LBB38_3026:
	s_and_not1_b32 vcc_lo, exec_lo, s4
	s_cbranch_vccnz .LBB38_3028
; %bb.3027:
	s_wait_xcnt 0x0
	v_bfe_i32 v4, v1, 0, 8
	s_delay_alu instid0(VALU_DEP_1) | instskip(NEXT) | instid1(VALU_DEP_1)
	v_bfe_i32 v4, v4, 0, 16
	v_cvt_f32_i32_e32 v4, v4
	global_store_b32 v[2:3], v4, off
.LBB38_3028:
	s_mov_b32 s4, 0
.LBB38_3029:
	s_delay_alu instid0(SALU_CYCLE_1)
	s_and_not1_b32 vcc_lo, exec_lo, s4
	s_cbranch_vccnz .LBB38_3031
; %bb.3030:
	s_wait_xcnt 0x0
	v_bfe_i32 v4, v1, 0, 8
	s_delay_alu instid0(VALU_DEP_1)
	v_cvt_f16_i16_e32 v4, v4
	global_store_b16 v[2:3], v4, off
.LBB38_3031:
	s_mov_b32 s4, 0
.LBB38_3032:
	s_delay_alu instid0(SALU_CYCLE_1)
	s_and_not1_b32 vcc_lo, exec_lo, s4
	s_cbranch_vccnz .LBB38_3048
; %bb.3033:
	s_cmp_lt_i32 s0, 2
	s_mov_b32 s4, -1
	s_cbranch_scc1 .LBB38_3043
; %bb.3034:
	s_cmp_lt_i32 s0, 3
	s_cbranch_scc1 .LBB38_3040
; %bb.3035:
	s_cmp_gt_i32 s0, 3
	s_cbranch_scc0 .LBB38_3037
; %bb.3036:
	s_wait_xcnt 0x0
	v_bfe_i32 v4, v1, 0, 8
	s_mov_b32 s4, 0
	s_delay_alu instid0(VALU_DEP_1)
	v_ashrrev_i32_e32 v5, 31, v4
	global_store_b64 v[2:3], v[4:5], off
.LBB38_3037:
	s_and_not1_b32 vcc_lo, exec_lo, s4
	s_cbranch_vccnz .LBB38_3039
; %bb.3038:
	s_wait_xcnt 0x0
	v_bfe_i32 v4, v1, 0, 8
	global_store_b32 v[2:3], v4, off
.LBB38_3039:
	s_mov_b32 s4, 0
.LBB38_3040:
	s_delay_alu instid0(SALU_CYCLE_1)
	s_and_not1_b32 vcc_lo, exec_lo, s4
	s_cbranch_vccnz .LBB38_3042
; %bb.3041:
	s_wait_xcnt 0x0
	v_bfe_i32 v4, v1, 0, 8
	global_store_b16 v[2:3], v4, off
.LBB38_3042:
	s_mov_b32 s4, 0
.LBB38_3043:
	s_delay_alu instid0(SALU_CYCLE_1)
	s_and_not1_b32 vcc_lo, exec_lo, s4
	s_cbranch_vccnz .LBB38_3048
; %bb.3044:
	s_cmp_gt_i32 s0, 0
	s_mov_b32 s0, -1
	s_cbranch_scc0 .LBB38_3046
; %bb.3045:
	s_mov_b32 s0, 0
	global_store_b8 v[2:3], v1, off
.LBB38_3046:
	s_and_not1_b32 vcc_lo, exec_lo, s0
	s_cbranch_vccnz .LBB38_3048
; %bb.3047:
	global_store_b8 v[2:3], v1, off
.LBB38_3048:
	s_mov_b32 s7, -1
.LBB38_3049:
	s_delay_alu instid0(SALU_CYCLE_1)
	s_and_not1_b32 vcc_lo, exec_lo, s7
	s_cbranch_vccnz .LBB38_3126
; %bb.3050:
	v_add_nc_u32_e32 v0, s1, v0
	s_wait_xcnt 0x0
	v_mul_lo_u16 v2, v12, s6
	s_cmp_lt_i32 s18, 11
	s_delay_alu instid0(VALU_DEP_2) | instskip(NEXT) | instid1(VALU_DEP_2)
	v_ashrrev_i32_e32 v1, 31, v0
	v_mul_lo_u16 v2, v2, v14
	s_delay_alu instid0(VALU_DEP_2)
	v_add_nc_u64_e32 v[0:1], s[2:3], v[0:1]
	s_cbranch_scc1 .LBB38_3171
; %bb.3051:
	s_and_b32 s2, 0xffff, s18
	s_mov_b32 s3, -1
	s_mov_b32 s1, 0
	s_cmp_gt_i32 s2, 25
	s_mov_b32 s0, 0
	s_cbranch_scc0 .LBB38_3084
; %bb.3052:
	s_cmp_gt_i32 s2, 28
	s_cbranch_scc0 .LBB38_3068
; %bb.3053:
	s_cmp_gt_i32 s2, 43
	;; [unrolled: 3-line block ×3, first 2 shown]
	s_cbranch_scc0 .LBB38_3058
; %bb.3055:
	s_cmp_eq_u32 s2, 46
	s_mov_b32 s0, -1
	s_cbranch_scc0 .LBB38_3057
; %bb.3056:
	v_bfe_i32 v3, v2, 0, 8
	s_mov_b32 s0, 0
	s_delay_alu instid0(VALU_DEP_1) | instskip(NEXT) | instid1(VALU_DEP_1)
	v_bfe_i32 v3, v3, 0, 16
	v_cvt_f32_i32_e32 v3, v3
	s_delay_alu instid0(VALU_DEP_1) | instskip(NEXT) | instid1(VALU_DEP_1)
	v_bfe_u32 v4, v3, 16, 1
	v_add3_u32 v3, v3, v4, 0x7fff
	s_delay_alu instid0(VALU_DEP_1)
	v_lshrrev_b32_e32 v3, 16, v3
	global_store_b32 v[0:1], v3, off
.LBB38_3057:
	s_mov_b32 s3, 0
.LBB38_3058:
	s_delay_alu instid0(SALU_CYCLE_1)
	s_and_b32 vcc_lo, exec_lo, s3
	s_cbranch_vccz .LBB38_3063
; %bb.3059:
	s_cmp_eq_u32 s2, 44
	s_mov_b32 s0, -1
	s_cbranch_scc0 .LBB38_3063
; %bb.3060:
	s_wait_xcnt 0x0
	v_bfe_i32 v3, v2, 0, 8
	v_mov_b32_e32 v4, 0xff
	s_mov_b32 s3, exec_lo
	s_delay_alu instid0(VALU_DEP_2) | instskip(NEXT) | instid1(VALU_DEP_1)
	v_bfe_i32 v3, v3, 0, 16
	v_cvt_f32_i32_e32 v3, v3
	s_delay_alu instid0(VALU_DEP_1) | instskip(NEXT) | instid1(VALU_DEP_1)
	v_bfe_u32 v5, v3, 23, 8
	v_cmpx_ne_u32_e32 0xff, v5
	s_cbranch_execz .LBB38_3062
; %bb.3061:
	v_and_b32_e32 v4, 0x400000, v3
	v_and_or_b32 v5, 0x3fffff, v3, v5
	v_lshrrev_b32_e32 v3, 23, v3
	s_delay_alu instid0(VALU_DEP_3) | instskip(NEXT) | instid1(VALU_DEP_3)
	v_cmp_ne_u32_e32 vcc_lo, 0, v4
	v_cmp_ne_u32_e64 s0, 0, v5
	s_and_b32 s0, vcc_lo, s0
	s_delay_alu instid0(SALU_CYCLE_1) | instskip(NEXT) | instid1(VALU_DEP_1)
	v_cndmask_b32_e64 v4, 0, 1, s0
	v_add_nc_u32_e32 v4, v3, v4
.LBB38_3062:
	s_or_b32 exec_lo, exec_lo, s3
	s_mov_b32 s0, 0
	global_store_b8 v[0:1], v4, off
.LBB38_3063:
	s_mov_b32 s3, 0
.LBB38_3064:
	s_delay_alu instid0(SALU_CYCLE_1)
	s_and_b32 vcc_lo, exec_lo, s3
	s_cbranch_vccz .LBB38_3067
; %bb.3065:
	s_cmp_eq_u32 s2, 29
	s_mov_b32 s0, -1
	s_cbranch_scc0 .LBB38_3067
; %bb.3066:
	s_wait_xcnt 0x0
	v_bfe_i32 v4, v2, 0, 8
	s_mov_b32 s0, 0
	s_delay_alu instid0(VALU_DEP_1)
	v_ashrrev_i32_e32 v5, 31, v4
	global_store_b64 v[0:1], v[4:5], off
.LBB38_3067:
	s_mov_b32 s3, 0
.LBB38_3068:
	s_delay_alu instid0(SALU_CYCLE_1)
	s_and_b32 vcc_lo, exec_lo, s3
	s_cbranch_vccz .LBB38_3083
; %bb.3069:
	s_cmp_lt_i32 s2, 27
	s_mov_b32 s3, -1
	s_cbranch_scc1 .LBB38_3075
; %bb.3070:
	s_cmp_gt_i32 s2, 27
	s_cbranch_scc0 .LBB38_3072
; %bb.3071:
	s_wait_xcnt 0x0
	v_bfe_i32 v3, v2, 0, 8
	s_mov_b32 s3, 0
	global_store_b32 v[0:1], v3, off
.LBB38_3072:
	s_and_not1_b32 vcc_lo, exec_lo, s3
	s_cbranch_vccnz .LBB38_3074
; %bb.3073:
	s_wait_xcnt 0x0
	v_bfe_i32 v3, v2, 0, 8
	global_store_b16 v[0:1], v3, off
.LBB38_3074:
	s_mov_b32 s3, 0
.LBB38_3075:
	s_delay_alu instid0(SALU_CYCLE_1)
	s_and_not1_b32 vcc_lo, exec_lo, s3
	s_cbranch_vccnz .LBB38_3083
; %bb.3076:
	s_wait_xcnt 0x0
	v_bfe_i32 v3, v2, 0, 8
	v_mov_b32_e32 v5, 0x80
	s_mov_b32 s3, exec_lo
	s_delay_alu instid0(VALU_DEP_2) | instskip(NEXT) | instid1(VALU_DEP_1)
	v_bfe_i32 v3, v3, 0, 16
	v_cvt_f32_i32_e32 v3, v3
	s_delay_alu instid0(VALU_DEP_1) | instskip(NEXT) | instid1(VALU_DEP_1)
	v_and_b32_e32 v4, 0x7fffffff, v3
	v_cmpx_gt_u32_e32 0x43800000, v4
	s_cbranch_execz .LBB38_3082
; %bb.3077:
	v_cmp_lt_u32_e32 vcc_lo, 0x3bffffff, v4
	s_mov_b32 s4, 0
                                        ; implicit-def: $vgpr4
	s_and_saveexec_b32 s5, vcc_lo
	s_delay_alu instid0(SALU_CYCLE_1)
	s_xor_b32 s5, exec_lo, s5
	s_cbranch_execz .LBB38_3188
; %bb.3078:
	v_bfe_u32 v4, v3, 20, 1
	s_mov_b32 s4, exec_lo
	s_delay_alu instid0(VALU_DEP_1) | instskip(NEXT) | instid1(VALU_DEP_1)
	v_add3_u32 v4, v3, v4, 0x487ffff
	v_lshrrev_b32_e32 v4, 20, v4
	s_and_not1_saveexec_b32 s5, s5
	s_cbranch_execnz .LBB38_3189
.LBB38_3079:
	s_or_b32 exec_lo, exec_lo, s5
	v_mov_b32_e32 v5, 0
	s_and_saveexec_b32 s5, s4
.LBB38_3080:
	v_lshrrev_b32_e32 v3, 24, v3
	s_delay_alu instid0(VALU_DEP_1)
	v_and_or_b32 v5, 0x80, v3, v4
.LBB38_3081:
	s_or_b32 exec_lo, exec_lo, s5
.LBB38_3082:
	s_delay_alu instid0(SALU_CYCLE_1)
	s_or_b32 exec_lo, exec_lo, s3
	global_store_b8 v[0:1], v5, off
.LBB38_3083:
	s_mov_b32 s3, 0
.LBB38_3084:
	s_delay_alu instid0(SALU_CYCLE_1)
	s_and_b32 vcc_lo, exec_lo, s3
	s_cbranch_vccz .LBB38_3124
; %bb.3085:
	s_cmp_gt_i32 s2, 22
	s_mov_b32 s1, -1
	s_cbranch_scc0 .LBB38_3117
; %bb.3086:
	s_cmp_lt_i32 s2, 24
	s_cbranch_scc1 .LBB38_3106
; %bb.3087:
	s_cmp_gt_i32 s2, 24
	s_cbranch_scc0 .LBB38_3095
; %bb.3088:
	s_wait_xcnt 0x0
	v_bfe_i32 v3, v2, 0, 8
	v_mov_b32_e32 v5, 0x80
	s_mov_b32 s1, exec_lo
	s_delay_alu instid0(VALU_DEP_2) | instskip(NEXT) | instid1(VALU_DEP_1)
	v_bfe_i32 v3, v3, 0, 16
	v_cvt_f32_i32_e32 v3, v3
	s_delay_alu instid0(VALU_DEP_1) | instskip(NEXT) | instid1(VALU_DEP_1)
	v_and_b32_e32 v4, 0x7fffffff, v3
	v_cmpx_gt_u32_e32 0x47800000, v4
	s_cbranch_execz .LBB38_3094
; %bb.3089:
	v_cmp_lt_u32_e32 vcc_lo, 0x37ffffff, v4
	s_mov_b32 s3, 0
                                        ; implicit-def: $vgpr4
	s_and_saveexec_b32 s4, vcc_lo
	s_delay_alu instid0(SALU_CYCLE_1)
	s_xor_b32 s4, exec_lo, s4
	s_cbranch_execz .LBB38_3191
; %bb.3090:
	v_bfe_u32 v4, v3, 21, 1
	s_mov_b32 s3, exec_lo
	s_delay_alu instid0(VALU_DEP_1) | instskip(NEXT) | instid1(VALU_DEP_1)
	v_add3_u32 v4, v3, v4, 0x88fffff
	v_lshrrev_b32_e32 v4, 21, v4
	s_and_not1_saveexec_b32 s4, s4
	s_cbranch_execnz .LBB38_3192
.LBB38_3091:
	s_or_b32 exec_lo, exec_lo, s4
	v_mov_b32_e32 v5, 0
	s_and_saveexec_b32 s4, s3
.LBB38_3092:
	v_lshrrev_b32_e32 v3, 24, v3
	s_delay_alu instid0(VALU_DEP_1)
	v_and_or_b32 v5, 0x80, v3, v4
.LBB38_3093:
	s_or_b32 exec_lo, exec_lo, s4
.LBB38_3094:
	s_delay_alu instid0(SALU_CYCLE_1)
	s_or_b32 exec_lo, exec_lo, s1
	s_mov_b32 s1, 0
	global_store_b8 v[0:1], v5, off
.LBB38_3095:
	s_and_b32 vcc_lo, exec_lo, s1
	s_cbranch_vccz .LBB38_3105
; %bb.3096:
	s_wait_xcnt 0x0
	v_bfe_i32 v3, v2, 0, 8
	s_mov_b32 s1, exec_lo
                                        ; implicit-def: $vgpr4
	s_delay_alu instid0(VALU_DEP_1) | instskip(NEXT) | instid1(VALU_DEP_1)
	v_bfe_i32 v3, v3, 0, 16
	v_cvt_f32_i32_e32 v3, v3
	s_delay_alu instid0(VALU_DEP_1) | instskip(NEXT) | instid1(VALU_DEP_1)
	v_and_b32_e32 v5, 0x7fffffff, v3
	v_cmpx_gt_u32_e32 0x43f00000, v5
	s_xor_b32 s1, exec_lo, s1
	s_cbranch_execz .LBB38_3102
; %bb.3097:
	s_mov_b32 s3, exec_lo
                                        ; implicit-def: $vgpr4
	v_cmpx_lt_u32_e32 0x3c7fffff, v5
	s_xor_b32 s3, exec_lo, s3
; %bb.3098:
	v_bfe_u32 v4, v3, 20, 1
	s_delay_alu instid0(VALU_DEP_1) | instskip(NEXT) | instid1(VALU_DEP_1)
	v_add3_u32 v4, v3, v4, 0x407ffff
	v_and_b32_e32 v5, 0xff00000, v4
	v_lshrrev_b32_e32 v4, 20, v4
	s_delay_alu instid0(VALU_DEP_2) | instskip(NEXT) | instid1(VALU_DEP_2)
	v_cmp_ne_u32_e32 vcc_lo, 0x7f00000, v5
	v_cndmask_b32_e32 v4, 0x7e, v4, vcc_lo
; %bb.3099:
	s_and_not1_saveexec_b32 s3, s3
; %bb.3100:
	v_add_f32_e64 v4, 0x46800000, |v3|
; %bb.3101:
	s_or_b32 exec_lo, exec_lo, s3
                                        ; implicit-def: $vgpr5
.LBB38_3102:
	s_and_not1_saveexec_b32 s1, s1
; %bb.3103:
	v_mov_b32_e32 v4, 0x7f
	v_cmp_lt_u32_e32 vcc_lo, 0x7f800000, v5
	s_delay_alu instid0(VALU_DEP_2)
	v_cndmask_b32_e32 v4, 0x7e, v4, vcc_lo
; %bb.3104:
	s_or_b32 exec_lo, exec_lo, s1
	v_lshrrev_b32_e32 v3, 24, v3
	s_delay_alu instid0(VALU_DEP_1)
	v_and_or_b32 v3, 0x80, v3, v4
	global_store_b8 v[0:1], v3, off
.LBB38_3105:
	s_mov_b32 s1, 0
.LBB38_3106:
	s_delay_alu instid0(SALU_CYCLE_1)
	s_and_not1_b32 vcc_lo, exec_lo, s1
	s_cbranch_vccnz .LBB38_3116
; %bb.3107:
	s_wait_xcnt 0x0
	v_bfe_i32 v3, v2, 0, 8
	s_mov_b32 s1, exec_lo
                                        ; implicit-def: $vgpr4
	s_delay_alu instid0(VALU_DEP_1) | instskip(NEXT) | instid1(VALU_DEP_1)
	v_bfe_i32 v3, v3, 0, 16
	v_cvt_f32_i32_e32 v3, v3
	s_delay_alu instid0(VALU_DEP_1) | instskip(NEXT) | instid1(VALU_DEP_1)
	v_and_b32_e32 v5, 0x7fffffff, v3
	v_cmpx_gt_u32_e32 0x47800000, v5
	s_xor_b32 s1, exec_lo, s1
	s_cbranch_execz .LBB38_3113
; %bb.3108:
	s_mov_b32 s3, exec_lo
                                        ; implicit-def: $vgpr4
	v_cmpx_lt_u32_e32 0x387fffff, v5
	s_xor_b32 s3, exec_lo, s3
; %bb.3109:
	v_bfe_u32 v4, v3, 21, 1
	s_delay_alu instid0(VALU_DEP_1) | instskip(NEXT) | instid1(VALU_DEP_1)
	v_add3_u32 v4, v3, v4, 0x80fffff
	v_lshrrev_b32_e32 v4, 21, v4
; %bb.3110:
	s_and_not1_saveexec_b32 s3, s3
; %bb.3111:
	v_add_f32_e64 v4, 0x43000000, |v3|
; %bb.3112:
	s_or_b32 exec_lo, exec_lo, s3
                                        ; implicit-def: $vgpr5
.LBB38_3113:
	s_and_not1_saveexec_b32 s1, s1
; %bb.3114:
	v_mov_b32_e32 v4, 0x7f
	v_cmp_lt_u32_e32 vcc_lo, 0x7f800000, v5
	s_delay_alu instid0(VALU_DEP_2)
	v_cndmask_b32_e32 v4, 0x7c, v4, vcc_lo
; %bb.3115:
	s_or_b32 exec_lo, exec_lo, s1
	v_lshrrev_b32_e32 v3, 24, v3
	s_delay_alu instid0(VALU_DEP_1)
	v_and_or_b32 v3, 0x80, v3, v4
	global_store_b8 v[0:1], v3, off
.LBB38_3116:
	s_mov_b32 s1, 0
.LBB38_3117:
	s_delay_alu instid0(SALU_CYCLE_1)
	s_and_not1_b32 vcc_lo, exec_lo, s1
	s_mov_b32 s1, 0
	s_cbranch_vccnz .LBB38_3124
; %bb.3118:
	s_cmp_gt_i32 s2, 14
	s_mov_b32 s1, -1
	s_cbranch_scc0 .LBB38_3122
; %bb.3119:
	s_cmp_eq_u32 s2, 15
	s_mov_b32 s0, -1
	s_cbranch_scc0 .LBB38_3121
; %bb.3120:
	s_wait_xcnt 0x0
	v_bfe_i32 v3, v2, 0, 8
	s_mov_b32 s0, 0
	s_delay_alu instid0(VALU_DEP_1) | instskip(NEXT) | instid1(VALU_DEP_1)
	v_bfe_i32 v3, v3, 0, 16
	v_cvt_f32_i32_e32 v3, v3
	s_delay_alu instid0(VALU_DEP_1) | instskip(NEXT) | instid1(VALU_DEP_1)
	v_bfe_u32 v4, v3, 16, 1
	v_add3_u32 v3, v3, v4, 0x7fff
	global_store_d16_hi_b16 v[0:1], v3, off
.LBB38_3121:
	s_mov_b32 s1, 0
.LBB38_3122:
	s_delay_alu instid0(SALU_CYCLE_1)
	s_and_b32 vcc_lo, exec_lo, s1
	s_mov_b32 s1, 0
	s_cbranch_vccz .LBB38_3124
; %bb.3123:
	s_cmp_lg_u32 s2, 11
	s_mov_b32 s1, -1
	s_cselect_b32 s0, -1, 0
.LBB38_3124:
	s_delay_alu instid0(SALU_CYCLE_1)
	s_and_b32 vcc_lo, exec_lo, s0
	s_cbranch_vccnz .LBB38_3190
.LBB38_3125:
	s_mov_b32 s0, 0
	s_branch .LBB38_3127
.LBB38_3126:
	s_mov_b32 s0, 0
	s_mov_b32 s1, 0
                                        ; implicit-def: $sgpr18
                                        ; implicit-def: $vgpr0_vgpr1
                                        ; implicit-def: $vgpr2
.LBB38_3127:
	s_and_not1_b32 s2, s17, exec_lo
	s_and_b32 s3, s13, exec_lo
	s_and_b32 s0, s0, exec_lo
	;; [unrolled: 1-line block ×3, first 2 shown]
	s_or_b32 s17, s2, s3
.LBB38_3128:
	s_wait_xcnt 0x0
	s_or_b32 exec_lo, exec_lo, s16
	s_and_saveexec_b32 s1, s17
	s_cbranch_execz .LBB38_3131
; %bb.3129:
	; divergent unreachable
	s_or_b32 exec_lo, exec_lo, s1
	s_and_saveexec_b32 s1, s13
	s_delay_alu instid0(SALU_CYCLE_1)
	s_xor_b32 s1, exec_lo, s1
	s_cbranch_execnz .LBB38_3132
.LBB38_3130:
	s_or_b32 exec_lo, exec_lo, s1
	s_and_saveexec_b32 s1, s0
	s_cbranch_execnz .LBB38_3133
	s_branch .LBB38_3170
.LBB38_3131:
	s_or_b32 exec_lo, exec_lo, s1
	s_and_saveexec_b32 s1, s13
	s_delay_alu instid0(SALU_CYCLE_1)
	s_xor_b32 s1, exec_lo, s1
	s_cbranch_execz .LBB38_3130
.LBB38_3132:
	s_wait_loadcnt 0x0
	v_and_b32_e32 v3, 0xff, v2
	s_delay_alu instid0(VALU_DEP_1)
	v_cmp_ne_u16_e32 vcc_lo, 0, v3
	v_cndmask_b32_e64 v3, 0, 1, vcc_lo
	global_store_b8 v[0:1], v3, off
	s_wait_xcnt 0x0
	s_or_b32 exec_lo, exec_lo, s1
	s_and_saveexec_b32 s1, s0
	s_cbranch_execz .LBB38_3170
.LBB38_3133:
	s_sext_i32_i16 s1, s18
	s_mov_b32 s0, -1
	s_cmp_lt_i32 s1, 5
	s_cbranch_scc1 .LBB38_3154
; %bb.3134:
	s_cmp_lt_i32 s1, 8
	s_cbranch_scc1 .LBB38_3144
; %bb.3135:
	;; [unrolled: 3-line block ×3, first 2 shown]
	s_cmp_gt_i32 s1, 9
	s_cbranch_scc0 .LBB38_3138
; %bb.3137:
	s_wait_loadcnt 0x0
	v_bfe_i32 v3, v2, 0, 8
	v_mov_b32_e32 v6, 0
	s_mov_b32 s0, 0
	s_delay_alu instid0(VALU_DEP_2) | instskip(NEXT) | instid1(VALU_DEP_2)
	v_bfe_i32 v3, v3, 0, 16
	v_mov_b32_e32 v7, v6
	s_delay_alu instid0(VALU_DEP_2)
	v_cvt_f64_i32_e32 v[4:5], v3
	global_store_b128 v[0:1], v[4:7], off
.LBB38_3138:
	s_and_not1_b32 vcc_lo, exec_lo, s0
	s_cbranch_vccnz .LBB38_3140
; %bb.3139:
	s_wait_loadcnt 0x0
	v_bfe_i32 v3, v2, 0, 8
	s_wait_xcnt 0x0
	v_mov_b32_e32 v5, 0
	s_delay_alu instid0(VALU_DEP_2) | instskip(NEXT) | instid1(VALU_DEP_1)
	v_bfe_i32 v3, v3, 0, 16
	v_cvt_f32_i32_e32 v4, v3
	global_store_b64 v[0:1], v[4:5], off
.LBB38_3140:
	s_mov_b32 s0, 0
.LBB38_3141:
	s_delay_alu instid0(SALU_CYCLE_1)
	s_and_not1_b32 vcc_lo, exec_lo, s0
	s_cbranch_vccnz .LBB38_3143
; %bb.3142:
	s_wait_loadcnt 0x0
	v_bfe_i32 v3, v2, 0, 8
	s_delay_alu instid0(VALU_DEP_1) | instskip(NEXT) | instid1(VALU_DEP_1)
	v_cvt_f16_i16_e32 v3, v3
	v_and_b32_e32 v3, 0xffff, v3
	global_store_b32 v[0:1], v3, off
.LBB38_3143:
	s_mov_b32 s0, 0
.LBB38_3144:
	s_delay_alu instid0(SALU_CYCLE_1)
	s_and_not1_b32 vcc_lo, exec_lo, s0
	s_cbranch_vccnz .LBB38_3153
; %bb.3145:
	s_sext_i32_i16 s1, s18
	s_mov_b32 s0, -1
	s_cmp_lt_i32 s1, 6
	s_cbranch_scc1 .LBB38_3151
; %bb.3146:
	s_cmp_gt_i32 s1, 6
	s_cbranch_scc0 .LBB38_3148
; %bb.3147:
	s_wait_loadcnt 0x0
	v_bfe_i32 v3, v2, 0, 8
	s_mov_b32 s0, 0
	s_delay_alu instid0(VALU_DEP_1) | instskip(NEXT) | instid1(VALU_DEP_1)
	v_bfe_i32 v3, v3, 0, 16
	v_cvt_f64_i32_e32 v[4:5], v3
	global_store_b64 v[0:1], v[4:5], off
.LBB38_3148:
	s_and_not1_b32 vcc_lo, exec_lo, s0
	s_cbranch_vccnz .LBB38_3150
; %bb.3149:
	s_wait_loadcnt 0x0
	v_bfe_i32 v3, v2, 0, 8
	s_delay_alu instid0(VALU_DEP_1) | instskip(NEXT) | instid1(VALU_DEP_1)
	v_bfe_i32 v3, v3, 0, 16
	v_cvt_f32_i32_e32 v3, v3
	global_store_b32 v[0:1], v3, off
.LBB38_3150:
	s_mov_b32 s0, 0
.LBB38_3151:
	s_delay_alu instid0(SALU_CYCLE_1)
	s_and_not1_b32 vcc_lo, exec_lo, s0
	s_cbranch_vccnz .LBB38_3153
; %bb.3152:
	s_wait_loadcnt 0x0
	v_bfe_i32 v3, v2, 0, 8
	s_delay_alu instid0(VALU_DEP_1)
	v_cvt_f16_i16_e32 v3, v3
	global_store_b16 v[0:1], v3, off
.LBB38_3153:
	s_mov_b32 s0, 0
.LBB38_3154:
	s_delay_alu instid0(SALU_CYCLE_1)
	s_and_not1_b32 vcc_lo, exec_lo, s0
	s_cbranch_vccnz .LBB38_3170
; %bb.3155:
	s_sext_i32_i16 s1, s18
	s_mov_b32 s0, -1
	s_cmp_lt_i32 s1, 2
	s_cbranch_scc1 .LBB38_3165
; %bb.3156:
	s_cmp_lt_i32 s1, 3
	s_cbranch_scc1 .LBB38_3162
; %bb.3157:
	s_cmp_gt_i32 s1, 3
	s_cbranch_scc0 .LBB38_3159
; %bb.3158:
	s_wait_loadcnt 0x0
	v_bfe_i32 v4, v2, 0, 8
	s_mov_b32 s0, 0
	s_delay_alu instid0(VALU_DEP_1)
	v_ashrrev_i32_e32 v5, 31, v4
	global_store_b64 v[0:1], v[4:5], off
.LBB38_3159:
	s_and_not1_b32 vcc_lo, exec_lo, s0
	s_cbranch_vccnz .LBB38_3161
; %bb.3160:
	s_wait_loadcnt 0x0
	v_bfe_i32 v3, v2, 0, 8
	global_store_b32 v[0:1], v3, off
.LBB38_3161:
	s_mov_b32 s0, 0
.LBB38_3162:
	s_delay_alu instid0(SALU_CYCLE_1)
	s_and_not1_b32 vcc_lo, exec_lo, s0
	s_cbranch_vccnz .LBB38_3164
; %bb.3163:
	s_wait_loadcnt 0x0
	v_bfe_i32 v3, v2, 0, 8
	global_store_b16 v[0:1], v3, off
.LBB38_3164:
	s_mov_b32 s0, 0
.LBB38_3165:
	s_delay_alu instid0(SALU_CYCLE_1)
	s_and_not1_b32 vcc_lo, exec_lo, s0
	s_cbranch_vccnz .LBB38_3170
; %bb.3166:
	s_sext_i32_i16 s0, s18
	s_delay_alu instid0(SALU_CYCLE_1)
	s_cmp_gt_i32 s0, 0
	s_mov_b32 s0, -1
	s_cbranch_scc0 .LBB38_3168
; %bb.3167:
	s_mov_b32 s0, 0
	s_wait_loadcnt 0x0
	global_store_b8 v[0:1], v2, off
.LBB38_3168:
	s_and_not1_b32 vcc_lo, exec_lo, s0
	s_cbranch_vccnz .LBB38_3170
; %bb.3169:
	s_wait_loadcnt 0x0
	global_store_b8 v[0:1], v2, off
	s_endpgm
.LBB38_3170:
	s_endpgm
.LBB38_3171:
	s_mov_b32 s1, 0
	s_mov_b32 s0, -1
	s_branch .LBB38_3127
.LBB38_3172:
	s_or_b32 s13, s13, exec_lo
	s_trap 2
	s_cbranch_execz .LBB38_2641
	s_branch .LBB38_2642
.LBB38_3173:
	s_and_not1_saveexec_b32 s8, s8
	s_cbranch_execz .LBB38_2721
.LBB38_3174:
	v_add_f32_e64 v5, 0x46000000, |v3|
	s_and_not1_b32 s7, s7, exec_lo
	s_delay_alu instid0(VALU_DEP_1) | instskip(NEXT) | instid1(VALU_DEP_1)
	v_and_b32_e32 v5, 0xff, v5
	v_cmp_ne_u32_e32 vcc_lo, 0, v5
	s_and_b32 s9, vcc_lo, exec_lo
	s_delay_alu instid0(SALU_CYCLE_1)
	s_or_b32 s7, s7, s9
	s_or_b32 exec_lo, exec_lo, s8
	v_mov_b32_e32 v7, 0
	s_and_saveexec_b32 s8, s7
	s_cbranch_execnz .LBB38_2722
	s_branch .LBB38_2723
.LBB38_3175:
	s_or_b32 s13, s13, exec_lo
	s_trap 2
	s_cbranch_execz .LBB38_2769
	s_branch .LBB38_2770
.LBB38_3176:
	s_and_not1_saveexec_b32 s7, s7
	s_cbranch_execz .LBB38_2734
.LBB38_3177:
	v_add_f32_e64 v5, 0x42800000, |v3|
	s_and_not1_b32 s5, s5, exec_lo
	s_delay_alu instid0(VALU_DEP_1) | instskip(NEXT) | instid1(VALU_DEP_1)
	v_and_b32_e32 v5, 0xff, v5
	v_cmp_ne_u32_e32 vcc_lo, 0, v5
	s_and_b32 s8, vcc_lo, exec_lo
	s_delay_alu instid0(SALU_CYCLE_1)
	s_or_b32 s5, s5, s8
	s_or_b32 exec_lo, exec_lo, s7
	v_mov_b32_e32 v7, 0
	s_and_saveexec_b32 s7, s5
	s_cbranch_execnz .LBB38_2735
	s_branch .LBB38_2736
.LBB38_3178:
	s_and_not1_saveexec_b32 s9, s9
	s_cbranch_execz .LBB38_2840
.LBB38_3179:
	v_add_f32_e64 v5, 0x46000000, |v4|
	s_and_not1_b32 s8, s8, exec_lo
	s_delay_alu instid0(VALU_DEP_1) | instskip(NEXT) | instid1(VALU_DEP_1)
	v_and_b32_e32 v5, 0xff, v5
	v_cmp_ne_u32_e32 vcc_lo, 0, v5
	s_and_b32 s10, vcc_lo, exec_lo
	s_delay_alu instid0(SALU_CYCLE_1)
	s_or_b32 s8, s8, s10
	s_or_b32 exec_lo, exec_lo, s9
	v_mov_b32_e32 v6, 0
	s_and_saveexec_b32 s9, s8
	s_cbranch_execnz .LBB38_2841
	s_branch .LBB38_2842
.LBB38_3180:
	s_or_b32 s13, s13, exec_lo
	s_trap 2
	s_cbranch_execz .LBB38_2888
	s_branch .LBB38_2889
.LBB38_3181:
	s_and_not1_saveexec_b32 s8, s8
	s_cbranch_execz .LBB38_2853
.LBB38_3182:
	v_add_f32_e64 v5, 0x42800000, |v4|
	s_and_not1_b32 s7, s7, exec_lo
	s_delay_alu instid0(VALU_DEP_1) | instskip(NEXT) | instid1(VALU_DEP_1)
	v_and_b32_e32 v5, 0xff, v5
	v_cmp_ne_u32_e32 vcc_lo, 0, v5
	s_and_b32 s9, vcc_lo, exec_lo
	s_delay_alu instid0(SALU_CYCLE_1)
	s_or_b32 s7, s7, s9
	s_or_b32 exec_lo, exec_lo, s8
	v_mov_b32_e32 v6, 0
	s_and_saveexec_b32 s8, s7
	s_cbranch_execnz .LBB38_2854
	s_branch .LBB38_2855
.LBB38_3183:
	s_and_not1_saveexec_b32 s9, s9
	s_cbranch_execz .LBB38_2959
.LBB38_3184:
	v_add_f32_e64 v5, 0x46000000, |v4|
	s_and_not1_b32 s8, s8, exec_lo
	s_delay_alu instid0(VALU_DEP_1) | instskip(NEXT) | instid1(VALU_DEP_1)
	v_and_b32_e32 v5, 0xff, v5
	v_cmp_ne_u32_e32 vcc_lo, 0, v5
	s_and_b32 s10, vcc_lo, exec_lo
	s_delay_alu instid0(SALU_CYCLE_1)
	s_or_b32 s8, s8, s10
	s_or_b32 exec_lo, exec_lo, s9
	v_mov_b32_e32 v6, 0
	s_and_saveexec_b32 s9, s8
	s_cbranch_execnz .LBB38_2960
	s_branch .LBB38_2961
.LBB38_3185:
	s_or_b32 s13, s13, exec_lo
	s_trap 2
	s_cbranch_execz .LBB38_3007
	s_branch .LBB38_3008
.LBB38_3186:
	s_and_not1_saveexec_b32 s8, s8
	s_cbranch_execz .LBB38_2972
.LBB38_3187:
	v_add_f32_e64 v5, 0x42800000, |v4|
	s_and_not1_b32 s7, s7, exec_lo
	s_delay_alu instid0(VALU_DEP_1) | instskip(NEXT) | instid1(VALU_DEP_1)
	v_and_b32_e32 v5, 0xff, v5
	v_cmp_ne_u32_e32 vcc_lo, 0, v5
	s_and_b32 s9, vcc_lo, exec_lo
	s_delay_alu instid0(SALU_CYCLE_1)
	s_or_b32 s7, s7, s9
	s_or_b32 exec_lo, exec_lo, s8
	v_mov_b32_e32 v6, 0
	s_and_saveexec_b32 s8, s7
	s_cbranch_execnz .LBB38_2973
	s_branch .LBB38_2974
.LBB38_3188:
	s_and_not1_saveexec_b32 s5, s5
	s_cbranch_execz .LBB38_3079
.LBB38_3189:
	v_add_f32_e64 v4, 0x46000000, |v3|
	s_and_not1_b32 s4, s4, exec_lo
	s_delay_alu instid0(VALU_DEP_1) | instskip(NEXT) | instid1(VALU_DEP_1)
	v_and_b32_e32 v4, 0xff, v4
	v_cmp_ne_u32_e32 vcc_lo, 0, v4
	s_and_b32 s6, vcc_lo, exec_lo
	s_delay_alu instid0(SALU_CYCLE_1)
	s_or_b32 s4, s4, s6
	s_or_b32 exec_lo, exec_lo, s5
	v_mov_b32_e32 v5, 0
	s_and_saveexec_b32 s5, s4
	s_cbranch_execnz .LBB38_3080
	s_branch .LBB38_3081
.LBB38_3190:
	s_mov_b32 s1, 0
	s_or_b32 s13, s13, exec_lo
	s_trap 2
	s_branch .LBB38_3125
.LBB38_3191:
	s_and_not1_saveexec_b32 s4, s4
	s_cbranch_execz .LBB38_3091
.LBB38_3192:
	v_add_f32_e64 v4, 0x42800000, |v3|
	s_and_not1_b32 s3, s3, exec_lo
	s_delay_alu instid0(VALU_DEP_1) | instskip(NEXT) | instid1(VALU_DEP_1)
	v_and_b32_e32 v4, 0xff, v4
	v_cmp_ne_u32_e32 vcc_lo, 0, v4
	s_and_b32 s5, vcc_lo, exec_lo
	s_delay_alu instid0(SALU_CYCLE_1)
	s_or_b32 s3, s3, s5
	s_or_b32 exec_lo, exec_lo, s4
	v_mov_b32_e32 v5, 0
	s_and_saveexec_b32 s4, s3
	s_cbranch_execnz .LBB38_3092
	s_branch .LBB38_3093
	.section	.rodata,"a",@progbits
	.p2align	6, 0x0
	.amdhsa_kernel _ZN2at6native32elementwise_kernel_manual_unrollILi128ELi4EZNS0_15gpu_kernel_implIZZZNS0_12_GLOBAL__N_116addr_kernel_cudaERNS_14TensorIteratorERKN3c106ScalarES9_ENKUlvE_clEvENKUlvE0_clEvEUlaaaE_EEvRNS_18TensorIteratorBaseERKT_EUlibE_EEviT1_
		.amdhsa_group_segment_fixed_size 0
		.amdhsa_private_segment_fixed_size 0
		.amdhsa_kernarg_size 64
		.amdhsa_user_sgpr_count 2
		.amdhsa_user_sgpr_dispatch_ptr 0
		.amdhsa_user_sgpr_queue_ptr 0
		.amdhsa_user_sgpr_kernarg_segment_ptr 1
		.amdhsa_user_sgpr_dispatch_id 0
		.amdhsa_user_sgpr_kernarg_preload_length 0
		.amdhsa_user_sgpr_kernarg_preload_offset 0
		.amdhsa_user_sgpr_private_segment_size 0
		.amdhsa_wavefront_size32 1
		.amdhsa_uses_dynamic_stack 0
		.amdhsa_enable_private_segment 0
		.amdhsa_system_sgpr_workgroup_id_x 1
		.amdhsa_system_sgpr_workgroup_id_y 0
		.amdhsa_system_sgpr_workgroup_id_z 0
		.amdhsa_system_sgpr_workgroup_info 0
		.amdhsa_system_vgpr_workitem_id 0
		.amdhsa_next_free_vgpr 22
		.amdhsa_next_free_sgpr 39
		.amdhsa_named_barrier_count 0
		.amdhsa_reserve_vcc 1
		.amdhsa_float_round_mode_32 0
		.amdhsa_float_round_mode_16_64 0
		.amdhsa_float_denorm_mode_32 3
		.amdhsa_float_denorm_mode_16_64 3
		.amdhsa_fp16_overflow 0
		.amdhsa_memory_ordered 1
		.amdhsa_forward_progress 1
		.amdhsa_inst_pref_size 255
		.amdhsa_round_robin_scheduling 0
		.amdhsa_exception_fp_ieee_invalid_op 0
		.amdhsa_exception_fp_denorm_src 0
		.amdhsa_exception_fp_ieee_div_zero 0
		.amdhsa_exception_fp_ieee_overflow 0
		.amdhsa_exception_fp_ieee_underflow 0
		.amdhsa_exception_fp_ieee_inexact 0
		.amdhsa_exception_int_div_zero 0
	.end_amdhsa_kernel
	.section	.text._ZN2at6native32elementwise_kernel_manual_unrollILi128ELi4EZNS0_15gpu_kernel_implIZZZNS0_12_GLOBAL__N_116addr_kernel_cudaERNS_14TensorIteratorERKN3c106ScalarES9_ENKUlvE_clEvENKUlvE0_clEvEUlaaaE_EEvRNS_18TensorIteratorBaseERKT_EUlibE_EEviT1_,"axG",@progbits,_ZN2at6native32elementwise_kernel_manual_unrollILi128ELi4EZNS0_15gpu_kernel_implIZZZNS0_12_GLOBAL__N_116addr_kernel_cudaERNS_14TensorIteratorERKN3c106ScalarES9_ENKUlvE_clEvENKUlvE0_clEvEUlaaaE_EEvRNS_18TensorIteratorBaseERKT_EUlibE_EEviT1_,comdat
.Lfunc_end38:
	.size	_ZN2at6native32elementwise_kernel_manual_unrollILi128ELi4EZNS0_15gpu_kernel_implIZZZNS0_12_GLOBAL__N_116addr_kernel_cudaERNS_14TensorIteratorERKN3c106ScalarES9_ENKUlvE_clEvENKUlvE0_clEvEUlaaaE_EEvRNS_18TensorIteratorBaseERKT_EUlibE_EEviT1_, .Lfunc_end38-_ZN2at6native32elementwise_kernel_manual_unrollILi128ELi4EZNS0_15gpu_kernel_implIZZZNS0_12_GLOBAL__N_116addr_kernel_cudaERNS_14TensorIteratorERKN3c106ScalarES9_ENKUlvE_clEvENKUlvE0_clEvEUlaaaE_EEvRNS_18TensorIteratorBaseERKT_EUlibE_EEviT1_
                                        ; -- End function
	.set _ZN2at6native32elementwise_kernel_manual_unrollILi128ELi4EZNS0_15gpu_kernel_implIZZZNS0_12_GLOBAL__N_116addr_kernel_cudaERNS_14TensorIteratorERKN3c106ScalarES9_ENKUlvE_clEvENKUlvE0_clEvEUlaaaE_EEvRNS_18TensorIteratorBaseERKT_EUlibE_EEviT1_.num_vgpr, 22
	.set _ZN2at6native32elementwise_kernel_manual_unrollILi128ELi4EZNS0_15gpu_kernel_implIZZZNS0_12_GLOBAL__N_116addr_kernel_cudaERNS_14TensorIteratorERKN3c106ScalarES9_ENKUlvE_clEvENKUlvE0_clEvEUlaaaE_EEvRNS_18TensorIteratorBaseERKT_EUlibE_EEviT1_.num_agpr, 0
	.set _ZN2at6native32elementwise_kernel_manual_unrollILi128ELi4EZNS0_15gpu_kernel_implIZZZNS0_12_GLOBAL__N_116addr_kernel_cudaERNS_14TensorIteratorERKN3c106ScalarES9_ENKUlvE_clEvENKUlvE0_clEvEUlaaaE_EEvRNS_18TensorIteratorBaseERKT_EUlibE_EEviT1_.numbered_sgpr, 39
	.set _ZN2at6native32elementwise_kernel_manual_unrollILi128ELi4EZNS0_15gpu_kernel_implIZZZNS0_12_GLOBAL__N_116addr_kernel_cudaERNS_14TensorIteratorERKN3c106ScalarES9_ENKUlvE_clEvENKUlvE0_clEvEUlaaaE_EEvRNS_18TensorIteratorBaseERKT_EUlibE_EEviT1_.num_named_barrier, 0
	.set _ZN2at6native32elementwise_kernel_manual_unrollILi128ELi4EZNS0_15gpu_kernel_implIZZZNS0_12_GLOBAL__N_116addr_kernel_cudaERNS_14TensorIteratorERKN3c106ScalarES9_ENKUlvE_clEvENKUlvE0_clEvEUlaaaE_EEvRNS_18TensorIteratorBaseERKT_EUlibE_EEviT1_.private_seg_size, 0
	.set _ZN2at6native32elementwise_kernel_manual_unrollILi128ELi4EZNS0_15gpu_kernel_implIZZZNS0_12_GLOBAL__N_116addr_kernel_cudaERNS_14TensorIteratorERKN3c106ScalarES9_ENKUlvE_clEvENKUlvE0_clEvEUlaaaE_EEvRNS_18TensorIteratorBaseERKT_EUlibE_EEviT1_.uses_vcc, 1
	.set _ZN2at6native32elementwise_kernel_manual_unrollILi128ELi4EZNS0_15gpu_kernel_implIZZZNS0_12_GLOBAL__N_116addr_kernel_cudaERNS_14TensorIteratorERKN3c106ScalarES9_ENKUlvE_clEvENKUlvE0_clEvEUlaaaE_EEvRNS_18TensorIteratorBaseERKT_EUlibE_EEviT1_.uses_flat_scratch, 0
	.set _ZN2at6native32elementwise_kernel_manual_unrollILi128ELi4EZNS0_15gpu_kernel_implIZZZNS0_12_GLOBAL__N_116addr_kernel_cudaERNS_14TensorIteratorERKN3c106ScalarES9_ENKUlvE_clEvENKUlvE0_clEvEUlaaaE_EEvRNS_18TensorIteratorBaseERKT_EUlibE_EEviT1_.has_dyn_sized_stack, 0
	.set _ZN2at6native32elementwise_kernel_manual_unrollILi128ELi4EZNS0_15gpu_kernel_implIZZZNS0_12_GLOBAL__N_116addr_kernel_cudaERNS_14TensorIteratorERKN3c106ScalarES9_ENKUlvE_clEvENKUlvE0_clEvEUlaaaE_EEvRNS_18TensorIteratorBaseERKT_EUlibE_EEviT1_.has_recursion, 0
	.set _ZN2at6native32elementwise_kernel_manual_unrollILi128ELi4EZNS0_15gpu_kernel_implIZZZNS0_12_GLOBAL__N_116addr_kernel_cudaERNS_14TensorIteratorERKN3c106ScalarES9_ENKUlvE_clEvENKUlvE0_clEvEUlaaaE_EEvRNS_18TensorIteratorBaseERKT_EUlibE_EEviT1_.has_indirect_call, 0
	.section	.AMDGPU.csdata,"",@progbits
; Kernel info:
; codeLenInByte = 56792
; TotalNumSgprs: 41
; NumVgprs: 22
; ScratchSize: 0
; MemoryBound: 1
; FloatMode: 240
; IeeeMode: 1
; LDSByteSize: 0 bytes/workgroup (compile time only)
; SGPRBlocks: 0
; VGPRBlocks: 1
; NumSGPRsForWavesPerEU: 41
; NumVGPRsForWavesPerEU: 22
; NamedBarCnt: 0
; Occupancy: 16
; WaveLimiterHint : 0
; COMPUTE_PGM_RSRC2:SCRATCH_EN: 0
; COMPUTE_PGM_RSRC2:USER_SGPR: 2
; COMPUTE_PGM_RSRC2:TRAP_HANDLER: 0
; COMPUTE_PGM_RSRC2:TGID_X_EN: 1
; COMPUTE_PGM_RSRC2:TGID_Y_EN: 0
; COMPUTE_PGM_RSRC2:TGID_Z_EN: 0
; COMPUTE_PGM_RSRC2:TIDIG_COMP_CNT: 0
	.section	.text._ZN2at6native32elementwise_kernel_manual_unrollILi128ELi4EZNS0_15gpu_kernel_implIZZZNS0_12_GLOBAL__N_116addr_kernel_cudaERNS_14TensorIteratorERKN3c106ScalarES9_ENKUlvE_clEvENKUlvE0_clEvEUlaaaE_EEvRNS_18TensorIteratorBaseERKT_EUlibE0_EEviT1_,"axG",@progbits,_ZN2at6native32elementwise_kernel_manual_unrollILi128ELi4EZNS0_15gpu_kernel_implIZZZNS0_12_GLOBAL__N_116addr_kernel_cudaERNS_14TensorIteratorERKN3c106ScalarES9_ENKUlvE_clEvENKUlvE0_clEvEUlaaaE_EEvRNS_18TensorIteratorBaseERKT_EUlibE0_EEviT1_,comdat
	.globl	_ZN2at6native32elementwise_kernel_manual_unrollILi128ELi4EZNS0_15gpu_kernel_implIZZZNS0_12_GLOBAL__N_116addr_kernel_cudaERNS_14TensorIteratorERKN3c106ScalarES9_ENKUlvE_clEvENKUlvE0_clEvEUlaaaE_EEvRNS_18TensorIteratorBaseERKT_EUlibE0_EEviT1_ ; -- Begin function _ZN2at6native32elementwise_kernel_manual_unrollILi128ELi4EZNS0_15gpu_kernel_implIZZZNS0_12_GLOBAL__N_116addr_kernel_cudaERNS_14TensorIteratorERKN3c106ScalarES9_ENKUlvE_clEvENKUlvE0_clEvEUlaaaE_EEvRNS_18TensorIteratorBaseERKT_EUlibE0_EEviT1_
	.p2align	8
	.type	_ZN2at6native32elementwise_kernel_manual_unrollILi128ELi4EZNS0_15gpu_kernel_implIZZZNS0_12_GLOBAL__N_116addr_kernel_cudaERNS_14TensorIteratorERKN3c106ScalarES9_ENKUlvE_clEvENKUlvE0_clEvEUlaaaE_EEvRNS_18TensorIteratorBaseERKT_EUlibE0_EEviT1_,@function
_ZN2at6native32elementwise_kernel_manual_unrollILi128ELi4EZNS0_15gpu_kernel_implIZZZNS0_12_GLOBAL__N_116addr_kernel_cudaERNS_14TensorIteratorERKN3c106ScalarES9_ENKUlvE_clEvENKUlvE0_clEvEUlaaaE_EEvRNS_18TensorIteratorBaseERKT_EUlibE0_EEviT1_: ; @_ZN2at6native32elementwise_kernel_manual_unrollILi128ELi4EZNS0_15gpu_kernel_implIZZZNS0_12_GLOBAL__N_116addr_kernel_cudaERNS_14TensorIteratorERKN3c106ScalarES9_ENKUlvE_clEvENKUlvE0_clEvEUlaaaE_EEvRNS_18TensorIteratorBaseERKT_EUlibE0_EEviT1_
; %bb.0:
	s_clause 0x1
	s_load_b32 s15, s[0:1], 0x8
	s_load_b32 s41, s[0:1], 0x0
	s_bfe_u32 s2, ttmp6, 0x4000c
	s_and_b32 s3, ttmp6, 15
	s_add_co_i32 s2, s2, 1
	s_getreg_b32 s4, hwreg(HW_REG_IB_STS2, 6, 4)
	s_mul_i32 s2, ttmp9, s2
	s_mov_b32 s34, 0
	s_add_co_i32 s3, s3, s2
	s_cmp_eq_u32 s4, 0
	s_mov_b32 s28, -1
	s_cselect_b32 s2, ttmp9, s3
	s_mov_b32 s6, 0
	v_lshl_or_b32 v0, s2, 9, v0
	s_add_nc_u64 s[2:3], s[0:1], 8
	s_wait_xcnt 0x0
	s_mov_b32 s0, exec_lo
	s_delay_alu instid0(VALU_DEP_1) | instskip(SKIP_2) | instid1(SALU_CYCLE_1)
	v_or_b32_e32 v5, 0x180, v0
	s_wait_kmcnt 0x0
	s_add_co_i32 s33, s15, -1
	s_cmp_gt_u32 s33, 1
	s_cselect_b32 s35, -1, 0
	v_cmpx_le_i32_e64 s41, v5
	s_xor_b32 s36, exec_lo, s0
	s_cbranch_execz .LBB39_1638
; %bb.1:
	s_clause 0x7
	s_load_b128 s[8:11], s[2:3], 0x4
	s_load_b64 s[0:1], s[2:3], 0x14
	s_load_b64 s[16:17], s[2:3], 0x1e8
	s_load_b32 s38, s[2:3], 0xc4
	s_load_b96 s[12:14], s[2:3], 0xcc
	s_load_b64 s[24:25], s[2:3], 0xdc
	s_load_b64 s[18:19], s[2:3], 0x1c8
	s_load_b128 s[4:7], s[2:3], 0x1d8
	s_cmp_lg_u32 s15, 0
	s_mov_b32 s23, 0
	s_cselect_b32 s42, -1, 0
	s_min_u32 s40, s33, 15
	s_cmp_gt_u32 s15, 1
	s_mov_b32 s27, s23
	s_cselect_b32 s39, -1, 0
	s_mov_b32 s45, s23
	s_mov_b32 s44, s23
	;; [unrolled: 1-line block ×3, first 2 shown]
	s_mov_b32 s46, exec_lo
	s_wait_kmcnt 0x0
	s_mov_b32 s22, s9
	s_mov_b32 s26, s0
	s_lshr_b64 s[20:21], s[16:17], 24
	s_lshr_b32 s9, s16, 8
	s_lshr_b32 s37, s16, 16
	s_mov_b32 s21, s23
	v_cmpx_gt_i32_e64 s41, v0
	s_cbranch_execz .LBB39_405
; %bb.2:
	s_and_not1_b32 vcc_lo, exec_lo, s35
	s_cbranch_vccnz .LBB39_8
; %bb.3:
	s_and_not1_b32 vcc_lo, exec_lo, s42
	s_cbranch_vccnz .LBB39_9
; %bb.4:
	v_dual_mov_b32 v2, 0 :: v_dual_mov_b32 v1, v0
	v_dual_mov_b32 v4, 0 :: v_dual_mov_b32 v6, 0
	s_add_co_i32 s0, s40, 1
	s_mov_b64 s[28:29], 0xffffffffffffffe0
	s_and_b32 s0, s0, 30
	s_add_nc_u64 s[28:29], s[2:3], s[28:29]
	s_mov_b64 s[30:31], s[2:3]
.LBB39_5:                               ; =>This Inner Loop Header: Depth=1
	s_clause 0x1
	s_load_b128 s[48:51], s[30:31], 0x4
	s_load_b64 s[44:45], s[30:31], 0x14
	s_load_b32 s21, s[28:29], 0xe4
	s_add_co_i32 s0, s0, -2
	s_wait_xcnt 0x0
	s_add_nc_u64 s[30:31], s[30:31], 24
	s_cmp_lg_u32 s0, 0
	s_wait_kmcnt 0x0
	v_mul_hi_u32 v3, s49, v1
	s_delay_alu instid0(VALU_DEP_1) | instskip(NEXT) | instid1(VALU_DEP_1)
	v_add_nc_u32_e32 v3, v1, v3
	v_lshrrev_b32_e32 v3, s50, v3
	s_delay_alu instid0(VALU_DEP_1) | instskip(SKIP_2) | instid1(VALU_DEP_1)
	v_mul_hi_u32 v5, s44, v3
	v_mul_lo_u32 v7, v3, s48
	s_load_b96 s[48:50], s[28:29], 0xec
	v_dual_add_nc_u32 v5, v3, v5 :: v_dual_sub_nc_u32 v7, v1, v7
	s_delay_alu instid0(VALU_DEP_1) | instskip(SKIP_1) | instid1(VALU_DEP_2)
	v_lshrrev_b32_e32 v1, s45, v5
	s_load_b64 s[44:45], s[28:29], 0xfc
	v_mad_u32 v2, v7, s21, v2
	s_wait_xcnt 0x0
	s_add_nc_u64 s[28:29], s[28:29], 32
	v_mul_lo_u32 v5, v1, s51
	s_wait_kmcnt 0x0
	v_mad_u32 v6, v7, s49, v6
	v_mad_u32 v4, v7, s48, v4
	s_delay_alu instid0(VALU_DEP_3) | instskip(NEXT) | instid1(VALU_DEP_1)
	v_sub_nc_u32_e32 v3, v3, v5
	v_mad_u32 v2, v3, s50, v2
	s_delay_alu instid0(VALU_DEP_4) | instskip(NEXT) | instid1(VALU_DEP_4)
	v_mad_u32 v6, v3, s45, v6
	v_mad_u32 v4, v3, s44, v4
	s_cbranch_scc1 .LBB39_5
; %bb.6:
	s_bitcmp1_b32 s40, 0
	s_cselect_b32 s0, -1, 0
	s_delay_alu instid0(SALU_CYCLE_1)
	s_and_b32 vcc_lo, exec_lo, s0
	s_cbranch_vccnz .LBB39_10
; %bb.7:
	s_load_b96 s[48:50], s[30:31], 0x4
	s_load_b32 s0, s[28:29], 0xe4
	s_wait_xcnt 0x0
	s_load_b64 s[30:31], s[28:29], 0xec
	s_wait_kmcnt 0x0
	v_mul_hi_u32 v3, s49, v1
	s_delay_alu instid0(VALU_DEP_1) | instskip(NEXT) | instid1(VALU_DEP_1)
	v_add_nc_u32_e32 v3, v1, v3
	v_lshrrev_b32_e32 v3, s50, v3
	s_delay_alu instid0(VALU_DEP_1) | instskip(NEXT) | instid1(VALU_DEP_1)
	v_mul_lo_u32 v3, v3, s48
	v_sub_nc_u32_e32 v1, v1, v3
	s_delay_alu instid0(VALU_DEP_1)
	v_mad_u32 v2, v1, s0, v2
	v_mad_u32 v4, v1, s30, v4
	;; [unrolled: 1-line block ×3, first 2 shown]
	s_cbranch_execz .LBB39_11
	s_branch .LBB39_13
.LBB39_8:
                                        ; implicit-def: $vgpr6
                                        ; implicit-def: $vgpr4
                                        ; implicit-def: $vgpr2
	s_branch .LBB39_11
.LBB39_9:
	v_dual_mov_b32 v6, 0 :: v_dual_mov_b32 v4, 0
	v_mov_b32_e32 v2, 0
.LBB39_10:
	s_cbranch_execnz .LBB39_13
.LBB39_11:
	v_mov_b32_e32 v1, 0
	s_and_not1_b32 vcc_lo, exec_lo, s39
	s_delay_alu instid0(VALU_DEP_1) | instskip(NEXT) | instid1(VALU_DEP_1)
	v_mul_u64_e32 v[2:3], s[22:23], v[0:1]
	v_add_nc_u32_e32 v2, v0, v3
	s_delay_alu instid0(VALU_DEP_1) | instskip(NEXT) | instid1(VALU_DEP_1)
	v_lshrrev_b32_e32 v8, s10, v2
	v_mul_lo_u32 v2, v8, s8
	s_delay_alu instid0(VALU_DEP_1) | instskip(NEXT) | instid1(VALU_DEP_1)
	v_sub_nc_u32_e32 v3, v0, v2
	v_mul_lo_u32 v2, v3, s38
	v_mul_lo_u32 v6, v3, s13
	;; [unrolled: 1-line block ×3, first 2 shown]
	s_cbranch_vccnz .LBB39_13
; %bb.12:
	v_mov_b32_e32 v9, v1
	s_delay_alu instid0(VALU_DEP_1) | instskip(NEXT) | instid1(VALU_DEP_1)
	v_mul_u64_e32 v[10:11], s[26:27], v[8:9]
	v_add_nc_u32_e32 v1, v8, v11
	s_delay_alu instid0(VALU_DEP_1) | instskip(NEXT) | instid1(VALU_DEP_1)
	v_lshrrev_b32_e32 v1, s1, v1
	v_mul_lo_u32 v1, v1, s11
	s_delay_alu instid0(VALU_DEP_1) | instskip(NEXT) | instid1(VALU_DEP_1)
	v_sub_nc_u32_e32 v1, v8, v1
	v_mad_u32 v2, v1, s14, v2
	v_mad_u32 v4, v1, s24, v4
	;; [unrolled: 1-line block ×3, first 2 shown]
.LBB39_13:
	s_and_b32 s21, s37, 0xff
	s_delay_alu instid0(SALU_CYCLE_1)
	s_cmp_lt_i32 s21, 23
	s_cbranch_scc1 .LBB39_17
; %bb.14:
	s_and_b32 s28, 0xffff, s21
	s_delay_alu instid0(SALU_CYCLE_1)
	s_cmp_gt_i32 s28, 43
	s_cbranch_scc0 .LBB39_18
; %bb.15:
	s_cmp_gt_i32 s28, 45
	s_cbranch_scc0 .LBB39_19
; %bb.16:
	s_cmp_eq_u32 s28, 46
	s_mov_b32 s30, 0
	s_mov_b32 s29, -1
	s_cselect_b32 s0, -1, 0
	s_branch .LBB39_20
.LBB39_17:
	s_mov_b32 s29, 0
	s_mov_b32 s0, 0
	s_cbranch_execnz .LBB39_25
	s_branch .LBB39_29
.LBB39_18:
	s_mov_b32 s29, 0
	s_mov_b32 s0, 0
	s_cbranch_execnz .LBB39_23
	s_branch .LBB39_24
.LBB39_19:
	s_mov_b32 s30, -1
	s_mov_b32 s29, 0
	s_mov_b32 s0, 0
.LBB39_20:
	s_and_not1_b32 vcc_lo, exec_lo, s30
	s_cbranch_vccnz .LBB39_22
; %bb.21:
	s_cmp_eq_u32 s28, 44
	s_cselect_b32 s0, -1, 0
	s_cmp_lg_u32 s28, 44
	s_cselect_b32 s29, -1, 0
.LBB39_22:
	s_branch .LBB39_24
.LBB39_23:
	s_cmp_lt_i32 s28, 30
	s_cselect_b32 s0, -1, 0
	s_cmp_gt_i32 s28, 29
	s_cselect_b32 s29, -1, 0
.LBB39_24:
	s_branch .LBB39_29
.LBB39_25:
	s_and_b32 s21, 0xffff, s21
	s_mov_b32 s28, -1
	s_cmp_gt_i32 s21, 14
	s_cbranch_scc0 .LBB39_27
; %bb.26:
	s_cmp_eq_u32 s21, 15
	s_mov_b32 s28, 0
	s_cselect_b32 s0, -1, 0
	s_cmp_lg_u32 s21, 15
	s_cselect_b32 s29, -1, 0
.LBB39_27:
	s_and_not1_b32 vcc_lo, exec_lo, s28
	s_cbranch_vccnz .LBB39_29
; %bb.28:
	s_cmp_lt_i32 s21, 12
	s_cselect_b32 s0, -1, 0
	s_cmp_gt_i32 s21, 11
	s_cselect_b32 s29, -1, 0
.LBB39_29:
	s_and_b32 vcc_lo, exec_lo, s0
	s_cbranch_vccz .LBB39_37
; %bb.30:
	v_mov_b32_e32 v5, 0
	s_and_b32 s0, s20, 0xff
	s_delay_alu instid0(SALU_CYCLE_1) | instskip(NEXT) | instid1(VALU_DEP_1)
	s_cmp_lt_i32 s0, 11
	v_add_nc_u64_e32 v[8:9], s[4:5], v[4:5]
	s_cbranch_scc1 .LBB39_39
; %bb.31:
	s_and_b32 s21, 0xffff, s0
	s_delay_alu instid0(SALU_CYCLE_1)
	s_cmp_gt_i32 s21, 25
	s_cbranch_scc0 .LBB39_40
; %bb.32:
	s_cmp_gt_i32 s21, 28
	s_cbranch_scc0 .LBB39_41
; %bb.33:
	;; [unrolled: 3-line block ×4, first 2 shown]
	s_cmp_eq_u32 s21, 46
	s_mov_b32 s29, 0
	s_cbranch_scc0 .LBB39_44
; %bb.36:
	global_load_b32 v1, v[8:9], off
	s_mov_b32 s30, -1
	s_mov_b32 s28, 0
	s_wait_loadcnt 0x0
	v_lshlrev_b32_e32 v1, 16, v1
	s_delay_alu instid0(VALU_DEP_1)
	v_cvt_i32_f32_e32 v4, v1
	s_branch .LBB39_46
.LBB39_37:
	s_mov_b32 s0, 0
	s_mov_b32 s30, 0
	;; [unrolled: 1-line block ×3, first 2 shown]
.LBB39_38:
	s_mov_b32 s31, 0
                                        ; implicit-def: $vgpr0
	s_branch .LBB39_404
.LBB39_39:
	s_mov_b32 s28, 0
	s_mov_b32 s30, 0
                                        ; implicit-def: $vgpr4
	s_cbranch_execnz .LBB39_107
	s_branch .LBB39_155
.LBB39_40:
	s_mov_b32 s29, -1
	s_mov_b32 s28, 0
	s_mov_b32 s30, 0
                                        ; implicit-def: $vgpr4
	s_branch .LBB39_73
.LBB39_41:
	s_mov_b32 s29, -1
	s_mov_b32 s28, 0
	s_mov_b32 s30, 0
                                        ; implicit-def: $vgpr4
	s_branch .LBB39_56
.LBB39_42:
	s_mov_b32 s29, -1
	s_mov_b32 s28, 0
	s_mov_b32 s30, 0
                                        ; implicit-def: $vgpr4
	s_branch .LBB39_51
.LBB39_43:
	s_mov_b32 s29, -1
	s_mov_b32 s28, 0
	s_branch .LBB39_45
.LBB39_44:
	s_mov_b32 s28, -1
.LBB39_45:
	s_mov_b32 s30, 0
                                        ; implicit-def: $vgpr4
.LBB39_46:
	s_and_b32 vcc_lo, exec_lo, s29
	s_cbranch_vccz .LBB39_50
; %bb.47:
	s_cmp_eq_u32 s21, 44
	s_cbranch_scc0 .LBB39_49
; %bb.48:
	global_load_u8 v1, v[8:9], off
	s_mov_b32 s28, 0
	s_mov_b32 s30, -1
	s_wait_loadcnt 0x0
	v_lshlrev_b32_e32 v3, 23, v1
	v_cmp_ne_u32_e32 vcc_lo, 0, v1
	s_delay_alu instid0(VALU_DEP_2) | instskip(NEXT) | instid1(VALU_DEP_1)
	v_cvt_i32_f32_e32 v3, v3
	v_cndmask_b32_e32 v4, 0, v3, vcc_lo
	s_branch .LBB39_50
.LBB39_49:
	s_mov_b32 s28, -1
                                        ; implicit-def: $vgpr4
.LBB39_50:
	s_mov_b32 s29, 0
.LBB39_51:
	s_delay_alu instid0(SALU_CYCLE_1)
	s_and_b32 vcc_lo, exec_lo, s29
	s_cbranch_vccz .LBB39_55
; %bb.52:
	s_cmp_eq_u32 s21, 29
	s_cbranch_scc0 .LBB39_54
; %bb.53:
	global_load_b64 v[4:5], v[8:9], off
	s_mov_b32 s30, -1
	s_mov_b32 s28, 0
	s_branch .LBB39_55
.LBB39_54:
	s_mov_b32 s28, -1
                                        ; implicit-def: $vgpr4
.LBB39_55:
	s_mov_b32 s29, 0
.LBB39_56:
	s_delay_alu instid0(SALU_CYCLE_1)
	s_and_b32 vcc_lo, exec_lo, s29
	s_cbranch_vccz .LBB39_72
; %bb.57:
	s_cmp_lt_i32 s21, 27
	s_cbranch_scc1 .LBB39_60
; %bb.58:
	s_cmp_gt_i32 s21, 27
	s_cbranch_scc0 .LBB39_61
; %bb.59:
	s_wait_loadcnt 0x0
	global_load_b32 v4, v[8:9], off
	s_mov_b32 s29, 0
	s_branch .LBB39_62
.LBB39_60:
	s_mov_b32 s29, -1
                                        ; implicit-def: $vgpr4
	s_branch .LBB39_65
.LBB39_61:
	s_mov_b32 s29, -1
                                        ; implicit-def: $vgpr4
.LBB39_62:
	s_delay_alu instid0(SALU_CYCLE_1)
	s_and_not1_b32 vcc_lo, exec_lo, s29
	s_cbranch_vccnz .LBB39_64
; %bb.63:
	s_wait_loadcnt 0x0
	global_load_u16 v4, v[8:9], off
.LBB39_64:
	s_mov_b32 s29, 0
.LBB39_65:
	s_delay_alu instid0(SALU_CYCLE_1)
	s_and_not1_b32 vcc_lo, exec_lo, s29
	s_cbranch_vccnz .LBB39_71
; %bb.66:
	global_load_u8 v1, v[8:9], off
	s_mov_b32 s30, 0
	s_mov_b32 s29, exec_lo
	s_wait_loadcnt 0x0
	v_cmpx_lt_i16_e32 0x7f, v1
	s_xor_b32 s29, exec_lo, s29
	s_cbranch_execz .LBB39_83
; %bb.67:
	v_cmp_ne_u16_e32 vcc_lo, 0x80, v1
	s_and_b32 s30, vcc_lo, exec_lo
	s_and_not1_saveexec_b32 s29, s29
	s_cbranch_execnz .LBB39_84
.LBB39_68:
	s_or_b32 exec_lo, exec_lo, s29
	v_mov_b32_e32 v4, 0
	s_and_saveexec_b32 s29, s30
	s_cbranch_execz .LBB39_70
.LBB39_69:
	v_and_b32_e32 v3, 0xffff, v1
	s_delay_alu instid0(VALU_DEP_1) | instskip(SKIP_1) | instid1(VALU_DEP_2)
	v_and_b32_e32 v4, 7, v3
	v_bfe_u32 v10, v3, 3, 4
	v_clz_i32_u32_e32 v5, v4
	s_delay_alu instid0(VALU_DEP_2) | instskip(NEXT) | instid1(VALU_DEP_2)
	v_cmp_eq_u32_e32 vcc_lo, 0, v10
	v_min_u32_e32 v5, 32, v5
	s_delay_alu instid0(VALU_DEP_1) | instskip(NEXT) | instid1(VALU_DEP_1)
	v_subrev_nc_u32_e32 v7, 28, v5
	v_dual_lshlrev_b32 v3, v7, v3 :: v_dual_sub_nc_u32 v5, 29, v5
	s_delay_alu instid0(VALU_DEP_1) | instskip(NEXT) | instid1(VALU_DEP_1)
	v_dual_lshlrev_b32 v1, 24, v1 :: v_dual_bitop2_b32 v3, 7, v3 bitop3:0x40
	v_dual_cndmask_b32 v3, v4, v3, vcc_lo :: v_dual_cndmask_b32 v5, v10, v5, vcc_lo
	s_delay_alu instid0(VALU_DEP_2) | instskip(NEXT) | instid1(VALU_DEP_2)
	v_and_b32_e32 v1, 0x80000000, v1
	v_lshlrev_b32_e32 v3, 20, v3
	s_delay_alu instid0(VALU_DEP_3) | instskip(NEXT) | instid1(VALU_DEP_1)
	v_lshl_add_u32 v4, v5, 23, 0x3b800000
	v_or3_b32 v1, v1, v4, v3
	s_delay_alu instid0(VALU_DEP_1)
	v_cvt_i32_f32_e32 v4, v1
.LBB39_70:
	s_or_b32 exec_lo, exec_lo, s29
.LBB39_71:
	s_mov_b32 s30, -1
.LBB39_72:
	s_mov_b32 s29, 0
.LBB39_73:
	s_delay_alu instid0(SALU_CYCLE_1)
	s_and_b32 vcc_lo, exec_lo, s29
	s_cbranch_vccz .LBB39_106
; %bb.74:
	s_cmp_gt_i32 s21, 22
	s_cbranch_scc0 .LBB39_82
; %bb.75:
	s_cmp_lt_i32 s21, 24
	s_cbranch_scc1 .LBB39_85
; %bb.76:
	s_cmp_gt_i32 s21, 24
	s_cbranch_scc0 .LBB39_86
; %bb.77:
	global_load_u8 v1, v[8:9], off
	s_mov_b32 s30, 0
	s_mov_b32 s29, exec_lo
	s_wait_loadcnt 0x0
	v_cmpx_lt_i16_e32 0x7f, v1
	s_xor_b32 s29, exec_lo, s29
	s_cbranch_execz .LBB39_98
; %bb.78:
	v_cmp_ne_u16_e32 vcc_lo, 0x80, v1
	s_and_b32 s30, vcc_lo, exec_lo
	s_and_not1_saveexec_b32 s29, s29
	s_cbranch_execnz .LBB39_99
.LBB39_79:
	s_or_b32 exec_lo, exec_lo, s29
	v_mov_b32_e32 v4, 0
	s_and_saveexec_b32 s29, s30
	s_cbranch_execz .LBB39_81
.LBB39_80:
	v_and_b32_e32 v3, 0xffff, v1
	s_delay_alu instid0(VALU_DEP_1) | instskip(SKIP_1) | instid1(VALU_DEP_2)
	v_and_b32_e32 v4, 3, v3
	v_bfe_u32 v10, v3, 2, 5
	v_clz_i32_u32_e32 v5, v4
	s_delay_alu instid0(VALU_DEP_2) | instskip(NEXT) | instid1(VALU_DEP_2)
	v_cmp_eq_u32_e32 vcc_lo, 0, v10
	v_min_u32_e32 v5, 32, v5
	s_delay_alu instid0(VALU_DEP_1) | instskip(NEXT) | instid1(VALU_DEP_1)
	v_subrev_nc_u32_e32 v7, 29, v5
	v_dual_lshlrev_b32 v3, v7, v3 :: v_dual_sub_nc_u32 v5, 30, v5
	s_delay_alu instid0(VALU_DEP_1) | instskip(NEXT) | instid1(VALU_DEP_1)
	v_dual_lshlrev_b32 v1, 24, v1 :: v_dual_bitop2_b32 v3, 3, v3 bitop3:0x40
	v_dual_cndmask_b32 v3, v4, v3, vcc_lo :: v_dual_cndmask_b32 v5, v10, v5, vcc_lo
	s_delay_alu instid0(VALU_DEP_2) | instskip(NEXT) | instid1(VALU_DEP_2)
	v_and_b32_e32 v1, 0x80000000, v1
	v_lshlrev_b32_e32 v3, 21, v3
	s_delay_alu instid0(VALU_DEP_3) | instskip(NEXT) | instid1(VALU_DEP_1)
	v_lshl_add_u32 v4, v5, 23, 0x37800000
	v_or3_b32 v1, v1, v4, v3
	s_delay_alu instid0(VALU_DEP_1)
	v_cvt_i32_f32_e32 v4, v1
.LBB39_81:
	s_or_b32 exec_lo, exec_lo, s29
	s_mov_b32 s29, 0
	s_branch .LBB39_87
.LBB39_82:
	s_mov_b32 s29, -1
                                        ; implicit-def: $vgpr4
	s_branch .LBB39_93
.LBB39_83:
	s_and_not1_saveexec_b32 s29, s29
	s_cbranch_execz .LBB39_68
.LBB39_84:
	v_cmp_ne_u16_e32 vcc_lo, 0, v1
	s_and_not1_b32 s30, s30, exec_lo
	s_and_b32 s31, vcc_lo, exec_lo
	s_delay_alu instid0(SALU_CYCLE_1)
	s_or_b32 s30, s30, s31
	s_or_b32 exec_lo, exec_lo, s29
	v_mov_b32_e32 v4, 0
	s_and_saveexec_b32 s29, s30
	s_cbranch_execnz .LBB39_69
	s_branch .LBB39_70
.LBB39_85:
	s_mov_b32 s29, -1
                                        ; implicit-def: $vgpr4
	s_branch .LBB39_90
.LBB39_86:
	s_mov_b32 s29, -1
                                        ; implicit-def: $vgpr4
.LBB39_87:
	s_delay_alu instid0(SALU_CYCLE_1)
	s_and_b32 vcc_lo, exec_lo, s29
	s_cbranch_vccz .LBB39_89
; %bb.88:
	global_load_u8 v1, v[8:9], off
	s_wait_loadcnt 0x0
	v_lshlrev_b32_e32 v1, 24, v1
	s_delay_alu instid0(VALU_DEP_1) | instskip(NEXT) | instid1(VALU_DEP_1)
	v_and_b32_e32 v3, 0x7f000000, v1
	v_clz_i32_u32_e32 v4, v3
	v_add_nc_u32_e32 v7, 0x1000000, v3
	v_cmp_ne_u32_e32 vcc_lo, 0, v3
	s_delay_alu instid0(VALU_DEP_3) | instskip(NEXT) | instid1(VALU_DEP_1)
	v_min_u32_e32 v4, 32, v4
	v_sub_nc_u32_e64 v4, v4, 4 clamp
	s_delay_alu instid0(VALU_DEP_1) | instskip(NEXT) | instid1(VALU_DEP_1)
	v_dual_lshlrev_b32 v5, v4, v3 :: v_dual_lshlrev_b32 v4, 23, v4
	v_lshrrev_b32_e32 v5, 4, v5
	s_delay_alu instid0(VALU_DEP_1) | instskip(NEXT) | instid1(VALU_DEP_1)
	v_dual_sub_nc_u32 v4, v5, v4 :: v_dual_ashrrev_i32 v5, 8, v7
	v_add_nc_u32_e32 v4, 0x3c000000, v4
	s_delay_alu instid0(VALU_DEP_1) | instskip(NEXT) | instid1(VALU_DEP_1)
	v_and_or_b32 v4, 0x7f800000, v5, v4
	v_cndmask_b32_e32 v3, 0, v4, vcc_lo
	s_delay_alu instid0(VALU_DEP_1) | instskip(NEXT) | instid1(VALU_DEP_1)
	v_and_or_b32 v1, 0x80000000, v1, v3
	v_cvt_i32_f32_e32 v4, v1
.LBB39_89:
	s_mov_b32 s29, 0
.LBB39_90:
	s_delay_alu instid0(SALU_CYCLE_1)
	s_and_not1_b32 vcc_lo, exec_lo, s29
	s_cbranch_vccnz .LBB39_92
; %bb.91:
	global_load_u8 v1, v[8:9], off
	s_wait_loadcnt 0x0
	v_lshlrev_b32_e32 v3, 25, v1
	v_lshlrev_b16 v1, 8, v1
	s_delay_alu instid0(VALU_DEP_1) | instskip(NEXT) | instid1(VALU_DEP_3)
	v_and_or_b32 v5, 0x7f00, v1, 0.5
	v_lshrrev_b32_e32 v4, 4, v3
	v_bfe_i32 v1, v1, 0, 16
	s_delay_alu instid0(VALU_DEP_3) | instskip(NEXT) | instid1(VALU_DEP_3)
	v_add_f32_e32 v5, -0.5, v5
	v_or_b32_e32 v4, 0x70000000, v4
	s_delay_alu instid0(VALU_DEP_1) | instskip(SKIP_1) | instid1(VALU_DEP_2)
	v_mul_f32_e32 v4, 0x7800000, v4
	v_cmp_gt_u32_e32 vcc_lo, 0x8000000, v3
	v_cndmask_b32_e32 v3, v4, v5, vcc_lo
	s_delay_alu instid0(VALU_DEP_1) | instskip(NEXT) | instid1(VALU_DEP_1)
	v_and_or_b32 v1, 0x80000000, v1, v3
	v_cvt_i32_f32_e32 v4, v1
.LBB39_92:
	s_mov_b32 s29, 0
	s_mov_b32 s30, -1
.LBB39_93:
	s_and_not1_b32 vcc_lo, exec_lo, s29
	s_cbranch_vccnz .LBB39_106
; %bb.94:
	s_cmp_gt_i32 s21, 14
	s_cbranch_scc0 .LBB39_97
; %bb.95:
	s_cmp_eq_u32 s21, 15
	s_cbranch_scc0 .LBB39_100
; %bb.96:
	global_load_u16 v1, v[8:9], off
	s_mov_b32 s30, -1
	s_mov_b32 s28, 0
	s_wait_loadcnt 0x0
	v_lshlrev_b32_e32 v1, 16, v1
	s_delay_alu instid0(VALU_DEP_1)
	v_cvt_i32_f32_e32 v4, v1
	s_branch .LBB39_101
.LBB39_97:
	s_mov_b32 s29, -1
                                        ; implicit-def: $vgpr4
	s_branch .LBB39_102
.LBB39_98:
	s_and_not1_saveexec_b32 s29, s29
	s_cbranch_execz .LBB39_79
.LBB39_99:
	v_cmp_ne_u16_e32 vcc_lo, 0, v1
	s_and_not1_b32 s30, s30, exec_lo
	s_and_b32 s31, vcc_lo, exec_lo
	s_delay_alu instid0(SALU_CYCLE_1)
	s_or_b32 s30, s30, s31
	s_or_b32 exec_lo, exec_lo, s29
	v_mov_b32_e32 v4, 0
	s_and_saveexec_b32 s29, s30
	s_cbranch_execnz .LBB39_80
	s_branch .LBB39_81
.LBB39_100:
	s_mov_b32 s28, -1
                                        ; implicit-def: $vgpr4
.LBB39_101:
	s_mov_b32 s29, 0
.LBB39_102:
	s_delay_alu instid0(SALU_CYCLE_1)
	s_and_b32 vcc_lo, exec_lo, s29
	s_cbranch_vccz .LBB39_106
; %bb.103:
	s_cmp_eq_u32 s21, 11
	s_cbranch_scc0 .LBB39_105
; %bb.104:
	global_load_u8 v1, v[8:9], off
	s_mov_b32 s28, 0
	s_mov_b32 s30, -1
	s_wait_loadcnt 0x0
	v_cmp_ne_u16_e32 vcc_lo, 0, v1
	v_cndmask_b32_e64 v4, 0, 1, vcc_lo
	s_branch .LBB39_106
.LBB39_105:
	s_mov_b32 s28, -1
                                        ; implicit-def: $vgpr4
.LBB39_106:
	s_branch .LBB39_155
.LBB39_107:
	s_and_b32 s0, 0xffff, s0
	s_delay_alu instid0(SALU_CYCLE_1)
	s_cmp_lt_i32 s0, 5
	s_cbranch_scc1 .LBB39_112
; %bb.108:
	s_cmp_lt_i32 s0, 8
	s_cbranch_scc1 .LBB39_113
; %bb.109:
	;; [unrolled: 3-line block ×3, first 2 shown]
	s_cmp_gt_i32 s0, 9
	s_cbranch_scc0 .LBB39_115
; %bb.111:
	s_wait_loadcnt 0x0
	global_load_b64 v[4:5], v[8:9], off
	s_mov_b32 s21, 0
	s_wait_loadcnt 0x0
	v_cvt_i32_f64_e32 v4, v[4:5]
	s_branch .LBB39_116
.LBB39_112:
	s_mov_b32 s21, -1
                                        ; implicit-def: $vgpr4
	s_branch .LBB39_134
.LBB39_113:
	s_mov_b32 s21, -1
                                        ; implicit-def: $vgpr4
	s_branch .LBB39_122
.LBB39_114:
	s_mov_b32 s21, -1
                                        ; implicit-def: $vgpr4
	s_branch .LBB39_119
.LBB39_115:
	s_mov_b32 s21, -1
                                        ; implicit-def: $vgpr4
.LBB39_116:
	s_delay_alu instid0(SALU_CYCLE_1)
	s_and_not1_b32 vcc_lo, exec_lo, s21
	s_cbranch_vccnz .LBB39_118
; %bb.117:
	global_load_b32 v1, v[8:9], off
	s_wait_loadcnt 0x0
	v_cvt_i32_f32_e32 v4, v1
.LBB39_118:
	s_mov_b32 s21, 0
.LBB39_119:
	s_delay_alu instid0(SALU_CYCLE_1)
	s_and_not1_b32 vcc_lo, exec_lo, s21
	s_cbranch_vccnz .LBB39_121
; %bb.120:
	global_load_b32 v1, v[8:9], off
	s_wait_loadcnt 0x0
	v_cvt_i16_f16_e32 v4, v1
.LBB39_121:
	s_mov_b32 s21, 0
.LBB39_122:
	s_delay_alu instid0(SALU_CYCLE_1)
	s_and_not1_b32 vcc_lo, exec_lo, s21
	s_cbranch_vccnz .LBB39_133
; %bb.123:
	s_cmp_lt_i32 s0, 6
	s_cbranch_scc1 .LBB39_126
; %bb.124:
	s_cmp_gt_i32 s0, 6
	s_cbranch_scc0 .LBB39_127
; %bb.125:
	s_wait_loadcnt 0x0
	global_load_b64 v[4:5], v[8:9], off
	s_mov_b32 s21, 0
	s_wait_loadcnt 0x0
	v_cvt_i32_f64_e32 v4, v[4:5]
	s_branch .LBB39_128
.LBB39_126:
	s_mov_b32 s21, -1
                                        ; implicit-def: $vgpr4
	s_branch .LBB39_131
.LBB39_127:
	s_mov_b32 s21, -1
                                        ; implicit-def: $vgpr4
.LBB39_128:
	s_delay_alu instid0(SALU_CYCLE_1)
	s_and_not1_b32 vcc_lo, exec_lo, s21
	s_cbranch_vccnz .LBB39_130
; %bb.129:
	global_load_b32 v1, v[8:9], off
	s_wait_loadcnt 0x0
	v_cvt_i32_f32_e32 v4, v1
.LBB39_130:
	s_mov_b32 s21, 0
.LBB39_131:
	s_delay_alu instid0(SALU_CYCLE_1)
	s_and_not1_b32 vcc_lo, exec_lo, s21
	s_cbranch_vccnz .LBB39_133
; %bb.132:
	global_load_u16 v1, v[8:9], off
	s_wait_loadcnt 0x0
	v_cvt_i16_f16_e32 v4, v1
.LBB39_133:
	s_mov_b32 s21, 0
.LBB39_134:
	s_delay_alu instid0(SALU_CYCLE_1)
	s_and_not1_b32 vcc_lo, exec_lo, s21
	s_cbranch_vccnz .LBB39_154
; %bb.135:
	s_cmp_lt_i32 s0, 2
	s_cbranch_scc1 .LBB39_139
; %bb.136:
	s_cmp_lt_i32 s0, 3
	s_cbranch_scc1 .LBB39_140
; %bb.137:
	s_cmp_gt_i32 s0, 3
	s_cbranch_scc0 .LBB39_141
; %bb.138:
	s_wait_loadcnt 0x0
	global_load_b64 v[4:5], v[8:9], off
	s_mov_b32 s21, 0
	s_branch .LBB39_142
.LBB39_139:
	s_mov_b32 s21, -1
                                        ; implicit-def: $vgpr4
	s_branch .LBB39_148
.LBB39_140:
	s_mov_b32 s21, -1
                                        ; implicit-def: $vgpr4
	s_branch .LBB39_145
.LBB39_141:
	s_mov_b32 s21, -1
                                        ; implicit-def: $vgpr4
.LBB39_142:
	s_delay_alu instid0(SALU_CYCLE_1)
	s_and_not1_b32 vcc_lo, exec_lo, s21
	s_cbranch_vccnz .LBB39_144
; %bb.143:
	s_wait_loadcnt 0x0
	global_load_b32 v4, v[8:9], off
.LBB39_144:
	s_mov_b32 s21, 0
.LBB39_145:
	s_delay_alu instid0(SALU_CYCLE_1)
	s_and_not1_b32 vcc_lo, exec_lo, s21
	s_cbranch_vccnz .LBB39_147
; %bb.146:
	s_wait_loadcnt 0x0
	global_load_u16 v4, v[8:9], off
.LBB39_147:
	s_mov_b32 s21, 0
.LBB39_148:
	s_delay_alu instid0(SALU_CYCLE_1)
	s_and_not1_b32 vcc_lo, exec_lo, s21
	s_cbranch_vccnz .LBB39_154
; %bb.149:
	s_cmp_gt_i32 s0, 0
	s_mov_b32 s0, 0
	s_cbranch_scc0 .LBB39_151
; %bb.150:
	s_wait_loadcnt 0x0
	global_load_u8 v4, v[8:9], off
	s_branch .LBB39_152
.LBB39_151:
	s_mov_b32 s0, -1
                                        ; implicit-def: $vgpr4
.LBB39_152:
	s_delay_alu instid0(SALU_CYCLE_1)
	s_and_not1_b32 vcc_lo, exec_lo, s0
	s_cbranch_vccnz .LBB39_154
; %bb.153:
	s_wait_loadcnt 0x0
	global_load_u8 v4, v[8:9], off
.LBB39_154:
	s_mov_b32 s30, -1
.LBB39_155:
	s_mov_b32 s29, 0
	s_mov_b32 s0, 0
	s_and_not1_b32 vcc_lo, exec_lo, s30
	s_mov_b32 s30, 0
	s_mov_b32 s31, 0
	s_cbranch_vccnz .LBB39_404
; %bb.156:
	v_mov_b32_e32 v7, 0
	s_and_b32 s0, s17, 0xff
	s_delay_alu instid0(SALU_CYCLE_1) | instskip(NEXT) | instid1(VALU_DEP_1)
	s_cmp_lt_i32 s0, 11
	v_add_nc_u64_e32 v[6:7], s[6:7], v[6:7]
	s_cbranch_scc1 .LBB39_163
; %bb.157:
	s_and_b32 s21, 0xffff, s0
	s_delay_alu instid0(SALU_CYCLE_1)
	s_cmp_gt_i32 s21, 25
	s_cbranch_scc0 .LBB39_164
; %bb.158:
	s_cmp_gt_i32 s21, 28
	s_cbranch_scc0 .LBB39_165
; %bb.159:
	;; [unrolled: 3-line block ×4, first 2 shown]
	s_cmp_eq_u32 s21, 46
	s_mov_b32 s43, 0
	s_cbranch_scc0 .LBB39_168
; %bb.162:
	global_load_b32 v1, v[6:7], off
	s_mov_b32 s31, -1
	s_wait_loadcnt 0x0
	v_lshlrev_b32_e32 v1, 16, v1
	s_delay_alu instid0(VALU_DEP_1)
	v_cvt_i32_f32_e32 v8, v1
	s_branch .LBB39_170
.LBB39_163:
	s_mov_b32 s21, -1
                                        ; implicit-def: $vgpr8
	s_branch .LBB39_231
.LBB39_164:
	s_mov_b32 s43, -1
                                        ; implicit-def: $vgpr8
	s_branch .LBB39_197
.LBB39_165:
	s_mov_b32 s43, -1
                                        ; implicit-def: $vgpr8
	s_branch .LBB39_180
.LBB39_166:
	s_mov_b32 s43, -1
                                        ; implicit-def: $vgpr8
	s_branch .LBB39_175
.LBB39_167:
	s_mov_b32 s43, -1
	s_branch .LBB39_169
.LBB39_168:
	s_mov_b32 s30, -1
.LBB39_169:
                                        ; implicit-def: $vgpr8
.LBB39_170:
	s_and_b32 vcc_lo, exec_lo, s43
	s_cbranch_vccz .LBB39_174
; %bb.171:
	s_cmp_eq_u32 s21, 44
	s_cbranch_scc0 .LBB39_173
; %bb.172:
	global_load_u8 v1, v[6:7], off
	s_mov_b32 s30, 0
	s_mov_b32 s31, -1
	s_wait_loadcnt 0x0
	v_lshlrev_b32_e32 v3, 23, v1
	v_cmp_ne_u32_e32 vcc_lo, 0, v1
	s_delay_alu instid0(VALU_DEP_2) | instskip(NEXT) | instid1(VALU_DEP_1)
	v_cvt_i32_f32_e32 v3, v3
	v_cndmask_b32_e32 v8, 0, v3, vcc_lo
	s_branch .LBB39_174
.LBB39_173:
	s_mov_b32 s30, -1
                                        ; implicit-def: $vgpr8
.LBB39_174:
	s_mov_b32 s43, 0
.LBB39_175:
	s_delay_alu instid0(SALU_CYCLE_1)
	s_and_b32 vcc_lo, exec_lo, s43
	s_cbranch_vccz .LBB39_179
; %bb.176:
	s_cmp_eq_u32 s21, 29
	s_cbranch_scc0 .LBB39_178
; %bb.177:
	global_load_b64 v[8:9], v[6:7], off
	s_mov_b32 s31, -1
	s_mov_b32 s30, 0
	s_branch .LBB39_179
.LBB39_178:
	s_mov_b32 s30, -1
                                        ; implicit-def: $vgpr8
.LBB39_179:
	s_mov_b32 s43, 0
.LBB39_180:
	s_delay_alu instid0(SALU_CYCLE_1)
	s_and_b32 vcc_lo, exec_lo, s43
	s_cbranch_vccz .LBB39_196
; %bb.181:
	s_cmp_lt_i32 s21, 27
	s_cbranch_scc1 .LBB39_184
; %bb.182:
	s_cmp_gt_i32 s21, 27
	s_cbranch_scc0 .LBB39_185
; %bb.183:
	s_wait_loadcnt 0x0
	global_load_b32 v8, v[6:7], off
	s_mov_b32 s31, 0
	s_branch .LBB39_186
.LBB39_184:
	s_mov_b32 s31, -1
                                        ; implicit-def: $vgpr8
	s_branch .LBB39_189
.LBB39_185:
	s_mov_b32 s31, -1
                                        ; implicit-def: $vgpr8
.LBB39_186:
	s_delay_alu instid0(SALU_CYCLE_1)
	s_and_not1_b32 vcc_lo, exec_lo, s31
	s_cbranch_vccnz .LBB39_188
; %bb.187:
	s_wait_loadcnt 0x0
	global_load_u16 v8, v[6:7], off
.LBB39_188:
	s_mov_b32 s31, 0
.LBB39_189:
	s_delay_alu instid0(SALU_CYCLE_1)
	s_and_not1_b32 vcc_lo, exec_lo, s31
	s_cbranch_vccnz .LBB39_195
; %bb.190:
	global_load_u8 v1, v[6:7], off
	s_mov_b32 s43, 0
	s_mov_b32 s31, exec_lo
	s_wait_loadcnt 0x0
	v_cmpx_lt_i16_e32 0x7f, v1
	s_xor_b32 s31, exec_lo, s31
	s_cbranch_execz .LBB39_207
; %bb.191:
	v_cmp_ne_u16_e32 vcc_lo, 0x80, v1
	s_and_b32 s43, vcc_lo, exec_lo
	s_and_not1_saveexec_b32 s31, s31
	s_cbranch_execnz .LBB39_208
.LBB39_192:
	s_or_b32 exec_lo, exec_lo, s31
	v_mov_b32_e32 v8, 0
	s_and_saveexec_b32 s31, s43
	s_cbranch_execz .LBB39_194
.LBB39_193:
	v_and_b32_e32 v3, 0xffff, v1
	s_delay_alu instid0(VALU_DEP_1) | instskip(SKIP_1) | instid1(VALU_DEP_2)
	v_and_b32_e32 v5, 7, v3
	v_bfe_u32 v10, v3, 3, 4
	v_clz_i32_u32_e32 v8, v5
	s_delay_alu instid0(VALU_DEP_2) | instskip(NEXT) | instid1(VALU_DEP_2)
	v_cmp_eq_u32_e32 vcc_lo, 0, v10
	v_min_u32_e32 v8, 32, v8
	s_delay_alu instid0(VALU_DEP_1) | instskip(NEXT) | instid1(VALU_DEP_1)
	v_subrev_nc_u32_e32 v9, 28, v8
	v_dual_lshlrev_b32 v3, v9, v3 :: v_dual_sub_nc_u32 v8, 29, v8
	s_delay_alu instid0(VALU_DEP_1) | instskip(NEXT) | instid1(VALU_DEP_1)
	v_dual_lshlrev_b32 v1, 24, v1 :: v_dual_bitop2_b32 v3, 7, v3 bitop3:0x40
	v_dual_cndmask_b32 v8, v10, v8 :: v_dual_cndmask_b32 v3, v5, v3
	s_delay_alu instid0(VALU_DEP_2) | instskip(NEXT) | instid1(VALU_DEP_2)
	v_and_b32_e32 v1, 0x80000000, v1
	v_lshl_add_u32 v5, v8, 23, 0x3b800000
	s_delay_alu instid0(VALU_DEP_3) | instskip(NEXT) | instid1(VALU_DEP_1)
	v_lshlrev_b32_e32 v3, 20, v3
	v_or3_b32 v1, v1, v5, v3
	s_delay_alu instid0(VALU_DEP_1)
	v_cvt_i32_f32_e32 v8, v1
.LBB39_194:
	s_or_b32 exec_lo, exec_lo, s31
.LBB39_195:
	s_mov_b32 s31, -1
.LBB39_196:
	s_mov_b32 s43, 0
.LBB39_197:
	s_delay_alu instid0(SALU_CYCLE_1)
	s_and_b32 vcc_lo, exec_lo, s43
	s_cbranch_vccz .LBB39_230
; %bb.198:
	s_cmp_gt_i32 s21, 22
	s_cbranch_scc0 .LBB39_206
; %bb.199:
	s_cmp_lt_i32 s21, 24
	s_cbranch_scc1 .LBB39_209
; %bb.200:
	s_cmp_gt_i32 s21, 24
	s_cbranch_scc0 .LBB39_210
; %bb.201:
	global_load_u8 v1, v[6:7], off
	s_mov_b32 s43, 0
	s_mov_b32 s31, exec_lo
	s_wait_loadcnt 0x0
	v_cmpx_lt_i16_e32 0x7f, v1
	s_xor_b32 s31, exec_lo, s31
	s_cbranch_execz .LBB39_222
; %bb.202:
	v_cmp_ne_u16_e32 vcc_lo, 0x80, v1
	s_and_b32 s43, vcc_lo, exec_lo
	s_and_not1_saveexec_b32 s31, s31
	s_cbranch_execnz .LBB39_223
.LBB39_203:
	s_or_b32 exec_lo, exec_lo, s31
	v_mov_b32_e32 v8, 0
	s_and_saveexec_b32 s31, s43
	s_cbranch_execz .LBB39_205
.LBB39_204:
	v_and_b32_e32 v3, 0xffff, v1
	s_delay_alu instid0(VALU_DEP_1) | instskip(SKIP_1) | instid1(VALU_DEP_2)
	v_and_b32_e32 v5, 3, v3
	v_bfe_u32 v10, v3, 2, 5
	v_clz_i32_u32_e32 v8, v5
	s_delay_alu instid0(VALU_DEP_2) | instskip(NEXT) | instid1(VALU_DEP_2)
	v_cmp_eq_u32_e32 vcc_lo, 0, v10
	v_min_u32_e32 v8, 32, v8
	s_delay_alu instid0(VALU_DEP_1) | instskip(NEXT) | instid1(VALU_DEP_1)
	v_subrev_nc_u32_e32 v9, 29, v8
	v_dual_lshlrev_b32 v3, v9, v3 :: v_dual_sub_nc_u32 v8, 30, v8
	s_delay_alu instid0(VALU_DEP_1) | instskip(NEXT) | instid1(VALU_DEP_1)
	v_dual_lshlrev_b32 v1, 24, v1 :: v_dual_bitop2_b32 v3, 3, v3 bitop3:0x40
	v_dual_cndmask_b32 v8, v10, v8 :: v_dual_cndmask_b32 v3, v5, v3
	s_delay_alu instid0(VALU_DEP_2) | instskip(NEXT) | instid1(VALU_DEP_2)
	v_and_b32_e32 v1, 0x80000000, v1
	v_lshl_add_u32 v5, v8, 23, 0x37800000
	s_delay_alu instid0(VALU_DEP_3) | instskip(NEXT) | instid1(VALU_DEP_1)
	v_lshlrev_b32_e32 v3, 21, v3
	v_or3_b32 v1, v1, v5, v3
	s_delay_alu instid0(VALU_DEP_1)
	v_cvt_i32_f32_e32 v8, v1
.LBB39_205:
	s_or_b32 exec_lo, exec_lo, s31
	s_mov_b32 s31, 0
	s_branch .LBB39_211
.LBB39_206:
	s_mov_b32 s43, -1
                                        ; implicit-def: $vgpr8
	s_branch .LBB39_217
.LBB39_207:
	s_and_not1_saveexec_b32 s31, s31
	s_cbranch_execz .LBB39_192
.LBB39_208:
	v_cmp_ne_u16_e32 vcc_lo, 0, v1
	s_and_not1_b32 s43, s43, exec_lo
	s_and_b32 s44, vcc_lo, exec_lo
	s_delay_alu instid0(SALU_CYCLE_1)
	s_or_b32 s43, s43, s44
	s_or_b32 exec_lo, exec_lo, s31
	v_mov_b32_e32 v8, 0
	s_and_saveexec_b32 s31, s43
	s_cbranch_execnz .LBB39_193
	s_branch .LBB39_194
.LBB39_209:
	s_mov_b32 s31, -1
                                        ; implicit-def: $vgpr8
	s_branch .LBB39_214
.LBB39_210:
	s_mov_b32 s31, -1
                                        ; implicit-def: $vgpr8
.LBB39_211:
	s_delay_alu instid0(SALU_CYCLE_1)
	s_and_b32 vcc_lo, exec_lo, s31
	s_cbranch_vccz .LBB39_213
; %bb.212:
	global_load_u8 v1, v[6:7], off
	s_wait_loadcnt 0x0
	v_lshlrev_b32_e32 v1, 24, v1
	s_delay_alu instid0(VALU_DEP_1) | instskip(NEXT) | instid1(VALU_DEP_1)
	v_and_b32_e32 v3, 0x7f000000, v1
	v_clz_i32_u32_e32 v5, v3
	v_add_nc_u32_e32 v9, 0x1000000, v3
	v_cmp_ne_u32_e32 vcc_lo, 0, v3
	s_delay_alu instid0(VALU_DEP_3) | instskip(NEXT) | instid1(VALU_DEP_1)
	v_min_u32_e32 v5, 32, v5
	v_sub_nc_u32_e64 v5, v5, 4 clamp
	s_delay_alu instid0(VALU_DEP_1) | instskip(NEXT) | instid1(VALU_DEP_1)
	v_dual_lshlrev_b32 v8, v5, v3 :: v_dual_lshlrev_b32 v5, 23, v5
	v_lshrrev_b32_e32 v8, 4, v8
	s_delay_alu instid0(VALU_DEP_1) | instskip(SKIP_1) | instid1(VALU_DEP_2)
	v_sub_nc_u32_e32 v5, v8, v5
	v_ashrrev_i32_e32 v8, 8, v9
	v_add_nc_u32_e32 v5, 0x3c000000, v5
	s_delay_alu instid0(VALU_DEP_1) | instskip(NEXT) | instid1(VALU_DEP_1)
	v_and_or_b32 v5, 0x7f800000, v8, v5
	v_cndmask_b32_e32 v3, 0, v5, vcc_lo
	s_delay_alu instid0(VALU_DEP_1) | instskip(NEXT) | instid1(VALU_DEP_1)
	v_and_or_b32 v1, 0x80000000, v1, v3
	v_cvt_i32_f32_e32 v8, v1
.LBB39_213:
	s_mov_b32 s31, 0
.LBB39_214:
	s_delay_alu instid0(SALU_CYCLE_1)
	s_and_not1_b32 vcc_lo, exec_lo, s31
	s_cbranch_vccnz .LBB39_216
; %bb.215:
	global_load_u8 v1, v[6:7], off
	s_wait_loadcnt 0x0
	v_lshlrev_b32_e32 v3, 25, v1
	v_lshlrev_b16 v1, 8, v1
	s_delay_alu instid0(VALU_DEP_1) | instskip(SKIP_1) | instid1(VALU_DEP_2)
	v_and_or_b32 v8, 0x7f00, v1, 0.5
	v_bfe_i32 v1, v1, 0, 16
	v_dual_add_f32 v8, -0.5, v8 :: v_dual_lshrrev_b32 v5, 4, v3
	v_cmp_gt_u32_e32 vcc_lo, 0x8000000, v3
	s_delay_alu instid0(VALU_DEP_2) | instskip(NEXT) | instid1(VALU_DEP_1)
	v_or_b32_e32 v5, 0x70000000, v5
	v_mul_f32_e32 v5, 0x7800000, v5
	s_delay_alu instid0(VALU_DEP_1) | instskip(NEXT) | instid1(VALU_DEP_1)
	v_cndmask_b32_e32 v3, v5, v8, vcc_lo
	v_and_or_b32 v1, 0x80000000, v1, v3
	s_delay_alu instid0(VALU_DEP_1)
	v_cvt_i32_f32_e32 v8, v1
.LBB39_216:
	s_mov_b32 s43, 0
	s_mov_b32 s31, -1
.LBB39_217:
	s_and_not1_b32 vcc_lo, exec_lo, s43
	s_cbranch_vccnz .LBB39_230
; %bb.218:
	s_cmp_gt_i32 s21, 14
	s_cbranch_scc0 .LBB39_221
; %bb.219:
	s_cmp_eq_u32 s21, 15
	s_cbranch_scc0 .LBB39_224
; %bb.220:
	global_load_u16 v1, v[6:7], off
	s_mov_b32 s31, -1
	s_mov_b32 s30, 0
	s_wait_loadcnt 0x0
	v_lshlrev_b32_e32 v1, 16, v1
	s_delay_alu instid0(VALU_DEP_1)
	v_cvt_i32_f32_e32 v8, v1
	s_branch .LBB39_225
.LBB39_221:
	s_mov_b32 s43, -1
                                        ; implicit-def: $vgpr8
	s_branch .LBB39_226
.LBB39_222:
	s_and_not1_saveexec_b32 s31, s31
	s_cbranch_execz .LBB39_203
.LBB39_223:
	v_cmp_ne_u16_e32 vcc_lo, 0, v1
	s_and_not1_b32 s43, s43, exec_lo
	s_and_b32 s44, vcc_lo, exec_lo
	s_delay_alu instid0(SALU_CYCLE_1)
	s_or_b32 s43, s43, s44
	s_or_b32 exec_lo, exec_lo, s31
	v_mov_b32_e32 v8, 0
	s_and_saveexec_b32 s31, s43
	s_cbranch_execnz .LBB39_204
	s_branch .LBB39_205
.LBB39_224:
	s_mov_b32 s30, -1
                                        ; implicit-def: $vgpr8
.LBB39_225:
	s_mov_b32 s43, 0
.LBB39_226:
	s_delay_alu instid0(SALU_CYCLE_1)
	s_and_b32 vcc_lo, exec_lo, s43
	s_cbranch_vccz .LBB39_230
; %bb.227:
	s_cmp_eq_u32 s21, 11
	s_cbranch_scc0 .LBB39_229
; %bb.228:
	global_load_u8 v1, v[6:7], off
	s_mov_b32 s30, 0
	s_mov_b32 s31, -1
	s_wait_loadcnt 0x0
	v_cmp_ne_u16_e32 vcc_lo, 0, v1
	v_cndmask_b32_e64 v8, 0, 1, vcc_lo
	s_branch .LBB39_230
.LBB39_229:
	s_mov_b32 s30, -1
                                        ; implicit-def: $vgpr8
.LBB39_230:
	s_mov_b32 s21, 0
.LBB39_231:
	s_delay_alu instid0(SALU_CYCLE_1)
	s_and_b32 vcc_lo, exec_lo, s21
	s_cbranch_vccz .LBB39_280
; %bb.232:
	s_and_b32 s0, 0xffff, s0
	s_delay_alu instid0(SALU_CYCLE_1)
	s_cmp_lt_i32 s0, 5
	s_cbranch_scc1 .LBB39_237
; %bb.233:
	s_cmp_lt_i32 s0, 8
	s_cbranch_scc1 .LBB39_238
; %bb.234:
	;; [unrolled: 3-line block ×3, first 2 shown]
	s_cmp_gt_i32 s0, 9
	s_cbranch_scc0 .LBB39_240
; %bb.236:
	s_wait_loadcnt 0x0
	global_load_b64 v[8:9], v[6:7], off
	s_mov_b32 s21, 0
	s_wait_loadcnt 0x0
	v_cvt_i32_f64_e32 v8, v[8:9]
	s_branch .LBB39_241
.LBB39_237:
	s_mov_b32 s21, -1
                                        ; implicit-def: $vgpr8
	s_branch .LBB39_259
.LBB39_238:
	s_mov_b32 s21, -1
                                        ; implicit-def: $vgpr8
	s_branch .LBB39_247
.LBB39_239:
	s_mov_b32 s21, -1
                                        ; implicit-def: $vgpr8
	s_branch .LBB39_244
.LBB39_240:
	s_mov_b32 s21, -1
                                        ; implicit-def: $vgpr8
.LBB39_241:
	s_delay_alu instid0(SALU_CYCLE_1)
	s_and_not1_b32 vcc_lo, exec_lo, s21
	s_cbranch_vccnz .LBB39_243
; %bb.242:
	global_load_b32 v1, v[6:7], off
	s_wait_loadcnt 0x0
	v_cvt_i32_f32_e32 v8, v1
.LBB39_243:
	s_mov_b32 s21, 0
.LBB39_244:
	s_delay_alu instid0(SALU_CYCLE_1)
	s_and_not1_b32 vcc_lo, exec_lo, s21
	s_cbranch_vccnz .LBB39_246
; %bb.245:
	global_load_b32 v1, v[6:7], off
	s_wait_loadcnt 0x0
	v_cvt_i16_f16_e32 v8, v1
.LBB39_246:
	s_mov_b32 s21, 0
.LBB39_247:
	s_delay_alu instid0(SALU_CYCLE_1)
	s_and_not1_b32 vcc_lo, exec_lo, s21
	s_cbranch_vccnz .LBB39_258
; %bb.248:
	s_cmp_lt_i32 s0, 6
	s_cbranch_scc1 .LBB39_251
; %bb.249:
	s_cmp_gt_i32 s0, 6
	s_cbranch_scc0 .LBB39_252
; %bb.250:
	s_wait_loadcnt 0x0
	global_load_b64 v[8:9], v[6:7], off
	s_mov_b32 s21, 0
	s_wait_loadcnt 0x0
	v_cvt_i32_f64_e32 v8, v[8:9]
	s_branch .LBB39_253
.LBB39_251:
	s_mov_b32 s21, -1
                                        ; implicit-def: $vgpr8
	s_branch .LBB39_256
.LBB39_252:
	s_mov_b32 s21, -1
                                        ; implicit-def: $vgpr8
.LBB39_253:
	s_delay_alu instid0(SALU_CYCLE_1)
	s_and_not1_b32 vcc_lo, exec_lo, s21
	s_cbranch_vccnz .LBB39_255
; %bb.254:
	global_load_b32 v1, v[6:7], off
	s_wait_loadcnt 0x0
	v_cvt_i32_f32_e32 v8, v1
.LBB39_255:
	s_mov_b32 s21, 0
.LBB39_256:
	s_delay_alu instid0(SALU_CYCLE_1)
	s_and_not1_b32 vcc_lo, exec_lo, s21
	s_cbranch_vccnz .LBB39_258
; %bb.257:
	global_load_u16 v1, v[6:7], off
	s_wait_loadcnt 0x0
	v_cvt_i16_f16_e32 v8, v1
.LBB39_258:
	s_mov_b32 s21, 0
.LBB39_259:
	s_delay_alu instid0(SALU_CYCLE_1)
	s_and_not1_b32 vcc_lo, exec_lo, s21
	s_cbranch_vccnz .LBB39_279
; %bb.260:
	s_cmp_lt_i32 s0, 2
	s_cbranch_scc1 .LBB39_264
; %bb.261:
	s_cmp_lt_i32 s0, 3
	s_cbranch_scc1 .LBB39_265
; %bb.262:
	s_cmp_gt_i32 s0, 3
	s_cbranch_scc0 .LBB39_266
; %bb.263:
	s_wait_loadcnt 0x0
	global_load_b64 v[8:9], v[6:7], off
	s_mov_b32 s21, 0
	s_branch .LBB39_267
.LBB39_264:
	s_mov_b32 s21, -1
                                        ; implicit-def: $vgpr8
	s_branch .LBB39_273
.LBB39_265:
	s_mov_b32 s21, -1
                                        ; implicit-def: $vgpr8
	s_branch .LBB39_270
.LBB39_266:
	s_mov_b32 s21, -1
                                        ; implicit-def: $vgpr8
.LBB39_267:
	s_delay_alu instid0(SALU_CYCLE_1)
	s_and_not1_b32 vcc_lo, exec_lo, s21
	s_cbranch_vccnz .LBB39_269
; %bb.268:
	s_wait_loadcnt 0x0
	global_load_b32 v8, v[6:7], off
.LBB39_269:
	s_mov_b32 s21, 0
.LBB39_270:
	s_delay_alu instid0(SALU_CYCLE_1)
	s_and_not1_b32 vcc_lo, exec_lo, s21
	s_cbranch_vccnz .LBB39_272
; %bb.271:
	s_wait_loadcnt 0x0
	global_load_u16 v8, v[6:7], off
.LBB39_272:
	s_mov_b32 s21, 0
.LBB39_273:
	s_delay_alu instid0(SALU_CYCLE_1)
	s_and_not1_b32 vcc_lo, exec_lo, s21
	s_cbranch_vccnz .LBB39_279
; %bb.274:
	s_cmp_gt_i32 s0, 0
	s_mov_b32 s0, 0
	s_cbranch_scc0 .LBB39_276
; %bb.275:
	s_wait_loadcnt 0x0
	global_load_u8 v8, v[6:7], off
	s_branch .LBB39_277
.LBB39_276:
	s_mov_b32 s0, -1
                                        ; implicit-def: $vgpr8
.LBB39_277:
	s_delay_alu instid0(SALU_CYCLE_1)
	s_and_not1_b32 vcc_lo, exec_lo, s0
	s_cbranch_vccnz .LBB39_279
; %bb.278:
	s_wait_loadcnt 0x0
	global_load_u8 v8, v[6:7], off
.LBB39_279:
	s_mov_b32 s31, -1
.LBB39_280:
	s_delay_alu instid0(SALU_CYCLE_1)
	s_and_not1_b32 vcc_lo, exec_lo, s31
	s_cbranch_vccnz .LBB39_288
; %bb.281:
	v_mov_b32_e32 v3, 0
	s_wait_loadcnt 0x0
	s_delay_alu instid0(VALU_DEP_4) | instskip(SKIP_1) | instid1(SALU_CYCLE_1)
	v_mul_lo_u16 v1, v4, s16
	s_and_b32 s21, s9, 0xff
	s_cmp_lt_i32 s21, 11
	v_add_nc_u64_e32 v[2:3], s[18:19], v[2:3]
	s_delay_alu instid0(VALU_DEP_2)
	v_mul_lo_u16 v1, v1, v8
	s_cbranch_scc1 .LBB39_289
; %bb.282:
	s_and_b32 s31, 0xffff, s21
	s_delay_alu instid0(SALU_CYCLE_1)
	s_cmp_gt_i32 s31, 25
	s_cbranch_scc0 .LBB39_290
; %bb.283:
	s_cmp_gt_i32 s31, 28
	s_cbranch_scc0 .LBB39_291
; %bb.284:
	s_cmp_gt_i32 s31, 43
	s_cbranch_scc0 .LBB39_292
; %bb.285:
	s_cmp_gt_i32 s31, 45
	s_cbranch_scc0 .LBB39_293
; %bb.286:
	s_mov_b32 s44, 0
	s_mov_b32 s0, -1
	s_cmp_eq_u32 s31, 46
	s_mov_b32 s43, 0
	s_cbranch_scc0 .LBB39_294
; %bb.287:
	v_bfe_i32 v4, v1, 0, 8
	s_mov_b32 s43, -1
	s_mov_b32 s0, 0
	s_delay_alu instid0(VALU_DEP_1) | instskip(NEXT) | instid1(VALU_DEP_1)
	v_bfe_i32 v4, v4, 0, 16
	v_cvt_f32_i32_e32 v4, v4
	s_delay_alu instid0(VALU_DEP_1) | instskip(NEXT) | instid1(VALU_DEP_1)
	v_bfe_u32 v5, v4, 16, 1
	v_add3_u32 v4, v4, v5, 0x7fff
	s_delay_alu instid0(VALU_DEP_1)
	v_lshrrev_b32_e32 v4, 16, v4
	global_store_b32 v[2:3], v4, off
	s_branch .LBB39_294
.LBB39_288:
	s_mov_b32 s0, 0
	s_branch .LBB39_38
.LBB39_289:
	s_mov_b32 s31, -1
	s_mov_b32 s0, 0
	s_mov_b32 s43, 0
	s_branch .LBB39_363
.LBB39_290:
	s_mov_b32 s44, -1
	s_mov_b32 s0, 0
	s_mov_b32 s43, 0
	s_branch .LBB39_321
.LBB39_291:
	s_mov_b32 s44, -1
	s_mov_b32 s0, 0
	s_mov_b32 s43, 0
	s_branch .LBB39_304
.LBB39_292:
	s_mov_b32 s44, -1
	s_mov_b32 s0, 0
	s_mov_b32 s43, 0
	s_branch .LBB39_300
.LBB39_293:
	s_mov_b32 s44, -1
	s_mov_b32 s0, 0
	s_mov_b32 s43, 0
.LBB39_294:
	s_and_b32 vcc_lo, exec_lo, s44
	s_cbranch_vccz .LBB39_299
; %bb.295:
	s_cmp_eq_u32 s31, 44
	s_mov_b32 s0, -1
	s_cbranch_scc0 .LBB39_299
; %bb.296:
	s_wait_xcnt 0x0
	v_bfe_i32 v4, v1, 0, 8
	v_mov_b32_e32 v5, 0xff
	s_mov_b32 s43, exec_lo
	s_delay_alu instid0(VALU_DEP_2) | instskip(NEXT) | instid1(VALU_DEP_1)
	v_bfe_i32 v4, v4, 0, 16
	v_cvt_f32_i32_e32 v4, v4
	s_delay_alu instid0(VALU_DEP_1) | instskip(NEXT) | instid1(VALU_DEP_1)
	v_bfe_u32 v6, v4, 23, 8
	v_cmpx_ne_u32_e32 0xff, v6
	s_cbranch_execz .LBB39_298
; %bb.297:
	v_and_b32_e32 v5, 0x400000, v4
	v_and_or_b32 v6, 0x3fffff, v4, v6
	v_lshrrev_b32_e32 v4, 23, v4
	s_delay_alu instid0(VALU_DEP_3) | instskip(NEXT) | instid1(VALU_DEP_3)
	v_cmp_ne_u32_e32 vcc_lo, 0, v5
	v_cmp_ne_u32_e64 s0, 0, v6
	s_and_b32 s0, vcc_lo, s0
	s_delay_alu instid0(SALU_CYCLE_1) | instskip(NEXT) | instid1(VALU_DEP_1)
	v_cndmask_b32_e64 v5, 0, 1, s0
	v_add_nc_u32_e32 v5, v4, v5
.LBB39_298:
	s_or_b32 exec_lo, exec_lo, s43
	s_mov_b32 s43, -1
	s_mov_b32 s0, 0
	global_store_b8 v[2:3], v5, off
.LBB39_299:
	s_mov_b32 s44, 0
.LBB39_300:
	s_delay_alu instid0(SALU_CYCLE_1)
	s_and_b32 vcc_lo, exec_lo, s44
	s_cbranch_vccz .LBB39_303
; %bb.301:
	s_cmp_eq_u32 s31, 29
	s_mov_b32 s0, -1
	s_cbranch_scc0 .LBB39_303
; %bb.302:
	s_wait_xcnt 0x0
	v_bfe_i32 v4, v1, 0, 8
	s_mov_b32 s43, -1
	s_mov_b32 s0, 0
	s_mov_b32 s44, 0
	s_delay_alu instid0(VALU_DEP_1)
	v_ashrrev_i32_e32 v5, 31, v4
	global_store_b64 v[2:3], v[4:5], off
	s_branch .LBB39_304
.LBB39_303:
	s_mov_b32 s44, 0
.LBB39_304:
	s_delay_alu instid0(SALU_CYCLE_1)
	s_and_b32 vcc_lo, exec_lo, s44
	s_cbranch_vccz .LBB39_320
; %bb.305:
	s_cmp_lt_i32 s31, 27
	s_mov_b32 s43, -1
	s_cbranch_scc1 .LBB39_311
; %bb.306:
	s_cmp_gt_i32 s31, 27
	s_cbranch_scc0 .LBB39_308
; %bb.307:
	s_wait_xcnt 0x0
	v_bfe_i32 v4, v1, 0, 8
	s_mov_b32 s43, 0
	global_store_b32 v[2:3], v4, off
.LBB39_308:
	s_and_not1_b32 vcc_lo, exec_lo, s43
	s_cbranch_vccnz .LBB39_310
; %bb.309:
	s_wait_xcnt 0x0
	v_bfe_i32 v4, v1, 0, 8
	global_store_b16 v[2:3], v4, off
.LBB39_310:
	s_mov_b32 s43, 0
.LBB39_311:
	s_delay_alu instid0(SALU_CYCLE_1)
	s_and_not1_b32 vcc_lo, exec_lo, s43
	s_cbranch_vccnz .LBB39_319
; %bb.312:
	s_wait_xcnt 0x0
	v_bfe_i32 v4, v1, 0, 8
	v_mov_b32_e32 v6, 0x80
	s_mov_b32 s43, exec_lo
	s_delay_alu instid0(VALU_DEP_2) | instskip(NEXT) | instid1(VALU_DEP_1)
	v_bfe_i32 v4, v4, 0, 16
	v_cvt_f32_i32_e32 v4, v4
	s_delay_alu instid0(VALU_DEP_1) | instskip(NEXT) | instid1(VALU_DEP_1)
	v_and_b32_e32 v5, 0x7fffffff, v4
	v_cmpx_gt_u32_e32 0x43800000, v5
	s_cbranch_execz .LBB39_318
; %bb.313:
	v_cmp_lt_u32_e32 vcc_lo, 0x3bffffff, v5
	s_mov_b32 s44, 0
                                        ; implicit-def: $vgpr5
	s_and_saveexec_b32 s45, vcc_lo
	s_delay_alu instid0(SALU_CYCLE_1)
	s_xor_b32 s45, exec_lo, s45
	s_cbranch_execz .LBB39_450
; %bb.314:
	v_bfe_u32 v5, v4, 20, 1
	s_mov_b32 s44, exec_lo
	s_delay_alu instid0(VALU_DEP_1) | instskip(NEXT) | instid1(VALU_DEP_1)
	v_add3_u32 v5, v4, v5, 0x487ffff
	v_lshrrev_b32_e32 v5, 20, v5
	s_and_not1_saveexec_b32 s45, s45
	s_cbranch_execnz .LBB39_451
.LBB39_315:
	s_or_b32 exec_lo, exec_lo, s45
	v_mov_b32_e32 v6, 0
	s_and_saveexec_b32 s45, s44
.LBB39_316:
	v_lshrrev_b32_e32 v4, 24, v4
	s_delay_alu instid0(VALU_DEP_1)
	v_and_or_b32 v6, 0x80, v4, v5
.LBB39_317:
	s_or_b32 exec_lo, exec_lo, s45
.LBB39_318:
	s_delay_alu instid0(SALU_CYCLE_1)
	s_or_b32 exec_lo, exec_lo, s43
	global_store_b8 v[2:3], v6, off
.LBB39_319:
	s_mov_b32 s43, -1
.LBB39_320:
	s_mov_b32 s44, 0
.LBB39_321:
	s_delay_alu instid0(SALU_CYCLE_1)
	s_and_b32 vcc_lo, exec_lo, s44
	s_cbranch_vccz .LBB39_362
; %bb.322:
	s_cmp_gt_i32 s31, 22
	s_mov_b32 s44, -1
	s_cbranch_scc0 .LBB39_354
; %bb.323:
	s_cmp_lt_i32 s31, 24
	s_mov_b32 s43, -1
	s_cbranch_scc1 .LBB39_343
; %bb.324:
	s_cmp_gt_i32 s31, 24
	s_cbranch_scc0 .LBB39_332
; %bb.325:
	s_wait_xcnt 0x0
	v_bfe_i32 v4, v1, 0, 8
	v_mov_b32_e32 v6, 0x80
	s_mov_b32 s43, exec_lo
	s_delay_alu instid0(VALU_DEP_2) | instskip(NEXT) | instid1(VALU_DEP_1)
	v_bfe_i32 v4, v4, 0, 16
	v_cvt_f32_i32_e32 v4, v4
	s_delay_alu instid0(VALU_DEP_1) | instskip(NEXT) | instid1(VALU_DEP_1)
	v_and_b32_e32 v5, 0x7fffffff, v4
	v_cmpx_gt_u32_e32 0x47800000, v5
	s_cbranch_execz .LBB39_331
; %bb.326:
	v_cmp_lt_u32_e32 vcc_lo, 0x37ffffff, v5
	s_mov_b32 s44, 0
                                        ; implicit-def: $vgpr5
	s_and_saveexec_b32 s45, vcc_lo
	s_delay_alu instid0(SALU_CYCLE_1)
	s_xor_b32 s45, exec_lo, s45
	s_cbranch_execz .LBB39_577
; %bb.327:
	v_bfe_u32 v5, v4, 21, 1
	s_mov_b32 s44, exec_lo
	s_delay_alu instid0(VALU_DEP_1) | instskip(NEXT) | instid1(VALU_DEP_1)
	v_add3_u32 v5, v4, v5, 0x88fffff
	v_lshrrev_b32_e32 v5, 21, v5
	s_and_not1_saveexec_b32 s45, s45
	s_cbranch_execnz .LBB39_578
.LBB39_328:
	s_or_b32 exec_lo, exec_lo, s45
	v_mov_b32_e32 v6, 0
	s_and_saveexec_b32 s45, s44
.LBB39_329:
	v_lshrrev_b32_e32 v4, 24, v4
	s_delay_alu instid0(VALU_DEP_1)
	v_and_or_b32 v6, 0x80, v4, v5
.LBB39_330:
	s_or_b32 exec_lo, exec_lo, s45
.LBB39_331:
	s_delay_alu instid0(SALU_CYCLE_1)
	s_or_b32 exec_lo, exec_lo, s43
	s_mov_b32 s43, 0
	global_store_b8 v[2:3], v6, off
.LBB39_332:
	s_and_b32 vcc_lo, exec_lo, s43
	s_cbranch_vccz .LBB39_342
; %bb.333:
	s_wait_xcnt 0x0
	v_bfe_i32 v4, v1, 0, 8
	s_mov_b32 s43, exec_lo
                                        ; implicit-def: $vgpr5
	s_delay_alu instid0(VALU_DEP_1) | instskip(NEXT) | instid1(VALU_DEP_1)
	v_bfe_i32 v4, v4, 0, 16
	v_cvt_f32_i32_e32 v4, v4
	s_delay_alu instid0(VALU_DEP_1) | instskip(NEXT) | instid1(VALU_DEP_1)
	v_and_b32_e32 v6, 0x7fffffff, v4
	v_cmpx_gt_u32_e32 0x43f00000, v6
	s_xor_b32 s43, exec_lo, s43
	s_cbranch_execz .LBB39_339
; %bb.334:
	s_mov_b32 s44, exec_lo
                                        ; implicit-def: $vgpr5
	v_cmpx_lt_u32_e32 0x3c7fffff, v6
	s_xor_b32 s44, exec_lo, s44
; %bb.335:
	v_bfe_u32 v5, v4, 20, 1
	s_delay_alu instid0(VALU_DEP_1) | instskip(NEXT) | instid1(VALU_DEP_1)
	v_add3_u32 v5, v4, v5, 0x407ffff
	v_and_b32_e32 v6, 0xff00000, v5
	v_lshrrev_b32_e32 v5, 20, v5
	s_delay_alu instid0(VALU_DEP_2) | instskip(NEXT) | instid1(VALU_DEP_2)
	v_cmp_ne_u32_e32 vcc_lo, 0x7f00000, v6
	v_cndmask_b32_e32 v5, 0x7e, v5, vcc_lo
; %bb.336:
	s_and_not1_saveexec_b32 s44, s44
; %bb.337:
	v_add_f32_e64 v5, 0x46800000, |v4|
; %bb.338:
	s_or_b32 exec_lo, exec_lo, s44
                                        ; implicit-def: $vgpr6
.LBB39_339:
	s_and_not1_saveexec_b32 s43, s43
; %bb.340:
	v_mov_b32_e32 v5, 0x7f
	v_cmp_lt_u32_e32 vcc_lo, 0x7f800000, v6
	s_delay_alu instid0(VALU_DEP_2)
	v_cndmask_b32_e32 v5, 0x7e, v5, vcc_lo
; %bb.341:
	s_or_b32 exec_lo, exec_lo, s43
	v_lshrrev_b32_e32 v4, 24, v4
	s_delay_alu instid0(VALU_DEP_1)
	v_and_or_b32 v4, 0x80, v4, v5
	global_store_b8 v[2:3], v4, off
.LBB39_342:
	s_mov_b32 s43, 0
.LBB39_343:
	s_delay_alu instid0(SALU_CYCLE_1)
	s_and_not1_b32 vcc_lo, exec_lo, s43
	s_cbranch_vccnz .LBB39_353
; %bb.344:
	s_wait_xcnt 0x0
	v_bfe_i32 v4, v1, 0, 8
	s_mov_b32 s43, exec_lo
                                        ; implicit-def: $vgpr5
	s_delay_alu instid0(VALU_DEP_1) | instskip(NEXT) | instid1(VALU_DEP_1)
	v_bfe_i32 v4, v4, 0, 16
	v_cvt_f32_i32_e32 v4, v4
	s_delay_alu instid0(VALU_DEP_1) | instskip(NEXT) | instid1(VALU_DEP_1)
	v_and_b32_e32 v6, 0x7fffffff, v4
	v_cmpx_gt_u32_e32 0x47800000, v6
	s_xor_b32 s43, exec_lo, s43
	s_cbranch_execz .LBB39_350
; %bb.345:
	s_mov_b32 s44, exec_lo
                                        ; implicit-def: $vgpr5
	v_cmpx_lt_u32_e32 0x387fffff, v6
	s_xor_b32 s44, exec_lo, s44
; %bb.346:
	v_bfe_u32 v5, v4, 21, 1
	s_delay_alu instid0(VALU_DEP_1) | instskip(NEXT) | instid1(VALU_DEP_1)
	v_add3_u32 v5, v4, v5, 0x80fffff
	v_lshrrev_b32_e32 v5, 21, v5
; %bb.347:
	s_and_not1_saveexec_b32 s44, s44
; %bb.348:
	v_add_f32_e64 v5, 0x43000000, |v4|
; %bb.349:
	s_or_b32 exec_lo, exec_lo, s44
                                        ; implicit-def: $vgpr6
.LBB39_350:
	s_and_not1_saveexec_b32 s43, s43
; %bb.351:
	v_mov_b32_e32 v5, 0x7f
	v_cmp_lt_u32_e32 vcc_lo, 0x7f800000, v6
	s_delay_alu instid0(VALU_DEP_2)
	v_cndmask_b32_e32 v5, 0x7c, v5, vcc_lo
; %bb.352:
	s_or_b32 exec_lo, exec_lo, s43
	v_lshrrev_b32_e32 v4, 24, v4
	s_delay_alu instid0(VALU_DEP_1)
	v_and_or_b32 v4, 0x80, v4, v5
	global_store_b8 v[2:3], v4, off
.LBB39_353:
	s_mov_b32 s44, 0
	s_mov_b32 s43, -1
.LBB39_354:
	s_and_not1_b32 vcc_lo, exec_lo, s44
	s_cbranch_vccnz .LBB39_362
; %bb.355:
	s_cmp_gt_i32 s31, 14
	s_mov_b32 s44, -1
	s_cbranch_scc0 .LBB39_359
; %bb.356:
	s_cmp_eq_u32 s31, 15
	s_mov_b32 s0, -1
	s_cbranch_scc0 .LBB39_358
; %bb.357:
	s_wait_xcnt 0x0
	v_bfe_i32 v4, v1, 0, 8
	s_mov_b32 s43, -1
	s_mov_b32 s0, 0
	s_delay_alu instid0(VALU_DEP_1) | instskip(NEXT) | instid1(VALU_DEP_1)
	v_bfe_i32 v4, v4, 0, 16
	v_cvt_f32_i32_e32 v4, v4
	s_delay_alu instid0(VALU_DEP_1) | instskip(NEXT) | instid1(VALU_DEP_1)
	v_bfe_u32 v5, v4, 16, 1
	v_add3_u32 v4, v4, v5, 0x7fff
	global_store_d16_hi_b16 v[2:3], v4, off
.LBB39_358:
	s_mov_b32 s44, 0
.LBB39_359:
	s_delay_alu instid0(SALU_CYCLE_1)
	s_and_b32 vcc_lo, exec_lo, s44
	s_cbranch_vccz .LBB39_362
; %bb.360:
	s_cmp_eq_u32 s31, 11
	s_mov_b32 s0, -1
	s_cbranch_scc0 .LBB39_362
; %bb.361:
	s_wait_xcnt 0x0
	v_and_b32_e32 v4, 0xff, v1
	s_mov_b32 s0, 0
	s_mov_b32 s43, -1
	s_delay_alu instid0(VALU_DEP_1)
	v_cmp_ne_u16_e32 vcc_lo, 0, v4
	v_cndmask_b32_e64 v4, 0, 1, vcc_lo
	global_store_b8 v[2:3], v4, off
.LBB39_362:
	s_mov_b32 s31, 0
.LBB39_363:
	s_delay_alu instid0(SALU_CYCLE_1)
	s_and_b32 vcc_lo, exec_lo, s31
	s_cbranch_vccz .LBB39_402
; %bb.364:
	s_and_b32 s21, 0xffff, s21
	s_mov_b32 s31, -1
	s_cmp_lt_i32 s21, 5
	s_cbranch_scc1 .LBB39_385
; %bb.365:
	s_cmp_lt_i32 s21, 8
	s_cbranch_scc1 .LBB39_375
; %bb.366:
	;; [unrolled: 3-line block ×3, first 2 shown]
	s_cmp_gt_i32 s21, 9
	s_cbranch_scc0 .LBB39_369
; %bb.368:
	s_wait_xcnt 0x0
	v_bfe_i32 v4, v1, 0, 8
	v_mov_b32_e32 v6, 0
	s_mov_b32 s31, 0
	s_delay_alu instid0(VALU_DEP_2) | instskip(NEXT) | instid1(VALU_DEP_2)
	v_bfe_i32 v4, v4, 0, 16
	v_mov_b32_e32 v7, v6
	s_delay_alu instid0(VALU_DEP_2)
	v_cvt_f64_i32_e32 v[4:5], v4
	global_store_b128 v[2:3], v[4:7], off
.LBB39_369:
	s_and_not1_b32 vcc_lo, exec_lo, s31
	s_cbranch_vccnz .LBB39_371
; %bb.370:
	s_wait_xcnt 0x0
	v_bfe_i32 v4, v1, 0, 8
	v_mov_b32_e32 v5, 0
	s_delay_alu instid0(VALU_DEP_2) | instskip(NEXT) | instid1(VALU_DEP_1)
	v_bfe_i32 v4, v4, 0, 16
	v_cvt_f32_i32_e32 v4, v4
	global_store_b64 v[2:3], v[4:5], off
.LBB39_371:
	s_mov_b32 s31, 0
.LBB39_372:
	s_delay_alu instid0(SALU_CYCLE_1)
	s_and_not1_b32 vcc_lo, exec_lo, s31
	s_cbranch_vccnz .LBB39_374
; %bb.373:
	s_wait_xcnt 0x0
	v_bfe_i32 v4, v1, 0, 8
	s_delay_alu instid0(VALU_DEP_1) | instskip(NEXT) | instid1(VALU_DEP_1)
	v_cvt_f16_i16_e32 v4, v4
	v_and_b32_e32 v4, 0xffff, v4
	global_store_b32 v[2:3], v4, off
.LBB39_374:
	s_mov_b32 s31, 0
.LBB39_375:
	s_delay_alu instid0(SALU_CYCLE_1)
	s_and_not1_b32 vcc_lo, exec_lo, s31
	s_cbranch_vccnz .LBB39_384
; %bb.376:
	s_cmp_lt_i32 s21, 6
	s_mov_b32 s31, -1
	s_cbranch_scc1 .LBB39_382
; %bb.377:
	s_cmp_gt_i32 s21, 6
	s_cbranch_scc0 .LBB39_379
; %bb.378:
	s_wait_xcnt 0x0
	v_bfe_i32 v4, v1, 0, 8
	s_mov_b32 s31, 0
	s_delay_alu instid0(VALU_DEP_1) | instskip(NEXT) | instid1(VALU_DEP_1)
	v_bfe_i32 v4, v4, 0, 16
	v_cvt_f64_i32_e32 v[4:5], v4
	global_store_b64 v[2:3], v[4:5], off
.LBB39_379:
	s_and_not1_b32 vcc_lo, exec_lo, s31
	s_cbranch_vccnz .LBB39_381
; %bb.380:
	s_wait_xcnt 0x0
	v_bfe_i32 v4, v1, 0, 8
	s_delay_alu instid0(VALU_DEP_1) | instskip(NEXT) | instid1(VALU_DEP_1)
	v_bfe_i32 v4, v4, 0, 16
	v_cvt_f32_i32_e32 v4, v4
	global_store_b32 v[2:3], v4, off
.LBB39_381:
	s_mov_b32 s31, 0
.LBB39_382:
	s_delay_alu instid0(SALU_CYCLE_1)
	s_and_not1_b32 vcc_lo, exec_lo, s31
	s_cbranch_vccnz .LBB39_384
; %bb.383:
	s_wait_xcnt 0x0
	v_bfe_i32 v4, v1, 0, 8
	s_delay_alu instid0(VALU_DEP_1)
	v_cvt_f16_i16_e32 v4, v4
	global_store_b16 v[2:3], v4, off
.LBB39_384:
	s_mov_b32 s31, 0
.LBB39_385:
	s_delay_alu instid0(SALU_CYCLE_1)
	s_and_not1_b32 vcc_lo, exec_lo, s31
	s_cbranch_vccnz .LBB39_401
; %bb.386:
	s_cmp_lt_i32 s21, 2
	s_mov_b32 s31, -1
	s_cbranch_scc1 .LBB39_396
; %bb.387:
	s_cmp_lt_i32 s21, 3
	s_cbranch_scc1 .LBB39_393
; %bb.388:
	s_cmp_gt_i32 s21, 3
	s_cbranch_scc0 .LBB39_390
; %bb.389:
	s_wait_xcnt 0x0
	v_bfe_i32 v4, v1, 0, 8
	s_mov_b32 s31, 0
	s_delay_alu instid0(VALU_DEP_1)
	v_ashrrev_i32_e32 v5, 31, v4
	global_store_b64 v[2:3], v[4:5], off
.LBB39_390:
	s_and_not1_b32 vcc_lo, exec_lo, s31
	s_cbranch_vccnz .LBB39_392
; %bb.391:
	s_wait_xcnt 0x0
	v_bfe_i32 v4, v1, 0, 8
	global_store_b32 v[2:3], v4, off
.LBB39_392:
	s_mov_b32 s31, 0
.LBB39_393:
	s_delay_alu instid0(SALU_CYCLE_1)
	s_and_not1_b32 vcc_lo, exec_lo, s31
	s_cbranch_vccnz .LBB39_395
; %bb.394:
	s_wait_xcnt 0x0
	v_bfe_i32 v4, v1, 0, 8
	global_store_b16 v[2:3], v4, off
.LBB39_395:
	s_mov_b32 s31, 0
.LBB39_396:
	s_delay_alu instid0(SALU_CYCLE_1)
	s_and_not1_b32 vcc_lo, exec_lo, s31
	s_cbranch_vccnz .LBB39_401
; %bb.397:
	s_cmp_gt_i32 s21, 0
	s_mov_b32 s21, -1
	s_cbranch_scc0 .LBB39_399
; %bb.398:
	s_mov_b32 s21, 0
	global_store_b8 v[2:3], v1, off
.LBB39_399:
	s_and_not1_b32 vcc_lo, exec_lo, s21
	s_cbranch_vccnz .LBB39_401
; %bb.400:
	global_store_b8 v[2:3], v1, off
.LBB39_401:
	s_mov_b32 s43, -1
.LBB39_402:
	s_delay_alu instid0(SALU_CYCLE_1)
	s_and_not1_b32 vcc_lo, exec_lo, s43
	s_cbranch_vccnz .LBB39_38
; %bb.403:
	v_add_nc_u32_e32 v0, 0x80, v0
	s_mov_b32 s31, -1
.LBB39_404:
	s_and_b32 s21, s0, exec_lo
	s_and_b32 s43, s30, exec_lo
	;; [unrolled: 1-line block ×4, first 2 shown]
	s_or_not1_b32 s28, s31, exec_lo
.LBB39_405:
	s_wait_xcnt 0x0
	s_or_b32 exec_lo, exec_lo, s46
                                        ; implicit-def: $vgpr4
                                        ; implicit-def: $vgpr8
                                        ; implicit-def: $vgpr2
	s_and_saveexec_b32 s46, s28
	s_cbranch_execz .LBB39_1267
; %bb.406:
	s_mov_b32 s28, -1
	s_mov_b32 s47, s45
	s_mov_b32 s50, s44
	;; [unrolled: 1-line block ×4, first 2 shown]
	s_mov_b32 s51, exec_lo
	v_cmpx_gt_i32_e64 s41, v0
	s_cbranch_execz .LBB39_816
; %bb.407:
	s_and_not1_b32 vcc_lo, exec_lo, s35
	s_cbranch_vccnz .LBB39_413
; %bb.408:
	s_and_not1_b32 vcc_lo, exec_lo, s42
	s_cbranch_vccnz .LBB39_414
; %bb.409:
	v_dual_mov_b32 v2, 0 :: v_dual_mov_b32 v1, v0
	s_wait_loadcnt 0x0
	v_dual_mov_b32 v4, 0 :: v_dual_mov_b32 v6, 0
	s_add_co_i32 s0, s40, 1
	s_mov_b64 s[28:29], 0xffffffffffffffe0
	s_and_b32 s0, s0, 30
	s_add_nc_u64 s[28:29], s[2:3], s[28:29]
	s_mov_b64 s[30:31], s[2:3]
.LBB39_410:                             ; =>This Inner Loop Header: Depth=1
	s_clause 0x1
	s_load_b128 s[52:55], s[30:31], 0x4
	s_load_b64 s[56:57], s[30:31], 0x14
	s_clause 0x1
	s_load_b32 s47, s[28:29], 0xe4
	s_load_b96 s[48:50], s[28:29], 0xec
	s_add_co_i32 s0, s0, -2
	s_wait_xcnt 0x0
	s_add_nc_u64 s[30:31], s[30:31], 24
	s_cmp_eq_u32 s0, 0
	s_wait_kmcnt 0x0
	v_mul_hi_u32 v3, s53, v1
	s_delay_alu instid0(VALU_DEP_1) | instskip(NEXT) | instid1(VALU_DEP_1)
	v_add_nc_u32_e32 v3, v1, v3
	v_lshrrev_b32_e32 v3, s54, v3
	s_delay_alu instid0(VALU_DEP_1) | instskip(SKIP_4) | instid1(VALU_DEP_1)
	v_mul_hi_u32 v5, s56, v3
	v_mul_lo_u32 v7, v3, s52
	s_load_b64 s[52:53], s[28:29], 0xfc
	s_wait_xcnt 0x0
	s_add_nc_u64 s[28:29], s[28:29], 32
	v_dual_add_nc_u32 v5, v3, v5 :: v_dual_sub_nc_u32 v7, v1, v7
	s_delay_alu instid0(VALU_DEP_1) | instskip(NEXT) | instid1(VALU_DEP_2)
	v_lshrrev_b32_e32 v1, s57, v5
	v_mad_u32 v2, v7, s47, v2
	v_mad_u32 v6, v7, s49, v6
	;; [unrolled: 1-line block ×3, first 2 shown]
	s_delay_alu instid0(VALU_DEP_4) | instskip(NEXT) | instid1(VALU_DEP_1)
	v_mul_lo_u32 v5, v1, s55
	v_sub_nc_u32_e32 v3, v3, v5
	s_delay_alu instid0(VALU_DEP_1)
	v_mad_u32 v2, v3, s50, v2
	s_wait_kmcnt 0x0
	v_mad_u32 v6, v3, s53, v6
	v_mad_u32 v4, v3, s52, v4
	s_cbranch_scc0 .LBB39_410
; %bb.411:
	s_bitcmp1_b32 s40, 0
	s_cselect_b32 s0, -1, 0
	s_delay_alu instid0(SALU_CYCLE_1)
	s_and_b32 vcc_lo, exec_lo, s0
	s_cbranch_vccnz .LBB39_415
; %bb.412:
	s_load_b96 s[48:50], s[30:31], 0x4
	s_load_b32 s0, s[28:29], 0xe4
	s_wait_xcnt 0x0
	s_load_b64 s[30:31], s[28:29], 0xec
	s_wait_kmcnt 0x0
	v_mul_hi_u32 v3, s49, v1
	s_delay_alu instid0(VALU_DEP_1) | instskip(NEXT) | instid1(VALU_DEP_1)
	v_add_nc_u32_e32 v3, v1, v3
	v_lshrrev_b32_e32 v3, s50, v3
	s_delay_alu instid0(VALU_DEP_1) | instskip(NEXT) | instid1(VALU_DEP_1)
	v_mul_lo_u32 v3, v3, s48
	v_sub_nc_u32_e32 v1, v1, v3
	s_delay_alu instid0(VALU_DEP_1)
	v_mad_u32 v2, v1, s0, v2
	v_mad_u32 v4, v1, s30, v4
	;; [unrolled: 1-line block ×3, first 2 shown]
	s_branch .LBB39_415
.LBB39_413:
                                        ; implicit-def: $vgpr6
                                        ; implicit-def: $vgpr4
                                        ; implicit-def: $vgpr2
	s_branch .LBB39_416
.LBB39_414:
	s_wait_loadcnt 0x0
	v_dual_mov_b32 v6, 0 :: v_dual_mov_b32 v4, 0
	v_mov_b32_e32 v2, 0
.LBB39_415:
	s_cbranch_execnz .LBB39_418
.LBB39_416:
	v_mov_b32_e32 v1, 0
	s_and_not1_b32 vcc_lo, exec_lo, s39
	s_delay_alu instid0(VALU_DEP_1) | instskip(NEXT) | instid1(VALU_DEP_1)
	v_mul_u64_e32 v[2:3], s[22:23], v[0:1]
	v_add_nc_u32_e32 v2, v0, v3
	s_wait_loadcnt 0x0
	s_delay_alu instid0(VALU_DEP_1) | instskip(NEXT) | instid1(VALU_DEP_1)
	v_lshrrev_b32_e32 v8, s10, v2
	v_mul_lo_u32 v2, v8, s8
	s_delay_alu instid0(VALU_DEP_1) | instskip(NEXT) | instid1(VALU_DEP_1)
	v_sub_nc_u32_e32 v3, v0, v2
	v_mul_lo_u32 v2, v3, s38
	v_mul_lo_u32 v6, v3, s13
	;; [unrolled: 1-line block ×3, first 2 shown]
	s_cbranch_vccnz .LBB39_418
; %bb.417:
	v_mov_b32_e32 v9, v1
	s_delay_alu instid0(VALU_DEP_1) | instskip(NEXT) | instid1(VALU_DEP_1)
	v_mul_u64_e32 v[10:11], s[26:27], v[8:9]
	v_add_nc_u32_e32 v1, v8, v11
	s_delay_alu instid0(VALU_DEP_1) | instskip(NEXT) | instid1(VALU_DEP_1)
	v_lshrrev_b32_e32 v1, s1, v1
	v_mul_lo_u32 v1, v1, s11
	s_delay_alu instid0(VALU_DEP_1) | instskip(NEXT) | instid1(VALU_DEP_1)
	v_sub_nc_u32_e32 v1, v8, v1
	v_mad_u32 v2, v1, s14, v2
	v_mad_u32 v4, v1, s24, v4
	;; [unrolled: 1-line block ×3, first 2 shown]
.LBB39_418:
	s_and_b32 s28, s37, 0xff
	s_delay_alu instid0(SALU_CYCLE_1)
	s_cmp_lt_i32 s28, 23
	s_cbranch_scc1 .LBB39_422
; %bb.419:
	s_and_b32 s30, 0xffff, s28
	s_delay_alu instid0(SALU_CYCLE_1)
	s_cmp_gt_i32 s30, 43
	s_cbranch_scc0 .LBB39_423
; %bb.420:
	s_cmp_gt_i32 s30, 45
	s_cbranch_scc0 .LBB39_424
; %bb.421:
	s_cmp_eq_u32 s30, 46
	s_mov_b32 s31, 0
	s_cselect_b32 s0, -1, 0
	s_or_b32 s29, s45, exec_lo
	s_branch .LBB39_425
.LBB39_422:
	s_mov_b32 s0, 0
	s_mov_b32 s29, s45
	s_cbranch_execnz .LBB39_431
	s_branch .LBB39_435
.LBB39_423:
	s_mov_b32 s31, -1
	s_mov_b32 s0, 0
	s_mov_b32 s29, s45
	s_branch .LBB39_428
.LBB39_424:
	s_mov_b32 s31, -1
	s_mov_b32 s0, 0
	s_mov_b32 s29, s45
.LBB39_425:
	s_and_not1_b32 vcc_lo, exec_lo, s31
	s_cbranch_vccnz .LBB39_427
; %bb.426:
	s_cmp_eq_u32 s30, 44
	s_cselect_b32 s0, -1, 0
	s_cmp_lg_u32 s30, 44
	s_cselect_b32 s31, -1, 0
	s_and_not1_b32 s29, s29, exec_lo
	s_and_b32 s31, s31, exec_lo
	s_delay_alu instid0(SALU_CYCLE_1)
	s_or_b32 s29, s29, s31
.LBB39_427:
	s_mov_b32 s31, 0
.LBB39_428:
	s_delay_alu instid0(SALU_CYCLE_1)
	s_and_b32 vcc_lo, exec_lo, s31
	s_cbranch_vccz .LBB39_430
; %bb.429:
	s_cmp_lt_i32 s30, 30
	s_cselect_b32 s0, -1, 0
	s_cmp_gt_i32 s30, 29
	s_cselect_b32 s30, -1, 0
	s_and_not1_b32 s29, s29, exec_lo
	s_and_b32 s30, s30, exec_lo
	s_delay_alu instid0(SALU_CYCLE_1)
	s_or_b32 s29, s29, s30
.LBB39_430:
	s_branch .LBB39_435
.LBB39_431:
	s_and_b32 s28, 0xffff, s28
	s_mov_b32 s30, -1
	s_cmp_gt_i32 s28, 14
	s_cbranch_scc0 .LBB39_433
; %bb.432:
	s_cmp_eq_u32 s28, 15
	s_cselect_b32 s0, -1, 0
	s_cmp_lg_u32 s28, 15
	s_cselect_b32 s30, -1, 0
	s_and_not1_b32 s29, s29, exec_lo
	s_and_b32 s31, s30, exec_lo
	s_mov_b32 s30, 0
	s_or_b32 s29, s29, s31
.LBB39_433:
	s_and_not1_b32 vcc_lo, exec_lo, s30
	s_cbranch_vccnz .LBB39_435
; %bb.434:
	s_cmp_lt_i32 s28, 12
	s_cselect_b32 s0, -1, 0
	s_cmp_gt_i32 s28, 11
	s_cselect_b32 s28, -1, 0
	s_and_not1_b32 s29, s29, exec_lo
	s_and_b32 s28, s28, exec_lo
	s_delay_alu instid0(SALU_CYCLE_1)
	s_or_b32 s29, s29, s28
.LBB39_435:
	s_and_b32 vcc_lo, exec_lo, s0
	s_cbranch_vccz .LBB39_443
; %bb.436:
	s_wait_loadcnt 0x0
	v_mov_b32_e32 v5, 0
	s_and_b32 s0, s20, 0xff
	s_delay_alu instid0(SALU_CYCLE_1) | instskip(NEXT) | instid1(VALU_DEP_1)
	s_cmp_lt_i32 s0, 11
	v_add_nc_u64_e32 v[8:9], s[4:5], v[4:5]
	s_cbranch_scc1 .LBB39_445
; %bb.437:
	s_and_b32 s29, 0xffff, s0
	s_delay_alu instid0(SALU_CYCLE_1)
	s_cmp_gt_i32 s29, 25
	s_cbranch_scc0 .LBB39_446
; %bb.438:
	s_cmp_gt_i32 s29, 28
	s_cbranch_scc0 .LBB39_447
; %bb.439:
	;; [unrolled: 3-line block ×4, first 2 shown]
	s_cmp_eq_u32 s29, 46
	s_mov_b32 s31, 0
	s_cbranch_scc0 .LBB39_452
; %bb.442:
	global_load_b32 v1, v[8:9], off
	s_mov_b32 s30, -1
	s_mov_b32 s28, 0
	s_wait_loadcnt 0x0
	v_lshlrev_b32_e32 v1, 16, v1
	s_delay_alu instid0(VALU_DEP_1)
	v_cvt_i32_f32_e32 v4, v1
	s_branch .LBB39_454
.LBB39_443:
	s_mov_b32 s31, 0
	s_mov_b32 s0, s21
	;; [unrolled: 1-line block ×4, first 2 shown]
.LBB39_444:
                                        ; implicit-def: $vgpr0
	s_branch .LBB39_815
.LBB39_445:
	s_mov_b32 s29, -1
	s_mov_b32 s30, 0
	s_mov_b32 s28, s44
                                        ; implicit-def: $vgpr4
	s_branch .LBB39_515
.LBB39_446:
	s_mov_b32 s31, -1
	s_mov_b32 s30, 0
	s_mov_b32 s28, s44
                                        ; implicit-def: $vgpr4
	s_branch .LBB39_481
.LBB39_447:
	s_mov_b32 s31, -1
	s_mov_b32 s30, 0
	s_mov_b32 s28, s44
                                        ; implicit-def: $vgpr4
	s_branch .LBB39_464
.LBB39_448:
	s_mov_b32 s31, -1
	s_mov_b32 s30, 0
	s_mov_b32 s28, s44
                                        ; implicit-def: $vgpr4
	s_branch .LBB39_459
.LBB39_449:
	s_mov_b32 s31, -1
	s_mov_b32 s30, 0
	s_mov_b32 s28, s44
	s_branch .LBB39_453
.LBB39_450:
	s_and_not1_saveexec_b32 s45, s45
	s_cbranch_execz .LBB39_315
.LBB39_451:
	v_add_f32_e64 v5, 0x46000000, |v4|
	s_and_not1_b32 s44, s44, exec_lo
	s_delay_alu instid0(VALU_DEP_1) | instskip(NEXT) | instid1(VALU_DEP_1)
	v_and_b32_e32 v5, 0xff, v5
	v_cmp_ne_u32_e32 vcc_lo, 0, v5
	s_and_b32 s47, vcc_lo, exec_lo
	s_delay_alu instid0(SALU_CYCLE_1)
	s_or_b32 s44, s44, s47
	s_or_b32 exec_lo, exec_lo, s45
	v_mov_b32_e32 v6, 0
	s_and_saveexec_b32 s45, s44
	s_cbranch_execnz .LBB39_316
	s_branch .LBB39_317
.LBB39_452:
	s_mov_b32 s28, -1
	s_mov_b32 s30, 0
.LBB39_453:
                                        ; implicit-def: $vgpr4
.LBB39_454:
	s_and_b32 vcc_lo, exec_lo, s31
	s_cbranch_vccz .LBB39_458
; %bb.455:
	s_cmp_eq_u32 s29, 44
	s_cbranch_scc0 .LBB39_457
; %bb.456:
	global_load_u8 v1, v[8:9], off
	s_mov_b32 s28, 0
	s_mov_b32 s30, -1
	s_wait_loadcnt 0x0
	v_lshlrev_b32_e32 v3, 23, v1
	v_cmp_ne_u32_e32 vcc_lo, 0, v1
	s_delay_alu instid0(VALU_DEP_2) | instskip(NEXT) | instid1(VALU_DEP_1)
	v_cvt_i32_f32_e32 v3, v3
	v_cndmask_b32_e32 v4, 0, v3, vcc_lo
	s_branch .LBB39_458
.LBB39_457:
	s_mov_b32 s28, -1
                                        ; implicit-def: $vgpr4
.LBB39_458:
	s_mov_b32 s31, 0
.LBB39_459:
	s_delay_alu instid0(SALU_CYCLE_1)
	s_and_b32 vcc_lo, exec_lo, s31
	s_cbranch_vccz .LBB39_463
; %bb.460:
	s_cmp_eq_u32 s29, 29
	s_cbranch_scc0 .LBB39_462
; %bb.461:
	global_load_b64 v[4:5], v[8:9], off
	s_mov_b32 s30, -1
	s_mov_b32 s28, 0
	s_branch .LBB39_463
.LBB39_462:
	s_mov_b32 s28, -1
                                        ; implicit-def: $vgpr4
.LBB39_463:
	s_mov_b32 s31, 0
.LBB39_464:
	s_delay_alu instid0(SALU_CYCLE_1)
	s_and_b32 vcc_lo, exec_lo, s31
	s_cbranch_vccz .LBB39_480
; %bb.465:
	s_cmp_lt_i32 s29, 27
	s_cbranch_scc1 .LBB39_468
; %bb.466:
	s_cmp_gt_i32 s29, 27
	s_cbranch_scc0 .LBB39_469
; %bb.467:
	s_wait_loadcnt 0x0
	global_load_b32 v4, v[8:9], off
	s_mov_b32 s30, 0
	s_branch .LBB39_470
.LBB39_468:
	s_mov_b32 s30, -1
                                        ; implicit-def: $vgpr4
	s_branch .LBB39_473
.LBB39_469:
	s_mov_b32 s30, -1
                                        ; implicit-def: $vgpr4
.LBB39_470:
	s_delay_alu instid0(SALU_CYCLE_1)
	s_and_not1_b32 vcc_lo, exec_lo, s30
	s_cbranch_vccnz .LBB39_472
; %bb.471:
	s_wait_loadcnt 0x0
	global_load_u16 v4, v[8:9], off
.LBB39_472:
	s_mov_b32 s30, 0
.LBB39_473:
	s_delay_alu instid0(SALU_CYCLE_1)
	s_and_not1_b32 vcc_lo, exec_lo, s30
	s_cbranch_vccnz .LBB39_479
; %bb.474:
	global_load_u8 v1, v[8:9], off
	s_mov_b32 s31, 0
	s_mov_b32 s30, exec_lo
	s_wait_loadcnt 0x0
	v_cmpx_lt_i16_e32 0x7f, v1
	s_xor_b32 s30, exec_lo, s30
	s_cbranch_execz .LBB39_491
; %bb.475:
	v_cmp_ne_u16_e32 vcc_lo, 0x80, v1
	s_and_b32 s31, vcc_lo, exec_lo
	s_and_not1_saveexec_b32 s30, s30
	s_cbranch_execnz .LBB39_492
.LBB39_476:
	s_or_b32 exec_lo, exec_lo, s30
	v_mov_b32_e32 v4, 0
	s_and_saveexec_b32 s30, s31
	s_cbranch_execz .LBB39_478
.LBB39_477:
	v_and_b32_e32 v3, 0xffff, v1
	s_delay_alu instid0(VALU_DEP_1) | instskip(SKIP_1) | instid1(VALU_DEP_2)
	v_and_b32_e32 v4, 7, v3
	v_bfe_u32 v10, v3, 3, 4
	v_clz_i32_u32_e32 v5, v4
	s_delay_alu instid0(VALU_DEP_2) | instskip(NEXT) | instid1(VALU_DEP_2)
	v_cmp_eq_u32_e32 vcc_lo, 0, v10
	v_min_u32_e32 v5, 32, v5
	s_delay_alu instid0(VALU_DEP_1) | instskip(NEXT) | instid1(VALU_DEP_1)
	v_subrev_nc_u32_e32 v7, 28, v5
	v_dual_lshlrev_b32 v3, v7, v3 :: v_dual_sub_nc_u32 v5, 29, v5
	s_delay_alu instid0(VALU_DEP_1) | instskip(NEXT) | instid1(VALU_DEP_1)
	v_dual_lshlrev_b32 v1, 24, v1 :: v_dual_bitop2_b32 v3, 7, v3 bitop3:0x40
	v_dual_cndmask_b32 v3, v4, v3, vcc_lo :: v_dual_cndmask_b32 v5, v10, v5, vcc_lo
	s_delay_alu instid0(VALU_DEP_2) | instskip(NEXT) | instid1(VALU_DEP_2)
	v_and_b32_e32 v1, 0x80000000, v1
	v_lshlrev_b32_e32 v3, 20, v3
	s_delay_alu instid0(VALU_DEP_3) | instskip(NEXT) | instid1(VALU_DEP_1)
	v_lshl_add_u32 v4, v5, 23, 0x3b800000
	v_or3_b32 v1, v1, v4, v3
	s_delay_alu instid0(VALU_DEP_1)
	v_cvt_i32_f32_e32 v4, v1
.LBB39_478:
	s_or_b32 exec_lo, exec_lo, s30
.LBB39_479:
	s_mov_b32 s30, -1
.LBB39_480:
	s_mov_b32 s31, 0
.LBB39_481:
	s_delay_alu instid0(SALU_CYCLE_1)
	s_and_b32 vcc_lo, exec_lo, s31
	s_cbranch_vccz .LBB39_514
; %bb.482:
	s_cmp_gt_i32 s29, 22
	s_cbranch_scc0 .LBB39_490
; %bb.483:
	s_cmp_lt_i32 s29, 24
	s_cbranch_scc1 .LBB39_493
; %bb.484:
	s_cmp_gt_i32 s29, 24
	s_cbranch_scc0 .LBB39_494
; %bb.485:
	global_load_u8 v1, v[8:9], off
	s_mov_b32 s31, 0
	s_mov_b32 s30, exec_lo
	s_wait_loadcnt 0x0
	v_cmpx_lt_i16_e32 0x7f, v1
	s_xor_b32 s30, exec_lo, s30
	s_cbranch_execz .LBB39_506
; %bb.486:
	v_cmp_ne_u16_e32 vcc_lo, 0x80, v1
	s_and_b32 s31, vcc_lo, exec_lo
	s_and_not1_saveexec_b32 s30, s30
	s_cbranch_execnz .LBB39_507
.LBB39_487:
	s_or_b32 exec_lo, exec_lo, s30
	v_mov_b32_e32 v4, 0
	s_and_saveexec_b32 s30, s31
	s_cbranch_execz .LBB39_489
.LBB39_488:
	v_and_b32_e32 v3, 0xffff, v1
	s_delay_alu instid0(VALU_DEP_1) | instskip(SKIP_1) | instid1(VALU_DEP_2)
	v_and_b32_e32 v4, 3, v3
	v_bfe_u32 v10, v3, 2, 5
	v_clz_i32_u32_e32 v5, v4
	s_delay_alu instid0(VALU_DEP_2) | instskip(NEXT) | instid1(VALU_DEP_2)
	v_cmp_eq_u32_e32 vcc_lo, 0, v10
	v_min_u32_e32 v5, 32, v5
	s_delay_alu instid0(VALU_DEP_1) | instskip(NEXT) | instid1(VALU_DEP_1)
	v_subrev_nc_u32_e32 v7, 29, v5
	v_dual_lshlrev_b32 v3, v7, v3 :: v_dual_sub_nc_u32 v5, 30, v5
	s_delay_alu instid0(VALU_DEP_1) | instskip(NEXT) | instid1(VALU_DEP_1)
	v_dual_lshlrev_b32 v1, 24, v1 :: v_dual_bitop2_b32 v3, 3, v3 bitop3:0x40
	v_dual_cndmask_b32 v3, v4, v3, vcc_lo :: v_dual_cndmask_b32 v5, v10, v5, vcc_lo
	s_delay_alu instid0(VALU_DEP_2) | instskip(NEXT) | instid1(VALU_DEP_2)
	v_and_b32_e32 v1, 0x80000000, v1
	v_lshlrev_b32_e32 v3, 21, v3
	s_delay_alu instid0(VALU_DEP_3) | instskip(NEXT) | instid1(VALU_DEP_1)
	v_lshl_add_u32 v4, v5, 23, 0x37800000
	v_or3_b32 v1, v1, v4, v3
	s_delay_alu instid0(VALU_DEP_1)
	v_cvt_i32_f32_e32 v4, v1
.LBB39_489:
	s_or_b32 exec_lo, exec_lo, s30
	s_mov_b32 s30, 0
	s_branch .LBB39_495
.LBB39_490:
	s_mov_b32 s31, -1
                                        ; implicit-def: $vgpr4
	s_branch .LBB39_501
.LBB39_491:
	s_and_not1_saveexec_b32 s30, s30
	s_cbranch_execz .LBB39_476
.LBB39_492:
	v_cmp_ne_u16_e32 vcc_lo, 0, v1
	s_and_not1_b32 s31, s31, exec_lo
	s_and_b32 s47, vcc_lo, exec_lo
	s_delay_alu instid0(SALU_CYCLE_1)
	s_or_b32 s31, s31, s47
	s_or_b32 exec_lo, exec_lo, s30
	v_mov_b32_e32 v4, 0
	s_and_saveexec_b32 s30, s31
	s_cbranch_execnz .LBB39_477
	s_branch .LBB39_478
.LBB39_493:
	s_mov_b32 s30, -1
                                        ; implicit-def: $vgpr4
	s_branch .LBB39_498
.LBB39_494:
	s_mov_b32 s30, -1
                                        ; implicit-def: $vgpr4
.LBB39_495:
	s_delay_alu instid0(SALU_CYCLE_1)
	s_and_b32 vcc_lo, exec_lo, s30
	s_cbranch_vccz .LBB39_497
; %bb.496:
	global_load_u8 v1, v[8:9], off
	s_wait_loadcnt 0x0
	v_lshlrev_b32_e32 v1, 24, v1
	s_delay_alu instid0(VALU_DEP_1) | instskip(NEXT) | instid1(VALU_DEP_1)
	v_and_b32_e32 v3, 0x7f000000, v1
	v_clz_i32_u32_e32 v4, v3
	v_add_nc_u32_e32 v7, 0x1000000, v3
	v_cmp_ne_u32_e32 vcc_lo, 0, v3
	s_delay_alu instid0(VALU_DEP_3) | instskip(NEXT) | instid1(VALU_DEP_1)
	v_min_u32_e32 v4, 32, v4
	v_sub_nc_u32_e64 v4, v4, 4 clamp
	s_delay_alu instid0(VALU_DEP_1) | instskip(NEXT) | instid1(VALU_DEP_1)
	v_dual_lshlrev_b32 v5, v4, v3 :: v_dual_lshlrev_b32 v4, 23, v4
	v_lshrrev_b32_e32 v5, 4, v5
	s_delay_alu instid0(VALU_DEP_1) | instskip(NEXT) | instid1(VALU_DEP_1)
	v_dual_sub_nc_u32 v4, v5, v4 :: v_dual_ashrrev_i32 v5, 8, v7
	v_add_nc_u32_e32 v4, 0x3c000000, v4
	s_delay_alu instid0(VALU_DEP_1) | instskip(NEXT) | instid1(VALU_DEP_1)
	v_and_or_b32 v4, 0x7f800000, v5, v4
	v_cndmask_b32_e32 v3, 0, v4, vcc_lo
	s_delay_alu instid0(VALU_DEP_1) | instskip(NEXT) | instid1(VALU_DEP_1)
	v_and_or_b32 v1, 0x80000000, v1, v3
	v_cvt_i32_f32_e32 v4, v1
.LBB39_497:
	s_mov_b32 s30, 0
.LBB39_498:
	s_delay_alu instid0(SALU_CYCLE_1)
	s_and_not1_b32 vcc_lo, exec_lo, s30
	s_cbranch_vccnz .LBB39_500
; %bb.499:
	global_load_u8 v1, v[8:9], off
	s_wait_loadcnt 0x0
	v_lshlrev_b32_e32 v3, 25, v1
	v_lshlrev_b16 v1, 8, v1
	s_delay_alu instid0(VALU_DEP_1) | instskip(NEXT) | instid1(VALU_DEP_3)
	v_and_or_b32 v5, 0x7f00, v1, 0.5
	v_lshrrev_b32_e32 v4, 4, v3
	v_bfe_i32 v1, v1, 0, 16
	s_delay_alu instid0(VALU_DEP_3) | instskip(NEXT) | instid1(VALU_DEP_3)
	v_add_f32_e32 v5, -0.5, v5
	v_or_b32_e32 v4, 0x70000000, v4
	s_delay_alu instid0(VALU_DEP_1) | instskip(SKIP_1) | instid1(VALU_DEP_2)
	v_mul_f32_e32 v4, 0x7800000, v4
	v_cmp_gt_u32_e32 vcc_lo, 0x8000000, v3
	v_cndmask_b32_e32 v3, v4, v5, vcc_lo
	s_delay_alu instid0(VALU_DEP_1) | instskip(NEXT) | instid1(VALU_DEP_1)
	v_and_or_b32 v1, 0x80000000, v1, v3
	v_cvt_i32_f32_e32 v4, v1
.LBB39_500:
	s_mov_b32 s31, 0
	s_mov_b32 s30, -1
.LBB39_501:
	s_and_not1_b32 vcc_lo, exec_lo, s31
	s_cbranch_vccnz .LBB39_514
; %bb.502:
	s_cmp_gt_i32 s29, 14
	s_cbranch_scc0 .LBB39_505
; %bb.503:
	s_cmp_eq_u32 s29, 15
	s_cbranch_scc0 .LBB39_508
; %bb.504:
	global_load_u16 v1, v[8:9], off
	s_mov_b32 s30, -1
	s_mov_b32 s28, 0
	s_wait_loadcnt 0x0
	v_lshlrev_b32_e32 v1, 16, v1
	s_delay_alu instid0(VALU_DEP_1)
	v_cvt_i32_f32_e32 v4, v1
	s_branch .LBB39_509
.LBB39_505:
	s_mov_b32 s31, -1
                                        ; implicit-def: $vgpr4
	s_branch .LBB39_510
.LBB39_506:
	s_and_not1_saveexec_b32 s30, s30
	s_cbranch_execz .LBB39_487
.LBB39_507:
	v_cmp_ne_u16_e32 vcc_lo, 0, v1
	s_and_not1_b32 s31, s31, exec_lo
	s_and_b32 s47, vcc_lo, exec_lo
	s_delay_alu instid0(SALU_CYCLE_1)
	s_or_b32 s31, s31, s47
	s_or_b32 exec_lo, exec_lo, s30
	v_mov_b32_e32 v4, 0
	s_and_saveexec_b32 s30, s31
	s_cbranch_execnz .LBB39_488
	s_branch .LBB39_489
.LBB39_508:
	s_mov_b32 s28, -1
                                        ; implicit-def: $vgpr4
.LBB39_509:
	s_mov_b32 s31, 0
.LBB39_510:
	s_delay_alu instid0(SALU_CYCLE_1)
	s_and_b32 vcc_lo, exec_lo, s31
	s_cbranch_vccz .LBB39_514
; %bb.511:
	s_cmp_eq_u32 s29, 11
	s_cbranch_scc0 .LBB39_513
; %bb.512:
	global_load_u8 v1, v[8:9], off
	s_mov_b32 s28, 0
	s_mov_b32 s30, -1
	s_wait_loadcnt 0x0
	v_cmp_ne_u16_e32 vcc_lo, 0, v1
	v_cndmask_b32_e64 v4, 0, 1, vcc_lo
	s_branch .LBB39_514
.LBB39_513:
	s_mov_b32 s28, -1
                                        ; implicit-def: $vgpr4
.LBB39_514:
	s_mov_b32 s29, 0
.LBB39_515:
	s_delay_alu instid0(SALU_CYCLE_1)
	s_and_b32 vcc_lo, exec_lo, s29
	s_cbranch_vccz .LBB39_564
; %bb.516:
	s_and_b32 s0, 0xffff, s0
	s_delay_alu instid0(SALU_CYCLE_1)
	s_cmp_lt_i32 s0, 5
	s_cbranch_scc1 .LBB39_521
; %bb.517:
	s_cmp_lt_i32 s0, 8
	s_cbranch_scc1 .LBB39_522
; %bb.518:
	;; [unrolled: 3-line block ×3, first 2 shown]
	s_cmp_gt_i32 s0, 9
	s_cbranch_scc0 .LBB39_524
; %bb.520:
	s_wait_loadcnt 0x0
	global_load_b64 v[4:5], v[8:9], off
	s_mov_b32 s29, 0
	s_wait_loadcnt 0x0
	v_cvt_i32_f64_e32 v4, v[4:5]
	s_branch .LBB39_525
.LBB39_521:
	s_mov_b32 s29, -1
                                        ; implicit-def: $vgpr4
	s_branch .LBB39_543
.LBB39_522:
	s_mov_b32 s29, -1
                                        ; implicit-def: $vgpr4
	s_branch .LBB39_531
.LBB39_523:
	s_mov_b32 s29, -1
                                        ; implicit-def: $vgpr4
	s_branch .LBB39_528
.LBB39_524:
	s_mov_b32 s29, -1
                                        ; implicit-def: $vgpr4
.LBB39_525:
	s_delay_alu instid0(SALU_CYCLE_1)
	s_and_not1_b32 vcc_lo, exec_lo, s29
	s_cbranch_vccnz .LBB39_527
; %bb.526:
	global_load_b32 v1, v[8:9], off
	s_wait_loadcnt 0x0
	v_cvt_i32_f32_e32 v4, v1
.LBB39_527:
	s_mov_b32 s29, 0
.LBB39_528:
	s_delay_alu instid0(SALU_CYCLE_1)
	s_and_not1_b32 vcc_lo, exec_lo, s29
	s_cbranch_vccnz .LBB39_530
; %bb.529:
	global_load_b32 v1, v[8:9], off
	s_wait_loadcnt 0x0
	v_cvt_i16_f16_e32 v4, v1
.LBB39_530:
	s_mov_b32 s29, 0
.LBB39_531:
	s_delay_alu instid0(SALU_CYCLE_1)
	s_and_not1_b32 vcc_lo, exec_lo, s29
	s_cbranch_vccnz .LBB39_542
; %bb.532:
	s_cmp_lt_i32 s0, 6
	s_cbranch_scc1 .LBB39_535
; %bb.533:
	s_cmp_gt_i32 s0, 6
	s_cbranch_scc0 .LBB39_536
; %bb.534:
	s_wait_loadcnt 0x0
	global_load_b64 v[4:5], v[8:9], off
	s_mov_b32 s29, 0
	s_wait_loadcnt 0x0
	v_cvt_i32_f64_e32 v4, v[4:5]
	s_branch .LBB39_537
.LBB39_535:
	s_mov_b32 s29, -1
                                        ; implicit-def: $vgpr4
	s_branch .LBB39_540
.LBB39_536:
	s_mov_b32 s29, -1
                                        ; implicit-def: $vgpr4
.LBB39_537:
	s_delay_alu instid0(SALU_CYCLE_1)
	s_and_not1_b32 vcc_lo, exec_lo, s29
	s_cbranch_vccnz .LBB39_539
; %bb.538:
	global_load_b32 v1, v[8:9], off
	s_wait_loadcnt 0x0
	v_cvt_i32_f32_e32 v4, v1
.LBB39_539:
	s_mov_b32 s29, 0
.LBB39_540:
	s_delay_alu instid0(SALU_CYCLE_1)
	s_and_not1_b32 vcc_lo, exec_lo, s29
	s_cbranch_vccnz .LBB39_542
; %bb.541:
	global_load_u16 v1, v[8:9], off
	s_wait_loadcnt 0x0
	v_cvt_i16_f16_e32 v4, v1
.LBB39_542:
	s_mov_b32 s29, 0
.LBB39_543:
	s_delay_alu instid0(SALU_CYCLE_1)
	s_and_not1_b32 vcc_lo, exec_lo, s29
	s_cbranch_vccnz .LBB39_563
; %bb.544:
	s_cmp_lt_i32 s0, 2
	s_cbranch_scc1 .LBB39_548
; %bb.545:
	s_cmp_lt_i32 s0, 3
	s_cbranch_scc1 .LBB39_549
; %bb.546:
	s_cmp_gt_i32 s0, 3
	s_cbranch_scc0 .LBB39_550
; %bb.547:
	s_wait_loadcnt 0x0
	global_load_b64 v[4:5], v[8:9], off
	s_mov_b32 s29, 0
	s_branch .LBB39_551
.LBB39_548:
	s_mov_b32 s29, -1
                                        ; implicit-def: $vgpr4
	s_branch .LBB39_557
.LBB39_549:
	s_mov_b32 s29, -1
                                        ; implicit-def: $vgpr4
	s_branch .LBB39_554
.LBB39_550:
	s_mov_b32 s29, -1
                                        ; implicit-def: $vgpr4
.LBB39_551:
	s_delay_alu instid0(SALU_CYCLE_1)
	s_and_not1_b32 vcc_lo, exec_lo, s29
	s_cbranch_vccnz .LBB39_553
; %bb.552:
	s_wait_loadcnt 0x0
	global_load_b32 v4, v[8:9], off
.LBB39_553:
	s_mov_b32 s29, 0
.LBB39_554:
	s_delay_alu instid0(SALU_CYCLE_1)
	s_and_not1_b32 vcc_lo, exec_lo, s29
	s_cbranch_vccnz .LBB39_556
; %bb.555:
	s_wait_loadcnt 0x0
	global_load_u16 v4, v[8:9], off
.LBB39_556:
	s_mov_b32 s29, 0
.LBB39_557:
	s_delay_alu instid0(SALU_CYCLE_1)
	s_and_not1_b32 vcc_lo, exec_lo, s29
	s_cbranch_vccnz .LBB39_563
; %bb.558:
	s_cmp_gt_i32 s0, 0
	s_mov_b32 s0, 0
	s_cbranch_scc0 .LBB39_560
; %bb.559:
	s_wait_loadcnt 0x0
	global_load_u8 v4, v[8:9], off
	s_branch .LBB39_561
.LBB39_560:
	s_mov_b32 s0, -1
                                        ; implicit-def: $vgpr4
.LBB39_561:
	s_delay_alu instid0(SALU_CYCLE_1)
	s_and_not1_b32 vcc_lo, exec_lo, s0
	s_cbranch_vccnz .LBB39_563
; %bb.562:
	s_wait_loadcnt 0x0
	global_load_u8 v4, v[8:9], off
.LBB39_563:
	s_mov_b32 s30, -1
.LBB39_564:
	s_mov_b32 s29, 0
	s_mov_b32 s0, s21
	s_and_not1_b32 vcc_lo, exec_lo, s30
	s_mov_b32 s30, s43
	s_mov_b32 s31, 0
	s_cbranch_vccnz .LBB39_815
; %bb.565:
	v_mov_b32_e32 v7, 0
	s_and_b32 s0, s17, 0xff
	s_delay_alu instid0(SALU_CYCLE_1) | instskip(NEXT) | instid1(VALU_DEP_1)
	s_cmp_lt_i32 s0, 11
	v_add_nc_u64_e32 v[6:7], s[6:7], v[6:7]
	s_cbranch_scc1 .LBB39_572
; %bb.566:
	s_and_b32 s31, 0xffff, s0
	s_delay_alu instid0(SALU_CYCLE_1)
	s_cmp_gt_i32 s31, 25
	s_cbranch_scc0 .LBB39_573
; %bb.567:
	s_cmp_gt_i32 s31, 28
	s_cbranch_scc0 .LBB39_574
; %bb.568:
	s_cmp_gt_i32 s31, 43
	s_cbranch_scc0 .LBB39_575
; %bb.569:
	s_cmp_gt_i32 s31, 45
	s_cbranch_scc0 .LBB39_576
; %bb.570:
	s_cmp_eq_u32 s31, 46
	s_mov_b32 s48, 0
	s_cbranch_scc0 .LBB39_579
; %bb.571:
	global_load_b32 v1, v[6:7], off
	s_mov_b32 s47, -1
	s_mov_b32 s30, 0
	s_wait_loadcnt 0x0
	v_lshlrev_b32_e32 v1, 16, v1
	s_wait_xcnt 0x1
	s_delay_alu instid0(VALU_DEP_1)
	v_cvt_i32_f32_e32 v8, v1
	s_branch .LBB39_581
.LBB39_572:
	s_mov_b32 s31, -1
	s_mov_b32 s47, 0
	s_mov_b32 s30, s43
                                        ; implicit-def: $vgpr8
	s_branch .LBB39_642
.LBB39_573:
	s_mov_b32 s48, -1
	s_mov_b32 s47, 0
	s_mov_b32 s30, s43
                                        ; implicit-def: $vgpr8
	s_branch .LBB39_608
.LBB39_574:
	s_mov_b32 s48, -1
	s_mov_b32 s47, 0
	s_mov_b32 s30, s43
                                        ; implicit-def: $vgpr8
	s_branch .LBB39_591
.LBB39_575:
	s_mov_b32 s48, -1
	s_mov_b32 s47, 0
	s_mov_b32 s30, s43
                                        ; implicit-def: $vgpr8
	s_branch .LBB39_586
.LBB39_576:
	s_mov_b32 s48, -1
	s_mov_b32 s47, 0
	s_mov_b32 s30, s43
	s_branch .LBB39_580
.LBB39_577:
	s_and_not1_saveexec_b32 s45, s45
	s_cbranch_execz .LBB39_328
.LBB39_578:
	v_add_f32_e64 v5, 0x42800000, |v4|
	s_and_not1_b32 s44, s44, exec_lo
	s_delay_alu instid0(VALU_DEP_1) | instskip(NEXT) | instid1(VALU_DEP_1)
	v_and_b32_e32 v5, 0xff, v5
	v_cmp_ne_u32_e32 vcc_lo, 0, v5
	s_and_b32 s47, vcc_lo, exec_lo
	s_delay_alu instid0(SALU_CYCLE_1)
	s_or_b32 s44, s44, s47
	s_or_b32 exec_lo, exec_lo, s45
	v_mov_b32_e32 v6, 0
	s_and_saveexec_b32 s45, s44
	s_cbranch_execnz .LBB39_329
	s_branch .LBB39_330
.LBB39_579:
	s_mov_b32 s30, -1
	s_mov_b32 s47, 0
.LBB39_580:
                                        ; implicit-def: $vgpr8
.LBB39_581:
	s_and_b32 vcc_lo, exec_lo, s48
	s_cbranch_vccz .LBB39_585
; %bb.582:
	s_cmp_eq_u32 s31, 44
	s_cbranch_scc0 .LBB39_584
; %bb.583:
	global_load_u8 v1, v[6:7], off
	s_mov_b32 s30, 0
	s_mov_b32 s47, -1
	s_wait_loadcnt 0x0
	v_lshlrev_b32_e32 v3, 23, v1
	v_cmp_ne_u32_e32 vcc_lo, 0, v1
	s_delay_alu instid0(VALU_DEP_2) | instskip(SKIP_1) | instid1(VALU_DEP_1)
	v_cvt_i32_f32_e32 v3, v3
	s_wait_xcnt 0x1
	v_cndmask_b32_e32 v8, 0, v3, vcc_lo
	s_branch .LBB39_585
.LBB39_584:
	s_mov_b32 s30, -1
                                        ; implicit-def: $vgpr8
.LBB39_585:
	s_mov_b32 s48, 0
.LBB39_586:
	s_delay_alu instid0(SALU_CYCLE_1)
	s_and_b32 vcc_lo, exec_lo, s48
	s_cbranch_vccz .LBB39_590
; %bb.587:
	s_cmp_eq_u32 s31, 29
	s_cbranch_scc0 .LBB39_589
; %bb.588:
	global_load_b64 v[8:9], v[6:7], off
	s_mov_b32 s47, -1
	s_mov_b32 s30, 0
	s_branch .LBB39_590
.LBB39_589:
	s_mov_b32 s30, -1
                                        ; implicit-def: $vgpr8
.LBB39_590:
	s_mov_b32 s48, 0
.LBB39_591:
	s_delay_alu instid0(SALU_CYCLE_1)
	s_and_b32 vcc_lo, exec_lo, s48
	s_cbranch_vccz .LBB39_607
; %bb.592:
	s_cmp_lt_i32 s31, 27
	s_cbranch_scc1 .LBB39_595
; %bb.593:
	s_cmp_gt_i32 s31, 27
	s_cbranch_scc0 .LBB39_596
; %bb.594:
	s_wait_loadcnt 0x0
	global_load_b32 v8, v[6:7], off
	s_mov_b32 s47, 0
	s_branch .LBB39_597
.LBB39_595:
	s_mov_b32 s47, -1
                                        ; implicit-def: $vgpr8
	s_branch .LBB39_600
.LBB39_596:
	s_mov_b32 s47, -1
                                        ; implicit-def: $vgpr8
.LBB39_597:
	s_delay_alu instid0(SALU_CYCLE_1)
	s_and_not1_b32 vcc_lo, exec_lo, s47
	s_cbranch_vccnz .LBB39_599
; %bb.598:
	s_wait_loadcnt 0x0
	global_load_u16 v8, v[6:7], off
.LBB39_599:
	s_mov_b32 s47, 0
.LBB39_600:
	s_delay_alu instid0(SALU_CYCLE_1)
	s_and_not1_b32 vcc_lo, exec_lo, s47
	s_cbranch_vccnz .LBB39_606
; %bb.601:
	global_load_u8 v1, v[6:7], off
	s_mov_b32 s48, 0
	s_mov_b32 s47, exec_lo
	s_wait_loadcnt 0x0
	v_cmpx_lt_i16_e32 0x7f, v1
	s_xor_b32 s47, exec_lo, s47
	s_cbranch_execz .LBB39_618
; %bb.602:
	v_cmp_ne_u16_e32 vcc_lo, 0x80, v1
	s_and_b32 s48, vcc_lo, exec_lo
	s_and_not1_saveexec_b32 s47, s47
	s_cbranch_execnz .LBB39_619
.LBB39_603:
	s_or_b32 exec_lo, exec_lo, s47
	v_mov_b32_e32 v8, 0
	s_and_saveexec_b32 s47, s48
	s_cbranch_execz .LBB39_605
.LBB39_604:
	v_and_b32_e32 v3, 0xffff, v1
	s_delay_alu instid0(VALU_DEP_1) | instskip(SKIP_1) | instid1(VALU_DEP_2)
	v_and_b32_e32 v5, 7, v3
	v_bfe_u32 v10, v3, 3, 4
	v_clz_i32_u32_e32 v8, v5
	s_delay_alu instid0(VALU_DEP_2) | instskip(NEXT) | instid1(VALU_DEP_2)
	v_cmp_eq_u32_e32 vcc_lo, 0, v10
	v_min_u32_e32 v8, 32, v8
	s_delay_alu instid0(VALU_DEP_1) | instskip(NEXT) | instid1(VALU_DEP_1)
	v_subrev_nc_u32_e32 v9, 28, v8
	v_dual_lshlrev_b32 v3, v9, v3 :: v_dual_sub_nc_u32 v8, 29, v8
	s_delay_alu instid0(VALU_DEP_1) | instskip(NEXT) | instid1(VALU_DEP_1)
	v_dual_lshlrev_b32 v1, 24, v1 :: v_dual_bitop2_b32 v3, 7, v3 bitop3:0x40
	v_dual_cndmask_b32 v8, v10, v8 :: v_dual_cndmask_b32 v3, v5, v3
	s_delay_alu instid0(VALU_DEP_2) | instskip(NEXT) | instid1(VALU_DEP_2)
	v_and_b32_e32 v1, 0x80000000, v1
	v_lshl_add_u32 v5, v8, 23, 0x3b800000
	s_delay_alu instid0(VALU_DEP_3) | instskip(NEXT) | instid1(VALU_DEP_1)
	v_lshlrev_b32_e32 v3, 20, v3
	v_or3_b32 v1, v1, v5, v3
	s_delay_alu instid0(VALU_DEP_1)
	v_cvt_i32_f32_e32 v8, v1
.LBB39_605:
	s_or_b32 exec_lo, exec_lo, s47
.LBB39_606:
	s_mov_b32 s47, -1
.LBB39_607:
	s_mov_b32 s48, 0
.LBB39_608:
	s_delay_alu instid0(SALU_CYCLE_1)
	s_and_b32 vcc_lo, exec_lo, s48
	s_cbranch_vccz .LBB39_641
; %bb.609:
	s_cmp_gt_i32 s31, 22
	s_cbranch_scc0 .LBB39_617
; %bb.610:
	s_cmp_lt_i32 s31, 24
	s_cbranch_scc1 .LBB39_620
; %bb.611:
	s_cmp_gt_i32 s31, 24
	s_cbranch_scc0 .LBB39_621
; %bb.612:
	global_load_u8 v1, v[6:7], off
	s_mov_b32 s48, 0
	s_mov_b32 s47, exec_lo
	s_wait_loadcnt 0x0
	v_cmpx_lt_i16_e32 0x7f, v1
	s_xor_b32 s47, exec_lo, s47
	s_cbranch_execz .LBB39_633
; %bb.613:
	v_cmp_ne_u16_e32 vcc_lo, 0x80, v1
	s_and_b32 s48, vcc_lo, exec_lo
	s_and_not1_saveexec_b32 s47, s47
	s_cbranch_execnz .LBB39_634
.LBB39_614:
	s_or_b32 exec_lo, exec_lo, s47
	v_mov_b32_e32 v8, 0
	s_and_saveexec_b32 s47, s48
	s_cbranch_execz .LBB39_616
.LBB39_615:
	v_and_b32_e32 v3, 0xffff, v1
	s_delay_alu instid0(VALU_DEP_1) | instskip(SKIP_1) | instid1(VALU_DEP_2)
	v_and_b32_e32 v5, 3, v3
	v_bfe_u32 v10, v3, 2, 5
	v_clz_i32_u32_e32 v8, v5
	s_delay_alu instid0(VALU_DEP_2) | instskip(NEXT) | instid1(VALU_DEP_2)
	v_cmp_eq_u32_e32 vcc_lo, 0, v10
	v_min_u32_e32 v8, 32, v8
	s_delay_alu instid0(VALU_DEP_1) | instskip(NEXT) | instid1(VALU_DEP_1)
	v_subrev_nc_u32_e32 v9, 29, v8
	v_dual_lshlrev_b32 v3, v9, v3 :: v_dual_sub_nc_u32 v8, 30, v8
	s_delay_alu instid0(VALU_DEP_1) | instskip(NEXT) | instid1(VALU_DEP_1)
	v_dual_lshlrev_b32 v1, 24, v1 :: v_dual_bitop2_b32 v3, 3, v3 bitop3:0x40
	v_dual_cndmask_b32 v8, v10, v8 :: v_dual_cndmask_b32 v3, v5, v3
	s_delay_alu instid0(VALU_DEP_2) | instskip(NEXT) | instid1(VALU_DEP_2)
	v_and_b32_e32 v1, 0x80000000, v1
	v_lshl_add_u32 v5, v8, 23, 0x37800000
	s_delay_alu instid0(VALU_DEP_3) | instskip(NEXT) | instid1(VALU_DEP_1)
	v_lshlrev_b32_e32 v3, 21, v3
	v_or3_b32 v1, v1, v5, v3
	s_delay_alu instid0(VALU_DEP_1)
	v_cvt_i32_f32_e32 v8, v1
.LBB39_616:
	s_or_b32 exec_lo, exec_lo, s47
	s_mov_b32 s47, 0
	s_branch .LBB39_622
.LBB39_617:
	s_mov_b32 s48, -1
                                        ; implicit-def: $vgpr8
	s_branch .LBB39_628
.LBB39_618:
	s_and_not1_saveexec_b32 s47, s47
	s_cbranch_execz .LBB39_603
.LBB39_619:
	v_cmp_ne_u16_e32 vcc_lo, 0, v1
	s_and_not1_b32 s48, s48, exec_lo
	s_and_b32 s49, vcc_lo, exec_lo
	s_delay_alu instid0(SALU_CYCLE_1)
	s_or_b32 s48, s48, s49
	s_or_b32 exec_lo, exec_lo, s47
	v_mov_b32_e32 v8, 0
	s_and_saveexec_b32 s47, s48
	s_cbranch_execnz .LBB39_604
	s_branch .LBB39_605
.LBB39_620:
	s_mov_b32 s47, -1
                                        ; implicit-def: $vgpr8
	s_branch .LBB39_625
.LBB39_621:
	s_mov_b32 s47, -1
                                        ; implicit-def: $vgpr8
.LBB39_622:
	s_delay_alu instid0(SALU_CYCLE_1)
	s_and_b32 vcc_lo, exec_lo, s47
	s_cbranch_vccz .LBB39_624
; %bb.623:
	global_load_u8 v1, v[6:7], off
	s_wait_loadcnt 0x0
	v_lshlrev_b32_e32 v1, 24, v1
	s_delay_alu instid0(VALU_DEP_1) | instskip(NEXT) | instid1(VALU_DEP_1)
	v_and_b32_e32 v3, 0x7f000000, v1
	v_clz_i32_u32_e32 v5, v3
	s_wait_xcnt 0x1
	v_add_nc_u32_e32 v9, 0x1000000, v3
	v_cmp_ne_u32_e32 vcc_lo, 0, v3
	s_delay_alu instid0(VALU_DEP_3) | instskip(NEXT) | instid1(VALU_DEP_1)
	v_min_u32_e32 v5, 32, v5
	v_sub_nc_u32_e64 v5, v5, 4 clamp
	s_delay_alu instid0(VALU_DEP_1) | instskip(NEXT) | instid1(VALU_DEP_1)
	v_dual_lshlrev_b32 v8, v5, v3 :: v_dual_lshlrev_b32 v5, 23, v5
	v_lshrrev_b32_e32 v8, 4, v8
	s_delay_alu instid0(VALU_DEP_1) | instskip(SKIP_1) | instid1(VALU_DEP_2)
	v_sub_nc_u32_e32 v5, v8, v5
	v_ashrrev_i32_e32 v8, 8, v9
	v_add_nc_u32_e32 v5, 0x3c000000, v5
	s_delay_alu instid0(VALU_DEP_1) | instskip(NEXT) | instid1(VALU_DEP_1)
	v_and_or_b32 v5, 0x7f800000, v8, v5
	v_cndmask_b32_e32 v3, 0, v5, vcc_lo
	s_delay_alu instid0(VALU_DEP_1) | instskip(NEXT) | instid1(VALU_DEP_1)
	v_and_or_b32 v1, 0x80000000, v1, v3
	v_cvt_i32_f32_e32 v8, v1
.LBB39_624:
	s_mov_b32 s47, 0
.LBB39_625:
	s_delay_alu instid0(SALU_CYCLE_1)
	s_and_not1_b32 vcc_lo, exec_lo, s47
	s_cbranch_vccnz .LBB39_627
; %bb.626:
	global_load_u8 v1, v[6:7], off
	s_wait_loadcnt 0x0
	v_lshlrev_b32_e32 v3, 25, v1
	v_lshlrev_b16 v1, 8, v1
	s_wait_xcnt 0x1
	s_delay_alu instid0(VALU_DEP_1) | instskip(SKIP_1) | instid1(VALU_DEP_2)
	v_and_or_b32 v8, 0x7f00, v1, 0.5
	v_bfe_i32 v1, v1, 0, 16
	v_dual_add_f32 v8, -0.5, v8 :: v_dual_lshrrev_b32 v5, 4, v3
	v_cmp_gt_u32_e32 vcc_lo, 0x8000000, v3
	s_delay_alu instid0(VALU_DEP_2) | instskip(NEXT) | instid1(VALU_DEP_1)
	v_or_b32_e32 v5, 0x70000000, v5
	v_mul_f32_e32 v5, 0x7800000, v5
	s_delay_alu instid0(VALU_DEP_1) | instskip(NEXT) | instid1(VALU_DEP_1)
	v_cndmask_b32_e32 v3, v5, v8, vcc_lo
	v_and_or_b32 v1, 0x80000000, v1, v3
	s_delay_alu instid0(VALU_DEP_1)
	v_cvt_i32_f32_e32 v8, v1
.LBB39_627:
	s_mov_b32 s48, 0
	s_mov_b32 s47, -1
.LBB39_628:
	s_and_not1_b32 vcc_lo, exec_lo, s48
	s_cbranch_vccnz .LBB39_641
; %bb.629:
	s_cmp_gt_i32 s31, 14
	s_cbranch_scc0 .LBB39_632
; %bb.630:
	s_cmp_eq_u32 s31, 15
	s_cbranch_scc0 .LBB39_635
; %bb.631:
	global_load_u16 v1, v[6:7], off
	s_mov_b32 s47, -1
	s_mov_b32 s30, 0
	s_wait_loadcnt 0x0
	v_lshlrev_b32_e32 v1, 16, v1
	s_wait_xcnt 0x1
	s_delay_alu instid0(VALU_DEP_1)
	v_cvt_i32_f32_e32 v8, v1
	s_branch .LBB39_636
.LBB39_632:
	s_mov_b32 s48, -1
                                        ; implicit-def: $vgpr8
	s_branch .LBB39_637
.LBB39_633:
	s_and_not1_saveexec_b32 s47, s47
	s_cbranch_execz .LBB39_614
.LBB39_634:
	v_cmp_ne_u16_e32 vcc_lo, 0, v1
	s_and_not1_b32 s48, s48, exec_lo
	s_and_b32 s49, vcc_lo, exec_lo
	s_delay_alu instid0(SALU_CYCLE_1)
	s_or_b32 s48, s48, s49
	s_or_b32 exec_lo, exec_lo, s47
	v_mov_b32_e32 v8, 0
	s_and_saveexec_b32 s47, s48
	s_cbranch_execnz .LBB39_615
	s_branch .LBB39_616
.LBB39_635:
	s_mov_b32 s30, -1
                                        ; implicit-def: $vgpr8
.LBB39_636:
	s_mov_b32 s48, 0
.LBB39_637:
	s_delay_alu instid0(SALU_CYCLE_1)
	s_and_b32 vcc_lo, exec_lo, s48
	s_cbranch_vccz .LBB39_641
; %bb.638:
	s_cmp_eq_u32 s31, 11
	s_cbranch_scc0 .LBB39_640
; %bb.639:
	global_load_u8 v1, v[6:7], off
	s_mov_b32 s30, 0
	s_mov_b32 s47, -1
	s_wait_loadcnt 0x0
	v_cmp_ne_u16_e32 vcc_lo, 0, v1
	s_wait_xcnt 0x1
	v_cndmask_b32_e64 v8, 0, 1, vcc_lo
	s_branch .LBB39_641
.LBB39_640:
	s_mov_b32 s30, -1
                                        ; implicit-def: $vgpr8
.LBB39_641:
	s_mov_b32 s31, 0
.LBB39_642:
	s_delay_alu instid0(SALU_CYCLE_1)
	s_and_b32 vcc_lo, exec_lo, s31
	s_cbranch_vccz .LBB39_691
; %bb.643:
	s_and_b32 s0, 0xffff, s0
	s_delay_alu instid0(SALU_CYCLE_1)
	s_cmp_lt_i32 s0, 5
	s_cbranch_scc1 .LBB39_648
; %bb.644:
	s_cmp_lt_i32 s0, 8
	s_cbranch_scc1 .LBB39_649
; %bb.645:
	;; [unrolled: 3-line block ×3, first 2 shown]
	s_cmp_gt_i32 s0, 9
	s_cbranch_scc0 .LBB39_651
; %bb.647:
	s_wait_loadcnt 0x0
	global_load_b64 v[8:9], v[6:7], off
	s_mov_b32 s31, 0
	s_wait_loadcnt 0x0
	v_cvt_i32_f64_e32 v8, v[8:9]
	s_branch .LBB39_652
.LBB39_648:
	s_mov_b32 s31, -1
                                        ; implicit-def: $vgpr8
	s_branch .LBB39_670
.LBB39_649:
	s_mov_b32 s31, -1
                                        ; implicit-def: $vgpr8
	s_branch .LBB39_658
.LBB39_650:
	s_mov_b32 s31, -1
                                        ; implicit-def: $vgpr8
	s_branch .LBB39_655
.LBB39_651:
	s_mov_b32 s31, -1
                                        ; implicit-def: $vgpr8
.LBB39_652:
	s_delay_alu instid0(SALU_CYCLE_1)
	s_and_not1_b32 vcc_lo, exec_lo, s31
	s_cbranch_vccnz .LBB39_654
; %bb.653:
	global_load_b32 v1, v[6:7], off
	s_wait_loadcnt 0x0
	s_wait_xcnt 0x1
	v_cvt_i32_f32_e32 v8, v1
.LBB39_654:
	s_mov_b32 s31, 0
.LBB39_655:
	s_delay_alu instid0(SALU_CYCLE_1)
	s_and_not1_b32 vcc_lo, exec_lo, s31
	s_cbranch_vccnz .LBB39_657
; %bb.656:
	global_load_b32 v1, v[6:7], off
	s_wait_loadcnt 0x0
	s_wait_xcnt 0x1
	v_cvt_i16_f16_e32 v8, v1
.LBB39_657:
	s_mov_b32 s31, 0
.LBB39_658:
	s_delay_alu instid0(SALU_CYCLE_1)
	s_and_not1_b32 vcc_lo, exec_lo, s31
	s_cbranch_vccnz .LBB39_669
; %bb.659:
	s_cmp_lt_i32 s0, 6
	s_cbranch_scc1 .LBB39_662
; %bb.660:
	s_cmp_gt_i32 s0, 6
	s_cbranch_scc0 .LBB39_663
; %bb.661:
	s_wait_loadcnt 0x0
	global_load_b64 v[8:9], v[6:7], off
	s_mov_b32 s31, 0
	s_wait_loadcnt 0x0
	v_cvt_i32_f64_e32 v8, v[8:9]
	s_branch .LBB39_664
.LBB39_662:
	s_mov_b32 s31, -1
                                        ; implicit-def: $vgpr8
	s_branch .LBB39_667
.LBB39_663:
	s_mov_b32 s31, -1
                                        ; implicit-def: $vgpr8
.LBB39_664:
	s_delay_alu instid0(SALU_CYCLE_1)
	s_and_not1_b32 vcc_lo, exec_lo, s31
	s_cbranch_vccnz .LBB39_666
; %bb.665:
	global_load_b32 v1, v[6:7], off
	s_wait_loadcnt 0x0
	s_wait_xcnt 0x1
	v_cvt_i32_f32_e32 v8, v1
.LBB39_666:
	s_mov_b32 s31, 0
.LBB39_667:
	s_delay_alu instid0(SALU_CYCLE_1)
	s_and_not1_b32 vcc_lo, exec_lo, s31
	s_cbranch_vccnz .LBB39_669
; %bb.668:
	global_load_u16 v1, v[6:7], off
	s_wait_loadcnt 0x0
	s_wait_xcnt 0x1
	v_cvt_i16_f16_e32 v8, v1
.LBB39_669:
	s_mov_b32 s31, 0
.LBB39_670:
	s_delay_alu instid0(SALU_CYCLE_1)
	s_and_not1_b32 vcc_lo, exec_lo, s31
	s_cbranch_vccnz .LBB39_690
; %bb.671:
	s_cmp_lt_i32 s0, 2
	s_cbranch_scc1 .LBB39_675
; %bb.672:
	s_cmp_lt_i32 s0, 3
	s_cbranch_scc1 .LBB39_676
; %bb.673:
	s_cmp_gt_i32 s0, 3
	s_cbranch_scc0 .LBB39_677
; %bb.674:
	s_wait_loadcnt 0x0
	global_load_b64 v[8:9], v[6:7], off
	s_mov_b32 s31, 0
	s_branch .LBB39_678
.LBB39_675:
	s_mov_b32 s31, -1
                                        ; implicit-def: $vgpr8
	s_branch .LBB39_684
.LBB39_676:
	s_mov_b32 s31, -1
                                        ; implicit-def: $vgpr8
	s_branch .LBB39_681
.LBB39_677:
	s_mov_b32 s31, -1
                                        ; implicit-def: $vgpr8
.LBB39_678:
	s_delay_alu instid0(SALU_CYCLE_1)
	s_and_not1_b32 vcc_lo, exec_lo, s31
	s_cbranch_vccnz .LBB39_680
; %bb.679:
	s_wait_loadcnt 0x0
	global_load_b32 v8, v[6:7], off
.LBB39_680:
	s_mov_b32 s31, 0
.LBB39_681:
	s_delay_alu instid0(SALU_CYCLE_1)
	s_and_not1_b32 vcc_lo, exec_lo, s31
	s_cbranch_vccnz .LBB39_683
; %bb.682:
	s_wait_loadcnt 0x0
	global_load_u16 v8, v[6:7], off
.LBB39_683:
	s_mov_b32 s31, 0
.LBB39_684:
	s_delay_alu instid0(SALU_CYCLE_1)
	s_and_not1_b32 vcc_lo, exec_lo, s31
	s_cbranch_vccnz .LBB39_690
; %bb.685:
	s_cmp_gt_i32 s0, 0
	s_mov_b32 s0, 0
	s_cbranch_scc0 .LBB39_687
; %bb.686:
	s_wait_loadcnt 0x0
	global_load_u8 v8, v[6:7], off
	s_branch .LBB39_688
.LBB39_687:
	s_mov_b32 s0, -1
                                        ; implicit-def: $vgpr8
.LBB39_688:
	s_delay_alu instid0(SALU_CYCLE_1)
	s_and_not1_b32 vcc_lo, exec_lo, s0
	s_cbranch_vccnz .LBB39_690
; %bb.689:
	s_wait_loadcnt 0x0
	global_load_u8 v8, v[6:7], off
.LBB39_690:
	s_mov_b32 s47, -1
.LBB39_691:
	s_delay_alu instid0(SALU_CYCLE_1)
	s_and_not1_b32 vcc_lo, exec_lo, s47
	s_cbranch_vccnz .LBB39_699
; %bb.692:
	v_mov_b32_e32 v3, 0
	s_wait_loadcnt 0x0
	v_mul_lo_u16 v1, v4, s16
	s_and_b32 s31, s9, 0xff
	s_delay_alu instid0(SALU_CYCLE_1) | instskip(SKIP_1) | instid1(VALU_DEP_2)
	s_cmp_lt_i32 s31, 11
	v_add_nc_u64_e32 v[2:3], s[18:19], v[2:3]
	v_mul_lo_u16 v1, v1, v8
	s_cbranch_scc1 .LBB39_700
; %bb.693:
	s_and_b32 s47, 0xffff, s31
	s_delay_alu instid0(SALU_CYCLE_1)
	s_cmp_gt_i32 s47, 25
	s_cbranch_scc0 .LBB39_701
; %bb.694:
	s_cmp_gt_i32 s47, 28
	s_cbranch_scc0 .LBB39_702
; %bb.695:
	;; [unrolled: 3-line block ×4, first 2 shown]
	s_mov_b32 s49, 0
	s_mov_b32 s0, -1
	s_cmp_eq_u32 s47, 46
	s_mov_b32 s48, 0
	s_cbranch_scc0 .LBB39_705
; %bb.698:
	v_bfe_i32 v4, v1, 0, 8
	s_mov_b32 s48, -1
	s_mov_b32 s0, 0
	s_delay_alu instid0(VALU_DEP_1) | instskip(NEXT) | instid1(VALU_DEP_1)
	v_bfe_i32 v4, v4, 0, 16
	v_cvt_f32_i32_e32 v4, v4
	s_delay_alu instid0(VALU_DEP_1) | instskip(NEXT) | instid1(VALU_DEP_1)
	v_bfe_u32 v5, v4, 16, 1
	v_add3_u32 v4, v4, v5, 0x7fff
	s_delay_alu instid0(VALU_DEP_1)
	v_lshrrev_b32_e32 v4, 16, v4
	global_store_b32 v[2:3], v4, off
	s_branch .LBB39_705
.LBB39_699:
	s_mov_b32 s31, 0
	s_mov_b32 s0, s21
	s_branch .LBB39_444
.LBB39_700:
	s_mov_b32 s47, -1
	s_mov_b32 s48, 0
	s_mov_b32 s0, s21
	s_branch .LBB39_774
.LBB39_701:
	s_mov_b32 s49, -1
	s_mov_b32 s48, 0
	s_mov_b32 s0, s21
	s_branch .LBB39_732
.LBB39_702:
	s_mov_b32 s49, -1
	s_mov_b32 s48, 0
	s_mov_b32 s0, s21
	s_branch .LBB39_715
.LBB39_703:
	s_mov_b32 s49, -1
	s_mov_b32 s48, 0
	s_mov_b32 s0, s21
	s_branch .LBB39_711
.LBB39_704:
	s_mov_b32 s49, -1
	s_mov_b32 s48, 0
	s_mov_b32 s0, s21
.LBB39_705:
	s_and_b32 vcc_lo, exec_lo, s49
	s_cbranch_vccz .LBB39_710
; %bb.706:
	s_cmp_eq_u32 s47, 44
	s_mov_b32 s0, -1
	s_cbranch_scc0 .LBB39_710
; %bb.707:
	s_wait_xcnt 0x0
	v_bfe_i32 v4, v1, 0, 8
	v_mov_b32_e32 v5, 0xff
	s_mov_b32 s48, exec_lo
	s_delay_alu instid0(VALU_DEP_2) | instskip(NEXT) | instid1(VALU_DEP_1)
	v_bfe_i32 v4, v4, 0, 16
	v_cvt_f32_i32_e32 v4, v4
	s_delay_alu instid0(VALU_DEP_1) | instskip(NEXT) | instid1(VALU_DEP_1)
	v_bfe_u32 v6, v4, 23, 8
	v_cmpx_ne_u32_e32 0xff, v6
	s_cbranch_execz .LBB39_709
; %bb.708:
	v_and_b32_e32 v5, 0x400000, v4
	v_and_or_b32 v6, 0x3fffff, v4, v6
	v_lshrrev_b32_e32 v4, 23, v4
	s_delay_alu instid0(VALU_DEP_3) | instskip(NEXT) | instid1(VALU_DEP_3)
	v_cmp_ne_u32_e32 vcc_lo, 0, v5
	v_cmp_ne_u32_e64 s0, 0, v6
	s_and_b32 s0, vcc_lo, s0
	s_delay_alu instid0(SALU_CYCLE_1) | instskip(NEXT) | instid1(VALU_DEP_1)
	v_cndmask_b32_e64 v5, 0, 1, s0
	v_add_nc_u32_e32 v5, v4, v5
.LBB39_709:
	s_or_b32 exec_lo, exec_lo, s48
	s_mov_b32 s48, -1
	s_mov_b32 s0, 0
	global_store_b8 v[2:3], v5, off
.LBB39_710:
	s_mov_b32 s49, 0
.LBB39_711:
	s_delay_alu instid0(SALU_CYCLE_1)
	s_and_b32 vcc_lo, exec_lo, s49
	s_cbranch_vccz .LBB39_714
; %bb.712:
	s_cmp_eq_u32 s47, 29
	s_mov_b32 s0, -1
	s_cbranch_scc0 .LBB39_714
; %bb.713:
	s_wait_xcnt 0x0
	v_bfe_i32 v4, v1, 0, 8
	s_mov_b32 s48, -1
	s_mov_b32 s0, 0
	s_mov_b32 s49, 0
	s_delay_alu instid0(VALU_DEP_1)
	v_ashrrev_i32_e32 v5, 31, v4
	global_store_b64 v[2:3], v[4:5], off
	s_branch .LBB39_715
.LBB39_714:
	s_mov_b32 s49, 0
.LBB39_715:
	s_delay_alu instid0(SALU_CYCLE_1)
	s_and_b32 vcc_lo, exec_lo, s49
	s_cbranch_vccz .LBB39_731
; %bb.716:
	s_cmp_lt_i32 s47, 27
	s_mov_b32 s48, -1
	s_cbranch_scc1 .LBB39_722
; %bb.717:
	s_cmp_gt_i32 s47, 27
	s_cbranch_scc0 .LBB39_719
; %bb.718:
	s_wait_xcnt 0x0
	v_bfe_i32 v4, v1, 0, 8
	s_mov_b32 s48, 0
	global_store_b32 v[2:3], v4, off
.LBB39_719:
	s_and_not1_b32 vcc_lo, exec_lo, s48
	s_cbranch_vccnz .LBB39_721
; %bb.720:
	s_wait_xcnt 0x0
	v_bfe_i32 v4, v1, 0, 8
	global_store_b16 v[2:3], v4, off
.LBB39_721:
	s_mov_b32 s48, 0
.LBB39_722:
	s_delay_alu instid0(SALU_CYCLE_1)
	s_and_not1_b32 vcc_lo, exec_lo, s48
	s_cbranch_vccnz .LBB39_730
; %bb.723:
	s_wait_xcnt 0x0
	v_bfe_i32 v4, v1, 0, 8
	v_mov_b32_e32 v6, 0x80
	s_mov_b32 s48, exec_lo
	s_delay_alu instid0(VALU_DEP_2) | instskip(NEXT) | instid1(VALU_DEP_1)
	v_bfe_i32 v4, v4, 0, 16
	v_cvt_f32_i32_e32 v4, v4
	s_delay_alu instid0(VALU_DEP_1) | instskip(NEXT) | instid1(VALU_DEP_1)
	v_and_b32_e32 v5, 0x7fffffff, v4
	v_cmpx_gt_u32_e32 0x43800000, v5
	s_cbranch_execz .LBB39_729
; %bb.724:
	v_cmp_lt_u32_e32 vcc_lo, 0x3bffffff, v5
	s_mov_b32 s49, 0
                                        ; implicit-def: $vgpr5
	s_and_saveexec_b32 s50, vcc_lo
	s_delay_alu instid0(SALU_CYCLE_1)
	s_xor_b32 s50, exec_lo, s50
	s_cbranch_execz .LBB39_864
; %bb.725:
	v_bfe_u32 v5, v4, 20, 1
	s_mov_b32 s49, exec_lo
	s_delay_alu instid0(VALU_DEP_1) | instskip(NEXT) | instid1(VALU_DEP_1)
	v_add3_u32 v5, v4, v5, 0x487ffff
	v_lshrrev_b32_e32 v5, 20, v5
	s_and_not1_saveexec_b32 s50, s50
	s_cbranch_execnz .LBB39_865
.LBB39_726:
	s_or_b32 exec_lo, exec_lo, s50
	v_mov_b32_e32 v6, 0
	s_and_saveexec_b32 s50, s49
.LBB39_727:
	v_lshrrev_b32_e32 v4, 24, v4
	s_delay_alu instid0(VALU_DEP_1)
	v_and_or_b32 v6, 0x80, v4, v5
.LBB39_728:
	s_or_b32 exec_lo, exec_lo, s50
.LBB39_729:
	s_delay_alu instid0(SALU_CYCLE_1)
	s_or_b32 exec_lo, exec_lo, s48
	global_store_b8 v[2:3], v6, off
.LBB39_730:
	s_mov_b32 s48, -1
.LBB39_731:
	s_mov_b32 s49, 0
.LBB39_732:
	s_delay_alu instid0(SALU_CYCLE_1)
	s_and_b32 vcc_lo, exec_lo, s49
	s_cbranch_vccz .LBB39_773
; %bb.733:
	s_cmp_gt_i32 s47, 22
	s_mov_b32 s49, -1
	s_cbranch_scc0 .LBB39_765
; %bb.734:
	s_cmp_lt_i32 s47, 24
	s_mov_b32 s48, -1
	s_cbranch_scc1 .LBB39_754
; %bb.735:
	s_cmp_gt_i32 s47, 24
	s_cbranch_scc0 .LBB39_743
; %bb.736:
	s_wait_xcnt 0x0
	v_bfe_i32 v4, v1, 0, 8
	v_mov_b32_e32 v6, 0x80
	s_mov_b32 s48, exec_lo
	s_delay_alu instid0(VALU_DEP_2) | instskip(NEXT) | instid1(VALU_DEP_1)
	v_bfe_i32 v4, v4, 0, 16
	v_cvt_f32_i32_e32 v4, v4
	s_delay_alu instid0(VALU_DEP_1) | instskip(NEXT) | instid1(VALU_DEP_1)
	v_and_b32_e32 v5, 0x7fffffff, v4
	v_cmpx_gt_u32_e32 0x47800000, v5
	s_cbranch_execz .LBB39_742
; %bb.737:
	v_cmp_lt_u32_e32 vcc_lo, 0x37ffffff, v5
	s_mov_b32 s49, 0
                                        ; implicit-def: $vgpr5
	s_and_saveexec_b32 s50, vcc_lo
	s_delay_alu instid0(SALU_CYCLE_1)
	s_xor_b32 s50, exec_lo, s50
	s_cbranch_execz .LBB39_991
; %bb.738:
	v_bfe_u32 v5, v4, 21, 1
	s_mov_b32 s49, exec_lo
	s_delay_alu instid0(VALU_DEP_1) | instskip(NEXT) | instid1(VALU_DEP_1)
	v_add3_u32 v5, v4, v5, 0x88fffff
	v_lshrrev_b32_e32 v5, 21, v5
	s_and_not1_saveexec_b32 s50, s50
	s_cbranch_execnz .LBB39_992
.LBB39_739:
	s_or_b32 exec_lo, exec_lo, s50
	v_mov_b32_e32 v6, 0
	s_and_saveexec_b32 s50, s49
.LBB39_740:
	v_lshrrev_b32_e32 v4, 24, v4
	s_delay_alu instid0(VALU_DEP_1)
	v_and_or_b32 v6, 0x80, v4, v5
.LBB39_741:
	s_or_b32 exec_lo, exec_lo, s50
.LBB39_742:
	s_delay_alu instid0(SALU_CYCLE_1)
	s_or_b32 exec_lo, exec_lo, s48
	s_mov_b32 s48, 0
	global_store_b8 v[2:3], v6, off
.LBB39_743:
	s_and_b32 vcc_lo, exec_lo, s48
	s_cbranch_vccz .LBB39_753
; %bb.744:
	s_wait_xcnt 0x0
	v_bfe_i32 v4, v1, 0, 8
	s_mov_b32 s48, exec_lo
                                        ; implicit-def: $vgpr5
	s_delay_alu instid0(VALU_DEP_1) | instskip(NEXT) | instid1(VALU_DEP_1)
	v_bfe_i32 v4, v4, 0, 16
	v_cvt_f32_i32_e32 v4, v4
	s_delay_alu instid0(VALU_DEP_1) | instskip(NEXT) | instid1(VALU_DEP_1)
	v_and_b32_e32 v6, 0x7fffffff, v4
	v_cmpx_gt_u32_e32 0x43f00000, v6
	s_xor_b32 s48, exec_lo, s48
	s_cbranch_execz .LBB39_750
; %bb.745:
	s_mov_b32 s49, exec_lo
                                        ; implicit-def: $vgpr5
	v_cmpx_lt_u32_e32 0x3c7fffff, v6
	s_xor_b32 s49, exec_lo, s49
; %bb.746:
	v_bfe_u32 v5, v4, 20, 1
	s_delay_alu instid0(VALU_DEP_1) | instskip(NEXT) | instid1(VALU_DEP_1)
	v_add3_u32 v5, v4, v5, 0x407ffff
	v_and_b32_e32 v6, 0xff00000, v5
	v_lshrrev_b32_e32 v5, 20, v5
	s_delay_alu instid0(VALU_DEP_2) | instskip(NEXT) | instid1(VALU_DEP_2)
	v_cmp_ne_u32_e32 vcc_lo, 0x7f00000, v6
	v_cndmask_b32_e32 v5, 0x7e, v5, vcc_lo
; %bb.747:
	s_and_not1_saveexec_b32 s49, s49
; %bb.748:
	v_add_f32_e64 v5, 0x46800000, |v4|
; %bb.749:
	s_or_b32 exec_lo, exec_lo, s49
                                        ; implicit-def: $vgpr6
.LBB39_750:
	s_and_not1_saveexec_b32 s48, s48
; %bb.751:
	v_mov_b32_e32 v5, 0x7f
	v_cmp_lt_u32_e32 vcc_lo, 0x7f800000, v6
	s_delay_alu instid0(VALU_DEP_2)
	v_cndmask_b32_e32 v5, 0x7e, v5, vcc_lo
; %bb.752:
	s_or_b32 exec_lo, exec_lo, s48
	v_lshrrev_b32_e32 v4, 24, v4
	s_delay_alu instid0(VALU_DEP_1)
	v_and_or_b32 v4, 0x80, v4, v5
	global_store_b8 v[2:3], v4, off
.LBB39_753:
	s_mov_b32 s48, 0
.LBB39_754:
	s_delay_alu instid0(SALU_CYCLE_1)
	s_and_not1_b32 vcc_lo, exec_lo, s48
	s_cbranch_vccnz .LBB39_764
; %bb.755:
	s_wait_xcnt 0x0
	v_bfe_i32 v4, v1, 0, 8
	s_mov_b32 s48, exec_lo
                                        ; implicit-def: $vgpr5
	s_delay_alu instid0(VALU_DEP_1) | instskip(NEXT) | instid1(VALU_DEP_1)
	v_bfe_i32 v4, v4, 0, 16
	v_cvt_f32_i32_e32 v4, v4
	s_delay_alu instid0(VALU_DEP_1) | instskip(NEXT) | instid1(VALU_DEP_1)
	v_and_b32_e32 v6, 0x7fffffff, v4
	v_cmpx_gt_u32_e32 0x47800000, v6
	s_xor_b32 s48, exec_lo, s48
	s_cbranch_execz .LBB39_761
; %bb.756:
	s_mov_b32 s49, exec_lo
                                        ; implicit-def: $vgpr5
	v_cmpx_lt_u32_e32 0x387fffff, v6
	s_xor_b32 s49, exec_lo, s49
; %bb.757:
	v_bfe_u32 v5, v4, 21, 1
	s_delay_alu instid0(VALU_DEP_1) | instskip(NEXT) | instid1(VALU_DEP_1)
	v_add3_u32 v5, v4, v5, 0x80fffff
	v_lshrrev_b32_e32 v5, 21, v5
; %bb.758:
	s_and_not1_saveexec_b32 s49, s49
; %bb.759:
	v_add_f32_e64 v5, 0x43000000, |v4|
; %bb.760:
	s_or_b32 exec_lo, exec_lo, s49
                                        ; implicit-def: $vgpr6
.LBB39_761:
	s_and_not1_saveexec_b32 s48, s48
; %bb.762:
	v_mov_b32_e32 v5, 0x7f
	v_cmp_lt_u32_e32 vcc_lo, 0x7f800000, v6
	s_delay_alu instid0(VALU_DEP_2)
	v_cndmask_b32_e32 v5, 0x7c, v5, vcc_lo
; %bb.763:
	s_or_b32 exec_lo, exec_lo, s48
	v_lshrrev_b32_e32 v4, 24, v4
	s_delay_alu instid0(VALU_DEP_1)
	v_and_or_b32 v4, 0x80, v4, v5
	global_store_b8 v[2:3], v4, off
.LBB39_764:
	s_mov_b32 s49, 0
	s_mov_b32 s48, -1
.LBB39_765:
	s_and_not1_b32 vcc_lo, exec_lo, s49
	s_cbranch_vccnz .LBB39_773
; %bb.766:
	s_cmp_gt_i32 s47, 14
	s_mov_b32 s49, -1
	s_cbranch_scc0 .LBB39_770
; %bb.767:
	s_cmp_eq_u32 s47, 15
	s_mov_b32 s0, -1
	s_cbranch_scc0 .LBB39_769
; %bb.768:
	s_wait_xcnt 0x0
	v_bfe_i32 v4, v1, 0, 8
	s_mov_b32 s48, -1
	s_mov_b32 s0, 0
	s_delay_alu instid0(VALU_DEP_1) | instskip(NEXT) | instid1(VALU_DEP_1)
	v_bfe_i32 v4, v4, 0, 16
	v_cvt_f32_i32_e32 v4, v4
	s_delay_alu instid0(VALU_DEP_1) | instskip(NEXT) | instid1(VALU_DEP_1)
	v_bfe_u32 v5, v4, 16, 1
	v_add3_u32 v4, v4, v5, 0x7fff
	global_store_d16_hi_b16 v[2:3], v4, off
.LBB39_769:
	s_mov_b32 s49, 0
.LBB39_770:
	s_delay_alu instid0(SALU_CYCLE_1)
	s_and_b32 vcc_lo, exec_lo, s49
	s_cbranch_vccz .LBB39_773
; %bb.771:
	s_cmp_eq_u32 s47, 11
	s_mov_b32 s0, -1
	s_cbranch_scc0 .LBB39_773
; %bb.772:
	s_wait_xcnt 0x0
	v_and_b32_e32 v4, 0xff, v1
	s_mov_b32 s0, 0
	s_mov_b32 s48, -1
	s_delay_alu instid0(VALU_DEP_1)
	v_cmp_ne_u16_e32 vcc_lo, 0, v4
	v_cndmask_b32_e64 v4, 0, 1, vcc_lo
	global_store_b8 v[2:3], v4, off
.LBB39_773:
	s_mov_b32 s47, 0
.LBB39_774:
	s_delay_alu instid0(SALU_CYCLE_1)
	s_and_b32 vcc_lo, exec_lo, s47
	s_cbranch_vccz .LBB39_813
; %bb.775:
	s_and_b32 s31, 0xffff, s31
	s_mov_b32 s47, -1
	s_cmp_lt_i32 s31, 5
	s_cbranch_scc1 .LBB39_796
; %bb.776:
	s_cmp_lt_i32 s31, 8
	s_cbranch_scc1 .LBB39_786
; %bb.777:
	;; [unrolled: 3-line block ×3, first 2 shown]
	s_cmp_gt_i32 s31, 9
	s_cbranch_scc0 .LBB39_780
; %bb.779:
	s_wait_xcnt 0x0
	v_bfe_i32 v4, v1, 0, 8
	v_mov_b32_e32 v6, 0
	s_mov_b32 s47, 0
	s_delay_alu instid0(VALU_DEP_2) | instskip(NEXT) | instid1(VALU_DEP_2)
	v_bfe_i32 v4, v4, 0, 16
	v_mov_b32_e32 v7, v6
	s_delay_alu instid0(VALU_DEP_2)
	v_cvt_f64_i32_e32 v[4:5], v4
	global_store_b128 v[2:3], v[4:7], off
.LBB39_780:
	s_and_not1_b32 vcc_lo, exec_lo, s47
	s_cbranch_vccnz .LBB39_782
; %bb.781:
	s_wait_xcnt 0x0
	v_bfe_i32 v4, v1, 0, 8
	v_mov_b32_e32 v5, 0
	s_delay_alu instid0(VALU_DEP_2) | instskip(NEXT) | instid1(VALU_DEP_1)
	v_bfe_i32 v4, v4, 0, 16
	v_cvt_f32_i32_e32 v4, v4
	global_store_b64 v[2:3], v[4:5], off
.LBB39_782:
	s_mov_b32 s47, 0
.LBB39_783:
	s_delay_alu instid0(SALU_CYCLE_1)
	s_and_not1_b32 vcc_lo, exec_lo, s47
	s_cbranch_vccnz .LBB39_785
; %bb.784:
	s_wait_xcnt 0x0
	v_bfe_i32 v4, v1, 0, 8
	s_delay_alu instid0(VALU_DEP_1) | instskip(NEXT) | instid1(VALU_DEP_1)
	v_cvt_f16_i16_e32 v4, v4
	v_and_b32_e32 v4, 0xffff, v4
	global_store_b32 v[2:3], v4, off
.LBB39_785:
	s_mov_b32 s47, 0
.LBB39_786:
	s_delay_alu instid0(SALU_CYCLE_1)
	s_and_not1_b32 vcc_lo, exec_lo, s47
	s_cbranch_vccnz .LBB39_795
; %bb.787:
	s_cmp_lt_i32 s31, 6
	s_mov_b32 s47, -1
	s_cbranch_scc1 .LBB39_793
; %bb.788:
	s_cmp_gt_i32 s31, 6
	s_cbranch_scc0 .LBB39_790
; %bb.789:
	s_wait_xcnt 0x0
	v_bfe_i32 v4, v1, 0, 8
	s_mov_b32 s47, 0
	s_delay_alu instid0(VALU_DEP_1) | instskip(NEXT) | instid1(VALU_DEP_1)
	v_bfe_i32 v4, v4, 0, 16
	v_cvt_f64_i32_e32 v[4:5], v4
	global_store_b64 v[2:3], v[4:5], off
.LBB39_790:
	s_and_not1_b32 vcc_lo, exec_lo, s47
	s_cbranch_vccnz .LBB39_792
; %bb.791:
	s_wait_xcnt 0x0
	v_bfe_i32 v4, v1, 0, 8
	s_delay_alu instid0(VALU_DEP_1) | instskip(NEXT) | instid1(VALU_DEP_1)
	v_bfe_i32 v4, v4, 0, 16
	v_cvt_f32_i32_e32 v4, v4
	global_store_b32 v[2:3], v4, off
.LBB39_792:
	s_mov_b32 s47, 0
.LBB39_793:
	s_delay_alu instid0(SALU_CYCLE_1)
	s_and_not1_b32 vcc_lo, exec_lo, s47
	s_cbranch_vccnz .LBB39_795
; %bb.794:
	s_wait_xcnt 0x0
	v_bfe_i32 v4, v1, 0, 8
	s_delay_alu instid0(VALU_DEP_1)
	v_cvt_f16_i16_e32 v4, v4
	global_store_b16 v[2:3], v4, off
.LBB39_795:
	s_mov_b32 s47, 0
.LBB39_796:
	s_delay_alu instid0(SALU_CYCLE_1)
	s_and_not1_b32 vcc_lo, exec_lo, s47
	s_cbranch_vccnz .LBB39_812
; %bb.797:
	s_cmp_lt_i32 s31, 2
	s_mov_b32 s47, -1
	s_cbranch_scc1 .LBB39_807
; %bb.798:
	s_cmp_lt_i32 s31, 3
	s_cbranch_scc1 .LBB39_804
; %bb.799:
	s_cmp_gt_i32 s31, 3
	s_cbranch_scc0 .LBB39_801
; %bb.800:
	s_wait_xcnt 0x0
	v_bfe_i32 v4, v1, 0, 8
	s_mov_b32 s47, 0
	s_delay_alu instid0(VALU_DEP_1)
	v_ashrrev_i32_e32 v5, 31, v4
	global_store_b64 v[2:3], v[4:5], off
.LBB39_801:
	s_and_not1_b32 vcc_lo, exec_lo, s47
	s_cbranch_vccnz .LBB39_803
; %bb.802:
	s_wait_xcnt 0x0
	v_bfe_i32 v4, v1, 0, 8
	global_store_b32 v[2:3], v4, off
.LBB39_803:
	s_mov_b32 s47, 0
.LBB39_804:
	s_delay_alu instid0(SALU_CYCLE_1)
	s_and_not1_b32 vcc_lo, exec_lo, s47
	s_cbranch_vccnz .LBB39_806
; %bb.805:
	s_wait_xcnt 0x0
	v_bfe_i32 v4, v1, 0, 8
	global_store_b16 v[2:3], v4, off
.LBB39_806:
	s_mov_b32 s47, 0
.LBB39_807:
	s_delay_alu instid0(SALU_CYCLE_1)
	s_and_not1_b32 vcc_lo, exec_lo, s47
	s_cbranch_vccnz .LBB39_812
; %bb.808:
	s_cmp_gt_i32 s31, 0
	s_mov_b32 s31, -1
	s_cbranch_scc0 .LBB39_810
; %bb.809:
	s_mov_b32 s31, 0
	global_store_b8 v[2:3], v1, off
.LBB39_810:
	s_and_not1_b32 vcc_lo, exec_lo, s31
	s_cbranch_vccnz .LBB39_812
; %bb.811:
	global_store_b8 v[2:3], v1, off
.LBB39_812:
	s_mov_b32 s48, -1
.LBB39_813:
	s_delay_alu instid0(SALU_CYCLE_1)
	s_and_not1_b32 vcc_lo, exec_lo, s48
	s_cbranch_vccnz .LBB39_836
; %bb.814:
	v_add_nc_u32_e32 v0, 0x80, v0
	s_mov_b32 s31, -1
.LBB39_815:
	s_and_not1_b32 s47, s21, exec_lo
	s_and_b32 s0, s0, exec_lo
	s_and_not1_b32 s49, s43, exec_lo
	s_and_b32 s30, s30, exec_lo
	s_or_b32 s48, s47, s0
	s_or_b32 s49, s49, s30
	s_and_not1_b32 s0, s44, exec_lo
	s_and_b32 s28, s28, exec_lo
	s_and_not1_b32 s30, s45, exec_lo
	s_and_b32 s29, s29, exec_lo
	s_or_b32 s50, s0, s28
	s_or_b32 s47, s30, s29
	s_or_not1_b32 s28, s31, exec_lo
.LBB39_816:
	s_wait_xcnt 0x0
	s_or_b32 exec_lo, exec_lo, s51
	s_mov_b32 s0, 0
                                        ; implicit-def: $vgpr4
                                        ; implicit-def: $vgpr8
                                        ; implicit-def: $vgpr2
	s_and_saveexec_b32 s51, s28
	s_cbranch_execz .LBB39_1266
; %bb.817:
	s_mov_b32 s29, -1
	s_mov_b32 s0, s47
	s_mov_b32 s54, s50
	;; [unrolled: 1-line block ×4, first 2 shown]
	s_mov_b32 s52, exec_lo
	v_cmpx_gt_i32_e64 s41, v0
	s_cbranch_execz .LBB39_1230
; %bb.818:
	s_and_not1_b32 vcc_lo, exec_lo, s35
	s_cbranch_vccnz .LBB39_824
; %bb.819:
	s_and_not1_b32 vcc_lo, exec_lo, s42
	s_cbranch_vccnz .LBB39_825
; %bb.820:
	v_dual_mov_b32 v2, 0 :: v_dual_mov_b32 v1, v0
	s_wait_loadcnt 0x0
	v_dual_mov_b32 v4, 0 :: v_dual_mov_b32 v6, 0
	s_add_co_i32 s0, s40, 1
	s_mov_b64 s[28:29], 0xffffffffffffffe0
	s_and_b32 s0, s0, 30
	s_add_nc_u64 s[28:29], s[2:3], s[28:29]
	s_mov_b64 s[30:31], s[2:3]
.LBB39_821:                             ; =>This Inner Loop Header: Depth=1
	s_clause 0x1
	s_load_b128 s[56:59], s[30:31], 0x4
	s_load_b64 s[54:55], s[30:31], 0x14
	s_load_b32 s53, s[28:29], 0xe4
	s_add_co_i32 s0, s0, -2
	s_wait_xcnt 0x0
	s_add_nc_u64 s[30:31], s[30:31], 24
	s_cmp_eq_u32 s0, 0
	s_wait_kmcnt 0x0
	v_mul_hi_u32 v3, s57, v1
	s_delay_alu instid0(VALU_DEP_1) | instskip(NEXT) | instid1(VALU_DEP_1)
	v_add_nc_u32_e32 v3, v1, v3
	v_lshrrev_b32_e32 v3, s58, v3
	s_delay_alu instid0(VALU_DEP_1) | instskip(SKIP_2) | instid1(VALU_DEP_1)
	v_mul_hi_u32 v5, s54, v3
	v_mul_lo_u32 v7, v3, s56
	s_load_b96 s[56:58], s[28:29], 0xec
	v_dual_add_nc_u32 v5, v3, v5 :: v_dual_sub_nc_u32 v7, v1, v7
	s_delay_alu instid0(VALU_DEP_1) | instskip(SKIP_1) | instid1(VALU_DEP_2)
	v_lshrrev_b32_e32 v1, s55, v5
	s_load_b64 s[54:55], s[28:29], 0xfc
	v_mad_u32 v2, v7, s53, v2
	s_wait_xcnt 0x0
	s_add_nc_u64 s[28:29], s[28:29], 32
	v_mul_lo_u32 v5, v1, s59
	s_wait_kmcnt 0x0
	v_mad_u32 v6, v7, s57, v6
	v_mad_u32 v4, v7, s56, v4
	s_delay_alu instid0(VALU_DEP_3) | instskip(NEXT) | instid1(VALU_DEP_1)
	v_sub_nc_u32_e32 v3, v3, v5
	v_mad_u32 v2, v3, s58, v2
	s_delay_alu instid0(VALU_DEP_4) | instskip(NEXT) | instid1(VALU_DEP_4)
	v_mad_u32 v6, v3, s55, v6
	v_mad_u32 v4, v3, s54, v4
	s_cbranch_scc0 .LBB39_821
; %bb.822:
	s_bitcmp1_b32 s40, 0
	s_cselect_b32 s0, -1, 0
	s_delay_alu instid0(SALU_CYCLE_1)
	s_and_b32 vcc_lo, exec_lo, s0
	s_cbranch_vccnz .LBB39_826
; %bb.823:
	s_load_b96 s[56:58], s[30:31], 0x4
	s_load_b32 s0, s[28:29], 0xe4
	s_wait_xcnt 0x0
	s_load_b64 s[30:31], s[28:29], 0xec
	s_wait_kmcnt 0x0
	v_mul_hi_u32 v3, s57, v1
	s_delay_alu instid0(VALU_DEP_1) | instskip(NEXT) | instid1(VALU_DEP_1)
	v_add_nc_u32_e32 v3, v1, v3
	v_lshrrev_b32_e32 v3, s58, v3
	s_delay_alu instid0(VALU_DEP_1) | instskip(NEXT) | instid1(VALU_DEP_1)
	v_mul_lo_u32 v3, v3, s56
	v_sub_nc_u32_e32 v1, v1, v3
	s_delay_alu instid0(VALU_DEP_1)
	v_mad_u32 v2, v1, s0, v2
	v_mad_u32 v4, v1, s30, v4
	;; [unrolled: 1-line block ×3, first 2 shown]
	s_branch .LBB39_826
.LBB39_824:
	s_mov_b32 s0, -1
                                        ; implicit-def: $vgpr6
                                        ; implicit-def: $vgpr4
                                        ; implicit-def: $vgpr2
	s_branch .LBB39_827
.LBB39_825:
	s_wait_loadcnt 0x0
	v_dual_mov_b32 v6, 0 :: v_dual_mov_b32 v4, 0
	v_mov_b32_e32 v2, 0
.LBB39_826:
	s_mov_b32 s0, 0
.LBB39_827:
	s_delay_alu instid0(SALU_CYCLE_1)
	s_and_not1_b32 vcc_lo, exec_lo, s0
	s_cbranch_vccnz .LBB39_830
; %bb.828:
	v_mov_b32_e32 v1, 0
	s_and_not1_b32 vcc_lo, exec_lo, s39
	s_delay_alu instid0(VALU_DEP_1) | instskip(NEXT) | instid1(VALU_DEP_1)
	v_mul_u64_e32 v[2:3], s[22:23], v[0:1]
	v_add_nc_u32_e32 v2, v0, v3
	s_wait_loadcnt 0x0
	s_delay_alu instid0(VALU_DEP_1) | instskip(NEXT) | instid1(VALU_DEP_1)
	v_lshrrev_b32_e32 v8, s10, v2
	v_mul_lo_u32 v2, v8, s8
	s_delay_alu instid0(VALU_DEP_1) | instskip(NEXT) | instid1(VALU_DEP_1)
	v_sub_nc_u32_e32 v3, v0, v2
	v_mul_lo_u32 v2, v3, s38
	v_mul_lo_u32 v6, v3, s13
	;; [unrolled: 1-line block ×3, first 2 shown]
	s_cbranch_vccnz .LBB39_830
; %bb.829:
	v_mov_b32_e32 v9, v1
	s_delay_alu instid0(VALU_DEP_1) | instskip(NEXT) | instid1(VALU_DEP_1)
	v_mul_u64_e32 v[10:11], s[26:27], v[8:9]
	v_add_nc_u32_e32 v1, v8, v11
	s_delay_alu instid0(VALU_DEP_1) | instskip(NEXT) | instid1(VALU_DEP_1)
	v_lshrrev_b32_e32 v1, s1, v1
	v_mul_lo_u32 v1, v1, s11
	s_delay_alu instid0(VALU_DEP_1) | instskip(NEXT) | instid1(VALU_DEP_1)
	v_sub_nc_u32_e32 v1, v8, v1
	v_mad_u32 v2, v1, s14, v2
	v_mad_u32 v4, v1, s24, v4
	;; [unrolled: 1-line block ×3, first 2 shown]
.LBB39_830:
	s_and_b32 s28, s37, 0xff
	s_delay_alu instid0(SALU_CYCLE_1)
	s_cmp_lt_i32 s28, 23
	s_cbranch_scc1 .LBB39_834
; %bb.831:
	s_and_b32 s30, 0xffff, s28
	s_delay_alu instid0(SALU_CYCLE_1)
	s_cmp_gt_i32 s30, 43
	s_cbranch_scc0 .LBB39_835
; %bb.832:
	s_cmp_gt_i32 s30, 45
	s_cbranch_scc0 .LBB39_837
; %bb.833:
	s_cmp_eq_u32 s30, 46
	s_mov_b32 s31, 0
	s_cselect_b32 s0, -1, 0
	s_or_b32 s29, s47, exec_lo
	s_branch .LBB39_838
.LBB39_834:
	s_mov_b32 s30, -1
	s_mov_b32 s0, 0
	s_mov_b32 s29, s47
	s_branch .LBB39_844
.LBB39_835:
	s_mov_b32 s31, -1
	s_mov_b32 s0, 0
	s_mov_b32 s29, s47
	s_branch .LBB39_841
.LBB39_836:
	s_mov_b32 s31, 0
	s_branch .LBB39_444
.LBB39_837:
	s_mov_b32 s31, -1
	s_mov_b32 s0, 0
	s_mov_b32 s29, s47
.LBB39_838:
	s_and_not1_b32 vcc_lo, exec_lo, s31
	s_cbranch_vccnz .LBB39_840
; %bb.839:
	s_cmp_eq_u32 s30, 44
	s_cselect_b32 s0, -1, 0
	s_cmp_lg_u32 s30, 44
	s_cselect_b32 s31, -1, 0
	s_and_not1_b32 s29, s29, exec_lo
	s_and_b32 s31, s31, exec_lo
	s_delay_alu instid0(SALU_CYCLE_1)
	s_or_b32 s29, s29, s31
.LBB39_840:
	s_mov_b32 s31, 0
.LBB39_841:
	s_delay_alu instid0(SALU_CYCLE_1)
	s_and_b32 vcc_lo, exec_lo, s31
	s_cbranch_vccz .LBB39_843
; %bb.842:
	s_cmp_lt_i32 s30, 30
	s_cselect_b32 s0, -1, 0
	s_cmp_gt_i32 s30, 29
	s_cselect_b32 s30, -1, 0
	s_and_not1_b32 s29, s29, exec_lo
	s_and_b32 s30, s30, exec_lo
	s_delay_alu instid0(SALU_CYCLE_1)
	s_or_b32 s29, s29, s30
.LBB39_843:
	s_mov_b32 s30, 0
.LBB39_844:
	s_delay_alu instid0(SALU_CYCLE_1)
	s_and_b32 vcc_lo, exec_lo, s30
	s_cbranch_vccz .LBB39_849
; %bb.845:
	s_and_b32 s28, 0xffff, s28
	s_mov_b32 s30, -1
	s_cmp_gt_i32 s28, 14
	s_cbranch_scc0 .LBB39_847
; %bb.846:
	s_cmp_eq_u32 s28, 15
	s_cselect_b32 s0, -1, 0
	s_cmp_lg_u32 s28, 15
	s_cselect_b32 s30, -1, 0
	s_and_not1_b32 s29, s29, exec_lo
	s_and_b32 s31, s30, exec_lo
	s_mov_b32 s30, 0
	s_or_b32 s29, s29, s31
.LBB39_847:
	s_and_not1_b32 vcc_lo, exec_lo, s30
	s_cbranch_vccnz .LBB39_849
; %bb.848:
	s_cmp_lt_i32 s28, 12
	s_cselect_b32 s0, -1, 0
	s_cmp_gt_i32 s28, 11
	s_cselect_b32 s28, -1, 0
	s_and_not1_b32 s29, s29, exec_lo
	s_and_b32 s28, s28, exec_lo
	s_delay_alu instid0(SALU_CYCLE_1)
	s_or_b32 s29, s29, s28
.LBB39_849:
	s_and_b32 vcc_lo, exec_lo, s0
	s_cbranch_vccz .LBB39_857
; %bb.850:
	s_wait_loadcnt 0x0
	v_mov_b32_e32 v5, 0
	s_and_b32 s0, s20, 0xff
	s_delay_alu instid0(SALU_CYCLE_1) | instskip(NEXT) | instid1(VALU_DEP_1)
	s_cmp_lt_i32 s0, 11
	v_add_nc_u64_e32 v[8:9], s[4:5], v[4:5]
	s_cbranch_scc1 .LBB39_859
; %bb.851:
	s_and_b32 s29, 0xffff, s0
	s_delay_alu instid0(SALU_CYCLE_1)
	s_cmp_gt_i32 s29, 25
	s_cbranch_scc0 .LBB39_860
; %bb.852:
	s_cmp_gt_i32 s29, 28
	s_cbranch_scc0 .LBB39_861
; %bb.853:
	;; [unrolled: 3-line block ×4, first 2 shown]
	s_cmp_eq_u32 s29, 46
	s_mov_b32 s31, 0
	s_cbranch_scc0 .LBB39_866
; %bb.856:
	global_load_b32 v1, v[8:9], off
	s_mov_b32 s30, -1
	s_mov_b32 s28, 0
	s_wait_loadcnt 0x0
	v_lshlrev_b32_e32 v1, 16, v1
	s_delay_alu instid0(VALU_DEP_1)
	v_cvt_i32_f32_e32 v4, v1
	s_branch .LBB39_868
.LBB39_857:
	s_mov_b32 s31, 0
	s_mov_b32 s0, s48
	;; [unrolled: 1-line block ×4, first 2 shown]
.LBB39_858:
                                        ; implicit-def: $vgpr0
	s_branch .LBB39_1229
.LBB39_859:
	s_mov_b32 s29, -1
	s_mov_b32 s30, 0
	s_mov_b32 s28, s50
                                        ; implicit-def: $vgpr4
	s_branch .LBB39_929
.LBB39_860:
	s_mov_b32 s31, -1
	s_mov_b32 s30, 0
	s_mov_b32 s28, s50
                                        ; implicit-def: $vgpr4
	s_branch .LBB39_895
.LBB39_861:
	s_mov_b32 s31, -1
	s_mov_b32 s30, 0
	s_mov_b32 s28, s50
                                        ; implicit-def: $vgpr4
	s_branch .LBB39_878
.LBB39_862:
	s_mov_b32 s31, -1
	s_mov_b32 s30, 0
	s_mov_b32 s28, s50
                                        ; implicit-def: $vgpr4
	s_branch .LBB39_873
.LBB39_863:
	s_mov_b32 s31, -1
	s_mov_b32 s30, 0
	s_mov_b32 s28, s50
	s_branch .LBB39_867
.LBB39_864:
	s_and_not1_saveexec_b32 s50, s50
	s_cbranch_execz .LBB39_726
.LBB39_865:
	v_add_f32_e64 v5, 0x46000000, |v4|
	s_and_not1_b32 s49, s49, exec_lo
	s_delay_alu instid0(VALU_DEP_1) | instskip(NEXT) | instid1(VALU_DEP_1)
	v_and_b32_e32 v5, 0xff, v5
	v_cmp_ne_u32_e32 vcc_lo, 0, v5
	s_and_b32 s52, vcc_lo, exec_lo
	s_delay_alu instid0(SALU_CYCLE_1)
	s_or_b32 s49, s49, s52
	s_or_b32 exec_lo, exec_lo, s50
	v_mov_b32_e32 v6, 0
	s_and_saveexec_b32 s50, s49
	s_cbranch_execnz .LBB39_727
	s_branch .LBB39_728
.LBB39_866:
	s_mov_b32 s28, -1
	s_mov_b32 s30, 0
.LBB39_867:
                                        ; implicit-def: $vgpr4
.LBB39_868:
	s_and_b32 vcc_lo, exec_lo, s31
	s_cbranch_vccz .LBB39_872
; %bb.869:
	s_cmp_eq_u32 s29, 44
	s_cbranch_scc0 .LBB39_871
; %bb.870:
	global_load_u8 v1, v[8:9], off
	s_mov_b32 s28, 0
	s_mov_b32 s30, -1
	s_wait_loadcnt 0x0
	v_lshlrev_b32_e32 v3, 23, v1
	v_cmp_ne_u32_e32 vcc_lo, 0, v1
	s_delay_alu instid0(VALU_DEP_2) | instskip(NEXT) | instid1(VALU_DEP_1)
	v_cvt_i32_f32_e32 v3, v3
	v_cndmask_b32_e32 v4, 0, v3, vcc_lo
	s_branch .LBB39_872
.LBB39_871:
	s_mov_b32 s28, -1
                                        ; implicit-def: $vgpr4
.LBB39_872:
	s_mov_b32 s31, 0
.LBB39_873:
	s_delay_alu instid0(SALU_CYCLE_1)
	s_and_b32 vcc_lo, exec_lo, s31
	s_cbranch_vccz .LBB39_877
; %bb.874:
	s_cmp_eq_u32 s29, 29
	s_cbranch_scc0 .LBB39_876
; %bb.875:
	global_load_b64 v[4:5], v[8:9], off
	s_mov_b32 s30, -1
	s_mov_b32 s28, 0
	s_branch .LBB39_877
.LBB39_876:
	s_mov_b32 s28, -1
                                        ; implicit-def: $vgpr4
.LBB39_877:
	s_mov_b32 s31, 0
.LBB39_878:
	s_delay_alu instid0(SALU_CYCLE_1)
	s_and_b32 vcc_lo, exec_lo, s31
	s_cbranch_vccz .LBB39_894
; %bb.879:
	s_cmp_lt_i32 s29, 27
	s_cbranch_scc1 .LBB39_882
; %bb.880:
	s_cmp_gt_i32 s29, 27
	s_cbranch_scc0 .LBB39_883
; %bb.881:
	s_wait_loadcnt 0x0
	global_load_b32 v4, v[8:9], off
	s_mov_b32 s30, 0
	s_branch .LBB39_884
.LBB39_882:
	s_mov_b32 s30, -1
                                        ; implicit-def: $vgpr4
	s_branch .LBB39_887
.LBB39_883:
	s_mov_b32 s30, -1
                                        ; implicit-def: $vgpr4
.LBB39_884:
	s_delay_alu instid0(SALU_CYCLE_1)
	s_and_not1_b32 vcc_lo, exec_lo, s30
	s_cbranch_vccnz .LBB39_886
; %bb.885:
	s_wait_loadcnt 0x0
	global_load_u16 v4, v[8:9], off
.LBB39_886:
	s_mov_b32 s30, 0
.LBB39_887:
	s_delay_alu instid0(SALU_CYCLE_1)
	s_and_not1_b32 vcc_lo, exec_lo, s30
	s_cbranch_vccnz .LBB39_893
; %bb.888:
	global_load_u8 v1, v[8:9], off
	s_mov_b32 s31, 0
	s_mov_b32 s30, exec_lo
	s_wait_loadcnt 0x0
	v_cmpx_lt_i16_e32 0x7f, v1
	s_xor_b32 s30, exec_lo, s30
	s_cbranch_execz .LBB39_905
; %bb.889:
	v_cmp_ne_u16_e32 vcc_lo, 0x80, v1
	s_and_b32 s31, vcc_lo, exec_lo
	s_and_not1_saveexec_b32 s30, s30
	s_cbranch_execnz .LBB39_906
.LBB39_890:
	s_or_b32 exec_lo, exec_lo, s30
	v_mov_b32_e32 v4, 0
	s_and_saveexec_b32 s30, s31
	s_cbranch_execz .LBB39_892
.LBB39_891:
	v_and_b32_e32 v3, 0xffff, v1
	s_delay_alu instid0(VALU_DEP_1) | instskip(SKIP_1) | instid1(VALU_DEP_2)
	v_and_b32_e32 v4, 7, v3
	v_bfe_u32 v10, v3, 3, 4
	v_clz_i32_u32_e32 v5, v4
	s_delay_alu instid0(VALU_DEP_2) | instskip(NEXT) | instid1(VALU_DEP_2)
	v_cmp_eq_u32_e32 vcc_lo, 0, v10
	v_min_u32_e32 v5, 32, v5
	s_delay_alu instid0(VALU_DEP_1) | instskip(NEXT) | instid1(VALU_DEP_1)
	v_subrev_nc_u32_e32 v7, 28, v5
	v_dual_lshlrev_b32 v3, v7, v3 :: v_dual_sub_nc_u32 v5, 29, v5
	s_delay_alu instid0(VALU_DEP_1) | instskip(NEXT) | instid1(VALU_DEP_1)
	v_dual_lshlrev_b32 v1, 24, v1 :: v_dual_bitop2_b32 v3, 7, v3 bitop3:0x40
	v_dual_cndmask_b32 v3, v4, v3, vcc_lo :: v_dual_cndmask_b32 v5, v10, v5, vcc_lo
	s_delay_alu instid0(VALU_DEP_2) | instskip(NEXT) | instid1(VALU_DEP_2)
	v_and_b32_e32 v1, 0x80000000, v1
	v_lshlrev_b32_e32 v3, 20, v3
	s_delay_alu instid0(VALU_DEP_3) | instskip(NEXT) | instid1(VALU_DEP_1)
	v_lshl_add_u32 v4, v5, 23, 0x3b800000
	v_or3_b32 v1, v1, v4, v3
	s_delay_alu instid0(VALU_DEP_1)
	v_cvt_i32_f32_e32 v4, v1
.LBB39_892:
	s_or_b32 exec_lo, exec_lo, s30
.LBB39_893:
	s_mov_b32 s30, -1
.LBB39_894:
	s_mov_b32 s31, 0
.LBB39_895:
	s_delay_alu instid0(SALU_CYCLE_1)
	s_and_b32 vcc_lo, exec_lo, s31
	s_cbranch_vccz .LBB39_928
; %bb.896:
	s_cmp_gt_i32 s29, 22
	s_cbranch_scc0 .LBB39_904
; %bb.897:
	s_cmp_lt_i32 s29, 24
	s_cbranch_scc1 .LBB39_907
; %bb.898:
	s_cmp_gt_i32 s29, 24
	s_cbranch_scc0 .LBB39_908
; %bb.899:
	global_load_u8 v1, v[8:9], off
	s_mov_b32 s31, 0
	s_mov_b32 s30, exec_lo
	s_wait_loadcnt 0x0
	v_cmpx_lt_i16_e32 0x7f, v1
	s_xor_b32 s30, exec_lo, s30
	s_cbranch_execz .LBB39_920
; %bb.900:
	v_cmp_ne_u16_e32 vcc_lo, 0x80, v1
	s_and_b32 s31, vcc_lo, exec_lo
	s_and_not1_saveexec_b32 s30, s30
	s_cbranch_execnz .LBB39_921
.LBB39_901:
	s_or_b32 exec_lo, exec_lo, s30
	v_mov_b32_e32 v4, 0
	s_and_saveexec_b32 s30, s31
	s_cbranch_execz .LBB39_903
.LBB39_902:
	v_and_b32_e32 v3, 0xffff, v1
	s_delay_alu instid0(VALU_DEP_1) | instskip(SKIP_1) | instid1(VALU_DEP_2)
	v_and_b32_e32 v4, 3, v3
	v_bfe_u32 v10, v3, 2, 5
	v_clz_i32_u32_e32 v5, v4
	s_delay_alu instid0(VALU_DEP_2) | instskip(NEXT) | instid1(VALU_DEP_2)
	v_cmp_eq_u32_e32 vcc_lo, 0, v10
	v_min_u32_e32 v5, 32, v5
	s_delay_alu instid0(VALU_DEP_1) | instskip(NEXT) | instid1(VALU_DEP_1)
	v_subrev_nc_u32_e32 v7, 29, v5
	v_dual_lshlrev_b32 v3, v7, v3 :: v_dual_sub_nc_u32 v5, 30, v5
	s_delay_alu instid0(VALU_DEP_1) | instskip(NEXT) | instid1(VALU_DEP_1)
	v_dual_lshlrev_b32 v1, 24, v1 :: v_dual_bitop2_b32 v3, 3, v3 bitop3:0x40
	v_dual_cndmask_b32 v3, v4, v3, vcc_lo :: v_dual_cndmask_b32 v5, v10, v5, vcc_lo
	s_delay_alu instid0(VALU_DEP_2) | instskip(NEXT) | instid1(VALU_DEP_2)
	v_and_b32_e32 v1, 0x80000000, v1
	v_lshlrev_b32_e32 v3, 21, v3
	s_delay_alu instid0(VALU_DEP_3) | instskip(NEXT) | instid1(VALU_DEP_1)
	v_lshl_add_u32 v4, v5, 23, 0x37800000
	v_or3_b32 v1, v1, v4, v3
	s_delay_alu instid0(VALU_DEP_1)
	v_cvt_i32_f32_e32 v4, v1
.LBB39_903:
	s_or_b32 exec_lo, exec_lo, s30
	s_mov_b32 s30, 0
	s_branch .LBB39_909
.LBB39_904:
	s_mov_b32 s31, -1
                                        ; implicit-def: $vgpr4
	s_branch .LBB39_915
.LBB39_905:
	s_and_not1_saveexec_b32 s30, s30
	s_cbranch_execz .LBB39_890
.LBB39_906:
	v_cmp_ne_u16_e32 vcc_lo, 0, v1
	s_and_not1_b32 s31, s31, exec_lo
	s_and_b32 s53, vcc_lo, exec_lo
	s_delay_alu instid0(SALU_CYCLE_1)
	s_or_b32 s31, s31, s53
	s_or_b32 exec_lo, exec_lo, s30
	v_mov_b32_e32 v4, 0
	s_and_saveexec_b32 s30, s31
	s_cbranch_execnz .LBB39_891
	s_branch .LBB39_892
.LBB39_907:
	s_mov_b32 s30, -1
                                        ; implicit-def: $vgpr4
	s_branch .LBB39_912
.LBB39_908:
	s_mov_b32 s30, -1
                                        ; implicit-def: $vgpr4
.LBB39_909:
	s_delay_alu instid0(SALU_CYCLE_1)
	s_and_b32 vcc_lo, exec_lo, s30
	s_cbranch_vccz .LBB39_911
; %bb.910:
	global_load_u8 v1, v[8:9], off
	s_wait_loadcnt 0x0
	v_lshlrev_b32_e32 v1, 24, v1
	s_delay_alu instid0(VALU_DEP_1) | instskip(NEXT) | instid1(VALU_DEP_1)
	v_and_b32_e32 v3, 0x7f000000, v1
	v_clz_i32_u32_e32 v4, v3
	v_add_nc_u32_e32 v7, 0x1000000, v3
	v_cmp_ne_u32_e32 vcc_lo, 0, v3
	s_delay_alu instid0(VALU_DEP_3) | instskip(NEXT) | instid1(VALU_DEP_1)
	v_min_u32_e32 v4, 32, v4
	v_sub_nc_u32_e64 v4, v4, 4 clamp
	s_delay_alu instid0(VALU_DEP_1) | instskip(NEXT) | instid1(VALU_DEP_1)
	v_dual_lshlrev_b32 v5, v4, v3 :: v_dual_lshlrev_b32 v4, 23, v4
	v_lshrrev_b32_e32 v5, 4, v5
	s_delay_alu instid0(VALU_DEP_1) | instskip(NEXT) | instid1(VALU_DEP_1)
	v_dual_sub_nc_u32 v4, v5, v4 :: v_dual_ashrrev_i32 v5, 8, v7
	v_add_nc_u32_e32 v4, 0x3c000000, v4
	s_delay_alu instid0(VALU_DEP_1) | instskip(NEXT) | instid1(VALU_DEP_1)
	v_and_or_b32 v4, 0x7f800000, v5, v4
	v_cndmask_b32_e32 v3, 0, v4, vcc_lo
	s_delay_alu instid0(VALU_DEP_1) | instskip(NEXT) | instid1(VALU_DEP_1)
	v_and_or_b32 v1, 0x80000000, v1, v3
	v_cvt_i32_f32_e32 v4, v1
.LBB39_911:
	s_mov_b32 s30, 0
.LBB39_912:
	s_delay_alu instid0(SALU_CYCLE_1)
	s_and_not1_b32 vcc_lo, exec_lo, s30
	s_cbranch_vccnz .LBB39_914
; %bb.913:
	global_load_u8 v1, v[8:9], off
	s_wait_loadcnt 0x0
	v_lshlrev_b32_e32 v3, 25, v1
	v_lshlrev_b16 v1, 8, v1
	s_delay_alu instid0(VALU_DEP_1) | instskip(NEXT) | instid1(VALU_DEP_3)
	v_and_or_b32 v5, 0x7f00, v1, 0.5
	v_lshrrev_b32_e32 v4, 4, v3
	v_bfe_i32 v1, v1, 0, 16
	s_delay_alu instid0(VALU_DEP_3) | instskip(NEXT) | instid1(VALU_DEP_3)
	v_add_f32_e32 v5, -0.5, v5
	v_or_b32_e32 v4, 0x70000000, v4
	s_delay_alu instid0(VALU_DEP_1) | instskip(SKIP_1) | instid1(VALU_DEP_2)
	v_mul_f32_e32 v4, 0x7800000, v4
	v_cmp_gt_u32_e32 vcc_lo, 0x8000000, v3
	v_cndmask_b32_e32 v3, v4, v5, vcc_lo
	s_delay_alu instid0(VALU_DEP_1) | instskip(NEXT) | instid1(VALU_DEP_1)
	v_and_or_b32 v1, 0x80000000, v1, v3
	v_cvt_i32_f32_e32 v4, v1
.LBB39_914:
	s_mov_b32 s31, 0
	s_mov_b32 s30, -1
.LBB39_915:
	s_and_not1_b32 vcc_lo, exec_lo, s31
	s_cbranch_vccnz .LBB39_928
; %bb.916:
	s_cmp_gt_i32 s29, 14
	s_cbranch_scc0 .LBB39_919
; %bb.917:
	s_cmp_eq_u32 s29, 15
	s_cbranch_scc0 .LBB39_922
; %bb.918:
	global_load_u16 v1, v[8:9], off
	s_mov_b32 s30, -1
	s_mov_b32 s28, 0
	s_wait_loadcnt 0x0
	v_lshlrev_b32_e32 v1, 16, v1
	s_delay_alu instid0(VALU_DEP_1)
	v_cvt_i32_f32_e32 v4, v1
	s_branch .LBB39_923
.LBB39_919:
	s_mov_b32 s31, -1
                                        ; implicit-def: $vgpr4
	s_branch .LBB39_924
.LBB39_920:
	s_and_not1_saveexec_b32 s30, s30
	s_cbranch_execz .LBB39_901
.LBB39_921:
	v_cmp_ne_u16_e32 vcc_lo, 0, v1
	s_and_not1_b32 s31, s31, exec_lo
	s_and_b32 s53, vcc_lo, exec_lo
	s_delay_alu instid0(SALU_CYCLE_1)
	s_or_b32 s31, s31, s53
	s_or_b32 exec_lo, exec_lo, s30
	v_mov_b32_e32 v4, 0
	s_and_saveexec_b32 s30, s31
	s_cbranch_execnz .LBB39_902
	s_branch .LBB39_903
.LBB39_922:
	s_mov_b32 s28, -1
                                        ; implicit-def: $vgpr4
.LBB39_923:
	s_mov_b32 s31, 0
.LBB39_924:
	s_delay_alu instid0(SALU_CYCLE_1)
	s_and_b32 vcc_lo, exec_lo, s31
	s_cbranch_vccz .LBB39_928
; %bb.925:
	s_cmp_eq_u32 s29, 11
	s_cbranch_scc0 .LBB39_927
; %bb.926:
	global_load_u8 v1, v[8:9], off
	s_mov_b32 s28, 0
	s_mov_b32 s30, -1
	s_wait_loadcnt 0x0
	v_cmp_ne_u16_e32 vcc_lo, 0, v1
	v_cndmask_b32_e64 v4, 0, 1, vcc_lo
	s_branch .LBB39_928
.LBB39_927:
	s_mov_b32 s28, -1
                                        ; implicit-def: $vgpr4
.LBB39_928:
	s_mov_b32 s29, 0
.LBB39_929:
	s_delay_alu instid0(SALU_CYCLE_1)
	s_and_b32 vcc_lo, exec_lo, s29
	s_cbranch_vccz .LBB39_978
; %bb.930:
	s_and_b32 s0, 0xffff, s0
	s_delay_alu instid0(SALU_CYCLE_1)
	s_cmp_lt_i32 s0, 5
	s_cbranch_scc1 .LBB39_935
; %bb.931:
	s_cmp_lt_i32 s0, 8
	s_cbranch_scc1 .LBB39_936
; %bb.932:
	;; [unrolled: 3-line block ×3, first 2 shown]
	s_cmp_gt_i32 s0, 9
	s_cbranch_scc0 .LBB39_938
; %bb.934:
	s_wait_loadcnt 0x0
	global_load_b64 v[4:5], v[8:9], off
	s_mov_b32 s29, 0
	s_wait_loadcnt 0x0
	v_cvt_i32_f64_e32 v4, v[4:5]
	s_branch .LBB39_939
.LBB39_935:
	s_mov_b32 s29, -1
                                        ; implicit-def: $vgpr4
	s_branch .LBB39_957
.LBB39_936:
	s_mov_b32 s29, -1
                                        ; implicit-def: $vgpr4
	s_branch .LBB39_945
.LBB39_937:
	s_mov_b32 s29, -1
                                        ; implicit-def: $vgpr4
	s_branch .LBB39_942
.LBB39_938:
	s_mov_b32 s29, -1
                                        ; implicit-def: $vgpr4
.LBB39_939:
	s_delay_alu instid0(SALU_CYCLE_1)
	s_and_not1_b32 vcc_lo, exec_lo, s29
	s_cbranch_vccnz .LBB39_941
; %bb.940:
	global_load_b32 v1, v[8:9], off
	s_wait_loadcnt 0x0
	v_cvt_i32_f32_e32 v4, v1
.LBB39_941:
	s_mov_b32 s29, 0
.LBB39_942:
	s_delay_alu instid0(SALU_CYCLE_1)
	s_and_not1_b32 vcc_lo, exec_lo, s29
	s_cbranch_vccnz .LBB39_944
; %bb.943:
	global_load_b32 v1, v[8:9], off
	s_wait_loadcnt 0x0
	v_cvt_i16_f16_e32 v4, v1
.LBB39_944:
	s_mov_b32 s29, 0
.LBB39_945:
	s_delay_alu instid0(SALU_CYCLE_1)
	s_and_not1_b32 vcc_lo, exec_lo, s29
	s_cbranch_vccnz .LBB39_956
; %bb.946:
	s_cmp_lt_i32 s0, 6
	s_cbranch_scc1 .LBB39_949
; %bb.947:
	s_cmp_gt_i32 s0, 6
	s_cbranch_scc0 .LBB39_950
; %bb.948:
	s_wait_loadcnt 0x0
	global_load_b64 v[4:5], v[8:9], off
	s_mov_b32 s29, 0
	s_wait_loadcnt 0x0
	v_cvt_i32_f64_e32 v4, v[4:5]
	s_branch .LBB39_951
.LBB39_949:
	s_mov_b32 s29, -1
                                        ; implicit-def: $vgpr4
	s_branch .LBB39_954
.LBB39_950:
	s_mov_b32 s29, -1
                                        ; implicit-def: $vgpr4
.LBB39_951:
	s_delay_alu instid0(SALU_CYCLE_1)
	s_and_not1_b32 vcc_lo, exec_lo, s29
	s_cbranch_vccnz .LBB39_953
; %bb.952:
	global_load_b32 v1, v[8:9], off
	s_wait_loadcnt 0x0
	v_cvt_i32_f32_e32 v4, v1
.LBB39_953:
	s_mov_b32 s29, 0
.LBB39_954:
	s_delay_alu instid0(SALU_CYCLE_1)
	s_and_not1_b32 vcc_lo, exec_lo, s29
	s_cbranch_vccnz .LBB39_956
; %bb.955:
	global_load_u16 v1, v[8:9], off
	s_wait_loadcnt 0x0
	v_cvt_i16_f16_e32 v4, v1
.LBB39_956:
	s_mov_b32 s29, 0
.LBB39_957:
	s_delay_alu instid0(SALU_CYCLE_1)
	s_and_not1_b32 vcc_lo, exec_lo, s29
	s_cbranch_vccnz .LBB39_977
; %bb.958:
	s_cmp_lt_i32 s0, 2
	s_cbranch_scc1 .LBB39_962
; %bb.959:
	s_cmp_lt_i32 s0, 3
	s_cbranch_scc1 .LBB39_963
; %bb.960:
	s_cmp_gt_i32 s0, 3
	s_cbranch_scc0 .LBB39_964
; %bb.961:
	s_wait_loadcnt 0x0
	global_load_b64 v[4:5], v[8:9], off
	s_mov_b32 s29, 0
	s_branch .LBB39_965
.LBB39_962:
	s_mov_b32 s29, -1
                                        ; implicit-def: $vgpr4
	s_branch .LBB39_971
.LBB39_963:
	s_mov_b32 s29, -1
                                        ; implicit-def: $vgpr4
	s_branch .LBB39_968
.LBB39_964:
	s_mov_b32 s29, -1
                                        ; implicit-def: $vgpr4
.LBB39_965:
	s_delay_alu instid0(SALU_CYCLE_1)
	s_and_not1_b32 vcc_lo, exec_lo, s29
	s_cbranch_vccnz .LBB39_967
; %bb.966:
	s_wait_loadcnt 0x0
	global_load_b32 v4, v[8:9], off
.LBB39_967:
	s_mov_b32 s29, 0
.LBB39_968:
	s_delay_alu instid0(SALU_CYCLE_1)
	s_and_not1_b32 vcc_lo, exec_lo, s29
	s_cbranch_vccnz .LBB39_970
; %bb.969:
	s_wait_loadcnt 0x0
	global_load_u16 v4, v[8:9], off
.LBB39_970:
	s_mov_b32 s29, 0
.LBB39_971:
	s_delay_alu instid0(SALU_CYCLE_1)
	s_and_not1_b32 vcc_lo, exec_lo, s29
	s_cbranch_vccnz .LBB39_977
; %bb.972:
	s_cmp_gt_i32 s0, 0
	s_mov_b32 s0, 0
	s_cbranch_scc0 .LBB39_974
; %bb.973:
	s_wait_loadcnt 0x0
	global_load_u8 v4, v[8:9], off
	s_branch .LBB39_975
.LBB39_974:
	s_mov_b32 s0, -1
                                        ; implicit-def: $vgpr4
.LBB39_975:
	s_delay_alu instid0(SALU_CYCLE_1)
	s_and_not1_b32 vcc_lo, exec_lo, s0
	s_cbranch_vccnz .LBB39_977
; %bb.976:
	s_wait_loadcnt 0x0
	global_load_u8 v4, v[8:9], off
.LBB39_977:
	s_mov_b32 s30, -1
.LBB39_978:
	s_mov_b32 s29, 0
	s_mov_b32 s0, s48
	s_and_not1_b32 vcc_lo, exec_lo, s30
	s_mov_b32 s30, s49
	s_mov_b32 s31, 0
	s_cbranch_vccnz .LBB39_1229
; %bb.979:
	v_mov_b32_e32 v7, 0
	s_and_b32 s0, s17, 0xff
	s_delay_alu instid0(SALU_CYCLE_1) | instskip(NEXT) | instid1(VALU_DEP_1)
	s_cmp_lt_i32 s0, 11
	v_add_nc_u64_e32 v[6:7], s[6:7], v[6:7]
	s_cbranch_scc1 .LBB39_986
; %bb.980:
	s_and_b32 s31, 0xffff, s0
	s_delay_alu instid0(SALU_CYCLE_1)
	s_cmp_gt_i32 s31, 25
	s_cbranch_scc0 .LBB39_987
; %bb.981:
	s_cmp_gt_i32 s31, 28
	s_cbranch_scc0 .LBB39_988
; %bb.982:
	;; [unrolled: 3-line block ×4, first 2 shown]
	s_cmp_eq_u32 s31, 46
	s_mov_b32 s54, 0
	s_cbranch_scc0 .LBB39_993
; %bb.985:
	global_load_b32 v1, v[6:7], off
	s_mov_b32 s53, -1
	s_mov_b32 s30, 0
	s_wait_loadcnt 0x0
	v_lshlrev_b32_e32 v1, 16, v1
	s_wait_xcnt 0x1
	s_delay_alu instid0(VALU_DEP_1)
	v_cvt_i32_f32_e32 v8, v1
	s_branch .LBB39_995
.LBB39_986:
	s_mov_b32 s31, -1
	s_mov_b32 s53, 0
	s_mov_b32 s30, s49
                                        ; implicit-def: $vgpr8
	s_branch .LBB39_1056
.LBB39_987:
	s_mov_b32 s54, -1
	s_mov_b32 s53, 0
	s_mov_b32 s30, s49
                                        ; implicit-def: $vgpr8
	s_branch .LBB39_1022
.LBB39_988:
	s_mov_b32 s54, -1
	s_mov_b32 s53, 0
	s_mov_b32 s30, s49
                                        ; implicit-def: $vgpr8
	s_branch .LBB39_1005
.LBB39_989:
	s_mov_b32 s54, -1
	s_mov_b32 s53, 0
	s_mov_b32 s30, s49
                                        ; implicit-def: $vgpr8
	s_branch .LBB39_1000
.LBB39_990:
	s_mov_b32 s54, -1
	s_mov_b32 s53, 0
	s_mov_b32 s30, s49
	s_branch .LBB39_994
.LBB39_991:
	s_and_not1_saveexec_b32 s50, s50
	s_cbranch_execz .LBB39_739
.LBB39_992:
	v_add_f32_e64 v5, 0x42800000, |v4|
	s_and_not1_b32 s49, s49, exec_lo
	s_delay_alu instid0(VALU_DEP_1) | instskip(NEXT) | instid1(VALU_DEP_1)
	v_and_b32_e32 v5, 0xff, v5
	v_cmp_ne_u32_e32 vcc_lo, 0, v5
	s_and_b32 s52, vcc_lo, exec_lo
	s_delay_alu instid0(SALU_CYCLE_1)
	s_or_b32 s49, s49, s52
	s_or_b32 exec_lo, exec_lo, s50
	v_mov_b32_e32 v6, 0
	s_and_saveexec_b32 s50, s49
	s_cbranch_execnz .LBB39_740
	s_branch .LBB39_741
.LBB39_993:
	s_mov_b32 s30, -1
	s_mov_b32 s53, 0
.LBB39_994:
                                        ; implicit-def: $vgpr8
.LBB39_995:
	s_and_b32 vcc_lo, exec_lo, s54
	s_cbranch_vccz .LBB39_999
; %bb.996:
	s_cmp_eq_u32 s31, 44
	s_cbranch_scc0 .LBB39_998
; %bb.997:
	global_load_u8 v1, v[6:7], off
	s_mov_b32 s30, 0
	s_mov_b32 s53, -1
	s_wait_loadcnt 0x0
	v_lshlrev_b32_e32 v3, 23, v1
	v_cmp_ne_u32_e32 vcc_lo, 0, v1
	s_delay_alu instid0(VALU_DEP_2) | instskip(SKIP_1) | instid1(VALU_DEP_1)
	v_cvt_i32_f32_e32 v3, v3
	s_wait_xcnt 0x1
	v_cndmask_b32_e32 v8, 0, v3, vcc_lo
	s_branch .LBB39_999
.LBB39_998:
	s_mov_b32 s30, -1
                                        ; implicit-def: $vgpr8
.LBB39_999:
	s_mov_b32 s54, 0
.LBB39_1000:
	s_delay_alu instid0(SALU_CYCLE_1)
	s_and_b32 vcc_lo, exec_lo, s54
	s_cbranch_vccz .LBB39_1004
; %bb.1001:
	s_cmp_eq_u32 s31, 29
	s_cbranch_scc0 .LBB39_1003
; %bb.1002:
	global_load_b64 v[8:9], v[6:7], off
	s_mov_b32 s53, -1
	s_mov_b32 s30, 0
	s_branch .LBB39_1004
.LBB39_1003:
	s_mov_b32 s30, -1
                                        ; implicit-def: $vgpr8
.LBB39_1004:
	s_mov_b32 s54, 0
.LBB39_1005:
	s_delay_alu instid0(SALU_CYCLE_1)
	s_and_b32 vcc_lo, exec_lo, s54
	s_cbranch_vccz .LBB39_1021
; %bb.1006:
	s_cmp_lt_i32 s31, 27
	s_cbranch_scc1 .LBB39_1009
; %bb.1007:
	s_cmp_gt_i32 s31, 27
	s_cbranch_scc0 .LBB39_1010
; %bb.1008:
	s_wait_loadcnt 0x0
	global_load_b32 v8, v[6:7], off
	s_mov_b32 s53, 0
	s_branch .LBB39_1011
.LBB39_1009:
	s_mov_b32 s53, -1
                                        ; implicit-def: $vgpr8
	s_branch .LBB39_1014
.LBB39_1010:
	s_mov_b32 s53, -1
                                        ; implicit-def: $vgpr8
.LBB39_1011:
	s_delay_alu instid0(SALU_CYCLE_1)
	s_and_not1_b32 vcc_lo, exec_lo, s53
	s_cbranch_vccnz .LBB39_1013
; %bb.1012:
	s_wait_loadcnt 0x0
	global_load_u16 v8, v[6:7], off
.LBB39_1013:
	s_mov_b32 s53, 0
.LBB39_1014:
	s_delay_alu instid0(SALU_CYCLE_1)
	s_and_not1_b32 vcc_lo, exec_lo, s53
	s_cbranch_vccnz .LBB39_1020
; %bb.1015:
	global_load_u8 v1, v[6:7], off
	s_mov_b32 s54, 0
	s_mov_b32 s53, exec_lo
	s_wait_loadcnt 0x0
	v_cmpx_lt_i16_e32 0x7f, v1
	s_xor_b32 s53, exec_lo, s53
	s_cbranch_execz .LBB39_1032
; %bb.1016:
	v_cmp_ne_u16_e32 vcc_lo, 0x80, v1
	s_and_b32 s54, vcc_lo, exec_lo
	s_and_not1_saveexec_b32 s53, s53
	s_cbranch_execnz .LBB39_1033
.LBB39_1017:
	s_or_b32 exec_lo, exec_lo, s53
	v_mov_b32_e32 v8, 0
	s_and_saveexec_b32 s53, s54
	s_cbranch_execz .LBB39_1019
.LBB39_1018:
	v_and_b32_e32 v3, 0xffff, v1
	s_delay_alu instid0(VALU_DEP_1) | instskip(SKIP_1) | instid1(VALU_DEP_2)
	v_and_b32_e32 v5, 7, v3
	v_bfe_u32 v10, v3, 3, 4
	v_clz_i32_u32_e32 v8, v5
	s_delay_alu instid0(VALU_DEP_2) | instskip(NEXT) | instid1(VALU_DEP_2)
	v_cmp_eq_u32_e32 vcc_lo, 0, v10
	v_min_u32_e32 v8, 32, v8
	s_delay_alu instid0(VALU_DEP_1) | instskip(NEXT) | instid1(VALU_DEP_1)
	v_subrev_nc_u32_e32 v9, 28, v8
	v_dual_lshlrev_b32 v3, v9, v3 :: v_dual_sub_nc_u32 v8, 29, v8
	s_delay_alu instid0(VALU_DEP_1) | instskip(NEXT) | instid1(VALU_DEP_1)
	v_dual_lshlrev_b32 v1, 24, v1 :: v_dual_bitop2_b32 v3, 7, v3 bitop3:0x40
	v_dual_cndmask_b32 v8, v10, v8 :: v_dual_cndmask_b32 v3, v5, v3
	s_delay_alu instid0(VALU_DEP_2) | instskip(NEXT) | instid1(VALU_DEP_2)
	v_and_b32_e32 v1, 0x80000000, v1
	v_lshl_add_u32 v5, v8, 23, 0x3b800000
	s_delay_alu instid0(VALU_DEP_3) | instskip(NEXT) | instid1(VALU_DEP_1)
	v_lshlrev_b32_e32 v3, 20, v3
	v_or3_b32 v1, v1, v5, v3
	s_delay_alu instid0(VALU_DEP_1)
	v_cvt_i32_f32_e32 v8, v1
.LBB39_1019:
	s_or_b32 exec_lo, exec_lo, s53
.LBB39_1020:
	s_mov_b32 s53, -1
.LBB39_1021:
	s_mov_b32 s54, 0
.LBB39_1022:
	s_delay_alu instid0(SALU_CYCLE_1)
	s_and_b32 vcc_lo, exec_lo, s54
	s_cbranch_vccz .LBB39_1055
; %bb.1023:
	s_cmp_gt_i32 s31, 22
	s_cbranch_scc0 .LBB39_1031
; %bb.1024:
	s_cmp_lt_i32 s31, 24
	s_cbranch_scc1 .LBB39_1034
; %bb.1025:
	s_cmp_gt_i32 s31, 24
	s_cbranch_scc0 .LBB39_1035
; %bb.1026:
	global_load_u8 v1, v[6:7], off
	s_mov_b32 s54, 0
	s_mov_b32 s53, exec_lo
	s_wait_loadcnt 0x0
	v_cmpx_lt_i16_e32 0x7f, v1
	s_xor_b32 s53, exec_lo, s53
	s_cbranch_execz .LBB39_1047
; %bb.1027:
	v_cmp_ne_u16_e32 vcc_lo, 0x80, v1
	s_and_b32 s54, vcc_lo, exec_lo
	s_and_not1_saveexec_b32 s53, s53
	s_cbranch_execnz .LBB39_1048
.LBB39_1028:
	s_or_b32 exec_lo, exec_lo, s53
	v_mov_b32_e32 v8, 0
	s_and_saveexec_b32 s53, s54
	s_cbranch_execz .LBB39_1030
.LBB39_1029:
	v_and_b32_e32 v3, 0xffff, v1
	s_delay_alu instid0(VALU_DEP_1) | instskip(SKIP_1) | instid1(VALU_DEP_2)
	v_and_b32_e32 v5, 3, v3
	v_bfe_u32 v10, v3, 2, 5
	v_clz_i32_u32_e32 v8, v5
	s_delay_alu instid0(VALU_DEP_2) | instskip(NEXT) | instid1(VALU_DEP_2)
	v_cmp_eq_u32_e32 vcc_lo, 0, v10
	v_min_u32_e32 v8, 32, v8
	s_delay_alu instid0(VALU_DEP_1) | instskip(NEXT) | instid1(VALU_DEP_1)
	v_subrev_nc_u32_e32 v9, 29, v8
	v_dual_lshlrev_b32 v3, v9, v3 :: v_dual_sub_nc_u32 v8, 30, v8
	s_delay_alu instid0(VALU_DEP_1) | instskip(NEXT) | instid1(VALU_DEP_1)
	v_dual_lshlrev_b32 v1, 24, v1 :: v_dual_bitop2_b32 v3, 3, v3 bitop3:0x40
	v_dual_cndmask_b32 v8, v10, v8 :: v_dual_cndmask_b32 v3, v5, v3
	s_delay_alu instid0(VALU_DEP_2) | instskip(NEXT) | instid1(VALU_DEP_2)
	v_and_b32_e32 v1, 0x80000000, v1
	v_lshl_add_u32 v5, v8, 23, 0x37800000
	s_delay_alu instid0(VALU_DEP_3) | instskip(NEXT) | instid1(VALU_DEP_1)
	v_lshlrev_b32_e32 v3, 21, v3
	v_or3_b32 v1, v1, v5, v3
	s_delay_alu instid0(VALU_DEP_1)
	v_cvt_i32_f32_e32 v8, v1
.LBB39_1030:
	s_or_b32 exec_lo, exec_lo, s53
	s_mov_b32 s53, 0
	s_branch .LBB39_1036
.LBB39_1031:
	s_mov_b32 s54, -1
                                        ; implicit-def: $vgpr8
	s_branch .LBB39_1042
.LBB39_1032:
	s_and_not1_saveexec_b32 s53, s53
	s_cbranch_execz .LBB39_1017
.LBB39_1033:
	v_cmp_ne_u16_e32 vcc_lo, 0, v1
	s_and_not1_b32 s54, s54, exec_lo
	s_and_b32 s55, vcc_lo, exec_lo
	s_delay_alu instid0(SALU_CYCLE_1)
	s_or_b32 s54, s54, s55
	s_or_b32 exec_lo, exec_lo, s53
	v_mov_b32_e32 v8, 0
	s_and_saveexec_b32 s53, s54
	s_cbranch_execnz .LBB39_1018
	s_branch .LBB39_1019
.LBB39_1034:
	s_mov_b32 s53, -1
                                        ; implicit-def: $vgpr8
	s_branch .LBB39_1039
.LBB39_1035:
	s_mov_b32 s53, -1
                                        ; implicit-def: $vgpr8
.LBB39_1036:
	s_delay_alu instid0(SALU_CYCLE_1)
	s_and_b32 vcc_lo, exec_lo, s53
	s_cbranch_vccz .LBB39_1038
; %bb.1037:
	global_load_u8 v1, v[6:7], off
	s_wait_loadcnt 0x0
	v_lshlrev_b32_e32 v1, 24, v1
	s_delay_alu instid0(VALU_DEP_1) | instskip(NEXT) | instid1(VALU_DEP_1)
	v_and_b32_e32 v3, 0x7f000000, v1
	v_clz_i32_u32_e32 v5, v3
	s_wait_xcnt 0x1
	v_add_nc_u32_e32 v9, 0x1000000, v3
	v_cmp_ne_u32_e32 vcc_lo, 0, v3
	s_delay_alu instid0(VALU_DEP_3) | instskip(NEXT) | instid1(VALU_DEP_1)
	v_min_u32_e32 v5, 32, v5
	v_sub_nc_u32_e64 v5, v5, 4 clamp
	s_delay_alu instid0(VALU_DEP_1) | instskip(NEXT) | instid1(VALU_DEP_1)
	v_dual_lshlrev_b32 v8, v5, v3 :: v_dual_lshlrev_b32 v5, 23, v5
	v_lshrrev_b32_e32 v8, 4, v8
	s_delay_alu instid0(VALU_DEP_1) | instskip(SKIP_1) | instid1(VALU_DEP_2)
	v_sub_nc_u32_e32 v5, v8, v5
	v_ashrrev_i32_e32 v8, 8, v9
	v_add_nc_u32_e32 v5, 0x3c000000, v5
	s_delay_alu instid0(VALU_DEP_1) | instskip(NEXT) | instid1(VALU_DEP_1)
	v_and_or_b32 v5, 0x7f800000, v8, v5
	v_cndmask_b32_e32 v3, 0, v5, vcc_lo
	s_delay_alu instid0(VALU_DEP_1) | instskip(NEXT) | instid1(VALU_DEP_1)
	v_and_or_b32 v1, 0x80000000, v1, v3
	v_cvt_i32_f32_e32 v8, v1
.LBB39_1038:
	s_mov_b32 s53, 0
.LBB39_1039:
	s_delay_alu instid0(SALU_CYCLE_1)
	s_and_not1_b32 vcc_lo, exec_lo, s53
	s_cbranch_vccnz .LBB39_1041
; %bb.1040:
	global_load_u8 v1, v[6:7], off
	s_wait_loadcnt 0x0
	v_lshlrev_b32_e32 v3, 25, v1
	v_lshlrev_b16 v1, 8, v1
	s_wait_xcnt 0x1
	s_delay_alu instid0(VALU_DEP_1) | instskip(SKIP_1) | instid1(VALU_DEP_2)
	v_and_or_b32 v8, 0x7f00, v1, 0.5
	v_bfe_i32 v1, v1, 0, 16
	v_dual_add_f32 v8, -0.5, v8 :: v_dual_lshrrev_b32 v5, 4, v3
	v_cmp_gt_u32_e32 vcc_lo, 0x8000000, v3
	s_delay_alu instid0(VALU_DEP_2) | instskip(NEXT) | instid1(VALU_DEP_1)
	v_or_b32_e32 v5, 0x70000000, v5
	v_mul_f32_e32 v5, 0x7800000, v5
	s_delay_alu instid0(VALU_DEP_1) | instskip(NEXT) | instid1(VALU_DEP_1)
	v_cndmask_b32_e32 v3, v5, v8, vcc_lo
	v_and_or_b32 v1, 0x80000000, v1, v3
	s_delay_alu instid0(VALU_DEP_1)
	v_cvt_i32_f32_e32 v8, v1
.LBB39_1041:
	s_mov_b32 s54, 0
	s_mov_b32 s53, -1
.LBB39_1042:
	s_and_not1_b32 vcc_lo, exec_lo, s54
	s_cbranch_vccnz .LBB39_1055
; %bb.1043:
	s_cmp_gt_i32 s31, 14
	s_cbranch_scc0 .LBB39_1046
; %bb.1044:
	s_cmp_eq_u32 s31, 15
	s_cbranch_scc0 .LBB39_1049
; %bb.1045:
	global_load_u16 v1, v[6:7], off
	s_mov_b32 s53, -1
	s_mov_b32 s30, 0
	s_wait_loadcnt 0x0
	v_lshlrev_b32_e32 v1, 16, v1
	s_wait_xcnt 0x1
	s_delay_alu instid0(VALU_DEP_1)
	v_cvt_i32_f32_e32 v8, v1
	s_branch .LBB39_1050
.LBB39_1046:
	s_mov_b32 s54, -1
                                        ; implicit-def: $vgpr8
	s_branch .LBB39_1051
.LBB39_1047:
	s_and_not1_saveexec_b32 s53, s53
	s_cbranch_execz .LBB39_1028
.LBB39_1048:
	v_cmp_ne_u16_e32 vcc_lo, 0, v1
	s_and_not1_b32 s54, s54, exec_lo
	s_and_b32 s55, vcc_lo, exec_lo
	s_delay_alu instid0(SALU_CYCLE_1)
	s_or_b32 s54, s54, s55
	s_or_b32 exec_lo, exec_lo, s53
	v_mov_b32_e32 v8, 0
	s_and_saveexec_b32 s53, s54
	s_cbranch_execnz .LBB39_1029
	s_branch .LBB39_1030
.LBB39_1049:
	s_mov_b32 s30, -1
                                        ; implicit-def: $vgpr8
.LBB39_1050:
	s_mov_b32 s54, 0
.LBB39_1051:
	s_delay_alu instid0(SALU_CYCLE_1)
	s_and_b32 vcc_lo, exec_lo, s54
	s_cbranch_vccz .LBB39_1055
; %bb.1052:
	s_cmp_eq_u32 s31, 11
	s_cbranch_scc0 .LBB39_1054
; %bb.1053:
	global_load_u8 v1, v[6:7], off
	s_mov_b32 s30, 0
	s_mov_b32 s53, -1
	s_wait_loadcnt 0x0
	v_cmp_ne_u16_e32 vcc_lo, 0, v1
	s_wait_xcnt 0x1
	v_cndmask_b32_e64 v8, 0, 1, vcc_lo
	s_branch .LBB39_1055
.LBB39_1054:
	s_mov_b32 s30, -1
                                        ; implicit-def: $vgpr8
.LBB39_1055:
	s_mov_b32 s31, 0
.LBB39_1056:
	s_delay_alu instid0(SALU_CYCLE_1)
	s_and_b32 vcc_lo, exec_lo, s31
	s_cbranch_vccz .LBB39_1105
; %bb.1057:
	s_and_b32 s0, 0xffff, s0
	s_delay_alu instid0(SALU_CYCLE_1)
	s_cmp_lt_i32 s0, 5
	s_cbranch_scc1 .LBB39_1062
; %bb.1058:
	s_cmp_lt_i32 s0, 8
	s_cbranch_scc1 .LBB39_1063
; %bb.1059:
	;; [unrolled: 3-line block ×3, first 2 shown]
	s_cmp_gt_i32 s0, 9
	s_cbranch_scc0 .LBB39_1065
; %bb.1061:
	s_wait_loadcnt 0x0
	global_load_b64 v[8:9], v[6:7], off
	s_mov_b32 s31, 0
	s_wait_loadcnt 0x0
	v_cvt_i32_f64_e32 v8, v[8:9]
	s_branch .LBB39_1066
.LBB39_1062:
	s_mov_b32 s31, -1
                                        ; implicit-def: $vgpr8
	s_branch .LBB39_1084
.LBB39_1063:
	s_mov_b32 s31, -1
                                        ; implicit-def: $vgpr8
	s_branch .LBB39_1072
.LBB39_1064:
	s_mov_b32 s31, -1
                                        ; implicit-def: $vgpr8
	s_branch .LBB39_1069
.LBB39_1065:
	s_mov_b32 s31, -1
                                        ; implicit-def: $vgpr8
.LBB39_1066:
	s_delay_alu instid0(SALU_CYCLE_1)
	s_and_not1_b32 vcc_lo, exec_lo, s31
	s_cbranch_vccnz .LBB39_1068
; %bb.1067:
	global_load_b32 v1, v[6:7], off
	s_wait_loadcnt 0x0
	s_wait_xcnt 0x1
	v_cvt_i32_f32_e32 v8, v1
.LBB39_1068:
	s_mov_b32 s31, 0
.LBB39_1069:
	s_delay_alu instid0(SALU_CYCLE_1)
	s_and_not1_b32 vcc_lo, exec_lo, s31
	s_cbranch_vccnz .LBB39_1071
; %bb.1070:
	global_load_b32 v1, v[6:7], off
	s_wait_loadcnt 0x0
	s_wait_xcnt 0x1
	v_cvt_i16_f16_e32 v8, v1
.LBB39_1071:
	s_mov_b32 s31, 0
.LBB39_1072:
	s_delay_alu instid0(SALU_CYCLE_1)
	s_and_not1_b32 vcc_lo, exec_lo, s31
	s_cbranch_vccnz .LBB39_1083
; %bb.1073:
	s_cmp_lt_i32 s0, 6
	s_cbranch_scc1 .LBB39_1076
; %bb.1074:
	s_cmp_gt_i32 s0, 6
	s_cbranch_scc0 .LBB39_1077
; %bb.1075:
	s_wait_loadcnt 0x0
	global_load_b64 v[8:9], v[6:7], off
	s_mov_b32 s31, 0
	s_wait_loadcnt 0x0
	v_cvt_i32_f64_e32 v8, v[8:9]
	s_branch .LBB39_1078
.LBB39_1076:
	s_mov_b32 s31, -1
                                        ; implicit-def: $vgpr8
	s_branch .LBB39_1081
.LBB39_1077:
	s_mov_b32 s31, -1
                                        ; implicit-def: $vgpr8
.LBB39_1078:
	s_delay_alu instid0(SALU_CYCLE_1)
	s_and_not1_b32 vcc_lo, exec_lo, s31
	s_cbranch_vccnz .LBB39_1080
; %bb.1079:
	global_load_b32 v1, v[6:7], off
	s_wait_loadcnt 0x0
	s_wait_xcnt 0x1
	v_cvt_i32_f32_e32 v8, v1
.LBB39_1080:
	s_mov_b32 s31, 0
.LBB39_1081:
	s_delay_alu instid0(SALU_CYCLE_1)
	s_and_not1_b32 vcc_lo, exec_lo, s31
	s_cbranch_vccnz .LBB39_1083
; %bb.1082:
	global_load_u16 v1, v[6:7], off
	s_wait_loadcnt 0x0
	s_wait_xcnt 0x1
	v_cvt_i16_f16_e32 v8, v1
.LBB39_1083:
	s_mov_b32 s31, 0
.LBB39_1084:
	s_delay_alu instid0(SALU_CYCLE_1)
	s_and_not1_b32 vcc_lo, exec_lo, s31
	s_cbranch_vccnz .LBB39_1104
; %bb.1085:
	s_cmp_lt_i32 s0, 2
	s_cbranch_scc1 .LBB39_1089
; %bb.1086:
	s_cmp_lt_i32 s0, 3
	s_cbranch_scc1 .LBB39_1090
; %bb.1087:
	s_cmp_gt_i32 s0, 3
	s_cbranch_scc0 .LBB39_1091
; %bb.1088:
	s_wait_loadcnt 0x0
	global_load_b64 v[8:9], v[6:7], off
	s_mov_b32 s31, 0
	s_branch .LBB39_1092
.LBB39_1089:
	s_mov_b32 s31, -1
                                        ; implicit-def: $vgpr8
	s_branch .LBB39_1098
.LBB39_1090:
	s_mov_b32 s31, -1
                                        ; implicit-def: $vgpr8
	s_branch .LBB39_1095
.LBB39_1091:
	s_mov_b32 s31, -1
                                        ; implicit-def: $vgpr8
.LBB39_1092:
	s_delay_alu instid0(SALU_CYCLE_1)
	s_and_not1_b32 vcc_lo, exec_lo, s31
	s_cbranch_vccnz .LBB39_1094
; %bb.1093:
	s_wait_loadcnt 0x0
	global_load_b32 v8, v[6:7], off
.LBB39_1094:
	s_mov_b32 s31, 0
.LBB39_1095:
	s_delay_alu instid0(SALU_CYCLE_1)
	s_and_not1_b32 vcc_lo, exec_lo, s31
	s_cbranch_vccnz .LBB39_1097
; %bb.1096:
	s_wait_loadcnt 0x0
	global_load_u16 v8, v[6:7], off
.LBB39_1097:
	s_mov_b32 s31, 0
.LBB39_1098:
	s_delay_alu instid0(SALU_CYCLE_1)
	s_and_not1_b32 vcc_lo, exec_lo, s31
	s_cbranch_vccnz .LBB39_1104
; %bb.1099:
	s_cmp_gt_i32 s0, 0
	s_mov_b32 s0, 0
	s_cbranch_scc0 .LBB39_1101
; %bb.1100:
	s_wait_loadcnt 0x0
	global_load_u8 v8, v[6:7], off
	s_branch .LBB39_1102
.LBB39_1101:
	s_mov_b32 s0, -1
                                        ; implicit-def: $vgpr8
.LBB39_1102:
	s_delay_alu instid0(SALU_CYCLE_1)
	s_and_not1_b32 vcc_lo, exec_lo, s0
	s_cbranch_vccnz .LBB39_1104
; %bb.1103:
	s_wait_loadcnt 0x0
	global_load_u8 v8, v[6:7], off
.LBB39_1104:
	s_mov_b32 s53, -1
.LBB39_1105:
	s_delay_alu instid0(SALU_CYCLE_1)
	s_and_not1_b32 vcc_lo, exec_lo, s53
	s_cbranch_vccnz .LBB39_1113
; %bb.1106:
	v_mov_b32_e32 v3, 0
	s_wait_loadcnt 0x0
	v_mul_lo_u16 v1, v4, s16
	s_and_b32 s31, s9, 0xff
	s_delay_alu instid0(SALU_CYCLE_1) | instskip(SKIP_1) | instid1(VALU_DEP_2)
	s_cmp_lt_i32 s31, 11
	v_add_nc_u64_e32 v[2:3], s[18:19], v[2:3]
	v_mul_lo_u16 v1, v1, v8
	s_cbranch_scc1 .LBB39_1114
; %bb.1107:
	s_and_b32 s53, 0xffff, s31
	s_delay_alu instid0(SALU_CYCLE_1)
	s_cmp_gt_i32 s53, 25
	s_cbranch_scc0 .LBB39_1115
; %bb.1108:
	s_cmp_gt_i32 s53, 28
	s_cbranch_scc0 .LBB39_1116
; %bb.1109:
	s_cmp_gt_i32 s53, 43
	s_cbranch_scc0 .LBB39_1117
; %bb.1110:
	s_cmp_gt_i32 s53, 45
	s_cbranch_scc0 .LBB39_1118
; %bb.1111:
	s_mov_b32 s55, 0
	s_mov_b32 s0, -1
	s_cmp_eq_u32 s53, 46
	s_mov_b32 s54, 0
	s_cbranch_scc0 .LBB39_1119
; %bb.1112:
	v_bfe_i32 v4, v1, 0, 8
	s_mov_b32 s54, -1
	s_mov_b32 s0, 0
	s_delay_alu instid0(VALU_DEP_1) | instskip(NEXT) | instid1(VALU_DEP_1)
	v_bfe_i32 v4, v4, 0, 16
	v_cvt_f32_i32_e32 v4, v4
	s_delay_alu instid0(VALU_DEP_1) | instskip(NEXT) | instid1(VALU_DEP_1)
	v_bfe_u32 v5, v4, 16, 1
	v_add3_u32 v4, v4, v5, 0x7fff
	s_delay_alu instid0(VALU_DEP_1)
	v_lshrrev_b32_e32 v4, 16, v4
	global_store_b32 v[2:3], v4, off
	s_branch .LBB39_1119
.LBB39_1113:
	s_mov_b32 s31, 0
	s_mov_b32 s0, s48
	s_branch .LBB39_858
.LBB39_1114:
	s_mov_b32 s53, -1
	s_mov_b32 s54, 0
	s_mov_b32 s0, s48
	s_branch .LBB39_1188
.LBB39_1115:
	s_mov_b32 s55, -1
	s_mov_b32 s54, 0
	s_mov_b32 s0, s48
	s_branch .LBB39_1146
.LBB39_1116:
	s_mov_b32 s55, -1
	s_mov_b32 s54, 0
	s_mov_b32 s0, s48
	s_branch .LBB39_1129
.LBB39_1117:
	s_mov_b32 s55, -1
	s_mov_b32 s54, 0
	s_mov_b32 s0, s48
	s_branch .LBB39_1125
.LBB39_1118:
	s_mov_b32 s55, -1
	s_mov_b32 s54, 0
	s_mov_b32 s0, s48
.LBB39_1119:
	s_and_b32 vcc_lo, exec_lo, s55
	s_cbranch_vccz .LBB39_1124
; %bb.1120:
	s_cmp_eq_u32 s53, 44
	s_mov_b32 s0, -1
	s_cbranch_scc0 .LBB39_1124
; %bb.1121:
	s_wait_xcnt 0x0
	v_bfe_i32 v4, v1, 0, 8
	v_mov_b32_e32 v5, 0xff
	s_mov_b32 s54, exec_lo
	s_delay_alu instid0(VALU_DEP_2) | instskip(NEXT) | instid1(VALU_DEP_1)
	v_bfe_i32 v4, v4, 0, 16
	v_cvt_f32_i32_e32 v4, v4
	s_delay_alu instid0(VALU_DEP_1) | instskip(NEXT) | instid1(VALU_DEP_1)
	v_bfe_u32 v6, v4, 23, 8
	v_cmpx_ne_u32_e32 0xff, v6
	s_cbranch_execz .LBB39_1123
; %bb.1122:
	v_and_b32_e32 v5, 0x400000, v4
	v_and_or_b32 v6, 0x3fffff, v4, v6
	v_lshrrev_b32_e32 v4, 23, v4
	s_delay_alu instid0(VALU_DEP_3) | instskip(NEXT) | instid1(VALU_DEP_3)
	v_cmp_ne_u32_e32 vcc_lo, 0, v5
	v_cmp_ne_u32_e64 s0, 0, v6
	s_and_b32 s0, vcc_lo, s0
	s_delay_alu instid0(SALU_CYCLE_1) | instskip(NEXT) | instid1(VALU_DEP_1)
	v_cndmask_b32_e64 v5, 0, 1, s0
	v_add_nc_u32_e32 v5, v4, v5
.LBB39_1123:
	s_or_b32 exec_lo, exec_lo, s54
	s_mov_b32 s54, -1
	s_mov_b32 s0, 0
	global_store_b8 v[2:3], v5, off
.LBB39_1124:
	s_mov_b32 s55, 0
.LBB39_1125:
	s_delay_alu instid0(SALU_CYCLE_1)
	s_and_b32 vcc_lo, exec_lo, s55
	s_cbranch_vccz .LBB39_1128
; %bb.1126:
	s_cmp_eq_u32 s53, 29
	s_mov_b32 s0, -1
	s_cbranch_scc0 .LBB39_1128
; %bb.1127:
	s_wait_xcnt 0x0
	v_bfe_i32 v4, v1, 0, 8
	s_mov_b32 s54, -1
	s_mov_b32 s0, 0
	s_mov_b32 s55, 0
	s_delay_alu instid0(VALU_DEP_1)
	v_ashrrev_i32_e32 v5, 31, v4
	global_store_b64 v[2:3], v[4:5], off
	s_branch .LBB39_1129
.LBB39_1128:
	s_mov_b32 s55, 0
.LBB39_1129:
	s_delay_alu instid0(SALU_CYCLE_1)
	s_and_b32 vcc_lo, exec_lo, s55
	s_cbranch_vccz .LBB39_1145
; %bb.1130:
	s_cmp_lt_i32 s53, 27
	s_mov_b32 s54, -1
	s_cbranch_scc1 .LBB39_1136
; %bb.1131:
	s_cmp_gt_i32 s53, 27
	s_cbranch_scc0 .LBB39_1133
; %bb.1132:
	s_wait_xcnt 0x0
	v_bfe_i32 v4, v1, 0, 8
	s_mov_b32 s54, 0
	global_store_b32 v[2:3], v4, off
.LBB39_1133:
	s_and_not1_b32 vcc_lo, exec_lo, s54
	s_cbranch_vccnz .LBB39_1135
; %bb.1134:
	s_wait_xcnt 0x0
	v_bfe_i32 v4, v1, 0, 8
	global_store_b16 v[2:3], v4, off
.LBB39_1135:
	s_mov_b32 s54, 0
.LBB39_1136:
	s_delay_alu instid0(SALU_CYCLE_1)
	s_and_not1_b32 vcc_lo, exec_lo, s54
	s_cbranch_vccnz .LBB39_1144
; %bb.1137:
	s_wait_xcnt 0x0
	v_bfe_i32 v4, v1, 0, 8
	v_mov_b32_e32 v6, 0x80
	s_mov_b32 s54, exec_lo
	s_delay_alu instid0(VALU_DEP_2) | instskip(NEXT) | instid1(VALU_DEP_1)
	v_bfe_i32 v4, v4, 0, 16
	v_cvt_f32_i32_e32 v4, v4
	s_delay_alu instid0(VALU_DEP_1) | instskip(NEXT) | instid1(VALU_DEP_1)
	v_and_b32_e32 v5, 0x7fffffff, v4
	v_cmpx_gt_u32_e32 0x43800000, v5
	s_cbranch_execz .LBB39_1143
; %bb.1138:
	v_cmp_lt_u32_e32 vcc_lo, 0x3bffffff, v5
	s_mov_b32 s55, 0
                                        ; implicit-def: $vgpr5
	s_and_saveexec_b32 s56, vcc_lo
	s_delay_alu instid0(SALU_CYCLE_1)
	s_xor_b32 s56, exec_lo, s56
	s_cbranch_execz .LBB39_2115
; %bb.1139:
	v_bfe_u32 v5, v4, 20, 1
	s_mov_b32 s55, exec_lo
	s_delay_alu instid0(VALU_DEP_1) | instskip(NEXT) | instid1(VALU_DEP_1)
	v_add3_u32 v5, v4, v5, 0x487ffff
	v_lshrrev_b32_e32 v5, 20, v5
	s_and_not1_saveexec_b32 s56, s56
	s_cbranch_execnz .LBB39_2116
.LBB39_1140:
	s_or_b32 exec_lo, exec_lo, s56
	v_mov_b32_e32 v6, 0
	s_and_saveexec_b32 s56, s55
.LBB39_1141:
	v_lshrrev_b32_e32 v4, 24, v4
	s_delay_alu instid0(VALU_DEP_1)
	v_and_or_b32 v6, 0x80, v4, v5
.LBB39_1142:
	s_or_b32 exec_lo, exec_lo, s56
.LBB39_1143:
	s_delay_alu instid0(SALU_CYCLE_1)
	s_or_b32 exec_lo, exec_lo, s54
	global_store_b8 v[2:3], v6, off
.LBB39_1144:
	s_mov_b32 s54, -1
.LBB39_1145:
	s_mov_b32 s55, 0
.LBB39_1146:
	s_delay_alu instid0(SALU_CYCLE_1)
	s_and_b32 vcc_lo, exec_lo, s55
	s_cbranch_vccz .LBB39_1187
; %bb.1147:
	s_cmp_gt_i32 s53, 22
	s_mov_b32 s55, -1
	s_cbranch_scc0 .LBB39_1179
; %bb.1148:
	s_cmp_lt_i32 s53, 24
	s_mov_b32 s54, -1
	s_cbranch_scc1 .LBB39_1168
; %bb.1149:
	s_cmp_gt_i32 s53, 24
	s_cbranch_scc0 .LBB39_1157
; %bb.1150:
	s_wait_xcnt 0x0
	v_bfe_i32 v4, v1, 0, 8
	v_mov_b32_e32 v6, 0x80
	s_mov_b32 s54, exec_lo
	s_delay_alu instid0(VALU_DEP_2) | instskip(NEXT) | instid1(VALU_DEP_1)
	v_bfe_i32 v4, v4, 0, 16
	v_cvt_f32_i32_e32 v4, v4
	s_delay_alu instid0(VALU_DEP_1) | instskip(NEXT) | instid1(VALU_DEP_1)
	v_and_b32_e32 v5, 0x7fffffff, v4
	v_cmpx_gt_u32_e32 0x47800000, v5
	s_cbranch_execz .LBB39_1156
; %bb.1151:
	v_cmp_lt_u32_e32 vcc_lo, 0x37ffffff, v5
	s_mov_b32 s55, 0
                                        ; implicit-def: $vgpr5
	s_and_saveexec_b32 s56, vcc_lo
	s_delay_alu instid0(SALU_CYCLE_1)
	s_xor_b32 s56, exec_lo, s56
	s_cbranch_execz .LBB39_2264
; %bb.1152:
	v_bfe_u32 v5, v4, 21, 1
	s_mov_b32 s55, exec_lo
	s_delay_alu instid0(VALU_DEP_1) | instskip(NEXT) | instid1(VALU_DEP_1)
	v_add3_u32 v5, v4, v5, 0x88fffff
	v_lshrrev_b32_e32 v5, 21, v5
	s_and_not1_saveexec_b32 s56, s56
	s_cbranch_execnz .LBB39_2265
.LBB39_1153:
	s_or_b32 exec_lo, exec_lo, s56
	v_mov_b32_e32 v6, 0
	s_and_saveexec_b32 s56, s55
.LBB39_1154:
	v_lshrrev_b32_e32 v4, 24, v4
	s_delay_alu instid0(VALU_DEP_1)
	v_and_or_b32 v6, 0x80, v4, v5
.LBB39_1155:
	s_or_b32 exec_lo, exec_lo, s56
.LBB39_1156:
	s_delay_alu instid0(SALU_CYCLE_1)
	s_or_b32 exec_lo, exec_lo, s54
	s_mov_b32 s54, 0
	global_store_b8 v[2:3], v6, off
.LBB39_1157:
	s_and_b32 vcc_lo, exec_lo, s54
	s_cbranch_vccz .LBB39_1167
; %bb.1158:
	s_wait_xcnt 0x0
	v_bfe_i32 v4, v1, 0, 8
	s_mov_b32 s54, exec_lo
                                        ; implicit-def: $vgpr5
	s_delay_alu instid0(VALU_DEP_1) | instskip(NEXT) | instid1(VALU_DEP_1)
	v_bfe_i32 v4, v4, 0, 16
	v_cvt_f32_i32_e32 v4, v4
	s_delay_alu instid0(VALU_DEP_1) | instskip(NEXT) | instid1(VALU_DEP_1)
	v_and_b32_e32 v6, 0x7fffffff, v4
	v_cmpx_gt_u32_e32 0x43f00000, v6
	s_xor_b32 s54, exec_lo, s54
	s_cbranch_execz .LBB39_1164
; %bb.1159:
	s_mov_b32 s55, exec_lo
                                        ; implicit-def: $vgpr5
	v_cmpx_lt_u32_e32 0x3c7fffff, v6
	s_xor_b32 s55, exec_lo, s55
; %bb.1160:
	v_bfe_u32 v5, v4, 20, 1
	s_delay_alu instid0(VALU_DEP_1) | instskip(NEXT) | instid1(VALU_DEP_1)
	v_add3_u32 v5, v4, v5, 0x407ffff
	v_and_b32_e32 v6, 0xff00000, v5
	v_lshrrev_b32_e32 v5, 20, v5
	s_delay_alu instid0(VALU_DEP_2) | instskip(NEXT) | instid1(VALU_DEP_2)
	v_cmp_ne_u32_e32 vcc_lo, 0x7f00000, v6
	v_cndmask_b32_e32 v5, 0x7e, v5, vcc_lo
; %bb.1161:
	s_and_not1_saveexec_b32 s55, s55
; %bb.1162:
	v_add_f32_e64 v5, 0x46800000, |v4|
; %bb.1163:
	s_or_b32 exec_lo, exec_lo, s55
                                        ; implicit-def: $vgpr6
.LBB39_1164:
	s_and_not1_saveexec_b32 s54, s54
; %bb.1165:
	v_mov_b32_e32 v5, 0x7f
	v_cmp_lt_u32_e32 vcc_lo, 0x7f800000, v6
	s_delay_alu instid0(VALU_DEP_2)
	v_cndmask_b32_e32 v5, 0x7e, v5, vcc_lo
; %bb.1166:
	s_or_b32 exec_lo, exec_lo, s54
	v_lshrrev_b32_e32 v4, 24, v4
	s_delay_alu instid0(VALU_DEP_1)
	v_and_or_b32 v4, 0x80, v4, v5
	global_store_b8 v[2:3], v4, off
.LBB39_1167:
	s_mov_b32 s54, 0
.LBB39_1168:
	s_delay_alu instid0(SALU_CYCLE_1)
	s_and_not1_b32 vcc_lo, exec_lo, s54
	s_cbranch_vccnz .LBB39_1178
; %bb.1169:
	s_wait_xcnt 0x0
	v_bfe_i32 v4, v1, 0, 8
	s_mov_b32 s54, exec_lo
                                        ; implicit-def: $vgpr5
	s_delay_alu instid0(VALU_DEP_1) | instskip(NEXT) | instid1(VALU_DEP_1)
	v_bfe_i32 v4, v4, 0, 16
	v_cvt_f32_i32_e32 v4, v4
	s_delay_alu instid0(VALU_DEP_1) | instskip(NEXT) | instid1(VALU_DEP_1)
	v_and_b32_e32 v6, 0x7fffffff, v4
	v_cmpx_gt_u32_e32 0x47800000, v6
	s_xor_b32 s54, exec_lo, s54
	s_cbranch_execz .LBB39_1175
; %bb.1170:
	s_mov_b32 s55, exec_lo
                                        ; implicit-def: $vgpr5
	v_cmpx_lt_u32_e32 0x387fffff, v6
	s_xor_b32 s55, exec_lo, s55
; %bb.1171:
	v_bfe_u32 v5, v4, 21, 1
	s_delay_alu instid0(VALU_DEP_1) | instskip(NEXT) | instid1(VALU_DEP_1)
	v_add3_u32 v5, v4, v5, 0x80fffff
	v_lshrrev_b32_e32 v5, 21, v5
; %bb.1172:
	s_and_not1_saveexec_b32 s55, s55
; %bb.1173:
	v_add_f32_e64 v5, 0x43000000, |v4|
; %bb.1174:
	s_or_b32 exec_lo, exec_lo, s55
                                        ; implicit-def: $vgpr6
.LBB39_1175:
	s_and_not1_saveexec_b32 s54, s54
; %bb.1176:
	v_mov_b32_e32 v5, 0x7f
	v_cmp_lt_u32_e32 vcc_lo, 0x7f800000, v6
	s_delay_alu instid0(VALU_DEP_2)
	v_cndmask_b32_e32 v5, 0x7c, v5, vcc_lo
; %bb.1177:
	s_or_b32 exec_lo, exec_lo, s54
	v_lshrrev_b32_e32 v4, 24, v4
	s_delay_alu instid0(VALU_DEP_1)
	v_and_or_b32 v4, 0x80, v4, v5
	global_store_b8 v[2:3], v4, off
.LBB39_1178:
	s_mov_b32 s55, 0
	s_mov_b32 s54, -1
.LBB39_1179:
	s_and_not1_b32 vcc_lo, exec_lo, s55
	s_cbranch_vccnz .LBB39_1187
; %bb.1180:
	s_cmp_gt_i32 s53, 14
	s_mov_b32 s55, -1
	s_cbranch_scc0 .LBB39_1184
; %bb.1181:
	s_cmp_eq_u32 s53, 15
	s_mov_b32 s0, -1
	s_cbranch_scc0 .LBB39_1183
; %bb.1182:
	s_wait_xcnt 0x0
	v_bfe_i32 v4, v1, 0, 8
	s_mov_b32 s54, -1
	s_mov_b32 s0, 0
	s_delay_alu instid0(VALU_DEP_1) | instskip(NEXT) | instid1(VALU_DEP_1)
	v_bfe_i32 v4, v4, 0, 16
	v_cvt_f32_i32_e32 v4, v4
	s_delay_alu instid0(VALU_DEP_1) | instskip(NEXT) | instid1(VALU_DEP_1)
	v_bfe_u32 v5, v4, 16, 1
	v_add3_u32 v4, v4, v5, 0x7fff
	global_store_d16_hi_b16 v[2:3], v4, off
.LBB39_1183:
	s_mov_b32 s55, 0
.LBB39_1184:
	s_delay_alu instid0(SALU_CYCLE_1)
	s_and_b32 vcc_lo, exec_lo, s55
	s_cbranch_vccz .LBB39_1187
; %bb.1185:
	s_cmp_eq_u32 s53, 11
	s_mov_b32 s0, -1
	s_cbranch_scc0 .LBB39_1187
; %bb.1186:
	s_wait_xcnt 0x0
	v_and_b32_e32 v4, 0xff, v1
	s_mov_b32 s0, 0
	s_mov_b32 s54, -1
	s_delay_alu instid0(VALU_DEP_1)
	v_cmp_ne_u16_e32 vcc_lo, 0, v4
	v_cndmask_b32_e64 v4, 0, 1, vcc_lo
	global_store_b8 v[2:3], v4, off
.LBB39_1187:
	s_mov_b32 s53, 0
.LBB39_1188:
	s_delay_alu instid0(SALU_CYCLE_1)
	s_and_b32 vcc_lo, exec_lo, s53
	s_cbranch_vccz .LBB39_1227
; %bb.1189:
	s_and_b32 s31, 0xffff, s31
	s_mov_b32 s53, -1
	s_cmp_lt_i32 s31, 5
	s_cbranch_scc1 .LBB39_1210
; %bb.1190:
	s_cmp_lt_i32 s31, 8
	s_cbranch_scc1 .LBB39_1200
; %bb.1191:
	;; [unrolled: 3-line block ×3, first 2 shown]
	s_cmp_gt_i32 s31, 9
	s_cbranch_scc0 .LBB39_1194
; %bb.1193:
	s_wait_xcnt 0x0
	v_bfe_i32 v4, v1, 0, 8
	v_mov_b32_e32 v6, 0
	s_mov_b32 s53, 0
	s_delay_alu instid0(VALU_DEP_2) | instskip(NEXT) | instid1(VALU_DEP_2)
	v_bfe_i32 v4, v4, 0, 16
	v_mov_b32_e32 v7, v6
	s_delay_alu instid0(VALU_DEP_2)
	v_cvt_f64_i32_e32 v[4:5], v4
	global_store_b128 v[2:3], v[4:7], off
.LBB39_1194:
	s_and_not1_b32 vcc_lo, exec_lo, s53
	s_cbranch_vccnz .LBB39_1196
; %bb.1195:
	s_wait_xcnt 0x0
	v_bfe_i32 v4, v1, 0, 8
	v_mov_b32_e32 v5, 0
	s_delay_alu instid0(VALU_DEP_2) | instskip(NEXT) | instid1(VALU_DEP_1)
	v_bfe_i32 v4, v4, 0, 16
	v_cvt_f32_i32_e32 v4, v4
	global_store_b64 v[2:3], v[4:5], off
.LBB39_1196:
	s_mov_b32 s53, 0
.LBB39_1197:
	s_delay_alu instid0(SALU_CYCLE_1)
	s_and_not1_b32 vcc_lo, exec_lo, s53
	s_cbranch_vccnz .LBB39_1199
; %bb.1198:
	s_wait_xcnt 0x0
	v_bfe_i32 v4, v1, 0, 8
	s_delay_alu instid0(VALU_DEP_1) | instskip(NEXT) | instid1(VALU_DEP_1)
	v_cvt_f16_i16_e32 v4, v4
	v_and_b32_e32 v4, 0xffff, v4
	global_store_b32 v[2:3], v4, off
.LBB39_1199:
	s_mov_b32 s53, 0
.LBB39_1200:
	s_delay_alu instid0(SALU_CYCLE_1)
	s_and_not1_b32 vcc_lo, exec_lo, s53
	s_cbranch_vccnz .LBB39_1209
; %bb.1201:
	s_cmp_lt_i32 s31, 6
	s_mov_b32 s53, -1
	s_cbranch_scc1 .LBB39_1207
; %bb.1202:
	s_cmp_gt_i32 s31, 6
	s_cbranch_scc0 .LBB39_1204
; %bb.1203:
	s_wait_xcnt 0x0
	v_bfe_i32 v4, v1, 0, 8
	s_mov_b32 s53, 0
	s_delay_alu instid0(VALU_DEP_1) | instskip(NEXT) | instid1(VALU_DEP_1)
	v_bfe_i32 v4, v4, 0, 16
	v_cvt_f64_i32_e32 v[4:5], v4
	global_store_b64 v[2:3], v[4:5], off
.LBB39_1204:
	s_and_not1_b32 vcc_lo, exec_lo, s53
	s_cbranch_vccnz .LBB39_1206
; %bb.1205:
	s_wait_xcnt 0x0
	v_bfe_i32 v4, v1, 0, 8
	s_delay_alu instid0(VALU_DEP_1) | instskip(NEXT) | instid1(VALU_DEP_1)
	v_bfe_i32 v4, v4, 0, 16
	v_cvt_f32_i32_e32 v4, v4
	global_store_b32 v[2:3], v4, off
.LBB39_1206:
	s_mov_b32 s53, 0
.LBB39_1207:
	s_delay_alu instid0(SALU_CYCLE_1)
	s_and_not1_b32 vcc_lo, exec_lo, s53
	s_cbranch_vccnz .LBB39_1209
; %bb.1208:
	s_wait_xcnt 0x0
	v_bfe_i32 v4, v1, 0, 8
	s_delay_alu instid0(VALU_DEP_1)
	v_cvt_f16_i16_e32 v4, v4
	global_store_b16 v[2:3], v4, off
.LBB39_1209:
	s_mov_b32 s53, 0
.LBB39_1210:
	s_delay_alu instid0(SALU_CYCLE_1)
	s_and_not1_b32 vcc_lo, exec_lo, s53
	s_cbranch_vccnz .LBB39_1226
; %bb.1211:
	s_cmp_lt_i32 s31, 2
	s_mov_b32 s53, -1
	s_cbranch_scc1 .LBB39_1221
; %bb.1212:
	s_cmp_lt_i32 s31, 3
	s_cbranch_scc1 .LBB39_1218
; %bb.1213:
	s_cmp_gt_i32 s31, 3
	s_cbranch_scc0 .LBB39_1215
; %bb.1214:
	s_wait_xcnt 0x0
	v_bfe_i32 v4, v1, 0, 8
	s_mov_b32 s53, 0
	s_delay_alu instid0(VALU_DEP_1)
	v_ashrrev_i32_e32 v5, 31, v4
	global_store_b64 v[2:3], v[4:5], off
.LBB39_1215:
	s_and_not1_b32 vcc_lo, exec_lo, s53
	s_cbranch_vccnz .LBB39_1217
; %bb.1216:
	s_wait_xcnt 0x0
	v_bfe_i32 v4, v1, 0, 8
	global_store_b32 v[2:3], v4, off
.LBB39_1217:
	s_mov_b32 s53, 0
.LBB39_1218:
	s_delay_alu instid0(SALU_CYCLE_1)
	s_and_not1_b32 vcc_lo, exec_lo, s53
	s_cbranch_vccnz .LBB39_1220
; %bb.1219:
	s_wait_xcnt 0x0
	v_bfe_i32 v4, v1, 0, 8
	global_store_b16 v[2:3], v4, off
.LBB39_1220:
	s_mov_b32 s53, 0
.LBB39_1221:
	s_delay_alu instid0(SALU_CYCLE_1)
	s_and_not1_b32 vcc_lo, exec_lo, s53
	s_cbranch_vccnz .LBB39_1226
; %bb.1222:
	s_cmp_gt_i32 s31, 0
	s_mov_b32 s31, -1
	s_cbranch_scc0 .LBB39_1224
; %bb.1223:
	s_mov_b32 s31, 0
	global_store_b8 v[2:3], v1, off
.LBB39_1224:
	s_and_not1_b32 vcc_lo, exec_lo, s31
	s_cbranch_vccnz .LBB39_1226
; %bb.1225:
	global_store_b8 v[2:3], v1, off
.LBB39_1226:
	s_mov_b32 s54, -1
.LBB39_1227:
	s_delay_alu instid0(SALU_CYCLE_1)
	s_and_not1_b32 vcc_lo, exec_lo, s54
	s_cbranch_vccnz .LBB39_1250
; %bb.1228:
	v_add_nc_u32_e32 v0, 0x80, v0
	s_mov_b32 s31, -1
.LBB39_1229:
	s_and_not1_b32 s53, s48, exec_lo
	s_and_b32 s0, s0, exec_lo
	s_and_not1_b32 s54, s49, exec_lo
	s_and_b32 s30, s30, exec_lo
	s_or_b32 s55, s53, s0
	s_or_b32 s53, s54, s30
	s_and_not1_b32 s0, s50, exec_lo
	s_and_b32 s28, s28, exec_lo
	s_and_not1_b32 s30, s47, exec_lo
	s_and_b32 s29, s29, exec_lo
	s_or_b32 s54, s0, s28
	s_or_b32 s0, s30, s29
	s_or_not1_b32 s29, s31, exec_lo
.LBB39_1230:
	s_wait_xcnt 0x0
	s_or_b32 exec_lo, exec_lo, s52
	s_mov_b32 s28, 0
                                        ; implicit-def: $vgpr4
                                        ; implicit-def: $vgpr8
                                        ; implicit-def: $vgpr2
	s_and_saveexec_b32 s52, s29
	s_cbranch_execz .LBB39_1265
; %bb.1231:
	v_cmp_gt_i32_e32 vcc_lo, s41, v0
	s_mov_b32 s29, s0
                                        ; implicit-def: $vgpr4
                                        ; implicit-def: $vgpr8
                                        ; implicit-def: $vgpr2
	s_and_saveexec_b32 s41, vcc_lo
	s_cbranch_execz .LBB39_1264
; %bb.1232:
	s_and_not1_b32 vcc_lo, exec_lo, s35
	s_cbranch_vccnz .LBB39_1238
; %bb.1233:
	s_and_not1_b32 vcc_lo, exec_lo, s42
	s_cbranch_vccnz .LBB39_1239
; %bb.1234:
	v_dual_mov_b32 v2, 0 :: v_dual_mov_b32 v1, v0
	s_wait_loadcnt 0x0
	v_dual_mov_b32 v8, 0 :: v_dual_mov_b32 v4, 0
	s_add_co_i32 s30, s40, 1
	s_mov_b64 s[28:29], 0xffffffffffffffe0
	s_and_b32 s42, s30, 30
	s_add_nc_u64 s[28:29], s[2:3], s[28:29]
	s_mov_b64 s[30:31], s[2:3]
.LBB39_1235:                            ; =>This Inner Loop Header: Depth=1
	s_clause 0x1
	s_load_b128 s[56:59], s[30:31], 0x4
	s_load_b64 s[60:61], s[30:31], 0x14
	s_load_b32 s62, s[28:29], 0xe4
	s_add_co_i32 s42, s42, -2
	s_wait_xcnt 0x0
	s_add_nc_u64 s[30:31], s[30:31], 24
	s_cmp_eq_u32 s42, 0
	s_wait_kmcnt 0x0
	v_mul_hi_u32 v3, s57, v1
	s_delay_alu instid0(VALU_DEP_1) | instskip(NEXT) | instid1(VALU_DEP_1)
	v_add_nc_u32_e32 v3, v1, v3
	v_lshrrev_b32_e32 v3, s58, v3
	s_delay_alu instid0(VALU_DEP_1) | instskip(SKIP_2) | instid1(VALU_DEP_1)
	v_mul_hi_u32 v5, s60, v3
	v_mul_lo_u32 v6, v3, s56
	s_load_b96 s[56:58], s[28:29], 0xec
	v_dual_add_nc_u32 v5, v3, v5 :: v_dual_sub_nc_u32 v6, v1, v6
	s_delay_alu instid0(VALU_DEP_1) | instskip(SKIP_1) | instid1(VALU_DEP_2)
	v_lshrrev_b32_e32 v1, s61, v5
	s_load_b64 s[60:61], s[28:29], 0xfc
	v_mad_u32 v2, v6, s62, v2
	s_wait_xcnt 0x0
	s_add_nc_u64 s[28:29], s[28:29], 32
	v_mul_lo_u32 v5, v1, s59
	s_wait_kmcnt 0x0
	v_mad_u32 v4, v6, s57, v4
	v_mad_u32 v6, v6, s56, v8
	s_delay_alu instid0(VALU_DEP_3) | instskip(NEXT) | instid1(VALU_DEP_1)
	v_sub_nc_u32_e32 v3, v3, v5
	v_mad_u32 v2, v3, s58, v2
	s_delay_alu instid0(VALU_DEP_4) | instskip(NEXT) | instid1(VALU_DEP_4)
	v_mad_u32 v4, v3, s61, v4
	v_mad_u32 v8, v3, s60, v6
	s_cbranch_scc0 .LBB39_1235
; %bb.1236:
	s_bitcmp1_b32 s40, 0
	s_cselect_b32 s40, -1, 0
	s_delay_alu instid0(SALU_CYCLE_1)
	s_and_b32 vcc_lo, exec_lo, s40
	s_cbranch_vccnz .LBB39_1240
; %bb.1237:
	s_load_b96 s[56:58], s[30:31], 0x4
	s_load_b32 s40, s[28:29], 0xe4
	s_wait_xcnt 0x0
	s_load_b64 s[30:31], s[28:29], 0xec
	s_wait_kmcnt 0x0
	v_mul_hi_u32 v3, s57, v1
	s_delay_alu instid0(VALU_DEP_1) | instskip(NEXT) | instid1(VALU_DEP_1)
	v_add_nc_u32_e32 v3, v1, v3
	v_lshrrev_b32_e32 v3, s58, v3
	s_delay_alu instid0(VALU_DEP_1) | instskip(NEXT) | instid1(VALU_DEP_1)
	v_mul_lo_u32 v3, v3, s56
	v_sub_nc_u32_e32 v1, v1, v3
	s_delay_alu instid0(VALU_DEP_1)
	v_mad_u32 v2, v1, s40, v2
	v_mad_u32 v8, v1, s30, v8
	;; [unrolled: 1-line block ×3, first 2 shown]
	s_branch .LBB39_1240
.LBB39_1238:
	s_mov_b32 s28, -1
                                        ; implicit-def: $vgpr4
                                        ; implicit-def: $vgpr8
                                        ; implicit-def: $vgpr2
	s_branch .LBB39_1241
.LBB39_1239:
	s_wait_loadcnt 0x0
	v_dual_mov_b32 v4, 0 :: v_dual_mov_b32 v8, 0
	v_mov_b32_e32 v2, 0
.LBB39_1240:
	s_mov_b32 s28, 0
.LBB39_1241:
	s_delay_alu instid0(SALU_CYCLE_1)
	s_and_not1_b32 vcc_lo, exec_lo, s28
	s_cbranch_vccnz .LBB39_1244
; %bb.1242:
	v_mov_b32_e32 v1, 0
	s_and_not1_b32 vcc_lo, exec_lo, s39
	s_delay_alu instid0(VALU_DEP_1) | instskip(NEXT) | instid1(VALU_DEP_1)
	v_mul_u64_e32 v[2:3], s[22:23], v[0:1]
	v_add_nc_u32_e32 v2, v0, v3
	s_delay_alu instid0(VALU_DEP_1) | instskip(NEXT) | instid1(VALU_DEP_1)
	v_lshrrev_b32_e32 v6, s10, v2
	v_mul_lo_u32 v2, v6, s8
	s_delay_alu instid0(VALU_DEP_1) | instskip(NEXT) | instid1(VALU_DEP_1)
	v_sub_nc_u32_e32 v0, v0, v2
	v_mul_lo_u32 v2, v0, s38
	s_wait_loadcnt 0x0
	v_mul_lo_u32 v4, v0, s13
	v_mul_lo_u32 v8, v0, s12
	s_cbranch_vccnz .LBB39_1244
; %bb.1243:
	v_mov_b32_e32 v7, v1
	s_delay_alu instid0(VALU_DEP_1) | instskip(NEXT) | instid1(VALU_DEP_1)
	v_mul_u64_e32 v[0:1], s[26:27], v[6:7]
	v_add_nc_u32_e32 v0, v6, v1
	s_delay_alu instid0(VALU_DEP_1) | instskip(NEXT) | instid1(VALU_DEP_1)
	v_lshrrev_b32_e32 v0, s1, v0
	v_mul_lo_u32 v0, v0, s11
	s_delay_alu instid0(VALU_DEP_1) | instskip(NEXT) | instid1(VALU_DEP_1)
	v_sub_nc_u32_e32 v0, v6, v0
	v_mad_u32 v2, v0, s14, v2
	v_mad_u32 v8, v0, s24, v8
	;; [unrolled: 1-line block ×3, first 2 shown]
.LBB39_1244:
	s_and_b32 s10, s37, 0xff
	s_delay_alu instid0(SALU_CYCLE_1)
	s_cmp_lt_i32 s10, 23
	s_cbranch_scc1 .LBB39_1248
; %bb.1245:
	s_and_b32 s11, 0xffff, s10
	s_delay_alu instid0(SALU_CYCLE_1)
	s_cmp_gt_i32 s11, 43
	s_cbranch_scc0 .LBB39_1249
; %bb.1246:
	s_cmp_gt_i32 s11, 45
	s_cbranch_scc0 .LBB39_1251
; %bb.1247:
	s_cmp_lg_u32 s11, 46
	s_mov_b32 s12, 0
	s_cselect_b32 s1, -1, 0
	s_and_not1_b32 s8, s0, exec_lo
	s_and_b32 s13, s1, exec_lo
	s_mov_b32 s1, -1
	s_or_b32 s8, s8, s13
	s_branch .LBB39_1252
.LBB39_1248:
	s_mov_b32 s11, -1
	s_mov_b32 s1, 0
	s_mov_b32 s8, s0
	s_branch .LBB39_1258
.LBB39_1249:
	s_mov_b32 s12, -1
	s_mov_b32 s1, 0
	s_mov_b32 s8, s0
	s_branch .LBB39_1255
.LBB39_1250:
	s_mov_b32 s31, 0
	s_branch .LBB39_858
.LBB39_1251:
	s_mov_b32 s12, -1
	s_mov_b32 s1, 0
	s_mov_b32 s8, s0
.LBB39_1252:
	s_and_not1_b32 vcc_lo, exec_lo, s12
	s_cbranch_vccnz .LBB39_1254
; %bb.1253:
	s_cmp_eq_u32 s11, 44
	s_cselect_b32 s1, -1, 0
	s_cmp_lg_u32 s11, 44
	s_cselect_b32 s12, -1, 0
	s_and_not1_b32 s8, s8, exec_lo
	s_and_b32 s12, s12, exec_lo
	s_delay_alu instid0(SALU_CYCLE_1)
	s_or_b32 s8, s8, s12
.LBB39_1254:
	s_mov_b32 s12, 0
.LBB39_1255:
	s_delay_alu instid0(SALU_CYCLE_1)
	s_and_b32 vcc_lo, exec_lo, s12
	s_cbranch_vccz .LBB39_1257
; %bb.1256:
	s_cmp_lt_i32 s11, 30
	s_cselect_b32 s1, -1, 0
	s_cmp_gt_i32 s11, 29
	s_cselect_b32 s11, -1, 0
	s_and_not1_b32 s8, s8, exec_lo
	s_and_b32 s11, s11, exec_lo
	s_delay_alu instid0(SALU_CYCLE_1)
	s_or_b32 s8, s8, s11
.LBB39_1257:
	s_mov_b32 s11, 0
.LBB39_1258:
	s_delay_alu instid0(SALU_CYCLE_1)
	s_and_b32 vcc_lo, exec_lo, s11
	s_cbranch_vccz .LBB39_1263
; %bb.1259:
	s_and_b32 s10, 0xffff, s10
	s_mov_b32 s11, -1
	s_cmp_gt_i32 s10, 14
	s_cbranch_scc0 .LBB39_1261
; %bb.1260:
	s_cmp_eq_u32 s10, 15
	s_cselect_b32 s1, -1, 0
	s_cmp_lg_u32 s10, 15
	s_cselect_b32 s11, -1, 0
	s_and_not1_b32 s8, s8, exec_lo
	s_and_b32 s12, s11, exec_lo
	s_mov_b32 s11, 0
	s_or_b32 s8, s8, s12
.LBB39_1261:
	s_and_not1_b32 vcc_lo, exec_lo, s11
	s_cbranch_vccnz .LBB39_1263
; %bb.1262:
	s_cmp_lt_i32 s10, 12
	s_cselect_b32 s1, -1, 0
	s_cmp_gt_i32 s10, 11
	s_cselect_b32 s10, -1, 0
	s_and_not1_b32 s8, s8, exec_lo
	s_and_b32 s10, s10, exec_lo
	s_delay_alu instid0(SALU_CYCLE_1)
	s_or_b32 s8, s8, s10
.LBB39_1263:
	s_and_not1_b32 s10, s0, exec_lo
	s_and_b32 s8, s8, exec_lo
	s_and_b32 s28, s1, exec_lo
	s_or_b32 s29, s10, s8
.LBB39_1264:
	s_or_b32 exec_lo, exec_lo, s41
	s_delay_alu instid0(SALU_CYCLE_1)
	s_and_not1_b32 s0, s0, exec_lo
	s_and_b32 s1, s29, exec_lo
	s_and_b32 s28, s28, exec_lo
	s_or_b32 s0, s0, s1
.LBB39_1265:
	s_or_b32 exec_lo, exec_lo, s52
	s_delay_alu instid0(SALU_CYCLE_1)
	s_and_not1_b32 s1, s48, exec_lo
	s_and_b32 s8, s55, exec_lo
	s_and_not1_b32 s10, s50, exec_lo
	s_or_b32 s48, s1, s8
	s_and_not1_b32 s1, s49, exec_lo
	s_and_b32 s8, s53, exec_lo
	s_and_b32 s11, s54, exec_lo
	s_or_b32 s49, s1, s8
	s_and_not1_b32 s1, s47, exec_lo
	s_and_b32 s8, s0, exec_lo
	s_or_b32 s50, s10, s11
	s_and_b32 s0, s28, exec_lo
	s_or_b32 s47, s1, s8
.LBB39_1266:
	s_or_b32 exec_lo, exec_lo, s51
	s_delay_alu instid0(SALU_CYCLE_1)
	s_and_not1_b32 s1, s21, exec_lo
	s_and_b32 s8, s48, exec_lo
	s_and_not1_b32 s10, s44, exec_lo
	s_or_b32 s21, s1, s8
	s_and_not1_b32 s1, s43, exec_lo
	s_and_b32 s8, s49, exec_lo
	s_and_b32 s11, s50, exec_lo
	s_or_b32 s43, s1, s8
	s_and_not1_b32 s1, s45, exec_lo
	s_and_b32 s8, s47, exec_lo
	s_or_b32 s44, s10, s11
	s_and_b32 s23, s0, exec_lo
	s_or_b32 s45, s1, s8
.LBB39_1267:
	s_or_b32 exec_lo, exec_lo, s46
	s_mov_b32 s11, 0
	s_mov_b32 s1, 0
	s_and_saveexec_b32 s0, s45
	s_cbranch_execnz .LBB39_1282
.LBB39_1268:
	s_or_b32 exec_lo, exec_lo, s0
	s_mov_b32 s12, 0
	s_mov_b32 s10, 0
                                        ; implicit-def: $sgpr0
                                        ; implicit-def: $vgpr6_vgpr7
                                        ; implicit-def: $vgpr0
	s_and_saveexec_b32 s8, s23
	s_cbranch_execz .LBB39_1276
; %bb.1269:
	s_wait_loadcnt 0x0
	v_mov_b32_e32 v9, 0
	s_and_b32 s0, s20, 0xff
	s_delay_alu instid0(SALU_CYCLE_1) | instskip(NEXT) | instid1(VALU_DEP_1)
	s_cmp_lt_i32 s0, 11
	v_add_nc_u64_e32 v[6:7], s[4:5], v[8:9]
	s_cbranch_scc1 .LBB39_1279
; %bb.1270:
	s_and_b32 s4, 0xffff, s0
	s_delay_alu instid0(SALU_CYCLE_1)
	s_cmp_gt_i32 s4, 25
	s_cbranch_scc0 .LBB39_1280
; %bb.1271:
	s_cmp_gt_i32 s4, 28
	s_cbranch_scc0 .LBB39_1281
; %bb.1272:
	;; [unrolled: 3-line block ×4, first 2 shown]
	s_cmp_eq_u32 s4, 46
	s_cbranch_scc0 .LBB39_1285
; %bb.1275:
	global_load_b32 v0, v[6:7], off
	s_mov_b32 s5, 0
	s_mov_b32 s10, -1
	s_wait_loadcnt 0x0
	v_lshlrev_b32_e32 v0, 16, v0
	s_delay_alu instid0(VALU_DEP_1)
	v_cvt_i32_f32_e32 v0, v0
	s_branch .LBB39_1287
.LBB39_1276:
	s_or_b32 exec_lo, exec_lo, s8
	s_and_saveexec_b32 s4, s44
	s_cbranch_execnz .LBB39_1346
.LBB39_1277:
	s_or_b32 exec_lo, exec_lo, s4
	s_and_saveexec_b32 s4, s11
	s_delay_alu instid0(SALU_CYCLE_1)
	s_xor_b32 s4, exec_lo, s4
	s_cbranch_execz .LBB39_1347
.LBB39_1278:
	s_wait_loadcnt 0x0
	global_load_u8 v0, v[6:7], off
	s_or_b32 s10, s10, exec_lo
	s_wait_loadcnt 0x0
	v_cmp_ne_u16_e32 vcc_lo, 0, v0
	v_cndmask_b32_e64 v0, 0, 1, vcc_lo
	s_wait_xcnt 0x0
	s_or_b32 exec_lo, exec_lo, s4
	s_and_saveexec_b32 s4, s12
	s_cbranch_execz .LBB39_1393
	s_branch .LBB39_1348
.LBB39_1279:
	s_mov_b32 s4, -1
	s_mov_b32 s5, s44
                                        ; implicit-def: $vgpr0
	s_branch .LBB39_1345
.LBB39_1280:
	s_mov_b32 s5, s44
                                        ; implicit-def: $vgpr0
	s_cbranch_execnz .LBB39_1314
	s_branch .LBB39_1344
.LBB39_1281:
	s_mov_b32 s12, -1
	s_mov_b32 s5, s44
                                        ; implicit-def: $vgpr0
	s_branch .LBB39_1297
.LBB39_1282:
	s_mov_b32 s1, exec_lo
	s_and_not1_b32 s23, s23, exec_lo
	s_trap 2
	s_branch .LBB39_1268
.LBB39_1283:
	s_mov_b32 s12, -1
	s_mov_b32 s5, s44
                                        ; implicit-def: $vgpr0
	s_branch .LBB39_1292
.LBB39_1284:
	s_mov_b32 s12, -1
	s_mov_b32 s5, s44
	s_branch .LBB39_1286
.LBB39_1285:
	s_mov_b32 s5, -1
.LBB39_1286:
                                        ; implicit-def: $vgpr0
.LBB39_1287:
	s_and_b32 vcc_lo, exec_lo, s12
	s_cbranch_vccz .LBB39_1291
; %bb.1288:
	s_cmp_eq_u32 s4, 44
	s_cbranch_scc0 .LBB39_1290
; %bb.1289:
	global_load_u8 v0, v[6:7], off
	s_mov_b32 s5, 0
	s_mov_b32 s10, -1
	s_wait_loadcnt 0x0
	v_lshlrev_b32_e32 v1, 23, v0
	v_cmp_ne_u32_e32 vcc_lo, 0, v0
	s_delay_alu instid0(VALU_DEP_2) | instskip(NEXT) | instid1(VALU_DEP_1)
	v_cvt_i32_f32_e32 v1, v1
	v_cndmask_b32_e32 v0, 0, v1, vcc_lo
	s_branch .LBB39_1291
.LBB39_1290:
	s_mov_b32 s5, -1
                                        ; implicit-def: $vgpr0
.LBB39_1291:
	s_mov_b32 s12, 0
.LBB39_1292:
	s_delay_alu instid0(SALU_CYCLE_1)
	s_and_b32 vcc_lo, exec_lo, s12
	s_cbranch_vccz .LBB39_1296
; %bb.1293:
	s_cmp_eq_u32 s4, 29
	s_cbranch_scc0 .LBB39_1295
; %bb.1294:
	global_load_b64 v[0:1], v[6:7], off
	s_mov_b32 s5, 0
	s_mov_b32 s10, -1
	s_branch .LBB39_1296
.LBB39_1295:
	s_mov_b32 s5, -1
                                        ; implicit-def: $vgpr0
.LBB39_1296:
	s_mov_b32 s12, 0
.LBB39_1297:
	s_delay_alu instid0(SALU_CYCLE_1)
	s_and_b32 vcc_lo, exec_lo, s12
	s_cbranch_vccz .LBB39_1313
; %bb.1298:
	s_cmp_lt_i32 s4, 27
	s_cbranch_scc1 .LBB39_1301
; %bb.1299:
	s_cmp_gt_i32 s4, 27
	s_cbranch_scc0 .LBB39_1302
; %bb.1300:
	s_wait_loadcnt 0x0
	global_load_b32 v0, v[6:7], off
	s_mov_b32 s10, 0
	s_branch .LBB39_1303
.LBB39_1301:
	s_mov_b32 s10, -1
                                        ; implicit-def: $vgpr0
	s_branch .LBB39_1306
.LBB39_1302:
	s_mov_b32 s10, -1
                                        ; implicit-def: $vgpr0
.LBB39_1303:
	s_delay_alu instid0(SALU_CYCLE_1)
	s_and_not1_b32 vcc_lo, exec_lo, s10
	s_cbranch_vccnz .LBB39_1305
; %bb.1304:
	s_wait_loadcnt 0x0
	global_load_u16 v0, v[6:7], off
.LBB39_1305:
	s_mov_b32 s10, 0
.LBB39_1306:
	s_delay_alu instid0(SALU_CYCLE_1)
	s_and_not1_b32 vcc_lo, exec_lo, s10
	s_cbranch_vccnz .LBB39_1312
; %bb.1307:
	s_wait_loadcnt 0x0
	global_load_u8 v1, v[6:7], off
	s_mov_b32 s12, 0
	s_mov_b32 s10, exec_lo
	s_wait_loadcnt 0x0
	v_cmpx_lt_i16_e32 0x7f, v1
	s_xor_b32 s10, exec_lo, s10
	s_cbranch_execz .LBB39_1323
; %bb.1308:
	v_cmp_ne_u16_e32 vcc_lo, 0x80, v1
	s_and_b32 s12, vcc_lo, exec_lo
	s_and_not1_saveexec_b32 s10, s10
	s_cbranch_execnz .LBB39_1324
.LBB39_1309:
	s_or_b32 exec_lo, exec_lo, s10
	v_mov_b32_e32 v0, 0
	s_and_saveexec_b32 s10, s12
	s_cbranch_execz .LBB39_1311
.LBB39_1310:
	v_and_b32_e32 v0, 0xffff, v1
	s_delay_alu instid0(VALU_DEP_1) | instskip(SKIP_1) | instid1(VALU_DEP_2)
	v_and_b32_e32 v3, 7, v0
	v_bfe_u32 v9, v0, 3, 4
	v_clz_i32_u32_e32 v5, v3
	s_delay_alu instid0(VALU_DEP_2) | instskip(NEXT) | instid1(VALU_DEP_2)
	v_cmp_eq_u32_e32 vcc_lo, 0, v9
	v_min_u32_e32 v5, 32, v5
	s_delay_alu instid0(VALU_DEP_1) | instskip(NEXT) | instid1(VALU_DEP_1)
	v_subrev_nc_u32_e32 v8, 28, v5
	v_dual_lshlrev_b32 v0, v8, v0 :: v_dual_sub_nc_u32 v5, 29, v5
	s_delay_alu instid0(VALU_DEP_1) | instskip(NEXT) | instid1(VALU_DEP_1)
	v_dual_lshlrev_b32 v1, 24, v1 :: v_dual_bitop2_b32 v0, 7, v0 bitop3:0x40
	v_dual_cndmask_b32 v0, v3, v0 :: v_dual_cndmask_b32 v5, v9, v5
	s_delay_alu instid0(VALU_DEP_2) | instskip(NEXT) | instid1(VALU_DEP_2)
	v_and_b32_e32 v1, 0x80000000, v1
	v_lshlrev_b32_e32 v0, 20, v0
	s_delay_alu instid0(VALU_DEP_3) | instskip(NEXT) | instid1(VALU_DEP_1)
	v_lshl_add_u32 v3, v5, 23, 0x3b800000
	v_or3_b32 v0, v1, v3, v0
	s_delay_alu instid0(VALU_DEP_1)
	v_cvt_i32_f32_e32 v0, v0
.LBB39_1311:
	s_or_b32 exec_lo, exec_lo, s10
.LBB39_1312:
	s_mov_b32 s10, -1
.LBB39_1313:
	s_branch .LBB39_1344
.LBB39_1314:
	s_cmp_gt_i32 s4, 22
	s_cbranch_scc0 .LBB39_1322
; %bb.1315:
	s_cmp_lt_i32 s4, 24
	s_cbranch_scc1 .LBB39_1325
; %bb.1316:
	s_cmp_gt_i32 s4, 24
	s_cbranch_scc0 .LBB39_1326
; %bb.1317:
	s_wait_loadcnt 0x0
	global_load_u8 v1, v[6:7], off
	s_mov_b32 s10, exec_lo
	s_wait_loadcnt 0x0
	v_cmpx_lt_i16_e32 0x7f, v1
	s_xor_b32 s10, exec_lo, s10
	s_cbranch_execz .LBB39_1338
; %bb.1318:
	v_cmp_ne_u16_e32 vcc_lo, 0x80, v1
	s_and_b32 s11, vcc_lo, exec_lo
	s_and_not1_saveexec_b32 s10, s10
	s_cbranch_execnz .LBB39_1339
.LBB39_1319:
	s_or_b32 exec_lo, exec_lo, s10
	v_mov_b32_e32 v0, 0
	s_and_saveexec_b32 s10, s11
	s_cbranch_execz .LBB39_1321
.LBB39_1320:
	v_and_b32_e32 v0, 0xffff, v1
	s_delay_alu instid0(VALU_DEP_1) | instskip(SKIP_1) | instid1(VALU_DEP_2)
	v_and_b32_e32 v3, 3, v0
	v_bfe_u32 v9, v0, 2, 5
	v_clz_i32_u32_e32 v5, v3
	s_delay_alu instid0(VALU_DEP_2) | instskip(NEXT) | instid1(VALU_DEP_2)
	v_cmp_eq_u32_e32 vcc_lo, 0, v9
	v_min_u32_e32 v5, 32, v5
	s_delay_alu instid0(VALU_DEP_1) | instskip(NEXT) | instid1(VALU_DEP_1)
	v_subrev_nc_u32_e32 v8, 29, v5
	v_dual_lshlrev_b32 v0, v8, v0 :: v_dual_sub_nc_u32 v5, 30, v5
	s_delay_alu instid0(VALU_DEP_1) | instskip(NEXT) | instid1(VALU_DEP_1)
	v_dual_lshlrev_b32 v1, 24, v1 :: v_dual_bitop2_b32 v0, 3, v0 bitop3:0x40
	v_dual_cndmask_b32 v0, v3, v0 :: v_dual_cndmask_b32 v5, v9, v5
	s_delay_alu instid0(VALU_DEP_2) | instskip(NEXT) | instid1(VALU_DEP_2)
	v_and_b32_e32 v1, 0x80000000, v1
	v_lshlrev_b32_e32 v0, 21, v0
	s_delay_alu instid0(VALU_DEP_3) | instskip(NEXT) | instid1(VALU_DEP_1)
	v_lshl_add_u32 v3, v5, 23, 0x37800000
	v_or3_b32 v0, v1, v3, v0
	s_delay_alu instid0(VALU_DEP_1)
	v_cvt_i32_f32_e32 v0, v0
.LBB39_1321:
	s_or_b32 exec_lo, exec_lo, s10
	s_mov_b32 s10, 0
	s_branch .LBB39_1327
.LBB39_1322:
	s_mov_b32 s11, -1
                                        ; implicit-def: $vgpr0
	s_branch .LBB39_1333
.LBB39_1323:
	s_and_not1_saveexec_b32 s10, s10
	s_cbranch_execz .LBB39_1309
.LBB39_1324:
	v_cmp_ne_u16_e32 vcc_lo, 0, v1
	s_and_not1_b32 s12, s12, exec_lo
	s_and_b32 s13, vcc_lo, exec_lo
	s_delay_alu instid0(SALU_CYCLE_1)
	s_or_b32 s12, s12, s13
	s_or_b32 exec_lo, exec_lo, s10
	v_mov_b32_e32 v0, 0
	s_and_saveexec_b32 s10, s12
	s_cbranch_execnz .LBB39_1310
	s_branch .LBB39_1311
.LBB39_1325:
	s_mov_b32 s10, -1
                                        ; implicit-def: $vgpr0
	s_branch .LBB39_1330
.LBB39_1326:
	s_mov_b32 s10, -1
                                        ; implicit-def: $vgpr0
.LBB39_1327:
	s_delay_alu instid0(SALU_CYCLE_1)
	s_and_b32 vcc_lo, exec_lo, s10
	s_cbranch_vccz .LBB39_1329
; %bb.1328:
	s_wait_loadcnt 0x0
	global_load_u8 v0, v[6:7], off
	s_wait_loadcnt 0x0
	v_lshlrev_b32_e32 v0, 24, v0
	s_delay_alu instid0(VALU_DEP_1) | instskip(NEXT) | instid1(VALU_DEP_1)
	v_and_b32_e32 v1, 0x7f000000, v0
	v_clz_i32_u32_e32 v3, v1
	v_cmp_ne_u32_e32 vcc_lo, 0, v1
	v_add_nc_u32_e32 v8, 0x1000000, v1
	s_delay_alu instid0(VALU_DEP_3) | instskip(NEXT) | instid1(VALU_DEP_1)
	v_min_u32_e32 v3, 32, v3
	v_sub_nc_u32_e64 v3, v3, 4 clamp
	s_delay_alu instid0(VALU_DEP_1) | instskip(NEXT) | instid1(VALU_DEP_1)
	v_dual_lshlrev_b32 v5, v3, v1 :: v_dual_lshlrev_b32 v3, 23, v3
	v_lshrrev_b32_e32 v5, 4, v5
	s_delay_alu instid0(VALU_DEP_1) | instskip(NEXT) | instid1(VALU_DEP_1)
	v_dual_sub_nc_u32 v3, v5, v3 :: v_dual_ashrrev_i32 v5, 8, v8
	v_add_nc_u32_e32 v3, 0x3c000000, v3
	s_delay_alu instid0(VALU_DEP_1) | instskip(NEXT) | instid1(VALU_DEP_1)
	v_and_or_b32 v3, 0x7f800000, v5, v3
	v_cndmask_b32_e32 v1, 0, v3, vcc_lo
	s_delay_alu instid0(VALU_DEP_1) | instskip(NEXT) | instid1(VALU_DEP_1)
	v_and_or_b32 v0, 0x80000000, v0, v1
	v_cvt_i32_f32_e32 v0, v0
.LBB39_1329:
	s_mov_b32 s10, 0
.LBB39_1330:
	s_delay_alu instid0(SALU_CYCLE_1)
	s_and_not1_b32 vcc_lo, exec_lo, s10
	s_cbranch_vccnz .LBB39_1332
; %bb.1331:
	s_wait_loadcnt 0x0
	global_load_u8 v0, v[6:7], off
	s_wait_loadcnt 0x0
	v_lshlrev_b32_e32 v1, 25, v0
	v_lshlrev_b16 v0, 8, v0
	s_delay_alu instid0(VALU_DEP_1) | instskip(SKIP_1) | instid1(VALU_DEP_2)
	v_and_or_b32 v5, 0x7f00, v0, 0.5
	v_bfe_i32 v0, v0, 0, 16
	v_add_f32_e32 v5, -0.5, v5
	v_lshrrev_b32_e32 v3, 4, v1
	v_cmp_gt_u32_e32 vcc_lo, 0x8000000, v1
	s_delay_alu instid0(VALU_DEP_2) | instskip(NEXT) | instid1(VALU_DEP_1)
	v_or_b32_e32 v3, 0x70000000, v3
	v_mul_f32_e32 v3, 0x7800000, v3
	s_delay_alu instid0(VALU_DEP_1) | instskip(NEXT) | instid1(VALU_DEP_1)
	v_cndmask_b32_e32 v1, v3, v5, vcc_lo
	v_and_or_b32 v0, 0x80000000, v0, v1
	s_delay_alu instid0(VALU_DEP_1)
	v_cvt_i32_f32_e32 v0, v0
.LBB39_1332:
	s_mov_b32 s11, 0
	s_mov_b32 s10, -1
.LBB39_1333:
	s_and_not1_b32 vcc_lo, exec_lo, s11
	s_mov_b32 s11, 0
	s_cbranch_vccnz .LBB39_1344
; %bb.1334:
	s_cmp_gt_i32 s4, 14
	s_cbranch_scc0 .LBB39_1337
; %bb.1335:
	s_cmp_eq_u32 s4, 15
	s_cbranch_scc0 .LBB39_1340
; %bb.1336:
	s_wait_loadcnt 0x0
	global_load_u16 v0, v[6:7], off
	s_mov_b32 s5, 0
	s_mov_b32 s10, -1
	s_wait_loadcnt 0x0
	v_lshlrev_b32_e32 v0, 16, v0
	s_delay_alu instid0(VALU_DEP_1)
	v_cvt_i32_f32_e32 v0, v0
	s_branch .LBB39_1342
.LBB39_1337:
	s_mov_b32 s11, -1
	s_branch .LBB39_1341
.LBB39_1338:
	s_and_not1_saveexec_b32 s10, s10
	s_cbranch_execz .LBB39_1319
.LBB39_1339:
	v_cmp_ne_u16_e32 vcc_lo, 0, v1
	s_and_not1_b32 s11, s11, exec_lo
	s_and_b32 s12, vcc_lo, exec_lo
	s_delay_alu instid0(SALU_CYCLE_1)
	s_or_b32 s11, s11, s12
	s_or_b32 exec_lo, exec_lo, s10
	v_mov_b32_e32 v0, 0
	s_and_saveexec_b32 s10, s11
	s_cbranch_execnz .LBB39_1320
	s_branch .LBB39_1321
.LBB39_1340:
	s_mov_b32 s5, -1
.LBB39_1341:
                                        ; implicit-def: $vgpr0
.LBB39_1342:
	s_and_b32 vcc_lo, exec_lo, s11
	s_mov_b32 s11, 0
	s_cbranch_vccz .LBB39_1344
; %bb.1343:
	s_cmp_lg_u32 s4, 11
	s_mov_b32 s11, -1
	s_cselect_b32 s4, -1, 0
	s_and_not1_b32 s5, s5, exec_lo
	s_and_b32 s4, s4, exec_lo
	s_delay_alu instid0(SALU_CYCLE_1)
	s_or_b32 s5, s5, s4
.LBB39_1344:
	s_mov_b32 s4, 0
.LBB39_1345:
	s_delay_alu instid0(SALU_CYCLE_1)
	s_and_b32 s12, s4, exec_lo
	s_and_not1_b32 s4, s44, exec_lo
	s_and_b32 s5, s5, exec_lo
	s_and_b32 s10, s10, exec_lo
	s_and_b32 s11, s11, exec_lo
	s_or_b32 s44, s4, s5
	s_wait_xcnt 0x0
	s_or_b32 exec_lo, exec_lo, s8
	s_and_saveexec_b32 s4, s44
	s_cbranch_execz .LBB39_1277
.LBB39_1346:
	s_or_b32 s1, s1, exec_lo
	s_and_not1_b32 s11, s11, exec_lo
	s_trap 2
	s_or_b32 exec_lo, exec_lo, s4
	s_and_saveexec_b32 s4, s11
	s_delay_alu instid0(SALU_CYCLE_1)
	s_xor_b32 s4, exec_lo, s4
	s_cbranch_execnz .LBB39_1278
.LBB39_1347:
	s_or_b32 exec_lo, exec_lo, s4
	s_and_saveexec_b32 s4, s12
	s_cbranch_execz .LBB39_1393
.LBB39_1348:
	s_sext_i32_i16 s5, s0
	s_delay_alu instid0(SALU_CYCLE_1)
	s_cmp_lt_i32 s5, 5
	s_cbranch_scc1 .LBB39_1353
; %bb.1349:
	s_cmp_lt_i32 s5, 8
	s_cbranch_scc1 .LBB39_1354
; %bb.1350:
	;; [unrolled: 3-line block ×3, first 2 shown]
	s_cmp_gt_i32 s5, 9
	s_cbranch_scc0 .LBB39_1356
; %bb.1352:
	s_wait_loadcnt 0x0
	global_load_b64 v[0:1], v[6:7], off
	s_mov_b32 s5, 0
	s_wait_loadcnt 0x0
	v_cvt_i32_f64_e32 v0, v[0:1]
	s_branch .LBB39_1357
.LBB39_1353:
                                        ; implicit-def: $vgpr0
	s_branch .LBB39_1374
.LBB39_1354:
                                        ; implicit-def: $vgpr0
	s_branch .LBB39_1363
.LBB39_1355:
	s_mov_b32 s5, -1
                                        ; implicit-def: $vgpr0
	s_branch .LBB39_1360
.LBB39_1356:
	s_mov_b32 s5, -1
                                        ; implicit-def: $vgpr0
.LBB39_1357:
	s_delay_alu instid0(SALU_CYCLE_1)
	s_and_not1_b32 vcc_lo, exec_lo, s5
	s_cbranch_vccnz .LBB39_1359
; %bb.1358:
	s_wait_loadcnt 0x0
	global_load_b32 v0, v[6:7], off
	s_wait_loadcnt 0x0
	v_cvt_i32_f32_e32 v0, v0
.LBB39_1359:
	s_mov_b32 s5, 0
.LBB39_1360:
	s_delay_alu instid0(SALU_CYCLE_1)
	s_and_not1_b32 vcc_lo, exec_lo, s5
	s_cbranch_vccnz .LBB39_1362
; %bb.1361:
	s_wait_loadcnt 0x0
	global_load_b32 v0, v[6:7], off
	s_wait_loadcnt 0x0
	v_cvt_i16_f16_e32 v0, v0
.LBB39_1362:
	s_cbranch_execnz .LBB39_1373
.LBB39_1363:
	s_sext_i32_i16 s5, s0
	s_delay_alu instid0(SALU_CYCLE_1)
	s_cmp_lt_i32 s5, 6
	s_cbranch_scc1 .LBB39_1366
; %bb.1364:
	s_cmp_gt_i32 s5, 6
	s_cbranch_scc0 .LBB39_1367
; %bb.1365:
	s_wait_loadcnt 0x0
	global_load_b64 v[0:1], v[6:7], off
	s_mov_b32 s5, 0
	s_wait_loadcnt 0x0
	v_cvt_i32_f64_e32 v0, v[0:1]
	s_branch .LBB39_1368
.LBB39_1366:
	s_mov_b32 s5, -1
                                        ; implicit-def: $vgpr0
	s_branch .LBB39_1371
.LBB39_1367:
	s_mov_b32 s5, -1
                                        ; implicit-def: $vgpr0
.LBB39_1368:
	s_delay_alu instid0(SALU_CYCLE_1)
	s_and_not1_b32 vcc_lo, exec_lo, s5
	s_cbranch_vccnz .LBB39_1370
; %bb.1369:
	s_wait_loadcnt 0x0
	global_load_b32 v0, v[6:7], off
	s_wait_loadcnt 0x0
	v_cvt_i32_f32_e32 v0, v0
.LBB39_1370:
	s_mov_b32 s5, 0
.LBB39_1371:
	s_delay_alu instid0(SALU_CYCLE_1)
	s_and_not1_b32 vcc_lo, exec_lo, s5
	s_cbranch_vccnz .LBB39_1373
; %bb.1372:
	s_wait_loadcnt 0x0
	global_load_u16 v0, v[6:7], off
	s_wait_loadcnt 0x0
	v_cvt_i16_f16_e32 v0, v0
.LBB39_1373:
	s_cbranch_execnz .LBB39_1392
.LBB39_1374:
	s_sext_i32_i16 s5, s0
	s_delay_alu instid0(SALU_CYCLE_1)
	s_cmp_lt_i32 s5, 2
	s_cbranch_scc1 .LBB39_1378
; %bb.1375:
	s_cmp_lt_i32 s5, 3
	s_cbranch_scc1 .LBB39_1379
; %bb.1376:
	s_cmp_gt_i32 s5, 3
	s_cbranch_scc0 .LBB39_1380
; %bb.1377:
	s_wait_loadcnt 0x0
	global_load_b64 v[0:1], v[6:7], off
	s_mov_b32 s5, 0
	s_branch .LBB39_1381
.LBB39_1378:
                                        ; implicit-def: $vgpr0
	s_branch .LBB39_1387
.LBB39_1379:
	s_mov_b32 s5, -1
                                        ; implicit-def: $vgpr0
	s_branch .LBB39_1384
.LBB39_1380:
	s_mov_b32 s5, -1
                                        ; implicit-def: $vgpr0
.LBB39_1381:
	s_delay_alu instid0(SALU_CYCLE_1)
	s_and_not1_b32 vcc_lo, exec_lo, s5
	s_cbranch_vccnz .LBB39_1383
; %bb.1382:
	s_wait_loadcnt 0x0
	global_load_b32 v0, v[6:7], off
.LBB39_1383:
	s_mov_b32 s5, 0
.LBB39_1384:
	s_delay_alu instid0(SALU_CYCLE_1)
	s_and_not1_b32 vcc_lo, exec_lo, s5
	s_cbranch_vccnz .LBB39_1386
; %bb.1385:
	s_wait_loadcnt 0x0
	global_load_u16 v0, v[6:7], off
.LBB39_1386:
	s_cbranch_execnz .LBB39_1392
.LBB39_1387:
	s_sext_i32_i16 s0, s0
	s_delay_alu instid0(SALU_CYCLE_1)
	s_cmp_gt_i32 s0, 0
	s_mov_b32 s0, 0
	s_cbranch_scc0 .LBB39_1389
; %bb.1388:
	s_wait_loadcnt 0x0
	global_load_u8 v0, v[6:7], off
	s_branch .LBB39_1390
.LBB39_1389:
	s_mov_b32 s0, -1
                                        ; implicit-def: $vgpr0
.LBB39_1390:
	s_delay_alu instid0(SALU_CYCLE_1)
	s_and_not1_b32 vcc_lo, exec_lo, s0
	s_cbranch_vccnz .LBB39_1392
; %bb.1391:
	s_wait_loadcnt 0x0
	global_load_u8 v0, v[6:7], off
.LBB39_1392:
	s_or_b32 s10, s10, exec_lo
.LBB39_1393:
	s_wait_xcnt 0x0
	s_or_b32 exec_lo, exec_lo, s4
	s_mov_b32 s11, 0
	s_mov_b32 s5, 0
	;; [unrolled: 1-line block ×3, first 2 shown]
                                        ; implicit-def: $sgpr0
                                        ; implicit-def: $vgpr6_vgpr7
                                        ; implicit-def: $vgpr8
	s_and_saveexec_b32 s4, s10
	s_cbranch_execz .LBB39_1401
; %bb.1394:
	s_wait_loadcnt 0x0
	v_mov_b32_e32 v5, 0
	s_and_b32 s0, s17, 0xff
	s_delay_alu instid0(SALU_CYCLE_1) | instskip(NEXT) | instid1(VALU_DEP_1)
	s_cmp_lt_i32 s0, 11
	v_add_nc_u64_e32 v[6:7], s[6:7], v[4:5]
	s_cbranch_scc1 .LBB39_1404
; %bb.1395:
	s_and_b32 s5, 0xffff, s0
	s_mov_b32 s7, 0
	s_cmp_gt_i32 s5, 25
	s_cbranch_scc0 .LBB39_1405
; %bb.1396:
	s_cmp_gt_i32 s5, 28
	s_cbranch_scc0 .LBB39_1406
; %bb.1397:
	s_cmp_gt_i32 s5, 43
	s_cbranch_scc0 .LBB39_1407
; %bb.1398:
	s_cmp_gt_i32 s5, 45
	s_cbranch_scc0 .LBB39_1408
; %bb.1399:
	s_cmp_eq_u32 s5, 46
	s_mov_b32 s10, 0
	s_cbranch_scc0 .LBB39_1409
; %bb.1400:
	global_load_b32 v1, v[6:7], off
	s_mov_b32 s6, 0
	s_mov_b32 s8, -1
	s_wait_loadcnt 0x0
	v_lshlrev_b32_e32 v1, 16, v1
	s_delay_alu instid0(VALU_DEP_1)
	v_cvt_i32_f32_e32 v8, v1
	s_branch .LBB39_1411
.LBB39_1401:
	s_or_b32 exec_lo, exec_lo, s4
	s_and_saveexec_b32 s4, s43
	s_cbranch_execnz .LBB39_1470
.LBB39_1402:
	s_or_b32 exec_lo, exec_lo, s4
	s_and_saveexec_b32 s4, s11
	s_delay_alu instid0(SALU_CYCLE_1)
	s_xor_b32 s4, exec_lo, s4
	s_cbranch_execz .LBB39_1471
.LBB39_1403:
	s_wait_loadcnt 0x0
	global_load_u8 v1, v[6:7], off
	s_or_b32 s8, s8, exec_lo
	s_wait_loadcnt 0x0
	v_cmp_ne_u16_e32 vcc_lo, 0, v1
	v_cndmask_b32_e64 v8, 0, 1, vcc_lo
	s_wait_xcnt 0x0
	s_or_b32 exec_lo, exec_lo, s4
	s_and_saveexec_b32 s4, s5
	s_cbranch_execz .LBB39_1517
	s_branch .LBB39_1472
.LBB39_1404:
	s_mov_b32 s5, -1
	s_mov_b32 s7, 0
	s_mov_b32 s6, s43
                                        ; implicit-def: $vgpr8
	s_branch .LBB39_1469
.LBB39_1405:
	s_mov_b32 s6, s43
                                        ; implicit-def: $vgpr8
	s_cbranch_execnz .LBB39_1438
	s_branch .LBB39_1468
.LBB39_1406:
	s_mov_b32 s10, -1
	s_mov_b32 s6, s43
                                        ; implicit-def: $vgpr8
	s_branch .LBB39_1421
.LBB39_1407:
	s_mov_b32 s10, -1
	s_mov_b32 s6, s43
                                        ; implicit-def: $vgpr8
	s_branch .LBB39_1416
.LBB39_1408:
	s_mov_b32 s10, -1
	s_mov_b32 s6, s43
	s_branch .LBB39_1410
.LBB39_1409:
	s_mov_b32 s6, -1
.LBB39_1410:
                                        ; implicit-def: $vgpr8
.LBB39_1411:
	s_and_b32 vcc_lo, exec_lo, s10
	s_cbranch_vccz .LBB39_1415
; %bb.1412:
	s_cmp_eq_u32 s5, 44
	s_cbranch_scc0 .LBB39_1414
; %bb.1413:
	global_load_u8 v1, v[6:7], off
	s_mov_b32 s6, 0
	s_mov_b32 s8, -1
	s_wait_loadcnt 0x0
	v_lshlrev_b32_e32 v3, 23, v1
	v_cmp_ne_u32_e32 vcc_lo, 0, v1
	s_delay_alu instid0(VALU_DEP_2) | instskip(NEXT) | instid1(VALU_DEP_1)
	v_cvt_i32_f32_e32 v3, v3
	v_cndmask_b32_e32 v8, 0, v3, vcc_lo
	s_branch .LBB39_1415
.LBB39_1414:
	s_mov_b32 s6, -1
                                        ; implicit-def: $vgpr8
.LBB39_1415:
	s_mov_b32 s10, 0
.LBB39_1416:
	s_delay_alu instid0(SALU_CYCLE_1)
	s_and_b32 vcc_lo, exec_lo, s10
	s_cbranch_vccz .LBB39_1420
; %bb.1417:
	s_cmp_eq_u32 s5, 29
	s_cbranch_scc0 .LBB39_1419
; %bb.1418:
	global_load_b64 v[8:9], v[6:7], off
	s_mov_b32 s6, 0
	s_mov_b32 s8, -1
	s_branch .LBB39_1420
.LBB39_1419:
	s_mov_b32 s6, -1
                                        ; implicit-def: $vgpr8
.LBB39_1420:
	s_mov_b32 s10, 0
.LBB39_1421:
	s_delay_alu instid0(SALU_CYCLE_1)
	s_and_b32 vcc_lo, exec_lo, s10
	s_cbranch_vccz .LBB39_1437
; %bb.1422:
	s_cmp_lt_i32 s5, 27
	s_cbranch_scc1 .LBB39_1425
; %bb.1423:
	s_cmp_gt_i32 s5, 27
	s_cbranch_scc0 .LBB39_1426
; %bb.1424:
	s_wait_loadcnt 0x0
	global_load_b32 v8, v[6:7], off
	s_mov_b32 s8, 0
	s_branch .LBB39_1427
.LBB39_1425:
	s_mov_b32 s8, -1
                                        ; implicit-def: $vgpr8
	s_branch .LBB39_1430
.LBB39_1426:
	s_mov_b32 s8, -1
                                        ; implicit-def: $vgpr8
.LBB39_1427:
	s_delay_alu instid0(SALU_CYCLE_1)
	s_and_not1_b32 vcc_lo, exec_lo, s8
	s_cbranch_vccnz .LBB39_1429
; %bb.1428:
	s_wait_loadcnt 0x0
	global_load_u16 v8, v[6:7], off
.LBB39_1429:
	s_mov_b32 s8, 0
.LBB39_1430:
	s_delay_alu instid0(SALU_CYCLE_1)
	s_and_not1_b32 vcc_lo, exec_lo, s8
	s_cbranch_vccnz .LBB39_1436
; %bb.1431:
	global_load_u8 v1, v[6:7], off
	s_mov_b32 s10, 0
	s_mov_b32 s8, exec_lo
	s_wait_loadcnt 0x0
	v_cmpx_lt_i16_e32 0x7f, v1
	s_xor_b32 s8, exec_lo, s8
	s_cbranch_execz .LBB39_1447
; %bb.1432:
	v_cmp_ne_u16_e32 vcc_lo, 0x80, v1
	s_and_b32 s10, vcc_lo, exec_lo
	s_and_not1_saveexec_b32 s8, s8
	s_cbranch_execnz .LBB39_1448
.LBB39_1433:
	s_or_b32 exec_lo, exec_lo, s8
	v_mov_b32_e32 v8, 0
	s_and_saveexec_b32 s8, s10
	s_cbranch_execz .LBB39_1435
.LBB39_1434:
	v_and_b32_e32 v3, 0xffff, v1
	s_delay_alu instid0(VALU_DEP_1) | instskip(SKIP_1) | instid1(VALU_DEP_2)
	v_and_b32_e32 v4, 7, v3
	v_bfe_u32 v9, v3, 3, 4
	v_clz_i32_u32_e32 v5, v4
	s_delay_alu instid0(VALU_DEP_2) | instskip(NEXT) | instid1(VALU_DEP_2)
	v_cmp_eq_u32_e32 vcc_lo, 0, v9
	v_min_u32_e32 v5, 32, v5
	s_delay_alu instid0(VALU_DEP_1) | instskip(NEXT) | instid1(VALU_DEP_1)
	v_subrev_nc_u32_e32 v8, 28, v5
	v_dual_lshlrev_b32 v3, v8, v3 :: v_dual_sub_nc_u32 v5, 29, v5
	s_delay_alu instid0(VALU_DEP_1) | instskip(NEXT) | instid1(VALU_DEP_1)
	v_dual_lshlrev_b32 v1, 24, v1 :: v_dual_bitop2_b32 v3, 7, v3 bitop3:0x40
	v_dual_cndmask_b32 v3, v4, v3, vcc_lo :: v_dual_cndmask_b32 v5, v9, v5, vcc_lo
	s_delay_alu instid0(VALU_DEP_2) | instskip(NEXT) | instid1(VALU_DEP_2)
	v_and_b32_e32 v1, 0x80000000, v1
	v_lshlrev_b32_e32 v3, 20, v3
	s_delay_alu instid0(VALU_DEP_3) | instskip(NEXT) | instid1(VALU_DEP_1)
	v_lshl_add_u32 v4, v5, 23, 0x3b800000
	v_or3_b32 v1, v1, v4, v3
	s_delay_alu instid0(VALU_DEP_1)
	v_cvt_i32_f32_e32 v8, v1
.LBB39_1435:
	s_or_b32 exec_lo, exec_lo, s8
.LBB39_1436:
	s_mov_b32 s8, -1
.LBB39_1437:
	s_branch .LBB39_1468
.LBB39_1438:
	s_cmp_gt_i32 s5, 22
	s_cbranch_scc0 .LBB39_1446
; %bb.1439:
	s_cmp_lt_i32 s5, 24
	s_cbranch_scc1 .LBB39_1449
; %bb.1440:
	s_cmp_gt_i32 s5, 24
	s_cbranch_scc0 .LBB39_1450
; %bb.1441:
	global_load_u8 v1, v[6:7], off
	s_mov_b32 s8, 0
	s_mov_b32 s7, exec_lo
	s_wait_loadcnt 0x0
	v_cmpx_lt_i16_e32 0x7f, v1
	s_xor_b32 s7, exec_lo, s7
	s_cbranch_execz .LBB39_1462
; %bb.1442:
	v_cmp_ne_u16_e32 vcc_lo, 0x80, v1
	s_and_b32 s8, vcc_lo, exec_lo
	s_and_not1_saveexec_b32 s7, s7
	s_cbranch_execnz .LBB39_1463
.LBB39_1443:
	s_or_b32 exec_lo, exec_lo, s7
	v_mov_b32_e32 v8, 0
	s_and_saveexec_b32 s7, s8
	s_cbranch_execz .LBB39_1445
.LBB39_1444:
	v_and_b32_e32 v3, 0xffff, v1
	s_delay_alu instid0(VALU_DEP_1) | instskip(SKIP_1) | instid1(VALU_DEP_2)
	v_and_b32_e32 v4, 3, v3
	v_bfe_u32 v9, v3, 2, 5
	v_clz_i32_u32_e32 v5, v4
	s_delay_alu instid0(VALU_DEP_2) | instskip(NEXT) | instid1(VALU_DEP_2)
	v_cmp_eq_u32_e32 vcc_lo, 0, v9
	v_min_u32_e32 v5, 32, v5
	s_delay_alu instid0(VALU_DEP_1) | instskip(NEXT) | instid1(VALU_DEP_1)
	v_subrev_nc_u32_e32 v8, 29, v5
	v_dual_lshlrev_b32 v3, v8, v3 :: v_dual_sub_nc_u32 v5, 30, v5
	s_delay_alu instid0(VALU_DEP_1) | instskip(NEXT) | instid1(VALU_DEP_1)
	v_dual_lshlrev_b32 v1, 24, v1 :: v_dual_bitop2_b32 v3, 3, v3 bitop3:0x40
	v_dual_cndmask_b32 v3, v4, v3, vcc_lo :: v_dual_cndmask_b32 v5, v9, v5, vcc_lo
	s_delay_alu instid0(VALU_DEP_2) | instskip(NEXT) | instid1(VALU_DEP_2)
	v_and_b32_e32 v1, 0x80000000, v1
	v_lshlrev_b32_e32 v3, 21, v3
	s_delay_alu instid0(VALU_DEP_3) | instskip(NEXT) | instid1(VALU_DEP_1)
	v_lshl_add_u32 v4, v5, 23, 0x37800000
	v_or3_b32 v1, v1, v4, v3
	s_delay_alu instid0(VALU_DEP_1)
	v_cvt_i32_f32_e32 v8, v1
.LBB39_1445:
	s_or_b32 exec_lo, exec_lo, s7
	s_mov_b32 s7, 0
	s_branch .LBB39_1451
.LBB39_1446:
	s_mov_b32 s7, -1
                                        ; implicit-def: $vgpr8
	s_branch .LBB39_1457
.LBB39_1447:
	s_and_not1_saveexec_b32 s8, s8
	s_cbranch_execz .LBB39_1433
.LBB39_1448:
	v_cmp_ne_u16_e32 vcc_lo, 0, v1
	s_and_not1_b32 s10, s10, exec_lo
	s_and_b32 s11, vcc_lo, exec_lo
	s_delay_alu instid0(SALU_CYCLE_1)
	s_or_b32 s10, s10, s11
	s_or_b32 exec_lo, exec_lo, s8
	v_mov_b32_e32 v8, 0
	s_and_saveexec_b32 s8, s10
	s_cbranch_execnz .LBB39_1434
	s_branch .LBB39_1435
.LBB39_1449:
	s_mov_b32 s7, -1
                                        ; implicit-def: $vgpr8
	s_branch .LBB39_1454
.LBB39_1450:
	s_mov_b32 s7, -1
                                        ; implicit-def: $vgpr8
.LBB39_1451:
	s_delay_alu instid0(SALU_CYCLE_1)
	s_and_b32 vcc_lo, exec_lo, s7
	s_cbranch_vccz .LBB39_1453
; %bb.1452:
	global_load_u8 v1, v[6:7], off
	s_wait_loadcnt 0x0
	v_lshlrev_b32_e32 v1, 24, v1
	s_delay_alu instid0(VALU_DEP_1) | instskip(NEXT) | instid1(VALU_DEP_1)
	v_and_b32_e32 v3, 0x7f000000, v1
	v_clz_i32_u32_e32 v4, v3
	v_cmp_ne_u32_e32 vcc_lo, 0, v3
	v_add_nc_u32_e32 v8, 0x1000000, v3
	s_delay_alu instid0(VALU_DEP_3) | instskip(NEXT) | instid1(VALU_DEP_1)
	v_min_u32_e32 v4, 32, v4
	v_sub_nc_u32_e64 v4, v4, 4 clamp
	s_delay_alu instid0(VALU_DEP_1) | instskip(NEXT) | instid1(VALU_DEP_1)
	v_dual_lshlrev_b32 v5, v4, v3 :: v_dual_lshlrev_b32 v4, 23, v4
	v_lshrrev_b32_e32 v5, 4, v5
	s_delay_alu instid0(VALU_DEP_1) | instskip(SKIP_1) | instid1(VALU_DEP_2)
	v_sub_nc_u32_e32 v4, v5, v4
	v_ashrrev_i32_e32 v5, 8, v8
	v_add_nc_u32_e32 v4, 0x3c000000, v4
	s_delay_alu instid0(VALU_DEP_1) | instskip(NEXT) | instid1(VALU_DEP_1)
	v_and_or_b32 v4, 0x7f800000, v5, v4
	v_cndmask_b32_e32 v3, 0, v4, vcc_lo
	s_delay_alu instid0(VALU_DEP_1) | instskip(NEXT) | instid1(VALU_DEP_1)
	v_and_or_b32 v1, 0x80000000, v1, v3
	v_cvt_i32_f32_e32 v8, v1
.LBB39_1453:
	s_mov_b32 s7, 0
.LBB39_1454:
	s_delay_alu instid0(SALU_CYCLE_1)
	s_and_not1_b32 vcc_lo, exec_lo, s7
	s_cbranch_vccnz .LBB39_1456
; %bb.1455:
	global_load_u8 v1, v[6:7], off
	s_wait_loadcnt 0x0
	v_lshlrev_b32_e32 v3, 25, v1
	v_lshlrev_b16 v1, 8, v1
	s_delay_alu instid0(VALU_DEP_1) | instskip(NEXT) | instid1(VALU_DEP_3)
	v_and_or_b32 v5, 0x7f00, v1, 0.5
	v_lshrrev_b32_e32 v4, 4, v3
	v_bfe_i32 v1, v1, 0, 16
	s_delay_alu instid0(VALU_DEP_3) | instskip(NEXT) | instid1(VALU_DEP_3)
	v_add_f32_e32 v5, -0.5, v5
	v_or_b32_e32 v4, 0x70000000, v4
	s_delay_alu instid0(VALU_DEP_1) | instskip(SKIP_1) | instid1(VALU_DEP_2)
	v_mul_f32_e32 v4, 0x7800000, v4
	v_cmp_gt_u32_e32 vcc_lo, 0x8000000, v3
	v_cndmask_b32_e32 v3, v4, v5, vcc_lo
	s_delay_alu instid0(VALU_DEP_1) | instskip(NEXT) | instid1(VALU_DEP_1)
	v_and_or_b32 v1, 0x80000000, v1, v3
	v_cvt_i32_f32_e32 v8, v1
.LBB39_1456:
	s_mov_b32 s7, 0
	s_mov_b32 s8, -1
.LBB39_1457:
	s_and_not1_b32 vcc_lo, exec_lo, s7
	s_mov_b32 s7, 0
	s_cbranch_vccnz .LBB39_1468
; %bb.1458:
	s_cmp_gt_i32 s5, 14
	s_cbranch_scc0 .LBB39_1461
; %bb.1459:
	s_cmp_eq_u32 s5, 15
	s_cbranch_scc0 .LBB39_1464
; %bb.1460:
	global_load_u16 v1, v[6:7], off
	s_mov_b32 s6, 0
	s_mov_b32 s8, -1
	s_wait_loadcnt 0x0
	v_lshlrev_b32_e32 v1, 16, v1
	s_delay_alu instid0(VALU_DEP_1)
	v_cvt_i32_f32_e32 v8, v1
	s_branch .LBB39_1466
.LBB39_1461:
	s_mov_b32 s7, -1
	s_branch .LBB39_1465
.LBB39_1462:
	s_and_not1_saveexec_b32 s7, s7
	s_cbranch_execz .LBB39_1443
.LBB39_1463:
	v_cmp_ne_u16_e32 vcc_lo, 0, v1
	s_and_not1_b32 s8, s8, exec_lo
	s_and_b32 s10, vcc_lo, exec_lo
	s_delay_alu instid0(SALU_CYCLE_1)
	s_or_b32 s8, s8, s10
	s_or_b32 exec_lo, exec_lo, s7
	v_mov_b32_e32 v8, 0
	s_and_saveexec_b32 s7, s8
	s_cbranch_execnz .LBB39_1444
	s_branch .LBB39_1445
.LBB39_1464:
	s_mov_b32 s6, -1
.LBB39_1465:
                                        ; implicit-def: $vgpr8
.LBB39_1466:
	s_and_b32 vcc_lo, exec_lo, s7
	s_mov_b32 s7, 0
	s_cbranch_vccz .LBB39_1468
; %bb.1467:
	s_cmp_lg_u32 s5, 11
	s_mov_b32 s7, -1
	s_cselect_b32 s5, -1, 0
	s_and_not1_b32 s6, s6, exec_lo
	s_and_b32 s5, s5, exec_lo
	s_delay_alu instid0(SALU_CYCLE_1)
	s_or_b32 s6, s6, s5
.LBB39_1468:
	s_mov_b32 s5, 0
.LBB39_1469:
	s_and_not1_b32 s10, s43, exec_lo
	s_and_b32 s6, s6, exec_lo
	s_and_b32 s8, s8, exec_lo
	s_and_b32 s5, s5, exec_lo
	s_and_b32 s11, s7, exec_lo
	s_or_b32 s43, s10, s6
	s_wait_xcnt 0x0
	s_or_b32 exec_lo, exec_lo, s4
	s_and_saveexec_b32 s4, s43
	s_cbranch_execz .LBB39_1402
.LBB39_1470:
	s_or_b32 s1, s1, exec_lo
	s_and_not1_b32 s11, s11, exec_lo
	s_trap 2
	s_or_b32 exec_lo, exec_lo, s4
	s_and_saveexec_b32 s4, s11
	s_delay_alu instid0(SALU_CYCLE_1)
	s_xor_b32 s4, exec_lo, s4
	s_cbranch_execnz .LBB39_1403
.LBB39_1471:
	s_or_b32 exec_lo, exec_lo, s4
	s_and_saveexec_b32 s4, s5
	s_cbranch_execz .LBB39_1517
.LBB39_1472:
	s_sext_i32_i16 s5, s0
	s_delay_alu instid0(SALU_CYCLE_1)
	s_cmp_lt_i32 s5, 5
	s_cbranch_scc1 .LBB39_1477
; %bb.1473:
	s_cmp_lt_i32 s5, 8
	s_cbranch_scc1 .LBB39_1478
; %bb.1474:
	;; [unrolled: 3-line block ×3, first 2 shown]
	s_cmp_gt_i32 s5, 9
	s_cbranch_scc0 .LBB39_1480
; %bb.1476:
	s_wait_loadcnt 0x0
	global_load_b64 v[4:5], v[6:7], off
	s_mov_b32 s5, 0
	s_wait_loadcnt 0x0
	v_cvt_i32_f64_e32 v8, v[4:5]
	s_branch .LBB39_1481
.LBB39_1477:
                                        ; implicit-def: $vgpr8
	s_branch .LBB39_1498
.LBB39_1478:
                                        ; implicit-def: $vgpr8
	s_branch .LBB39_1487
.LBB39_1479:
	s_mov_b32 s5, -1
                                        ; implicit-def: $vgpr8
	s_branch .LBB39_1484
.LBB39_1480:
	s_mov_b32 s5, -1
                                        ; implicit-def: $vgpr8
.LBB39_1481:
	s_delay_alu instid0(SALU_CYCLE_1)
	s_and_not1_b32 vcc_lo, exec_lo, s5
	s_cbranch_vccnz .LBB39_1483
; %bb.1482:
	s_wait_loadcnt 0x0
	global_load_b32 v1, v[6:7], off
	s_wait_loadcnt 0x0
	v_cvt_i32_f32_e32 v8, v1
.LBB39_1483:
	s_mov_b32 s5, 0
.LBB39_1484:
	s_delay_alu instid0(SALU_CYCLE_1)
	s_and_not1_b32 vcc_lo, exec_lo, s5
	s_cbranch_vccnz .LBB39_1486
; %bb.1485:
	s_wait_loadcnt 0x0
	global_load_b32 v1, v[6:7], off
	s_wait_loadcnt 0x0
	v_cvt_i16_f16_e32 v8, v1
.LBB39_1486:
	s_cbranch_execnz .LBB39_1497
.LBB39_1487:
	s_sext_i32_i16 s5, s0
	s_delay_alu instid0(SALU_CYCLE_1)
	s_cmp_lt_i32 s5, 6
	s_cbranch_scc1 .LBB39_1490
; %bb.1488:
	s_cmp_gt_i32 s5, 6
	s_cbranch_scc0 .LBB39_1491
; %bb.1489:
	s_wait_loadcnt 0x0
	global_load_b64 v[4:5], v[6:7], off
	s_mov_b32 s5, 0
	s_wait_loadcnt 0x0
	v_cvt_i32_f64_e32 v8, v[4:5]
	s_branch .LBB39_1492
.LBB39_1490:
	s_mov_b32 s5, -1
                                        ; implicit-def: $vgpr8
	s_branch .LBB39_1495
.LBB39_1491:
	s_mov_b32 s5, -1
                                        ; implicit-def: $vgpr8
.LBB39_1492:
	s_delay_alu instid0(SALU_CYCLE_1)
	s_and_not1_b32 vcc_lo, exec_lo, s5
	s_cbranch_vccnz .LBB39_1494
; %bb.1493:
	s_wait_loadcnt 0x0
	global_load_b32 v1, v[6:7], off
	s_wait_loadcnt 0x0
	v_cvt_i32_f32_e32 v8, v1
.LBB39_1494:
	s_mov_b32 s5, 0
.LBB39_1495:
	s_delay_alu instid0(SALU_CYCLE_1)
	s_and_not1_b32 vcc_lo, exec_lo, s5
	s_cbranch_vccnz .LBB39_1497
; %bb.1496:
	s_wait_loadcnt 0x0
	global_load_u16 v1, v[6:7], off
	s_wait_loadcnt 0x0
	v_cvt_i16_f16_e32 v8, v1
.LBB39_1497:
	s_cbranch_execnz .LBB39_1516
.LBB39_1498:
	s_sext_i32_i16 s5, s0
	s_delay_alu instid0(SALU_CYCLE_1)
	s_cmp_lt_i32 s5, 2
	s_cbranch_scc1 .LBB39_1502
; %bb.1499:
	s_cmp_lt_i32 s5, 3
	s_cbranch_scc1 .LBB39_1503
; %bb.1500:
	s_cmp_gt_i32 s5, 3
	s_cbranch_scc0 .LBB39_1504
; %bb.1501:
	s_wait_loadcnt 0x0
	global_load_b64 v[8:9], v[6:7], off
	s_mov_b32 s5, 0
	s_branch .LBB39_1505
.LBB39_1502:
                                        ; implicit-def: $vgpr8
	s_branch .LBB39_1511
.LBB39_1503:
	s_mov_b32 s5, -1
                                        ; implicit-def: $vgpr8
	s_branch .LBB39_1508
.LBB39_1504:
	s_mov_b32 s5, -1
                                        ; implicit-def: $vgpr8
.LBB39_1505:
	s_delay_alu instid0(SALU_CYCLE_1)
	s_and_not1_b32 vcc_lo, exec_lo, s5
	s_cbranch_vccnz .LBB39_1507
; %bb.1506:
	s_wait_loadcnt 0x0
	global_load_b32 v8, v[6:7], off
.LBB39_1507:
	s_mov_b32 s5, 0
.LBB39_1508:
	s_delay_alu instid0(SALU_CYCLE_1)
	s_and_not1_b32 vcc_lo, exec_lo, s5
	s_cbranch_vccnz .LBB39_1510
; %bb.1509:
	s_wait_loadcnt 0x0
	global_load_u16 v8, v[6:7], off
.LBB39_1510:
	s_cbranch_execnz .LBB39_1516
.LBB39_1511:
	s_sext_i32_i16 s0, s0
	s_delay_alu instid0(SALU_CYCLE_1)
	s_cmp_gt_i32 s0, 0
	s_mov_b32 s0, 0
	s_cbranch_scc0 .LBB39_1513
; %bb.1512:
	s_wait_loadcnt 0x0
	global_load_u8 v8, v[6:7], off
	s_branch .LBB39_1514
.LBB39_1513:
	s_mov_b32 s0, -1
                                        ; implicit-def: $vgpr8
.LBB39_1514:
	s_delay_alu instid0(SALU_CYCLE_1)
	s_and_not1_b32 vcc_lo, exec_lo, s0
	s_cbranch_vccnz .LBB39_1516
; %bb.1515:
	s_wait_loadcnt 0x0
	global_load_u8 v8, v[6:7], off
.LBB39_1516:
	s_or_b32 s8, s8, exec_lo
.LBB39_1517:
	s_wait_xcnt 0x0
	s_or_b32 exec_lo, exec_lo, s4
	s_mov_b32 s0, 0
	s_mov_b32 s6, 0
                                        ; implicit-def: $sgpr4
                                        ; implicit-def: $vgpr4_vgpr5
                                        ; implicit-def: $vgpr1
	s_and_saveexec_b32 s5, s8
	s_cbranch_execz .LBB39_1525
; %bb.1518:
	v_mov_b32_e32 v3, 0
	s_wait_loadcnt 0x0
	v_mul_lo_u16 v0, v0, s16
	s_and_b32 s4, s9, 0xff
	s_delay_alu instid0(SALU_CYCLE_1) | instskip(SKIP_1) | instid1(VALU_DEP_2)
	s_cmp_lt_i32 s4, 11
	v_add_nc_u64_e32 v[4:5], s[18:19], v[2:3]
	v_mul_lo_u16 v1, v0, v8
	s_cbranch_scc1 .LBB39_1528
; %bb.1519:
	s_and_b32 s6, 0xffff, s4
	s_mov_b32 s7, -1
	s_cmp_gt_i32 s6, 25
	s_mov_b32 s0, s21
	s_cbranch_scc0 .LBB39_1556
; %bb.1520:
	s_cmp_gt_i32 s6, 28
	s_mov_b32 s0, s21
	s_cbranch_scc0 .LBB39_1540
; %bb.1521:
	;; [unrolled: 4-line block ×4, first 2 shown]
	s_cmp_eq_u32 s6, 46
	s_mov_b32 s0, -1
	s_cbranch_scc0 .LBB39_1529
; %bb.1524:
	v_bfe_i32 v0, v1, 0, 8
	s_mov_b32 s0, 0
	s_mov_b32 s7, 0
	s_delay_alu instid0(VALU_DEP_1) | instskip(NEXT) | instid1(VALU_DEP_1)
	v_bfe_i32 v0, v0, 0, 16
	v_cvt_f32_i32_e32 v0, v0
	s_delay_alu instid0(VALU_DEP_1) | instskip(NEXT) | instid1(VALU_DEP_1)
	v_bfe_u32 v2, v0, 16, 1
	v_add3_u32 v0, v0, v2, 0x7fff
	s_delay_alu instid0(VALU_DEP_1)
	v_lshrrev_b32_e32 v0, 16, v0
	global_store_b32 v[4:5], v0, off
	s_branch .LBB39_1530
.LBB39_1525:
	s_or_b32 exec_lo, exec_lo, s5
	s_and_saveexec_b32 s5, s21
	s_cbranch_execnz .LBB39_1598
.LBB39_1526:
	s_or_b32 exec_lo, exec_lo, s5
	s_and_saveexec_b32 s5, s0
	s_delay_alu instid0(SALU_CYCLE_1)
	s_xor_b32 s0, exec_lo, s5
	s_cbranch_execz .LBB39_1599
.LBB39_1527:
	s_wait_loadcnt 0x0
	v_and_b32_e32 v0, 0xff, v1
	s_delay_alu instid0(VALU_DEP_1)
	v_cmp_ne_u16_e32 vcc_lo, 0, v0
	v_cndmask_b32_e64 v0, 0, 1, vcc_lo
	global_store_b8 v[4:5], v0, off
	s_wait_xcnt 0x0
	s_or_b32 exec_lo, exec_lo, s0
	s_and_saveexec_b32 s0, s6
	s_delay_alu instid0(SALU_CYCLE_1)
	s_xor_b32 s0, exec_lo, s0
	s_cbranch_execz .LBB39_1637
	s_branch .LBB39_1600
.LBB39_1528:
	s_mov_b32 s8, 0
	s_mov_b32 s7, -1
	s_mov_b32 s0, s21
	s_branch .LBB39_1597
.LBB39_1529:
	s_mov_b32 s7, 0
.LBB39_1530:
	s_delay_alu instid0(SALU_CYCLE_1)
	s_and_b32 vcc_lo, exec_lo, s7
	s_cbranch_vccz .LBB39_1535
; %bb.1531:
	s_cmp_eq_u32 s6, 44
	s_mov_b32 s0, -1
	s_cbranch_scc0 .LBB39_1535
; %bb.1532:
	s_wait_xcnt 0x0
	v_bfe_i32 v0, v1, 0, 8
	v_mov_b32_e32 v2, 0xff
	s_mov_b32 s7, exec_lo
	s_delay_alu instid0(VALU_DEP_2) | instskip(NEXT) | instid1(VALU_DEP_1)
	v_bfe_i32 v0, v0, 0, 16
	v_cvt_f32_i32_e32 v0, v0
	s_delay_alu instid0(VALU_DEP_1) | instskip(NEXT) | instid1(VALU_DEP_1)
	v_bfe_u32 v3, v0, 23, 8
	v_cmpx_ne_u32_e32 0xff, v3
	s_cbranch_execz .LBB39_1534
; %bb.1533:
	v_and_b32_e32 v2, 0x400000, v0
	v_and_or_b32 v3, 0x3fffff, v0, v3
	v_lshrrev_b32_e32 v0, 23, v0
	s_delay_alu instid0(VALU_DEP_3) | instskip(NEXT) | instid1(VALU_DEP_3)
	v_cmp_ne_u32_e32 vcc_lo, 0, v2
	v_cmp_ne_u32_e64 s0, 0, v3
	s_and_b32 s0, vcc_lo, s0
	s_delay_alu instid0(SALU_CYCLE_1) | instskip(NEXT) | instid1(VALU_DEP_1)
	v_cndmask_b32_e64 v2, 0, 1, s0
	v_add_nc_u32_e32 v2, v0, v2
.LBB39_1534:
	s_or_b32 exec_lo, exec_lo, s7
	s_mov_b32 s0, 0
	global_store_b8 v[4:5], v2, off
.LBB39_1535:
	s_mov_b32 s7, 0
.LBB39_1536:
	s_delay_alu instid0(SALU_CYCLE_1)
	s_and_b32 vcc_lo, exec_lo, s7
	s_cbranch_vccz .LBB39_1539
; %bb.1537:
	s_cmp_eq_u32 s6, 29
	s_mov_b32 s0, -1
	s_cbranch_scc0 .LBB39_1539
; %bb.1538:
	s_wait_xcnt 0x0
	v_bfe_i32 v2, v1, 0, 8
	s_mov_b32 s0, 0
	s_mov_b32 s7, 0
	s_delay_alu instid0(VALU_DEP_1)
	v_ashrrev_i32_e32 v3, 31, v2
	global_store_b64 v[4:5], v[2:3], off
	s_branch .LBB39_1540
.LBB39_1539:
	s_mov_b32 s7, 0
.LBB39_1540:
	s_delay_alu instid0(SALU_CYCLE_1)
	s_and_b32 vcc_lo, exec_lo, s7
	s_cbranch_vccz .LBB39_1555
; %bb.1541:
	s_cmp_lt_i32 s6, 27
	s_mov_b32 s7, -1
	s_cbranch_scc1 .LBB39_1547
; %bb.1542:
	s_cmp_gt_i32 s6, 27
	s_cbranch_scc0 .LBB39_1544
; %bb.1543:
	s_wait_xcnt 0x0
	v_bfe_i32 v0, v1, 0, 8
	s_mov_b32 s7, 0
	global_store_b32 v[4:5], v0, off
.LBB39_1544:
	s_and_not1_b32 vcc_lo, exec_lo, s7
	s_cbranch_vccnz .LBB39_1546
; %bb.1545:
	s_wait_xcnt 0x0
	v_bfe_i32 v0, v1, 0, 8
	global_store_b16 v[4:5], v0, off
.LBB39_1546:
	s_mov_b32 s7, 0
.LBB39_1547:
	s_delay_alu instid0(SALU_CYCLE_1)
	s_and_not1_b32 vcc_lo, exec_lo, s7
	s_cbranch_vccnz .LBB39_1555
; %bb.1548:
	s_wait_xcnt 0x0
	v_bfe_i32 v0, v1, 0, 8
	v_mov_b32_e32 v3, 0x80
	s_mov_b32 s7, exec_lo
	s_delay_alu instid0(VALU_DEP_2) | instskip(NEXT) | instid1(VALU_DEP_1)
	v_bfe_i32 v0, v0, 0, 16
	v_cvt_f32_i32_e32 v0, v0
	s_delay_alu instid0(VALU_DEP_1) | instskip(NEXT) | instid1(VALU_DEP_1)
	v_and_b32_e32 v2, 0x7fffffff, v0
	v_cmpx_gt_u32_e32 0x43800000, v2
	s_cbranch_execz .LBB39_1554
; %bb.1549:
	v_cmp_lt_u32_e32 vcc_lo, 0x3bffffff, v2
	s_mov_b32 s8, 0
                                        ; implicit-def: $vgpr2
	s_and_saveexec_b32 s9, vcc_lo
	s_delay_alu instid0(SALU_CYCLE_1)
	s_xor_b32 s9, exec_lo, s9
	s_cbranch_execz .LBB39_1713
; %bb.1550:
	v_bfe_u32 v2, v0, 20, 1
	s_mov_b32 s8, exec_lo
	s_delay_alu instid0(VALU_DEP_1) | instskip(NEXT) | instid1(VALU_DEP_1)
	v_add3_u32 v2, v0, v2, 0x487ffff
	v_lshrrev_b32_e32 v2, 20, v2
	s_and_not1_saveexec_b32 s9, s9
	s_cbranch_execnz .LBB39_1714
.LBB39_1551:
	s_or_b32 exec_lo, exec_lo, s9
	v_mov_b32_e32 v3, 0
	s_and_saveexec_b32 s9, s8
.LBB39_1552:
	v_lshrrev_b32_e32 v0, 24, v0
	s_delay_alu instid0(VALU_DEP_1)
	v_and_or_b32 v3, 0x80, v0, v2
.LBB39_1553:
	s_or_b32 exec_lo, exec_lo, s9
.LBB39_1554:
	s_delay_alu instid0(SALU_CYCLE_1)
	s_or_b32 exec_lo, exec_lo, s7
	global_store_b8 v[4:5], v3, off
.LBB39_1555:
	s_mov_b32 s7, 0
.LBB39_1556:
	s_delay_alu instid0(SALU_CYCLE_1)
	s_and_b32 vcc_lo, exec_lo, s7
	s_mov_b32 s7, 0
	s_cbranch_vccz .LBB39_1596
; %bb.1557:
	s_cmp_gt_i32 s6, 22
	s_mov_b32 s8, -1
	s_cbranch_scc0 .LBB39_1589
; %bb.1558:
	s_cmp_lt_i32 s6, 24
	s_cbranch_scc1 .LBB39_1578
; %bb.1559:
	s_cmp_gt_i32 s6, 24
	s_cbranch_scc0 .LBB39_1567
; %bb.1560:
	s_wait_xcnt 0x0
	v_bfe_i32 v0, v1, 0, 8
	v_mov_b32_e32 v3, 0x80
	s_mov_b32 s8, exec_lo
	s_delay_alu instid0(VALU_DEP_2) | instskip(NEXT) | instid1(VALU_DEP_1)
	v_bfe_i32 v0, v0, 0, 16
	v_cvt_f32_i32_e32 v0, v0
	s_delay_alu instid0(VALU_DEP_1) | instskip(NEXT) | instid1(VALU_DEP_1)
	v_and_b32_e32 v2, 0x7fffffff, v0
	v_cmpx_gt_u32_e32 0x47800000, v2
	s_cbranch_execz .LBB39_1566
; %bb.1561:
	v_cmp_lt_u32_e32 vcc_lo, 0x37ffffff, v2
	s_mov_b32 s9, 0
                                        ; implicit-def: $vgpr2
	s_and_saveexec_b32 s10, vcc_lo
	s_delay_alu instid0(SALU_CYCLE_1)
	s_xor_b32 s10, exec_lo, s10
	s_cbranch_execz .LBB39_1716
; %bb.1562:
	v_bfe_u32 v2, v0, 21, 1
	s_mov_b32 s9, exec_lo
	s_delay_alu instid0(VALU_DEP_1) | instskip(NEXT) | instid1(VALU_DEP_1)
	v_add3_u32 v2, v0, v2, 0x88fffff
	v_lshrrev_b32_e32 v2, 21, v2
	s_and_not1_saveexec_b32 s10, s10
	s_cbranch_execnz .LBB39_1717
.LBB39_1563:
	s_or_b32 exec_lo, exec_lo, s10
	v_mov_b32_e32 v3, 0
	s_and_saveexec_b32 s10, s9
.LBB39_1564:
	v_lshrrev_b32_e32 v0, 24, v0
	s_delay_alu instid0(VALU_DEP_1)
	v_and_or_b32 v3, 0x80, v0, v2
.LBB39_1565:
	s_or_b32 exec_lo, exec_lo, s10
.LBB39_1566:
	s_delay_alu instid0(SALU_CYCLE_1)
	s_or_b32 exec_lo, exec_lo, s8
	s_mov_b32 s8, 0
	global_store_b8 v[4:5], v3, off
.LBB39_1567:
	s_and_b32 vcc_lo, exec_lo, s8
	s_cbranch_vccz .LBB39_1577
; %bb.1568:
	s_wait_xcnt 0x0
	v_bfe_i32 v0, v1, 0, 8
	s_mov_b32 s8, exec_lo
                                        ; implicit-def: $vgpr2
	s_delay_alu instid0(VALU_DEP_1) | instskip(NEXT) | instid1(VALU_DEP_1)
	v_bfe_i32 v0, v0, 0, 16
	v_cvt_f32_i32_e32 v0, v0
	s_delay_alu instid0(VALU_DEP_1) | instskip(NEXT) | instid1(VALU_DEP_1)
	v_and_b32_e32 v3, 0x7fffffff, v0
	v_cmpx_gt_u32_e32 0x43f00000, v3
	s_xor_b32 s8, exec_lo, s8
	s_cbranch_execz .LBB39_1574
; %bb.1569:
	s_mov_b32 s9, exec_lo
                                        ; implicit-def: $vgpr2
	v_cmpx_lt_u32_e32 0x3c7fffff, v3
	s_xor_b32 s9, exec_lo, s9
; %bb.1570:
	v_bfe_u32 v2, v0, 20, 1
	s_delay_alu instid0(VALU_DEP_1) | instskip(NEXT) | instid1(VALU_DEP_1)
	v_add3_u32 v2, v0, v2, 0x407ffff
	v_and_b32_e32 v3, 0xff00000, v2
	v_lshrrev_b32_e32 v2, 20, v2
	s_delay_alu instid0(VALU_DEP_2) | instskip(NEXT) | instid1(VALU_DEP_2)
	v_cmp_ne_u32_e32 vcc_lo, 0x7f00000, v3
	v_cndmask_b32_e32 v2, 0x7e, v2, vcc_lo
; %bb.1571:
	s_and_not1_saveexec_b32 s9, s9
; %bb.1572:
	v_add_f32_e64 v2, 0x46800000, |v0|
; %bb.1573:
	s_or_b32 exec_lo, exec_lo, s9
                                        ; implicit-def: $vgpr3
.LBB39_1574:
	s_and_not1_saveexec_b32 s8, s8
; %bb.1575:
	v_mov_b32_e32 v2, 0x7f
	v_cmp_lt_u32_e32 vcc_lo, 0x7f800000, v3
	s_delay_alu instid0(VALU_DEP_2)
	v_cndmask_b32_e32 v2, 0x7e, v2, vcc_lo
; %bb.1576:
	s_or_b32 exec_lo, exec_lo, s8
	v_lshrrev_b32_e32 v0, 24, v0
	s_delay_alu instid0(VALU_DEP_1)
	v_and_or_b32 v0, 0x80, v0, v2
	global_store_b8 v[4:5], v0, off
.LBB39_1577:
	s_mov_b32 s8, 0
.LBB39_1578:
	s_delay_alu instid0(SALU_CYCLE_1)
	s_and_not1_b32 vcc_lo, exec_lo, s8
	s_cbranch_vccnz .LBB39_1588
; %bb.1579:
	s_wait_xcnt 0x0
	v_bfe_i32 v0, v1, 0, 8
	s_mov_b32 s8, exec_lo
                                        ; implicit-def: $vgpr2
	s_delay_alu instid0(VALU_DEP_1) | instskip(NEXT) | instid1(VALU_DEP_1)
	v_bfe_i32 v0, v0, 0, 16
	v_cvt_f32_i32_e32 v0, v0
	s_delay_alu instid0(VALU_DEP_1) | instskip(NEXT) | instid1(VALU_DEP_1)
	v_and_b32_e32 v3, 0x7fffffff, v0
	v_cmpx_gt_u32_e32 0x47800000, v3
	s_xor_b32 s8, exec_lo, s8
	s_cbranch_execz .LBB39_1585
; %bb.1580:
	s_mov_b32 s9, exec_lo
                                        ; implicit-def: $vgpr2
	v_cmpx_lt_u32_e32 0x387fffff, v3
	s_xor_b32 s9, exec_lo, s9
; %bb.1581:
	v_bfe_u32 v2, v0, 21, 1
	s_delay_alu instid0(VALU_DEP_1) | instskip(NEXT) | instid1(VALU_DEP_1)
	v_add3_u32 v2, v0, v2, 0x80fffff
	v_lshrrev_b32_e32 v2, 21, v2
; %bb.1582:
	s_and_not1_saveexec_b32 s9, s9
; %bb.1583:
	v_add_f32_e64 v2, 0x43000000, |v0|
; %bb.1584:
	s_or_b32 exec_lo, exec_lo, s9
                                        ; implicit-def: $vgpr3
.LBB39_1585:
	s_and_not1_saveexec_b32 s8, s8
; %bb.1586:
	v_mov_b32_e32 v2, 0x7f
	v_cmp_lt_u32_e32 vcc_lo, 0x7f800000, v3
	s_delay_alu instid0(VALU_DEP_2)
	v_cndmask_b32_e32 v2, 0x7c, v2, vcc_lo
; %bb.1587:
	s_or_b32 exec_lo, exec_lo, s8
	v_lshrrev_b32_e32 v0, 24, v0
	s_delay_alu instid0(VALU_DEP_1)
	v_and_or_b32 v0, 0x80, v0, v2
	global_store_b8 v[4:5], v0, off
.LBB39_1588:
	s_mov_b32 s8, 0
.LBB39_1589:
	s_delay_alu instid0(SALU_CYCLE_1)
	s_and_not1_b32 vcc_lo, exec_lo, s8
	s_mov_b32 s8, 0
	s_cbranch_vccnz .LBB39_1597
; %bb.1590:
	s_cmp_gt_i32 s6, 14
	s_mov_b32 s8, -1
	s_cbranch_scc0 .LBB39_1594
; %bb.1591:
	s_cmp_eq_u32 s6, 15
	s_mov_b32 s0, -1
	s_cbranch_scc0 .LBB39_1593
; %bb.1592:
	s_wait_xcnt 0x0
	v_bfe_i32 v0, v1, 0, 8
	s_mov_b32 s0, 0
	s_delay_alu instid0(VALU_DEP_1) | instskip(NEXT) | instid1(VALU_DEP_1)
	v_bfe_i32 v0, v0, 0, 16
	v_cvt_f32_i32_e32 v0, v0
	s_delay_alu instid0(VALU_DEP_1) | instskip(NEXT) | instid1(VALU_DEP_1)
	v_bfe_u32 v2, v0, 16, 1
	v_add3_u32 v0, v0, v2, 0x7fff
	global_store_d16_hi_b16 v[4:5], v0, off
.LBB39_1593:
	s_mov_b32 s8, 0
.LBB39_1594:
	s_delay_alu instid0(SALU_CYCLE_1)
	s_and_b32 vcc_lo, exec_lo, s8
	s_mov_b32 s8, 0
	s_cbranch_vccz .LBB39_1597
; %bb.1595:
	s_cmp_lg_u32 s6, 11
	s_mov_b32 s8, -1
	s_cselect_b32 s6, -1, 0
	s_and_not1_b32 s0, s0, exec_lo
	s_and_b32 s6, s6, exec_lo
	s_delay_alu instid0(SALU_CYCLE_1)
	s_or_b32 s0, s0, s6
	s_branch .LBB39_1597
.LBB39_1596:
	s_mov_b32 s8, 0
.LBB39_1597:
	s_and_b32 s6, s7, exec_lo
	s_and_not1_b32 s7, s21, exec_lo
	s_and_b32 s9, s0, exec_lo
	s_and_b32 s0, s8, exec_lo
	s_or_b32 s21, s7, s9
	s_wait_xcnt 0x0
	s_or_b32 exec_lo, exec_lo, s5
	s_and_saveexec_b32 s5, s21
	s_cbranch_execz .LBB39_1526
.LBB39_1598:
	s_or_b32 s1, s1, exec_lo
	s_and_not1_b32 s0, s0, exec_lo
	s_trap 2
	s_or_b32 exec_lo, exec_lo, s5
	s_and_saveexec_b32 s5, s0
	s_delay_alu instid0(SALU_CYCLE_1)
	s_xor_b32 s0, exec_lo, s5
	s_cbranch_execnz .LBB39_1527
.LBB39_1599:
	s_or_b32 exec_lo, exec_lo, s0
	s_and_saveexec_b32 s0, s6
	s_delay_alu instid0(SALU_CYCLE_1)
	s_xor_b32 s0, exec_lo, s0
	s_cbranch_execz .LBB39_1637
.LBB39_1600:
	s_sext_i32_i16 s6, s4
	s_mov_b32 s5, -1
	s_cmp_lt_i32 s6, 5
	s_cbranch_scc1 .LBB39_1621
; %bb.1601:
	s_cmp_lt_i32 s6, 8
	s_cbranch_scc1 .LBB39_1611
; %bb.1602:
	;; [unrolled: 3-line block ×3, first 2 shown]
	s_cmp_gt_i32 s6, 9
	s_cbranch_scc0 .LBB39_1605
; %bb.1604:
	s_wait_loadcnt 0x0
	v_bfe_i32 v0, v1, 0, 8
	v_mov_b32_e32 v8, 0
	s_mov_b32 s5, 0
	s_delay_alu instid0(VALU_DEP_2) | instskip(NEXT) | instid1(VALU_DEP_2)
	v_bfe_i32 v0, v0, 0, 16
	v_mov_b32_e32 v9, v8
	s_delay_alu instid0(VALU_DEP_2)
	v_cvt_f64_i32_e32 v[6:7], v0
	global_store_b128 v[4:5], v[6:9], off
.LBB39_1605:
	s_and_not1_b32 vcc_lo, exec_lo, s5
	s_cbranch_vccnz .LBB39_1607
; %bb.1606:
	s_wait_loadcnt 0x0
	v_bfe_i32 v0, v1, 0, 8
	v_mov_b32_e32 v3, 0
	s_delay_alu instid0(VALU_DEP_2) | instskip(NEXT) | instid1(VALU_DEP_1)
	v_bfe_i32 v0, v0, 0, 16
	v_cvt_f32_i32_e32 v2, v0
	global_store_b64 v[4:5], v[2:3], off
.LBB39_1607:
	s_mov_b32 s5, 0
.LBB39_1608:
	s_delay_alu instid0(SALU_CYCLE_1)
	s_and_not1_b32 vcc_lo, exec_lo, s5
	s_cbranch_vccnz .LBB39_1610
; %bb.1609:
	s_wait_loadcnt 0x0
	v_bfe_i32 v0, v1, 0, 8
	s_delay_alu instid0(VALU_DEP_1) | instskip(NEXT) | instid1(VALU_DEP_1)
	v_cvt_f16_i16_e32 v0, v0
	v_and_b32_e32 v0, 0xffff, v0
	global_store_b32 v[4:5], v0, off
.LBB39_1610:
	s_mov_b32 s5, 0
.LBB39_1611:
	s_delay_alu instid0(SALU_CYCLE_1)
	s_and_not1_b32 vcc_lo, exec_lo, s5
	s_cbranch_vccnz .LBB39_1620
; %bb.1612:
	s_sext_i32_i16 s6, s4
	s_mov_b32 s5, -1
	s_cmp_lt_i32 s6, 6
	s_cbranch_scc1 .LBB39_1618
; %bb.1613:
	s_cmp_gt_i32 s6, 6
	s_cbranch_scc0 .LBB39_1615
; %bb.1614:
	s_wait_loadcnt 0x0
	v_bfe_i32 v0, v1, 0, 8
	s_mov_b32 s5, 0
	s_delay_alu instid0(VALU_DEP_1) | instskip(NEXT) | instid1(VALU_DEP_1)
	v_bfe_i32 v0, v0, 0, 16
	v_cvt_f64_i32_e32 v[2:3], v0
	global_store_b64 v[4:5], v[2:3], off
.LBB39_1615:
	s_and_not1_b32 vcc_lo, exec_lo, s5
	s_cbranch_vccnz .LBB39_1617
; %bb.1616:
	s_wait_loadcnt 0x0
	v_bfe_i32 v0, v1, 0, 8
	s_delay_alu instid0(VALU_DEP_1) | instskip(NEXT) | instid1(VALU_DEP_1)
	v_bfe_i32 v0, v0, 0, 16
	v_cvt_f32_i32_e32 v0, v0
	global_store_b32 v[4:5], v0, off
.LBB39_1617:
	s_mov_b32 s5, 0
.LBB39_1618:
	s_delay_alu instid0(SALU_CYCLE_1)
	s_and_not1_b32 vcc_lo, exec_lo, s5
	s_cbranch_vccnz .LBB39_1620
; %bb.1619:
	s_wait_loadcnt 0x0
	v_bfe_i32 v0, v1, 0, 8
	s_delay_alu instid0(VALU_DEP_1)
	v_cvt_f16_i16_e32 v0, v0
	global_store_b16 v[4:5], v0, off
.LBB39_1620:
	s_mov_b32 s5, 0
.LBB39_1621:
	s_delay_alu instid0(SALU_CYCLE_1)
	s_and_not1_b32 vcc_lo, exec_lo, s5
	s_cbranch_vccnz .LBB39_1637
; %bb.1622:
	s_sext_i32_i16 s6, s4
	s_mov_b32 s5, -1
	s_cmp_lt_i32 s6, 2
	s_cbranch_scc1 .LBB39_1632
; %bb.1623:
	s_cmp_lt_i32 s6, 3
	s_cbranch_scc1 .LBB39_1629
; %bb.1624:
	s_cmp_gt_i32 s6, 3
	s_cbranch_scc0 .LBB39_1626
; %bb.1625:
	s_wait_loadcnt 0x0
	v_bfe_i32 v2, v1, 0, 8
	s_mov_b32 s5, 0
	s_delay_alu instid0(VALU_DEP_1)
	v_ashrrev_i32_e32 v3, 31, v2
	global_store_b64 v[4:5], v[2:3], off
.LBB39_1626:
	s_and_not1_b32 vcc_lo, exec_lo, s5
	s_cbranch_vccnz .LBB39_1628
; %bb.1627:
	s_wait_loadcnt 0x0
	v_bfe_i32 v0, v1, 0, 8
	global_store_b32 v[4:5], v0, off
.LBB39_1628:
	s_mov_b32 s5, 0
.LBB39_1629:
	s_delay_alu instid0(SALU_CYCLE_1)
	s_and_not1_b32 vcc_lo, exec_lo, s5
	s_cbranch_vccnz .LBB39_1631
; %bb.1630:
	s_wait_loadcnt 0x0
	v_bfe_i32 v0, v1, 0, 8
	global_store_b16 v[4:5], v0, off
.LBB39_1631:
	s_mov_b32 s5, 0
.LBB39_1632:
	s_delay_alu instid0(SALU_CYCLE_1)
	s_and_not1_b32 vcc_lo, exec_lo, s5
	s_cbranch_vccnz .LBB39_1637
; %bb.1633:
	s_sext_i32_i16 s4, s4
	s_delay_alu instid0(SALU_CYCLE_1)
	s_cmp_gt_i32 s4, 0
	s_mov_b32 s4, -1
	s_cbranch_scc0 .LBB39_1635
; %bb.1634:
	s_mov_b32 s4, 0
	s_wait_loadcnt 0x0
	global_store_b8 v[4:5], v1, off
.LBB39_1635:
	s_and_not1_b32 vcc_lo, exec_lo, s4
	s_cbranch_vccnz .LBB39_1637
; %bb.1636:
	s_wait_loadcnt 0x0
	global_store_b8 v[4:5], v1, off
.LBB39_1637:
	s_wait_xcnt 0x0
	s_or_b32 exec_lo, exec_lo, s0
	s_delay_alu instid0(SALU_CYCLE_1)
	s_and_b32 s6, s1, exec_lo
                                        ; implicit-def: $vgpr5
                                        ; implicit-def: $vgpr0
.LBB39_1638:
	s_or_saveexec_b32 s7, s36
	s_mov_b32 s0, 0
                                        ; implicit-def: $vgpr2_vgpr3
                                        ; implicit-def: $sgpr1
                                        ; implicit-def: $vgpr1
	s_xor_b32 exec_lo, exec_lo, s7
	s_cbranch_execz .LBB39_3218
; %bb.1639:
	s_wait_loadcnt 0x0
	v_cndmask_b32_e64 v1, 0, 1, s35
	s_and_not1_b32 vcc_lo, exec_lo, s35
	s_cbranch_vccnz .LBB39_1645
; %bb.1640:
	s_cmp_lg_u32 s15, 0
	s_mov_b32 s8, 0
	s_cbranch_scc0 .LBB39_1649
; %bb.1641:
	s_min_u32 s9, s33, 15
	v_dual_mov_b32 v6, 0 :: v_dual_mov_b32 v2, v0
	v_dual_mov_b32 v8, 0 :: v_dual_mov_b32 v12, 0
	s_add_co_i32 s4, s9, 1
	s_mov_b64 s[0:1], 0xffffffffffffffe0
	s_and_b32 s10, s4, 30
	s_add_nc_u64 s[0:1], s[2:3], s[0:1]
	s_mov_b64 s[4:5], s[2:3]
.LBB39_1642:                            ; =>This Inner Loop Header: Depth=1
	s_clause 0x1
	s_load_b128 s[16:19], s[4:5], 0x4
	s_load_b64 s[20:21], s[4:5], 0x14
	s_clause 0x1
	s_load_b32 s11, s[0:1], 0xe4
	s_load_b96 s[12:14], s[0:1], 0xec
	s_add_co_i32 s10, s10, -2
	s_wait_xcnt 0x0
	s_add_nc_u64 s[4:5], s[4:5], 24
	s_cmp_lg_u32 s10, 0
	s_wait_kmcnt 0x0
	v_mul_hi_u32 v3, s17, v2
	s_delay_alu instid0(VALU_DEP_1) | instskip(NEXT) | instid1(VALU_DEP_1)
	v_add_nc_u32_e32 v3, v2, v3
	v_lshrrev_b32_e32 v3, s18, v3
	s_delay_alu instid0(VALU_DEP_1) | instskip(SKIP_4) | instid1(VALU_DEP_1)
	v_mul_hi_u32 v4, s20, v3
	v_mul_lo_u32 v7, v3, s16
	s_load_b64 s[16:17], s[0:1], 0xfc
	s_wait_xcnt 0x0
	s_add_nc_u64 s[0:1], s[0:1], 32
	v_dual_add_nc_u32 v4, v3, v4 :: v_dual_sub_nc_u32 v7, v2, v7
	s_delay_alu instid0(VALU_DEP_1) | instskip(NEXT) | instid1(VALU_DEP_2)
	v_lshrrev_b32_e32 v2, s21, v4
	v_mad_u32 v6, v7, s11, v6
	v_mad_u32 v9, v7, s13, v12
	;; [unrolled: 1-line block ×3, first 2 shown]
	s_delay_alu instid0(VALU_DEP_4) | instskip(NEXT) | instid1(VALU_DEP_1)
	v_mul_lo_u32 v4, v2, s19
	v_sub_nc_u32_e32 v3, v3, v4
	s_delay_alu instid0(VALU_DEP_1)
	v_mad_u32 v6, v3, s14, v6
	s_wait_kmcnt 0x0
	v_mad_u32 v12, v3, s17, v9
	v_mad_u32 v8, v3, s16, v7
	s_cbranch_scc1 .LBB39_1642
; %bb.1643:
	s_bitcmp1_b32 s9, 0
	s_cselect_b32 s9, -1, 0
	s_delay_alu instid0(SALU_CYCLE_1)
	s_and_b32 vcc_lo, exec_lo, s9
	s_cbranch_vccnz .LBB39_1646
; %bb.1644:
	s_load_b96 s[12:14], s[4:5], 0x4
	s_load_b32 s9, s[0:1], 0xe4
	s_wait_xcnt 0x0
	s_load_b64 s[4:5], s[0:1], 0xec
	s_wait_kmcnt 0x0
	v_mul_hi_u32 v3, s13, v2
	s_delay_alu instid0(VALU_DEP_1) | instskip(NEXT) | instid1(VALU_DEP_1)
	v_add_nc_u32_e32 v3, v2, v3
	v_lshrrev_b32_e32 v3, s14, v3
	s_delay_alu instid0(VALU_DEP_1) | instskip(NEXT) | instid1(VALU_DEP_1)
	v_mul_lo_u32 v3, v3, s12
	v_sub_nc_u32_e32 v2, v2, v3
	s_delay_alu instid0(VALU_DEP_1)
	v_mad_u32 v6, v2, s9, v6
	v_mad_u32 v8, v2, s4, v8
	;; [unrolled: 1-line block ×3, first 2 shown]
	s_and_not1_b32 vcc_lo, exec_lo, s8
	s_cbranch_vccz .LBB39_1647
	s_branch .LBB39_1650
.LBB39_1645:
	s_mov_b32 s8, -1
                                        ; implicit-def: $vgpr12
                                        ; implicit-def: $vgpr8
                                        ; implicit-def: $vgpr6
.LBB39_1646:
	s_delay_alu instid0(SALU_CYCLE_1)
	s_and_not1_b32 vcc_lo, exec_lo, s8
	s_cbranch_vccnz .LBB39_1650
.LBB39_1647:
	s_clause 0x2
	s_load_b96 s[8:10], s[2:3], 0x4
	s_load_b32 s4, s[2:3], 0xc4
	s_load_b64 s[0:1], s[2:3], 0xcc
	s_cmp_lt_u32 s15, 2
	s_wait_kmcnt 0x0
	v_mul_hi_u32 v2, s9, v0
	s_delay_alu instid0(VALU_DEP_1) | instskip(NEXT) | instid1(VALU_DEP_1)
	v_add_nc_u32_e32 v2, v0, v2
	v_lshrrev_b32_e32 v2, s10, v2
	s_delay_alu instid0(VALU_DEP_1) | instskip(NEXT) | instid1(VALU_DEP_1)
	v_mul_lo_u32 v3, v2, s8
	v_sub_nc_u32_e32 v3, v0, v3
	s_delay_alu instid0(VALU_DEP_1)
	v_mul_lo_u32 v6, v3, s4
	v_mul_lo_u32 v12, v3, s1
	v_mul_lo_u32 v8, v3, s0
	s_cbranch_scc1 .LBB39_1650
; %bb.1648:
	s_clause 0x2
	s_load_b96 s[8:10], s[2:3], 0x10
	s_load_b32 s4, s[2:3], 0xd4
	s_load_b64 s[0:1], s[2:3], 0xdc
	s_wait_kmcnt 0x0
	v_mul_hi_u32 v3, s9, v2
	s_delay_alu instid0(VALU_DEP_1) | instskip(NEXT) | instid1(VALU_DEP_1)
	v_add_nc_u32_e32 v3, v2, v3
	v_lshrrev_b32_e32 v3, s10, v3
	s_delay_alu instid0(VALU_DEP_1) | instskip(NEXT) | instid1(VALU_DEP_1)
	v_mul_lo_u32 v3, v3, s8
	v_sub_nc_u32_e32 v2, v2, v3
	s_delay_alu instid0(VALU_DEP_1)
	v_mad_u32 v6, v2, s4, v6
	v_mad_u32 v8, v2, s0, v8
	v_mad_u32 v12, v2, s1, v12
	s_branch .LBB39_1650
.LBB39_1649:
	v_dual_mov_b32 v12, 0 :: v_dual_mov_b32 v8, 0
	v_mov_b32_e32 v6, 0
	s_and_not1_b32 vcc_lo, exec_lo, s8
	s_cbranch_vccz .LBB39_1647
.LBB39_1650:
	v_cmp_ne_u32_e32 vcc_lo, 1, v1
	v_add_nc_u32_e32 v2, 0x80, v0
	s_cbranch_vccnz .LBB39_1656
; %bb.1651:
	s_cmp_lg_u32 s15, 0
	s_mov_b32 s8, 0
	s_cbranch_scc0 .LBB39_1660
; %bb.1652:
	s_min_u32 s9, s33, 15
	v_dual_mov_b32 v4, 0 :: v_dual_mov_b32 v3, v2
	v_dual_mov_b32 v14, 0 :: v_dual_mov_b32 v18, 0
	s_add_co_i32 s4, s9, 1
	s_mov_b64 s[0:1], 0xffffffffffffffe0
	s_and_b32 s10, s4, 30
	s_add_nc_u64 s[0:1], s[2:3], s[0:1]
	s_mov_b64 s[4:5], s[2:3]
.LBB39_1653:                            ; =>This Inner Loop Header: Depth=1
	s_clause 0x1
	s_load_b128 s[16:19], s[4:5], 0x4
	s_load_b64 s[20:21], s[4:5], 0x14
	s_clause 0x1
	s_load_b32 s11, s[0:1], 0xe4
	s_load_b96 s[12:14], s[0:1], 0xec
	s_add_co_i32 s10, s10, -2
	s_wait_xcnt 0x0
	s_add_nc_u64 s[4:5], s[4:5], 24
	s_cmp_lg_u32 s10, 0
	s_wait_kmcnt 0x0
	v_mul_hi_u32 v7, s17, v3
	s_delay_alu instid0(VALU_DEP_1) | instskip(NEXT) | instid1(VALU_DEP_1)
	v_add_nc_u32_e32 v7, v3, v7
	v_lshrrev_b32_e32 v7, s18, v7
	s_delay_alu instid0(VALU_DEP_1) | instskip(SKIP_4) | instid1(VALU_DEP_2)
	v_mul_hi_u32 v9, s20, v7
	v_mul_lo_u32 v10, v7, s16
	s_load_b64 s[16:17], s[0:1], 0xfc
	s_wait_xcnt 0x0
	s_add_nc_u64 s[0:1], s[0:1], 32
	v_add_nc_u32_e32 v9, v7, v9
	s_delay_alu instid0(VALU_DEP_1) | instskip(NEXT) | instid1(VALU_DEP_1)
	v_dual_sub_nc_u32 v10, v3, v10 :: v_dual_lshrrev_b32 v3, s21, v9
	v_mad_u32 v4, v10, s11, v4
	v_mad_u32 v11, v10, s13, v18
	;; [unrolled: 1-line block ×3, first 2 shown]
	s_delay_alu instid0(VALU_DEP_4) | instskip(NEXT) | instid1(VALU_DEP_1)
	v_mul_lo_u32 v9, v3, s19
	v_sub_nc_u32_e32 v7, v7, v9
	s_delay_alu instid0(VALU_DEP_1)
	v_mad_u32 v4, v7, s14, v4
	s_wait_kmcnt 0x0
	v_mad_u32 v18, v7, s17, v11
	v_mad_u32 v14, v7, s16, v10
	s_cbranch_scc1 .LBB39_1653
; %bb.1654:
	s_bitcmp1_b32 s9, 0
	s_cselect_b32 s9, -1, 0
	s_delay_alu instid0(SALU_CYCLE_1)
	s_and_b32 vcc_lo, exec_lo, s9
	s_cbranch_vccnz .LBB39_1657
; %bb.1655:
	s_load_b96 s[12:14], s[4:5], 0x4
	s_load_b32 s9, s[0:1], 0xe4
	s_wait_xcnt 0x0
	s_load_b64 s[4:5], s[0:1], 0xec
	s_wait_kmcnt 0x0
	v_mul_hi_u32 v7, s13, v3
	s_delay_alu instid0(VALU_DEP_1) | instskip(NEXT) | instid1(VALU_DEP_1)
	v_add_nc_u32_e32 v7, v3, v7
	v_lshrrev_b32_e32 v7, s14, v7
	s_delay_alu instid0(VALU_DEP_1) | instskip(NEXT) | instid1(VALU_DEP_1)
	v_mul_lo_u32 v7, v7, s12
	v_sub_nc_u32_e32 v3, v3, v7
	s_delay_alu instid0(VALU_DEP_1)
	v_mad_u32 v4, v3, s9, v4
	v_mad_u32 v14, v3, s4, v14
	;; [unrolled: 1-line block ×3, first 2 shown]
	s_and_not1_b32 vcc_lo, exec_lo, s8
	s_cbranch_vccz .LBB39_1658
	s_branch .LBB39_1661
.LBB39_1656:
	s_mov_b32 s8, -1
                                        ; implicit-def: $vgpr18
                                        ; implicit-def: $vgpr14
                                        ; implicit-def: $vgpr4
.LBB39_1657:
	s_delay_alu instid0(SALU_CYCLE_1)
	s_and_not1_b32 vcc_lo, exec_lo, s8
	s_cbranch_vccnz .LBB39_1661
.LBB39_1658:
	s_clause 0x2
	s_load_b96 s[8:10], s[2:3], 0x4
	s_load_b32 s4, s[2:3], 0xc4
	s_load_b64 s[0:1], s[2:3], 0xcc
	s_cmp_lt_u32 s15, 2
	s_wait_kmcnt 0x0
	v_mul_hi_u32 v3, s9, v2
	s_delay_alu instid0(VALU_DEP_1) | instskip(NEXT) | instid1(VALU_DEP_1)
	v_add_nc_u32_e32 v3, v2, v3
	v_lshrrev_b32_e32 v3, s10, v3
	s_delay_alu instid0(VALU_DEP_1) | instskip(NEXT) | instid1(VALU_DEP_1)
	v_mul_lo_u32 v4, v3, s8
	v_sub_nc_u32_e32 v2, v2, v4
	s_delay_alu instid0(VALU_DEP_1)
	v_mul_lo_u32 v4, v2, s4
	v_mul_lo_u32 v18, v2, s1
	;; [unrolled: 1-line block ×3, first 2 shown]
	s_cbranch_scc1 .LBB39_1661
; %bb.1659:
	s_clause 0x2
	s_load_b96 s[8:10], s[2:3], 0x10
	s_load_b32 s4, s[2:3], 0xd4
	s_load_b64 s[0:1], s[2:3], 0xdc
	s_wait_kmcnt 0x0
	v_mul_hi_u32 v2, s9, v3
	s_delay_alu instid0(VALU_DEP_1) | instskip(NEXT) | instid1(VALU_DEP_1)
	v_add_nc_u32_e32 v2, v3, v2
	v_lshrrev_b32_e32 v2, s10, v2
	s_delay_alu instid0(VALU_DEP_1) | instskip(NEXT) | instid1(VALU_DEP_1)
	v_mul_lo_u32 v2, v2, s8
	v_sub_nc_u32_e32 v2, v3, v2
	s_delay_alu instid0(VALU_DEP_1)
	v_mad_u32 v4, v2, s4, v4
	v_mad_u32 v14, v2, s0, v14
	;; [unrolled: 1-line block ×3, first 2 shown]
	s_branch .LBB39_1661
.LBB39_1660:
	v_dual_mov_b32 v18, 0 :: v_dual_mov_b32 v14, 0
	v_mov_b32_e32 v4, 0
	s_and_not1_b32 vcc_lo, exec_lo, s8
	s_cbranch_vccz .LBB39_1658
.LBB39_1661:
	v_cmp_ne_u32_e32 vcc_lo, 1, v1
	v_add_nc_u32_e32 v0, 0x100, v0
	s_cbranch_vccnz .LBB39_1667
; %bb.1662:
	s_cmp_lg_u32 s15, 0
	s_mov_b32 s8, 0
	s_cbranch_scc0 .LBB39_1671
; %bb.1663:
	s_min_u32 s9, s33, 15
	v_dual_mov_b32 v2, 0 :: v_dual_mov_b32 v3, v0
	v_dual_mov_b32 v22, 0 :: v_dual_mov_b32 v20, 0
	s_add_co_i32 s4, s9, 1
	s_mov_b64 s[0:1], 0xffffffffffffffe0
	s_and_b32 s10, s4, 30
	s_add_nc_u64 s[0:1], s[2:3], s[0:1]
	s_mov_b64 s[4:5], s[2:3]
.LBB39_1664:                            ; =>This Inner Loop Header: Depth=1
	s_clause 0x1
	s_load_b128 s[16:19], s[4:5], 0x4
	s_load_b64 s[20:21], s[4:5], 0x14
	s_clause 0x1
	s_load_b32 s11, s[0:1], 0xe4
	s_load_b96 s[12:14], s[0:1], 0xec
	s_add_co_i32 s10, s10, -2
	s_wait_xcnt 0x0
	s_add_nc_u64 s[4:5], s[4:5], 24
	s_cmp_lg_u32 s10, 0
	s_wait_kmcnt 0x0
	v_mul_hi_u32 v7, s17, v3
	s_delay_alu instid0(VALU_DEP_1) | instskip(NEXT) | instid1(VALU_DEP_1)
	v_add_nc_u32_e32 v7, v3, v7
	v_lshrrev_b32_e32 v7, s18, v7
	s_delay_alu instid0(VALU_DEP_1) | instskip(SKIP_4) | instid1(VALU_DEP_2)
	v_mul_hi_u32 v9, s20, v7
	v_mul_lo_u32 v10, v7, s16
	s_load_b64 s[16:17], s[0:1], 0xfc
	s_wait_xcnt 0x0
	s_add_nc_u64 s[0:1], s[0:1], 32
	v_add_nc_u32_e32 v9, v7, v9
	s_delay_alu instid0(VALU_DEP_1) | instskip(NEXT) | instid1(VALU_DEP_1)
	v_dual_sub_nc_u32 v10, v3, v10 :: v_dual_lshrrev_b32 v3, s21, v9
	v_mad_u32 v2, v10, s11, v2
	v_mad_u32 v11, v10, s13, v20
	;; [unrolled: 1-line block ×3, first 2 shown]
	s_delay_alu instid0(VALU_DEP_4) | instskip(NEXT) | instid1(VALU_DEP_1)
	v_mul_lo_u32 v9, v3, s19
	v_sub_nc_u32_e32 v7, v7, v9
	s_delay_alu instid0(VALU_DEP_1)
	v_mad_u32 v2, v7, s14, v2
	s_wait_kmcnt 0x0
	v_mad_u32 v20, v7, s17, v11
	v_mad_u32 v22, v7, s16, v10
	s_cbranch_scc1 .LBB39_1664
; %bb.1665:
	s_bitcmp1_b32 s9, 0
	s_cselect_b32 s9, -1, 0
	s_delay_alu instid0(SALU_CYCLE_1)
	s_and_b32 vcc_lo, exec_lo, s9
	s_cbranch_vccnz .LBB39_1668
; %bb.1666:
	s_load_b96 s[12:14], s[4:5], 0x4
	s_load_b32 s9, s[0:1], 0xe4
	s_wait_xcnt 0x0
	s_load_b64 s[4:5], s[0:1], 0xec
	s_wait_kmcnt 0x0
	v_mul_hi_u32 v7, s13, v3
	s_delay_alu instid0(VALU_DEP_1) | instskip(NEXT) | instid1(VALU_DEP_1)
	v_add_nc_u32_e32 v7, v3, v7
	v_lshrrev_b32_e32 v7, s14, v7
	s_delay_alu instid0(VALU_DEP_1) | instskip(NEXT) | instid1(VALU_DEP_1)
	v_mul_lo_u32 v7, v7, s12
	v_sub_nc_u32_e32 v3, v3, v7
	s_delay_alu instid0(VALU_DEP_1)
	v_mad_u32 v2, v3, s9, v2
	v_mad_u32 v22, v3, s4, v22
	v_mad_u32 v20, v3, s5, v20
	s_and_not1_b32 vcc_lo, exec_lo, s8
	s_cbranch_vccz .LBB39_1669
	s_branch .LBB39_1672
.LBB39_1667:
	s_mov_b32 s8, -1
                                        ; implicit-def: $vgpr20
                                        ; implicit-def: $vgpr22
                                        ; implicit-def: $vgpr2
.LBB39_1668:
	s_delay_alu instid0(SALU_CYCLE_1)
	s_and_not1_b32 vcc_lo, exec_lo, s8
	s_cbranch_vccnz .LBB39_1672
.LBB39_1669:
	s_clause 0x2
	s_load_b96 s[8:10], s[2:3], 0x4
	s_load_b32 s4, s[2:3], 0xc4
	s_load_b64 s[0:1], s[2:3], 0xcc
	s_cmp_lt_u32 s15, 2
	s_wait_kmcnt 0x0
	v_mul_hi_u32 v2, s9, v0
	s_delay_alu instid0(VALU_DEP_1) | instskip(NEXT) | instid1(VALU_DEP_1)
	v_add_nc_u32_e32 v2, v0, v2
	v_lshrrev_b32_e32 v3, s10, v2
	s_delay_alu instid0(VALU_DEP_1) | instskip(NEXT) | instid1(VALU_DEP_1)
	v_mul_lo_u32 v2, v3, s8
	v_sub_nc_u32_e32 v0, v0, v2
	s_delay_alu instid0(VALU_DEP_1)
	v_mul_lo_u32 v2, v0, s4
	v_mul_lo_u32 v20, v0, s1
	;; [unrolled: 1-line block ×3, first 2 shown]
	s_cbranch_scc1 .LBB39_1672
; %bb.1670:
	s_clause 0x2
	s_load_b96 s[8:10], s[2:3], 0x10
	s_load_b32 s4, s[2:3], 0xd4
	s_load_b64 s[0:1], s[2:3], 0xdc
	s_wait_kmcnt 0x0
	v_mul_hi_u32 v0, s9, v3
	s_delay_alu instid0(VALU_DEP_1) | instskip(NEXT) | instid1(VALU_DEP_1)
	v_add_nc_u32_e32 v0, v3, v0
	v_lshrrev_b32_e32 v0, s10, v0
	s_delay_alu instid0(VALU_DEP_1) | instskip(NEXT) | instid1(VALU_DEP_1)
	v_mul_lo_u32 v0, v0, s8
	v_sub_nc_u32_e32 v0, v3, v0
	s_delay_alu instid0(VALU_DEP_1)
	v_mad_u32 v2, v0, s4, v2
	v_mad_u32 v22, v0, s0, v22
	;; [unrolled: 1-line block ×3, first 2 shown]
	s_branch .LBB39_1672
.LBB39_1671:
	v_dual_mov_b32 v20, 0 :: v_dual_mov_b32 v22, 0
	v_mov_b32_e32 v2, 0
	s_and_not1_b32 vcc_lo, exec_lo, s8
	s_cbranch_vccz .LBB39_1669
.LBB39_1672:
	v_cmp_ne_u32_e32 vcc_lo, 1, v1
	s_cbranch_vccnz .LBB39_1678
; %bb.1673:
	s_cmp_lg_u32 s15, 0
	s_mov_b32 s8, 0
	s_cbranch_scc0 .LBB39_1682
; %bb.1674:
	s_min_u32 s9, s33, 15
	v_dual_mov_b32 v0, 0 :: v_dual_mov_b32 v1, v5
	v_dual_mov_b32 v16, 0 :: v_dual_mov_b32 v10, 0
	s_add_co_i32 s4, s9, 1
	s_mov_b64 s[0:1], 0xffffffffffffffe0
	s_and_b32 s10, s4, 30
	s_add_nc_u64 s[0:1], s[2:3], s[0:1]
	s_mov_b64 s[4:5], s[2:3]
.LBB39_1675:                            ; =>This Inner Loop Header: Depth=1
	s_clause 0x1
	s_load_b128 s[16:19], s[4:5], 0x4
	s_load_b64 s[20:21], s[4:5], 0x14
	s_clause 0x1
	s_load_b32 s11, s[0:1], 0xe4
	s_load_b96 s[12:14], s[0:1], 0xec
	s_add_co_i32 s10, s10, -2
	s_wait_xcnt 0x0
	s_add_nc_u64 s[4:5], s[4:5], 24
	s_cmp_lg_u32 s10, 0
	s_wait_kmcnt 0x0
	v_mul_hi_u32 v3, s17, v1
	s_delay_alu instid0(VALU_DEP_1) | instskip(NEXT) | instid1(VALU_DEP_1)
	v_add_nc_u32_e32 v3, v1, v3
	v_lshrrev_b32_e32 v3, s18, v3
	s_delay_alu instid0(VALU_DEP_1) | instskip(SKIP_4) | instid1(VALU_DEP_1)
	v_mul_hi_u32 v7, s20, v3
	v_mul_lo_u32 v9, v3, s16
	s_load_b64 s[16:17], s[0:1], 0xfc
	s_wait_xcnt 0x0
	s_add_nc_u64 s[0:1], s[0:1], 32
	v_dual_add_nc_u32 v7, v3, v7 :: v_dual_sub_nc_u32 v9, v1, v9
	s_delay_alu instid0(VALU_DEP_1) | instskip(NEXT) | instid1(VALU_DEP_2)
	v_lshrrev_b32_e32 v1, s21, v7
	v_mad_u32 v0, v9, s11, v0
	v_mad_u32 v10, v9, s13, v10
	;; [unrolled: 1-line block ×3, first 2 shown]
	s_delay_alu instid0(VALU_DEP_4) | instskip(NEXT) | instid1(VALU_DEP_1)
	v_mul_lo_u32 v7, v1, s19
	v_sub_nc_u32_e32 v3, v3, v7
	s_delay_alu instid0(VALU_DEP_1)
	v_mad_u32 v0, v3, s14, v0
	s_wait_kmcnt 0x0
	v_mad_u32 v10, v3, s17, v10
	v_mad_u32 v16, v3, s16, v9
	s_cbranch_scc1 .LBB39_1675
; %bb.1676:
	s_bitcmp1_b32 s9, 0
	s_cselect_b32 s9, -1, 0
	s_delay_alu instid0(SALU_CYCLE_1)
	s_and_b32 vcc_lo, exec_lo, s9
	s_cbranch_vccnz .LBB39_1679
; %bb.1677:
	s_load_b96 s[12:14], s[4:5], 0x4
	s_load_b32 s9, s[0:1], 0xe4
	s_wait_xcnt 0x0
	s_load_b64 s[4:5], s[0:1], 0xec
	s_wait_kmcnt 0x0
	v_mul_hi_u32 v3, s13, v1
	s_delay_alu instid0(VALU_DEP_1) | instskip(NEXT) | instid1(VALU_DEP_1)
	v_add_nc_u32_e32 v3, v1, v3
	v_lshrrev_b32_e32 v3, s14, v3
	s_delay_alu instid0(VALU_DEP_1) | instskip(NEXT) | instid1(VALU_DEP_1)
	v_mul_lo_u32 v3, v3, s12
	v_sub_nc_u32_e32 v1, v1, v3
	s_delay_alu instid0(VALU_DEP_1)
	v_mad_u32 v0, v1, s9, v0
	v_mad_u32 v16, v1, s4, v16
	v_mad_u32 v10, v1, s5, v10
	s_and_not1_b32 vcc_lo, exec_lo, s8
	s_cbranch_vccz .LBB39_1680
	s_branch .LBB39_1683
.LBB39_1678:
	s_mov_b32 s8, -1
                                        ; implicit-def: $vgpr10
                                        ; implicit-def: $vgpr16
                                        ; implicit-def: $vgpr0
.LBB39_1679:
	s_delay_alu instid0(SALU_CYCLE_1)
	s_and_not1_b32 vcc_lo, exec_lo, s8
	s_cbranch_vccnz .LBB39_1683
.LBB39_1680:
	s_clause 0x2
	s_load_b96 s[8:10], s[2:3], 0x4
	s_load_b32 s4, s[2:3], 0xc4
	s_load_b64 s[0:1], s[2:3], 0xcc
	s_cmp_lt_u32 s15, 2
	s_wait_kmcnt 0x0
	v_mul_hi_u32 v0, s9, v5
	s_delay_alu instid0(VALU_DEP_1) | instskip(NEXT) | instid1(VALU_DEP_1)
	v_add_nc_u32_e32 v0, v5, v0
	v_lshrrev_b32_e32 v1, s10, v0
	s_delay_alu instid0(VALU_DEP_1) | instskip(NEXT) | instid1(VALU_DEP_1)
	v_mul_lo_u32 v0, v1, s8
	v_sub_nc_u32_e32 v3, v5, v0
	s_delay_alu instid0(VALU_DEP_1)
	v_mul_lo_u32 v0, v3, s4
	v_mul_lo_u32 v10, v3, s1
	;; [unrolled: 1-line block ×3, first 2 shown]
	s_cbranch_scc1 .LBB39_1683
; %bb.1681:
	s_clause 0x2
	s_load_b96 s[8:10], s[2:3], 0x10
	s_load_b32 s4, s[2:3], 0xd4
	s_load_b64 s[0:1], s[2:3], 0xdc
	s_wait_kmcnt 0x0
	v_mul_hi_u32 v3, s9, v1
	s_delay_alu instid0(VALU_DEP_1) | instskip(NEXT) | instid1(VALU_DEP_1)
	v_add_nc_u32_e32 v3, v1, v3
	v_lshrrev_b32_e32 v3, s10, v3
	s_delay_alu instid0(VALU_DEP_1) | instskip(NEXT) | instid1(VALU_DEP_1)
	v_mul_lo_u32 v3, v3, s8
	v_sub_nc_u32_e32 v1, v1, v3
	s_delay_alu instid0(VALU_DEP_1)
	v_mad_u32 v0, v1, s4, v0
	v_mad_u32 v16, v1, s0, v16
	v_mad_u32 v10, v1, s1, v10
	s_branch .LBB39_1683
.LBB39_1682:
	v_dual_mov_b32 v10, 0 :: v_dual_mov_b32 v16, 0
	v_mov_b32_e32 v0, 0
	s_and_not1_b32 vcc_lo, exec_lo, s8
	s_cbranch_vccz .LBB39_1680
.LBB39_1683:
	v_mov_b32_e32 v1, 0
	global_load_u8 v1, v1, s[2:3] offset:490
	s_wait_loadcnt 0x0
	v_and_b32_e32 v3, 0xffff, v1
	v_readfirstlane_b32 s9, v1
	s_delay_alu instid0(VALU_DEP_2)
	v_cmp_gt_i32_e32 vcc_lo, 23, v3
	s_cbranch_vccnz .LBB39_1687
; %bb.1684:
	s_and_b32 s4, 0xffff, s9
	s_delay_alu instid0(SALU_CYCLE_1)
	s_cmp_gt_i32 s4, 43
	s_cbranch_scc0 .LBB39_1688
; %bb.1685:
	s_cmp_gt_i32 s4, 45
	s_cbranch_scc0 .LBB39_1689
; %bb.1686:
	s_cmp_lg_u32 s4, 46
	s_mov_b32 s0, -1
	s_cselect_b32 s1, -1, 0
	s_cbranch_execz .LBB39_1690
	s_branch .LBB39_1691
.LBB39_1687:
	s_mov_b32 s0, 0
	s_mov_b32 s1, 0
	s_cbranch_execnz .LBB39_1694
	s_branch .LBB39_1698
.LBB39_1688:
	s_mov_b32 s0, 0
	s_mov_b32 s1, 0
	s_cbranch_execnz .LBB39_1692
	s_branch .LBB39_1693
.LBB39_1689:
	s_mov_b32 s0, 0
	s_mov_b32 s1, 0
.LBB39_1690:
	s_cmp_eq_u32 s4, 44
	s_cselect_b32 s0, -1, 0
	s_cmp_lg_u32 s4, 44
	s_cselect_b32 s1, -1, 0
.LBB39_1691:
	s_branch .LBB39_1693
.LBB39_1692:
	s_cmp_lt_i32 s4, 30
	s_cselect_b32 s0, -1, 0
	s_cmp_gt_i32 s4, 29
	s_cselect_b32 s1, -1, 0
.LBB39_1693:
	s_branch .LBB39_1698
.LBB39_1694:
	s_and_b32 s4, 0xffff, s9
	s_mov_b32 s5, -1
	s_cmp_gt_i32 s4, 14
	s_cbranch_scc0 .LBB39_1696
; %bb.1695:
	s_cmp_eq_u32 s4, 15
	s_mov_b32 s5, 0
	s_cselect_b32 s0, -1, 0
	s_cmp_lg_u32 s4, 15
	s_cselect_b32 s1, -1, 0
.LBB39_1696:
	s_and_not1_b32 vcc_lo, exec_lo, s5
	s_cbranch_vccnz .LBB39_1698
; %bb.1697:
	s_cmp_lt_i32 s4, 12
	s_cselect_b32 s0, -1, 0
	s_cmp_gt_i32 s4, 11
	s_cselect_b32 s1, -1, 0
.LBB39_1698:
	s_delay_alu instid0(SALU_CYCLE_1)
	s_and_b32 vcc_lo, exec_lo, s1
	s_mov_b32 s8, s6
	s_cbranch_vccnz .LBB39_1711
; %bb.1699:
	s_and_not1_b32 vcc_lo, exec_lo, s0
	s_cbranch_vccnz .LBB39_3216
.LBB39_1700:
	v_mov_b32_e32 v9, 0
	s_load_b64 s[0:1], s[2:3], 0x1d8
	global_load_u8 v1, v9, s[2:3] offset:491
	s_wait_kmcnt 0x0
	v_add_nc_u64_e32 v[24:25], s[0:1], v[8:9]
	s_wait_loadcnt 0x0
	v_and_b32_e32 v3, 0xffff, v1
	v_readfirstlane_b32 s10, v1
	s_delay_alu instid0(VALU_DEP_2)
	v_cmp_gt_i32_e32 vcc_lo, 11, v3
	s_cbranch_vccnz .LBB39_1707
; %bb.1701:
	s_and_b32 s4, 0xffff, s10
	s_mov_b32 s11, 0
	s_cmp_gt_i32 s4, 25
	s_cbranch_scc0 .LBB39_1709
; %bb.1702:
	s_cmp_gt_i32 s4, 28
	s_cbranch_scc0 .LBB39_1710
; %bb.1703:
	;; [unrolled: 3-line block ×4, first 2 shown]
	s_cmp_eq_u32 s4, 46
	s_mov_b32 s13, 0
	s_cbranch_scc0 .LBB39_1718
; %bb.1706:
	global_load_b32 v1, v[24:25], off
	s_mov_b32 s5, 0
	s_mov_b32 s12, -1
	s_wait_loadcnt 0x0
	v_lshlrev_b32_e32 v1, 16, v1
	s_delay_alu instid0(VALU_DEP_1)
	v_cvt_i32_f32_e32 v8, v1
	s_branch .LBB39_1720
.LBB39_1707:
	s_mov_b32 s12, 0
                                        ; implicit-def: $vgpr8
	s_cbranch_execnz .LBB39_1781
.LBB39_1708:
	s_and_not1_b32 vcc_lo, exec_lo, s12
	s_cbranch_vccz .LBB39_1828
	s_branch .LBB39_3216
.LBB39_1709:
	s_mov_b32 s12, 0
	s_mov_b32 s5, 0
                                        ; implicit-def: $vgpr8
	s_cbranch_execnz .LBB39_1747
	s_branch .LBB39_1777
.LBB39_1710:
	s_mov_b32 s13, -1
	s_mov_b32 s12, 0
	s_mov_b32 s5, 0
                                        ; implicit-def: $vgpr8
	s_branch .LBB39_1730
.LBB39_1711:
	s_or_b32 s8, s6, exec_lo
	s_trap 2
	s_cbranch_execz .LBB39_1700
	s_branch .LBB39_3216
.LBB39_1712:
	s_mov_b32 s13, -1
	s_mov_b32 s12, 0
	s_mov_b32 s5, 0
                                        ; implicit-def: $vgpr8
	s_branch .LBB39_1725
.LBB39_1713:
	s_and_not1_saveexec_b32 s9, s9
	s_cbranch_execz .LBB39_1551
.LBB39_1714:
	v_add_f32_e64 v2, 0x46000000, |v0|
	s_and_not1_b32 s8, s8, exec_lo
	s_delay_alu instid0(VALU_DEP_1) | instskip(NEXT) | instid1(VALU_DEP_1)
	v_and_b32_e32 v2, 0xff, v2
	v_cmp_ne_u32_e32 vcc_lo, 0, v2
	s_and_b32 s10, vcc_lo, exec_lo
	s_delay_alu instid0(SALU_CYCLE_1)
	s_or_b32 s8, s8, s10
	s_or_b32 exec_lo, exec_lo, s9
	v_mov_b32_e32 v3, 0
	s_and_saveexec_b32 s9, s8
	s_cbranch_execnz .LBB39_1552
	s_branch .LBB39_1553
.LBB39_1715:
	s_mov_b32 s13, -1
	s_mov_b32 s12, 0
	s_mov_b32 s5, 0
	s_branch .LBB39_1719
.LBB39_1716:
	s_and_not1_saveexec_b32 s10, s10
	s_cbranch_execz .LBB39_1563
.LBB39_1717:
	v_add_f32_e64 v2, 0x42800000, |v0|
	s_and_not1_b32 s9, s9, exec_lo
	s_delay_alu instid0(VALU_DEP_1) | instskip(NEXT) | instid1(VALU_DEP_1)
	v_and_b32_e32 v2, 0xff, v2
	v_cmp_ne_u32_e32 vcc_lo, 0, v2
	s_and_b32 s11, vcc_lo, exec_lo
	s_delay_alu instid0(SALU_CYCLE_1)
	s_or_b32 s9, s9, s11
	s_or_b32 exec_lo, exec_lo, s10
	v_mov_b32_e32 v3, 0
	s_and_saveexec_b32 s10, s9
	s_cbranch_execnz .LBB39_1564
	s_branch .LBB39_1565
.LBB39_1718:
	s_mov_b32 s5, -1
	s_mov_b32 s12, 0
.LBB39_1719:
                                        ; implicit-def: $vgpr8
.LBB39_1720:
	s_and_b32 vcc_lo, exec_lo, s13
	s_cbranch_vccz .LBB39_1724
; %bb.1721:
	s_cmp_eq_u32 s4, 44
	s_cbranch_scc0 .LBB39_1723
; %bb.1722:
	global_load_u8 v1, v[24:25], off
	s_mov_b32 s5, 0
	s_mov_b32 s12, -1
	s_wait_loadcnt 0x0
	v_lshlrev_b32_e32 v3, 23, v1
	v_cmp_ne_u32_e32 vcc_lo, 0, v1
	s_delay_alu instid0(VALU_DEP_2) | instskip(NEXT) | instid1(VALU_DEP_1)
	v_cvt_i32_f32_e32 v3, v3
	v_cndmask_b32_e32 v8, 0, v3, vcc_lo
	s_branch .LBB39_1724
.LBB39_1723:
	s_mov_b32 s5, -1
                                        ; implicit-def: $vgpr8
.LBB39_1724:
	s_mov_b32 s13, 0
.LBB39_1725:
	s_delay_alu instid0(SALU_CYCLE_1)
	s_and_b32 vcc_lo, exec_lo, s13
	s_cbranch_vccz .LBB39_1729
; %bb.1726:
	s_cmp_eq_u32 s4, 29
	s_cbranch_scc0 .LBB39_1728
; %bb.1727:
	global_load_b64 v[8:9], v[24:25], off
	s_mov_b32 s5, 0
	s_mov_b32 s12, -1
	s_branch .LBB39_1729
.LBB39_1728:
	s_mov_b32 s5, -1
                                        ; implicit-def: $vgpr8
.LBB39_1729:
	s_mov_b32 s13, 0
.LBB39_1730:
	s_delay_alu instid0(SALU_CYCLE_1)
	s_and_b32 vcc_lo, exec_lo, s13
	s_cbranch_vccz .LBB39_1746
; %bb.1731:
	s_cmp_lt_i32 s4, 27
	s_cbranch_scc1 .LBB39_1734
; %bb.1732:
	s_cmp_gt_i32 s4, 27
	s_cbranch_scc0 .LBB39_1735
; %bb.1733:
	s_wait_loadcnt 0x0
	global_load_b32 v8, v[24:25], off
	s_mov_b32 s12, 0
	s_branch .LBB39_1736
.LBB39_1734:
	s_mov_b32 s12, -1
                                        ; implicit-def: $vgpr8
	s_branch .LBB39_1739
.LBB39_1735:
	s_mov_b32 s12, -1
                                        ; implicit-def: $vgpr8
.LBB39_1736:
	s_delay_alu instid0(SALU_CYCLE_1)
	s_and_not1_b32 vcc_lo, exec_lo, s12
	s_cbranch_vccnz .LBB39_1738
; %bb.1737:
	s_wait_loadcnt 0x0
	global_load_u16 v8, v[24:25], off
.LBB39_1738:
	s_mov_b32 s12, 0
.LBB39_1739:
	s_delay_alu instid0(SALU_CYCLE_1)
	s_and_not1_b32 vcc_lo, exec_lo, s12
	s_cbranch_vccnz .LBB39_1745
; %bb.1740:
	global_load_u8 v1, v[24:25], off
	s_mov_b32 s13, 0
	s_mov_b32 s12, exec_lo
	s_wait_loadcnt 0x0
	v_cmpx_lt_i16_e32 0x7f, v1
	s_xor_b32 s12, exec_lo, s12
	s_cbranch_execz .LBB39_1756
; %bb.1741:
	v_cmp_ne_u16_e32 vcc_lo, 0x80, v1
	s_and_b32 s13, vcc_lo, exec_lo
	s_and_not1_saveexec_b32 s12, s12
	s_cbranch_execnz .LBB39_1757
.LBB39_1742:
	s_or_b32 exec_lo, exec_lo, s12
	v_mov_b32_e32 v8, 0
	s_and_saveexec_b32 s12, s13
	s_cbranch_execz .LBB39_1744
.LBB39_1743:
	v_and_b32_e32 v3, 0xffff, v1
	s_delay_alu instid0(VALU_DEP_1) | instskip(SKIP_1) | instid1(VALU_DEP_2)
	v_dual_lshlrev_b32 v1, 24, v1 :: v_dual_bitop2_b32 v5, 7, v3 bitop3:0x40
	v_bfe_u32 v9, v3, 3, 4
	v_and_b32_e32 v1, 0x80000000, v1
	s_delay_alu instid0(VALU_DEP_3) | instskip(NEXT) | instid1(VALU_DEP_3)
	v_clz_i32_u32_e32 v7, v5
	v_cmp_eq_u32_e32 vcc_lo, 0, v9
	s_delay_alu instid0(VALU_DEP_2) | instskip(NEXT) | instid1(VALU_DEP_1)
	v_min_u32_e32 v7, 32, v7
	v_subrev_nc_u32_e32 v8, 28, v7
	v_sub_nc_u32_e32 v7, 29, v7
	s_delay_alu instid0(VALU_DEP_2) | instskip(NEXT) | instid1(VALU_DEP_2)
	v_lshlrev_b32_e32 v3, v8, v3
	v_cndmask_b32_e32 v7, v9, v7, vcc_lo
	s_delay_alu instid0(VALU_DEP_2) | instskip(NEXT) | instid1(VALU_DEP_1)
	v_and_b32_e32 v3, 7, v3
	v_cndmask_b32_e32 v3, v5, v3, vcc_lo
	s_delay_alu instid0(VALU_DEP_3) | instskip(NEXT) | instid1(VALU_DEP_2)
	v_lshl_add_u32 v5, v7, 23, 0x3b800000
	v_lshlrev_b32_e32 v3, 20, v3
	s_delay_alu instid0(VALU_DEP_1) | instskip(NEXT) | instid1(VALU_DEP_1)
	v_or3_b32 v1, v1, v5, v3
	v_cvt_i32_f32_e32 v8, v1
.LBB39_1744:
	s_or_b32 exec_lo, exec_lo, s12
.LBB39_1745:
	s_mov_b32 s12, -1
.LBB39_1746:
	s_branch .LBB39_1777
.LBB39_1747:
	s_cmp_gt_i32 s4, 22
	s_cbranch_scc0 .LBB39_1755
; %bb.1748:
	s_cmp_lt_i32 s4, 24
	s_cbranch_scc1 .LBB39_1758
; %bb.1749:
	s_cmp_gt_i32 s4, 24
	s_cbranch_scc0 .LBB39_1759
; %bb.1750:
	global_load_u8 v1, v[24:25], off
	s_mov_b32 s12, 0
	s_mov_b32 s11, exec_lo
	s_wait_loadcnt 0x0
	v_cmpx_lt_i16_e32 0x7f, v1
	s_xor_b32 s11, exec_lo, s11
	s_cbranch_execz .LBB39_1771
; %bb.1751:
	v_cmp_ne_u16_e32 vcc_lo, 0x80, v1
	s_and_b32 s12, vcc_lo, exec_lo
	s_and_not1_saveexec_b32 s11, s11
	s_cbranch_execnz .LBB39_1772
.LBB39_1752:
	s_or_b32 exec_lo, exec_lo, s11
	v_mov_b32_e32 v8, 0
	s_and_saveexec_b32 s11, s12
	s_cbranch_execz .LBB39_1754
.LBB39_1753:
	v_and_b32_e32 v3, 0xffff, v1
	s_delay_alu instid0(VALU_DEP_1) | instskip(SKIP_1) | instid1(VALU_DEP_2)
	v_dual_lshlrev_b32 v1, 24, v1 :: v_dual_bitop2_b32 v5, 3, v3 bitop3:0x40
	v_bfe_u32 v9, v3, 2, 5
	v_and_b32_e32 v1, 0x80000000, v1
	s_delay_alu instid0(VALU_DEP_3) | instskip(NEXT) | instid1(VALU_DEP_3)
	v_clz_i32_u32_e32 v7, v5
	v_cmp_eq_u32_e32 vcc_lo, 0, v9
	s_delay_alu instid0(VALU_DEP_2) | instskip(NEXT) | instid1(VALU_DEP_1)
	v_min_u32_e32 v7, 32, v7
	v_subrev_nc_u32_e32 v8, 29, v7
	v_sub_nc_u32_e32 v7, 30, v7
	s_delay_alu instid0(VALU_DEP_2) | instskip(NEXT) | instid1(VALU_DEP_2)
	v_lshlrev_b32_e32 v3, v8, v3
	v_cndmask_b32_e32 v7, v9, v7, vcc_lo
	s_delay_alu instid0(VALU_DEP_2) | instskip(NEXT) | instid1(VALU_DEP_1)
	v_and_b32_e32 v3, 3, v3
	v_cndmask_b32_e32 v3, v5, v3, vcc_lo
	s_delay_alu instid0(VALU_DEP_3) | instskip(NEXT) | instid1(VALU_DEP_2)
	v_lshl_add_u32 v5, v7, 23, 0x37800000
	v_lshlrev_b32_e32 v3, 21, v3
	s_delay_alu instid0(VALU_DEP_1) | instskip(NEXT) | instid1(VALU_DEP_1)
	v_or3_b32 v1, v1, v5, v3
	v_cvt_i32_f32_e32 v8, v1
.LBB39_1754:
	s_or_b32 exec_lo, exec_lo, s11
	s_mov_b32 s11, 0
	s_branch .LBB39_1760
.LBB39_1755:
	s_mov_b32 s11, -1
                                        ; implicit-def: $vgpr8
	s_branch .LBB39_1766
.LBB39_1756:
	s_and_not1_saveexec_b32 s12, s12
	s_cbranch_execz .LBB39_1742
.LBB39_1757:
	v_cmp_ne_u16_e32 vcc_lo, 0, v1
	s_and_not1_b32 s13, s13, exec_lo
	s_and_b32 s14, vcc_lo, exec_lo
	s_delay_alu instid0(SALU_CYCLE_1)
	s_or_b32 s13, s13, s14
	s_or_b32 exec_lo, exec_lo, s12
	v_mov_b32_e32 v8, 0
	s_and_saveexec_b32 s12, s13
	s_cbranch_execnz .LBB39_1743
	s_branch .LBB39_1744
.LBB39_1758:
	s_mov_b32 s11, -1
                                        ; implicit-def: $vgpr8
	s_branch .LBB39_1763
.LBB39_1759:
	s_mov_b32 s11, -1
                                        ; implicit-def: $vgpr8
.LBB39_1760:
	s_delay_alu instid0(SALU_CYCLE_1)
	s_and_b32 vcc_lo, exec_lo, s11
	s_cbranch_vccz .LBB39_1762
; %bb.1761:
	global_load_u8 v1, v[24:25], off
	s_wait_loadcnt 0x0
	v_lshlrev_b32_e32 v1, 24, v1
	s_delay_alu instid0(VALU_DEP_1) | instskip(NEXT) | instid1(VALU_DEP_1)
	v_and_b32_e32 v3, 0x7f000000, v1
	v_clz_i32_u32_e32 v5, v3
	v_cmp_ne_u32_e32 vcc_lo, 0, v3
	v_add_nc_u32_e32 v8, 0x1000000, v3
	s_delay_alu instid0(VALU_DEP_3) | instskip(NEXT) | instid1(VALU_DEP_1)
	v_min_u32_e32 v5, 32, v5
	v_sub_nc_u32_e64 v5, v5, 4 clamp
	s_delay_alu instid0(VALU_DEP_1) | instskip(NEXT) | instid1(VALU_DEP_1)
	v_dual_lshlrev_b32 v7, v5, v3 :: v_dual_lshlrev_b32 v5, 23, v5
	v_lshrrev_b32_e32 v7, 4, v7
	s_delay_alu instid0(VALU_DEP_1) | instskip(NEXT) | instid1(VALU_DEP_1)
	v_dual_sub_nc_u32 v5, v7, v5 :: v_dual_ashrrev_i32 v7, 8, v8
	v_add_nc_u32_e32 v5, 0x3c000000, v5
	s_delay_alu instid0(VALU_DEP_1) | instskip(NEXT) | instid1(VALU_DEP_1)
	v_and_or_b32 v5, 0x7f800000, v7, v5
	v_cndmask_b32_e32 v3, 0, v5, vcc_lo
	s_delay_alu instid0(VALU_DEP_1) | instskip(NEXT) | instid1(VALU_DEP_1)
	v_and_or_b32 v1, 0x80000000, v1, v3
	v_cvt_i32_f32_e32 v8, v1
.LBB39_1762:
	s_mov_b32 s11, 0
.LBB39_1763:
	s_delay_alu instid0(SALU_CYCLE_1)
	s_and_not1_b32 vcc_lo, exec_lo, s11
	s_cbranch_vccnz .LBB39_1765
; %bb.1764:
	global_load_u8 v1, v[24:25], off
	s_wait_loadcnt 0x0
	v_lshlrev_b32_e32 v3, 25, v1
	v_lshlrev_b16 v1, 8, v1
	s_delay_alu instid0(VALU_DEP_1) | instskip(SKIP_1) | instid1(VALU_DEP_2)
	v_and_or_b32 v7, 0x7f00, v1, 0.5
	v_bfe_i32 v1, v1, 0, 16
	v_add_f32_e32 v7, -0.5, v7
	v_lshrrev_b32_e32 v5, 4, v3
	v_cmp_gt_u32_e32 vcc_lo, 0x8000000, v3
	s_delay_alu instid0(VALU_DEP_2) | instskip(NEXT) | instid1(VALU_DEP_1)
	v_or_b32_e32 v5, 0x70000000, v5
	v_mul_f32_e32 v5, 0x7800000, v5
	s_delay_alu instid0(VALU_DEP_1) | instskip(NEXT) | instid1(VALU_DEP_1)
	v_cndmask_b32_e32 v3, v5, v7, vcc_lo
	v_and_or_b32 v1, 0x80000000, v1, v3
	s_delay_alu instid0(VALU_DEP_1)
	v_cvt_i32_f32_e32 v8, v1
.LBB39_1765:
	s_mov_b32 s11, 0
	s_mov_b32 s12, -1
.LBB39_1766:
	s_and_not1_b32 vcc_lo, exec_lo, s11
	s_mov_b32 s11, 0
	s_cbranch_vccnz .LBB39_1777
; %bb.1767:
	s_cmp_gt_i32 s4, 14
	s_cbranch_scc0 .LBB39_1770
; %bb.1768:
	s_cmp_eq_u32 s4, 15
	s_cbranch_scc0 .LBB39_1773
; %bb.1769:
	global_load_u16 v1, v[24:25], off
	s_mov_b32 s5, 0
	s_mov_b32 s12, -1
	s_wait_loadcnt 0x0
	v_lshlrev_b32_e32 v1, 16, v1
	s_delay_alu instid0(VALU_DEP_1)
	v_cvt_i32_f32_e32 v8, v1
	s_branch .LBB39_1775
.LBB39_1770:
	s_mov_b32 s11, -1
	s_branch .LBB39_1774
.LBB39_1771:
	s_and_not1_saveexec_b32 s11, s11
	s_cbranch_execz .LBB39_1752
.LBB39_1772:
	v_cmp_ne_u16_e32 vcc_lo, 0, v1
	s_and_not1_b32 s12, s12, exec_lo
	s_and_b32 s13, vcc_lo, exec_lo
	s_delay_alu instid0(SALU_CYCLE_1)
	s_or_b32 s12, s12, s13
	s_or_b32 exec_lo, exec_lo, s11
	v_mov_b32_e32 v8, 0
	s_and_saveexec_b32 s11, s12
	s_cbranch_execnz .LBB39_1753
	s_branch .LBB39_1754
.LBB39_1773:
	s_mov_b32 s5, -1
.LBB39_1774:
                                        ; implicit-def: $vgpr8
.LBB39_1775:
	s_and_b32 vcc_lo, exec_lo, s11
	s_mov_b32 s11, 0
	s_cbranch_vccz .LBB39_1777
; %bb.1776:
	s_cmp_lg_u32 s4, 11
	s_mov_b32 s11, -1
	s_cselect_b32 s5, -1, 0
.LBB39_1777:
	s_delay_alu instid0(SALU_CYCLE_1)
	s_and_b32 vcc_lo, exec_lo, s5
	s_cbranch_vccnz .LBB39_1840
; %bb.1778:
	s_and_not1_b32 vcc_lo, exec_lo, s11
	s_cbranch_vccnz .LBB39_1780
.LBB39_1779:
	global_load_u8 v1, v[24:25], off
	s_mov_b32 s12, -1
	s_wait_loadcnt 0x0
	v_cmp_ne_u16_e32 vcc_lo, 0, v1
	v_cndmask_b32_e64 v8, 0, 1, vcc_lo
.LBB39_1780:
	s_branch .LBB39_1708
.LBB39_1781:
	s_and_b32 s4, 0xffff, s10
	s_delay_alu instid0(SALU_CYCLE_1)
	s_cmp_lt_i32 s4, 5
	s_cbranch_scc1 .LBB39_1786
; %bb.1782:
	s_cmp_lt_i32 s4, 8
	s_cbranch_scc1 .LBB39_1787
; %bb.1783:
	;; [unrolled: 3-line block ×3, first 2 shown]
	s_cmp_gt_i32 s4, 9
	s_cbranch_scc0 .LBB39_1789
; %bb.1785:
	s_wait_loadcnt 0x0
	global_load_b64 v[8:9], v[24:25], off
	s_mov_b32 s5, 0
	s_wait_loadcnt 0x0
	v_cvt_i32_f64_e32 v8, v[8:9]
	s_branch .LBB39_1790
.LBB39_1786:
                                        ; implicit-def: $vgpr8
	s_branch .LBB39_1808
.LBB39_1787:
	s_mov_b32 s5, -1
                                        ; implicit-def: $vgpr8
	s_branch .LBB39_1796
.LBB39_1788:
	s_mov_b32 s5, -1
                                        ; implicit-def: $vgpr8
	s_branch .LBB39_1793
.LBB39_1789:
	s_mov_b32 s5, -1
                                        ; implicit-def: $vgpr8
.LBB39_1790:
	s_delay_alu instid0(SALU_CYCLE_1)
	s_and_not1_b32 vcc_lo, exec_lo, s5
	s_cbranch_vccnz .LBB39_1792
; %bb.1791:
	global_load_b32 v1, v[24:25], off
	s_wait_loadcnt 0x0
	v_cvt_i32_f32_e32 v8, v1
.LBB39_1792:
	s_mov_b32 s5, 0
.LBB39_1793:
	s_delay_alu instid0(SALU_CYCLE_1)
	s_and_not1_b32 vcc_lo, exec_lo, s5
	s_cbranch_vccnz .LBB39_1795
; %bb.1794:
	global_load_b32 v1, v[24:25], off
	s_wait_loadcnt 0x0
	v_cvt_i16_f16_e32 v8, v1
.LBB39_1795:
	s_mov_b32 s5, 0
.LBB39_1796:
	s_delay_alu instid0(SALU_CYCLE_1)
	s_and_not1_b32 vcc_lo, exec_lo, s5
	s_cbranch_vccnz .LBB39_1807
; %bb.1797:
	s_cmp_lt_i32 s4, 6
	s_cbranch_scc1 .LBB39_1800
; %bb.1798:
	s_cmp_gt_i32 s4, 6
	s_cbranch_scc0 .LBB39_1801
; %bb.1799:
	s_wait_loadcnt 0x0
	global_load_b64 v[8:9], v[24:25], off
	s_mov_b32 s5, 0
	s_wait_loadcnt 0x0
	v_cvt_i32_f64_e32 v8, v[8:9]
	s_branch .LBB39_1802
.LBB39_1800:
	s_mov_b32 s5, -1
                                        ; implicit-def: $vgpr8
	s_branch .LBB39_1805
.LBB39_1801:
	s_mov_b32 s5, -1
                                        ; implicit-def: $vgpr8
.LBB39_1802:
	s_delay_alu instid0(SALU_CYCLE_1)
	s_and_not1_b32 vcc_lo, exec_lo, s5
	s_cbranch_vccnz .LBB39_1804
; %bb.1803:
	global_load_b32 v1, v[24:25], off
	s_wait_loadcnt 0x0
	v_cvt_i32_f32_e32 v8, v1
.LBB39_1804:
	s_mov_b32 s5, 0
.LBB39_1805:
	s_delay_alu instid0(SALU_CYCLE_1)
	s_and_not1_b32 vcc_lo, exec_lo, s5
	s_cbranch_vccnz .LBB39_1807
; %bb.1806:
	global_load_u16 v1, v[24:25], off
	s_wait_loadcnt 0x0
	v_cvt_i16_f16_e32 v8, v1
.LBB39_1807:
	s_cbranch_execnz .LBB39_1827
.LBB39_1808:
	s_cmp_lt_i32 s4, 2
	s_cbranch_scc1 .LBB39_1812
; %bb.1809:
	s_cmp_lt_i32 s4, 3
	s_cbranch_scc1 .LBB39_1813
; %bb.1810:
	s_cmp_gt_i32 s4, 3
	s_cbranch_scc0 .LBB39_1814
; %bb.1811:
	s_wait_loadcnt 0x0
	global_load_b64 v[8:9], v[24:25], off
	s_mov_b32 s5, 0
	s_branch .LBB39_1815
.LBB39_1812:
	s_mov_b32 s5, -1
                                        ; implicit-def: $vgpr8
	s_branch .LBB39_1821
.LBB39_1813:
	s_mov_b32 s5, -1
                                        ; implicit-def: $vgpr8
	s_branch .LBB39_1818
.LBB39_1814:
	s_mov_b32 s5, -1
                                        ; implicit-def: $vgpr8
.LBB39_1815:
	s_delay_alu instid0(SALU_CYCLE_1)
	s_and_not1_b32 vcc_lo, exec_lo, s5
	s_cbranch_vccnz .LBB39_1817
; %bb.1816:
	s_wait_loadcnt 0x0
	global_load_b32 v8, v[24:25], off
.LBB39_1817:
	s_mov_b32 s5, 0
.LBB39_1818:
	s_delay_alu instid0(SALU_CYCLE_1)
	s_and_not1_b32 vcc_lo, exec_lo, s5
	s_cbranch_vccnz .LBB39_1820
; %bb.1819:
	s_wait_loadcnt 0x0
	global_load_u16 v8, v[24:25], off
.LBB39_1820:
	s_mov_b32 s5, 0
.LBB39_1821:
	s_delay_alu instid0(SALU_CYCLE_1)
	s_and_not1_b32 vcc_lo, exec_lo, s5
	s_cbranch_vccnz .LBB39_1827
; %bb.1822:
	s_cmp_gt_i32 s4, 0
	s_mov_b32 s4, 0
	s_cbranch_scc0 .LBB39_1824
; %bb.1823:
	s_wait_loadcnt 0x0
	global_load_u8 v8, v[24:25], off
	s_branch .LBB39_1825
.LBB39_1824:
	s_mov_b32 s4, -1
                                        ; implicit-def: $vgpr8
.LBB39_1825:
	s_delay_alu instid0(SALU_CYCLE_1)
	s_and_not1_b32 vcc_lo, exec_lo, s4
	s_cbranch_vccnz .LBB39_1827
; %bb.1826:
	s_wait_loadcnt 0x0
	global_load_u8 v8, v[24:25], off
.LBB39_1827:
.LBB39_1828:
	s_clause 0x1
	s_load_b64 s[4:5], s[2:3], 0x1e0
	s_load_b32 s11, s[2:3], 0x1ec
	v_mov_b32_e32 v13, 0
	s_wait_kmcnt 0x0
	s_delay_alu instid0(VALU_DEP_1) | instskip(SKIP_1) | instid1(SALU_CYCLE_1)
	v_add_nc_u64_e32 v[24:25], s[4:5], v[12:13]
	s_and_b32 s12, s11, 0xff
	s_cmp_lt_i32 s12, 11
	s_cbranch_scc1 .LBB39_1835
; %bb.1829:
	s_and_b32 s11, 0xffff, s12
	s_mov_b32 s14, 0
	s_cmp_gt_i32 s11, 25
	s_cbranch_scc0 .LBB39_1837
; %bb.1830:
	s_cmp_gt_i32 s11, 28
	s_cbranch_scc0 .LBB39_1838
; %bb.1831:
	;; [unrolled: 3-line block ×4, first 2 shown]
	s_cmp_eq_u32 s11, 46
	s_mov_b32 s16, 0
	s_cbranch_scc0 .LBB39_1842
; %bb.1834:
	global_load_b32 v1, v[24:25], off
	s_mov_b32 s13, 0
	s_mov_b32 s15, -1
	s_wait_loadcnt 0x0
	v_lshlrev_b32_e32 v1, 16, v1
	s_delay_alu instid0(VALU_DEP_1)
	v_cvt_i32_f32_e32 v12, v1
	s_branch .LBB39_1844
.LBB39_1835:
	s_mov_b32 s15, 0
                                        ; implicit-def: $vgpr12
	s_cbranch_execnz .LBB39_1906
.LBB39_1836:
	s_and_not1_b32 vcc_lo, exec_lo, s15
	s_cbranch_vccz .LBB39_1954
	s_branch .LBB39_3216
.LBB39_1837:
	s_mov_b32 s16, -1
	s_mov_b32 s15, 0
	s_mov_b32 s13, 0
                                        ; implicit-def: $vgpr12
	s_branch .LBB39_1871
.LBB39_1838:
	s_mov_b32 s16, -1
	s_mov_b32 s15, 0
	s_mov_b32 s13, 0
                                        ; implicit-def: $vgpr12
	s_branch .LBB39_1854
.LBB39_1839:
	s_mov_b32 s16, -1
	s_mov_b32 s15, 0
	s_mov_b32 s13, 0
                                        ; implicit-def: $vgpr12
	s_branch .LBB39_1849
.LBB39_1840:
	s_or_b32 s8, s8, exec_lo
	s_trap 2
	s_cbranch_execz .LBB39_1779
	s_branch .LBB39_1780
.LBB39_1841:
	s_mov_b32 s16, -1
	s_mov_b32 s15, 0
	s_mov_b32 s13, 0
	s_branch .LBB39_1843
.LBB39_1842:
	s_mov_b32 s13, -1
	s_mov_b32 s15, 0
.LBB39_1843:
                                        ; implicit-def: $vgpr12
.LBB39_1844:
	s_and_b32 vcc_lo, exec_lo, s16
	s_cbranch_vccz .LBB39_1848
; %bb.1845:
	s_cmp_eq_u32 s11, 44
	s_cbranch_scc0 .LBB39_1847
; %bb.1846:
	global_load_u8 v1, v[24:25], off
	s_mov_b32 s13, 0
	s_mov_b32 s15, -1
	s_wait_loadcnt 0x0
	v_lshlrev_b32_e32 v3, 23, v1
	v_cmp_ne_u32_e32 vcc_lo, 0, v1
	s_delay_alu instid0(VALU_DEP_2) | instskip(NEXT) | instid1(VALU_DEP_1)
	v_cvt_i32_f32_e32 v3, v3
	v_cndmask_b32_e32 v12, 0, v3, vcc_lo
	s_branch .LBB39_1848
.LBB39_1847:
	s_mov_b32 s13, -1
                                        ; implicit-def: $vgpr12
.LBB39_1848:
	s_mov_b32 s16, 0
.LBB39_1849:
	s_delay_alu instid0(SALU_CYCLE_1)
	s_and_b32 vcc_lo, exec_lo, s16
	s_cbranch_vccz .LBB39_1853
; %bb.1850:
	s_cmp_eq_u32 s11, 29
	s_cbranch_scc0 .LBB39_1852
; %bb.1851:
	global_load_b64 v[12:13], v[24:25], off
	s_mov_b32 s13, 0
	s_mov_b32 s15, -1
	s_branch .LBB39_1853
.LBB39_1852:
	s_mov_b32 s13, -1
                                        ; implicit-def: $vgpr12
.LBB39_1853:
	s_mov_b32 s16, 0
.LBB39_1854:
	s_delay_alu instid0(SALU_CYCLE_1)
	s_and_b32 vcc_lo, exec_lo, s16
	s_cbranch_vccz .LBB39_1870
; %bb.1855:
	s_cmp_lt_i32 s11, 27
	s_cbranch_scc1 .LBB39_1858
; %bb.1856:
	s_cmp_gt_i32 s11, 27
	s_cbranch_scc0 .LBB39_1859
; %bb.1857:
	s_wait_loadcnt 0x0
	global_load_b32 v12, v[24:25], off
	s_mov_b32 s15, 0
	s_branch .LBB39_1860
.LBB39_1858:
	s_mov_b32 s15, -1
                                        ; implicit-def: $vgpr12
	s_branch .LBB39_1863
.LBB39_1859:
	s_mov_b32 s15, -1
                                        ; implicit-def: $vgpr12
.LBB39_1860:
	s_delay_alu instid0(SALU_CYCLE_1)
	s_and_not1_b32 vcc_lo, exec_lo, s15
	s_cbranch_vccnz .LBB39_1862
; %bb.1861:
	s_wait_loadcnt 0x0
	global_load_u16 v12, v[24:25], off
.LBB39_1862:
	s_mov_b32 s15, 0
.LBB39_1863:
	s_delay_alu instid0(SALU_CYCLE_1)
	s_and_not1_b32 vcc_lo, exec_lo, s15
	s_cbranch_vccnz .LBB39_1869
; %bb.1864:
	global_load_u8 v1, v[24:25], off
	s_mov_b32 s16, 0
	s_mov_b32 s15, exec_lo
	s_wait_loadcnt 0x0
	v_cmpx_lt_i16_e32 0x7f, v1
	s_xor_b32 s15, exec_lo, s15
	s_cbranch_execz .LBB39_1881
; %bb.1865:
	v_cmp_ne_u16_e32 vcc_lo, 0x80, v1
	s_and_b32 s16, vcc_lo, exec_lo
	s_and_not1_saveexec_b32 s15, s15
	s_cbranch_execnz .LBB39_1882
.LBB39_1866:
	s_or_b32 exec_lo, exec_lo, s15
	v_mov_b32_e32 v12, 0
	s_and_saveexec_b32 s15, s16
	s_cbranch_execz .LBB39_1868
.LBB39_1867:
	v_and_b32_e32 v3, 0xffff, v1
	s_delay_alu instid0(VALU_DEP_1) | instskip(SKIP_1) | instid1(VALU_DEP_2)
	v_dual_lshlrev_b32 v1, 24, v1 :: v_dual_bitop2_b32 v5, 7, v3 bitop3:0x40
	v_bfe_u32 v11, v3, 3, 4
	v_and_b32_e32 v1, 0x80000000, v1
	s_delay_alu instid0(VALU_DEP_3) | instskip(NEXT) | instid1(VALU_DEP_3)
	v_clz_i32_u32_e32 v7, v5
	v_cmp_eq_u32_e32 vcc_lo, 0, v11
	s_delay_alu instid0(VALU_DEP_2) | instskip(NEXT) | instid1(VALU_DEP_1)
	v_min_u32_e32 v7, 32, v7
	v_subrev_nc_u32_e32 v9, 28, v7
	v_sub_nc_u32_e32 v7, 29, v7
	s_delay_alu instid0(VALU_DEP_2) | instskip(NEXT) | instid1(VALU_DEP_2)
	v_lshlrev_b32_e32 v3, v9, v3
	v_cndmask_b32_e32 v7, v11, v7, vcc_lo
	s_delay_alu instid0(VALU_DEP_2) | instskip(NEXT) | instid1(VALU_DEP_1)
	v_and_b32_e32 v3, 7, v3
	v_cndmask_b32_e32 v3, v5, v3, vcc_lo
	s_delay_alu instid0(VALU_DEP_3) | instskip(NEXT) | instid1(VALU_DEP_2)
	v_lshl_add_u32 v5, v7, 23, 0x3b800000
	v_lshlrev_b32_e32 v3, 20, v3
	s_delay_alu instid0(VALU_DEP_1) | instskip(NEXT) | instid1(VALU_DEP_1)
	v_or3_b32 v1, v1, v5, v3
	v_cvt_i32_f32_e32 v12, v1
.LBB39_1868:
	s_or_b32 exec_lo, exec_lo, s15
.LBB39_1869:
	s_mov_b32 s15, -1
.LBB39_1870:
	s_mov_b32 s16, 0
.LBB39_1871:
	s_delay_alu instid0(SALU_CYCLE_1)
	s_and_b32 vcc_lo, exec_lo, s16
	s_cbranch_vccz .LBB39_1902
; %bb.1872:
	s_cmp_gt_i32 s11, 22
	s_cbranch_scc0 .LBB39_1880
; %bb.1873:
	s_cmp_lt_i32 s11, 24
	s_cbranch_scc1 .LBB39_1883
; %bb.1874:
	s_cmp_gt_i32 s11, 24
	s_cbranch_scc0 .LBB39_1884
; %bb.1875:
	global_load_u8 v1, v[24:25], off
	s_mov_b32 s15, 0
	s_mov_b32 s14, exec_lo
	s_wait_loadcnt 0x0
	v_cmpx_lt_i16_e32 0x7f, v1
	s_xor_b32 s14, exec_lo, s14
	s_cbranch_execz .LBB39_1896
; %bb.1876:
	v_cmp_ne_u16_e32 vcc_lo, 0x80, v1
	s_and_b32 s15, vcc_lo, exec_lo
	s_and_not1_saveexec_b32 s14, s14
	s_cbranch_execnz .LBB39_1897
.LBB39_1877:
	s_or_b32 exec_lo, exec_lo, s14
	v_mov_b32_e32 v12, 0
	s_and_saveexec_b32 s14, s15
	s_cbranch_execz .LBB39_1879
.LBB39_1878:
	v_and_b32_e32 v3, 0xffff, v1
	s_delay_alu instid0(VALU_DEP_1) | instskip(SKIP_1) | instid1(VALU_DEP_2)
	v_dual_lshlrev_b32 v1, 24, v1 :: v_dual_bitop2_b32 v5, 3, v3 bitop3:0x40
	v_bfe_u32 v11, v3, 2, 5
	v_and_b32_e32 v1, 0x80000000, v1
	s_delay_alu instid0(VALU_DEP_3) | instskip(NEXT) | instid1(VALU_DEP_3)
	v_clz_i32_u32_e32 v7, v5
	v_cmp_eq_u32_e32 vcc_lo, 0, v11
	s_delay_alu instid0(VALU_DEP_2) | instskip(NEXT) | instid1(VALU_DEP_1)
	v_min_u32_e32 v7, 32, v7
	v_subrev_nc_u32_e32 v9, 29, v7
	v_sub_nc_u32_e32 v7, 30, v7
	s_delay_alu instid0(VALU_DEP_2) | instskip(NEXT) | instid1(VALU_DEP_2)
	v_lshlrev_b32_e32 v3, v9, v3
	v_cndmask_b32_e32 v7, v11, v7, vcc_lo
	s_delay_alu instid0(VALU_DEP_2) | instskip(NEXT) | instid1(VALU_DEP_1)
	v_and_b32_e32 v3, 3, v3
	v_cndmask_b32_e32 v3, v5, v3, vcc_lo
	s_delay_alu instid0(VALU_DEP_3) | instskip(NEXT) | instid1(VALU_DEP_2)
	v_lshl_add_u32 v5, v7, 23, 0x37800000
	v_lshlrev_b32_e32 v3, 21, v3
	s_delay_alu instid0(VALU_DEP_1) | instskip(NEXT) | instid1(VALU_DEP_1)
	v_or3_b32 v1, v1, v5, v3
	v_cvt_i32_f32_e32 v12, v1
.LBB39_1879:
	s_or_b32 exec_lo, exec_lo, s14
	s_mov_b32 s14, 0
	s_branch .LBB39_1885
.LBB39_1880:
	s_mov_b32 s14, -1
                                        ; implicit-def: $vgpr12
	s_branch .LBB39_1891
.LBB39_1881:
	s_and_not1_saveexec_b32 s15, s15
	s_cbranch_execz .LBB39_1866
.LBB39_1882:
	v_cmp_ne_u16_e32 vcc_lo, 0, v1
	s_and_not1_b32 s16, s16, exec_lo
	s_and_b32 s17, vcc_lo, exec_lo
	s_delay_alu instid0(SALU_CYCLE_1)
	s_or_b32 s16, s16, s17
	s_or_b32 exec_lo, exec_lo, s15
	v_mov_b32_e32 v12, 0
	s_and_saveexec_b32 s15, s16
	s_cbranch_execnz .LBB39_1867
	s_branch .LBB39_1868
.LBB39_1883:
	s_mov_b32 s14, -1
                                        ; implicit-def: $vgpr12
	s_branch .LBB39_1888
.LBB39_1884:
	s_mov_b32 s14, -1
                                        ; implicit-def: $vgpr12
.LBB39_1885:
	s_delay_alu instid0(SALU_CYCLE_1)
	s_and_b32 vcc_lo, exec_lo, s14
	s_cbranch_vccz .LBB39_1887
; %bb.1886:
	global_load_u8 v1, v[24:25], off
	s_wait_loadcnt 0x0
	v_lshlrev_b32_e32 v1, 24, v1
	s_delay_alu instid0(VALU_DEP_1) | instskip(NEXT) | instid1(VALU_DEP_1)
	v_and_b32_e32 v3, 0x7f000000, v1
	v_clz_i32_u32_e32 v5, v3
	v_add_nc_u32_e32 v9, 0x1000000, v3
	v_cmp_ne_u32_e32 vcc_lo, 0, v3
	s_delay_alu instid0(VALU_DEP_3) | instskip(NEXT) | instid1(VALU_DEP_1)
	v_min_u32_e32 v5, 32, v5
	v_sub_nc_u32_e64 v5, v5, 4 clamp
	s_delay_alu instid0(VALU_DEP_1) | instskip(NEXT) | instid1(VALU_DEP_1)
	v_dual_lshlrev_b32 v7, v5, v3 :: v_dual_lshlrev_b32 v5, 23, v5
	v_lshrrev_b32_e32 v7, 4, v7
	s_delay_alu instid0(VALU_DEP_1) | instskip(SKIP_1) | instid1(VALU_DEP_2)
	v_sub_nc_u32_e32 v5, v7, v5
	v_ashrrev_i32_e32 v7, 8, v9
	v_add_nc_u32_e32 v5, 0x3c000000, v5
	s_delay_alu instid0(VALU_DEP_1) | instskip(NEXT) | instid1(VALU_DEP_1)
	v_and_or_b32 v5, 0x7f800000, v7, v5
	v_cndmask_b32_e32 v3, 0, v5, vcc_lo
	s_delay_alu instid0(VALU_DEP_1) | instskip(NEXT) | instid1(VALU_DEP_1)
	v_and_or_b32 v1, 0x80000000, v1, v3
	v_cvt_i32_f32_e32 v12, v1
.LBB39_1887:
	s_mov_b32 s14, 0
.LBB39_1888:
	s_delay_alu instid0(SALU_CYCLE_1)
	s_and_not1_b32 vcc_lo, exec_lo, s14
	s_cbranch_vccnz .LBB39_1890
; %bb.1889:
	global_load_u8 v1, v[24:25], off
	s_wait_loadcnt 0x0
	v_lshlrev_b32_e32 v3, 25, v1
	v_lshlrev_b16 v1, 8, v1
	s_delay_alu instid0(VALU_DEP_1) | instskip(SKIP_1) | instid1(VALU_DEP_2)
	v_and_or_b32 v7, 0x7f00, v1, 0.5
	v_bfe_i32 v1, v1, 0, 16
	v_add_f32_e32 v7, -0.5, v7
	v_lshrrev_b32_e32 v5, 4, v3
	v_cmp_gt_u32_e32 vcc_lo, 0x8000000, v3
	s_delay_alu instid0(VALU_DEP_2) | instskip(NEXT) | instid1(VALU_DEP_1)
	v_or_b32_e32 v5, 0x70000000, v5
	v_mul_f32_e32 v5, 0x7800000, v5
	s_delay_alu instid0(VALU_DEP_1) | instskip(NEXT) | instid1(VALU_DEP_1)
	v_cndmask_b32_e32 v3, v5, v7, vcc_lo
	v_and_or_b32 v1, 0x80000000, v1, v3
	s_delay_alu instid0(VALU_DEP_1)
	v_cvt_i32_f32_e32 v12, v1
.LBB39_1890:
	s_mov_b32 s14, 0
	s_mov_b32 s15, -1
.LBB39_1891:
	s_and_not1_b32 vcc_lo, exec_lo, s14
	s_mov_b32 s14, 0
	s_cbranch_vccnz .LBB39_1902
; %bb.1892:
	s_cmp_gt_i32 s11, 14
	s_cbranch_scc0 .LBB39_1895
; %bb.1893:
	s_cmp_eq_u32 s11, 15
	s_cbranch_scc0 .LBB39_1898
; %bb.1894:
	global_load_u16 v1, v[24:25], off
	s_mov_b32 s13, 0
	s_mov_b32 s15, -1
	s_wait_loadcnt 0x0
	v_lshlrev_b32_e32 v1, 16, v1
	s_delay_alu instid0(VALU_DEP_1)
	v_cvt_i32_f32_e32 v12, v1
	s_branch .LBB39_1900
.LBB39_1895:
	s_mov_b32 s14, -1
	s_branch .LBB39_1899
.LBB39_1896:
	s_and_not1_saveexec_b32 s14, s14
	s_cbranch_execz .LBB39_1877
.LBB39_1897:
	v_cmp_ne_u16_e32 vcc_lo, 0, v1
	s_and_not1_b32 s15, s15, exec_lo
	s_and_b32 s16, vcc_lo, exec_lo
	s_delay_alu instid0(SALU_CYCLE_1)
	s_or_b32 s15, s15, s16
	s_or_b32 exec_lo, exec_lo, s14
	v_mov_b32_e32 v12, 0
	s_and_saveexec_b32 s14, s15
	s_cbranch_execnz .LBB39_1878
	s_branch .LBB39_1879
.LBB39_1898:
	s_mov_b32 s13, -1
.LBB39_1899:
                                        ; implicit-def: $vgpr12
.LBB39_1900:
	s_and_b32 vcc_lo, exec_lo, s14
	s_mov_b32 s14, 0
	s_cbranch_vccz .LBB39_1902
; %bb.1901:
	s_cmp_lg_u32 s11, 11
	s_mov_b32 s14, -1
	s_cselect_b32 s13, -1, 0
.LBB39_1902:
	s_delay_alu instid0(SALU_CYCLE_1)
	s_and_b32 vcc_lo, exec_lo, s13
	s_cbranch_vccnz .LBB39_1984
; %bb.1903:
	s_and_not1_b32 vcc_lo, exec_lo, s14
	s_cbranch_vccnz .LBB39_1905
.LBB39_1904:
	global_load_u8 v1, v[24:25], off
	s_mov_b32 s15, -1
	s_wait_loadcnt 0x0
	v_cmp_ne_u16_e32 vcc_lo, 0, v1
	v_cndmask_b32_e64 v12, 0, 1, vcc_lo
.LBB39_1905:
	s_branch .LBB39_1836
.LBB39_1906:
	s_and_b32 s11, 0xffff, s12
	s_delay_alu instid0(SALU_CYCLE_1)
	s_cmp_lt_i32 s11, 5
	s_cbranch_scc1 .LBB39_1911
; %bb.1907:
	s_cmp_lt_i32 s11, 8
	s_cbranch_scc1 .LBB39_1912
; %bb.1908:
	;; [unrolled: 3-line block ×3, first 2 shown]
	s_cmp_gt_i32 s11, 9
	s_cbranch_scc0 .LBB39_1914
; %bb.1910:
	s_wait_loadcnt 0x0
	global_load_b64 v[12:13], v[24:25], off
	s_mov_b32 s13, 0
	s_wait_loadcnt 0x0
	v_cvt_i32_f64_e32 v12, v[12:13]
	s_branch .LBB39_1915
.LBB39_1911:
	s_mov_b32 s13, -1
                                        ; implicit-def: $vgpr12
	s_branch .LBB39_1933
.LBB39_1912:
	s_mov_b32 s13, -1
                                        ; implicit-def: $vgpr12
	s_branch .LBB39_1921
.LBB39_1913:
	s_mov_b32 s13, -1
                                        ; implicit-def: $vgpr12
	s_branch .LBB39_1918
.LBB39_1914:
	s_mov_b32 s13, -1
                                        ; implicit-def: $vgpr12
.LBB39_1915:
	s_delay_alu instid0(SALU_CYCLE_1)
	s_and_not1_b32 vcc_lo, exec_lo, s13
	s_cbranch_vccnz .LBB39_1917
; %bb.1916:
	global_load_b32 v1, v[24:25], off
	s_wait_loadcnt 0x0
	v_cvt_i32_f32_e32 v12, v1
.LBB39_1917:
	s_mov_b32 s13, 0
.LBB39_1918:
	s_delay_alu instid0(SALU_CYCLE_1)
	s_and_not1_b32 vcc_lo, exec_lo, s13
	s_cbranch_vccnz .LBB39_1920
; %bb.1919:
	global_load_b32 v1, v[24:25], off
	s_wait_loadcnt 0x0
	v_cvt_i16_f16_e32 v12, v1
.LBB39_1920:
	s_mov_b32 s13, 0
.LBB39_1921:
	s_delay_alu instid0(SALU_CYCLE_1)
	s_and_not1_b32 vcc_lo, exec_lo, s13
	s_cbranch_vccnz .LBB39_1932
; %bb.1922:
	s_cmp_lt_i32 s11, 6
	s_cbranch_scc1 .LBB39_1925
; %bb.1923:
	s_cmp_gt_i32 s11, 6
	s_cbranch_scc0 .LBB39_1926
; %bb.1924:
	s_wait_loadcnt 0x0
	global_load_b64 v[12:13], v[24:25], off
	s_mov_b32 s13, 0
	s_wait_loadcnt 0x0
	v_cvt_i32_f64_e32 v12, v[12:13]
	s_branch .LBB39_1927
.LBB39_1925:
	s_mov_b32 s13, -1
                                        ; implicit-def: $vgpr12
	s_branch .LBB39_1930
.LBB39_1926:
	s_mov_b32 s13, -1
                                        ; implicit-def: $vgpr12
.LBB39_1927:
	s_delay_alu instid0(SALU_CYCLE_1)
	s_and_not1_b32 vcc_lo, exec_lo, s13
	s_cbranch_vccnz .LBB39_1929
; %bb.1928:
	global_load_b32 v1, v[24:25], off
	s_wait_loadcnt 0x0
	v_cvt_i32_f32_e32 v12, v1
.LBB39_1929:
	s_mov_b32 s13, 0
.LBB39_1930:
	s_delay_alu instid0(SALU_CYCLE_1)
	s_and_not1_b32 vcc_lo, exec_lo, s13
	s_cbranch_vccnz .LBB39_1932
; %bb.1931:
	global_load_u16 v1, v[24:25], off
	s_wait_loadcnt 0x0
	v_cvt_i16_f16_e32 v12, v1
.LBB39_1932:
	s_mov_b32 s13, 0
.LBB39_1933:
	s_delay_alu instid0(SALU_CYCLE_1)
	s_and_not1_b32 vcc_lo, exec_lo, s13
	s_cbranch_vccnz .LBB39_1953
; %bb.1934:
	s_cmp_lt_i32 s11, 2
	s_cbranch_scc1 .LBB39_1938
; %bb.1935:
	s_cmp_lt_i32 s11, 3
	s_cbranch_scc1 .LBB39_1939
; %bb.1936:
	s_cmp_gt_i32 s11, 3
	s_cbranch_scc0 .LBB39_1940
; %bb.1937:
	s_wait_loadcnt 0x0
	global_load_b64 v[12:13], v[24:25], off
	s_mov_b32 s13, 0
	s_branch .LBB39_1941
.LBB39_1938:
	s_mov_b32 s13, -1
                                        ; implicit-def: $vgpr12
	s_branch .LBB39_1947
.LBB39_1939:
	s_mov_b32 s13, -1
                                        ; implicit-def: $vgpr12
	s_branch .LBB39_1944
.LBB39_1940:
	s_mov_b32 s13, -1
                                        ; implicit-def: $vgpr12
.LBB39_1941:
	s_delay_alu instid0(SALU_CYCLE_1)
	s_and_not1_b32 vcc_lo, exec_lo, s13
	s_cbranch_vccnz .LBB39_1943
; %bb.1942:
	s_wait_loadcnt 0x0
	global_load_b32 v12, v[24:25], off
.LBB39_1943:
	s_mov_b32 s13, 0
.LBB39_1944:
	s_delay_alu instid0(SALU_CYCLE_1)
	s_and_not1_b32 vcc_lo, exec_lo, s13
	s_cbranch_vccnz .LBB39_1946
; %bb.1945:
	s_wait_loadcnt 0x0
	global_load_u16 v12, v[24:25], off
.LBB39_1946:
	s_mov_b32 s13, 0
.LBB39_1947:
	s_delay_alu instid0(SALU_CYCLE_1)
	s_and_not1_b32 vcc_lo, exec_lo, s13
	s_cbranch_vccnz .LBB39_1953
; %bb.1948:
	s_cmp_gt_i32 s11, 0
	s_mov_b32 s11, 0
	s_cbranch_scc0 .LBB39_1950
; %bb.1949:
	s_wait_loadcnt 0x0
	global_load_u8 v12, v[24:25], off
	s_branch .LBB39_1951
.LBB39_1950:
	s_mov_b32 s11, -1
                                        ; implicit-def: $vgpr12
.LBB39_1951:
	s_delay_alu instid0(SALU_CYCLE_1)
	s_and_not1_b32 vcc_lo, exec_lo, s11
	s_cbranch_vccnz .LBB39_1953
; %bb.1952:
	s_wait_loadcnt 0x0
	global_load_u8 v12, v[24:25], off
.LBB39_1953:
.LBB39_1954:
	s_and_b32 s11, 0xffff, s9
	s_delay_alu instid0(SALU_CYCLE_1)
	s_cmp_lt_i32 s11, 23
	s_cbranch_scc1 .LBB39_1958
; %bb.1955:
	s_cmp_gt_i32 s11, 43
	s_cbranch_scc0 .LBB39_1959
; %bb.1956:
	s_cmp_gt_i32 s11, 45
	s_cbranch_scc0 .LBB39_1960
; %bb.1957:
	s_cmp_lg_u32 s11, 46
	s_mov_b32 s14, 0
	s_mov_b32 s9, -1
	s_cselect_b32 s13, -1, 0
	s_branch .LBB39_1961
.LBB39_1958:
	s_mov_b32 s14, -1
	s_mov_b32 s9, 0
	s_mov_b32 s13, 0
	s_branch .LBB39_1967
.LBB39_1959:
	s_mov_b32 s14, -1
	s_mov_b32 s9, 0
	s_mov_b32 s13, 0
	s_branch .LBB39_1964
.LBB39_1960:
	s_mov_b32 s14, -1
	s_mov_b32 s9, 0
	s_mov_b32 s13, 0
.LBB39_1961:
	s_and_not1_b32 vcc_lo, exec_lo, s14
	s_cbranch_vccnz .LBB39_1963
; %bb.1962:
	s_cmp_eq_u32 s11, 44
	s_cselect_b32 s9, -1, 0
	s_cmp_lg_u32 s11, 44
	s_cselect_b32 s13, -1, 0
.LBB39_1963:
	s_mov_b32 s14, 0
.LBB39_1964:
	s_delay_alu instid0(SALU_CYCLE_1)
	s_and_b32 vcc_lo, exec_lo, s14
	s_cbranch_vccz .LBB39_1966
; %bb.1965:
	s_cmp_lt_i32 s11, 30
	s_cselect_b32 s9, -1, 0
	s_cmp_gt_i32 s11, 29
	s_cselect_b32 s13, -1, 0
.LBB39_1966:
	s_mov_b32 s14, 0
.LBB39_1967:
	s_delay_alu instid0(SALU_CYCLE_1)
	s_and_b32 vcc_lo, exec_lo, s14
	s_cbranch_vccz .LBB39_1972
; %bb.1968:
	s_cmp_gt_i32 s11, 14
	s_mov_b32 s14, -1
	s_cbranch_scc0 .LBB39_1970
; %bb.1969:
	s_cmp_eq_u32 s11, 15
	s_mov_b32 s14, 0
	s_cselect_b32 s9, -1, 0
	s_cmp_lg_u32 s11, 15
	s_cselect_b32 s13, -1, 0
.LBB39_1970:
	s_and_not1_b32 vcc_lo, exec_lo, s14
	s_cbranch_vccnz .LBB39_1972
; %bb.1971:
	s_cmp_lt_i32 s11, 12
	s_cselect_b32 s9, -1, 0
	s_cmp_gt_i32 s11, 11
	s_cselect_b32 s13, -1, 0
.LBB39_1972:
	s_delay_alu instid0(SALU_CYCLE_1)
	s_and_b32 vcc_lo, exec_lo, s13
	s_cbranch_vccnz .LBB39_1985
; %bb.1973:
	s_and_not1_b32 vcc_lo, exec_lo, s9
	s_cbranch_vccnz .LBB39_3216
.LBB39_1974:
	v_mov_b32_e32 v15, 0
	s_and_b32 s9, 0xffff, s10
	s_delay_alu instid0(SALU_CYCLE_1) | instskip(SKIP_1) | instid1(VALU_DEP_1)
	s_cmp_lt_i32 s9, 11
	s_wait_xcnt 0x0
	v_add_nc_u64_e32 v[24:25], s[0:1], v[14:15]
	s_cbranch_scc1 .LBB39_1981
; %bb.1975:
	s_cmp_gt_i32 s9, 25
	s_mov_b32 s13, 0
	s_cbranch_scc0 .LBB39_1982
; %bb.1976:
	s_cmp_gt_i32 s9, 28
	s_cbranch_scc0 .LBB39_1983
; %bb.1977:
	s_cmp_gt_i32 s9, 43
	s_cbranch_scc0 .LBB39_1986
; %bb.1978:
	s_cmp_gt_i32 s9, 45
	s_cbranch_scc0 .LBB39_1987
; %bb.1979:
	s_cmp_eq_u32 s9, 46
	s_mov_b32 s15, 0
	s_cbranch_scc0 .LBB39_1988
; %bb.1980:
	global_load_b32 v1, v[24:25], off
	s_mov_b32 s10, 0
	s_mov_b32 s14, -1
	s_wait_loadcnt 0x0
	v_lshlrev_b32_e32 v1, 16, v1
	s_delay_alu instid0(VALU_DEP_1)
	v_cvt_i32_f32_e32 v14, v1
	s_branch .LBB39_1990
.LBB39_1981:
	s_mov_b32 s10, -1
	s_mov_b32 s14, 0
                                        ; implicit-def: $vgpr14
	s_branch .LBB39_2052
.LBB39_1982:
	s_mov_b32 s15, -1
	s_mov_b32 s14, 0
	s_mov_b32 s10, 0
                                        ; implicit-def: $vgpr14
	s_branch .LBB39_2017
.LBB39_1983:
	s_mov_b32 s15, -1
	s_mov_b32 s14, 0
	s_mov_b32 s10, 0
                                        ; implicit-def: $vgpr14
	s_branch .LBB39_2000
.LBB39_1984:
	s_or_b32 s8, s8, exec_lo
	s_trap 2
	s_cbranch_execz .LBB39_1904
	s_branch .LBB39_1905
.LBB39_1985:
	s_or_b32 s8, s8, exec_lo
	s_trap 2
	s_cbranch_execz .LBB39_1974
	s_branch .LBB39_3216
.LBB39_1986:
	s_mov_b32 s15, -1
	s_mov_b32 s14, 0
	s_mov_b32 s10, 0
                                        ; implicit-def: $vgpr14
	s_branch .LBB39_1995
.LBB39_1987:
	s_mov_b32 s15, -1
	s_mov_b32 s14, 0
	s_mov_b32 s10, 0
	s_branch .LBB39_1989
.LBB39_1988:
	s_mov_b32 s10, -1
	s_mov_b32 s14, 0
.LBB39_1989:
                                        ; implicit-def: $vgpr14
.LBB39_1990:
	s_and_b32 vcc_lo, exec_lo, s15
	s_cbranch_vccz .LBB39_1994
; %bb.1991:
	s_cmp_eq_u32 s9, 44
	s_cbranch_scc0 .LBB39_1993
; %bb.1992:
	global_load_u8 v1, v[24:25], off
	s_mov_b32 s10, 0
	s_mov_b32 s14, -1
	s_wait_loadcnt 0x0
	v_lshlrev_b32_e32 v3, 23, v1
	v_cmp_ne_u32_e32 vcc_lo, 0, v1
	s_delay_alu instid0(VALU_DEP_2) | instskip(NEXT) | instid1(VALU_DEP_1)
	v_cvt_i32_f32_e32 v3, v3
	v_cndmask_b32_e32 v14, 0, v3, vcc_lo
	s_branch .LBB39_1994
.LBB39_1993:
	s_mov_b32 s10, -1
                                        ; implicit-def: $vgpr14
.LBB39_1994:
	s_mov_b32 s15, 0
.LBB39_1995:
	s_delay_alu instid0(SALU_CYCLE_1)
	s_and_b32 vcc_lo, exec_lo, s15
	s_cbranch_vccz .LBB39_1999
; %bb.1996:
	s_cmp_eq_u32 s9, 29
	s_cbranch_scc0 .LBB39_1998
; %bb.1997:
	global_load_b64 v[14:15], v[24:25], off
	s_mov_b32 s10, 0
	s_mov_b32 s14, -1
	s_branch .LBB39_1999
.LBB39_1998:
	s_mov_b32 s10, -1
                                        ; implicit-def: $vgpr14
.LBB39_1999:
	s_mov_b32 s15, 0
.LBB39_2000:
	s_delay_alu instid0(SALU_CYCLE_1)
	s_and_b32 vcc_lo, exec_lo, s15
	s_cbranch_vccz .LBB39_2016
; %bb.2001:
	s_cmp_lt_i32 s9, 27
	s_cbranch_scc1 .LBB39_2004
; %bb.2002:
	s_cmp_gt_i32 s9, 27
	s_cbranch_scc0 .LBB39_2005
; %bb.2003:
	s_wait_loadcnt 0x0
	global_load_b32 v14, v[24:25], off
	s_mov_b32 s14, 0
	s_branch .LBB39_2006
.LBB39_2004:
	s_mov_b32 s14, -1
                                        ; implicit-def: $vgpr14
	s_branch .LBB39_2009
.LBB39_2005:
	s_mov_b32 s14, -1
                                        ; implicit-def: $vgpr14
.LBB39_2006:
	s_delay_alu instid0(SALU_CYCLE_1)
	s_and_not1_b32 vcc_lo, exec_lo, s14
	s_cbranch_vccnz .LBB39_2008
; %bb.2007:
	s_wait_loadcnt 0x0
	global_load_u16 v14, v[24:25], off
.LBB39_2008:
	s_mov_b32 s14, 0
.LBB39_2009:
	s_delay_alu instid0(SALU_CYCLE_1)
	s_and_not1_b32 vcc_lo, exec_lo, s14
	s_cbranch_vccnz .LBB39_2015
; %bb.2010:
	global_load_u8 v1, v[24:25], off
	s_mov_b32 s15, 0
	s_mov_b32 s14, exec_lo
	s_wait_loadcnt 0x0
	v_cmpx_lt_i16_e32 0x7f, v1
	s_xor_b32 s14, exec_lo, s14
	s_cbranch_execz .LBB39_2027
; %bb.2011:
	v_cmp_ne_u16_e32 vcc_lo, 0x80, v1
	s_and_b32 s15, vcc_lo, exec_lo
	s_and_not1_saveexec_b32 s14, s14
	s_cbranch_execnz .LBB39_2028
.LBB39_2012:
	s_or_b32 exec_lo, exec_lo, s14
	v_mov_b32_e32 v14, 0
	s_and_saveexec_b32 s14, s15
	s_cbranch_execz .LBB39_2014
.LBB39_2013:
	v_and_b32_e32 v3, 0xffff, v1
	s_delay_alu instid0(VALU_DEP_1) | instskip(SKIP_1) | instid1(VALU_DEP_2)
	v_dual_lshlrev_b32 v1, 24, v1 :: v_dual_bitop2_b32 v5, 7, v3 bitop3:0x40
	v_bfe_u32 v11, v3, 3, 4
	v_and_b32_e32 v1, 0x80000000, v1
	s_delay_alu instid0(VALU_DEP_3) | instskip(NEXT) | instid1(VALU_DEP_3)
	v_clz_i32_u32_e32 v7, v5
	v_cmp_eq_u32_e32 vcc_lo, 0, v11
	s_delay_alu instid0(VALU_DEP_2) | instskip(NEXT) | instid1(VALU_DEP_1)
	v_min_u32_e32 v7, 32, v7
	v_subrev_nc_u32_e32 v9, 28, v7
	v_sub_nc_u32_e32 v7, 29, v7
	s_delay_alu instid0(VALU_DEP_2) | instskip(NEXT) | instid1(VALU_DEP_2)
	v_lshlrev_b32_e32 v3, v9, v3
	v_cndmask_b32_e32 v7, v11, v7, vcc_lo
	s_delay_alu instid0(VALU_DEP_2) | instskip(NEXT) | instid1(VALU_DEP_1)
	v_and_b32_e32 v3, 7, v3
	v_cndmask_b32_e32 v3, v5, v3, vcc_lo
	s_delay_alu instid0(VALU_DEP_3) | instskip(NEXT) | instid1(VALU_DEP_2)
	v_lshl_add_u32 v5, v7, 23, 0x3b800000
	v_lshlrev_b32_e32 v3, 20, v3
	s_delay_alu instid0(VALU_DEP_1) | instskip(NEXT) | instid1(VALU_DEP_1)
	v_or3_b32 v1, v1, v5, v3
	v_cvt_i32_f32_e32 v14, v1
.LBB39_2014:
	s_or_b32 exec_lo, exec_lo, s14
.LBB39_2015:
	s_mov_b32 s14, -1
.LBB39_2016:
	s_mov_b32 s15, 0
.LBB39_2017:
	s_delay_alu instid0(SALU_CYCLE_1)
	s_and_b32 vcc_lo, exec_lo, s15
	s_cbranch_vccz .LBB39_2048
; %bb.2018:
	s_cmp_gt_i32 s9, 22
	s_cbranch_scc0 .LBB39_2026
; %bb.2019:
	s_cmp_lt_i32 s9, 24
	s_cbranch_scc1 .LBB39_2029
; %bb.2020:
	s_cmp_gt_i32 s9, 24
	s_cbranch_scc0 .LBB39_2030
; %bb.2021:
	global_load_u8 v1, v[24:25], off
	s_mov_b32 s14, 0
	s_mov_b32 s13, exec_lo
	s_wait_loadcnt 0x0
	v_cmpx_lt_i16_e32 0x7f, v1
	s_xor_b32 s13, exec_lo, s13
	s_cbranch_execz .LBB39_2042
; %bb.2022:
	v_cmp_ne_u16_e32 vcc_lo, 0x80, v1
	s_and_b32 s14, vcc_lo, exec_lo
	s_and_not1_saveexec_b32 s13, s13
	s_cbranch_execnz .LBB39_2043
.LBB39_2023:
	s_or_b32 exec_lo, exec_lo, s13
	v_mov_b32_e32 v14, 0
	s_and_saveexec_b32 s13, s14
	s_cbranch_execz .LBB39_2025
.LBB39_2024:
	v_and_b32_e32 v3, 0xffff, v1
	s_delay_alu instid0(VALU_DEP_1) | instskip(SKIP_1) | instid1(VALU_DEP_2)
	v_dual_lshlrev_b32 v1, 24, v1 :: v_dual_bitop2_b32 v5, 3, v3 bitop3:0x40
	v_bfe_u32 v11, v3, 2, 5
	v_and_b32_e32 v1, 0x80000000, v1
	s_delay_alu instid0(VALU_DEP_3) | instskip(NEXT) | instid1(VALU_DEP_3)
	v_clz_i32_u32_e32 v7, v5
	v_cmp_eq_u32_e32 vcc_lo, 0, v11
	s_delay_alu instid0(VALU_DEP_2) | instskip(NEXT) | instid1(VALU_DEP_1)
	v_min_u32_e32 v7, 32, v7
	v_subrev_nc_u32_e32 v9, 29, v7
	v_sub_nc_u32_e32 v7, 30, v7
	s_delay_alu instid0(VALU_DEP_2) | instskip(NEXT) | instid1(VALU_DEP_2)
	v_lshlrev_b32_e32 v3, v9, v3
	v_cndmask_b32_e32 v7, v11, v7, vcc_lo
	s_delay_alu instid0(VALU_DEP_2) | instskip(NEXT) | instid1(VALU_DEP_1)
	v_and_b32_e32 v3, 3, v3
	v_cndmask_b32_e32 v3, v5, v3, vcc_lo
	s_delay_alu instid0(VALU_DEP_3) | instskip(NEXT) | instid1(VALU_DEP_2)
	v_lshl_add_u32 v5, v7, 23, 0x37800000
	v_lshlrev_b32_e32 v3, 21, v3
	s_delay_alu instid0(VALU_DEP_1) | instskip(NEXT) | instid1(VALU_DEP_1)
	v_or3_b32 v1, v1, v5, v3
	v_cvt_i32_f32_e32 v14, v1
.LBB39_2025:
	s_or_b32 exec_lo, exec_lo, s13
	s_mov_b32 s13, 0
	s_branch .LBB39_2031
.LBB39_2026:
	s_mov_b32 s13, -1
                                        ; implicit-def: $vgpr14
	s_branch .LBB39_2037
.LBB39_2027:
	s_and_not1_saveexec_b32 s14, s14
	s_cbranch_execz .LBB39_2012
.LBB39_2028:
	v_cmp_ne_u16_e32 vcc_lo, 0, v1
	s_and_not1_b32 s15, s15, exec_lo
	s_and_b32 s16, vcc_lo, exec_lo
	s_delay_alu instid0(SALU_CYCLE_1)
	s_or_b32 s15, s15, s16
	s_or_b32 exec_lo, exec_lo, s14
	v_mov_b32_e32 v14, 0
	s_and_saveexec_b32 s14, s15
	s_cbranch_execnz .LBB39_2013
	s_branch .LBB39_2014
.LBB39_2029:
	s_mov_b32 s13, -1
                                        ; implicit-def: $vgpr14
	s_branch .LBB39_2034
.LBB39_2030:
	s_mov_b32 s13, -1
                                        ; implicit-def: $vgpr14
.LBB39_2031:
	s_delay_alu instid0(SALU_CYCLE_1)
	s_and_b32 vcc_lo, exec_lo, s13
	s_cbranch_vccz .LBB39_2033
; %bb.2032:
	global_load_u8 v1, v[24:25], off
	s_wait_loadcnt 0x0
	v_lshlrev_b32_e32 v1, 24, v1
	s_delay_alu instid0(VALU_DEP_1) | instskip(NEXT) | instid1(VALU_DEP_1)
	v_and_b32_e32 v3, 0x7f000000, v1
	v_clz_i32_u32_e32 v5, v3
	v_add_nc_u32_e32 v9, 0x1000000, v3
	v_cmp_ne_u32_e32 vcc_lo, 0, v3
	s_delay_alu instid0(VALU_DEP_3) | instskip(NEXT) | instid1(VALU_DEP_1)
	v_min_u32_e32 v5, 32, v5
	v_sub_nc_u32_e64 v5, v5, 4 clamp
	s_delay_alu instid0(VALU_DEP_1) | instskip(NEXT) | instid1(VALU_DEP_1)
	v_dual_lshlrev_b32 v7, v5, v3 :: v_dual_lshlrev_b32 v5, 23, v5
	v_lshrrev_b32_e32 v7, 4, v7
	s_delay_alu instid0(VALU_DEP_1) | instskip(SKIP_1) | instid1(VALU_DEP_2)
	v_sub_nc_u32_e32 v5, v7, v5
	v_ashrrev_i32_e32 v7, 8, v9
	v_add_nc_u32_e32 v5, 0x3c000000, v5
	s_delay_alu instid0(VALU_DEP_1) | instskip(NEXT) | instid1(VALU_DEP_1)
	v_and_or_b32 v5, 0x7f800000, v7, v5
	v_cndmask_b32_e32 v3, 0, v5, vcc_lo
	s_delay_alu instid0(VALU_DEP_1) | instskip(NEXT) | instid1(VALU_DEP_1)
	v_and_or_b32 v1, 0x80000000, v1, v3
	v_cvt_i32_f32_e32 v14, v1
.LBB39_2033:
	s_mov_b32 s13, 0
.LBB39_2034:
	s_delay_alu instid0(SALU_CYCLE_1)
	s_and_not1_b32 vcc_lo, exec_lo, s13
	s_cbranch_vccnz .LBB39_2036
; %bb.2035:
	global_load_u8 v1, v[24:25], off
	s_wait_loadcnt 0x0
	v_lshlrev_b32_e32 v3, 25, v1
	v_lshlrev_b16 v1, 8, v1
	s_delay_alu instid0(VALU_DEP_1) | instskip(SKIP_1) | instid1(VALU_DEP_2)
	v_and_or_b32 v7, 0x7f00, v1, 0.5
	v_bfe_i32 v1, v1, 0, 16
	v_add_f32_e32 v7, -0.5, v7
	v_lshrrev_b32_e32 v5, 4, v3
	v_cmp_gt_u32_e32 vcc_lo, 0x8000000, v3
	s_delay_alu instid0(VALU_DEP_2) | instskip(NEXT) | instid1(VALU_DEP_1)
	v_or_b32_e32 v5, 0x70000000, v5
	v_mul_f32_e32 v5, 0x7800000, v5
	s_delay_alu instid0(VALU_DEP_1) | instskip(NEXT) | instid1(VALU_DEP_1)
	v_cndmask_b32_e32 v3, v5, v7, vcc_lo
	v_and_or_b32 v1, 0x80000000, v1, v3
	s_delay_alu instid0(VALU_DEP_1)
	v_cvt_i32_f32_e32 v14, v1
.LBB39_2036:
	s_mov_b32 s13, 0
	s_mov_b32 s14, -1
.LBB39_2037:
	s_and_not1_b32 vcc_lo, exec_lo, s13
	s_mov_b32 s13, 0
	s_cbranch_vccnz .LBB39_2048
; %bb.2038:
	s_cmp_gt_i32 s9, 14
	s_cbranch_scc0 .LBB39_2041
; %bb.2039:
	s_cmp_eq_u32 s9, 15
	s_cbranch_scc0 .LBB39_2044
; %bb.2040:
	global_load_u16 v1, v[24:25], off
	s_mov_b32 s10, 0
	s_mov_b32 s14, -1
	s_wait_loadcnt 0x0
	v_lshlrev_b32_e32 v1, 16, v1
	s_delay_alu instid0(VALU_DEP_1)
	v_cvt_i32_f32_e32 v14, v1
	s_branch .LBB39_2046
.LBB39_2041:
	s_mov_b32 s13, -1
	s_branch .LBB39_2045
.LBB39_2042:
	s_and_not1_saveexec_b32 s13, s13
	s_cbranch_execz .LBB39_2023
.LBB39_2043:
	v_cmp_ne_u16_e32 vcc_lo, 0, v1
	s_and_not1_b32 s14, s14, exec_lo
	s_and_b32 s15, vcc_lo, exec_lo
	s_delay_alu instid0(SALU_CYCLE_1)
	s_or_b32 s14, s14, s15
	s_or_b32 exec_lo, exec_lo, s13
	v_mov_b32_e32 v14, 0
	s_and_saveexec_b32 s13, s14
	s_cbranch_execnz .LBB39_2024
	s_branch .LBB39_2025
.LBB39_2044:
	s_mov_b32 s10, -1
.LBB39_2045:
                                        ; implicit-def: $vgpr14
.LBB39_2046:
	s_and_b32 vcc_lo, exec_lo, s13
	s_mov_b32 s13, 0
	s_cbranch_vccz .LBB39_2048
; %bb.2047:
	s_cmp_lg_u32 s9, 11
	s_mov_b32 s13, -1
	s_cselect_b32 s10, -1, 0
.LBB39_2048:
	s_delay_alu instid0(SALU_CYCLE_1)
	s_and_b32 vcc_lo, exec_lo, s10
	s_cbranch_vccnz .LBB39_2113
; %bb.2049:
	s_and_not1_b32 vcc_lo, exec_lo, s13
	s_cbranch_vccnz .LBB39_2051
.LBB39_2050:
	global_load_u8 v1, v[24:25], off
	s_mov_b32 s14, -1
	s_wait_loadcnt 0x0
	v_cmp_ne_u16_e32 vcc_lo, 0, v1
	v_cndmask_b32_e64 v14, 0, 1, vcc_lo
.LBB39_2051:
	s_mov_b32 s10, 0
.LBB39_2052:
	s_delay_alu instid0(SALU_CYCLE_1)
	s_and_b32 vcc_lo, exec_lo, s10
	s_cbranch_vccz .LBB39_2101
; %bb.2053:
	s_cmp_lt_i32 s9, 5
	s_cbranch_scc1 .LBB39_2058
; %bb.2054:
	s_cmp_lt_i32 s9, 8
	s_cbranch_scc1 .LBB39_2059
; %bb.2055:
	s_cmp_lt_i32 s9, 9
	s_cbranch_scc1 .LBB39_2060
; %bb.2056:
	s_cmp_gt_i32 s9, 9
	s_cbranch_scc0 .LBB39_2061
; %bb.2057:
	s_wait_loadcnt 0x0
	global_load_b64 v[14:15], v[24:25], off
	s_mov_b32 s10, 0
	s_wait_loadcnt 0x0
	v_cvt_i32_f64_e32 v14, v[14:15]
	s_branch .LBB39_2062
.LBB39_2058:
	s_mov_b32 s10, -1
                                        ; implicit-def: $vgpr14
	s_branch .LBB39_2080
.LBB39_2059:
	s_mov_b32 s10, -1
                                        ; implicit-def: $vgpr14
	s_branch .LBB39_2068
.LBB39_2060:
	s_mov_b32 s10, -1
                                        ; implicit-def: $vgpr14
	s_branch .LBB39_2065
.LBB39_2061:
	s_mov_b32 s10, -1
                                        ; implicit-def: $vgpr14
.LBB39_2062:
	s_delay_alu instid0(SALU_CYCLE_1)
	s_and_not1_b32 vcc_lo, exec_lo, s10
	s_cbranch_vccnz .LBB39_2064
; %bb.2063:
	global_load_b32 v1, v[24:25], off
	s_wait_loadcnt 0x0
	v_cvt_i32_f32_e32 v14, v1
.LBB39_2064:
	s_mov_b32 s10, 0
.LBB39_2065:
	s_delay_alu instid0(SALU_CYCLE_1)
	s_and_not1_b32 vcc_lo, exec_lo, s10
	s_cbranch_vccnz .LBB39_2067
; %bb.2066:
	global_load_b32 v1, v[24:25], off
	s_wait_loadcnt 0x0
	v_cvt_i16_f16_e32 v14, v1
.LBB39_2067:
	s_mov_b32 s10, 0
.LBB39_2068:
	s_delay_alu instid0(SALU_CYCLE_1)
	s_and_not1_b32 vcc_lo, exec_lo, s10
	s_cbranch_vccnz .LBB39_2079
; %bb.2069:
	s_cmp_lt_i32 s9, 6
	s_cbranch_scc1 .LBB39_2072
; %bb.2070:
	s_cmp_gt_i32 s9, 6
	s_cbranch_scc0 .LBB39_2073
; %bb.2071:
	s_wait_loadcnt 0x0
	global_load_b64 v[14:15], v[24:25], off
	s_mov_b32 s10, 0
	s_wait_loadcnt 0x0
	v_cvt_i32_f64_e32 v14, v[14:15]
	s_branch .LBB39_2074
.LBB39_2072:
	s_mov_b32 s10, -1
                                        ; implicit-def: $vgpr14
	s_branch .LBB39_2077
.LBB39_2073:
	s_mov_b32 s10, -1
                                        ; implicit-def: $vgpr14
.LBB39_2074:
	s_delay_alu instid0(SALU_CYCLE_1)
	s_and_not1_b32 vcc_lo, exec_lo, s10
	s_cbranch_vccnz .LBB39_2076
; %bb.2075:
	global_load_b32 v1, v[24:25], off
	s_wait_loadcnt 0x0
	v_cvt_i32_f32_e32 v14, v1
.LBB39_2076:
	s_mov_b32 s10, 0
.LBB39_2077:
	s_delay_alu instid0(SALU_CYCLE_1)
	s_and_not1_b32 vcc_lo, exec_lo, s10
	s_cbranch_vccnz .LBB39_2079
; %bb.2078:
	global_load_u16 v1, v[24:25], off
	s_wait_loadcnt 0x0
	v_cvt_i16_f16_e32 v14, v1
.LBB39_2079:
	s_mov_b32 s10, 0
.LBB39_2080:
	s_delay_alu instid0(SALU_CYCLE_1)
	s_and_not1_b32 vcc_lo, exec_lo, s10
	s_cbranch_vccnz .LBB39_2100
; %bb.2081:
	s_cmp_lt_i32 s9, 2
	s_cbranch_scc1 .LBB39_2085
; %bb.2082:
	s_cmp_lt_i32 s9, 3
	s_cbranch_scc1 .LBB39_2086
; %bb.2083:
	s_cmp_gt_i32 s9, 3
	s_cbranch_scc0 .LBB39_2087
; %bb.2084:
	s_wait_loadcnt 0x0
	global_load_b64 v[14:15], v[24:25], off
	s_mov_b32 s10, 0
	s_branch .LBB39_2088
.LBB39_2085:
	s_mov_b32 s10, -1
                                        ; implicit-def: $vgpr14
	s_branch .LBB39_2094
.LBB39_2086:
	s_mov_b32 s10, -1
                                        ; implicit-def: $vgpr14
	s_branch .LBB39_2091
.LBB39_2087:
	s_mov_b32 s10, -1
                                        ; implicit-def: $vgpr14
.LBB39_2088:
	s_delay_alu instid0(SALU_CYCLE_1)
	s_and_not1_b32 vcc_lo, exec_lo, s10
	s_cbranch_vccnz .LBB39_2090
; %bb.2089:
	s_wait_loadcnt 0x0
	global_load_b32 v14, v[24:25], off
.LBB39_2090:
	s_mov_b32 s10, 0
.LBB39_2091:
	s_delay_alu instid0(SALU_CYCLE_1)
	s_and_not1_b32 vcc_lo, exec_lo, s10
	s_cbranch_vccnz .LBB39_2093
; %bb.2092:
	s_wait_loadcnt 0x0
	global_load_u16 v14, v[24:25], off
.LBB39_2093:
	s_mov_b32 s10, 0
.LBB39_2094:
	s_delay_alu instid0(SALU_CYCLE_1)
	s_and_not1_b32 vcc_lo, exec_lo, s10
	s_cbranch_vccnz .LBB39_2100
; %bb.2095:
	s_cmp_gt_i32 s9, 0
	s_mov_b32 s10, 0
	s_cbranch_scc0 .LBB39_2097
; %bb.2096:
	s_wait_loadcnt 0x0
	global_load_u8 v14, v[24:25], off
	s_branch .LBB39_2098
.LBB39_2097:
	s_mov_b32 s10, -1
                                        ; implicit-def: $vgpr14
.LBB39_2098:
	s_delay_alu instid0(SALU_CYCLE_1)
	s_and_not1_b32 vcc_lo, exec_lo, s10
	s_cbranch_vccnz .LBB39_2100
; %bb.2099:
	s_wait_loadcnt 0x0
	global_load_u8 v14, v[24:25], off
.LBB39_2100:
	s_mov_b32 s14, -1
.LBB39_2101:
	s_delay_alu instid0(SALU_CYCLE_1)
	s_and_not1_b32 vcc_lo, exec_lo, s14
	s_cbranch_vccnz .LBB39_3216
; %bb.2102:
	v_mov_b32_e32 v19, 0
	s_and_b32 s10, 0xffff, s12
	s_delay_alu instid0(SALU_CYCLE_1) | instskip(SKIP_1) | instid1(VALU_DEP_1)
	s_cmp_lt_i32 s10, 11
	s_wait_xcnt 0x0
	v_add_nc_u64_e32 v[24:25], s[4:5], v[18:19]
	s_cbranch_scc1 .LBB39_2109
; %bb.2103:
	s_cmp_gt_i32 s10, 25
	s_mov_b32 s13, 0
	s_cbranch_scc0 .LBB39_2110
; %bb.2104:
	s_cmp_gt_i32 s10, 28
	s_cbranch_scc0 .LBB39_2111
; %bb.2105:
	s_cmp_gt_i32 s10, 43
	;; [unrolled: 3-line block ×3, first 2 shown]
	s_cbranch_scc0 .LBB39_2114
; %bb.2107:
	s_cmp_eq_u32 s10, 46
	s_mov_b32 s15, 0
	s_cbranch_scc0 .LBB39_2117
; %bb.2108:
	global_load_b32 v1, v[24:25], off
	s_mov_b32 s12, 0
	s_mov_b32 s14, -1
	s_wait_loadcnt 0x0
	v_lshlrev_b32_e32 v1, 16, v1
	s_delay_alu instid0(VALU_DEP_1)
	v_cvt_i32_f32_e32 v18, v1
	s_branch .LBB39_2119
.LBB39_2109:
	s_mov_b32 s12, -1
	s_mov_b32 s14, 0
                                        ; implicit-def: $vgpr18
	s_branch .LBB39_2181
.LBB39_2110:
	s_mov_b32 s15, -1
	s_mov_b32 s14, 0
	s_mov_b32 s12, 0
                                        ; implicit-def: $vgpr18
	s_branch .LBB39_2146
.LBB39_2111:
	s_mov_b32 s15, -1
	s_mov_b32 s14, 0
	s_mov_b32 s12, 0
                                        ; implicit-def: $vgpr18
	s_branch .LBB39_2129
.LBB39_2112:
	s_mov_b32 s15, -1
	s_mov_b32 s14, 0
	s_mov_b32 s12, 0
                                        ; implicit-def: $vgpr18
	s_branch .LBB39_2124
.LBB39_2113:
	s_or_b32 s8, s8, exec_lo
	s_trap 2
	s_cbranch_execz .LBB39_2050
	s_branch .LBB39_2051
.LBB39_2114:
	s_mov_b32 s15, -1
	s_mov_b32 s14, 0
	s_mov_b32 s12, 0
	s_branch .LBB39_2118
.LBB39_2115:
	s_and_not1_saveexec_b32 s56, s56
	s_cbranch_execz .LBB39_1140
.LBB39_2116:
	v_add_f32_e64 v5, 0x46000000, |v4|
	s_and_not1_b32 s55, s55, exec_lo
	s_delay_alu instid0(VALU_DEP_1) | instskip(NEXT) | instid1(VALU_DEP_1)
	v_and_b32_e32 v5, 0xff, v5
	v_cmp_ne_u32_e32 vcc_lo, 0, v5
	s_and_b32 s57, vcc_lo, exec_lo
	s_delay_alu instid0(SALU_CYCLE_1)
	s_or_b32 s55, s55, s57
	s_or_b32 exec_lo, exec_lo, s56
	v_mov_b32_e32 v6, 0
	s_and_saveexec_b32 s56, s55
	s_cbranch_execnz .LBB39_1141
	s_branch .LBB39_1142
.LBB39_2117:
	s_mov_b32 s12, -1
	s_mov_b32 s14, 0
.LBB39_2118:
                                        ; implicit-def: $vgpr18
.LBB39_2119:
	s_and_b32 vcc_lo, exec_lo, s15
	s_cbranch_vccz .LBB39_2123
; %bb.2120:
	s_cmp_eq_u32 s10, 44
	s_cbranch_scc0 .LBB39_2122
; %bb.2121:
	global_load_u8 v1, v[24:25], off
	s_mov_b32 s12, 0
	s_mov_b32 s14, -1
	s_wait_loadcnt 0x0
	v_lshlrev_b32_e32 v3, 23, v1
	v_cmp_ne_u32_e32 vcc_lo, 0, v1
	s_delay_alu instid0(VALU_DEP_2) | instskip(NEXT) | instid1(VALU_DEP_1)
	v_cvt_i32_f32_e32 v3, v3
	v_cndmask_b32_e32 v18, 0, v3, vcc_lo
	s_branch .LBB39_2123
.LBB39_2122:
	s_mov_b32 s12, -1
                                        ; implicit-def: $vgpr18
.LBB39_2123:
	s_mov_b32 s15, 0
.LBB39_2124:
	s_delay_alu instid0(SALU_CYCLE_1)
	s_and_b32 vcc_lo, exec_lo, s15
	s_cbranch_vccz .LBB39_2128
; %bb.2125:
	s_cmp_eq_u32 s10, 29
	s_cbranch_scc0 .LBB39_2127
; %bb.2126:
	global_load_b64 v[18:19], v[24:25], off
	s_mov_b32 s12, 0
	s_mov_b32 s14, -1
	s_branch .LBB39_2128
.LBB39_2127:
	s_mov_b32 s12, -1
                                        ; implicit-def: $vgpr18
.LBB39_2128:
	s_mov_b32 s15, 0
.LBB39_2129:
	s_delay_alu instid0(SALU_CYCLE_1)
	s_and_b32 vcc_lo, exec_lo, s15
	s_cbranch_vccz .LBB39_2145
; %bb.2130:
	s_cmp_lt_i32 s10, 27
	s_cbranch_scc1 .LBB39_2133
; %bb.2131:
	s_cmp_gt_i32 s10, 27
	s_cbranch_scc0 .LBB39_2134
; %bb.2132:
	s_wait_loadcnt 0x0
	global_load_b32 v18, v[24:25], off
	s_mov_b32 s14, 0
	s_branch .LBB39_2135
.LBB39_2133:
	s_mov_b32 s14, -1
                                        ; implicit-def: $vgpr18
	s_branch .LBB39_2138
.LBB39_2134:
	s_mov_b32 s14, -1
                                        ; implicit-def: $vgpr18
.LBB39_2135:
	s_delay_alu instid0(SALU_CYCLE_1)
	s_and_not1_b32 vcc_lo, exec_lo, s14
	s_cbranch_vccnz .LBB39_2137
; %bb.2136:
	s_wait_loadcnt 0x0
	global_load_u16 v18, v[24:25], off
.LBB39_2137:
	s_mov_b32 s14, 0
.LBB39_2138:
	s_delay_alu instid0(SALU_CYCLE_1)
	s_and_not1_b32 vcc_lo, exec_lo, s14
	s_cbranch_vccnz .LBB39_2144
; %bb.2139:
	global_load_u8 v1, v[24:25], off
	s_mov_b32 s15, 0
	s_mov_b32 s14, exec_lo
	s_wait_loadcnt 0x0
	v_cmpx_lt_i16_e32 0x7f, v1
	s_xor_b32 s14, exec_lo, s14
	s_cbranch_execz .LBB39_2156
; %bb.2140:
	v_cmp_ne_u16_e32 vcc_lo, 0x80, v1
	s_and_b32 s15, vcc_lo, exec_lo
	s_and_not1_saveexec_b32 s14, s14
	s_cbranch_execnz .LBB39_2157
.LBB39_2141:
	s_or_b32 exec_lo, exec_lo, s14
	v_mov_b32_e32 v18, 0
	s_and_saveexec_b32 s14, s15
	s_cbranch_execz .LBB39_2143
.LBB39_2142:
	v_and_b32_e32 v3, 0xffff, v1
	s_delay_alu instid0(VALU_DEP_1) | instskip(SKIP_1) | instid1(VALU_DEP_2)
	v_dual_lshlrev_b32 v1, 24, v1 :: v_dual_bitop2_b32 v5, 7, v3 bitop3:0x40
	v_bfe_u32 v11, v3, 3, 4
	v_and_b32_e32 v1, 0x80000000, v1
	s_delay_alu instid0(VALU_DEP_3) | instskip(NEXT) | instid1(VALU_DEP_3)
	v_clz_i32_u32_e32 v7, v5
	v_cmp_eq_u32_e32 vcc_lo, 0, v11
	s_delay_alu instid0(VALU_DEP_2) | instskip(NEXT) | instid1(VALU_DEP_1)
	v_min_u32_e32 v7, 32, v7
	v_subrev_nc_u32_e32 v9, 28, v7
	v_sub_nc_u32_e32 v7, 29, v7
	s_delay_alu instid0(VALU_DEP_2) | instskip(NEXT) | instid1(VALU_DEP_2)
	v_lshlrev_b32_e32 v3, v9, v3
	v_cndmask_b32_e32 v7, v11, v7, vcc_lo
	s_delay_alu instid0(VALU_DEP_2) | instskip(NEXT) | instid1(VALU_DEP_1)
	v_and_b32_e32 v3, 7, v3
	v_cndmask_b32_e32 v3, v5, v3, vcc_lo
	s_delay_alu instid0(VALU_DEP_3) | instskip(NEXT) | instid1(VALU_DEP_2)
	v_lshl_add_u32 v5, v7, 23, 0x3b800000
	v_lshlrev_b32_e32 v3, 20, v3
	s_delay_alu instid0(VALU_DEP_1) | instskip(NEXT) | instid1(VALU_DEP_1)
	v_or3_b32 v1, v1, v5, v3
	v_cvt_i32_f32_e32 v18, v1
.LBB39_2143:
	s_or_b32 exec_lo, exec_lo, s14
.LBB39_2144:
	s_mov_b32 s14, -1
.LBB39_2145:
	s_mov_b32 s15, 0
.LBB39_2146:
	s_delay_alu instid0(SALU_CYCLE_1)
	s_and_b32 vcc_lo, exec_lo, s15
	s_cbranch_vccz .LBB39_2177
; %bb.2147:
	s_cmp_gt_i32 s10, 22
	s_cbranch_scc0 .LBB39_2155
; %bb.2148:
	s_cmp_lt_i32 s10, 24
	s_cbranch_scc1 .LBB39_2158
; %bb.2149:
	s_cmp_gt_i32 s10, 24
	s_cbranch_scc0 .LBB39_2159
; %bb.2150:
	global_load_u8 v1, v[24:25], off
	s_mov_b32 s14, 0
	s_mov_b32 s13, exec_lo
	s_wait_loadcnt 0x0
	v_cmpx_lt_i16_e32 0x7f, v1
	s_xor_b32 s13, exec_lo, s13
	s_cbranch_execz .LBB39_2171
; %bb.2151:
	v_cmp_ne_u16_e32 vcc_lo, 0x80, v1
	s_and_b32 s14, vcc_lo, exec_lo
	s_and_not1_saveexec_b32 s13, s13
	s_cbranch_execnz .LBB39_2172
.LBB39_2152:
	s_or_b32 exec_lo, exec_lo, s13
	v_mov_b32_e32 v18, 0
	s_and_saveexec_b32 s13, s14
	s_cbranch_execz .LBB39_2154
.LBB39_2153:
	v_and_b32_e32 v3, 0xffff, v1
	s_delay_alu instid0(VALU_DEP_1) | instskip(SKIP_1) | instid1(VALU_DEP_2)
	v_dual_lshlrev_b32 v1, 24, v1 :: v_dual_bitop2_b32 v5, 3, v3 bitop3:0x40
	v_bfe_u32 v11, v3, 2, 5
	v_and_b32_e32 v1, 0x80000000, v1
	s_delay_alu instid0(VALU_DEP_3) | instskip(NEXT) | instid1(VALU_DEP_3)
	v_clz_i32_u32_e32 v7, v5
	v_cmp_eq_u32_e32 vcc_lo, 0, v11
	s_delay_alu instid0(VALU_DEP_2) | instskip(NEXT) | instid1(VALU_DEP_1)
	v_min_u32_e32 v7, 32, v7
	v_subrev_nc_u32_e32 v9, 29, v7
	v_sub_nc_u32_e32 v7, 30, v7
	s_delay_alu instid0(VALU_DEP_2) | instskip(NEXT) | instid1(VALU_DEP_2)
	v_lshlrev_b32_e32 v3, v9, v3
	v_cndmask_b32_e32 v7, v11, v7, vcc_lo
	s_delay_alu instid0(VALU_DEP_2) | instskip(NEXT) | instid1(VALU_DEP_1)
	v_and_b32_e32 v3, 3, v3
	v_cndmask_b32_e32 v3, v5, v3, vcc_lo
	s_delay_alu instid0(VALU_DEP_3) | instskip(NEXT) | instid1(VALU_DEP_2)
	v_lshl_add_u32 v5, v7, 23, 0x37800000
	v_lshlrev_b32_e32 v3, 21, v3
	s_delay_alu instid0(VALU_DEP_1) | instskip(NEXT) | instid1(VALU_DEP_1)
	v_or3_b32 v1, v1, v5, v3
	v_cvt_i32_f32_e32 v18, v1
.LBB39_2154:
	s_or_b32 exec_lo, exec_lo, s13
	s_mov_b32 s13, 0
	s_branch .LBB39_2160
.LBB39_2155:
	s_mov_b32 s13, -1
                                        ; implicit-def: $vgpr18
	s_branch .LBB39_2166
.LBB39_2156:
	s_and_not1_saveexec_b32 s14, s14
	s_cbranch_execz .LBB39_2141
.LBB39_2157:
	v_cmp_ne_u16_e32 vcc_lo, 0, v1
	s_and_not1_b32 s15, s15, exec_lo
	s_and_b32 s16, vcc_lo, exec_lo
	s_delay_alu instid0(SALU_CYCLE_1)
	s_or_b32 s15, s15, s16
	s_or_b32 exec_lo, exec_lo, s14
	v_mov_b32_e32 v18, 0
	s_and_saveexec_b32 s14, s15
	s_cbranch_execnz .LBB39_2142
	s_branch .LBB39_2143
.LBB39_2158:
	s_mov_b32 s13, -1
                                        ; implicit-def: $vgpr18
	s_branch .LBB39_2163
.LBB39_2159:
	s_mov_b32 s13, -1
                                        ; implicit-def: $vgpr18
.LBB39_2160:
	s_delay_alu instid0(SALU_CYCLE_1)
	s_and_b32 vcc_lo, exec_lo, s13
	s_cbranch_vccz .LBB39_2162
; %bb.2161:
	global_load_u8 v1, v[24:25], off
	s_wait_loadcnt 0x0
	v_lshlrev_b32_e32 v1, 24, v1
	s_delay_alu instid0(VALU_DEP_1) | instskip(NEXT) | instid1(VALU_DEP_1)
	v_and_b32_e32 v3, 0x7f000000, v1
	v_clz_i32_u32_e32 v5, v3
	v_add_nc_u32_e32 v9, 0x1000000, v3
	v_cmp_ne_u32_e32 vcc_lo, 0, v3
	s_delay_alu instid0(VALU_DEP_3) | instskip(NEXT) | instid1(VALU_DEP_1)
	v_min_u32_e32 v5, 32, v5
	v_sub_nc_u32_e64 v5, v5, 4 clamp
	s_delay_alu instid0(VALU_DEP_1) | instskip(NEXT) | instid1(VALU_DEP_1)
	v_dual_lshlrev_b32 v7, v5, v3 :: v_dual_lshlrev_b32 v5, 23, v5
	v_lshrrev_b32_e32 v7, 4, v7
	s_delay_alu instid0(VALU_DEP_1) | instskip(SKIP_1) | instid1(VALU_DEP_2)
	v_sub_nc_u32_e32 v5, v7, v5
	v_ashrrev_i32_e32 v7, 8, v9
	v_add_nc_u32_e32 v5, 0x3c000000, v5
	s_delay_alu instid0(VALU_DEP_1) | instskip(NEXT) | instid1(VALU_DEP_1)
	v_and_or_b32 v5, 0x7f800000, v7, v5
	v_cndmask_b32_e32 v3, 0, v5, vcc_lo
	s_delay_alu instid0(VALU_DEP_1) | instskip(NEXT) | instid1(VALU_DEP_1)
	v_and_or_b32 v1, 0x80000000, v1, v3
	v_cvt_i32_f32_e32 v18, v1
.LBB39_2162:
	s_mov_b32 s13, 0
.LBB39_2163:
	s_delay_alu instid0(SALU_CYCLE_1)
	s_and_not1_b32 vcc_lo, exec_lo, s13
	s_cbranch_vccnz .LBB39_2165
; %bb.2164:
	global_load_u8 v1, v[24:25], off
	s_wait_loadcnt 0x0
	v_lshlrev_b32_e32 v3, 25, v1
	v_lshlrev_b16 v1, 8, v1
	s_delay_alu instid0(VALU_DEP_1) | instskip(SKIP_1) | instid1(VALU_DEP_2)
	v_and_or_b32 v7, 0x7f00, v1, 0.5
	v_bfe_i32 v1, v1, 0, 16
	v_add_f32_e32 v7, -0.5, v7
	v_lshrrev_b32_e32 v5, 4, v3
	v_cmp_gt_u32_e32 vcc_lo, 0x8000000, v3
	s_delay_alu instid0(VALU_DEP_2) | instskip(NEXT) | instid1(VALU_DEP_1)
	v_or_b32_e32 v5, 0x70000000, v5
	v_mul_f32_e32 v5, 0x7800000, v5
	s_delay_alu instid0(VALU_DEP_1) | instskip(NEXT) | instid1(VALU_DEP_1)
	v_cndmask_b32_e32 v3, v5, v7, vcc_lo
	v_and_or_b32 v1, 0x80000000, v1, v3
	s_delay_alu instid0(VALU_DEP_1)
	v_cvt_i32_f32_e32 v18, v1
.LBB39_2165:
	s_mov_b32 s13, 0
	s_mov_b32 s14, -1
.LBB39_2166:
	s_and_not1_b32 vcc_lo, exec_lo, s13
	s_mov_b32 s13, 0
	s_cbranch_vccnz .LBB39_2177
; %bb.2167:
	s_cmp_gt_i32 s10, 14
	s_cbranch_scc0 .LBB39_2170
; %bb.2168:
	s_cmp_eq_u32 s10, 15
	s_cbranch_scc0 .LBB39_2173
; %bb.2169:
	global_load_u16 v1, v[24:25], off
	s_mov_b32 s12, 0
	s_mov_b32 s14, -1
	s_wait_loadcnt 0x0
	v_lshlrev_b32_e32 v1, 16, v1
	s_delay_alu instid0(VALU_DEP_1)
	v_cvt_i32_f32_e32 v18, v1
	s_branch .LBB39_2175
.LBB39_2170:
	s_mov_b32 s13, -1
	s_branch .LBB39_2174
.LBB39_2171:
	s_and_not1_saveexec_b32 s13, s13
	s_cbranch_execz .LBB39_2152
.LBB39_2172:
	v_cmp_ne_u16_e32 vcc_lo, 0, v1
	s_and_not1_b32 s14, s14, exec_lo
	s_and_b32 s15, vcc_lo, exec_lo
	s_delay_alu instid0(SALU_CYCLE_1)
	s_or_b32 s14, s14, s15
	s_or_b32 exec_lo, exec_lo, s13
	v_mov_b32_e32 v18, 0
	s_and_saveexec_b32 s13, s14
	s_cbranch_execnz .LBB39_2153
	s_branch .LBB39_2154
.LBB39_2173:
	s_mov_b32 s12, -1
.LBB39_2174:
                                        ; implicit-def: $vgpr18
.LBB39_2175:
	s_and_b32 vcc_lo, exec_lo, s13
	s_mov_b32 s13, 0
	s_cbranch_vccz .LBB39_2177
; %bb.2176:
	s_cmp_lg_u32 s10, 11
	s_mov_b32 s13, -1
	s_cselect_b32 s12, -1, 0
.LBB39_2177:
	s_delay_alu instid0(SALU_CYCLE_1)
	s_and_b32 vcc_lo, exec_lo, s12
	s_cbranch_vccnz .LBB39_2261
; %bb.2178:
	s_and_not1_b32 vcc_lo, exec_lo, s13
	s_cbranch_vccnz .LBB39_2180
.LBB39_2179:
	global_load_u8 v1, v[24:25], off
	s_mov_b32 s14, -1
	s_wait_loadcnt 0x0
	v_cmp_ne_u16_e32 vcc_lo, 0, v1
	v_cndmask_b32_e64 v18, 0, 1, vcc_lo
.LBB39_2180:
	s_mov_b32 s12, 0
.LBB39_2181:
	s_delay_alu instid0(SALU_CYCLE_1)
	s_and_b32 vcc_lo, exec_lo, s12
	s_cbranch_vccz .LBB39_2230
; %bb.2182:
	s_cmp_lt_i32 s10, 5
	s_cbranch_scc1 .LBB39_2187
; %bb.2183:
	s_cmp_lt_i32 s10, 8
	s_cbranch_scc1 .LBB39_2188
	;; [unrolled: 3-line block ×3, first 2 shown]
; %bb.2185:
	s_cmp_gt_i32 s10, 9
	s_cbranch_scc0 .LBB39_2190
; %bb.2186:
	s_wait_loadcnt 0x0
	global_load_b64 v[18:19], v[24:25], off
	s_mov_b32 s12, 0
	s_wait_loadcnt 0x0
	v_cvt_i32_f64_e32 v18, v[18:19]
	s_branch .LBB39_2191
.LBB39_2187:
	s_mov_b32 s12, -1
                                        ; implicit-def: $vgpr18
	s_branch .LBB39_2209
.LBB39_2188:
	s_mov_b32 s12, -1
                                        ; implicit-def: $vgpr18
	s_branch .LBB39_2197
.LBB39_2189:
	s_mov_b32 s12, -1
                                        ; implicit-def: $vgpr18
	s_branch .LBB39_2194
.LBB39_2190:
	s_mov_b32 s12, -1
                                        ; implicit-def: $vgpr18
.LBB39_2191:
	s_delay_alu instid0(SALU_CYCLE_1)
	s_and_not1_b32 vcc_lo, exec_lo, s12
	s_cbranch_vccnz .LBB39_2193
; %bb.2192:
	global_load_b32 v1, v[24:25], off
	s_wait_loadcnt 0x0
	v_cvt_i32_f32_e32 v18, v1
.LBB39_2193:
	s_mov_b32 s12, 0
.LBB39_2194:
	s_delay_alu instid0(SALU_CYCLE_1)
	s_and_not1_b32 vcc_lo, exec_lo, s12
	s_cbranch_vccnz .LBB39_2196
; %bb.2195:
	global_load_b32 v1, v[24:25], off
	s_wait_loadcnt 0x0
	v_cvt_i16_f16_e32 v18, v1
.LBB39_2196:
	s_mov_b32 s12, 0
.LBB39_2197:
	s_delay_alu instid0(SALU_CYCLE_1)
	s_and_not1_b32 vcc_lo, exec_lo, s12
	s_cbranch_vccnz .LBB39_2208
; %bb.2198:
	s_cmp_lt_i32 s10, 6
	s_cbranch_scc1 .LBB39_2201
; %bb.2199:
	s_cmp_gt_i32 s10, 6
	s_cbranch_scc0 .LBB39_2202
; %bb.2200:
	s_wait_loadcnt 0x0
	global_load_b64 v[18:19], v[24:25], off
	s_mov_b32 s12, 0
	s_wait_loadcnt 0x0
	v_cvt_i32_f64_e32 v18, v[18:19]
	s_branch .LBB39_2203
.LBB39_2201:
	s_mov_b32 s12, -1
                                        ; implicit-def: $vgpr18
	s_branch .LBB39_2206
.LBB39_2202:
	s_mov_b32 s12, -1
                                        ; implicit-def: $vgpr18
.LBB39_2203:
	s_delay_alu instid0(SALU_CYCLE_1)
	s_and_not1_b32 vcc_lo, exec_lo, s12
	s_cbranch_vccnz .LBB39_2205
; %bb.2204:
	global_load_b32 v1, v[24:25], off
	s_wait_loadcnt 0x0
	v_cvt_i32_f32_e32 v18, v1
.LBB39_2205:
	s_mov_b32 s12, 0
.LBB39_2206:
	s_delay_alu instid0(SALU_CYCLE_1)
	s_and_not1_b32 vcc_lo, exec_lo, s12
	s_cbranch_vccnz .LBB39_2208
; %bb.2207:
	global_load_u16 v1, v[24:25], off
	s_wait_loadcnt 0x0
	v_cvt_i16_f16_e32 v18, v1
.LBB39_2208:
	s_mov_b32 s12, 0
.LBB39_2209:
	s_delay_alu instid0(SALU_CYCLE_1)
	s_and_not1_b32 vcc_lo, exec_lo, s12
	s_cbranch_vccnz .LBB39_2229
; %bb.2210:
	s_cmp_lt_i32 s10, 2
	s_cbranch_scc1 .LBB39_2214
; %bb.2211:
	s_cmp_lt_i32 s10, 3
	s_cbranch_scc1 .LBB39_2215
; %bb.2212:
	s_cmp_gt_i32 s10, 3
	s_cbranch_scc0 .LBB39_2216
; %bb.2213:
	s_wait_loadcnt 0x0
	global_load_b64 v[18:19], v[24:25], off
	s_mov_b32 s12, 0
	s_branch .LBB39_2217
.LBB39_2214:
	s_mov_b32 s12, -1
                                        ; implicit-def: $vgpr18
	s_branch .LBB39_2223
.LBB39_2215:
	s_mov_b32 s12, -1
                                        ; implicit-def: $vgpr18
	s_branch .LBB39_2220
.LBB39_2216:
	s_mov_b32 s12, -1
                                        ; implicit-def: $vgpr18
.LBB39_2217:
	s_delay_alu instid0(SALU_CYCLE_1)
	s_and_not1_b32 vcc_lo, exec_lo, s12
	s_cbranch_vccnz .LBB39_2219
; %bb.2218:
	s_wait_loadcnt 0x0
	global_load_b32 v18, v[24:25], off
.LBB39_2219:
	s_mov_b32 s12, 0
.LBB39_2220:
	s_delay_alu instid0(SALU_CYCLE_1)
	s_and_not1_b32 vcc_lo, exec_lo, s12
	s_cbranch_vccnz .LBB39_2222
; %bb.2221:
	s_wait_loadcnt 0x0
	global_load_u16 v18, v[24:25], off
.LBB39_2222:
	s_mov_b32 s12, 0
.LBB39_2223:
	s_delay_alu instid0(SALU_CYCLE_1)
	s_and_not1_b32 vcc_lo, exec_lo, s12
	s_cbranch_vccnz .LBB39_2229
; %bb.2224:
	s_cmp_gt_i32 s10, 0
	s_mov_b32 s12, 0
	s_cbranch_scc0 .LBB39_2226
; %bb.2225:
	s_wait_loadcnt 0x0
	global_load_u8 v18, v[24:25], off
	s_branch .LBB39_2227
.LBB39_2226:
	s_mov_b32 s12, -1
                                        ; implicit-def: $vgpr18
.LBB39_2227:
	s_delay_alu instid0(SALU_CYCLE_1)
	s_and_not1_b32 vcc_lo, exec_lo, s12
	s_cbranch_vccnz .LBB39_2229
; %bb.2228:
	s_wait_loadcnt 0x0
	global_load_u8 v18, v[24:25], off
.LBB39_2229:
	s_mov_b32 s14, -1
.LBB39_2230:
	s_delay_alu instid0(SALU_CYCLE_1)
	s_and_not1_b32 vcc_lo, exec_lo, s14
	s_cbranch_vccnz .LBB39_3216
; %bb.2231:
	s_cmp_lt_i32 s11, 23
	s_cbranch_scc1 .LBB39_2235
; %bb.2232:
	s_cmp_gt_i32 s11, 43
	s_cbranch_scc0 .LBB39_2236
; %bb.2233:
	s_cmp_gt_i32 s11, 45
	s_cbranch_scc0 .LBB39_2237
; %bb.2234:
	s_cmp_lg_u32 s11, 46
	s_mov_b32 s14, 0
	s_mov_b32 s12, -1
	s_cselect_b32 s13, -1, 0
	s_branch .LBB39_2238
.LBB39_2235:
	s_mov_b32 s14, -1
	s_mov_b32 s12, 0
	s_mov_b32 s13, 0
	s_branch .LBB39_2244
.LBB39_2236:
	s_mov_b32 s14, -1
	s_mov_b32 s12, 0
	s_mov_b32 s13, 0
	s_branch .LBB39_2241
.LBB39_2237:
	s_mov_b32 s14, -1
	s_mov_b32 s12, 0
	s_mov_b32 s13, 0
.LBB39_2238:
	s_and_not1_b32 vcc_lo, exec_lo, s14
	s_cbranch_vccnz .LBB39_2240
; %bb.2239:
	s_cmp_eq_u32 s11, 44
	s_cselect_b32 s12, -1, 0
	s_cmp_lg_u32 s11, 44
	s_cselect_b32 s13, -1, 0
.LBB39_2240:
	s_mov_b32 s14, 0
.LBB39_2241:
	s_delay_alu instid0(SALU_CYCLE_1)
	s_and_b32 vcc_lo, exec_lo, s14
	s_cbranch_vccz .LBB39_2243
; %bb.2242:
	s_cmp_lt_i32 s11, 30
	s_cselect_b32 s12, -1, 0
	s_cmp_gt_i32 s11, 29
	s_cselect_b32 s13, -1, 0
.LBB39_2243:
	s_mov_b32 s14, 0
.LBB39_2244:
	s_delay_alu instid0(SALU_CYCLE_1)
	s_and_b32 vcc_lo, exec_lo, s14
	s_cbranch_vccz .LBB39_2249
; %bb.2245:
	s_cmp_gt_i32 s11, 14
	s_mov_b32 s14, -1
	s_cbranch_scc0 .LBB39_2247
; %bb.2246:
	s_cmp_eq_u32 s11, 15
	s_mov_b32 s14, 0
	s_cselect_b32 s12, -1, 0
	s_cmp_lg_u32 s11, 15
	s_cselect_b32 s13, -1, 0
.LBB39_2247:
	s_and_not1_b32 vcc_lo, exec_lo, s14
	s_cbranch_vccnz .LBB39_2249
; %bb.2248:
	s_cmp_lt_i32 s11, 12
	s_cselect_b32 s12, -1, 0
	s_cmp_gt_i32 s11, 11
	s_cselect_b32 s13, -1, 0
.LBB39_2249:
	s_delay_alu instid0(SALU_CYCLE_1)
	s_and_b32 vcc_lo, exec_lo, s13
	s_cbranch_vccnz .LBB39_2262
; %bb.2250:
	s_and_not1_b32 vcc_lo, exec_lo, s12
	s_cbranch_vccnz .LBB39_3216
.LBB39_2251:
	v_mov_b32_e32 v23, 0
	s_cmp_lt_i32 s9, 11
	s_wait_xcnt 0x0
	s_delay_alu instid0(VALU_DEP_1)
	v_add_nc_u64_e32 v[24:25], s[0:1], v[22:23]
	s_cbranch_scc1 .LBB39_2258
; %bb.2252:
	s_cmp_gt_i32 s9, 25
	s_mov_b32 s13, 0
	s_cbranch_scc0 .LBB39_2259
; %bb.2253:
	s_cmp_gt_i32 s9, 28
	s_cbranch_scc0 .LBB39_2260
; %bb.2254:
	s_cmp_gt_i32 s9, 43
	;; [unrolled: 3-line block ×3, first 2 shown]
	s_cbranch_scc0 .LBB39_2266
; %bb.2256:
	s_cmp_eq_u32 s9, 46
	s_mov_b32 s15, 0
	s_cbranch_scc0 .LBB39_2267
; %bb.2257:
	global_load_b32 v1, v[24:25], off
	s_mov_b32 s12, 0
	s_mov_b32 s14, -1
	s_wait_loadcnt 0x0
	v_lshlrev_b32_e32 v1, 16, v1
	s_delay_alu instid0(VALU_DEP_1)
	v_cvt_i32_f32_e32 v22, v1
	s_branch .LBB39_2269
.LBB39_2258:
	s_mov_b32 s12, -1
	s_mov_b32 s14, 0
                                        ; implicit-def: $vgpr22
	s_branch .LBB39_2331
.LBB39_2259:
	s_mov_b32 s15, -1
	s_mov_b32 s14, 0
	s_mov_b32 s12, 0
                                        ; implicit-def: $vgpr22
	s_branch .LBB39_2296
.LBB39_2260:
	s_mov_b32 s15, -1
	s_mov_b32 s14, 0
	s_mov_b32 s12, 0
                                        ; implicit-def: $vgpr22
	s_branch .LBB39_2279
.LBB39_2261:
	s_or_b32 s8, s8, exec_lo
	s_trap 2
	s_cbranch_execz .LBB39_2179
	s_branch .LBB39_2180
.LBB39_2262:
	s_or_b32 s8, s8, exec_lo
	s_trap 2
	s_cbranch_execz .LBB39_2251
	s_branch .LBB39_3216
.LBB39_2263:
	s_mov_b32 s15, -1
	s_mov_b32 s14, 0
	s_mov_b32 s12, 0
                                        ; implicit-def: $vgpr22
	s_branch .LBB39_2274
.LBB39_2264:
	s_and_not1_saveexec_b32 s56, s56
	s_cbranch_execz .LBB39_1153
.LBB39_2265:
	v_add_f32_e64 v5, 0x42800000, |v4|
	s_and_not1_b32 s55, s55, exec_lo
	s_delay_alu instid0(VALU_DEP_1) | instskip(NEXT) | instid1(VALU_DEP_1)
	v_and_b32_e32 v5, 0xff, v5
	v_cmp_ne_u32_e32 vcc_lo, 0, v5
	s_and_b32 s57, vcc_lo, exec_lo
	s_delay_alu instid0(SALU_CYCLE_1)
	s_or_b32 s55, s55, s57
	s_or_b32 exec_lo, exec_lo, s56
	v_mov_b32_e32 v6, 0
	s_and_saveexec_b32 s56, s55
	s_cbranch_execnz .LBB39_1154
	s_branch .LBB39_1155
.LBB39_2266:
	s_mov_b32 s15, -1
	s_mov_b32 s14, 0
	s_mov_b32 s12, 0
	s_branch .LBB39_2268
.LBB39_2267:
	s_mov_b32 s12, -1
	s_mov_b32 s14, 0
.LBB39_2268:
                                        ; implicit-def: $vgpr22
.LBB39_2269:
	s_and_b32 vcc_lo, exec_lo, s15
	s_cbranch_vccz .LBB39_2273
; %bb.2270:
	s_cmp_eq_u32 s9, 44
	s_cbranch_scc0 .LBB39_2272
; %bb.2271:
	global_load_u8 v1, v[24:25], off
	s_mov_b32 s12, 0
	s_mov_b32 s14, -1
	s_wait_loadcnt 0x0
	v_lshlrev_b32_e32 v3, 23, v1
	v_cmp_ne_u32_e32 vcc_lo, 0, v1
	s_delay_alu instid0(VALU_DEP_2) | instskip(NEXT) | instid1(VALU_DEP_1)
	v_cvt_i32_f32_e32 v3, v3
	v_cndmask_b32_e32 v22, 0, v3, vcc_lo
	s_branch .LBB39_2273
.LBB39_2272:
	s_mov_b32 s12, -1
                                        ; implicit-def: $vgpr22
.LBB39_2273:
	s_mov_b32 s15, 0
.LBB39_2274:
	s_delay_alu instid0(SALU_CYCLE_1)
	s_and_b32 vcc_lo, exec_lo, s15
	s_cbranch_vccz .LBB39_2278
; %bb.2275:
	s_cmp_eq_u32 s9, 29
	s_cbranch_scc0 .LBB39_2277
; %bb.2276:
	global_load_b64 v[22:23], v[24:25], off
	s_mov_b32 s12, 0
	s_mov_b32 s14, -1
	s_branch .LBB39_2278
.LBB39_2277:
	s_mov_b32 s12, -1
                                        ; implicit-def: $vgpr22
.LBB39_2278:
	s_mov_b32 s15, 0
.LBB39_2279:
	s_delay_alu instid0(SALU_CYCLE_1)
	s_and_b32 vcc_lo, exec_lo, s15
	s_cbranch_vccz .LBB39_2295
; %bb.2280:
	s_cmp_lt_i32 s9, 27
	s_cbranch_scc1 .LBB39_2283
; %bb.2281:
	s_cmp_gt_i32 s9, 27
	s_cbranch_scc0 .LBB39_2284
; %bb.2282:
	s_wait_loadcnt 0x0
	global_load_b32 v22, v[24:25], off
	s_mov_b32 s14, 0
	s_branch .LBB39_2285
.LBB39_2283:
	s_mov_b32 s14, -1
                                        ; implicit-def: $vgpr22
	s_branch .LBB39_2288
.LBB39_2284:
	s_mov_b32 s14, -1
                                        ; implicit-def: $vgpr22
.LBB39_2285:
	s_delay_alu instid0(SALU_CYCLE_1)
	s_and_not1_b32 vcc_lo, exec_lo, s14
	s_cbranch_vccnz .LBB39_2287
; %bb.2286:
	s_wait_loadcnt 0x0
	global_load_u16 v22, v[24:25], off
.LBB39_2287:
	s_mov_b32 s14, 0
.LBB39_2288:
	s_delay_alu instid0(SALU_CYCLE_1)
	s_and_not1_b32 vcc_lo, exec_lo, s14
	s_cbranch_vccnz .LBB39_2294
; %bb.2289:
	global_load_u8 v1, v[24:25], off
	s_mov_b32 s15, 0
	s_mov_b32 s14, exec_lo
	s_wait_loadcnt 0x0
	v_cmpx_lt_i16_e32 0x7f, v1
	s_xor_b32 s14, exec_lo, s14
	s_cbranch_execz .LBB39_2306
; %bb.2290:
	v_cmp_ne_u16_e32 vcc_lo, 0x80, v1
	s_and_b32 s15, vcc_lo, exec_lo
	s_and_not1_saveexec_b32 s14, s14
	s_cbranch_execnz .LBB39_2307
.LBB39_2291:
	s_or_b32 exec_lo, exec_lo, s14
	v_mov_b32_e32 v22, 0
	s_and_saveexec_b32 s14, s15
	s_cbranch_execz .LBB39_2293
.LBB39_2292:
	v_and_b32_e32 v3, 0xffff, v1
	s_delay_alu instid0(VALU_DEP_1) | instskip(SKIP_1) | instid1(VALU_DEP_2)
	v_dual_lshlrev_b32 v1, 24, v1 :: v_dual_bitop2_b32 v5, 7, v3 bitop3:0x40
	v_bfe_u32 v11, v3, 3, 4
	v_and_b32_e32 v1, 0x80000000, v1
	s_delay_alu instid0(VALU_DEP_3) | instskip(NEXT) | instid1(VALU_DEP_3)
	v_clz_i32_u32_e32 v7, v5
	v_cmp_eq_u32_e32 vcc_lo, 0, v11
	s_delay_alu instid0(VALU_DEP_2) | instskip(NEXT) | instid1(VALU_DEP_1)
	v_min_u32_e32 v7, 32, v7
	v_subrev_nc_u32_e32 v9, 28, v7
	v_sub_nc_u32_e32 v7, 29, v7
	s_delay_alu instid0(VALU_DEP_2) | instskip(NEXT) | instid1(VALU_DEP_2)
	v_lshlrev_b32_e32 v3, v9, v3
	v_cndmask_b32_e32 v7, v11, v7, vcc_lo
	s_delay_alu instid0(VALU_DEP_2) | instskip(NEXT) | instid1(VALU_DEP_1)
	v_and_b32_e32 v3, 7, v3
	v_cndmask_b32_e32 v3, v5, v3, vcc_lo
	s_delay_alu instid0(VALU_DEP_3) | instskip(NEXT) | instid1(VALU_DEP_2)
	v_lshl_add_u32 v5, v7, 23, 0x3b800000
	v_lshlrev_b32_e32 v3, 20, v3
	s_delay_alu instid0(VALU_DEP_1) | instskip(NEXT) | instid1(VALU_DEP_1)
	v_or3_b32 v1, v1, v5, v3
	v_cvt_i32_f32_e32 v22, v1
.LBB39_2293:
	s_or_b32 exec_lo, exec_lo, s14
.LBB39_2294:
	s_mov_b32 s14, -1
.LBB39_2295:
	s_mov_b32 s15, 0
.LBB39_2296:
	s_delay_alu instid0(SALU_CYCLE_1)
	s_and_b32 vcc_lo, exec_lo, s15
	s_cbranch_vccz .LBB39_2327
; %bb.2297:
	s_cmp_gt_i32 s9, 22
	s_cbranch_scc0 .LBB39_2305
; %bb.2298:
	s_cmp_lt_i32 s9, 24
	s_cbranch_scc1 .LBB39_2308
; %bb.2299:
	s_cmp_gt_i32 s9, 24
	s_cbranch_scc0 .LBB39_2309
; %bb.2300:
	global_load_u8 v1, v[24:25], off
	s_mov_b32 s14, 0
	s_mov_b32 s13, exec_lo
	s_wait_loadcnt 0x0
	v_cmpx_lt_i16_e32 0x7f, v1
	s_xor_b32 s13, exec_lo, s13
	s_cbranch_execz .LBB39_2321
; %bb.2301:
	v_cmp_ne_u16_e32 vcc_lo, 0x80, v1
	s_and_b32 s14, vcc_lo, exec_lo
	s_and_not1_saveexec_b32 s13, s13
	s_cbranch_execnz .LBB39_2322
.LBB39_2302:
	s_or_b32 exec_lo, exec_lo, s13
	v_mov_b32_e32 v22, 0
	s_and_saveexec_b32 s13, s14
	s_cbranch_execz .LBB39_2304
.LBB39_2303:
	v_and_b32_e32 v3, 0xffff, v1
	s_delay_alu instid0(VALU_DEP_1) | instskip(SKIP_1) | instid1(VALU_DEP_2)
	v_dual_lshlrev_b32 v1, 24, v1 :: v_dual_bitop2_b32 v5, 3, v3 bitop3:0x40
	v_bfe_u32 v11, v3, 2, 5
	v_and_b32_e32 v1, 0x80000000, v1
	s_delay_alu instid0(VALU_DEP_3) | instskip(NEXT) | instid1(VALU_DEP_3)
	v_clz_i32_u32_e32 v7, v5
	v_cmp_eq_u32_e32 vcc_lo, 0, v11
	s_delay_alu instid0(VALU_DEP_2) | instskip(NEXT) | instid1(VALU_DEP_1)
	v_min_u32_e32 v7, 32, v7
	v_subrev_nc_u32_e32 v9, 29, v7
	v_sub_nc_u32_e32 v7, 30, v7
	s_delay_alu instid0(VALU_DEP_2) | instskip(NEXT) | instid1(VALU_DEP_2)
	v_lshlrev_b32_e32 v3, v9, v3
	v_cndmask_b32_e32 v7, v11, v7, vcc_lo
	s_delay_alu instid0(VALU_DEP_2) | instskip(NEXT) | instid1(VALU_DEP_1)
	v_and_b32_e32 v3, 3, v3
	v_cndmask_b32_e32 v3, v5, v3, vcc_lo
	s_delay_alu instid0(VALU_DEP_3) | instskip(NEXT) | instid1(VALU_DEP_2)
	v_lshl_add_u32 v5, v7, 23, 0x37800000
	v_lshlrev_b32_e32 v3, 21, v3
	s_delay_alu instid0(VALU_DEP_1) | instskip(NEXT) | instid1(VALU_DEP_1)
	v_or3_b32 v1, v1, v5, v3
	v_cvt_i32_f32_e32 v22, v1
.LBB39_2304:
	s_or_b32 exec_lo, exec_lo, s13
	s_mov_b32 s13, 0
	s_branch .LBB39_2310
.LBB39_2305:
	s_mov_b32 s13, -1
                                        ; implicit-def: $vgpr22
	s_branch .LBB39_2316
.LBB39_2306:
	s_and_not1_saveexec_b32 s14, s14
	s_cbranch_execz .LBB39_2291
.LBB39_2307:
	v_cmp_ne_u16_e32 vcc_lo, 0, v1
	s_and_not1_b32 s15, s15, exec_lo
	s_and_b32 s16, vcc_lo, exec_lo
	s_delay_alu instid0(SALU_CYCLE_1)
	s_or_b32 s15, s15, s16
	s_or_b32 exec_lo, exec_lo, s14
	v_mov_b32_e32 v22, 0
	s_and_saveexec_b32 s14, s15
	s_cbranch_execnz .LBB39_2292
	s_branch .LBB39_2293
.LBB39_2308:
	s_mov_b32 s13, -1
                                        ; implicit-def: $vgpr22
	s_branch .LBB39_2313
.LBB39_2309:
	s_mov_b32 s13, -1
                                        ; implicit-def: $vgpr22
.LBB39_2310:
	s_delay_alu instid0(SALU_CYCLE_1)
	s_and_b32 vcc_lo, exec_lo, s13
	s_cbranch_vccz .LBB39_2312
; %bb.2311:
	global_load_u8 v1, v[24:25], off
	s_wait_loadcnt 0x0
	v_lshlrev_b32_e32 v1, 24, v1
	s_delay_alu instid0(VALU_DEP_1) | instskip(NEXT) | instid1(VALU_DEP_1)
	v_and_b32_e32 v3, 0x7f000000, v1
	v_clz_i32_u32_e32 v5, v3
	v_add_nc_u32_e32 v9, 0x1000000, v3
	v_cmp_ne_u32_e32 vcc_lo, 0, v3
	s_delay_alu instid0(VALU_DEP_3) | instskip(NEXT) | instid1(VALU_DEP_1)
	v_min_u32_e32 v5, 32, v5
	v_sub_nc_u32_e64 v5, v5, 4 clamp
	s_delay_alu instid0(VALU_DEP_1) | instskip(NEXT) | instid1(VALU_DEP_1)
	v_dual_lshlrev_b32 v7, v5, v3 :: v_dual_lshlrev_b32 v5, 23, v5
	v_lshrrev_b32_e32 v7, 4, v7
	s_delay_alu instid0(VALU_DEP_1) | instskip(SKIP_1) | instid1(VALU_DEP_2)
	v_sub_nc_u32_e32 v5, v7, v5
	v_ashrrev_i32_e32 v7, 8, v9
	v_add_nc_u32_e32 v5, 0x3c000000, v5
	s_delay_alu instid0(VALU_DEP_1) | instskip(NEXT) | instid1(VALU_DEP_1)
	v_and_or_b32 v5, 0x7f800000, v7, v5
	v_cndmask_b32_e32 v3, 0, v5, vcc_lo
	s_delay_alu instid0(VALU_DEP_1) | instskip(NEXT) | instid1(VALU_DEP_1)
	v_and_or_b32 v1, 0x80000000, v1, v3
	v_cvt_i32_f32_e32 v22, v1
.LBB39_2312:
	s_mov_b32 s13, 0
.LBB39_2313:
	s_delay_alu instid0(SALU_CYCLE_1)
	s_and_not1_b32 vcc_lo, exec_lo, s13
	s_cbranch_vccnz .LBB39_2315
; %bb.2314:
	global_load_u8 v1, v[24:25], off
	s_wait_loadcnt 0x0
	v_lshlrev_b32_e32 v3, 25, v1
	v_lshlrev_b16 v1, 8, v1
	s_delay_alu instid0(VALU_DEP_1) | instskip(SKIP_1) | instid1(VALU_DEP_2)
	v_and_or_b32 v7, 0x7f00, v1, 0.5
	v_bfe_i32 v1, v1, 0, 16
	v_add_f32_e32 v7, -0.5, v7
	v_lshrrev_b32_e32 v5, 4, v3
	v_cmp_gt_u32_e32 vcc_lo, 0x8000000, v3
	s_delay_alu instid0(VALU_DEP_2) | instskip(NEXT) | instid1(VALU_DEP_1)
	v_or_b32_e32 v5, 0x70000000, v5
	v_mul_f32_e32 v5, 0x7800000, v5
	s_delay_alu instid0(VALU_DEP_1) | instskip(NEXT) | instid1(VALU_DEP_1)
	v_cndmask_b32_e32 v3, v5, v7, vcc_lo
	v_and_or_b32 v1, 0x80000000, v1, v3
	s_delay_alu instid0(VALU_DEP_1)
	v_cvt_i32_f32_e32 v22, v1
.LBB39_2315:
	s_mov_b32 s13, 0
	s_mov_b32 s14, -1
.LBB39_2316:
	s_and_not1_b32 vcc_lo, exec_lo, s13
	s_mov_b32 s13, 0
	s_cbranch_vccnz .LBB39_2327
; %bb.2317:
	s_cmp_gt_i32 s9, 14
	s_cbranch_scc0 .LBB39_2320
; %bb.2318:
	s_cmp_eq_u32 s9, 15
	s_cbranch_scc0 .LBB39_2323
; %bb.2319:
	global_load_u16 v1, v[24:25], off
	s_mov_b32 s12, 0
	s_mov_b32 s14, -1
	s_wait_loadcnt 0x0
	v_lshlrev_b32_e32 v1, 16, v1
	s_delay_alu instid0(VALU_DEP_1)
	v_cvt_i32_f32_e32 v22, v1
	s_branch .LBB39_2325
.LBB39_2320:
	s_mov_b32 s13, -1
	s_branch .LBB39_2324
.LBB39_2321:
	s_and_not1_saveexec_b32 s13, s13
	s_cbranch_execz .LBB39_2302
.LBB39_2322:
	v_cmp_ne_u16_e32 vcc_lo, 0, v1
	s_and_not1_b32 s14, s14, exec_lo
	s_and_b32 s15, vcc_lo, exec_lo
	s_delay_alu instid0(SALU_CYCLE_1)
	s_or_b32 s14, s14, s15
	s_or_b32 exec_lo, exec_lo, s13
	v_mov_b32_e32 v22, 0
	s_and_saveexec_b32 s13, s14
	s_cbranch_execnz .LBB39_2303
	s_branch .LBB39_2304
.LBB39_2323:
	s_mov_b32 s12, -1
.LBB39_2324:
                                        ; implicit-def: $vgpr22
.LBB39_2325:
	s_and_b32 vcc_lo, exec_lo, s13
	s_mov_b32 s13, 0
	s_cbranch_vccz .LBB39_2327
; %bb.2326:
	s_cmp_lg_u32 s9, 11
	s_mov_b32 s13, -1
	s_cselect_b32 s12, -1, 0
.LBB39_2327:
	s_delay_alu instid0(SALU_CYCLE_1)
	s_and_b32 vcc_lo, exec_lo, s12
	s_cbranch_vccnz .LBB39_2392
; %bb.2328:
	s_and_not1_b32 vcc_lo, exec_lo, s13
	s_cbranch_vccnz .LBB39_2330
.LBB39_2329:
	global_load_u8 v1, v[24:25], off
	s_mov_b32 s14, -1
	s_wait_loadcnt 0x0
	v_cmp_ne_u16_e32 vcc_lo, 0, v1
	v_cndmask_b32_e64 v22, 0, 1, vcc_lo
.LBB39_2330:
	s_mov_b32 s12, 0
.LBB39_2331:
	s_delay_alu instid0(SALU_CYCLE_1)
	s_and_b32 vcc_lo, exec_lo, s12
	s_cbranch_vccz .LBB39_2380
; %bb.2332:
	s_cmp_lt_i32 s9, 5
	s_cbranch_scc1 .LBB39_2337
; %bb.2333:
	s_cmp_lt_i32 s9, 8
	s_cbranch_scc1 .LBB39_2338
	;; [unrolled: 3-line block ×3, first 2 shown]
; %bb.2335:
	s_cmp_gt_i32 s9, 9
	s_cbranch_scc0 .LBB39_2340
; %bb.2336:
	s_wait_loadcnt 0x0
	global_load_b64 v[22:23], v[24:25], off
	s_mov_b32 s12, 0
	s_wait_loadcnt 0x0
	v_cvt_i32_f64_e32 v22, v[22:23]
	s_branch .LBB39_2341
.LBB39_2337:
	s_mov_b32 s12, -1
                                        ; implicit-def: $vgpr22
	s_branch .LBB39_2359
.LBB39_2338:
	s_mov_b32 s12, -1
                                        ; implicit-def: $vgpr22
	s_branch .LBB39_2347
.LBB39_2339:
	s_mov_b32 s12, -1
                                        ; implicit-def: $vgpr22
	s_branch .LBB39_2344
.LBB39_2340:
	s_mov_b32 s12, -1
                                        ; implicit-def: $vgpr22
.LBB39_2341:
	s_delay_alu instid0(SALU_CYCLE_1)
	s_and_not1_b32 vcc_lo, exec_lo, s12
	s_cbranch_vccnz .LBB39_2343
; %bb.2342:
	global_load_b32 v1, v[24:25], off
	s_wait_loadcnt 0x0
	v_cvt_i32_f32_e32 v22, v1
.LBB39_2343:
	s_mov_b32 s12, 0
.LBB39_2344:
	s_delay_alu instid0(SALU_CYCLE_1)
	s_and_not1_b32 vcc_lo, exec_lo, s12
	s_cbranch_vccnz .LBB39_2346
; %bb.2345:
	global_load_b32 v1, v[24:25], off
	s_wait_loadcnt 0x0
	v_cvt_i16_f16_e32 v22, v1
.LBB39_2346:
	s_mov_b32 s12, 0
.LBB39_2347:
	s_delay_alu instid0(SALU_CYCLE_1)
	s_and_not1_b32 vcc_lo, exec_lo, s12
	s_cbranch_vccnz .LBB39_2358
; %bb.2348:
	s_cmp_lt_i32 s9, 6
	s_cbranch_scc1 .LBB39_2351
; %bb.2349:
	s_cmp_gt_i32 s9, 6
	s_cbranch_scc0 .LBB39_2352
; %bb.2350:
	s_wait_loadcnt 0x0
	global_load_b64 v[22:23], v[24:25], off
	s_mov_b32 s12, 0
	s_wait_loadcnt 0x0
	v_cvt_i32_f64_e32 v22, v[22:23]
	s_branch .LBB39_2353
.LBB39_2351:
	s_mov_b32 s12, -1
                                        ; implicit-def: $vgpr22
	s_branch .LBB39_2356
.LBB39_2352:
	s_mov_b32 s12, -1
                                        ; implicit-def: $vgpr22
.LBB39_2353:
	s_delay_alu instid0(SALU_CYCLE_1)
	s_and_not1_b32 vcc_lo, exec_lo, s12
	s_cbranch_vccnz .LBB39_2355
; %bb.2354:
	global_load_b32 v1, v[24:25], off
	s_wait_loadcnt 0x0
	v_cvt_i32_f32_e32 v22, v1
.LBB39_2355:
	s_mov_b32 s12, 0
.LBB39_2356:
	s_delay_alu instid0(SALU_CYCLE_1)
	s_and_not1_b32 vcc_lo, exec_lo, s12
	s_cbranch_vccnz .LBB39_2358
; %bb.2357:
	global_load_u16 v1, v[24:25], off
	s_wait_loadcnt 0x0
	v_cvt_i16_f16_e32 v22, v1
.LBB39_2358:
	s_mov_b32 s12, 0
.LBB39_2359:
	s_delay_alu instid0(SALU_CYCLE_1)
	s_and_not1_b32 vcc_lo, exec_lo, s12
	s_cbranch_vccnz .LBB39_2379
; %bb.2360:
	s_cmp_lt_i32 s9, 2
	s_cbranch_scc1 .LBB39_2364
; %bb.2361:
	s_cmp_lt_i32 s9, 3
	s_cbranch_scc1 .LBB39_2365
; %bb.2362:
	s_cmp_gt_i32 s9, 3
	s_cbranch_scc0 .LBB39_2366
; %bb.2363:
	s_wait_loadcnt 0x0
	global_load_b64 v[22:23], v[24:25], off
	s_mov_b32 s12, 0
	s_branch .LBB39_2367
.LBB39_2364:
	s_mov_b32 s12, -1
                                        ; implicit-def: $vgpr22
	s_branch .LBB39_2373
.LBB39_2365:
	s_mov_b32 s12, -1
                                        ; implicit-def: $vgpr22
	s_branch .LBB39_2370
.LBB39_2366:
	s_mov_b32 s12, -1
                                        ; implicit-def: $vgpr22
.LBB39_2367:
	s_delay_alu instid0(SALU_CYCLE_1)
	s_and_not1_b32 vcc_lo, exec_lo, s12
	s_cbranch_vccnz .LBB39_2369
; %bb.2368:
	s_wait_loadcnt 0x0
	global_load_b32 v22, v[24:25], off
.LBB39_2369:
	s_mov_b32 s12, 0
.LBB39_2370:
	s_delay_alu instid0(SALU_CYCLE_1)
	s_and_not1_b32 vcc_lo, exec_lo, s12
	s_cbranch_vccnz .LBB39_2372
; %bb.2371:
	s_wait_loadcnt 0x0
	global_load_u16 v22, v[24:25], off
.LBB39_2372:
	s_mov_b32 s12, 0
.LBB39_2373:
	s_delay_alu instid0(SALU_CYCLE_1)
	s_and_not1_b32 vcc_lo, exec_lo, s12
	s_cbranch_vccnz .LBB39_2379
; %bb.2374:
	s_cmp_gt_i32 s9, 0
	s_mov_b32 s12, 0
	s_cbranch_scc0 .LBB39_2376
; %bb.2375:
	s_wait_loadcnt 0x0
	global_load_u8 v22, v[24:25], off
	s_branch .LBB39_2377
.LBB39_2376:
	s_mov_b32 s12, -1
                                        ; implicit-def: $vgpr22
.LBB39_2377:
	s_delay_alu instid0(SALU_CYCLE_1)
	s_and_not1_b32 vcc_lo, exec_lo, s12
	s_cbranch_vccnz .LBB39_2379
; %bb.2378:
	s_wait_loadcnt 0x0
	global_load_u8 v22, v[24:25], off
.LBB39_2379:
	s_mov_b32 s14, -1
.LBB39_2380:
	s_delay_alu instid0(SALU_CYCLE_1)
	s_and_not1_b32 vcc_lo, exec_lo, s14
	s_cbranch_vccnz .LBB39_3216
; %bb.2381:
	v_mov_b32_e32 v21, 0
	s_cmp_lt_i32 s10, 11
	s_wait_xcnt 0x0
	s_delay_alu instid0(VALU_DEP_1)
	v_add_nc_u64_e32 v[24:25], s[4:5], v[20:21]
	s_cbranch_scc1 .LBB39_2388
; %bb.2382:
	s_cmp_gt_i32 s10, 25
	s_mov_b32 s13, 0
	s_cbranch_scc0 .LBB39_2389
; %bb.2383:
	s_cmp_gt_i32 s10, 28
	s_cbranch_scc0 .LBB39_2390
; %bb.2384:
	s_cmp_gt_i32 s10, 43
	;; [unrolled: 3-line block ×3, first 2 shown]
	s_cbranch_scc0 .LBB39_2393
; %bb.2386:
	s_cmp_eq_u32 s10, 46
	s_mov_b32 s15, 0
	s_cbranch_scc0 .LBB39_2394
; %bb.2387:
	global_load_b32 v1, v[24:25], off
	s_mov_b32 s12, 0
	s_mov_b32 s14, -1
	s_wait_loadcnt 0x0
	v_lshlrev_b32_e32 v1, 16, v1
	s_delay_alu instid0(VALU_DEP_1)
	v_cvt_i32_f32_e32 v20, v1
	s_branch .LBB39_2396
.LBB39_2388:
	s_mov_b32 s12, -1
	s_mov_b32 s14, 0
                                        ; implicit-def: $vgpr20
	s_branch .LBB39_2458
.LBB39_2389:
	s_mov_b32 s15, -1
	s_mov_b32 s14, 0
	s_mov_b32 s12, 0
                                        ; implicit-def: $vgpr20
	s_branch .LBB39_2423
.LBB39_2390:
	s_mov_b32 s15, -1
	s_mov_b32 s14, 0
	s_mov_b32 s12, 0
                                        ; implicit-def: $vgpr20
	s_branch .LBB39_2406
.LBB39_2391:
	s_mov_b32 s15, -1
	s_mov_b32 s14, 0
	s_mov_b32 s12, 0
                                        ; implicit-def: $vgpr20
	s_branch .LBB39_2401
.LBB39_2392:
	s_or_b32 s8, s8, exec_lo
	s_trap 2
	s_cbranch_execz .LBB39_2329
	s_branch .LBB39_2330
.LBB39_2393:
	s_mov_b32 s15, -1
	s_mov_b32 s14, 0
	s_mov_b32 s12, 0
	s_branch .LBB39_2395
.LBB39_2394:
	s_mov_b32 s12, -1
	s_mov_b32 s14, 0
.LBB39_2395:
                                        ; implicit-def: $vgpr20
.LBB39_2396:
	s_and_b32 vcc_lo, exec_lo, s15
	s_cbranch_vccz .LBB39_2400
; %bb.2397:
	s_cmp_eq_u32 s10, 44
	s_cbranch_scc0 .LBB39_2399
; %bb.2398:
	global_load_u8 v1, v[24:25], off
	s_mov_b32 s12, 0
	s_mov_b32 s14, -1
	s_wait_loadcnt 0x0
	v_lshlrev_b32_e32 v3, 23, v1
	v_cmp_ne_u32_e32 vcc_lo, 0, v1
	s_delay_alu instid0(VALU_DEP_2) | instskip(NEXT) | instid1(VALU_DEP_1)
	v_cvt_i32_f32_e32 v3, v3
	v_cndmask_b32_e32 v20, 0, v3, vcc_lo
	s_branch .LBB39_2400
.LBB39_2399:
	s_mov_b32 s12, -1
                                        ; implicit-def: $vgpr20
.LBB39_2400:
	s_mov_b32 s15, 0
.LBB39_2401:
	s_delay_alu instid0(SALU_CYCLE_1)
	s_and_b32 vcc_lo, exec_lo, s15
	s_cbranch_vccz .LBB39_2405
; %bb.2402:
	s_cmp_eq_u32 s10, 29
	s_cbranch_scc0 .LBB39_2404
; %bb.2403:
	global_load_b64 v[20:21], v[24:25], off
	s_mov_b32 s12, 0
	s_mov_b32 s14, -1
	s_branch .LBB39_2405
.LBB39_2404:
	s_mov_b32 s12, -1
                                        ; implicit-def: $vgpr20
.LBB39_2405:
	s_mov_b32 s15, 0
.LBB39_2406:
	s_delay_alu instid0(SALU_CYCLE_1)
	s_and_b32 vcc_lo, exec_lo, s15
	s_cbranch_vccz .LBB39_2422
; %bb.2407:
	s_cmp_lt_i32 s10, 27
	s_cbranch_scc1 .LBB39_2410
; %bb.2408:
	s_cmp_gt_i32 s10, 27
	s_cbranch_scc0 .LBB39_2411
; %bb.2409:
	s_wait_loadcnt 0x0
	global_load_b32 v20, v[24:25], off
	s_mov_b32 s14, 0
	s_branch .LBB39_2412
.LBB39_2410:
	s_mov_b32 s14, -1
                                        ; implicit-def: $vgpr20
	s_branch .LBB39_2415
.LBB39_2411:
	s_mov_b32 s14, -1
                                        ; implicit-def: $vgpr20
.LBB39_2412:
	s_delay_alu instid0(SALU_CYCLE_1)
	s_and_not1_b32 vcc_lo, exec_lo, s14
	s_cbranch_vccnz .LBB39_2414
; %bb.2413:
	s_wait_loadcnt 0x0
	global_load_u16 v20, v[24:25], off
.LBB39_2414:
	s_mov_b32 s14, 0
.LBB39_2415:
	s_delay_alu instid0(SALU_CYCLE_1)
	s_and_not1_b32 vcc_lo, exec_lo, s14
	s_cbranch_vccnz .LBB39_2421
; %bb.2416:
	global_load_u8 v1, v[24:25], off
	s_mov_b32 s15, 0
	s_mov_b32 s14, exec_lo
	s_wait_loadcnt 0x0
	v_cmpx_lt_i16_e32 0x7f, v1
	s_xor_b32 s14, exec_lo, s14
	s_cbranch_execz .LBB39_2433
; %bb.2417:
	v_cmp_ne_u16_e32 vcc_lo, 0x80, v1
	s_and_b32 s15, vcc_lo, exec_lo
	s_and_not1_saveexec_b32 s14, s14
	s_cbranch_execnz .LBB39_2434
.LBB39_2418:
	s_or_b32 exec_lo, exec_lo, s14
	v_mov_b32_e32 v20, 0
	s_and_saveexec_b32 s14, s15
	s_cbranch_execz .LBB39_2420
.LBB39_2419:
	v_and_b32_e32 v3, 0xffff, v1
	s_delay_alu instid0(VALU_DEP_1) | instskip(SKIP_1) | instid1(VALU_DEP_2)
	v_dual_lshlrev_b32 v1, 24, v1 :: v_dual_bitop2_b32 v5, 7, v3 bitop3:0x40
	v_bfe_u32 v11, v3, 3, 4
	v_and_b32_e32 v1, 0x80000000, v1
	s_delay_alu instid0(VALU_DEP_3) | instskip(NEXT) | instid1(VALU_DEP_3)
	v_clz_i32_u32_e32 v7, v5
	v_cmp_eq_u32_e32 vcc_lo, 0, v11
	s_delay_alu instid0(VALU_DEP_2) | instskip(NEXT) | instid1(VALU_DEP_1)
	v_min_u32_e32 v7, 32, v7
	v_subrev_nc_u32_e32 v9, 28, v7
	v_sub_nc_u32_e32 v7, 29, v7
	s_delay_alu instid0(VALU_DEP_2) | instskip(NEXT) | instid1(VALU_DEP_2)
	v_lshlrev_b32_e32 v3, v9, v3
	v_cndmask_b32_e32 v7, v11, v7, vcc_lo
	s_delay_alu instid0(VALU_DEP_2) | instskip(NEXT) | instid1(VALU_DEP_1)
	v_and_b32_e32 v3, 7, v3
	v_cndmask_b32_e32 v3, v5, v3, vcc_lo
	s_delay_alu instid0(VALU_DEP_3) | instskip(NEXT) | instid1(VALU_DEP_2)
	v_lshl_add_u32 v5, v7, 23, 0x3b800000
	v_lshlrev_b32_e32 v3, 20, v3
	s_delay_alu instid0(VALU_DEP_1) | instskip(NEXT) | instid1(VALU_DEP_1)
	v_or3_b32 v1, v1, v5, v3
	v_cvt_i32_f32_e32 v20, v1
.LBB39_2420:
	s_or_b32 exec_lo, exec_lo, s14
.LBB39_2421:
	s_mov_b32 s14, -1
.LBB39_2422:
	s_mov_b32 s15, 0
.LBB39_2423:
	s_delay_alu instid0(SALU_CYCLE_1)
	s_and_b32 vcc_lo, exec_lo, s15
	s_cbranch_vccz .LBB39_2454
; %bb.2424:
	s_cmp_gt_i32 s10, 22
	s_cbranch_scc0 .LBB39_2432
; %bb.2425:
	s_cmp_lt_i32 s10, 24
	s_cbranch_scc1 .LBB39_2435
; %bb.2426:
	s_cmp_gt_i32 s10, 24
	s_cbranch_scc0 .LBB39_2436
; %bb.2427:
	global_load_u8 v1, v[24:25], off
	s_mov_b32 s14, 0
	s_mov_b32 s13, exec_lo
	s_wait_loadcnt 0x0
	v_cmpx_lt_i16_e32 0x7f, v1
	s_xor_b32 s13, exec_lo, s13
	s_cbranch_execz .LBB39_2448
; %bb.2428:
	v_cmp_ne_u16_e32 vcc_lo, 0x80, v1
	s_and_b32 s14, vcc_lo, exec_lo
	s_and_not1_saveexec_b32 s13, s13
	s_cbranch_execnz .LBB39_2449
.LBB39_2429:
	s_or_b32 exec_lo, exec_lo, s13
	v_mov_b32_e32 v20, 0
	s_and_saveexec_b32 s13, s14
	s_cbranch_execz .LBB39_2431
.LBB39_2430:
	v_and_b32_e32 v3, 0xffff, v1
	s_delay_alu instid0(VALU_DEP_1) | instskip(SKIP_1) | instid1(VALU_DEP_2)
	v_dual_lshlrev_b32 v1, 24, v1 :: v_dual_bitop2_b32 v5, 3, v3 bitop3:0x40
	v_bfe_u32 v11, v3, 2, 5
	v_and_b32_e32 v1, 0x80000000, v1
	s_delay_alu instid0(VALU_DEP_3) | instskip(NEXT) | instid1(VALU_DEP_3)
	v_clz_i32_u32_e32 v7, v5
	v_cmp_eq_u32_e32 vcc_lo, 0, v11
	s_delay_alu instid0(VALU_DEP_2) | instskip(NEXT) | instid1(VALU_DEP_1)
	v_min_u32_e32 v7, 32, v7
	v_subrev_nc_u32_e32 v9, 29, v7
	v_sub_nc_u32_e32 v7, 30, v7
	s_delay_alu instid0(VALU_DEP_2) | instskip(NEXT) | instid1(VALU_DEP_2)
	v_lshlrev_b32_e32 v3, v9, v3
	v_cndmask_b32_e32 v7, v11, v7, vcc_lo
	s_delay_alu instid0(VALU_DEP_2) | instskip(NEXT) | instid1(VALU_DEP_1)
	v_and_b32_e32 v3, 3, v3
	v_cndmask_b32_e32 v3, v5, v3, vcc_lo
	s_delay_alu instid0(VALU_DEP_3) | instskip(NEXT) | instid1(VALU_DEP_2)
	v_lshl_add_u32 v5, v7, 23, 0x37800000
	v_lshlrev_b32_e32 v3, 21, v3
	s_delay_alu instid0(VALU_DEP_1) | instskip(NEXT) | instid1(VALU_DEP_1)
	v_or3_b32 v1, v1, v5, v3
	v_cvt_i32_f32_e32 v20, v1
.LBB39_2431:
	s_or_b32 exec_lo, exec_lo, s13
	s_mov_b32 s13, 0
	s_branch .LBB39_2437
.LBB39_2432:
	s_mov_b32 s13, -1
                                        ; implicit-def: $vgpr20
	s_branch .LBB39_2443
.LBB39_2433:
	s_and_not1_saveexec_b32 s14, s14
	s_cbranch_execz .LBB39_2418
.LBB39_2434:
	v_cmp_ne_u16_e32 vcc_lo, 0, v1
	s_and_not1_b32 s15, s15, exec_lo
	s_and_b32 s16, vcc_lo, exec_lo
	s_delay_alu instid0(SALU_CYCLE_1)
	s_or_b32 s15, s15, s16
	s_or_b32 exec_lo, exec_lo, s14
	v_mov_b32_e32 v20, 0
	s_and_saveexec_b32 s14, s15
	s_cbranch_execnz .LBB39_2419
	s_branch .LBB39_2420
.LBB39_2435:
	s_mov_b32 s13, -1
                                        ; implicit-def: $vgpr20
	s_branch .LBB39_2440
.LBB39_2436:
	s_mov_b32 s13, -1
                                        ; implicit-def: $vgpr20
.LBB39_2437:
	s_delay_alu instid0(SALU_CYCLE_1)
	s_and_b32 vcc_lo, exec_lo, s13
	s_cbranch_vccz .LBB39_2439
; %bb.2438:
	global_load_u8 v1, v[24:25], off
	s_wait_loadcnt 0x0
	v_lshlrev_b32_e32 v1, 24, v1
	s_delay_alu instid0(VALU_DEP_1) | instskip(NEXT) | instid1(VALU_DEP_1)
	v_and_b32_e32 v3, 0x7f000000, v1
	v_clz_i32_u32_e32 v5, v3
	v_add_nc_u32_e32 v9, 0x1000000, v3
	v_cmp_ne_u32_e32 vcc_lo, 0, v3
	s_delay_alu instid0(VALU_DEP_3) | instskip(NEXT) | instid1(VALU_DEP_1)
	v_min_u32_e32 v5, 32, v5
	v_sub_nc_u32_e64 v5, v5, 4 clamp
	s_delay_alu instid0(VALU_DEP_1) | instskip(NEXT) | instid1(VALU_DEP_1)
	v_dual_lshlrev_b32 v7, v5, v3 :: v_dual_lshlrev_b32 v5, 23, v5
	v_lshrrev_b32_e32 v7, 4, v7
	s_delay_alu instid0(VALU_DEP_1) | instskip(SKIP_1) | instid1(VALU_DEP_2)
	v_sub_nc_u32_e32 v5, v7, v5
	v_ashrrev_i32_e32 v7, 8, v9
	v_add_nc_u32_e32 v5, 0x3c000000, v5
	s_delay_alu instid0(VALU_DEP_1) | instskip(NEXT) | instid1(VALU_DEP_1)
	v_and_or_b32 v5, 0x7f800000, v7, v5
	v_cndmask_b32_e32 v3, 0, v5, vcc_lo
	s_delay_alu instid0(VALU_DEP_1) | instskip(NEXT) | instid1(VALU_DEP_1)
	v_and_or_b32 v1, 0x80000000, v1, v3
	v_cvt_i32_f32_e32 v20, v1
.LBB39_2439:
	s_mov_b32 s13, 0
.LBB39_2440:
	s_delay_alu instid0(SALU_CYCLE_1)
	s_and_not1_b32 vcc_lo, exec_lo, s13
	s_cbranch_vccnz .LBB39_2442
; %bb.2441:
	global_load_u8 v1, v[24:25], off
	s_wait_loadcnt 0x0
	v_lshlrev_b32_e32 v3, 25, v1
	v_lshlrev_b16 v1, 8, v1
	s_delay_alu instid0(VALU_DEP_1) | instskip(SKIP_1) | instid1(VALU_DEP_2)
	v_and_or_b32 v7, 0x7f00, v1, 0.5
	v_bfe_i32 v1, v1, 0, 16
	v_add_f32_e32 v7, -0.5, v7
	v_lshrrev_b32_e32 v5, 4, v3
	v_cmp_gt_u32_e32 vcc_lo, 0x8000000, v3
	s_delay_alu instid0(VALU_DEP_2) | instskip(NEXT) | instid1(VALU_DEP_1)
	v_or_b32_e32 v5, 0x70000000, v5
	v_mul_f32_e32 v5, 0x7800000, v5
	s_delay_alu instid0(VALU_DEP_1) | instskip(NEXT) | instid1(VALU_DEP_1)
	v_cndmask_b32_e32 v3, v5, v7, vcc_lo
	v_and_or_b32 v1, 0x80000000, v1, v3
	s_delay_alu instid0(VALU_DEP_1)
	v_cvt_i32_f32_e32 v20, v1
.LBB39_2442:
	s_mov_b32 s13, 0
	s_mov_b32 s14, -1
.LBB39_2443:
	s_and_not1_b32 vcc_lo, exec_lo, s13
	s_mov_b32 s13, 0
	s_cbranch_vccnz .LBB39_2454
; %bb.2444:
	s_cmp_gt_i32 s10, 14
	s_cbranch_scc0 .LBB39_2447
; %bb.2445:
	s_cmp_eq_u32 s10, 15
	s_cbranch_scc0 .LBB39_2450
; %bb.2446:
	global_load_u16 v1, v[24:25], off
	s_mov_b32 s12, 0
	s_mov_b32 s14, -1
	s_wait_loadcnt 0x0
	v_lshlrev_b32_e32 v1, 16, v1
	s_delay_alu instid0(VALU_DEP_1)
	v_cvt_i32_f32_e32 v20, v1
	s_branch .LBB39_2452
.LBB39_2447:
	s_mov_b32 s13, -1
	s_branch .LBB39_2451
.LBB39_2448:
	s_and_not1_saveexec_b32 s13, s13
	s_cbranch_execz .LBB39_2429
.LBB39_2449:
	v_cmp_ne_u16_e32 vcc_lo, 0, v1
	s_and_not1_b32 s14, s14, exec_lo
	s_and_b32 s15, vcc_lo, exec_lo
	s_delay_alu instid0(SALU_CYCLE_1)
	s_or_b32 s14, s14, s15
	s_or_b32 exec_lo, exec_lo, s13
	v_mov_b32_e32 v20, 0
	s_and_saveexec_b32 s13, s14
	s_cbranch_execnz .LBB39_2430
	s_branch .LBB39_2431
.LBB39_2450:
	s_mov_b32 s12, -1
.LBB39_2451:
                                        ; implicit-def: $vgpr20
.LBB39_2452:
	s_and_b32 vcc_lo, exec_lo, s13
	s_mov_b32 s13, 0
	s_cbranch_vccz .LBB39_2454
; %bb.2453:
	s_cmp_lg_u32 s10, 11
	s_mov_b32 s13, -1
	s_cselect_b32 s12, -1, 0
.LBB39_2454:
	s_delay_alu instid0(SALU_CYCLE_1)
	s_and_b32 vcc_lo, exec_lo, s12
	s_cbranch_vccnz .LBB39_2538
; %bb.2455:
	s_and_not1_b32 vcc_lo, exec_lo, s13
	s_cbranch_vccnz .LBB39_2457
.LBB39_2456:
	global_load_u8 v1, v[24:25], off
	s_mov_b32 s14, -1
	s_wait_loadcnt 0x0
	v_cmp_ne_u16_e32 vcc_lo, 0, v1
	v_cndmask_b32_e64 v20, 0, 1, vcc_lo
.LBB39_2457:
	s_mov_b32 s12, 0
.LBB39_2458:
	s_delay_alu instid0(SALU_CYCLE_1)
	s_and_b32 vcc_lo, exec_lo, s12
	s_cbranch_vccz .LBB39_2507
; %bb.2459:
	s_cmp_lt_i32 s10, 5
	s_cbranch_scc1 .LBB39_2464
; %bb.2460:
	s_cmp_lt_i32 s10, 8
	s_cbranch_scc1 .LBB39_2465
	;; [unrolled: 3-line block ×3, first 2 shown]
; %bb.2462:
	s_cmp_gt_i32 s10, 9
	s_cbranch_scc0 .LBB39_2467
; %bb.2463:
	s_wait_loadcnt 0x0
	global_load_b64 v[20:21], v[24:25], off
	s_mov_b32 s12, 0
	s_wait_loadcnt 0x0
	v_cvt_i32_f64_e32 v20, v[20:21]
	s_branch .LBB39_2468
.LBB39_2464:
	s_mov_b32 s12, -1
                                        ; implicit-def: $vgpr20
	s_branch .LBB39_2486
.LBB39_2465:
	s_mov_b32 s12, -1
                                        ; implicit-def: $vgpr20
	s_branch .LBB39_2474
.LBB39_2466:
	s_mov_b32 s12, -1
                                        ; implicit-def: $vgpr20
	s_branch .LBB39_2471
.LBB39_2467:
	s_mov_b32 s12, -1
                                        ; implicit-def: $vgpr20
.LBB39_2468:
	s_delay_alu instid0(SALU_CYCLE_1)
	s_and_not1_b32 vcc_lo, exec_lo, s12
	s_cbranch_vccnz .LBB39_2470
; %bb.2469:
	global_load_b32 v1, v[24:25], off
	s_wait_loadcnt 0x0
	v_cvt_i32_f32_e32 v20, v1
.LBB39_2470:
	s_mov_b32 s12, 0
.LBB39_2471:
	s_delay_alu instid0(SALU_CYCLE_1)
	s_and_not1_b32 vcc_lo, exec_lo, s12
	s_cbranch_vccnz .LBB39_2473
; %bb.2472:
	global_load_b32 v1, v[24:25], off
	s_wait_loadcnt 0x0
	v_cvt_i16_f16_e32 v20, v1
.LBB39_2473:
	s_mov_b32 s12, 0
.LBB39_2474:
	s_delay_alu instid0(SALU_CYCLE_1)
	s_and_not1_b32 vcc_lo, exec_lo, s12
	s_cbranch_vccnz .LBB39_2485
; %bb.2475:
	s_cmp_lt_i32 s10, 6
	s_cbranch_scc1 .LBB39_2478
; %bb.2476:
	s_cmp_gt_i32 s10, 6
	s_cbranch_scc0 .LBB39_2479
; %bb.2477:
	s_wait_loadcnt 0x0
	global_load_b64 v[20:21], v[24:25], off
	s_mov_b32 s12, 0
	s_wait_loadcnt 0x0
	v_cvt_i32_f64_e32 v20, v[20:21]
	s_branch .LBB39_2480
.LBB39_2478:
	s_mov_b32 s12, -1
                                        ; implicit-def: $vgpr20
	s_branch .LBB39_2483
.LBB39_2479:
	s_mov_b32 s12, -1
                                        ; implicit-def: $vgpr20
.LBB39_2480:
	s_delay_alu instid0(SALU_CYCLE_1)
	s_and_not1_b32 vcc_lo, exec_lo, s12
	s_cbranch_vccnz .LBB39_2482
; %bb.2481:
	global_load_b32 v1, v[24:25], off
	s_wait_loadcnt 0x0
	v_cvt_i32_f32_e32 v20, v1
.LBB39_2482:
	s_mov_b32 s12, 0
.LBB39_2483:
	s_delay_alu instid0(SALU_CYCLE_1)
	s_and_not1_b32 vcc_lo, exec_lo, s12
	s_cbranch_vccnz .LBB39_2485
; %bb.2484:
	global_load_u16 v1, v[24:25], off
	s_wait_loadcnt 0x0
	v_cvt_i16_f16_e32 v20, v1
.LBB39_2485:
	s_mov_b32 s12, 0
.LBB39_2486:
	s_delay_alu instid0(SALU_CYCLE_1)
	s_and_not1_b32 vcc_lo, exec_lo, s12
	s_cbranch_vccnz .LBB39_2506
; %bb.2487:
	s_cmp_lt_i32 s10, 2
	s_cbranch_scc1 .LBB39_2491
; %bb.2488:
	s_cmp_lt_i32 s10, 3
	s_cbranch_scc1 .LBB39_2492
; %bb.2489:
	s_cmp_gt_i32 s10, 3
	s_cbranch_scc0 .LBB39_2493
; %bb.2490:
	s_wait_loadcnt 0x0
	global_load_b64 v[20:21], v[24:25], off
	s_mov_b32 s12, 0
	s_branch .LBB39_2494
.LBB39_2491:
	s_mov_b32 s12, -1
                                        ; implicit-def: $vgpr20
	s_branch .LBB39_2500
.LBB39_2492:
	s_mov_b32 s12, -1
                                        ; implicit-def: $vgpr20
	s_branch .LBB39_2497
.LBB39_2493:
	s_mov_b32 s12, -1
                                        ; implicit-def: $vgpr20
.LBB39_2494:
	s_delay_alu instid0(SALU_CYCLE_1)
	s_and_not1_b32 vcc_lo, exec_lo, s12
	s_cbranch_vccnz .LBB39_2496
; %bb.2495:
	s_wait_loadcnt 0x0
	global_load_b32 v20, v[24:25], off
.LBB39_2496:
	s_mov_b32 s12, 0
.LBB39_2497:
	s_delay_alu instid0(SALU_CYCLE_1)
	s_and_not1_b32 vcc_lo, exec_lo, s12
	s_cbranch_vccnz .LBB39_2499
; %bb.2498:
	s_wait_loadcnt 0x0
	global_load_u16 v20, v[24:25], off
.LBB39_2499:
	s_mov_b32 s12, 0
.LBB39_2500:
	s_delay_alu instid0(SALU_CYCLE_1)
	s_and_not1_b32 vcc_lo, exec_lo, s12
	s_cbranch_vccnz .LBB39_2506
; %bb.2501:
	s_cmp_gt_i32 s10, 0
	s_mov_b32 s12, 0
	s_cbranch_scc0 .LBB39_2503
; %bb.2502:
	s_wait_loadcnt 0x0
	global_load_u8 v20, v[24:25], off
	s_branch .LBB39_2504
.LBB39_2503:
	s_mov_b32 s12, -1
                                        ; implicit-def: $vgpr20
.LBB39_2504:
	s_delay_alu instid0(SALU_CYCLE_1)
	s_and_not1_b32 vcc_lo, exec_lo, s12
	s_cbranch_vccnz .LBB39_2506
; %bb.2505:
	s_wait_loadcnt 0x0
	global_load_u8 v20, v[24:25], off
.LBB39_2506:
	s_mov_b32 s14, -1
.LBB39_2507:
	s_delay_alu instid0(SALU_CYCLE_1)
	s_and_not1_b32 vcc_lo, exec_lo, s14
	s_cbranch_vccnz .LBB39_3216
; %bb.2508:
	s_cmp_lt_i32 s11, 23
	s_cbranch_scc1 .LBB39_2512
; %bb.2509:
	s_cmp_gt_i32 s11, 43
	s_cbranch_scc0 .LBB39_2513
; %bb.2510:
	s_cmp_gt_i32 s11, 45
	s_cbranch_scc0 .LBB39_2514
; %bb.2511:
	s_cmp_lg_u32 s11, 46
	s_mov_b32 s14, 0
	s_mov_b32 s12, -1
	s_cselect_b32 s13, -1, 0
	s_branch .LBB39_2515
.LBB39_2512:
	s_mov_b32 s14, -1
	s_mov_b32 s12, 0
	s_mov_b32 s13, 0
	s_branch .LBB39_2521
.LBB39_2513:
	s_mov_b32 s14, -1
	s_mov_b32 s12, 0
	s_mov_b32 s13, 0
	s_branch .LBB39_2518
.LBB39_2514:
	s_mov_b32 s14, -1
	s_mov_b32 s12, 0
	s_mov_b32 s13, 0
.LBB39_2515:
	s_and_not1_b32 vcc_lo, exec_lo, s14
	s_cbranch_vccnz .LBB39_2517
; %bb.2516:
	s_cmp_eq_u32 s11, 44
	s_cselect_b32 s12, -1, 0
	s_cmp_lg_u32 s11, 44
	s_cselect_b32 s13, -1, 0
.LBB39_2517:
	s_mov_b32 s14, 0
.LBB39_2518:
	s_delay_alu instid0(SALU_CYCLE_1)
	s_and_b32 vcc_lo, exec_lo, s14
	s_cbranch_vccz .LBB39_2520
; %bb.2519:
	s_cmp_lt_i32 s11, 30
	s_cselect_b32 s12, -1, 0
	s_cmp_gt_i32 s11, 29
	s_cselect_b32 s13, -1, 0
.LBB39_2520:
	s_mov_b32 s14, 0
.LBB39_2521:
	s_delay_alu instid0(SALU_CYCLE_1)
	s_and_b32 vcc_lo, exec_lo, s14
	s_cbranch_vccz .LBB39_2526
; %bb.2522:
	s_cmp_gt_i32 s11, 14
	s_mov_b32 s14, -1
	s_cbranch_scc0 .LBB39_2524
; %bb.2523:
	s_cmp_eq_u32 s11, 15
	s_mov_b32 s14, 0
	s_cselect_b32 s12, -1, 0
	s_cmp_lg_u32 s11, 15
	s_cselect_b32 s13, -1, 0
.LBB39_2524:
	s_and_not1_b32 vcc_lo, exec_lo, s14
	s_cbranch_vccnz .LBB39_2526
; %bb.2525:
	s_cmp_lt_i32 s11, 12
	s_cselect_b32 s12, -1, 0
	s_cmp_gt_i32 s11, 11
	s_cselect_b32 s13, -1, 0
.LBB39_2526:
	s_delay_alu instid0(SALU_CYCLE_1)
	s_and_b32 vcc_lo, exec_lo, s13
	s_cbranch_vccnz .LBB39_2539
; %bb.2527:
	s_and_not1_b32 vcc_lo, exec_lo, s12
	s_cbranch_vccnz .LBB39_3216
.LBB39_2528:
	v_mov_b32_e32 v17, 0
	s_cmp_lt_i32 s9, 11
	s_wait_xcnt 0x0
	s_delay_alu instid0(VALU_DEP_1)
	v_add_nc_u64_e32 v[24:25], s[0:1], v[16:17]
	s_cbranch_scc1 .LBB39_2535
; %bb.2529:
	s_cmp_gt_i32 s9, 25
	s_mov_b32 s1, 0
	s_cbranch_scc0 .LBB39_2536
; %bb.2530:
	s_cmp_gt_i32 s9, 28
	s_cbranch_scc0 .LBB39_2537
; %bb.2531:
	s_cmp_gt_i32 s9, 43
	;; [unrolled: 3-line block ×3, first 2 shown]
	s_cbranch_scc0 .LBB39_2541
; %bb.2533:
	s_cmp_eq_u32 s9, 46
	s_mov_b32 s12, 0
	s_cbranch_scc0 .LBB39_2542
; %bb.2534:
	global_load_b32 v1, v[24:25], off
	s_mov_b32 s0, 0
	s_mov_b32 s11, -1
	s_wait_loadcnt 0x0
	v_lshlrev_b32_e32 v1, 16, v1
	s_delay_alu instid0(VALU_DEP_1)
	v_cvt_i32_f32_e32 v16, v1
	s_branch .LBB39_2544
.LBB39_2535:
	s_mov_b32 s0, -1
	s_mov_b32 s11, 0
                                        ; implicit-def: $vgpr16
	s_branch .LBB39_2606
.LBB39_2536:
	s_mov_b32 s12, -1
	s_mov_b32 s11, 0
	s_mov_b32 s0, 0
                                        ; implicit-def: $vgpr16
	s_branch .LBB39_2571
.LBB39_2537:
	s_mov_b32 s12, -1
	s_mov_b32 s11, 0
	s_mov_b32 s0, 0
                                        ; implicit-def: $vgpr16
	s_branch .LBB39_2554
.LBB39_2538:
	s_or_b32 s8, s8, exec_lo
	s_trap 2
	s_cbranch_execz .LBB39_2456
	s_branch .LBB39_2457
.LBB39_2539:
	s_or_b32 s8, s8, exec_lo
	s_trap 2
	s_cbranch_execz .LBB39_2528
	s_branch .LBB39_3216
.LBB39_2540:
	s_mov_b32 s12, -1
	s_mov_b32 s11, 0
	s_mov_b32 s0, 0
                                        ; implicit-def: $vgpr16
	s_branch .LBB39_2549
.LBB39_2541:
	s_mov_b32 s12, -1
	s_mov_b32 s11, 0
	s_mov_b32 s0, 0
	s_branch .LBB39_2543
.LBB39_2542:
	s_mov_b32 s0, -1
	s_mov_b32 s11, 0
.LBB39_2543:
                                        ; implicit-def: $vgpr16
.LBB39_2544:
	s_and_b32 vcc_lo, exec_lo, s12
	s_cbranch_vccz .LBB39_2548
; %bb.2545:
	s_cmp_eq_u32 s9, 44
	s_cbranch_scc0 .LBB39_2547
; %bb.2546:
	global_load_u8 v1, v[24:25], off
	s_mov_b32 s0, 0
	s_mov_b32 s11, -1
	s_wait_loadcnt 0x0
	v_lshlrev_b32_e32 v3, 23, v1
	v_cmp_ne_u32_e32 vcc_lo, 0, v1
	s_delay_alu instid0(VALU_DEP_2) | instskip(NEXT) | instid1(VALU_DEP_1)
	v_cvt_i32_f32_e32 v3, v3
	v_cndmask_b32_e32 v16, 0, v3, vcc_lo
	s_branch .LBB39_2548
.LBB39_2547:
	s_mov_b32 s0, -1
                                        ; implicit-def: $vgpr16
.LBB39_2548:
	s_mov_b32 s12, 0
.LBB39_2549:
	s_delay_alu instid0(SALU_CYCLE_1)
	s_and_b32 vcc_lo, exec_lo, s12
	s_cbranch_vccz .LBB39_2553
; %bb.2550:
	s_cmp_eq_u32 s9, 29
	s_cbranch_scc0 .LBB39_2552
; %bb.2551:
	global_load_b64 v[16:17], v[24:25], off
	s_mov_b32 s0, 0
	s_mov_b32 s11, -1
	s_branch .LBB39_2553
.LBB39_2552:
	s_mov_b32 s0, -1
                                        ; implicit-def: $vgpr16
.LBB39_2553:
	s_mov_b32 s12, 0
.LBB39_2554:
	s_delay_alu instid0(SALU_CYCLE_1)
	s_and_b32 vcc_lo, exec_lo, s12
	s_cbranch_vccz .LBB39_2570
; %bb.2555:
	s_cmp_lt_i32 s9, 27
	s_cbranch_scc1 .LBB39_2558
; %bb.2556:
	s_cmp_gt_i32 s9, 27
	s_cbranch_scc0 .LBB39_2559
; %bb.2557:
	s_wait_loadcnt 0x0
	global_load_b32 v16, v[24:25], off
	s_mov_b32 s11, 0
	s_branch .LBB39_2560
.LBB39_2558:
	s_mov_b32 s11, -1
                                        ; implicit-def: $vgpr16
	s_branch .LBB39_2563
.LBB39_2559:
	s_mov_b32 s11, -1
                                        ; implicit-def: $vgpr16
.LBB39_2560:
	s_delay_alu instid0(SALU_CYCLE_1)
	s_and_not1_b32 vcc_lo, exec_lo, s11
	s_cbranch_vccnz .LBB39_2562
; %bb.2561:
	s_wait_loadcnt 0x0
	global_load_u16 v16, v[24:25], off
.LBB39_2562:
	s_mov_b32 s11, 0
.LBB39_2563:
	s_delay_alu instid0(SALU_CYCLE_1)
	s_and_not1_b32 vcc_lo, exec_lo, s11
	s_cbranch_vccnz .LBB39_2569
; %bb.2564:
	global_load_u8 v1, v[24:25], off
	s_mov_b32 s12, 0
	s_mov_b32 s11, exec_lo
	s_wait_loadcnt 0x0
	v_cmpx_lt_i16_e32 0x7f, v1
	s_xor_b32 s11, exec_lo, s11
	s_cbranch_execz .LBB39_2581
; %bb.2565:
	v_cmp_ne_u16_e32 vcc_lo, 0x80, v1
	s_and_b32 s12, vcc_lo, exec_lo
	s_and_not1_saveexec_b32 s11, s11
	s_cbranch_execnz .LBB39_2582
.LBB39_2566:
	s_or_b32 exec_lo, exec_lo, s11
	v_mov_b32_e32 v16, 0
	s_and_saveexec_b32 s11, s12
	s_cbranch_execz .LBB39_2568
.LBB39_2567:
	v_and_b32_e32 v3, 0xffff, v1
	s_delay_alu instid0(VALU_DEP_1) | instskip(SKIP_1) | instid1(VALU_DEP_2)
	v_dual_lshlrev_b32 v1, 24, v1 :: v_dual_bitop2_b32 v5, 7, v3 bitop3:0x40
	v_bfe_u32 v11, v3, 3, 4
	v_and_b32_e32 v1, 0x80000000, v1
	s_delay_alu instid0(VALU_DEP_3) | instskip(NEXT) | instid1(VALU_DEP_3)
	v_clz_i32_u32_e32 v7, v5
	v_cmp_eq_u32_e32 vcc_lo, 0, v11
	s_delay_alu instid0(VALU_DEP_2) | instskip(NEXT) | instid1(VALU_DEP_1)
	v_min_u32_e32 v7, 32, v7
	v_subrev_nc_u32_e32 v9, 28, v7
	v_sub_nc_u32_e32 v7, 29, v7
	s_delay_alu instid0(VALU_DEP_2) | instskip(NEXT) | instid1(VALU_DEP_2)
	v_lshlrev_b32_e32 v3, v9, v3
	v_cndmask_b32_e32 v7, v11, v7, vcc_lo
	s_delay_alu instid0(VALU_DEP_2) | instskip(NEXT) | instid1(VALU_DEP_1)
	v_and_b32_e32 v3, 7, v3
	v_cndmask_b32_e32 v3, v5, v3, vcc_lo
	s_delay_alu instid0(VALU_DEP_3) | instskip(NEXT) | instid1(VALU_DEP_2)
	v_lshl_add_u32 v5, v7, 23, 0x3b800000
	v_lshlrev_b32_e32 v3, 20, v3
	s_delay_alu instid0(VALU_DEP_1) | instskip(NEXT) | instid1(VALU_DEP_1)
	v_or3_b32 v1, v1, v5, v3
	v_cvt_i32_f32_e32 v16, v1
.LBB39_2568:
	s_or_b32 exec_lo, exec_lo, s11
.LBB39_2569:
	s_mov_b32 s11, -1
.LBB39_2570:
	s_mov_b32 s12, 0
.LBB39_2571:
	s_delay_alu instid0(SALU_CYCLE_1)
	s_and_b32 vcc_lo, exec_lo, s12
	s_cbranch_vccz .LBB39_2602
; %bb.2572:
	s_cmp_gt_i32 s9, 22
	s_cbranch_scc0 .LBB39_2580
; %bb.2573:
	s_cmp_lt_i32 s9, 24
	s_cbranch_scc1 .LBB39_2583
; %bb.2574:
	s_cmp_gt_i32 s9, 24
	s_cbranch_scc0 .LBB39_2584
; %bb.2575:
	global_load_u8 v1, v[24:25], off
	s_mov_b32 s11, 0
	s_mov_b32 s1, exec_lo
	s_wait_loadcnt 0x0
	v_cmpx_lt_i16_e32 0x7f, v1
	s_xor_b32 s1, exec_lo, s1
	s_cbranch_execz .LBB39_2596
; %bb.2576:
	v_cmp_ne_u16_e32 vcc_lo, 0x80, v1
	s_and_b32 s11, vcc_lo, exec_lo
	s_and_not1_saveexec_b32 s1, s1
	s_cbranch_execnz .LBB39_2597
.LBB39_2577:
	s_or_b32 exec_lo, exec_lo, s1
	v_mov_b32_e32 v16, 0
	s_and_saveexec_b32 s1, s11
	s_cbranch_execz .LBB39_2579
.LBB39_2578:
	v_and_b32_e32 v3, 0xffff, v1
	s_delay_alu instid0(VALU_DEP_1) | instskip(SKIP_1) | instid1(VALU_DEP_2)
	v_dual_lshlrev_b32 v1, 24, v1 :: v_dual_bitop2_b32 v5, 3, v3 bitop3:0x40
	v_bfe_u32 v11, v3, 2, 5
	v_and_b32_e32 v1, 0x80000000, v1
	s_delay_alu instid0(VALU_DEP_3) | instskip(NEXT) | instid1(VALU_DEP_3)
	v_clz_i32_u32_e32 v7, v5
	v_cmp_eq_u32_e32 vcc_lo, 0, v11
	s_delay_alu instid0(VALU_DEP_2) | instskip(NEXT) | instid1(VALU_DEP_1)
	v_min_u32_e32 v7, 32, v7
	v_subrev_nc_u32_e32 v9, 29, v7
	v_sub_nc_u32_e32 v7, 30, v7
	s_delay_alu instid0(VALU_DEP_2) | instskip(NEXT) | instid1(VALU_DEP_2)
	v_lshlrev_b32_e32 v3, v9, v3
	v_cndmask_b32_e32 v7, v11, v7, vcc_lo
	s_delay_alu instid0(VALU_DEP_2) | instskip(NEXT) | instid1(VALU_DEP_1)
	v_and_b32_e32 v3, 3, v3
	v_cndmask_b32_e32 v3, v5, v3, vcc_lo
	s_delay_alu instid0(VALU_DEP_3) | instskip(NEXT) | instid1(VALU_DEP_2)
	v_lshl_add_u32 v5, v7, 23, 0x37800000
	v_lshlrev_b32_e32 v3, 21, v3
	s_delay_alu instid0(VALU_DEP_1) | instskip(NEXT) | instid1(VALU_DEP_1)
	v_or3_b32 v1, v1, v5, v3
	v_cvt_i32_f32_e32 v16, v1
.LBB39_2579:
	s_or_b32 exec_lo, exec_lo, s1
	s_mov_b32 s1, 0
	s_branch .LBB39_2585
.LBB39_2580:
	s_mov_b32 s1, -1
                                        ; implicit-def: $vgpr16
	s_branch .LBB39_2591
.LBB39_2581:
	s_and_not1_saveexec_b32 s11, s11
	s_cbranch_execz .LBB39_2566
.LBB39_2582:
	v_cmp_ne_u16_e32 vcc_lo, 0, v1
	s_and_not1_b32 s12, s12, exec_lo
	s_and_b32 s13, vcc_lo, exec_lo
	s_delay_alu instid0(SALU_CYCLE_1)
	s_or_b32 s12, s12, s13
	s_or_b32 exec_lo, exec_lo, s11
	v_mov_b32_e32 v16, 0
	s_and_saveexec_b32 s11, s12
	s_cbranch_execnz .LBB39_2567
	s_branch .LBB39_2568
.LBB39_2583:
	s_mov_b32 s1, -1
                                        ; implicit-def: $vgpr16
	s_branch .LBB39_2588
.LBB39_2584:
	s_mov_b32 s1, -1
                                        ; implicit-def: $vgpr16
.LBB39_2585:
	s_delay_alu instid0(SALU_CYCLE_1)
	s_and_b32 vcc_lo, exec_lo, s1
	s_cbranch_vccz .LBB39_2587
; %bb.2586:
	global_load_u8 v1, v[24:25], off
	s_wait_loadcnt 0x0
	v_lshlrev_b32_e32 v1, 24, v1
	s_delay_alu instid0(VALU_DEP_1) | instskip(NEXT) | instid1(VALU_DEP_1)
	v_and_b32_e32 v3, 0x7f000000, v1
	v_clz_i32_u32_e32 v5, v3
	v_add_nc_u32_e32 v9, 0x1000000, v3
	v_cmp_ne_u32_e32 vcc_lo, 0, v3
	s_delay_alu instid0(VALU_DEP_3) | instskip(NEXT) | instid1(VALU_DEP_1)
	v_min_u32_e32 v5, 32, v5
	v_sub_nc_u32_e64 v5, v5, 4 clamp
	s_delay_alu instid0(VALU_DEP_1) | instskip(NEXT) | instid1(VALU_DEP_1)
	v_dual_lshlrev_b32 v7, v5, v3 :: v_dual_lshlrev_b32 v5, 23, v5
	v_lshrrev_b32_e32 v7, 4, v7
	s_delay_alu instid0(VALU_DEP_1) | instskip(SKIP_1) | instid1(VALU_DEP_2)
	v_sub_nc_u32_e32 v5, v7, v5
	v_ashrrev_i32_e32 v7, 8, v9
	v_add_nc_u32_e32 v5, 0x3c000000, v5
	s_delay_alu instid0(VALU_DEP_1) | instskip(NEXT) | instid1(VALU_DEP_1)
	v_and_or_b32 v5, 0x7f800000, v7, v5
	v_cndmask_b32_e32 v3, 0, v5, vcc_lo
	s_delay_alu instid0(VALU_DEP_1) | instskip(NEXT) | instid1(VALU_DEP_1)
	v_and_or_b32 v1, 0x80000000, v1, v3
	v_cvt_i32_f32_e32 v16, v1
.LBB39_2587:
	s_mov_b32 s1, 0
.LBB39_2588:
	s_delay_alu instid0(SALU_CYCLE_1)
	s_and_not1_b32 vcc_lo, exec_lo, s1
	s_cbranch_vccnz .LBB39_2590
; %bb.2589:
	global_load_u8 v1, v[24:25], off
	s_wait_loadcnt 0x0
	v_lshlrev_b32_e32 v3, 25, v1
	v_lshlrev_b16 v1, 8, v1
	s_delay_alu instid0(VALU_DEP_1) | instskip(SKIP_1) | instid1(VALU_DEP_2)
	v_and_or_b32 v7, 0x7f00, v1, 0.5
	v_bfe_i32 v1, v1, 0, 16
	v_add_f32_e32 v7, -0.5, v7
	v_lshrrev_b32_e32 v5, 4, v3
	v_cmp_gt_u32_e32 vcc_lo, 0x8000000, v3
	s_delay_alu instid0(VALU_DEP_2) | instskip(NEXT) | instid1(VALU_DEP_1)
	v_or_b32_e32 v5, 0x70000000, v5
	v_mul_f32_e32 v5, 0x7800000, v5
	s_delay_alu instid0(VALU_DEP_1) | instskip(NEXT) | instid1(VALU_DEP_1)
	v_cndmask_b32_e32 v3, v5, v7, vcc_lo
	v_and_or_b32 v1, 0x80000000, v1, v3
	s_delay_alu instid0(VALU_DEP_1)
	v_cvt_i32_f32_e32 v16, v1
.LBB39_2590:
	s_mov_b32 s1, 0
	s_mov_b32 s11, -1
.LBB39_2591:
	s_and_not1_b32 vcc_lo, exec_lo, s1
	s_mov_b32 s1, 0
	s_cbranch_vccnz .LBB39_2602
; %bb.2592:
	s_cmp_gt_i32 s9, 14
	s_cbranch_scc0 .LBB39_2595
; %bb.2593:
	s_cmp_eq_u32 s9, 15
	s_cbranch_scc0 .LBB39_2598
; %bb.2594:
	global_load_u16 v1, v[24:25], off
	s_mov_b32 s0, 0
	s_mov_b32 s11, -1
	s_wait_loadcnt 0x0
	v_lshlrev_b32_e32 v1, 16, v1
	s_delay_alu instid0(VALU_DEP_1)
	v_cvt_i32_f32_e32 v16, v1
	s_branch .LBB39_2600
.LBB39_2595:
	s_mov_b32 s1, -1
	s_branch .LBB39_2599
.LBB39_2596:
	s_and_not1_saveexec_b32 s1, s1
	s_cbranch_execz .LBB39_2577
.LBB39_2597:
	v_cmp_ne_u16_e32 vcc_lo, 0, v1
	s_and_not1_b32 s11, s11, exec_lo
	s_and_b32 s12, vcc_lo, exec_lo
	s_delay_alu instid0(SALU_CYCLE_1)
	s_or_b32 s11, s11, s12
	s_or_b32 exec_lo, exec_lo, s1
	v_mov_b32_e32 v16, 0
	s_and_saveexec_b32 s1, s11
	s_cbranch_execnz .LBB39_2578
	s_branch .LBB39_2579
.LBB39_2598:
	s_mov_b32 s0, -1
.LBB39_2599:
                                        ; implicit-def: $vgpr16
.LBB39_2600:
	s_and_b32 vcc_lo, exec_lo, s1
	s_mov_b32 s1, 0
	s_cbranch_vccz .LBB39_2602
; %bb.2601:
	s_cmp_lg_u32 s9, 11
	s_mov_b32 s1, -1
	s_cselect_b32 s0, -1, 0
.LBB39_2602:
	s_delay_alu instid0(SALU_CYCLE_1)
	s_and_b32 vcc_lo, exec_lo, s0
	s_cbranch_vccnz .LBB39_2667
; %bb.2603:
	s_and_not1_b32 vcc_lo, exec_lo, s1
	s_cbranch_vccnz .LBB39_2605
.LBB39_2604:
	global_load_u8 v1, v[24:25], off
	s_mov_b32 s11, -1
	s_wait_loadcnt 0x0
	v_cmp_ne_u16_e32 vcc_lo, 0, v1
	v_cndmask_b32_e64 v16, 0, 1, vcc_lo
.LBB39_2605:
	s_mov_b32 s0, 0
.LBB39_2606:
	s_delay_alu instid0(SALU_CYCLE_1)
	s_and_b32 vcc_lo, exec_lo, s0
	s_cbranch_vccz .LBB39_2655
; %bb.2607:
	s_cmp_lt_i32 s9, 5
	s_cbranch_scc1 .LBB39_2612
; %bb.2608:
	s_cmp_lt_i32 s9, 8
	s_cbranch_scc1 .LBB39_2613
	;; [unrolled: 3-line block ×3, first 2 shown]
; %bb.2610:
	s_cmp_gt_i32 s9, 9
	s_cbranch_scc0 .LBB39_2615
; %bb.2611:
	s_wait_loadcnt 0x0
	global_load_b64 v[16:17], v[24:25], off
	s_mov_b32 s0, 0
	s_wait_loadcnt 0x0
	v_cvt_i32_f64_e32 v16, v[16:17]
	s_branch .LBB39_2616
.LBB39_2612:
	s_mov_b32 s0, -1
                                        ; implicit-def: $vgpr16
	s_branch .LBB39_2634
.LBB39_2613:
	s_mov_b32 s0, -1
                                        ; implicit-def: $vgpr16
	s_branch .LBB39_2622
.LBB39_2614:
	s_mov_b32 s0, -1
                                        ; implicit-def: $vgpr16
	s_branch .LBB39_2619
.LBB39_2615:
	s_mov_b32 s0, -1
                                        ; implicit-def: $vgpr16
.LBB39_2616:
	s_delay_alu instid0(SALU_CYCLE_1)
	s_and_not1_b32 vcc_lo, exec_lo, s0
	s_cbranch_vccnz .LBB39_2618
; %bb.2617:
	global_load_b32 v1, v[24:25], off
	s_wait_loadcnt 0x0
	v_cvt_i32_f32_e32 v16, v1
.LBB39_2618:
	s_mov_b32 s0, 0
.LBB39_2619:
	s_delay_alu instid0(SALU_CYCLE_1)
	s_and_not1_b32 vcc_lo, exec_lo, s0
	s_cbranch_vccnz .LBB39_2621
; %bb.2620:
	global_load_b32 v1, v[24:25], off
	s_wait_loadcnt 0x0
	v_cvt_i16_f16_e32 v16, v1
.LBB39_2621:
	s_mov_b32 s0, 0
.LBB39_2622:
	s_delay_alu instid0(SALU_CYCLE_1)
	s_and_not1_b32 vcc_lo, exec_lo, s0
	s_cbranch_vccnz .LBB39_2633
; %bb.2623:
	s_cmp_lt_i32 s9, 6
	s_cbranch_scc1 .LBB39_2626
; %bb.2624:
	s_cmp_gt_i32 s9, 6
	s_cbranch_scc0 .LBB39_2627
; %bb.2625:
	s_wait_loadcnt 0x0
	global_load_b64 v[16:17], v[24:25], off
	s_mov_b32 s0, 0
	s_wait_loadcnt 0x0
	v_cvt_i32_f64_e32 v16, v[16:17]
	s_branch .LBB39_2628
.LBB39_2626:
	s_mov_b32 s0, -1
                                        ; implicit-def: $vgpr16
	s_branch .LBB39_2631
.LBB39_2627:
	s_mov_b32 s0, -1
                                        ; implicit-def: $vgpr16
.LBB39_2628:
	s_delay_alu instid0(SALU_CYCLE_1)
	s_and_not1_b32 vcc_lo, exec_lo, s0
	s_cbranch_vccnz .LBB39_2630
; %bb.2629:
	global_load_b32 v1, v[24:25], off
	s_wait_loadcnt 0x0
	v_cvt_i32_f32_e32 v16, v1
.LBB39_2630:
	s_mov_b32 s0, 0
.LBB39_2631:
	s_delay_alu instid0(SALU_CYCLE_1)
	s_and_not1_b32 vcc_lo, exec_lo, s0
	s_cbranch_vccnz .LBB39_2633
; %bb.2632:
	global_load_u16 v1, v[24:25], off
	s_wait_loadcnt 0x0
	v_cvt_i16_f16_e32 v16, v1
.LBB39_2633:
	s_mov_b32 s0, 0
.LBB39_2634:
	s_delay_alu instid0(SALU_CYCLE_1)
	s_and_not1_b32 vcc_lo, exec_lo, s0
	s_cbranch_vccnz .LBB39_2654
; %bb.2635:
	s_cmp_lt_i32 s9, 2
	s_cbranch_scc1 .LBB39_2639
; %bb.2636:
	s_cmp_lt_i32 s9, 3
	s_cbranch_scc1 .LBB39_2640
; %bb.2637:
	s_cmp_gt_i32 s9, 3
	s_cbranch_scc0 .LBB39_2641
; %bb.2638:
	s_wait_loadcnt 0x0
	global_load_b64 v[16:17], v[24:25], off
	s_mov_b32 s0, 0
	s_branch .LBB39_2642
.LBB39_2639:
	s_mov_b32 s0, -1
                                        ; implicit-def: $vgpr16
	s_branch .LBB39_2648
.LBB39_2640:
	s_mov_b32 s0, -1
                                        ; implicit-def: $vgpr16
	s_branch .LBB39_2645
.LBB39_2641:
	s_mov_b32 s0, -1
                                        ; implicit-def: $vgpr16
.LBB39_2642:
	s_delay_alu instid0(SALU_CYCLE_1)
	s_and_not1_b32 vcc_lo, exec_lo, s0
	s_cbranch_vccnz .LBB39_2644
; %bb.2643:
	s_wait_loadcnt 0x0
	global_load_b32 v16, v[24:25], off
.LBB39_2644:
	s_mov_b32 s0, 0
.LBB39_2645:
	s_delay_alu instid0(SALU_CYCLE_1)
	s_and_not1_b32 vcc_lo, exec_lo, s0
	s_cbranch_vccnz .LBB39_2647
; %bb.2646:
	s_wait_loadcnt 0x0
	global_load_u16 v16, v[24:25], off
.LBB39_2647:
	s_mov_b32 s0, 0
.LBB39_2648:
	s_delay_alu instid0(SALU_CYCLE_1)
	s_and_not1_b32 vcc_lo, exec_lo, s0
	s_cbranch_vccnz .LBB39_2654
; %bb.2649:
	s_cmp_gt_i32 s9, 0
	s_mov_b32 s0, 0
	s_cbranch_scc0 .LBB39_2651
; %bb.2650:
	s_wait_loadcnt 0x0
	global_load_u8 v16, v[24:25], off
	s_branch .LBB39_2652
.LBB39_2651:
	s_mov_b32 s0, -1
                                        ; implicit-def: $vgpr16
.LBB39_2652:
	s_delay_alu instid0(SALU_CYCLE_1)
	s_and_not1_b32 vcc_lo, exec_lo, s0
	s_cbranch_vccnz .LBB39_2654
; %bb.2653:
	s_wait_loadcnt 0x0
	global_load_u8 v16, v[24:25], off
.LBB39_2654:
	s_mov_b32 s11, -1
.LBB39_2655:
	s_delay_alu instid0(SALU_CYCLE_1)
	s_and_not1_b32 vcc_lo, exec_lo, s11
	s_cbranch_vccnz .LBB39_3216
; %bb.2656:
	v_mov_b32_e32 v11, 0
	s_cmp_lt_i32 s10, 11
	s_wait_xcnt 0x0
	s_delay_alu instid0(VALU_DEP_1)
	v_add_nc_u64_e32 v[24:25], s[4:5], v[10:11]
	s_cbranch_scc1 .LBB39_2663
; %bb.2657:
	s_cmp_gt_i32 s10, 25
	s_mov_b32 s1, 0
	s_cbranch_scc0 .LBB39_2664
; %bb.2658:
	s_cmp_gt_i32 s10, 28
	s_cbranch_scc0 .LBB39_2665
; %bb.2659:
	s_cmp_gt_i32 s10, 43
	;; [unrolled: 3-line block ×3, first 2 shown]
	s_cbranch_scc0 .LBB39_2668
; %bb.2661:
	s_cmp_eq_u32 s10, 46
	s_mov_b32 s5, 0
	s_cbranch_scc0 .LBB39_2669
; %bb.2662:
	global_load_b32 v1, v[24:25], off
	s_mov_b32 s0, 0
	s_mov_b32 s4, -1
	s_wait_loadcnt 0x0
	v_lshlrev_b32_e32 v1, 16, v1
	s_delay_alu instid0(VALU_DEP_1)
	v_cvt_i32_f32_e32 v10, v1
	s_branch .LBB39_2671
.LBB39_2663:
	s_mov_b32 s0, -1
	s_mov_b32 s4, 0
                                        ; implicit-def: $vgpr10
	s_branch .LBB39_2733
.LBB39_2664:
	s_mov_b32 s5, -1
	s_mov_b32 s4, 0
	s_mov_b32 s0, 0
                                        ; implicit-def: $vgpr10
	s_branch .LBB39_2698
.LBB39_2665:
	s_mov_b32 s5, -1
	s_mov_b32 s4, 0
	s_mov_b32 s0, 0
                                        ; implicit-def: $vgpr10
	s_branch .LBB39_2681
.LBB39_2666:
	s_mov_b32 s5, -1
	s_mov_b32 s4, 0
	s_mov_b32 s0, 0
                                        ; implicit-def: $vgpr10
	s_branch .LBB39_2676
.LBB39_2667:
	s_or_b32 s8, s8, exec_lo
	s_trap 2
	s_cbranch_execz .LBB39_2604
	s_branch .LBB39_2605
.LBB39_2668:
	s_mov_b32 s5, -1
	s_mov_b32 s4, 0
	s_mov_b32 s0, 0
	s_branch .LBB39_2670
.LBB39_2669:
	s_mov_b32 s0, -1
	s_mov_b32 s4, 0
.LBB39_2670:
                                        ; implicit-def: $vgpr10
.LBB39_2671:
	s_and_b32 vcc_lo, exec_lo, s5
	s_cbranch_vccz .LBB39_2675
; %bb.2672:
	s_cmp_eq_u32 s10, 44
	s_cbranch_scc0 .LBB39_2674
; %bb.2673:
	global_load_u8 v1, v[24:25], off
	s_mov_b32 s0, 0
	s_mov_b32 s4, -1
	s_wait_loadcnt 0x0
	v_lshlrev_b32_e32 v3, 23, v1
	v_cmp_ne_u32_e32 vcc_lo, 0, v1
	s_delay_alu instid0(VALU_DEP_2) | instskip(NEXT) | instid1(VALU_DEP_1)
	v_cvt_i32_f32_e32 v3, v3
	v_cndmask_b32_e32 v10, 0, v3, vcc_lo
	s_branch .LBB39_2675
.LBB39_2674:
	s_mov_b32 s0, -1
                                        ; implicit-def: $vgpr10
.LBB39_2675:
	s_mov_b32 s5, 0
.LBB39_2676:
	s_delay_alu instid0(SALU_CYCLE_1)
	s_and_b32 vcc_lo, exec_lo, s5
	s_cbranch_vccz .LBB39_2680
; %bb.2677:
	s_cmp_eq_u32 s10, 29
	s_cbranch_scc0 .LBB39_2679
; %bb.2678:
	global_load_b64 v[10:11], v[24:25], off
	s_mov_b32 s0, 0
	s_mov_b32 s4, -1
	s_branch .LBB39_2680
.LBB39_2679:
	s_mov_b32 s0, -1
                                        ; implicit-def: $vgpr10
.LBB39_2680:
	s_mov_b32 s5, 0
.LBB39_2681:
	s_delay_alu instid0(SALU_CYCLE_1)
	s_and_b32 vcc_lo, exec_lo, s5
	s_cbranch_vccz .LBB39_2697
; %bb.2682:
	s_cmp_lt_i32 s10, 27
	s_cbranch_scc1 .LBB39_2685
; %bb.2683:
	s_cmp_gt_i32 s10, 27
	s_cbranch_scc0 .LBB39_2686
; %bb.2684:
	s_wait_loadcnt 0x0
	global_load_b32 v10, v[24:25], off
	s_mov_b32 s4, 0
	s_branch .LBB39_2687
.LBB39_2685:
	s_mov_b32 s4, -1
                                        ; implicit-def: $vgpr10
	s_branch .LBB39_2690
.LBB39_2686:
	s_mov_b32 s4, -1
                                        ; implicit-def: $vgpr10
.LBB39_2687:
	s_delay_alu instid0(SALU_CYCLE_1)
	s_and_not1_b32 vcc_lo, exec_lo, s4
	s_cbranch_vccnz .LBB39_2689
; %bb.2688:
	s_wait_loadcnt 0x0
	global_load_u16 v10, v[24:25], off
.LBB39_2689:
	s_mov_b32 s4, 0
.LBB39_2690:
	s_delay_alu instid0(SALU_CYCLE_1)
	s_and_not1_b32 vcc_lo, exec_lo, s4
	s_cbranch_vccnz .LBB39_2696
; %bb.2691:
	global_load_u8 v1, v[24:25], off
	s_mov_b32 s5, 0
	s_mov_b32 s4, exec_lo
	s_wait_loadcnt 0x0
	v_cmpx_lt_i16_e32 0x7f, v1
	s_xor_b32 s4, exec_lo, s4
	s_cbranch_execz .LBB39_2708
; %bb.2692:
	v_cmp_ne_u16_e32 vcc_lo, 0x80, v1
	s_and_b32 s5, vcc_lo, exec_lo
	s_and_not1_saveexec_b32 s4, s4
	s_cbranch_execnz .LBB39_2709
.LBB39_2693:
	s_or_b32 exec_lo, exec_lo, s4
	v_mov_b32_e32 v10, 0
	s_and_saveexec_b32 s4, s5
	s_cbranch_execz .LBB39_2695
.LBB39_2694:
	v_and_b32_e32 v3, 0xffff, v1
	s_delay_alu instid0(VALU_DEP_1) | instskip(SKIP_1) | instid1(VALU_DEP_2)
	v_dual_lshlrev_b32 v1, 24, v1 :: v_dual_bitop2_b32 v5, 7, v3 bitop3:0x40
	v_bfe_u32 v10, v3, 3, 4
	v_and_b32_e32 v1, 0x80000000, v1
	s_delay_alu instid0(VALU_DEP_3) | instskip(NEXT) | instid1(VALU_DEP_3)
	v_clz_i32_u32_e32 v7, v5
	v_cmp_eq_u32_e32 vcc_lo, 0, v10
	s_delay_alu instid0(VALU_DEP_2) | instskip(NEXT) | instid1(VALU_DEP_1)
	v_min_u32_e32 v7, 32, v7
	v_subrev_nc_u32_e32 v9, 28, v7
	v_sub_nc_u32_e32 v7, 29, v7
	s_delay_alu instid0(VALU_DEP_2) | instskip(NEXT) | instid1(VALU_DEP_2)
	v_lshlrev_b32_e32 v3, v9, v3
	v_cndmask_b32_e32 v7, v10, v7, vcc_lo
	s_delay_alu instid0(VALU_DEP_2) | instskip(NEXT) | instid1(VALU_DEP_1)
	v_and_b32_e32 v3, 7, v3
	v_cndmask_b32_e32 v3, v5, v3, vcc_lo
	s_delay_alu instid0(VALU_DEP_3) | instskip(NEXT) | instid1(VALU_DEP_2)
	v_lshl_add_u32 v5, v7, 23, 0x3b800000
	v_lshlrev_b32_e32 v3, 20, v3
	s_delay_alu instid0(VALU_DEP_1) | instskip(NEXT) | instid1(VALU_DEP_1)
	v_or3_b32 v1, v1, v5, v3
	v_cvt_i32_f32_e32 v10, v1
.LBB39_2695:
	s_or_b32 exec_lo, exec_lo, s4
.LBB39_2696:
	s_mov_b32 s4, -1
.LBB39_2697:
	s_mov_b32 s5, 0
.LBB39_2698:
	s_delay_alu instid0(SALU_CYCLE_1)
	s_and_b32 vcc_lo, exec_lo, s5
	s_cbranch_vccz .LBB39_2729
; %bb.2699:
	s_cmp_gt_i32 s10, 22
	s_cbranch_scc0 .LBB39_2707
; %bb.2700:
	s_cmp_lt_i32 s10, 24
	s_cbranch_scc1 .LBB39_2710
; %bb.2701:
	s_cmp_gt_i32 s10, 24
	s_cbranch_scc0 .LBB39_2711
; %bb.2702:
	global_load_u8 v1, v[24:25], off
	s_mov_b32 s4, 0
	s_mov_b32 s1, exec_lo
	s_wait_loadcnt 0x0
	v_cmpx_lt_i16_e32 0x7f, v1
	s_xor_b32 s1, exec_lo, s1
	s_cbranch_execz .LBB39_2723
; %bb.2703:
	v_cmp_ne_u16_e32 vcc_lo, 0x80, v1
	s_and_b32 s4, vcc_lo, exec_lo
	s_and_not1_saveexec_b32 s1, s1
	s_cbranch_execnz .LBB39_2724
.LBB39_2704:
	s_or_b32 exec_lo, exec_lo, s1
	v_mov_b32_e32 v10, 0
	s_and_saveexec_b32 s1, s4
	s_cbranch_execz .LBB39_2706
.LBB39_2705:
	v_and_b32_e32 v3, 0xffff, v1
	s_delay_alu instid0(VALU_DEP_1) | instskip(SKIP_1) | instid1(VALU_DEP_2)
	v_dual_lshlrev_b32 v1, 24, v1 :: v_dual_bitop2_b32 v5, 3, v3 bitop3:0x40
	v_bfe_u32 v10, v3, 2, 5
	v_and_b32_e32 v1, 0x80000000, v1
	s_delay_alu instid0(VALU_DEP_3) | instskip(NEXT) | instid1(VALU_DEP_3)
	v_clz_i32_u32_e32 v7, v5
	v_cmp_eq_u32_e32 vcc_lo, 0, v10
	s_delay_alu instid0(VALU_DEP_2) | instskip(NEXT) | instid1(VALU_DEP_1)
	v_min_u32_e32 v7, 32, v7
	v_subrev_nc_u32_e32 v9, 29, v7
	v_sub_nc_u32_e32 v7, 30, v7
	s_delay_alu instid0(VALU_DEP_2) | instskip(NEXT) | instid1(VALU_DEP_2)
	v_lshlrev_b32_e32 v3, v9, v3
	v_cndmask_b32_e32 v7, v10, v7, vcc_lo
	s_delay_alu instid0(VALU_DEP_2) | instskip(NEXT) | instid1(VALU_DEP_1)
	v_and_b32_e32 v3, 3, v3
	v_cndmask_b32_e32 v3, v5, v3, vcc_lo
	s_delay_alu instid0(VALU_DEP_3) | instskip(NEXT) | instid1(VALU_DEP_2)
	v_lshl_add_u32 v5, v7, 23, 0x37800000
	v_lshlrev_b32_e32 v3, 21, v3
	s_delay_alu instid0(VALU_DEP_1) | instskip(NEXT) | instid1(VALU_DEP_1)
	v_or3_b32 v1, v1, v5, v3
	v_cvt_i32_f32_e32 v10, v1
.LBB39_2706:
	s_or_b32 exec_lo, exec_lo, s1
	s_mov_b32 s1, 0
	s_branch .LBB39_2712
.LBB39_2707:
	s_mov_b32 s1, -1
                                        ; implicit-def: $vgpr10
	s_branch .LBB39_2718
.LBB39_2708:
	s_and_not1_saveexec_b32 s4, s4
	s_cbranch_execz .LBB39_2693
.LBB39_2709:
	v_cmp_ne_u16_e32 vcc_lo, 0, v1
	s_and_not1_b32 s5, s5, exec_lo
	s_and_b32 s9, vcc_lo, exec_lo
	s_delay_alu instid0(SALU_CYCLE_1)
	s_or_b32 s5, s5, s9
	s_or_b32 exec_lo, exec_lo, s4
	v_mov_b32_e32 v10, 0
	s_and_saveexec_b32 s4, s5
	s_cbranch_execnz .LBB39_2694
	s_branch .LBB39_2695
.LBB39_2710:
	s_mov_b32 s1, -1
                                        ; implicit-def: $vgpr10
	s_branch .LBB39_2715
.LBB39_2711:
	s_mov_b32 s1, -1
                                        ; implicit-def: $vgpr10
.LBB39_2712:
	s_delay_alu instid0(SALU_CYCLE_1)
	s_and_b32 vcc_lo, exec_lo, s1
	s_cbranch_vccz .LBB39_2714
; %bb.2713:
	global_load_u8 v1, v[24:25], off
	s_wait_loadcnt 0x0
	v_lshlrev_b32_e32 v1, 24, v1
	s_delay_alu instid0(VALU_DEP_1) | instskip(NEXT) | instid1(VALU_DEP_1)
	v_and_b32_e32 v3, 0x7f000000, v1
	v_clz_i32_u32_e32 v5, v3
	v_add_nc_u32_e32 v9, 0x1000000, v3
	v_cmp_ne_u32_e32 vcc_lo, 0, v3
	s_delay_alu instid0(VALU_DEP_3) | instskip(NEXT) | instid1(VALU_DEP_1)
	v_min_u32_e32 v5, 32, v5
	v_sub_nc_u32_e64 v5, v5, 4 clamp
	s_delay_alu instid0(VALU_DEP_1) | instskip(NEXT) | instid1(VALU_DEP_1)
	v_dual_lshlrev_b32 v7, v5, v3 :: v_dual_lshlrev_b32 v5, 23, v5
	v_lshrrev_b32_e32 v7, 4, v7
	s_delay_alu instid0(VALU_DEP_1) | instskip(SKIP_1) | instid1(VALU_DEP_2)
	v_sub_nc_u32_e32 v5, v7, v5
	v_ashrrev_i32_e32 v7, 8, v9
	v_add_nc_u32_e32 v5, 0x3c000000, v5
	s_delay_alu instid0(VALU_DEP_1) | instskip(NEXT) | instid1(VALU_DEP_1)
	v_and_or_b32 v5, 0x7f800000, v7, v5
	v_cndmask_b32_e32 v3, 0, v5, vcc_lo
	s_delay_alu instid0(VALU_DEP_1) | instskip(NEXT) | instid1(VALU_DEP_1)
	v_and_or_b32 v1, 0x80000000, v1, v3
	v_cvt_i32_f32_e32 v10, v1
.LBB39_2714:
	s_mov_b32 s1, 0
.LBB39_2715:
	s_delay_alu instid0(SALU_CYCLE_1)
	s_and_not1_b32 vcc_lo, exec_lo, s1
	s_cbranch_vccnz .LBB39_2717
; %bb.2716:
	global_load_u8 v1, v[24:25], off
	s_wait_loadcnt 0x0
	v_lshlrev_b32_e32 v3, 25, v1
	v_lshlrev_b16 v1, 8, v1
	s_delay_alu instid0(VALU_DEP_1) | instskip(SKIP_1) | instid1(VALU_DEP_2)
	v_and_or_b32 v7, 0x7f00, v1, 0.5
	v_bfe_i32 v1, v1, 0, 16
	v_add_f32_e32 v7, -0.5, v7
	v_lshrrev_b32_e32 v5, 4, v3
	v_cmp_gt_u32_e32 vcc_lo, 0x8000000, v3
	s_delay_alu instid0(VALU_DEP_2) | instskip(NEXT) | instid1(VALU_DEP_1)
	v_or_b32_e32 v5, 0x70000000, v5
	v_mul_f32_e32 v5, 0x7800000, v5
	s_delay_alu instid0(VALU_DEP_1) | instskip(NEXT) | instid1(VALU_DEP_1)
	v_cndmask_b32_e32 v3, v5, v7, vcc_lo
	v_and_or_b32 v1, 0x80000000, v1, v3
	s_delay_alu instid0(VALU_DEP_1)
	v_cvt_i32_f32_e32 v10, v1
.LBB39_2717:
	s_mov_b32 s1, 0
	s_mov_b32 s4, -1
.LBB39_2718:
	s_and_not1_b32 vcc_lo, exec_lo, s1
	s_mov_b32 s1, 0
	s_cbranch_vccnz .LBB39_2729
; %bb.2719:
	s_cmp_gt_i32 s10, 14
	s_cbranch_scc0 .LBB39_2722
; %bb.2720:
	s_cmp_eq_u32 s10, 15
	s_cbranch_scc0 .LBB39_2725
; %bb.2721:
	global_load_u16 v1, v[24:25], off
	s_mov_b32 s0, 0
	s_mov_b32 s4, -1
	s_wait_loadcnt 0x0
	v_lshlrev_b32_e32 v1, 16, v1
	s_delay_alu instid0(VALU_DEP_1)
	v_cvt_i32_f32_e32 v10, v1
	s_branch .LBB39_2727
.LBB39_2722:
	s_mov_b32 s1, -1
	s_branch .LBB39_2726
.LBB39_2723:
	s_and_not1_saveexec_b32 s1, s1
	s_cbranch_execz .LBB39_2704
.LBB39_2724:
	v_cmp_ne_u16_e32 vcc_lo, 0, v1
	s_and_not1_b32 s4, s4, exec_lo
	s_and_b32 s5, vcc_lo, exec_lo
	s_delay_alu instid0(SALU_CYCLE_1)
	s_or_b32 s4, s4, s5
	s_or_b32 exec_lo, exec_lo, s1
	v_mov_b32_e32 v10, 0
	s_and_saveexec_b32 s1, s4
	s_cbranch_execnz .LBB39_2705
	s_branch .LBB39_2706
.LBB39_2725:
	s_mov_b32 s0, -1
.LBB39_2726:
                                        ; implicit-def: $vgpr10
.LBB39_2727:
	s_and_b32 vcc_lo, exec_lo, s1
	s_mov_b32 s1, 0
	s_cbranch_vccz .LBB39_2729
; %bb.2728:
	s_cmp_lg_u32 s10, 11
	s_mov_b32 s1, -1
	s_cselect_b32 s0, -1, 0
.LBB39_2729:
	s_delay_alu instid0(SALU_CYCLE_1)
	s_and_b32 vcc_lo, exec_lo, s0
	s_cbranch_vccnz .LBB39_3262
; %bb.2730:
	s_and_not1_b32 vcc_lo, exec_lo, s1
	s_cbranch_vccnz .LBB39_2732
.LBB39_2731:
	global_load_u8 v1, v[24:25], off
	s_mov_b32 s4, -1
	s_wait_loadcnt 0x0
	v_cmp_ne_u16_e32 vcc_lo, 0, v1
	v_cndmask_b32_e64 v10, 0, 1, vcc_lo
.LBB39_2732:
	s_mov_b32 s0, 0
.LBB39_2733:
	s_delay_alu instid0(SALU_CYCLE_1)
	s_and_b32 vcc_lo, exec_lo, s0
	s_cbranch_vccz .LBB39_2782
; %bb.2734:
	s_cmp_lt_i32 s10, 5
	s_cbranch_scc1 .LBB39_2739
; %bb.2735:
	s_cmp_lt_i32 s10, 8
	s_cbranch_scc1 .LBB39_2740
	;; [unrolled: 3-line block ×3, first 2 shown]
; %bb.2737:
	s_cmp_gt_i32 s10, 9
	s_cbranch_scc0 .LBB39_2742
; %bb.2738:
	s_wait_loadcnt 0x0
	global_load_b64 v[10:11], v[24:25], off
	s_mov_b32 s0, 0
	s_wait_loadcnt 0x0
	v_cvt_i32_f64_e32 v10, v[10:11]
	s_branch .LBB39_2743
.LBB39_2739:
	s_mov_b32 s0, -1
                                        ; implicit-def: $vgpr10
	s_branch .LBB39_2761
.LBB39_2740:
	s_mov_b32 s0, -1
                                        ; implicit-def: $vgpr10
	s_branch .LBB39_2749
.LBB39_2741:
	s_mov_b32 s0, -1
                                        ; implicit-def: $vgpr10
	s_branch .LBB39_2746
.LBB39_2742:
	s_mov_b32 s0, -1
                                        ; implicit-def: $vgpr10
.LBB39_2743:
	s_delay_alu instid0(SALU_CYCLE_1)
	s_and_not1_b32 vcc_lo, exec_lo, s0
	s_cbranch_vccnz .LBB39_2745
; %bb.2744:
	global_load_b32 v1, v[24:25], off
	s_wait_loadcnt 0x0
	v_cvt_i32_f32_e32 v10, v1
.LBB39_2745:
	s_mov_b32 s0, 0
.LBB39_2746:
	s_delay_alu instid0(SALU_CYCLE_1)
	s_and_not1_b32 vcc_lo, exec_lo, s0
	s_cbranch_vccnz .LBB39_2748
; %bb.2747:
	global_load_b32 v1, v[24:25], off
	s_wait_loadcnt 0x0
	v_cvt_i16_f16_e32 v10, v1
.LBB39_2748:
	s_mov_b32 s0, 0
.LBB39_2749:
	s_delay_alu instid0(SALU_CYCLE_1)
	s_and_not1_b32 vcc_lo, exec_lo, s0
	s_cbranch_vccnz .LBB39_2760
; %bb.2750:
	s_cmp_lt_i32 s10, 6
	s_cbranch_scc1 .LBB39_2753
; %bb.2751:
	s_cmp_gt_i32 s10, 6
	s_cbranch_scc0 .LBB39_2754
; %bb.2752:
	s_wait_loadcnt 0x0
	global_load_b64 v[10:11], v[24:25], off
	s_mov_b32 s0, 0
	s_wait_loadcnt 0x0
	v_cvt_i32_f64_e32 v10, v[10:11]
	s_branch .LBB39_2755
.LBB39_2753:
	s_mov_b32 s0, -1
                                        ; implicit-def: $vgpr10
	s_branch .LBB39_2758
.LBB39_2754:
	s_mov_b32 s0, -1
                                        ; implicit-def: $vgpr10
.LBB39_2755:
	s_delay_alu instid0(SALU_CYCLE_1)
	s_and_not1_b32 vcc_lo, exec_lo, s0
	s_cbranch_vccnz .LBB39_2757
; %bb.2756:
	global_load_b32 v1, v[24:25], off
	s_wait_loadcnt 0x0
	v_cvt_i32_f32_e32 v10, v1
.LBB39_2757:
	s_mov_b32 s0, 0
.LBB39_2758:
	s_delay_alu instid0(SALU_CYCLE_1)
	s_and_not1_b32 vcc_lo, exec_lo, s0
	s_cbranch_vccnz .LBB39_2760
; %bb.2759:
	global_load_u16 v1, v[24:25], off
	s_wait_loadcnt 0x0
	v_cvt_i16_f16_e32 v10, v1
.LBB39_2760:
	s_mov_b32 s0, 0
.LBB39_2761:
	s_delay_alu instid0(SALU_CYCLE_1)
	s_and_not1_b32 vcc_lo, exec_lo, s0
	s_cbranch_vccnz .LBB39_2781
; %bb.2762:
	s_cmp_lt_i32 s10, 2
	s_cbranch_scc1 .LBB39_2766
; %bb.2763:
	s_cmp_lt_i32 s10, 3
	s_cbranch_scc1 .LBB39_2767
; %bb.2764:
	s_cmp_gt_i32 s10, 3
	s_cbranch_scc0 .LBB39_2768
; %bb.2765:
	s_wait_loadcnt 0x0
	global_load_b64 v[10:11], v[24:25], off
	s_mov_b32 s0, 0
	s_branch .LBB39_2769
.LBB39_2766:
	s_mov_b32 s0, -1
                                        ; implicit-def: $vgpr10
	s_branch .LBB39_2775
.LBB39_2767:
	s_mov_b32 s0, -1
                                        ; implicit-def: $vgpr10
	s_branch .LBB39_2772
.LBB39_2768:
	s_mov_b32 s0, -1
                                        ; implicit-def: $vgpr10
.LBB39_2769:
	s_delay_alu instid0(SALU_CYCLE_1)
	s_and_not1_b32 vcc_lo, exec_lo, s0
	s_cbranch_vccnz .LBB39_2771
; %bb.2770:
	s_wait_loadcnt 0x0
	global_load_b32 v10, v[24:25], off
.LBB39_2771:
	s_mov_b32 s0, 0
.LBB39_2772:
	s_delay_alu instid0(SALU_CYCLE_1)
	s_and_not1_b32 vcc_lo, exec_lo, s0
	s_cbranch_vccnz .LBB39_2774
; %bb.2773:
	s_wait_loadcnt 0x0
	global_load_u16 v10, v[24:25], off
.LBB39_2774:
	s_mov_b32 s0, 0
.LBB39_2775:
	s_delay_alu instid0(SALU_CYCLE_1)
	s_and_not1_b32 vcc_lo, exec_lo, s0
	s_cbranch_vccnz .LBB39_2781
; %bb.2776:
	s_cmp_gt_i32 s10, 0
	s_mov_b32 s0, 0
	s_cbranch_scc0 .LBB39_2778
; %bb.2777:
	s_wait_loadcnt 0x0
	global_load_u8 v10, v[24:25], off
	s_branch .LBB39_2779
.LBB39_2778:
	s_mov_b32 s0, -1
                                        ; implicit-def: $vgpr10
.LBB39_2779:
	s_delay_alu instid0(SALU_CYCLE_1)
	s_and_not1_b32 vcc_lo, exec_lo, s0
	s_cbranch_vccnz .LBB39_2781
; %bb.2780:
	s_wait_loadcnt 0x0
	global_load_u8 v10, v[24:25], off
.LBB39_2781:
	s_mov_b32 s4, -1
.LBB39_2782:
	s_delay_alu instid0(SALU_CYCLE_1)
	s_and_not1_b32 vcc_lo, exec_lo, s4
	s_cbranch_vccnz .LBB39_3216
; %bb.2783:
	v_mov_b32_e32 v7, 0
	s_clause 0x1
	s_load_b32 s9, s[2:3], 0x1e8
	s_load_b64 s[4:5], s[2:3], 0x1c8
	global_load_u8 v1, v7, s[2:3] offset:489
	s_wait_loadcnt 0x1
	s_wait_kmcnt 0x0
	v_mul_lo_u16 v5, v8, s9
	s_wait_xcnt 0x0
	v_add_nc_u64_e32 v[6:7], s[4:5], v[6:7]
	s_wait_loadcnt 0x0
	v_and_b32_e32 v3, 0xffff, v1
	v_readfirstlane_b32 s1, v1
	v_mul_lo_u16 v1, v5, v12
	s_delay_alu instid0(VALU_DEP_3)
	v_cmp_gt_i32_e32 vcc_lo, 11, v3
	s_cbranch_vccnz .LBB39_2861
; %bb.2784:
	s_and_b32 s2, 0xffff, s1
	s_mov_b32 s11, -1
	s_mov_b32 s3, 0
	s_cmp_gt_i32 s2, 25
	s_mov_b32 s10, 0
	s_mov_b32 s0, 0
	s_cbranch_scc0 .LBB39_2817
; %bb.2785:
	s_cmp_gt_i32 s2, 28
	s_cbranch_scc0 .LBB39_2800
; %bb.2786:
	s_cmp_gt_i32 s2, 43
	;; [unrolled: 3-line block ×3, first 2 shown]
	s_cbranch_scc0 .LBB39_2790
; %bb.2788:
	s_mov_b32 s0, -1
	s_mov_b32 s11, 0
	s_cmp_eq_u32 s2, 46
	s_cbranch_scc0 .LBB39_2790
; %bb.2789:
	v_bfe_i32 v3, v1, 0, 8
	s_mov_b32 s0, 0
	s_mov_b32 s10, -1
	s_delay_alu instid0(VALU_DEP_1) | instskip(NEXT) | instid1(VALU_DEP_1)
	v_bfe_i32 v3, v3, 0, 16
	v_cvt_f32_i32_e32 v3, v3
	s_delay_alu instid0(VALU_DEP_1) | instskip(NEXT) | instid1(VALU_DEP_1)
	v_bfe_u32 v5, v3, 16, 1
	v_add3_u32 v3, v3, v5, 0x7fff
	s_delay_alu instid0(VALU_DEP_1)
	v_lshrrev_b32_e32 v3, 16, v3
	global_store_b32 v[6:7], v3, off
.LBB39_2790:
	s_and_b32 vcc_lo, exec_lo, s11
	s_cbranch_vccz .LBB39_2795
; %bb.2791:
	s_cmp_eq_u32 s2, 44
	s_mov_b32 s0, -1
	s_cbranch_scc0 .LBB39_2795
; %bb.2792:
	s_wait_xcnt 0x0
	v_bfe_i32 v3, v1, 0, 8
	v_mov_b32_e32 v5, 0xff
	s_mov_b32 s10, exec_lo
	s_delay_alu instid0(VALU_DEP_2) | instskip(NEXT) | instid1(VALU_DEP_1)
	v_bfe_i32 v3, v3, 0, 16
	v_cvt_f32_i32_e32 v3, v3
	s_delay_alu instid0(VALU_DEP_1) | instskip(NEXT) | instid1(VALU_DEP_1)
	v_bfe_u32 v8, v3, 23, 8
	v_cmpx_ne_u32_e32 0xff, v8
	s_cbranch_execz .LBB39_2794
; %bb.2793:
	v_and_b32_e32 v5, 0x400000, v3
	v_and_or_b32 v8, 0x3fffff, v3, v8
	v_lshrrev_b32_e32 v3, 23, v3
	s_delay_alu instid0(VALU_DEP_3) | instskip(NEXT) | instid1(VALU_DEP_3)
	v_cmp_ne_u32_e32 vcc_lo, 0, v5
	v_cmp_ne_u32_e64 s0, 0, v8
	s_and_b32 s0, vcc_lo, s0
	s_delay_alu instid0(SALU_CYCLE_1) | instskip(NEXT) | instid1(VALU_DEP_1)
	v_cndmask_b32_e64 v5, 0, 1, s0
	v_add_nc_u32_e32 v5, v3, v5
.LBB39_2794:
	s_or_b32 exec_lo, exec_lo, s10
	s_mov_b32 s0, 0
	s_mov_b32 s10, -1
	global_store_b8 v[6:7], v5, off
.LBB39_2795:
	s_mov_b32 s11, 0
.LBB39_2796:
	s_delay_alu instid0(SALU_CYCLE_1)
	s_and_b32 vcc_lo, exec_lo, s11
	s_cbranch_vccz .LBB39_2799
; %bb.2797:
	s_cmp_eq_u32 s2, 29
	s_mov_b32 s0, -1
	s_cbranch_scc0 .LBB39_2799
; %bb.2798:
	v_bfe_i32 v8, v1, 0, 8
	s_mov_b32 s0, 0
	s_mov_b32 s10, -1
	s_delay_alu instid0(VALU_DEP_1)
	v_ashrrev_i32_e32 v9, 31, v8
	global_store_b64 v[6:7], v[8:9], off
.LBB39_2799:
	s_mov_b32 s11, 0
.LBB39_2800:
	s_delay_alu instid0(SALU_CYCLE_1)
	s_and_b32 vcc_lo, exec_lo, s11
	s_cbranch_vccz .LBB39_2816
; %bb.2801:
	s_cmp_lt_i32 s2, 27
	s_mov_b32 s10, -1
	s_cbranch_scc1 .LBB39_2807
; %bb.2802:
	s_cmp_gt_i32 s2, 27
	s_cbranch_scc0 .LBB39_2804
; %bb.2803:
	s_wait_xcnt 0x0
	v_bfe_i32 v3, v1, 0, 8
	s_mov_b32 s10, 0
	global_store_b32 v[6:7], v3, off
.LBB39_2804:
	s_and_not1_b32 vcc_lo, exec_lo, s10
	s_cbranch_vccnz .LBB39_2806
; %bb.2805:
	s_wait_xcnt 0x0
	v_bfe_i32 v3, v1, 0, 8
	global_store_b16 v[6:7], v3, off
.LBB39_2806:
	s_mov_b32 s10, 0
.LBB39_2807:
	s_delay_alu instid0(SALU_CYCLE_1)
	s_and_not1_b32 vcc_lo, exec_lo, s10
	s_cbranch_vccnz .LBB39_2815
; %bb.2808:
	s_wait_xcnt 0x0
	v_bfe_i32 v3, v1, 0, 8
	v_mov_b32_e32 v8, 0x80
	s_mov_b32 s10, exec_lo
	s_delay_alu instid0(VALU_DEP_2) | instskip(NEXT) | instid1(VALU_DEP_1)
	v_bfe_i32 v3, v3, 0, 16
	v_cvt_f32_i32_e32 v3, v3
	s_delay_alu instid0(VALU_DEP_1) | instskip(NEXT) | instid1(VALU_DEP_1)
	v_and_b32_e32 v5, 0x7fffffff, v3
	v_cmpx_gt_u32_e32 0x43800000, v5
	s_cbranch_execz .LBB39_2814
; %bb.2809:
	v_cmp_lt_u32_e32 vcc_lo, 0x3bffffff, v5
	s_mov_b32 s11, 0
                                        ; implicit-def: $vgpr5
	s_and_saveexec_b32 s12, vcc_lo
	s_delay_alu instid0(SALU_CYCLE_1)
	s_xor_b32 s12, exec_lo, s12
	s_cbranch_execz .LBB39_3263
; %bb.2810:
	v_bfe_u32 v5, v3, 20, 1
	s_mov_b32 s11, exec_lo
	s_delay_alu instid0(VALU_DEP_1) | instskip(NEXT) | instid1(VALU_DEP_1)
	v_add3_u32 v5, v3, v5, 0x487ffff
	v_lshrrev_b32_e32 v5, 20, v5
	s_and_not1_saveexec_b32 s12, s12
	s_cbranch_execnz .LBB39_3264
.LBB39_2811:
	s_or_b32 exec_lo, exec_lo, s12
	v_mov_b32_e32 v8, 0
	s_and_saveexec_b32 s12, s11
.LBB39_2812:
	v_lshrrev_b32_e32 v3, 24, v3
	s_delay_alu instid0(VALU_DEP_1)
	v_and_or_b32 v8, 0x80, v3, v5
.LBB39_2813:
	s_or_b32 exec_lo, exec_lo, s12
.LBB39_2814:
	s_delay_alu instid0(SALU_CYCLE_1)
	s_or_b32 exec_lo, exec_lo, s10
	global_store_b8 v[6:7], v8, off
.LBB39_2815:
	s_mov_b32 s10, -1
.LBB39_2816:
	s_mov_b32 s11, 0
.LBB39_2817:
	s_delay_alu instid0(SALU_CYCLE_1)
	s_and_b32 vcc_lo, exec_lo, s11
	s_cbranch_vccz .LBB39_2857
; %bb.2818:
	s_cmp_gt_i32 s2, 22
	s_mov_b32 s3, -1
	s_cbranch_scc0 .LBB39_2850
; %bb.2819:
	s_cmp_lt_i32 s2, 24
	s_cbranch_scc1 .LBB39_2839
; %bb.2820:
	s_cmp_gt_i32 s2, 24
	s_cbranch_scc0 .LBB39_2828
; %bb.2821:
	s_wait_xcnt 0x0
	v_bfe_i32 v3, v1, 0, 8
	v_mov_b32_e32 v8, 0x80
	s_mov_b32 s3, exec_lo
	s_delay_alu instid0(VALU_DEP_2) | instskip(NEXT) | instid1(VALU_DEP_1)
	v_bfe_i32 v3, v3, 0, 16
	v_cvt_f32_i32_e32 v3, v3
	s_delay_alu instid0(VALU_DEP_1) | instskip(NEXT) | instid1(VALU_DEP_1)
	v_and_b32_e32 v5, 0x7fffffff, v3
	v_cmpx_gt_u32_e32 0x47800000, v5
	s_cbranch_execz .LBB39_2827
; %bb.2822:
	v_cmp_lt_u32_e32 vcc_lo, 0x37ffffff, v5
	s_mov_b32 s10, 0
                                        ; implicit-def: $vgpr5
	s_and_saveexec_b32 s11, vcc_lo
	s_delay_alu instid0(SALU_CYCLE_1)
	s_xor_b32 s11, exec_lo, s11
	s_cbranch_execz .LBB39_3266
; %bb.2823:
	v_bfe_u32 v5, v3, 21, 1
	s_mov_b32 s10, exec_lo
	s_delay_alu instid0(VALU_DEP_1) | instskip(NEXT) | instid1(VALU_DEP_1)
	v_add3_u32 v5, v3, v5, 0x88fffff
	v_lshrrev_b32_e32 v5, 21, v5
	s_and_not1_saveexec_b32 s11, s11
	s_cbranch_execnz .LBB39_3267
.LBB39_2824:
	s_or_b32 exec_lo, exec_lo, s11
	v_mov_b32_e32 v8, 0
	s_and_saveexec_b32 s11, s10
.LBB39_2825:
	v_lshrrev_b32_e32 v3, 24, v3
	s_delay_alu instid0(VALU_DEP_1)
	v_and_or_b32 v8, 0x80, v3, v5
.LBB39_2826:
	s_or_b32 exec_lo, exec_lo, s11
.LBB39_2827:
	s_delay_alu instid0(SALU_CYCLE_1)
	s_or_b32 exec_lo, exec_lo, s3
	s_mov_b32 s3, 0
	global_store_b8 v[6:7], v8, off
.LBB39_2828:
	s_and_b32 vcc_lo, exec_lo, s3
	s_cbranch_vccz .LBB39_2838
; %bb.2829:
	s_wait_xcnt 0x0
	v_bfe_i32 v3, v1, 0, 8
	s_mov_b32 s3, exec_lo
                                        ; implicit-def: $vgpr5
	s_delay_alu instid0(VALU_DEP_1) | instskip(NEXT) | instid1(VALU_DEP_1)
	v_bfe_i32 v3, v3, 0, 16
	v_cvt_f32_i32_e32 v3, v3
	s_delay_alu instid0(VALU_DEP_1) | instskip(NEXT) | instid1(VALU_DEP_1)
	v_and_b32_e32 v8, 0x7fffffff, v3
	v_cmpx_gt_u32_e32 0x43f00000, v8
	s_xor_b32 s3, exec_lo, s3
	s_cbranch_execz .LBB39_2835
; %bb.2830:
	s_mov_b32 s10, exec_lo
                                        ; implicit-def: $vgpr5
	v_cmpx_lt_u32_e32 0x3c7fffff, v8
	s_xor_b32 s10, exec_lo, s10
; %bb.2831:
	v_bfe_u32 v5, v3, 20, 1
	s_delay_alu instid0(VALU_DEP_1) | instskip(NEXT) | instid1(VALU_DEP_1)
	v_add3_u32 v5, v3, v5, 0x407ffff
	v_and_b32_e32 v8, 0xff00000, v5
	v_lshrrev_b32_e32 v5, 20, v5
	s_delay_alu instid0(VALU_DEP_2) | instskip(NEXT) | instid1(VALU_DEP_2)
	v_cmp_ne_u32_e32 vcc_lo, 0x7f00000, v8
	v_cndmask_b32_e32 v5, 0x7e, v5, vcc_lo
; %bb.2832:
	s_and_not1_saveexec_b32 s10, s10
; %bb.2833:
	v_add_f32_e64 v5, 0x46800000, |v3|
; %bb.2834:
	s_or_b32 exec_lo, exec_lo, s10
                                        ; implicit-def: $vgpr8
.LBB39_2835:
	s_and_not1_saveexec_b32 s3, s3
; %bb.2836:
	v_mov_b32_e32 v5, 0x7f
	v_cmp_lt_u32_e32 vcc_lo, 0x7f800000, v8
	s_delay_alu instid0(VALU_DEP_2)
	v_cndmask_b32_e32 v5, 0x7e, v5, vcc_lo
; %bb.2837:
	s_or_b32 exec_lo, exec_lo, s3
	v_lshrrev_b32_e32 v3, 24, v3
	s_delay_alu instid0(VALU_DEP_1)
	v_and_or_b32 v3, 0x80, v3, v5
	global_store_b8 v[6:7], v3, off
.LBB39_2838:
	s_mov_b32 s3, 0
.LBB39_2839:
	s_delay_alu instid0(SALU_CYCLE_1)
	s_and_not1_b32 vcc_lo, exec_lo, s3
	s_cbranch_vccnz .LBB39_2849
; %bb.2840:
	s_wait_xcnt 0x0
	v_bfe_i32 v3, v1, 0, 8
	s_mov_b32 s3, exec_lo
                                        ; implicit-def: $vgpr5
	s_delay_alu instid0(VALU_DEP_1) | instskip(NEXT) | instid1(VALU_DEP_1)
	v_bfe_i32 v3, v3, 0, 16
	v_cvt_f32_i32_e32 v3, v3
	s_delay_alu instid0(VALU_DEP_1) | instskip(NEXT) | instid1(VALU_DEP_1)
	v_and_b32_e32 v8, 0x7fffffff, v3
	v_cmpx_gt_u32_e32 0x47800000, v8
	s_xor_b32 s3, exec_lo, s3
	s_cbranch_execz .LBB39_2846
; %bb.2841:
	s_mov_b32 s10, exec_lo
                                        ; implicit-def: $vgpr5
	v_cmpx_lt_u32_e32 0x387fffff, v8
	s_xor_b32 s10, exec_lo, s10
; %bb.2842:
	v_bfe_u32 v5, v3, 21, 1
	s_delay_alu instid0(VALU_DEP_1) | instskip(NEXT) | instid1(VALU_DEP_1)
	v_add3_u32 v5, v3, v5, 0x80fffff
	v_lshrrev_b32_e32 v5, 21, v5
; %bb.2843:
	s_and_not1_saveexec_b32 s10, s10
; %bb.2844:
	v_add_f32_e64 v5, 0x43000000, |v3|
; %bb.2845:
	s_or_b32 exec_lo, exec_lo, s10
                                        ; implicit-def: $vgpr8
.LBB39_2846:
	s_and_not1_saveexec_b32 s3, s3
; %bb.2847:
	v_mov_b32_e32 v5, 0x7f
	v_cmp_lt_u32_e32 vcc_lo, 0x7f800000, v8
	s_delay_alu instid0(VALU_DEP_2)
	v_cndmask_b32_e32 v5, 0x7c, v5, vcc_lo
; %bb.2848:
	s_or_b32 exec_lo, exec_lo, s3
	v_lshrrev_b32_e32 v3, 24, v3
	s_delay_alu instid0(VALU_DEP_1)
	v_and_or_b32 v3, 0x80, v3, v5
	global_store_b8 v[6:7], v3, off
.LBB39_2849:
	s_mov_b32 s3, 0
	s_mov_b32 s10, -1
.LBB39_2850:
	s_and_not1_b32 vcc_lo, exec_lo, s3
	s_mov_b32 s3, 0
	s_cbranch_vccnz .LBB39_2857
; %bb.2851:
	s_cmp_gt_i32 s2, 14
	s_mov_b32 s3, -1
	s_cbranch_scc0 .LBB39_2855
; %bb.2852:
	s_cmp_eq_u32 s2, 15
	s_mov_b32 s0, -1
	s_cbranch_scc0 .LBB39_2854
; %bb.2853:
	s_wait_xcnt 0x0
	v_bfe_i32 v3, v1, 0, 8
	s_mov_b32 s0, 0
	s_mov_b32 s10, -1
	s_delay_alu instid0(VALU_DEP_1) | instskip(NEXT) | instid1(VALU_DEP_1)
	v_bfe_i32 v3, v3, 0, 16
	v_cvt_f32_i32_e32 v3, v3
	s_delay_alu instid0(VALU_DEP_1) | instskip(NEXT) | instid1(VALU_DEP_1)
	v_bfe_u32 v5, v3, 16, 1
	v_add3_u32 v3, v3, v5, 0x7fff
	global_store_d16_hi_b16 v[6:7], v3, off
.LBB39_2854:
	s_mov_b32 s3, 0
.LBB39_2855:
	s_delay_alu instid0(SALU_CYCLE_1)
	s_and_b32 vcc_lo, exec_lo, s3
	s_mov_b32 s3, 0
	s_cbranch_vccz .LBB39_2857
; %bb.2856:
	s_cmp_lg_u32 s2, 11
	s_mov_b32 s3, -1
	s_cselect_b32 s0, -1, 0
.LBB39_2857:
	s_delay_alu instid0(SALU_CYCLE_1)
	s_and_b32 vcc_lo, exec_lo, s0
	s_cbranch_vccnz .LBB39_3265
; %bb.2858:
	s_and_not1_b32 vcc_lo, exec_lo, s3
	s_cbranch_vccnz .LBB39_2860
.LBB39_2859:
	s_wait_xcnt 0x0
	v_and_b32_e32 v3, 0xff, v1
	s_mov_b32 s10, -1
	s_delay_alu instid0(VALU_DEP_1)
	v_cmp_ne_u16_e32 vcc_lo, 0, v3
	v_cndmask_b32_e64 v3, 0, 1, vcc_lo
	global_store_b8 v[6:7], v3, off
.LBB39_2860:
	s_mov_b32 s0, 0
	s_branch .LBB39_2862
.LBB39_2861:
	s_mov_b32 s0, -1
	s_mov_b32 s10, 0
.LBB39_2862:
	s_and_b32 vcc_lo, exec_lo, s0
	s_cbranch_vccz .LBB39_2901
; %bb.2863:
	s_and_b32 s0, 0xffff, s1
	s_mov_b32 s2, -1
	s_cmp_lt_i32 s0, 5
	s_cbranch_scc1 .LBB39_2884
; %bb.2864:
	s_cmp_lt_i32 s0, 8
	s_cbranch_scc1 .LBB39_2874
; %bb.2865:
	;; [unrolled: 3-line block ×3, first 2 shown]
	s_cmp_gt_i32 s0, 9
	s_cbranch_scc0 .LBB39_2868
; %bb.2867:
	s_wait_xcnt 0x0
	v_bfe_i32 v3, v1, 0, 8
	v_mov_b32_e32 v26, 0
	s_mov_b32 s2, 0
	s_delay_alu instid0(VALU_DEP_2) | instskip(NEXT) | instid1(VALU_DEP_2)
	v_bfe_i32 v3, v3, 0, 16
	v_mov_b32_e32 v27, v26
	s_delay_alu instid0(VALU_DEP_2)
	v_cvt_f64_i32_e32 v[24:25], v3
	global_store_b128 v[6:7], v[24:27], off
.LBB39_2868:
	s_and_not1_b32 vcc_lo, exec_lo, s2
	s_cbranch_vccnz .LBB39_2870
; %bb.2869:
	s_wait_xcnt 0x0
	v_bfe_i32 v3, v1, 0, 8
	v_mov_b32_e32 v9, 0
	s_delay_alu instid0(VALU_DEP_2) | instskip(NEXT) | instid1(VALU_DEP_1)
	v_bfe_i32 v3, v3, 0, 16
	v_cvt_f32_i32_e32 v8, v3
	global_store_b64 v[6:7], v[8:9], off
.LBB39_2870:
	s_mov_b32 s2, 0
.LBB39_2871:
	s_delay_alu instid0(SALU_CYCLE_1)
	s_and_not1_b32 vcc_lo, exec_lo, s2
	s_cbranch_vccnz .LBB39_2873
; %bb.2872:
	s_wait_xcnt 0x0
	v_bfe_i32 v3, v1, 0, 8
	s_delay_alu instid0(VALU_DEP_1) | instskip(NEXT) | instid1(VALU_DEP_1)
	v_cvt_f16_i16_e32 v3, v3
	v_and_b32_e32 v3, 0xffff, v3
	global_store_b32 v[6:7], v3, off
.LBB39_2873:
	s_mov_b32 s2, 0
.LBB39_2874:
	s_delay_alu instid0(SALU_CYCLE_1)
	s_and_not1_b32 vcc_lo, exec_lo, s2
	s_cbranch_vccnz .LBB39_2883
; %bb.2875:
	s_cmp_lt_i32 s0, 6
	s_mov_b32 s2, -1
	s_cbranch_scc1 .LBB39_2881
; %bb.2876:
	s_cmp_gt_i32 s0, 6
	s_cbranch_scc0 .LBB39_2878
; %bb.2877:
	s_wait_xcnt 0x0
	v_bfe_i32 v3, v1, 0, 8
	s_mov_b32 s2, 0
	s_delay_alu instid0(VALU_DEP_1) | instskip(NEXT) | instid1(VALU_DEP_1)
	v_bfe_i32 v3, v3, 0, 16
	v_cvt_f64_i32_e32 v[8:9], v3
	global_store_b64 v[6:7], v[8:9], off
.LBB39_2878:
	s_and_not1_b32 vcc_lo, exec_lo, s2
	s_cbranch_vccnz .LBB39_2880
; %bb.2879:
	s_wait_xcnt 0x0
	v_bfe_i32 v3, v1, 0, 8
	s_delay_alu instid0(VALU_DEP_1) | instskip(NEXT) | instid1(VALU_DEP_1)
	v_bfe_i32 v3, v3, 0, 16
	v_cvt_f32_i32_e32 v3, v3
	global_store_b32 v[6:7], v3, off
.LBB39_2880:
	s_mov_b32 s2, 0
.LBB39_2881:
	s_delay_alu instid0(SALU_CYCLE_1)
	s_and_not1_b32 vcc_lo, exec_lo, s2
	s_cbranch_vccnz .LBB39_2883
; %bb.2882:
	s_wait_xcnt 0x0
	v_bfe_i32 v3, v1, 0, 8
	s_delay_alu instid0(VALU_DEP_1)
	v_cvt_f16_i16_e32 v3, v3
	global_store_b16 v[6:7], v3, off
.LBB39_2883:
	s_mov_b32 s2, 0
.LBB39_2884:
	s_delay_alu instid0(SALU_CYCLE_1)
	s_and_not1_b32 vcc_lo, exec_lo, s2
	s_cbranch_vccnz .LBB39_2900
; %bb.2885:
	s_cmp_lt_i32 s0, 2
	s_mov_b32 s2, -1
	s_cbranch_scc1 .LBB39_2895
; %bb.2886:
	s_cmp_lt_i32 s0, 3
	s_cbranch_scc1 .LBB39_2892
; %bb.2887:
	s_cmp_gt_i32 s0, 3
	s_cbranch_scc0 .LBB39_2889
; %bb.2888:
	s_wait_xcnt 0x0
	v_bfe_i32 v8, v1, 0, 8
	s_mov_b32 s2, 0
	s_delay_alu instid0(VALU_DEP_1)
	v_ashrrev_i32_e32 v9, 31, v8
	global_store_b64 v[6:7], v[8:9], off
.LBB39_2889:
	s_and_not1_b32 vcc_lo, exec_lo, s2
	s_cbranch_vccnz .LBB39_2891
; %bb.2890:
	s_wait_xcnt 0x0
	v_bfe_i32 v3, v1, 0, 8
	global_store_b32 v[6:7], v3, off
.LBB39_2891:
	s_mov_b32 s2, 0
.LBB39_2892:
	s_delay_alu instid0(SALU_CYCLE_1)
	s_and_not1_b32 vcc_lo, exec_lo, s2
	s_cbranch_vccnz .LBB39_2894
; %bb.2893:
	s_wait_xcnt 0x0
	v_bfe_i32 v3, v1, 0, 8
	global_store_b16 v[6:7], v3, off
.LBB39_2894:
	s_mov_b32 s2, 0
.LBB39_2895:
	s_delay_alu instid0(SALU_CYCLE_1)
	s_and_not1_b32 vcc_lo, exec_lo, s2
	s_cbranch_vccnz .LBB39_2900
; %bb.2896:
	s_cmp_gt_i32 s0, 0
	s_mov_b32 s0, -1
	s_cbranch_scc0 .LBB39_2898
; %bb.2897:
	s_mov_b32 s0, 0
	global_store_b8 v[6:7], v1, off
.LBB39_2898:
	s_and_not1_b32 vcc_lo, exec_lo, s0
	s_cbranch_vccnz .LBB39_2900
; %bb.2899:
	global_store_b8 v[6:7], v1, off
.LBB39_2900:
	s_mov_b32 s10, -1
.LBB39_2901:
	s_delay_alu instid0(SALU_CYCLE_1)
	s_and_not1_b32 vcc_lo, exec_lo, s10
	s_cbranch_vccnz .LBB39_3216
; %bb.2902:
	s_wait_xcnt 0x0
	v_mov_b32_e32 v5, 0
	v_mul_lo_u16 v1, v14, s9
	s_and_b32 s2, 0xffff, s1
	s_delay_alu instid0(SALU_CYCLE_1) | instskip(NEXT) | instid1(VALU_DEP_2)
	s_cmp_lt_i32 s2, 11
	v_add_nc_u64_e32 v[4:5], s[4:5], v[4:5]
	s_delay_alu instid0(VALU_DEP_2)
	v_mul_lo_u16 v1, v1, v18
	s_cbranch_scc1 .LBB39_2980
; %bb.2903:
	s_mov_b32 s11, -1
	s_mov_b32 s3, 0
	s_cmp_gt_i32 s2, 25
	s_mov_b32 s10, 0
	s_mov_b32 s0, 0
	s_cbranch_scc0 .LBB39_2936
; %bb.2904:
	s_cmp_gt_i32 s2, 28
	s_cbranch_scc0 .LBB39_2919
; %bb.2905:
	s_cmp_gt_i32 s2, 43
	;; [unrolled: 3-line block ×3, first 2 shown]
	s_cbranch_scc0 .LBB39_2909
; %bb.2907:
	s_mov_b32 s0, -1
	s_mov_b32 s11, 0
	s_cmp_eq_u32 s2, 46
	s_cbranch_scc0 .LBB39_2909
; %bb.2908:
	v_bfe_i32 v3, v1, 0, 8
	s_mov_b32 s0, 0
	s_mov_b32 s10, -1
	s_delay_alu instid0(VALU_DEP_1) | instskip(NEXT) | instid1(VALU_DEP_1)
	v_bfe_i32 v3, v3, 0, 16
	v_cvt_f32_i32_e32 v3, v3
	s_delay_alu instid0(VALU_DEP_1) | instskip(NEXT) | instid1(VALU_DEP_1)
	v_bfe_u32 v6, v3, 16, 1
	v_add3_u32 v3, v3, v6, 0x7fff
	s_delay_alu instid0(VALU_DEP_1)
	v_lshrrev_b32_e32 v3, 16, v3
	global_store_b32 v[4:5], v3, off
.LBB39_2909:
	s_and_b32 vcc_lo, exec_lo, s11
	s_cbranch_vccz .LBB39_2914
; %bb.2910:
	s_cmp_eq_u32 s2, 44
	s_mov_b32 s0, -1
	s_cbranch_scc0 .LBB39_2914
; %bb.2911:
	s_wait_xcnt 0x0
	v_bfe_i32 v3, v1, 0, 8
	v_mov_b32_e32 v6, 0xff
	s_mov_b32 s10, exec_lo
	s_delay_alu instid0(VALU_DEP_2) | instskip(NEXT) | instid1(VALU_DEP_1)
	v_bfe_i32 v3, v3, 0, 16
	v_cvt_f32_i32_e32 v3, v3
	s_delay_alu instid0(VALU_DEP_1) | instskip(NEXT) | instid1(VALU_DEP_1)
	v_bfe_u32 v7, v3, 23, 8
	v_cmpx_ne_u32_e32 0xff, v7
	s_cbranch_execz .LBB39_2913
; %bb.2912:
	v_and_b32_e32 v6, 0x400000, v3
	v_and_or_b32 v7, 0x3fffff, v3, v7
	v_lshrrev_b32_e32 v3, 23, v3
	s_delay_alu instid0(VALU_DEP_3) | instskip(NEXT) | instid1(VALU_DEP_3)
	v_cmp_ne_u32_e32 vcc_lo, 0, v6
	v_cmp_ne_u32_e64 s0, 0, v7
	s_and_b32 s0, vcc_lo, s0
	s_delay_alu instid0(SALU_CYCLE_1) | instskip(NEXT) | instid1(VALU_DEP_1)
	v_cndmask_b32_e64 v6, 0, 1, s0
	v_add_nc_u32_e32 v6, v3, v6
.LBB39_2913:
	s_or_b32 exec_lo, exec_lo, s10
	s_mov_b32 s0, 0
	s_mov_b32 s10, -1
	global_store_b8 v[4:5], v6, off
.LBB39_2914:
	s_mov_b32 s11, 0
.LBB39_2915:
	s_delay_alu instid0(SALU_CYCLE_1)
	s_and_b32 vcc_lo, exec_lo, s11
	s_cbranch_vccz .LBB39_2918
; %bb.2916:
	s_cmp_eq_u32 s2, 29
	s_mov_b32 s0, -1
	s_cbranch_scc0 .LBB39_2918
; %bb.2917:
	s_wait_xcnt 0x0
	v_bfe_i32 v6, v1, 0, 8
	s_mov_b32 s0, 0
	s_mov_b32 s10, -1
	s_delay_alu instid0(VALU_DEP_1)
	v_ashrrev_i32_e32 v7, 31, v6
	global_store_b64 v[4:5], v[6:7], off
.LBB39_2918:
	s_mov_b32 s11, 0
.LBB39_2919:
	s_delay_alu instid0(SALU_CYCLE_1)
	s_and_b32 vcc_lo, exec_lo, s11
	s_cbranch_vccz .LBB39_2935
; %bb.2920:
	s_cmp_lt_i32 s2, 27
	s_mov_b32 s10, -1
	s_cbranch_scc1 .LBB39_2926
; %bb.2921:
	s_cmp_gt_i32 s2, 27
	s_cbranch_scc0 .LBB39_2923
; %bb.2922:
	s_wait_xcnt 0x0
	v_bfe_i32 v3, v1, 0, 8
	s_mov_b32 s10, 0
	global_store_b32 v[4:5], v3, off
.LBB39_2923:
	s_and_not1_b32 vcc_lo, exec_lo, s10
	s_cbranch_vccnz .LBB39_2925
; %bb.2924:
	s_wait_xcnt 0x0
	v_bfe_i32 v3, v1, 0, 8
	global_store_b16 v[4:5], v3, off
.LBB39_2925:
	s_mov_b32 s10, 0
.LBB39_2926:
	s_delay_alu instid0(SALU_CYCLE_1)
	s_and_not1_b32 vcc_lo, exec_lo, s10
	s_cbranch_vccnz .LBB39_2934
; %bb.2927:
	s_wait_xcnt 0x0
	v_bfe_i32 v3, v1, 0, 8
	v_mov_b32_e32 v7, 0x80
	s_mov_b32 s10, exec_lo
	s_delay_alu instid0(VALU_DEP_2) | instskip(NEXT) | instid1(VALU_DEP_1)
	v_bfe_i32 v3, v3, 0, 16
	v_cvt_f32_i32_e32 v3, v3
	s_delay_alu instid0(VALU_DEP_1) | instskip(NEXT) | instid1(VALU_DEP_1)
	v_and_b32_e32 v6, 0x7fffffff, v3
	v_cmpx_gt_u32_e32 0x43800000, v6
	s_cbranch_execz .LBB39_2933
; %bb.2928:
	v_cmp_lt_u32_e32 vcc_lo, 0x3bffffff, v6
	s_mov_b32 s11, 0
                                        ; implicit-def: $vgpr6
	s_and_saveexec_b32 s12, vcc_lo
	s_delay_alu instid0(SALU_CYCLE_1)
	s_xor_b32 s12, exec_lo, s12
	s_cbranch_execz .LBB39_3268
; %bb.2929:
	v_bfe_u32 v6, v3, 20, 1
	s_mov_b32 s11, exec_lo
	s_delay_alu instid0(VALU_DEP_1) | instskip(NEXT) | instid1(VALU_DEP_1)
	v_add3_u32 v6, v3, v6, 0x487ffff
	v_lshrrev_b32_e32 v6, 20, v6
	s_and_not1_saveexec_b32 s12, s12
	s_cbranch_execnz .LBB39_3269
.LBB39_2930:
	s_or_b32 exec_lo, exec_lo, s12
	v_mov_b32_e32 v7, 0
	s_and_saveexec_b32 s12, s11
.LBB39_2931:
	v_lshrrev_b32_e32 v3, 24, v3
	s_delay_alu instid0(VALU_DEP_1)
	v_and_or_b32 v7, 0x80, v3, v6
.LBB39_2932:
	s_or_b32 exec_lo, exec_lo, s12
.LBB39_2933:
	s_delay_alu instid0(SALU_CYCLE_1)
	s_or_b32 exec_lo, exec_lo, s10
	global_store_b8 v[4:5], v7, off
.LBB39_2934:
	s_mov_b32 s10, -1
.LBB39_2935:
	s_mov_b32 s11, 0
.LBB39_2936:
	s_delay_alu instid0(SALU_CYCLE_1)
	s_and_b32 vcc_lo, exec_lo, s11
	s_cbranch_vccz .LBB39_2976
; %bb.2937:
	s_cmp_gt_i32 s2, 22
	s_mov_b32 s3, -1
	s_cbranch_scc0 .LBB39_2969
; %bb.2938:
	s_cmp_lt_i32 s2, 24
	s_cbranch_scc1 .LBB39_2958
; %bb.2939:
	s_cmp_gt_i32 s2, 24
	s_cbranch_scc0 .LBB39_2947
; %bb.2940:
	s_wait_xcnt 0x0
	v_bfe_i32 v3, v1, 0, 8
	v_mov_b32_e32 v7, 0x80
	s_mov_b32 s3, exec_lo
	s_delay_alu instid0(VALU_DEP_2) | instskip(NEXT) | instid1(VALU_DEP_1)
	v_bfe_i32 v3, v3, 0, 16
	v_cvt_f32_i32_e32 v3, v3
	s_delay_alu instid0(VALU_DEP_1) | instskip(NEXT) | instid1(VALU_DEP_1)
	v_and_b32_e32 v6, 0x7fffffff, v3
	v_cmpx_gt_u32_e32 0x47800000, v6
	s_cbranch_execz .LBB39_2946
; %bb.2941:
	v_cmp_lt_u32_e32 vcc_lo, 0x37ffffff, v6
	s_mov_b32 s10, 0
                                        ; implicit-def: $vgpr6
	s_and_saveexec_b32 s11, vcc_lo
	s_delay_alu instid0(SALU_CYCLE_1)
	s_xor_b32 s11, exec_lo, s11
	s_cbranch_execz .LBB39_3271
; %bb.2942:
	v_bfe_u32 v6, v3, 21, 1
	s_mov_b32 s10, exec_lo
	s_delay_alu instid0(VALU_DEP_1) | instskip(NEXT) | instid1(VALU_DEP_1)
	v_add3_u32 v6, v3, v6, 0x88fffff
	v_lshrrev_b32_e32 v6, 21, v6
	s_and_not1_saveexec_b32 s11, s11
	s_cbranch_execnz .LBB39_3272
.LBB39_2943:
	s_or_b32 exec_lo, exec_lo, s11
	v_mov_b32_e32 v7, 0
	s_and_saveexec_b32 s11, s10
.LBB39_2944:
	v_lshrrev_b32_e32 v3, 24, v3
	s_delay_alu instid0(VALU_DEP_1)
	v_and_or_b32 v7, 0x80, v3, v6
.LBB39_2945:
	s_or_b32 exec_lo, exec_lo, s11
.LBB39_2946:
	s_delay_alu instid0(SALU_CYCLE_1)
	s_or_b32 exec_lo, exec_lo, s3
	s_mov_b32 s3, 0
	global_store_b8 v[4:5], v7, off
.LBB39_2947:
	s_and_b32 vcc_lo, exec_lo, s3
	s_cbranch_vccz .LBB39_2957
; %bb.2948:
	s_wait_xcnt 0x0
	v_bfe_i32 v3, v1, 0, 8
	s_mov_b32 s3, exec_lo
                                        ; implicit-def: $vgpr6
	s_delay_alu instid0(VALU_DEP_1) | instskip(NEXT) | instid1(VALU_DEP_1)
	v_bfe_i32 v3, v3, 0, 16
	v_cvt_f32_i32_e32 v3, v3
	s_delay_alu instid0(VALU_DEP_1) | instskip(NEXT) | instid1(VALU_DEP_1)
	v_and_b32_e32 v7, 0x7fffffff, v3
	v_cmpx_gt_u32_e32 0x43f00000, v7
	s_xor_b32 s3, exec_lo, s3
	s_cbranch_execz .LBB39_2954
; %bb.2949:
	s_mov_b32 s10, exec_lo
                                        ; implicit-def: $vgpr6
	v_cmpx_lt_u32_e32 0x3c7fffff, v7
	s_xor_b32 s10, exec_lo, s10
; %bb.2950:
	v_bfe_u32 v6, v3, 20, 1
	s_delay_alu instid0(VALU_DEP_1) | instskip(NEXT) | instid1(VALU_DEP_1)
	v_add3_u32 v6, v3, v6, 0x407ffff
	v_and_b32_e32 v7, 0xff00000, v6
	v_lshrrev_b32_e32 v6, 20, v6
	s_delay_alu instid0(VALU_DEP_2) | instskip(NEXT) | instid1(VALU_DEP_2)
	v_cmp_ne_u32_e32 vcc_lo, 0x7f00000, v7
	v_cndmask_b32_e32 v6, 0x7e, v6, vcc_lo
; %bb.2951:
	s_and_not1_saveexec_b32 s10, s10
; %bb.2952:
	v_add_f32_e64 v6, 0x46800000, |v3|
; %bb.2953:
	s_or_b32 exec_lo, exec_lo, s10
                                        ; implicit-def: $vgpr7
.LBB39_2954:
	s_and_not1_saveexec_b32 s3, s3
; %bb.2955:
	v_mov_b32_e32 v6, 0x7f
	v_cmp_lt_u32_e32 vcc_lo, 0x7f800000, v7
	s_delay_alu instid0(VALU_DEP_2)
	v_cndmask_b32_e32 v6, 0x7e, v6, vcc_lo
; %bb.2956:
	s_or_b32 exec_lo, exec_lo, s3
	v_lshrrev_b32_e32 v3, 24, v3
	s_delay_alu instid0(VALU_DEP_1)
	v_and_or_b32 v3, 0x80, v3, v6
	global_store_b8 v[4:5], v3, off
.LBB39_2957:
	s_mov_b32 s3, 0
.LBB39_2958:
	s_delay_alu instid0(SALU_CYCLE_1)
	s_and_not1_b32 vcc_lo, exec_lo, s3
	s_cbranch_vccnz .LBB39_2968
; %bb.2959:
	s_wait_xcnt 0x0
	v_bfe_i32 v3, v1, 0, 8
	s_mov_b32 s3, exec_lo
                                        ; implicit-def: $vgpr6
	s_delay_alu instid0(VALU_DEP_1) | instskip(NEXT) | instid1(VALU_DEP_1)
	v_bfe_i32 v3, v3, 0, 16
	v_cvt_f32_i32_e32 v3, v3
	s_delay_alu instid0(VALU_DEP_1) | instskip(NEXT) | instid1(VALU_DEP_1)
	v_and_b32_e32 v7, 0x7fffffff, v3
	v_cmpx_gt_u32_e32 0x47800000, v7
	s_xor_b32 s3, exec_lo, s3
	s_cbranch_execz .LBB39_2965
; %bb.2960:
	s_mov_b32 s10, exec_lo
                                        ; implicit-def: $vgpr6
	v_cmpx_lt_u32_e32 0x387fffff, v7
	s_xor_b32 s10, exec_lo, s10
; %bb.2961:
	v_bfe_u32 v6, v3, 21, 1
	s_delay_alu instid0(VALU_DEP_1) | instskip(NEXT) | instid1(VALU_DEP_1)
	v_add3_u32 v6, v3, v6, 0x80fffff
	v_lshrrev_b32_e32 v6, 21, v6
; %bb.2962:
	s_and_not1_saveexec_b32 s10, s10
; %bb.2963:
	v_add_f32_e64 v6, 0x43000000, |v3|
; %bb.2964:
	s_or_b32 exec_lo, exec_lo, s10
                                        ; implicit-def: $vgpr7
.LBB39_2965:
	s_and_not1_saveexec_b32 s3, s3
; %bb.2966:
	v_mov_b32_e32 v6, 0x7f
	v_cmp_lt_u32_e32 vcc_lo, 0x7f800000, v7
	s_delay_alu instid0(VALU_DEP_2)
	v_cndmask_b32_e32 v6, 0x7c, v6, vcc_lo
; %bb.2967:
	s_or_b32 exec_lo, exec_lo, s3
	v_lshrrev_b32_e32 v3, 24, v3
	s_delay_alu instid0(VALU_DEP_1)
	v_and_or_b32 v3, 0x80, v3, v6
	global_store_b8 v[4:5], v3, off
.LBB39_2968:
	s_mov_b32 s3, 0
	s_mov_b32 s10, -1
.LBB39_2969:
	s_and_not1_b32 vcc_lo, exec_lo, s3
	s_mov_b32 s3, 0
	s_cbranch_vccnz .LBB39_2976
; %bb.2970:
	s_cmp_gt_i32 s2, 14
	s_mov_b32 s3, -1
	s_cbranch_scc0 .LBB39_2974
; %bb.2971:
	s_cmp_eq_u32 s2, 15
	s_mov_b32 s0, -1
	s_cbranch_scc0 .LBB39_2973
; %bb.2972:
	s_wait_xcnt 0x0
	v_bfe_i32 v3, v1, 0, 8
	s_mov_b32 s0, 0
	s_mov_b32 s10, -1
	s_delay_alu instid0(VALU_DEP_1) | instskip(NEXT) | instid1(VALU_DEP_1)
	v_bfe_i32 v3, v3, 0, 16
	v_cvt_f32_i32_e32 v3, v3
	s_delay_alu instid0(VALU_DEP_1) | instskip(NEXT) | instid1(VALU_DEP_1)
	v_bfe_u32 v6, v3, 16, 1
	v_add3_u32 v3, v3, v6, 0x7fff
	global_store_d16_hi_b16 v[4:5], v3, off
.LBB39_2973:
	s_mov_b32 s3, 0
.LBB39_2974:
	s_delay_alu instid0(SALU_CYCLE_1)
	s_and_b32 vcc_lo, exec_lo, s3
	s_mov_b32 s3, 0
	s_cbranch_vccz .LBB39_2976
; %bb.2975:
	s_cmp_lg_u32 s2, 11
	s_mov_b32 s3, -1
	s_cselect_b32 s0, -1, 0
.LBB39_2976:
	s_delay_alu instid0(SALU_CYCLE_1)
	s_and_b32 vcc_lo, exec_lo, s0
	s_cbranch_vccnz .LBB39_3270
; %bb.2977:
	s_and_not1_b32 vcc_lo, exec_lo, s3
	s_cbranch_vccnz .LBB39_2979
.LBB39_2978:
	s_wait_xcnt 0x0
	v_and_b32_e32 v3, 0xff, v1
	s_mov_b32 s10, -1
	s_delay_alu instid0(VALU_DEP_1)
	v_cmp_ne_u16_e32 vcc_lo, 0, v3
	v_cndmask_b32_e64 v3, 0, 1, vcc_lo
	global_store_b8 v[4:5], v3, off
.LBB39_2979:
	s_mov_b32 s0, 0
	s_branch .LBB39_2981
.LBB39_2980:
	s_mov_b32 s0, -1
	s_mov_b32 s10, 0
.LBB39_2981:
	s_and_b32 vcc_lo, exec_lo, s0
	s_cbranch_vccz .LBB39_3020
; %bb.2982:
	s_cmp_lt_i32 s2, 5
	s_mov_b32 s0, -1
	s_cbranch_scc1 .LBB39_3003
; %bb.2983:
	s_cmp_lt_i32 s2, 8
	s_cbranch_scc1 .LBB39_2993
; %bb.2984:
	s_cmp_lt_i32 s2, 9
	s_cbranch_scc1 .LBB39_2990
; %bb.2985:
	s_cmp_gt_i32 s2, 9
	s_cbranch_scc0 .LBB39_2987
; %bb.2986:
	s_wait_xcnt 0x0
	v_bfe_i32 v3, v1, 0, 8
	v_mov_b32_e32 v8, 0
	s_mov_b32 s0, 0
	s_delay_alu instid0(VALU_DEP_2) | instskip(NEXT) | instid1(VALU_DEP_2)
	v_bfe_i32 v3, v3, 0, 16
	v_mov_b32_e32 v9, v8
	s_delay_alu instid0(VALU_DEP_2)
	v_cvt_f64_i32_e32 v[6:7], v3
	global_store_b128 v[4:5], v[6:9], off
.LBB39_2987:
	s_and_not1_b32 vcc_lo, exec_lo, s0
	s_cbranch_vccnz .LBB39_2989
; %bb.2988:
	s_wait_xcnt 0x0
	v_bfe_i32 v3, v1, 0, 8
	v_mov_b32_e32 v7, 0
	s_delay_alu instid0(VALU_DEP_2) | instskip(NEXT) | instid1(VALU_DEP_1)
	v_bfe_i32 v3, v3, 0, 16
	v_cvt_f32_i32_e32 v6, v3
	global_store_b64 v[4:5], v[6:7], off
.LBB39_2989:
	s_mov_b32 s0, 0
.LBB39_2990:
	s_delay_alu instid0(SALU_CYCLE_1)
	s_and_not1_b32 vcc_lo, exec_lo, s0
	s_cbranch_vccnz .LBB39_2992
; %bb.2991:
	s_wait_xcnt 0x0
	v_bfe_i32 v3, v1, 0, 8
	s_delay_alu instid0(VALU_DEP_1) | instskip(NEXT) | instid1(VALU_DEP_1)
	v_cvt_f16_i16_e32 v3, v3
	v_and_b32_e32 v3, 0xffff, v3
	global_store_b32 v[4:5], v3, off
.LBB39_2992:
	s_mov_b32 s0, 0
.LBB39_2993:
	s_delay_alu instid0(SALU_CYCLE_1)
	s_and_not1_b32 vcc_lo, exec_lo, s0
	s_cbranch_vccnz .LBB39_3002
; %bb.2994:
	s_cmp_lt_i32 s2, 6
	s_mov_b32 s0, -1
	s_cbranch_scc1 .LBB39_3000
; %bb.2995:
	s_cmp_gt_i32 s2, 6
	s_cbranch_scc0 .LBB39_2997
; %bb.2996:
	s_wait_xcnt 0x0
	v_bfe_i32 v3, v1, 0, 8
	s_mov_b32 s0, 0
	s_delay_alu instid0(VALU_DEP_1) | instskip(NEXT) | instid1(VALU_DEP_1)
	v_bfe_i32 v3, v3, 0, 16
	v_cvt_f64_i32_e32 v[6:7], v3
	global_store_b64 v[4:5], v[6:7], off
.LBB39_2997:
	s_and_not1_b32 vcc_lo, exec_lo, s0
	s_cbranch_vccnz .LBB39_2999
; %bb.2998:
	s_wait_xcnt 0x0
	v_bfe_i32 v3, v1, 0, 8
	s_delay_alu instid0(VALU_DEP_1) | instskip(NEXT) | instid1(VALU_DEP_1)
	v_bfe_i32 v3, v3, 0, 16
	v_cvt_f32_i32_e32 v3, v3
	global_store_b32 v[4:5], v3, off
.LBB39_2999:
	s_mov_b32 s0, 0
.LBB39_3000:
	s_delay_alu instid0(SALU_CYCLE_1)
	s_and_not1_b32 vcc_lo, exec_lo, s0
	s_cbranch_vccnz .LBB39_3002
; %bb.3001:
	s_wait_xcnt 0x0
	v_bfe_i32 v3, v1, 0, 8
	s_delay_alu instid0(VALU_DEP_1)
	v_cvt_f16_i16_e32 v3, v3
	global_store_b16 v[4:5], v3, off
.LBB39_3002:
	s_mov_b32 s0, 0
.LBB39_3003:
	s_delay_alu instid0(SALU_CYCLE_1)
	s_and_not1_b32 vcc_lo, exec_lo, s0
	s_cbranch_vccnz .LBB39_3019
; %bb.3004:
	s_cmp_lt_i32 s2, 2
	s_mov_b32 s0, -1
	s_cbranch_scc1 .LBB39_3014
; %bb.3005:
	s_cmp_lt_i32 s2, 3
	s_cbranch_scc1 .LBB39_3011
; %bb.3006:
	s_cmp_gt_i32 s2, 3
	s_cbranch_scc0 .LBB39_3008
; %bb.3007:
	s_wait_xcnt 0x0
	v_bfe_i32 v6, v1, 0, 8
	s_mov_b32 s0, 0
	s_delay_alu instid0(VALU_DEP_1)
	v_ashrrev_i32_e32 v7, 31, v6
	global_store_b64 v[4:5], v[6:7], off
.LBB39_3008:
	s_and_not1_b32 vcc_lo, exec_lo, s0
	s_cbranch_vccnz .LBB39_3010
; %bb.3009:
	s_wait_xcnt 0x0
	v_bfe_i32 v3, v1, 0, 8
	global_store_b32 v[4:5], v3, off
.LBB39_3010:
	s_mov_b32 s0, 0
.LBB39_3011:
	s_delay_alu instid0(SALU_CYCLE_1)
	s_and_not1_b32 vcc_lo, exec_lo, s0
	s_cbranch_vccnz .LBB39_3013
; %bb.3012:
	s_wait_xcnt 0x0
	v_bfe_i32 v3, v1, 0, 8
	global_store_b16 v[4:5], v3, off
.LBB39_3013:
	s_mov_b32 s0, 0
.LBB39_3014:
	s_delay_alu instid0(SALU_CYCLE_1)
	s_and_not1_b32 vcc_lo, exec_lo, s0
	s_cbranch_vccnz .LBB39_3019
; %bb.3015:
	s_cmp_gt_i32 s2, 0
	s_mov_b32 s0, -1
	s_cbranch_scc0 .LBB39_3017
; %bb.3016:
	s_mov_b32 s0, 0
	global_store_b8 v[4:5], v1, off
.LBB39_3017:
	s_and_not1_b32 vcc_lo, exec_lo, s0
	s_cbranch_vccnz .LBB39_3019
; %bb.3018:
	global_store_b8 v[4:5], v1, off
.LBB39_3019:
	s_mov_b32 s10, -1
.LBB39_3020:
	s_delay_alu instid0(SALU_CYCLE_1)
	s_and_not1_b32 vcc_lo, exec_lo, s10
	s_cbranch_vccnz .LBB39_3216
; %bb.3021:
	s_wait_xcnt 0x0
	v_mov_b32_e32 v3, 0
	v_mul_lo_u16 v1, v22, s9
	s_cmp_lt_i32 s2, 11
	s_delay_alu instid0(VALU_DEP_2) | instskip(NEXT) | instid1(VALU_DEP_2)
	v_add_nc_u64_e32 v[2:3], s[4:5], v[2:3]
	v_mul_lo_u16 v1, v1, v20
	s_cbranch_scc1 .LBB39_3099
; %bb.3022:
	s_mov_b32 s11, -1
	s_mov_b32 s3, 0
	s_cmp_gt_i32 s2, 25
	s_mov_b32 s10, 0
	s_mov_b32 s0, 0
	s_cbranch_scc0 .LBB39_3055
; %bb.3023:
	s_cmp_gt_i32 s2, 28
	s_cbranch_scc0 .LBB39_3038
; %bb.3024:
	s_cmp_gt_i32 s2, 43
	;; [unrolled: 3-line block ×3, first 2 shown]
	s_cbranch_scc0 .LBB39_3028
; %bb.3026:
	s_mov_b32 s0, -1
	s_mov_b32 s11, 0
	s_cmp_eq_u32 s2, 46
	s_cbranch_scc0 .LBB39_3028
; %bb.3027:
	v_bfe_i32 v4, v1, 0, 8
	s_mov_b32 s0, 0
	s_mov_b32 s10, -1
	s_delay_alu instid0(VALU_DEP_1) | instskip(NEXT) | instid1(VALU_DEP_1)
	v_bfe_i32 v4, v4, 0, 16
	v_cvt_f32_i32_e32 v4, v4
	s_delay_alu instid0(VALU_DEP_1) | instskip(NEXT) | instid1(VALU_DEP_1)
	v_bfe_u32 v5, v4, 16, 1
	v_add3_u32 v4, v4, v5, 0x7fff
	s_delay_alu instid0(VALU_DEP_1)
	v_lshrrev_b32_e32 v4, 16, v4
	global_store_b32 v[2:3], v4, off
.LBB39_3028:
	s_and_b32 vcc_lo, exec_lo, s11
	s_cbranch_vccz .LBB39_3033
; %bb.3029:
	s_cmp_eq_u32 s2, 44
	s_mov_b32 s0, -1
	s_cbranch_scc0 .LBB39_3033
; %bb.3030:
	s_wait_xcnt 0x0
	v_bfe_i32 v4, v1, 0, 8
	v_mov_b32_e32 v5, 0xff
	s_mov_b32 s10, exec_lo
	s_delay_alu instid0(VALU_DEP_2) | instskip(NEXT) | instid1(VALU_DEP_1)
	v_bfe_i32 v4, v4, 0, 16
	v_cvt_f32_i32_e32 v4, v4
	s_delay_alu instid0(VALU_DEP_1) | instskip(NEXT) | instid1(VALU_DEP_1)
	v_bfe_u32 v6, v4, 23, 8
	v_cmpx_ne_u32_e32 0xff, v6
	s_cbranch_execz .LBB39_3032
; %bb.3031:
	v_and_b32_e32 v5, 0x400000, v4
	v_and_or_b32 v6, 0x3fffff, v4, v6
	v_lshrrev_b32_e32 v4, 23, v4
	s_delay_alu instid0(VALU_DEP_3) | instskip(NEXT) | instid1(VALU_DEP_3)
	v_cmp_ne_u32_e32 vcc_lo, 0, v5
	v_cmp_ne_u32_e64 s0, 0, v6
	s_and_b32 s0, vcc_lo, s0
	s_delay_alu instid0(SALU_CYCLE_1) | instskip(NEXT) | instid1(VALU_DEP_1)
	v_cndmask_b32_e64 v5, 0, 1, s0
	v_add_nc_u32_e32 v5, v4, v5
.LBB39_3032:
	s_or_b32 exec_lo, exec_lo, s10
	s_mov_b32 s0, 0
	s_mov_b32 s10, -1
	global_store_b8 v[2:3], v5, off
.LBB39_3033:
	s_mov_b32 s11, 0
.LBB39_3034:
	s_delay_alu instid0(SALU_CYCLE_1)
	s_and_b32 vcc_lo, exec_lo, s11
	s_cbranch_vccz .LBB39_3037
; %bb.3035:
	s_cmp_eq_u32 s2, 29
	s_mov_b32 s0, -1
	s_cbranch_scc0 .LBB39_3037
; %bb.3036:
	s_wait_xcnt 0x0
	v_bfe_i32 v4, v1, 0, 8
	s_mov_b32 s0, 0
	s_mov_b32 s10, -1
	s_delay_alu instid0(VALU_DEP_1)
	v_ashrrev_i32_e32 v5, 31, v4
	global_store_b64 v[2:3], v[4:5], off
.LBB39_3037:
	s_mov_b32 s11, 0
.LBB39_3038:
	s_delay_alu instid0(SALU_CYCLE_1)
	s_and_b32 vcc_lo, exec_lo, s11
	s_cbranch_vccz .LBB39_3054
; %bb.3039:
	s_cmp_lt_i32 s2, 27
	s_mov_b32 s10, -1
	s_cbranch_scc1 .LBB39_3045
; %bb.3040:
	s_cmp_gt_i32 s2, 27
	s_cbranch_scc0 .LBB39_3042
; %bb.3041:
	s_wait_xcnt 0x0
	v_bfe_i32 v4, v1, 0, 8
	s_mov_b32 s10, 0
	global_store_b32 v[2:3], v4, off
.LBB39_3042:
	s_and_not1_b32 vcc_lo, exec_lo, s10
	s_cbranch_vccnz .LBB39_3044
; %bb.3043:
	s_wait_xcnt 0x0
	v_bfe_i32 v4, v1, 0, 8
	global_store_b16 v[2:3], v4, off
.LBB39_3044:
	s_mov_b32 s10, 0
.LBB39_3045:
	s_delay_alu instid0(SALU_CYCLE_1)
	s_and_not1_b32 vcc_lo, exec_lo, s10
	s_cbranch_vccnz .LBB39_3053
; %bb.3046:
	s_wait_xcnt 0x0
	v_bfe_i32 v4, v1, 0, 8
	v_mov_b32_e32 v6, 0x80
	s_mov_b32 s10, exec_lo
	s_delay_alu instid0(VALU_DEP_2) | instskip(NEXT) | instid1(VALU_DEP_1)
	v_bfe_i32 v4, v4, 0, 16
	v_cvt_f32_i32_e32 v4, v4
	s_delay_alu instid0(VALU_DEP_1) | instskip(NEXT) | instid1(VALU_DEP_1)
	v_and_b32_e32 v5, 0x7fffffff, v4
	v_cmpx_gt_u32_e32 0x43800000, v5
	s_cbranch_execz .LBB39_3052
; %bb.3047:
	v_cmp_lt_u32_e32 vcc_lo, 0x3bffffff, v5
	s_mov_b32 s11, 0
                                        ; implicit-def: $vgpr5
	s_and_saveexec_b32 s12, vcc_lo
	s_delay_alu instid0(SALU_CYCLE_1)
	s_xor_b32 s12, exec_lo, s12
	s_cbranch_execz .LBB39_3273
; %bb.3048:
	v_bfe_u32 v5, v4, 20, 1
	s_mov_b32 s11, exec_lo
	s_delay_alu instid0(VALU_DEP_1) | instskip(NEXT) | instid1(VALU_DEP_1)
	v_add3_u32 v5, v4, v5, 0x487ffff
	v_lshrrev_b32_e32 v5, 20, v5
	s_and_not1_saveexec_b32 s12, s12
	s_cbranch_execnz .LBB39_3274
.LBB39_3049:
	s_or_b32 exec_lo, exec_lo, s12
	v_mov_b32_e32 v6, 0
	s_and_saveexec_b32 s12, s11
.LBB39_3050:
	v_lshrrev_b32_e32 v4, 24, v4
	s_delay_alu instid0(VALU_DEP_1)
	v_and_or_b32 v6, 0x80, v4, v5
.LBB39_3051:
	s_or_b32 exec_lo, exec_lo, s12
.LBB39_3052:
	s_delay_alu instid0(SALU_CYCLE_1)
	s_or_b32 exec_lo, exec_lo, s10
	global_store_b8 v[2:3], v6, off
.LBB39_3053:
	s_mov_b32 s10, -1
.LBB39_3054:
	s_mov_b32 s11, 0
.LBB39_3055:
	s_delay_alu instid0(SALU_CYCLE_1)
	s_and_b32 vcc_lo, exec_lo, s11
	s_cbranch_vccz .LBB39_3095
; %bb.3056:
	s_cmp_gt_i32 s2, 22
	s_mov_b32 s3, -1
	s_cbranch_scc0 .LBB39_3088
; %bb.3057:
	s_cmp_lt_i32 s2, 24
	s_cbranch_scc1 .LBB39_3077
; %bb.3058:
	s_cmp_gt_i32 s2, 24
	s_cbranch_scc0 .LBB39_3066
; %bb.3059:
	s_wait_xcnt 0x0
	v_bfe_i32 v4, v1, 0, 8
	v_mov_b32_e32 v6, 0x80
	s_mov_b32 s3, exec_lo
	s_delay_alu instid0(VALU_DEP_2) | instskip(NEXT) | instid1(VALU_DEP_1)
	v_bfe_i32 v4, v4, 0, 16
	v_cvt_f32_i32_e32 v4, v4
	s_delay_alu instid0(VALU_DEP_1) | instskip(NEXT) | instid1(VALU_DEP_1)
	v_and_b32_e32 v5, 0x7fffffff, v4
	v_cmpx_gt_u32_e32 0x47800000, v5
	s_cbranch_execz .LBB39_3065
; %bb.3060:
	v_cmp_lt_u32_e32 vcc_lo, 0x37ffffff, v5
	s_mov_b32 s10, 0
                                        ; implicit-def: $vgpr5
	s_and_saveexec_b32 s11, vcc_lo
	s_delay_alu instid0(SALU_CYCLE_1)
	s_xor_b32 s11, exec_lo, s11
	s_cbranch_execz .LBB39_3276
; %bb.3061:
	v_bfe_u32 v5, v4, 21, 1
	s_mov_b32 s10, exec_lo
	s_delay_alu instid0(VALU_DEP_1) | instskip(NEXT) | instid1(VALU_DEP_1)
	v_add3_u32 v5, v4, v5, 0x88fffff
	v_lshrrev_b32_e32 v5, 21, v5
	s_and_not1_saveexec_b32 s11, s11
	s_cbranch_execnz .LBB39_3277
.LBB39_3062:
	s_or_b32 exec_lo, exec_lo, s11
	v_mov_b32_e32 v6, 0
	s_and_saveexec_b32 s11, s10
.LBB39_3063:
	v_lshrrev_b32_e32 v4, 24, v4
	s_delay_alu instid0(VALU_DEP_1)
	v_and_or_b32 v6, 0x80, v4, v5
.LBB39_3064:
	s_or_b32 exec_lo, exec_lo, s11
.LBB39_3065:
	s_delay_alu instid0(SALU_CYCLE_1)
	s_or_b32 exec_lo, exec_lo, s3
	s_mov_b32 s3, 0
	global_store_b8 v[2:3], v6, off
.LBB39_3066:
	s_and_b32 vcc_lo, exec_lo, s3
	s_cbranch_vccz .LBB39_3076
; %bb.3067:
	s_wait_xcnt 0x0
	v_bfe_i32 v4, v1, 0, 8
	s_mov_b32 s3, exec_lo
                                        ; implicit-def: $vgpr5
	s_delay_alu instid0(VALU_DEP_1) | instskip(NEXT) | instid1(VALU_DEP_1)
	v_bfe_i32 v4, v4, 0, 16
	v_cvt_f32_i32_e32 v4, v4
	s_delay_alu instid0(VALU_DEP_1) | instskip(NEXT) | instid1(VALU_DEP_1)
	v_and_b32_e32 v6, 0x7fffffff, v4
	v_cmpx_gt_u32_e32 0x43f00000, v6
	s_xor_b32 s3, exec_lo, s3
	s_cbranch_execz .LBB39_3073
; %bb.3068:
	s_mov_b32 s10, exec_lo
                                        ; implicit-def: $vgpr5
	v_cmpx_lt_u32_e32 0x3c7fffff, v6
	s_xor_b32 s10, exec_lo, s10
; %bb.3069:
	v_bfe_u32 v5, v4, 20, 1
	s_delay_alu instid0(VALU_DEP_1) | instskip(NEXT) | instid1(VALU_DEP_1)
	v_add3_u32 v5, v4, v5, 0x407ffff
	v_and_b32_e32 v6, 0xff00000, v5
	v_lshrrev_b32_e32 v5, 20, v5
	s_delay_alu instid0(VALU_DEP_2) | instskip(NEXT) | instid1(VALU_DEP_2)
	v_cmp_ne_u32_e32 vcc_lo, 0x7f00000, v6
	v_cndmask_b32_e32 v5, 0x7e, v5, vcc_lo
; %bb.3070:
	s_and_not1_saveexec_b32 s10, s10
; %bb.3071:
	v_add_f32_e64 v5, 0x46800000, |v4|
; %bb.3072:
	s_or_b32 exec_lo, exec_lo, s10
                                        ; implicit-def: $vgpr6
.LBB39_3073:
	s_and_not1_saveexec_b32 s3, s3
; %bb.3074:
	v_mov_b32_e32 v5, 0x7f
	v_cmp_lt_u32_e32 vcc_lo, 0x7f800000, v6
	s_delay_alu instid0(VALU_DEP_2)
	v_cndmask_b32_e32 v5, 0x7e, v5, vcc_lo
; %bb.3075:
	s_or_b32 exec_lo, exec_lo, s3
	v_lshrrev_b32_e32 v4, 24, v4
	s_delay_alu instid0(VALU_DEP_1)
	v_and_or_b32 v4, 0x80, v4, v5
	global_store_b8 v[2:3], v4, off
.LBB39_3076:
	s_mov_b32 s3, 0
.LBB39_3077:
	s_delay_alu instid0(SALU_CYCLE_1)
	s_and_not1_b32 vcc_lo, exec_lo, s3
	s_cbranch_vccnz .LBB39_3087
; %bb.3078:
	s_wait_xcnt 0x0
	v_bfe_i32 v4, v1, 0, 8
	s_mov_b32 s3, exec_lo
                                        ; implicit-def: $vgpr5
	s_delay_alu instid0(VALU_DEP_1) | instskip(NEXT) | instid1(VALU_DEP_1)
	v_bfe_i32 v4, v4, 0, 16
	v_cvt_f32_i32_e32 v4, v4
	s_delay_alu instid0(VALU_DEP_1) | instskip(NEXT) | instid1(VALU_DEP_1)
	v_and_b32_e32 v6, 0x7fffffff, v4
	v_cmpx_gt_u32_e32 0x47800000, v6
	s_xor_b32 s3, exec_lo, s3
	s_cbranch_execz .LBB39_3084
; %bb.3079:
	s_mov_b32 s10, exec_lo
                                        ; implicit-def: $vgpr5
	v_cmpx_lt_u32_e32 0x387fffff, v6
	s_xor_b32 s10, exec_lo, s10
; %bb.3080:
	v_bfe_u32 v5, v4, 21, 1
	s_delay_alu instid0(VALU_DEP_1) | instskip(NEXT) | instid1(VALU_DEP_1)
	v_add3_u32 v5, v4, v5, 0x80fffff
	v_lshrrev_b32_e32 v5, 21, v5
; %bb.3081:
	s_and_not1_saveexec_b32 s10, s10
; %bb.3082:
	v_add_f32_e64 v5, 0x43000000, |v4|
; %bb.3083:
	s_or_b32 exec_lo, exec_lo, s10
                                        ; implicit-def: $vgpr6
.LBB39_3084:
	s_and_not1_saveexec_b32 s3, s3
; %bb.3085:
	v_mov_b32_e32 v5, 0x7f
	v_cmp_lt_u32_e32 vcc_lo, 0x7f800000, v6
	s_delay_alu instid0(VALU_DEP_2)
	v_cndmask_b32_e32 v5, 0x7c, v5, vcc_lo
; %bb.3086:
	s_or_b32 exec_lo, exec_lo, s3
	v_lshrrev_b32_e32 v4, 24, v4
	s_delay_alu instid0(VALU_DEP_1)
	v_and_or_b32 v4, 0x80, v4, v5
	global_store_b8 v[2:3], v4, off
.LBB39_3087:
	s_mov_b32 s3, 0
	s_mov_b32 s10, -1
.LBB39_3088:
	s_and_not1_b32 vcc_lo, exec_lo, s3
	s_mov_b32 s3, 0
	s_cbranch_vccnz .LBB39_3095
; %bb.3089:
	s_cmp_gt_i32 s2, 14
	s_mov_b32 s3, -1
	s_cbranch_scc0 .LBB39_3093
; %bb.3090:
	s_cmp_eq_u32 s2, 15
	s_mov_b32 s0, -1
	s_cbranch_scc0 .LBB39_3092
; %bb.3091:
	s_wait_xcnt 0x0
	v_bfe_i32 v4, v1, 0, 8
	s_mov_b32 s0, 0
	s_mov_b32 s10, -1
	s_delay_alu instid0(VALU_DEP_1) | instskip(NEXT) | instid1(VALU_DEP_1)
	v_bfe_i32 v4, v4, 0, 16
	v_cvt_f32_i32_e32 v4, v4
	s_delay_alu instid0(VALU_DEP_1) | instskip(NEXT) | instid1(VALU_DEP_1)
	v_bfe_u32 v5, v4, 16, 1
	v_add3_u32 v4, v4, v5, 0x7fff
	global_store_d16_hi_b16 v[2:3], v4, off
.LBB39_3092:
	s_mov_b32 s3, 0
.LBB39_3093:
	s_delay_alu instid0(SALU_CYCLE_1)
	s_and_b32 vcc_lo, exec_lo, s3
	s_mov_b32 s3, 0
	s_cbranch_vccz .LBB39_3095
; %bb.3094:
	s_cmp_lg_u32 s2, 11
	s_mov_b32 s3, -1
	s_cselect_b32 s0, -1, 0
.LBB39_3095:
	s_delay_alu instid0(SALU_CYCLE_1)
	s_and_b32 vcc_lo, exec_lo, s0
	s_cbranch_vccnz .LBB39_3275
; %bb.3096:
	s_and_not1_b32 vcc_lo, exec_lo, s3
	s_cbranch_vccnz .LBB39_3098
.LBB39_3097:
	s_wait_xcnt 0x0
	v_and_b32_e32 v4, 0xff, v1
	s_mov_b32 s10, -1
	s_delay_alu instid0(VALU_DEP_1)
	v_cmp_ne_u16_e32 vcc_lo, 0, v4
	v_cndmask_b32_e64 v4, 0, 1, vcc_lo
	global_store_b8 v[2:3], v4, off
.LBB39_3098:
	s_mov_b32 s0, 0
	s_branch .LBB39_3100
.LBB39_3099:
	s_mov_b32 s0, -1
	s_mov_b32 s10, 0
.LBB39_3100:
	s_and_b32 vcc_lo, exec_lo, s0
	s_cbranch_vccz .LBB39_3139
; %bb.3101:
	s_cmp_lt_i32 s2, 5
	s_mov_b32 s0, -1
	s_cbranch_scc1 .LBB39_3122
; %bb.3102:
	s_cmp_lt_i32 s2, 8
	s_cbranch_scc1 .LBB39_3112
; %bb.3103:
	s_cmp_lt_i32 s2, 9
	s_cbranch_scc1 .LBB39_3109
; %bb.3104:
	s_cmp_gt_i32 s2, 9
	s_cbranch_scc0 .LBB39_3106
; %bb.3105:
	s_wait_xcnt 0x0
	v_bfe_i32 v4, v1, 0, 8
	v_mov_b32_e32 v6, 0
	s_mov_b32 s0, 0
	s_delay_alu instid0(VALU_DEP_2) | instskip(NEXT) | instid1(VALU_DEP_2)
	v_bfe_i32 v4, v4, 0, 16
	v_mov_b32_e32 v7, v6
	s_delay_alu instid0(VALU_DEP_2)
	v_cvt_f64_i32_e32 v[4:5], v4
	global_store_b128 v[2:3], v[4:7], off
.LBB39_3106:
	s_and_not1_b32 vcc_lo, exec_lo, s0
	s_cbranch_vccnz .LBB39_3108
; %bb.3107:
	s_wait_xcnt 0x0
	v_bfe_i32 v4, v1, 0, 8
	v_mov_b32_e32 v5, 0
	s_delay_alu instid0(VALU_DEP_2) | instskip(NEXT) | instid1(VALU_DEP_1)
	v_bfe_i32 v4, v4, 0, 16
	v_cvt_f32_i32_e32 v4, v4
	global_store_b64 v[2:3], v[4:5], off
.LBB39_3108:
	s_mov_b32 s0, 0
.LBB39_3109:
	s_delay_alu instid0(SALU_CYCLE_1)
	s_and_not1_b32 vcc_lo, exec_lo, s0
	s_cbranch_vccnz .LBB39_3111
; %bb.3110:
	s_wait_xcnt 0x0
	v_bfe_i32 v4, v1, 0, 8
	s_delay_alu instid0(VALU_DEP_1) | instskip(NEXT) | instid1(VALU_DEP_1)
	v_cvt_f16_i16_e32 v4, v4
	v_and_b32_e32 v4, 0xffff, v4
	global_store_b32 v[2:3], v4, off
.LBB39_3111:
	s_mov_b32 s0, 0
.LBB39_3112:
	s_delay_alu instid0(SALU_CYCLE_1)
	s_and_not1_b32 vcc_lo, exec_lo, s0
	s_cbranch_vccnz .LBB39_3121
; %bb.3113:
	s_cmp_lt_i32 s2, 6
	s_mov_b32 s0, -1
	s_cbranch_scc1 .LBB39_3119
; %bb.3114:
	s_cmp_gt_i32 s2, 6
	s_cbranch_scc0 .LBB39_3116
; %bb.3115:
	s_wait_xcnt 0x0
	v_bfe_i32 v4, v1, 0, 8
	s_mov_b32 s0, 0
	s_delay_alu instid0(VALU_DEP_1) | instskip(NEXT) | instid1(VALU_DEP_1)
	v_bfe_i32 v4, v4, 0, 16
	v_cvt_f64_i32_e32 v[4:5], v4
	global_store_b64 v[2:3], v[4:5], off
.LBB39_3116:
	s_and_not1_b32 vcc_lo, exec_lo, s0
	s_cbranch_vccnz .LBB39_3118
; %bb.3117:
	s_wait_xcnt 0x0
	v_bfe_i32 v4, v1, 0, 8
	s_delay_alu instid0(VALU_DEP_1) | instskip(NEXT) | instid1(VALU_DEP_1)
	v_bfe_i32 v4, v4, 0, 16
	v_cvt_f32_i32_e32 v4, v4
	global_store_b32 v[2:3], v4, off
.LBB39_3118:
	s_mov_b32 s0, 0
.LBB39_3119:
	s_delay_alu instid0(SALU_CYCLE_1)
	s_and_not1_b32 vcc_lo, exec_lo, s0
	s_cbranch_vccnz .LBB39_3121
; %bb.3120:
	s_wait_xcnt 0x0
	v_bfe_i32 v4, v1, 0, 8
	s_delay_alu instid0(VALU_DEP_1)
	v_cvt_f16_i16_e32 v4, v4
	global_store_b16 v[2:3], v4, off
.LBB39_3121:
	s_mov_b32 s0, 0
.LBB39_3122:
	s_delay_alu instid0(SALU_CYCLE_1)
	s_and_not1_b32 vcc_lo, exec_lo, s0
	s_cbranch_vccnz .LBB39_3138
; %bb.3123:
	s_cmp_lt_i32 s2, 2
	s_mov_b32 s0, -1
	s_cbranch_scc1 .LBB39_3133
; %bb.3124:
	s_cmp_lt_i32 s2, 3
	s_cbranch_scc1 .LBB39_3130
; %bb.3125:
	s_cmp_gt_i32 s2, 3
	s_cbranch_scc0 .LBB39_3127
; %bb.3126:
	s_wait_xcnt 0x0
	v_bfe_i32 v4, v1, 0, 8
	s_mov_b32 s0, 0
	s_delay_alu instid0(VALU_DEP_1)
	v_ashrrev_i32_e32 v5, 31, v4
	global_store_b64 v[2:3], v[4:5], off
.LBB39_3127:
	s_and_not1_b32 vcc_lo, exec_lo, s0
	s_cbranch_vccnz .LBB39_3129
; %bb.3128:
	s_wait_xcnt 0x0
	v_bfe_i32 v4, v1, 0, 8
	global_store_b32 v[2:3], v4, off
.LBB39_3129:
	s_mov_b32 s0, 0
.LBB39_3130:
	s_delay_alu instid0(SALU_CYCLE_1)
	s_and_not1_b32 vcc_lo, exec_lo, s0
	s_cbranch_vccnz .LBB39_3132
; %bb.3131:
	s_wait_xcnt 0x0
	v_bfe_i32 v4, v1, 0, 8
	global_store_b16 v[2:3], v4, off
.LBB39_3132:
	s_mov_b32 s0, 0
.LBB39_3133:
	s_delay_alu instid0(SALU_CYCLE_1)
	s_and_not1_b32 vcc_lo, exec_lo, s0
	s_cbranch_vccnz .LBB39_3138
; %bb.3134:
	s_cmp_gt_i32 s2, 0
	s_mov_b32 s0, -1
	s_cbranch_scc0 .LBB39_3136
; %bb.3135:
	s_mov_b32 s0, 0
	global_store_b8 v[2:3], v1, off
.LBB39_3136:
	s_and_not1_b32 vcc_lo, exec_lo, s0
	s_cbranch_vccnz .LBB39_3138
; %bb.3137:
	global_store_b8 v[2:3], v1, off
.LBB39_3138:
	s_mov_b32 s10, -1
.LBB39_3139:
	s_delay_alu instid0(SALU_CYCLE_1)
	s_and_not1_b32 vcc_lo, exec_lo, s10
	s_cbranch_vccnz .LBB39_3216
; %bb.3140:
	s_wait_xcnt 0x0
	v_mov_b32_e32 v1, 0
	v_mul_lo_u16 v4, v16, s9
	s_cmp_lt_i32 s2, 11
	s_delay_alu instid0(VALU_DEP_2) | instskip(NEXT) | instid1(VALU_DEP_2)
	v_add_nc_u64_e32 v[2:3], s[4:5], v[0:1]
	v_mul_lo_u16 v1, v4, v10
	s_cbranch_scc1 .LBB39_3261
; %bb.3141:
	s_mov_b32 s4, -1
	s_mov_b32 s3, 0
	s_cmp_gt_i32 s2, 25
	s_mov_b32 s0, 0
	s_cbranch_scc0 .LBB39_3174
; %bb.3142:
	s_cmp_gt_i32 s2, 28
	s_cbranch_scc0 .LBB39_3158
; %bb.3143:
	s_cmp_gt_i32 s2, 43
	s_cbranch_scc0 .LBB39_3154
; %bb.3144:
	s_cmp_gt_i32 s2, 45
	s_cbranch_scc0 .LBB39_3148
; %bb.3145:
	s_cmp_eq_u32 s2, 46
	s_mov_b32 s0, -1
	s_cbranch_scc0 .LBB39_3147
; %bb.3146:
	v_bfe_i32 v0, v1, 0, 8
	s_mov_b32 s0, 0
	s_delay_alu instid0(VALU_DEP_1) | instskip(NEXT) | instid1(VALU_DEP_1)
	v_bfe_i32 v0, v0, 0, 16
	v_cvt_f32_i32_e32 v0, v0
	s_delay_alu instid0(VALU_DEP_1) | instskip(NEXT) | instid1(VALU_DEP_1)
	v_bfe_u32 v4, v0, 16, 1
	v_add3_u32 v0, v0, v4, 0x7fff
	s_delay_alu instid0(VALU_DEP_1)
	v_lshrrev_b32_e32 v0, 16, v0
	global_store_b32 v[2:3], v0, off
.LBB39_3147:
	s_mov_b32 s4, 0
.LBB39_3148:
	s_delay_alu instid0(SALU_CYCLE_1)
	s_and_b32 vcc_lo, exec_lo, s4
	s_cbranch_vccz .LBB39_3153
; %bb.3149:
	s_cmp_eq_u32 s2, 44
	s_mov_b32 s0, -1
	s_cbranch_scc0 .LBB39_3153
; %bb.3150:
	s_wait_xcnt 0x0
	v_bfe_i32 v0, v1, 0, 8
	v_mov_b32_e32 v4, 0xff
	s_mov_b32 s4, exec_lo
	s_delay_alu instid0(VALU_DEP_2) | instskip(NEXT) | instid1(VALU_DEP_1)
	v_bfe_i32 v0, v0, 0, 16
	v_cvt_f32_i32_e32 v0, v0
	s_delay_alu instid0(VALU_DEP_1) | instskip(NEXT) | instid1(VALU_DEP_1)
	v_bfe_u32 v5, v0, 23, 8
	v_cmpx_ne_u32_e32 0xff, v5
	s_cbranch_execz .LBB39_3152
; %bb.3151:
	v_and_b32_e32 v4, 0x400000, v0
	v_and_or_b32 v5, 0x3fffff, v0, v5
	v_lshrrev_b32_e32 v0, 23, v0
	s_delay_alu instid0(VALU_DEP_3) | instskip(NEXT) | instid1(VALU_DEP_3)
	v_cmp_ne_u32_e32 vcc_lo, 0, v4
	v_cmp_ne_u32_e64 s0, 0, v5
	s_and_b32 s0, vcc_lo, s0
	s_delay_alu instid0(SALU_CYCLE_1) | instskip(NEXT) | instid1(VALU_DEP_1)
	v_cndmask_b32_e64 v4, 0, 1, s0
	v_add_nc_u32_e32 v4, v0, v4
.LBB39_3152:
	s_or_b32 exec_lo, exec_lo, s4
	s_mov_b32 s0, 0
	global_store_b8 v[2:3], v4, off
.LBB39_3153:
	s_mov_b32 s4, 0
.LBB39_3154:
	s_delay_alu instid0(SALU_CYCLE_1)
	s_and_b32 vcc_lo, exec_lo, s4
	s_cbranch_vccz .LBB39_3157
; %bb.3155:
	s_cmp_eq_u32 s2, 29
	s_mov_b32 s0, -1
	s_cbranch_scc0 .LBB39_3157
; %bb.3156:
	s_wait_xcnt 0x0
	v_bfe_i32 v4, v1, 0, 8
	s_mov_b32 s0, 0
	s_delay_alu instid0(VALU_DEP_1)
	v_ashrrev_i32_e32 v5, 31, v4
	global_store_b64 v[2:3], v[4:5], off
.LBB39_3157:
	s_mov_b32 s4, 0
.LBB39_3158:
	s_delay_alu instid0(SALU_CYCLE_1)
	s_and_b32 vcc_lo, exec_lo, s4
	s_cbranch_vccz .LBB39_3173
; %bb.3159:
	s_cmp_lt_i32 s2, 27
	s_mov_b32 s4, -1
	s_cbranch_scc1 .LBB39_3165
; %bb.3160:
	s_cmp_gt_i32 s2, 27
	s_cbranch_scc0 .LBB39_3162
; %bb.3161:
	s_wait_xcnt 0x0
	v_bfe_i32 v0, v1, 0, 8
	s_mov_b32 s4, 0
	global_store_b32 v[2:3], v0, off
.LBB39_3162:
	s_and_not1_b32 vcc_lo, exec_lo, s4
	s_cbranch_vccnz .LBB39_3164
; %bb.3163:
	s_wait_xcnt 0x0
	v_bfe_i32 v0, v1, 0, 8
	global_store_b16 v[2:3], v0, off
.LBB39_3164:
	s_mov_b32 s4, 0
.LBB39_3165:
	s_delay_alu instid0(SALU_CYCLE_1)
	s_and_not1_b32 vcc_lo, exec_lo, s4
	s_cbranch_vccnz .LBB39_3173
; %bb.3166:
	s_wait_xcnt 0x0
	v_bfe_i32 v0, v1, 0, 8
	v_mov_b32_e32 v5, 0x80
	s_mov_b32 s4, exec_lo
	s_delay_alu instid0(VALU_DEP_2) | instskip(NEXT) | instid1(VALU_DEP_1)
	v_bfe_i32 v0, v0, 0, 16
	v_cvt_f32_i32_e32 v0, v0
	s_delay_alu instid0(VALU_DEP_1) | instskip(NEXT) | instid1(VALU_DEP_1)
	v_and_b32_e32 v4, 0x7fffffff, v0
	v_cmpx_gt_u32_e32 0x43800000, v4
	s_cbranch_execz .LBB39_3172
; %bb.3167:
	v_cmp_lt_u32_e32 vcc_lo, 0x3bffffff, v4
	s_mov_b32 s5, 0
                                        ; implicit-def: $vgpr4
	s_and_saveexec_b32 s9, vcc_lo
	s_delay_alu instid0(SALU_CYCLE_1)
	s_xor_b32 s9, exec_lo, s9
	s_cbranch_execz .LBB39_3278
; %bb.3168:
	v_bfe_u32 v4, v0, 20, 1
	s_mov_b32 s5, exec_lo
	s_delay_alu instid0(VALU_DEP_1) | instskip(NEXT) | instid1(VALU_DEP_1)
	v_add3_u32 v4, v0, v4, 0x487ffff
	v_lshrrev_b32_e32 v4, 20, v4
	s_and_not1_saveexec_b32 s9, s9
	s_cbranch_execnz .LBB39_3279
.LBB39_3169:
	s_or_b32 exec_lo, exec_lo, s9
	v_mov_b32_e32 v5, 0
	s_and_saveexec_b32 s9, s5
.LBB39_3170:
	v_lshrrev_b32_e32 v0, 24, v0
	s_delay_alu instid0(VALU_DEP_1)
	v_and_or_b32 v5, 0x80, v0, v4
.LBB39_3171:
	s_or_b32 exec_lo, exec_lo, s9
.LBB39_3172:
	s_delay_alu instid0(SALU_CYCLE_1)
	s_or_b32 exec_lo, exec_lo, s4
	global_store_b8 v[2:3], v5, off
.LBB39_3173:
	s_mov_b32 s4, 0
.LBB39_3174:
	s_delay_alu instid0(SALU_CYCLE_1)
	s_and_b32 vcc_lo, exec_lo, s4
	s_cbranch_vccz .LBB39_3214
; %bb.3175:
	s_cmp_gt_i32 s2, 22
	s_mov_b32 s3, -1
	s_cbranch_scc0 .LBB39_3207
; %bb.3176:
	s_cmp_lt_i32 s2, 24
	s_cbranch_scc1 .LBB39_3196
; %bb.3177:
	s_cmp_gt_i32 s2, 24
	s_cbranch_scc0 .LBB39_3185
; %bb.3178:
	s_wait_xcnt 0x0
	v_bfe_i32 v0, v1, 0, 8
	v_mov_b32_e32 v5, 0x80
	s_mov_b32 s3, exec_lo
	s_delay_alu instid0(VALU_DEP_2) | instskip(NEXT) | instid1(VALU_DEP_1)
	v_bfe_i32 v0, v0, 0, 16
	v_cvt_f32_i32_e32 v0, v0
	s_delay_alu instid0(VALU_DEP_1) | instskip(NEXT) | instid1(VALU_DEP_1)
	v_and_b32_e32 v4, 0x7fffffff, v0
	v_cmpx_gt_u32_e32 0x47800000, v4
	s_cbranch_execz .LBB39_3184
; %bb.3179:
	v_cmp_lt_u32_e32 vcc_lo, 0x37ffffff, v4
	s_mov_b32 s4, 0
                                        ; implicit-def: $vgpr4
	s_and_saveexec_b32 s5, vcc_lo
	s_delay_alu instid0(SALU_CYCLE_1)
	s_xor_b32 s5, exec_lo, s5
	s_cbranch_execz .LBB39_3281
; %bb.3180:
	v_bfe_u32 v4, v0, 21, 1
	s_mov_b32 s4, exec_lo
	s_delay_alu instid0(VALU_DEP_1) | instskip(NEXT) | instid1(VALU_DEP_1)
	v_add3_u32 v4, v0, v4, 0x88fffff
	v_lshrrev_b32_e32 v4, 21, v4
	s_and_not1_saveexec_b32 s5, s5
	s_cbranch_execnz .LBB39_3282
.LBB39_3181:
	s_or_b32 exec_lo, exec_lo, s5
	v_mov_b32_e32 v5, 0
	s_and_saveexec_b32 s5, s4
.LBB39_3182:
	v_lshrrev_b32_e32 v0, 24, v0
	s_delay_alu instid0(VALU_DEP_1)
	v_and_or_b32 v5, 0x80, v0, v4
.LBB39_3183:
	s_or_b32 exec_lo, exec_lo, s5
.LBB39_3184:
	s_delay_alu instid0(SALU_CYCLE_1)
	s_or_b32 exec_lo, exec_lo, s3
	s_mov_b32 s3, 0
	global_store_b8 v[2:3], v5, off
.LBB39_3185:
	s_and_b32 vcc_lo, exec_lo, s3
	s_cbranch_vccz .LBB39_3195
; %bb.3186:
	s_wait_xcnt 0x0
	v_bfe_i32 v0, v1, 0, 8
	s_mov_b32 s3, exec_lo
                                        ; implicit-def: $vgpr4
	s_delay_alu instid0(VALU_DEP_1) | instskip(NEXT) | instid1(VALU_DEP_1)
	v_bfe_i32 v0, v0, 0, 16
	v_cvt_f32_i32_e32 v0, v0
	s_delay_alu instid0(VALU_DEP_1) | instskip(NEXT) | instid1(VALU_DEP_1)
	v_and_b32_e32 v5, 0x7fffffff, v0
	v_cmpx_gt_u32_e32 0x43f00000, v5
	s_xor_b32 s3, exec_lo, s3
	s_cbranch_execz .LBB39_3192
; %bb.3187:
	s_mov_b32 s4, exec_lo
                                        ; implicit-def: $vgpr4
	v_cmpx_lt_u32_e32 0x3c7fffff, v5
	s_xor_b32 s4, exec_lo, s4
; %bb.3188:
	v_bfe_u32 v4, v0, 20, 1
	s_delay_alu instid0(VALU_DEP_1) | instskip(NEXT) | instid1(VALU_DEP_1)
	v_add3_u32 v4, v0, v4, 0x407ffff
	v_and_b32_e32 v5, 0xff00000, v4
	v_lshrrev_b32_e32 v4, 20, v4
	s_delay_alu instid0(VALU_DEP_2) | instskip(NEXT) | instid1(VALU_DEP_2)
	v_cmp_ne_u32_e32 vcc_lo, 0x7f00000, v5
	v_cndmask_b32_e32 v4, 0x7e, v4, vcc_lo
; %bb.3189:
	s_and_not1_saveexec_b32 s4, s4
; %bb.3190:
	v_add_f32_e64 v4, 0x46800000, |v0|
; %bb.3191:
	s_or_b32 exec_lo, exec_lo, s4
                                        ; implicit-def: $vgpr5
.LBB39_3192:
	s_and_not1_saveexec_b32 s3, s3
; %bb.3193:
	v_mov_b32_e32 v4, 0x7f
	v_cmp_lt_u32_e32 vcc_lo, 0x7f800000, v5
	s_delay_alu instid0(VALU_DEP_2)
	v_cndmask_b32_e32 v4, 0x7e, v4, vcc_lo
; %bb.3194:
	s_or_b32 exec_lo, exec_lo, s3
	v_lshrrev_b32_e32 v0, 24, v0
	s_delay_alu instid0(VALU_DEP_1)
	v_and_or_b32 v0, 0x80, v0, v4
	global_store_b8 v[2:3], v0, off
.LBB39_3195:
	s_mov_b32 s3, 0
.LBB39_3196:
	s_delay_alu instid0(SALU_CYCLE_1)
	s_and_not1_b32 vcc_lo, exec_lo, s3
	s_cbranch_vccnz .LBB39_3206
; %bb.3197:
	s_wait_xcnt 0x0
	v_bfe_i32 v0, v1, 0, 8
	s_mov_b32 s3, exec_lo
                                        ; implicit-def: $vgpr4
	s_delay_alu instid0(VALU_DEP_1) | instskip(NEXT) | instid1(VALU_DEP_1)
	v_bfe_i32 v0, v0, 0, 16
	v_cvt_f32_i32_e32 v0, v0
	s_delay_alu instid0(VALU_DEP_1) | instskip(NEXT) | instid1(VALU_DEP_1)
	v_and_b32_e32 v5, 0x7fffffff, v0
	v_cmpx_gt_u32_e32 0x47800000, v5
	s_xor_b32 s3, exec_lo, s3
	s_cbranch_execz .LBB39_3203
; %bb.3198:
	s_mov_b32 s4, exec_lo
                                        ; implicit-def: $vgpr4
	v_cmpx_lt_u32_e32 0x387fffff, v5
	s_xor_b32 s4, exec_lo, s4
; %bb.3199:
	v_bfe_u32 v4, v0, 21, 1
	s_delay_alu instid0(VALU_DEP_1) | instskip(NEXT) | instid1(VALU_DEP_1)
	v_add3_u32 v4, v0, v4, 0x80fffff
	v_lshrrev_b32_e32 v4, 21, v4
; %bb.3200:
	s_and_not1_saveexec_b32 s4, s4
; %bb.3201:
	v_add_f32_e64 v4, 0x43000000, |v0|
; %bb.3202:
	s_or_b32 exec_lo, exec_lo, s4
                                        ; implicit-def: $vgpr5
.LBB39_3203:
	s_and_not1_saveexec_b32 s3, s3
; %bb.3204:
	v_mov_b32_e32 v4, 0x7f
	v_cmp_lt_u32_e32 vcc_lo, 0x7f800000, v5
	s_delay_alu instid0(VALU_DEP_2)
	v_cndmask_b32_e32 v4, 0x7c, v4, vcc_lo
; %bb.3205:
	s_or_b32 exec_lo, exec_lo, s3
	v_lshrrev_b32_e32 v0, 24, v0
	s_delay_alu instid0(VALU_DEP_1)
	v_and_or_b32 v0, 0x80, v0, v4
	global_store_b8 v[2:3], v0, off
.LBB39_3206:
	s_mov_b32 s3, 0
.LBB39_3207:
	s_delay_alu instid0(SALU_CYCLE_1)
	s_and_not1_b32 vcc_lo, exec_lo, s3
	s_mov_b32 s3, 0
	s_cbranch_vccnz .LBB39_3214
; %bb.3208:
	s_cmp_gt_i32 s2, 14
	s_mov_b32 s3, -1
	s_cbranch_scc0 .LBB39_3212
; %bb.3209:
	s_cmp_eq_u32 s2, 15
	s_mov_b32 s0, -1
	s_cbranch_scc0 .LBB39_3211
; %bb.3210:
	s_wait_xcnt 0x0
	v_bfe_i32 v0, v1, 0, 8
	s_mov_b32 s0, 0
	s_delay_alu instid0(VALU_DEP_1) | instskip(NEXT) | instid1(VALU_DEP_1)
	v_bfe_i32 v0, v0, 0, 16
	v_cvt_f32_i32_e32 v0, v0
	s_delay_alu instid0(VALU_DEP_1) | instskip(NEXT) | instid1(VALU_DEP_1)
	v_bfe_u32 v4, v0, 16, 1
	v_add3_u32 v0, v0, v4, 0x7fff
	global_store_d16_hi_b16 v[2:3], v0, off
.LBB39_3211:
	s_mov_b32 s3, 0
.LBB39_3212:
	s_delay_alu instid0(SALU_CYCLE_1)
	s_and_b32 vcc_lo, exec_lo, s3
	s_mov_b32 s3, 0
	s_cbranch_vccz .LBB39_3214
; %bb.3213:
	s_cmp_lg_u32 s2, 11
	s_mov_b32 s3, -1
	s_cselect_b32 s0, -1, 0
.LBB39_3214:
	s_delay_alu instid0(SALU_CYCLE_1)
	s_and_b32 vcc_lo, exec_lo, s0
	s_cbranch_vccnz .LBB39_3280
.LBB39_3215:
	s_mov_b32 s0, 0
	s_branch .LBB39_3217
.LBB39_3216:
	s_mov_b32 s0, 0
	s_wait_xcnt 0x0
	s_mov_b32 s3, 0
                                        ; implicit-def: $vgpr2_vgpr3
                                        ; implicit-def: $sgpr1
                                        ; implicit-def: $vgpr1
.LBB39_3217:
	s_and_not1_b32 s2, s6, exec_lo
	s_and_b32 s4, s8, exec_lo
	s_and_b32 s0, s0, exec_lo
	;; [unrolled: 1-line block ×3, first 2 shown]
	s_or_b32 s6, s2, s4
.LBB39_3218:
	s_wait_xcnt 0x0
	s_or_b32 exec_lo, exec_lo, s7
	s_and_saveexec_b32 s2, s6
	s_cbranch_execz .LBB39_3221
; %bb.3219:
	; divergent unreachable
	s_or_b32 exec_lo, exec_lo, s2
	s_and_saveexec_b32 s2, s34
	s_delay_alu instid0(SALU_CYCLE_1)
	s_xor_b32 s2, exec_lo, s2
	s_cbranch_execnz .LBB39_3222
.LBB39_3220:
	s_or_b32 exec_lo, exec_lo, s2
	s_and_saveexec_b32 s2, s0
	s_cbranch_execnz .LBB39_3223
	s_branch .LBB39_3260
.LBB39_3221:
	s_or_b32 exec_lo, exec_lo, s2
	s_and_saveexec_b32 s2, s34
	s_delay_alu instid0(SALU_CYCLE_1)
	s_xor_b32 s2, exec_lo, s2
	s_cbranch_execz .LBB39_3220
.LBB39_3222:
	s_wait_loadcnt 0x0
	v_and_b32_e32 v0, 0xff, v1
	s_delay_alu instid0(VALU_DEP_1)
	v_cmp_ne_u16_e32 vcc_lo, 0, v0
	v_cndmask_b32_e64 v0, 0, 1, vcc_lo
	global_store_b8 v[2:3], v0, off
	s_wait_xcnt 0x0
	s_or_b32 exec_lo, exec_lo, s2
	s_and_saveexec_b32 s2, s0
	s_cbranch_execz .LBB39_3260
.LBB39_3223:
	s_sext_i32_i16 s2, s1
	s_mov_b32 s0, -1
	s_cmp_lt_i32 s2, 5
	s_cbranch_scc1 .LBB39_3244
; %bb.3224:
	s_cmp_lt_i32 s2, 8
	s_cbranch_scc1 .LBB39_3234
; %bb.3225:
	;; [unrolled: 3-line block ×3, first 2 shown]
	s_cmp_gt_i32 s2, 9
	s_cbranch_scc0 .LBB39_3228
; %bb.3227:
	s_wait_loadcnt 0x0
	v_bfe_i32 v0, v1, 0, 8
	v_mov_b32_e32 v6, 0
	s_mov_b32 s0, 0
	s_delay_alu instid0(VALU_DEP_2) | instskip(NEXT) | instid1(VALU_DEP_2)
	v_bfe_i32 v0, v0, 0, 16
	v_mov_b32_e32 v7, v6
	s_delay_alu instid0(VALU_DEP_2)
	v_cvt_f64_i32_e32 v[4:5], v0
	global_store_b128 v[2:3], v[4:7], off
.LBB39_3228:
	s_and_not1_b32 vcc_lo, exec_lo, s0
	s_cbranch_vccnz .LBB39_3230
; %bb.3229:
	s_wait_loadcnt 0x0
	v_bfe_i32 v0, v1, 0, 8
	s_wait_xcnt 0x0
	v_mov_b32_e32 v5, 0
	s_delay_alu instid0(VALU_DEP_2) | instskip(NEXT) | instid1(VALU_DEP_1)
	v_bfe_i32 v0, v0, 0, 16
	v_cvt_f32_i32_e32 v4, v0
	global_store_b64 v[2:3], v[4:5], off
.LBB39_3230:
	s_mov_b32 s0, 0
.LBB39_3231:
	s_delay_alu instid0(SALU_CYCLE_1)
	s_and_not1_b32 vcc_lo, exec_lo, s0
	s_cbranch_vccnz .LBB39_3233
; %bb.3232:
	s_wait_loadcnt 0x0
	v_bfe_i32 v0, v1, 0, 8
	s_delay_alu instid0(VALU_DEP_1) | instskip(NEXT) | instid1(VALU_DEP_1)
	v_cvt_f16_i16_e32 v0, v0
	v_and_b32_e32 v0, 0xffff, v0
	global_store_b32 v[2:3], v0, off
.LBB39_3233:
	s_mov_b32 s0, 0
.LBB39_3234:
	s_delay_alu instid0(SALU_CYCLE_1)
	s_and_not1_b32 vcc_lo, exec_lo, s0
	s_cbranch_vccnz .LBB39_3243
; %bb.3235:
	s_sext_i32_i16 s2, s1
	s_mov_b32 s0, -1
	s_cmp_lt_i32 s2, 6
	s_cbranch_scc1 .LBB39_3241
; %bb.3236:
	s_cmp_gt_i32 s2, 6
	s_cbranch_scc0 .LBB39_3238
; %bb.3237:
	s_wait_loadcnt 0x0
	v_bfe_i32 v0, v1, 0, 8
	s_mov_b32 s0, 0
	s_delay_alu instid0(VALU_DEP_1) | instskip(NEXT) | instid1(VALU_DEP_1)
	v_bfe_i32 v0, v0, 0, 16
	v_cvt_f64_i32_e32 v[4:5], v0
	global_store_b64 v[2:3], v[4:5], off
.LBB39_3238:
	s_and_not1_b32 vcc_lo, exec_lo, s0
	s_cbranch_vccnz .LBB39_3240
; %bb.3239:
	s_wait_loadcnt 0x0
	v_bfe_i32 v0, v1, 0, 8
	s_delay_alu instid0(VALU_DEP_1) | instskip(NEXT) | instid1(VALU_DEP_1)
	v_bfe_i32 v0, v0, 0, 16
	v_cvt_f32_i32_e32 v0, v0
	global_store_b32 v[2:3], v0, off
.LBB39_3240:
	s_mov_b32 s0, 0
.LBB39_3241:
	s_delay_alu instid0(SALU_CYCLE_1)
	s_and_not1_b32 vcc_lo, exec_lo, s0
	s_cbranch_vccnz .LBB39_3243
; %bb.3242:
	s_wait_loadcnt 0x0
	v_bfe_i32 v0, v1, 0, 8
	s_delay_alu instid0(VALU_DEP_1)
	v_cvt_f16_i16_e32 v0, v0
	global_store_b16 v[2:3], v0, off
.LBB39_3243:
	s_mov_b32 s0, 0
.LBB39_3244:
	s_delay_alu instid0(SALU_CYCLE_1)
	s_and_not1_b32 vcc_lo, exec_lo, s0
	s_cbranch_vccnz .LBB39_3260
; %bb.3245:
	s_sext_i32_i16 s2, s1
	s_mov_b32 s0, -1
	s_cmp_lt_i32 s2, 2
	s_cbranch_scc1 .LBB39_3255
; %bb.3246:
	s_cmp_lt_i32 s2, 3
	s_cbranch_scc1 .LBB39_3252
; %bb.3247:
	s_cmp_gt_i32 s2, 3
	s_cbranch_scc0 .LBB39_3249
; %bb.3248:
	s_wait_loadcnt 0x0
	v_bfe_i32 v4, v1, 0, 8
	s_mov_b32 s0, 0
	s_delay_alu instid0(VALU_DEP_1)
	v_ashrrev_i32_e32 v5, 31, v4
	global_store_b64 v[2:3], v[4:5], off
.LBB39_3249:
	s_and_not1_b32 vcc_lo, exec_lo, s0
	s_cbranch_vccnz .LBB39_3251
; %bb.3250:
	s_wait_loadcnt 0x0
	v_bfe_i32 v0, v1, 0, 8
	global_store_b32 v[2:3], v0, off
.LBB39_3251:
	s_mov_b32 s0, 0
.LBB39_3252:
	s_delay_alu instid0(SALU_CYCLE_1)
	s_and_not1_b32 vcc_lo, exec_lo, s0
	s_cbranch_vccnz .LBB39_3254
; %bb.3253:
	s_wait_loadcnt 0x0
	v_bfe_i32 v0, v1, 0, 8
	global_store_b16 v[2:3], v0, off
.LBB39_3254:
	s_mov_b32 s0, 0
.LBB39_3255:
	s_delay_alu instid0(SALU_CYCLE_1)
	s_and_not1_b32 vcc_lo, exec_lo, s0
	s_cbranch_vccnz .LBB39_3260
; %bb.3256:
	s_sext_i32_i16 s0, s1
	s_delay_alu instid0(SALU_CYCLE_1)
	s_cmp_gt_i32 s0, 0
	s_mov_b32 s0, -1
	s_cbranch_scc0 .LBB39_3258
; %bb.3257:
	s_mov_b32 s0, 0
	s_wait_loadcnt 0x0
	global_store_b8 v[2:3], v1, off
.LBB39_3258:
	s_and_not1_b32 vcc_lo, exec_lo, s0
	s_cbranch_vccnz .LBB39_3260
; %bb.3259:
	s_wait_loadcnt 0x0
	global_store_b8 v[2:3], v1, off
	s_endpgm
.LBB39_3260:
	s_endpgm
.LBB39_3261:
	s_mov_b32 s3, 0
	s_mov_b32 s0, -1
	s_branch .LBB39_3217
.LBB39_3262:
	s_or_b32 s8, s8, exec_lo
	s_trap 2
	s_cbranch_execz .LBB39_2731
	s_branch .LBB39_2732
.LBB39_3263:
	s_and_not1_saveexec_b32 s12, s12
	s_cbranch_execz .LBB39_2811
.LBB39_3264:
	v_add_f32_e64 v5, 0x46000000, |v3|
	s_and_not1_b32 s11, s11, exec_lo
	s_delay_alu instid0(VALU_DEP_1) | instskip(NEXT) | instid1(VALU_DEP_1)
	v_and_b32_e32 v5, 0xff, v5
	v_cmp_ne_u32_e32 vcc_lo, 0, v5
	s_and_b32 s13, vcc_lo, exec_lo
	s_delay_alu instid0(SALU_CYCLE_1)
	s_or_b32 s11, s11, s13
	s_or_b32 exec_lo, exec_lo, s12
	v_mov_b32_e32 v8, 0
	s_and_saveexec_b32 s12, s11
	s_cbranch_execnz .LBB39_2812
	s_branch .LBB39_2813
.LBB39_3265:
	s_or_b32 s8, s8, exec_lo
	s_trap 2
	s_cbranch_execz .LBB39_2859
	s_branch .LBB39_2860
.LBB39_3266:
	s_and_not1_saveexec_b32 s11, s11
	s_cbranch_execz .LBB39_2824
.LBB39_3267:
	v_add_f32_e64 v5, 0x42800000, |v3|
	s_and_not1_b32 s10, s10, exec_lo
	s_delay_alu instid0(VALU_DEP_1) | instskip(NEXT) | instid1(VALU_DEP_1)
	v_and_b32_e32 v5, 0xff, v5
	v_cmp_ne_u32_e32 vcc_lo, 0, v5
	s_and_b32 s12, vcc_lo, exec_lo
	s_delay_alu instid0(SALU_CYCLE_1)
	s_or_b32 s10, s10, s12
	s_or_b32 exec_lo, exec_lo, s11
	v_mov_b32_e32 v8, 0
	s_and_saveexec_b32 s11, s10
	s_cbranch_execnz .LBB39_2825
	s_branch .LBB39_2826
.LBB39_3268:
	s_and_not1_saveexec_b32 s12, s12
	s_cbranch_execz .LBB39_2930
.LBB39_3269:
	v_add_f32_e64 v6, 0x46000000, |v3|
	s_and_not1_b32 s11, s11, exec_lo
	s_delay_alu instid0(VALU_DEP_1) | instskip(NEXT) | instid1(VALU_DEP_1)
	v_and_b32_e32 v6, 0xff, v6
	v_cmp_ne_u32_e32 vcc_lo, 0, v6
	s_and_b32 s13, vcc_lo, exec_lo
	s_delay_alu instid0(SALU_CYCLE_1)
	s_or_b32 s11, s11, s13
	s_or_b32 exec_lo, exec_lo, s12
	v_mov_b32_e32 v7, 0
	s_and_saveexec_b32 s12, s11
	s_cbranch_execnz .LBB39_2931
	s_branch .LBB39_2932
.LBB39_3270:
	s_or_b32 s8, s8, exec_lo
	s_trap 2
	s_cbranch_execz .LBB39_2978
	s_branch .LBB39_2979
.LBB39_3271:
	s_and_not1_saveexec_b32 s11, s11
	s_cbranch_execz .LBB39_2943
.LBB39_3272:
	v_add_f32_e64 v6, 0x42800000, |v3|
	s_and_not1_b32 s10, s10, exec_lo
	s_delay_alu instid0(VALU_DEP_1) | instskip(NEXT) | instid1(VALU_DEP_1)
	v_and_b32_e32 v6, 0xff, v6
	v_cmp_ne_u32_e32 vcc_lo, 0, v6
	s_and_b32 s12, vcc_lo, exec_lo
	s_delay_alu instid0(SALU_CYCLE_1)
	s_or_b32 s10, s10, s12
	s_or_b32 exec_lo, exec_lo, s11
	v_mov_b32_e32 v7, 0
	s_and_saveexec_b32 s11, s10
	s_cbranch_execnz .LBB39_2944
	s_branch .LBB39_2945
.LBB39_3273:
	s_and_not1_saveexec_b32 s12, s12
	s_cbranch_execz .LBB39_3049
.LBB39_3274:
	v_add_f32_e64 v5, 0x46000000, |v4|
	s_and_not1_b32 s11, s11, exec_lo
	s_delay_alu instid0(VALU_DEP_1) | instskip(NEXT) | instid1(VALU_DEP_1)
	v_and_b32_e32 v5, 0xff, v5
	v_cmp_ne_u32_e32 vcc_lo, 0, v5
	s_and_b32 s13, vcc_lo, exec_lo
	s_delay_alu instid0(SALU_CYCLE_1)
	s_or_b32 s11, s11, s13
	s_or_b32 exec_lo, exec_lo, s12
	v_mov_b32_e32 v6, 0
	s_and_saveexec_b32 s12, s11
	s_cbranch_execnz .LBB39_3050
	s_branch .LBB39_3051
.LBB39_3275:
	s_or_b32 s8, s8, exec_lo
	s_trap 2
	s_cbranch_execz .LBB39_3097
	s_branch .LBB39_3098
.LBB39_3276:
	s_and_not1_saveexec_b32 s11, s11
	s_cbranch_execz .LBB39_3062
.LBB39_3277:
	v_add_f32_e64 v5, 0x42800000, |v4|
	s_and_not1_b32 s10, s10, exec_lo
	s_delay_alu instid0(VALU_DEP_1) | instskip(NEXT) | instid1(VALU_DEP_1)
	v_and_b32_e32 v5, 0xff, v5
	v_cmp_ne_u32_e32 vcc_lo, 0, v5
	s_and_b32 s12, vcc_lo, exec_lo
	s_delay_alu instid0(SALU_CYCLE_1)
	s_or_b32 s10, s10, s12
	s_or_b32 exec_lo, exec_lo, s11
	v_mov_b32_e32 v6, 0
	s_and_saveexec_b32 s11, s10
	s_cbranch_execnz .LBB39_3063
	s_branch .LBB39_3064
.LBB39_3278:
	s_and_not1_saveexec_b32 s9, s9
	s_cbranch_execz .LBB39_3169
.LBB39_3279:
	v_add_f32_e64 v4, 0x46000000, |v0|
	s_and_not1_b32 s5, s5, exec_lo
	s_delay_alu instid0(VALU_DEP_1) | instskip(NEXT) | instid1(VALU_DEP_1)
	v_and_b32_e32 v4, 0xff, v4
	v_cmp_ne_u32_e32 vcc_lo, 0, v4
	s_and_b32 s10, vcc_lo, exec_lo
	s_delay_alu instid0(SALU_CYCLE_1)
	s_or_b32 s5, s5, s10
	s_or_b32 exec_lo, exec_lo, s9
	v_mov_b32_e32 v5, 0
	s_and_saveexec_b32 s9, s5
	s_cbranch_execnz .LBB39_3170
	s_branch .LBB39_3171
.LBB39_3280:
	s_mov_b32 s3, 0
	s_or_b32 s8, s8, exec_lo
	s_trap 2
	s_branch .LBB39_3215
.LBB39_3281:
	s_and_not1_saveexec_b32 s5, s5
	s_cbranch_execz .LBB39_3181
.LBB39_3282:
	v_add_f32_e64 v4, 0x42800000, |v0|
	s_and_not1_b32 s4, s4, exec_lo
	s_delay_alu instid0(VALU_DEP_1) | instskip(NEXT) | instid1(VALU_DEP_1)
	v_and_b32_e32 v4, 0xff, v4
	v_cmp_ne_u32_e32 vcc_lo, 0, v4
	s_and_b32 s9, vcc_lo, exec_lo
	s_delay_alu instid0(SALU_CYCLE_1)
	s_or_b32 s4, s4, s9
	s_or_b32 exec_lo, exec_lo, s5
	v_mov_b32_e32 v5, 0
	s_and_saveexec_b32 s5, s4
	s_cbranch_execnz .LBB39_3182
	s_branch .LBB39_3183
	.section	.rodata,"a",@progbits
	.p2align	6, 0x0
	.amdhsa_kernel _ZN2at6native32elementwise_kernel_manual_unrollILi128ELi4EZNS0_15gpu_kernel_implIZZZNS0_12_GLOBAL__N_116addr_kernel_cudaERNS_14TensorIteratorERKN3c106ScalarES9_ENKUlvE_clEvENKUlvE0_clEvEUlaaaE_EEvRNS_18TensorIteratorBaseERKT_EUlibE0_EEviT1_
		.amdhsa_group_segment_fixed_size 0
		.amdhsa_private_segment_fixed_size 0
		.amdhsa_kernarg_size 504
		.amdhsa_user_sgpr_count 2
		.amdhsa_user_sgpr_dispatch_ptr 0
		.amdhsa_user_sgpr_queue_ptr 0
		.amdhsa_user_sgpr_kernarg_segment_ptr 1
		.amdhsa_user_sgpr_dispatch_id 0
		.amdhsa_user_sgpr_kernarg_preload_length 0
		.amdhsa_user_sgpr_kernarg_preload_offset 0
		.amdhsa_user_sgpr_private_segment_size 0
		.amdhsa_wavefront_size32 1
		.amdhsa_uses_dynamic_stack 0
		.amdhsa_enable_private_segment 0
		.amdhsa_system_sgpr_workgroup_id_x 1
		.amdhsa_system_sgpr_workgroup_id_y 0
		.amdhsa_system_sgpr_workgroup_id_z 0
		.amdhsa_system_sgpr_workgroup_info 0
		.amdhsa_system_vgpr_workitem_id 0
		.amdhsa_next_free_vgpr 28
		.amdhsa_next_free_sgpr 63
		.amdhsa_named_barrier_count 0
		.amdhsa_reserve_vcc 1
		.amdhsa_float_round_mode_32 0
		.amdhsa_float_round_mode_16_64 0
		.amdhsa_float_denorm_mode_32 3
		.amdhsa_float_denorm_mode_16_64 3
		.amdhsa_fp16_overflow 0
		.amdhsa_memory_ordered 1
		.amdhsa_forward_progress 1
		.amdhsa_inst_pref_size 255
		.amdhsa_round_robin_scheduling 0
		.amdhsa_exception_fp_ieee_invalid_op 0
		.amdhsa_exception_fp_denorm_src 0
		.amdhsa_exception_fp_ieee_div_zero 0
		.amdhsa_exception_fp_ieee_overflow 0
		.amdhsa_exception_fp_ieee_underflow 0
		.amdhsa_exception_fp_ieee_inexact 0
		.amdhsa_exception_int_div_zero 0
	.end_amdhsa_kernel
	.section	.text._ZN2at6native32elementwise_kernel_manual_unrollILi128ELi4EZNS0_15gpu_kernel_implIZZZNS0_12_GLOBAL__N_116addr_kernel_cudaERNS_14TensorIteratorERKN3c106ScalarES9_ENKUlvE_clEvENKUlvE0_clEvEUlaaaE_EEvRNS_18TensorIteratorBaseERKT_EUlibE0_EEviT1_,"axG",@progbits,_ZN2at6native32elementwise_kernel_manual_unrollILi128ELi4EZNS0_15gpu_kernel_implIZZZNS0_12_GLOBAL__N_116addr_kernel_cudaERNS_14TensorIteratorERKN3c106ScalarES9_ENKUlvE_clEvENKUlvE0_clEvEUlaaaE_EEvRNS_18TensorIteratorBaseERKT_EUlibE0_EEviT1_,comdat
.Lfunc_end39:
	.size	_ZN2at6native32elementwise_kernel_manual_unrollILi128ELi4EZNS0_15gpu_kernel_implIZZZNS0_12_GLOBAL__N_116addr_kernel_cudaERNS_14TensorIteratorERKN3c106ScalarES9_ENKUlvE_clEvENKUlvE0_clEvEUlaaaE_EEvRNS_18TensorIteratorBaseERKT_EUlibE0_EEviT1_, .Lfunc_end39-_ZN2at6native32elementwise_kernel_manual_unrollILi128ELi4EZNS0_15gpu_kernel_implIZZZNS0_12_GLOBAL__N_116addr_kernel_cudaERNS_14TensorIteratorERKN3c106ScalarES9_ENKUlvE_clEvENKUlvE0_clEvEUlaaaE_EEvRNS_18TensorIteratorBaseERKT_EUlibE0_EEviT1_
                                        ; -- End function
	.set _ZN2at6native32elementwise_kernel_manual_unrollILi128ELi4EZNS0_15gpu_kernel_implIZZZNS0_12_GLOBAL__N_116addr_kernel_cudaERNS_14TensorIteratorERKN3c106ScalarES9_ENKUlvE_clEvENKUlvE0_clEvEUlaaaE_EEvRNS_18TensorIteratorBaseERKT_EUlibE0_EEviT1_.num_vgpr, 28
	.set _ZN2at6native32elementwise_kernel_manual_unrollILi128ELi4EZNS0_15gpu_kernel_implIZZZNS0_12_GLOBAL__N_116addr_kernel_cudaERNS_14TensorIteratorERKN3c106ScalarES9_ENKUlvE_clEvENKUlvE0_clEvEUlaaaE_EEvRNS_18TensorIteratorBaseERKT_EUlibE0_EEviT1_.num_agpr, 0
	.set _ZN2at6native32elementwise_kernel_manual_unrollILi128ELi4EZNS0_15gpu_kernel_implIZZZNS0_12_GLOBAL__N_116addr_kernel_cudaERNS_14TensorIteratorERKN3c106ScalarES9_ENKUlvE_clEvENKUlvE0_clEvEUlaaaE_EEvRNS_18TensorIteratorBaseERKT_EUlibE0_EEviT1_.numbered_sgpr, 63
	.set _ZN2at6native32elementwise_kernel_manual_unrollILi128ELi4EZNS0_15gpu_kernel_implIZZZNS0_12_GLOBAL__N_116addr_kernel_cudaERNS_14TensorIteratorERKN3c106ScalarES9_ENKUlvE_clEvENKUlvE0_clEvEUlaaaE_EEvRNS_18TensorIteratorBaseERKT_EUlibE0_EEviT1_.num_named_barrier, 0
	.set _ZN2at6native32elementwise_kernel_manual_unrollILi128ELi4EZNS0_15gpu_kernel_implIZZZNS0_12_GLOBAL__N_116addr_kernel_cudaERNS_14TensorIteratorERKN3c106ScalarES9_ENKUlvE_clEvENKUlvE0_clEvEUlaaaE_EEvRNS_18TensorIteratorBaseERKT_EUlibE0_EEviT1_.private_seg_size, 0
	.set _ZN2at6native32elementwise_kernel_manual_unrollILi128ELi4EZNS0_15gpu_kernel_implIZZZNS0_12_GLOBAL__N_116addr_kernel_cudaERNS_14TensorIteratorERKN3c106ScalarES9_ENKUlvE_clEvENKUlvE0_clEvEUlaaaE_EEvRNS_18TensorIteratorBaseERKT_EUlibE0_EEviT1_.uses_vcc, 1
	.set _ZN2at6native32elementwise_kernel_manual_unrollILi128ELi4EZNS0_15gpu_kernel_implIZZZNS0_12_GLOBAL__N_116addr_kernel_cudaERNS_14TensorIteratorERKN3c106ScalarES9_ENKUlvE_clEvENKUlvE0_clEvEUlaaaE_EEvRNS_18TensorIteratorBaseERKT_EUlibE0_EEviT1_.uses_flat_scratch, 0
	.set _ZN2at6native32elementwise_kernel_manual_unrollILi128ELi4EZNS0_15gpu_kernel_implIZZZNS0_12_GLOBAL__N_116addr_kernel_cudaERNS_14TensorIteratorERKN3c106ScalarES9_ENKUlvE_clEvENKUlvE0_clEvEUlaaaE_EEvRNS_18TensorIteratorBaseERKT_EUlibE0_EEviT1_.has_dyn_sized_stack, 0
	.set _ZN2at6native32elementwise_kernel_manual_unrollILi128ELi4EZNS0_15gpu_kernel_implIZZZNS0_12_GLOBAL__N_116addr_kernel_cudaERNS_14TensorIteratorERKN3c106ScalarES9_ENKUlvE_clEvENKUlvE0_clEvEUlaaaE_EEvRNS_18TensorIteratorBaseERKT_EUlibE0_EEviT1_.has_recursion, 0
	.set _ZN2at6native32elementwise_kernel_manual_unrollILi128ELi4EZNS0_15gpu_kernel_implIZZZNS0_12_GLOBAL__N_116addr_kernel_cudaERNS_14TensorIteratorERKN3c106ScalarES9_ENKUlvE_clEvENKUlvE0_clEvEUlaaaE_EEvRNS_18TensorIteratorBaseERKT_EUlibE0_EEviT1_.has_indirect_call, 0
	.section	.AMDGPU.csdata,"",@progbits
; Kernel info:
; codeLenInByte = 60868
; TotalNumSgprs: 65
; NumVgprs: 28
; ScratchSize: 0
; MemoryBound: 1
; FloatMode: 240
; IeeeMode: 1
; LDSByteSize: 0 bytes/workgroup (compile time only)
; SGPRBlocks: 0
; VGPRBlocks: 1
; NumSGPRsForWavesPerEU: 65
; NumVGPRsForWavesPerEU: 28
; NamedBarCnt: 0
; Occupancy: 16
; WaveLimiterHint : 1
; COMPUTE_PGM_RSRC2:SCRATCH_EN: 0
; COMPUTE_PGM_RSRC2:USER_SGPR: 2
; COMPUTE_PGM_RSRC2:TRAP_HANDLER: 0
; COMPUTE_PGM_RSRC2:TGID_X_EN: 1
; COMPUTE_PGM_RSRC2:TGID_Y_EN: 0
; COMPUTE_PGM_RSRC2:TGID_Z_EN: 0
; COMPUTE_PGM_RSRC2:TIDIG_COMP_CNT: 0
	.section	.text._ZN2at6native29vectorized_elementwise_kernelILi16EZZZNS0_12_GLOBAL__N_116addr_kernel_cudaERNS_14TensorIteratorERKN3c106ScalarES8_ENKUlvE_clEvENKUlvE0_clEvEUlaaaE0_St5arrayIPcLm4EEEEviT0_T1_,"axG",@progbits,_ZN2at6native29vectorized_elementwise_kernelILi16EZZZNS0_12_GLOBAL__N_116addr_kernel_cudaERNS_14TensorIteratorERKN3c106ScalarES8_ENKUlvE_clEvENKUlvE0_clEvEUlaaaE0_St5arrayIPcLm4EEEEviT0_T1_,comdat
	.globl	_ZN2at6native29vectorized_elementwise_kernelILi16EZZZNS0_12_GLOBAL__N_116addr_kernel_cudaERNS_14TensorIteratorERKN3c106ScalarES8_ENKUlvE_clEvENKUlvE0_clEvEUlaaaE0_St5arrayIPcLm4EEEEviT0_T1_ ; -- Begin function _ZN2at6native29vectorized_elementwise_kernelILi16EZZZNS0_12_GLOBAL__N_116addr_kernel_cudaERNS_14TensorIteratorERKN3c106ScalarES8_ENKUlvE_clEvENKUlvE0_clEvEUlaaaE0_St5arrayIPcLm4EEEEviT0_T1_
	.p2align	8
	.type	_ZN2at6native29vectorized_elementwise_kernelILi16EZZZNS0_12_GLOBAL__N_116addr_kernel_cudaERNS_14TensorIteratorERKN3c106ScalarES8_ENKUlvE_clEvENKUlvE0_clEvEUlaaaE0_St5arrayIPcLm4EEEEviT0_T1_,@function
_ZN2at6native29vectorized_elementwise_kernelILi16EZZZNS0_12_GLOBAL__N_116addr_kernel_cudaERNS_14TensorIteratorERKN3c106ScalarES8_ENKUlvE_clEvENKUlvE0_clEvEUlaaaE0_St5arrayIPcLm4EEEEviT0_T1_: ; @_ZN2at6native29vectorized_elementwise_kernelILi16EZZZNS0_12_GLOBAL__N_116addr_kernel_cudaERNS_14TensorIteratorERKN3c106ScalarES8_ENKUlvE_clEvENKUlvE0_clEvEUlaaaE0_St5arrayIPcLm4EEEEviT0_T1_
; %bb.0:
	v_mov_b32_e32 v1, 0
	s_clause 0x1
	s_load_b32 s3, s[0:1], 0x0
	s_load_b256 s[4:11], s[0:1], 0x8
	s_getreg_b32 s2, hwreg(HW_REG_IB_STS2, 6, 4)
	global_load_u16 v1, v1, s[0:1] offset:4
	s_wait_xcnt 0x0
	s_bfe_u32 s0, ttmp6, 0x4000c
	s_and_b32 s1, ttmp6, 15
	s_add_co_i32 s0, s0, 1
	s_delay_alu instid0(SALU_CYCLE_1) | instskip(NEXT) | instid1(SALU_CYCLE_1)
	s_mul_i32 s0, ttmp9, s0
	s_add_co_i32 s1, s1, s0
	s_cmp_eq_u32 s2, 0
	s_cselect_b32 s0, ttmp9, s1
	s_delay_alu instid0(SALU_CYCLE_1) | instskip(SKIP_3) | instid1(SALU_CYCLE_1)
	s_lshl_b32 s2, s0, 12
	s_mov_b32 s0, -1
	s_wait_kmcnt 0x0
	s_sub_co_i32 s1, s3, s2
	s_cmp_gt_i32 s1, 0xfff
	s_wait_loadcnt 0x0
	v_readfirstlane_b32 s12, v1
	s_cbranch_scc0 .LBB40_2
; %bb.1:
	s_ashr_i32 s3, s2, 31
	s_and_b32 s0, 0xffff, s12
	s_add_nc_u64 s[14:15], s[6:7], s[2:3]
	s_lshr_b32 s0, s0, 8
	global_load_b128 v[2:5], v0, s[14:15] scale_offset
	s_wait_xcnt 0x0
	s_add_nc_u64 s[14:15], s[8:9], s[2:3]
	global_load_b128 v[6:9], v0, s[14:15] scale_offset
	s_wait_xcnt 0x0
	s_add_nc_u64 s[14:15], s[10:11], s[2:3]
	;; [unrolled: 3-line block ×3, first 2 shown]
	s_wait_loadcnt 0x2
	v_lshrrev_b16 v1, 8, v3
	v_dual_lshrrev_b32 v14, 16, v3 :: v_dual_lshrrev_b32 v15, 24, v3
	v_lshrrev_b16 v16, 8, v2
	v_dual_lshrrev_b32 v17, 16, v2 :: v_dual_lshrrev_b32 v18, 24, v2
	;; [unrolled: 2-line block ×4, first 2 shown]
	s_wait_loadcnt 0x1
	v_lshrrev_b16 v25, 8, v7
	v_dual_lshrrev_b32 v26, 16, v7 :: v_dual_lshrrev_b32 v27, 24, v7
	v_lshrrev_b16 v28, 8, v6
	v_dual_lshrrev_b32 v29, 16, v6 :: v_dual_lshrrev_b32 v30, 24, v6
	;; [unrolled: 2-line block ×4, first 2 shown]
	v_mul_lo_u16 v2, v2, s12
	v_mul_lo_u16 v3, v3, s12
	v_mul_lo_u16 v6, v6, s0
	v_mul_lo_u16 v7, v7, s0
	s_wait_loadcnt 0x0
	v_dual_lshrrev_b32 v37, 24, v10 :: v_dual_lshrrev_b32 v38, 16, v10
	v_lshrrev_b16 v39, 8, v10
	v_dual_lshrrev_b32 v40, 24, v11 :: v_dual_lshrrev_b32 v41, 16, v11
	v_lshrrev_b16 v42, 8, v11
	v_dual_lshrrev_b32 v43, 24, v12 :: v_dual_lshrrev_b32 v44, 16, v12
	v_lshrrev_b16 v45, 8, v12
	v_dual_lshrrev_b32 v46, 24, v13 :: v_dual_lshrrev_b32 v47, 16, v13
	v_lshrrev_b16 v48, 8, v13
	v_mul_lo_u16 v4, v4, s12
	v_mul_lo_u16 v5, v5, s12
	v_mul_lo_u16 v8, v8, s0
	v_mul_lo_u16 v9, v9, s0
	v_mul_lo_u16 v18, v18, s12
	v_mul_lo_u16 v16, v16, s12
	v_mul_lo_u16 v15, v15, s12
	v_mul_lo_u16 v14, v14, s12
	v_mul_lo_u16 v1, v1, s12
	v_mul_lo_u16 v30, v30, s0
	v_mul_lo_u16 v28, v28, s0
	v_mul_lo_u16 v27, v27, s0
	v_mul_lo_u16 v26, v26, s0
	v_mul_lo_u16 v25, v25, s0
	v_mad_u16 v3, v7, v11, v3
	v_mad_u16 v2, v6, v10, v2
	v_mul_lo_u16 v6, v24, s12
	v_mul_lo_u16 v7, v23, s12
	;; [unrolled: 1-line block ×14, first 2 shown]
	v_mad_u16 v5, v9, v13, v5
	v_mad_u16 v4, v8, v12, v4
	;; [unrolled: 1-line block ×14, first 2 shown]
	v_lshlrev_b16 v1, 8, v1
	v_lshlrev_b16 v9, 8, v9
	;; [unrolled: 1-line block ×8, first 2 shown]
	v_bitop3_b16 v1, v3, v1, 0xff bitop3:0xec
	v_bitop3_b16 v3, v8, v9, 0xff bitop3:0xec
	;; [unrolled: 1-line block ×8, first 2 shown]
	v_and_b32_e32 v1, 0xffff, v1
	v_dual_lshlrev_b32 v3, 16, v3 :: v_dual_lshlrev_b32 v7, 16, v8
	v_and_b32_e32 v2, 0xffff, v2
	v_and_b32_e32 v5, 0xffff, v5
	v_dual_lshlrev_b32 v8, 16, v9 :: v_dual_lshlrev_b32 v6, 16, v6
	v_and_b32_e32 v4, 0xffff, v4
	v_or_b32_e32 v3, v1, v3
	v_or_b32_e32 v2, v2, v7
	s_delay_alu instid0(VALU_DEP_4)
	v_or_b32_e32 v5, v5, v8
	s_mov_b32 s0, 0
	v_or_b32_e32 v4, v4, v6
	global_store_b128 v0, v[2:5], s[14:15] scale_offset
.LBB40_2:
	s_and_not1_b32 vcc_lo, exec_lo, s0
	s_cbranch_vccnz .LBB40_83
; %bb.3:
	v_cmp_gt_i32_e32 vcc_lo, s1, v0
	v_dual_mov_b32 v56, 0 :: v_dual_bitop2_b32 v1, s2, v0 bitop3:0x54
	v_or_b32_e32 v10, 0x100, v0
	v_dual_mov_b32 v55, 0 :: v_dual_mov_b32 v54, 0
	v_dual_mov_b32 v53, 0 :: v_dual_mov_b32 v52, 0
	;; [unrolled: 1-line block ×18, first 2 shown]
	s_wait_xcnt 0x0
	v_dual_mov_b32 v20, 0 :: v_dual_mov_b32 v4, 0
	v_dual_mov_b32 v27, 0 :: v_dual_mov_b32 v25, 0
	;; [unrolled: 1-line block ×5, first 2 shown]
	v_mov_b32_e32 v37, 0
	s_and_saveexec_b32 s3, vcc_lo
	s_cbranch_execz .LBB40_35
; %bb.4:
	s_clause 0x2
	global_load_u8 v34, v1, s[6:7]
	global_load_u8 v36, v1, s[8:9]
	;; [unrolled: 1-line block ×3, first 2 shown]
	v_or_b32_e32 v2, 0x100, v0
	v_dual_mov_b32 v29, 0 :: v_dual_mov_b32 v32, 0
	v_dual_mov_b32 v31, 0 :: v_dual_mov_b32 v3, 0
	s_delay_alu instid0(VALU_DEP_3)
	v_cmp_gt_u32_e64 s0, s1, v2
	v_dual_mov_b32 v25, 0 :: v_dual_mov_b32 v27, 0
	v_dual_mov_b32 v4, 0 :: v_dual_mov_b32 v20, 0
	;; [unrolled: 1-line block ×20, first 2 shown]
	v_mov_b32_e32 v56, 0
	s_wait_xcnt 0x0
	s_and_saveexec_b32 s13, s0
	s_cbranch_execz .LBB40_34
; %bb.5:
	v_dual_mov_b32 v3, 0 :: v_dual_add_nc_u32 v2, s2, v0
	v_or_b32_e32 v4, 0x200, v0
	v_dual_mov_b32 v25, 0 :: v_dual_mov_b32 v27, 0
	s_clause 0x2
	global_load_u8 v31, v2, s[6:7] offset:256
	global_load_u8 v32, v2, s[8:9] offset:256
	;; [unrolled: 1-line block ×3, first 2 shown]
	v_mov_b32_e32 v20, 0
	v_cmp_gt_u32_e64 s0, s1, v4
	v_dual_mov_b32 v4, 0 :: v_dual_mov_b32 v21, 0
	v_dual_mov_b32 v13, 0 :: v_dual_mov_b32 v16, 0
	v_dual_mov_b32 v18, 0 :: v_dual_mov_b32 v11, 0
	v_dual_mov_b32 v14, 0 :: v_dual_mov_b32 v19, 0
	v_dual_mov_b32 v12, 0 :: v_dual_mov_b32 v17, 0
	v_dual_mov_b32 v22, 0 :: v_dual_mov_b32 v15, 0
	v_dual_mov_b32 v23, 0 :: v_dual_mov_b32 v26, 0
	v_dual_mov_b32 v24, 0 :: v_dual_mov_b32 v28, 0
	v_dual_mov_b32 v33, 0 :: v_dual_mov_b32 v30, 0
	v_dual_mov_b32 v35, 0 :: v_dual_mov_b32 v39, 0
	v_dual_mov_b32 v38, 0 :: v_dual_mov_b32 v40, 0
	v_dual_mov_b32 v42, 0 :: v_dual_mov_b32 v41, 0
	v_dual_mov_b32 v43, 0 :: v_dual_mov_b32 v45, 0
	v_dual_mov_b32 v44, 0 :: v_dual_mov_b32 v46, 0
	v_dual_mov_b32 v48, 0 :: v_dual_mov_b32 v47, 0
	v_dual_mov_b32 v49, 0 :: v_dual_mov_b32 v50, 0
	v_dual_mov_b32 v51, 0 :: v_dual_mov_b32 v52, 0
	v_dual_mov_b32 v53, 0 :: v_dual_mov_b32 v54, 0
	v_dual_mov_b32 v55, 0 :: v_dual_mov_b32 v56, 0
	s_wait_xcnt 0x0
	s_and_saveexec_b32 s14, s0
	s_cbranch_execz .LBB40_33
; %bb.6:
	v_add_nc_u64_e32 v[4:5], s[6:7], v[2:3]
	v_add_nc_u64_e32 v[6:7], s[8:9], v[2:3]
	;; [unrolled: 1-line block ×3, first 2 shown]
	v_or_b32_e32 v11, 0x300, v0
	v_dual_mov_b32 v20, 0 :: v_dual_mov_b32 v21, 0
	v_dual_mov_b32 v13, 0 :: v_dual_mov_b32 v16, 0
	global_load_u8 v27, v[4:5], off offset:512
	global_load_u8 v25, v[6:7], off offset:512
	;; [unrolled: 1-line block ×3, first 2 shown]
	v_cmp_gt_u32_e64 s0, s1, v11
	v_dual_mov_b32 v18, 0 :: v_dual_mov_b32 v11, 0
	v_dual_mov_b32 v14, 0 :: v_dual_mov_b32 v19, 0
	v_dual_mov_b32 v12, 0 :: v_dual_mov_b32 v17, 0
	v_dual_mov_b32 v22, 0 :: v_dual_mov_b32 v15, 0
	v_dual_mov_b32 v23, 0 :: v_dual_mov_b32 v26, 0
	v_dual_mov_b32 v24, 0 :: v_dual_mov_b32 v28, 0
	v_dual_mov_b32 v33, 0 :: v_dual_mov_b32 v30, 0
	v_dual_mov_b32 v35, 0 :: v_dual_mov_b32 v39, 0
	v_dual_mov_b32 v38, 0 :: v_dual_mov_b32 v40, 0
	v_dual_mov_b32 v42, 0 :: v_dual_mov_b32 v41, 0
	v_dual_mov_b32 v43, 0 :: v_dual_mov_b32 v45, 0
	v_dual_mov_b32 v44, 0 :: v_dual_mov_b32 v46, 0
	v_dual_mov_b32 v48, 0 :: v_dual_mov_b32 v47, 0
	v_dual_mov_b32 v49, 0 :: v_dual_mov_b32 v50, 0
	v_dual_mov_b32 v51, 0 :: v_dual_mov_b32 v52, 0
	v_dual_mov_b32 v53, 0 :: v_dual_mov_b32 v54, 0
	v_dual_mov_b32 v55, 0 :: v_dual_mov_b32 v56, 0
	s_wait_xcnt 0x0
	s_and_saveexec_b32 s6, s0
	s_cbranch_execz .LBB40_32
; %bb.7:
	global_load_u8 v21, v[4:5], off offset:768
	global_load_u8 v20, v[6:7], off offset:768
	;; [unrolled: 1-line block ×3, first 2 shown]
	v_or_b32_e32 v11, 0x400, v0
	v_dual_mov_b32 v13, 0 :: v_dual_mov_b32 v16, 0
	v_dual_mov_b32 v18, 0 :: v_dual_mov_b32 v14, 0
	v_mov_b32_e32 v19, 0
	s_delay_alu instid0(VALU_DEP_4)
	v_cmp_gt_u32_e64 s0, s1, v11
	v_dual_mov_b32 v11, 0 :: v_dual_mov_b32 v12, 0
	v_dual_mov_b32 v17, 0 :: v_dual_mov_b32 v22, 0
	;; [unrolled: 1-line block ×15, first 2 shown]
	v_mov_b32_e32 v56, 0
	s_wait_xcnt 0x0
	s_and_saveexec_b32 s7, s0
	s_cbranch_execz .LBB40_31
; %bb.8:
	global_load_u8 v18, v[4:5], off offset:1024
	global_load_u8 v16, v[6:7], off offset:1024
	;; [unrolled: 1-line block ×3, first 2 shown]
	v_or_b32_e32 v11, 0x500, v0
	v_dual_mov_b32 v19, 0 :: v_dual_mov_b32 v12, 0
	v_dual_mov_b32 v17, 0 :: v_dual_mov_b32 v22, 0
	s_delay_alu instid0(VALU_DEP_3)
	v_cmp_gt_u32_e64 s0, s1, v11
	v_dual_mov_b32 v11, 0 :: v_dual_mov_b32 v14, 0
	v_dual_mov_b32 v15, 0 :: v_dual_mov_b32 v23, 0
	;; [unrolled: 1-line block ×14, first 2 shown]
	v_mov_b32_e32 v56, 0
	s_wait_xcnt 0x0
	s_and_saveexec_b32 s8, s0
	s_cbranch_execz .LBB40_30
; %bb.9:
	global_load_u8 v19, v[4:5], off offset:1280
	global_load_u8 v14, v[6:7], off offset:1280
	;; [unrolled: 1-line block ×3, first 2 shown]
	v_or_b32_e32 v12, 0x600, v0
	v_dual_mov_b32 v22, 0 :: v_dual_mov_b32 v15, 0
	v_dual_mov_b32 v23, 0 :: v_dual_mov_b32 v26, 0
	s_delay_alu instid0(VALU_DEP_3)
	v_cmp_gt_u32_e64 s0, s1, v12
	v_dual_mov_b32 v12, 0 :: v_dual_mov_b32 v17, 0
	v_dual_mov_b32 v24, 0 :: v_dual_mov_b32 v28, 0
	;; [unrolled: 1-line block ×13, first 2 shown]
	s_wait_xcnt 0x0
	s_and_saveexec_b32 s9, s0
	s_cbranch_execz .LBB40_29
; %bb.10:
	global_load_u8 v22, v[4:5], off offset:1536
	global_load_u8 v17, v[6:7], off offset:1536
	;; [unrolled: 1-line block ×3, first 2 shown]
	v_or_b32_e32 v15, 0x700, v0
	v_dual_mov_b32 v26, 0 :: v_dual_mov_b32 v24, 0
	v_dual_mov_b32 v28, 0 :: v_dual_mov_b32 v33, 0
	s_delay_alu instid0(VALU_DEP_3)
	v_cmp_gt_u32_e64 s0, s1, v15
	v_dual_mov_b32 v15, 0 :: v_dual_mov_b32 v23, 0
	v_dual_mov_b32 v30, 0 :: v_dual_mov_b32 v35, 0
	;; [unrolled: 1-line block ×11, first 2 shown]
	v_mov_b32_e32 v56, 0
	s_wait_xcnt 0x0
	s_and_saveexec_b32 s10, s0
	s_cbranch_execz .LBB40_28
; %bb.11:
	global_load_u8 v26, v[4:5], off offset:1792
	global_load_u8 v23, v[6:7], off offset:1792
	;; [unrolled: 1-line block ×3, first 2 shown]
	v_or_b32_e32 v24, 0x800, v0
	v_dual_mov_b32 v33, 0 :: v_dual_mov_b32 v30, 0
	v_dual_mov_b32 v35, 0 :: v_dual_mov_b32 v39, 0
	s_delay_alu instid0(VALU_DEP_3)
	v_cmp_gt_u32_e64 s0, s1, v24
	v_dual_mov_b32 v24, 0 :: v_dual_mov_b32 v28, 0
	v_dual_mov_b32 v38, 0 :: v_dual_mov_b32 v40, 0
	;; [unrolled: 1-line block ×10, first 2 shown]
	s_wait_xcnt 0x0
	s_and_saveexec_b32 s11, s0
	s_cbranch_execz .LBB40_27
; %bb.12:
	global_load_u8 v33, v[4:5], off offset:2048
	global_load_u8 v28, v[6:7], off offset:2048
	global_load_u8 v24, v[8:9], off offset:2048
	v_or_b32_e32 v30, 0x900, v0
	v_dual_mov_b32 v39, 0 :: v_dual_mov_b32 v38, 0
	v_dual_mov_b32 v40, 0 :: v_dual_mov_b32 v42, 0
	s_delay_alu instid0(VALU_DEP_3)
	v_cmp_gt_u32_e64 s0, s1, v30
	v_dual_mov_b32 v30, 0 :: v_dual_mov_b32 v35, 0
	v_dual_mov_b32 v41, 0 :: v_dual_mov_b32 v43, 0
	;; [unrolled: 1-line block ×8, first 2 shown]
	v_mov_b32_e32 v56, 0
	s_wait_xcnt 0x0
	s_and_saveexec_b32 s15, s0
	s_cbranch_execz .LBB40_26
; %bb.13:
	global_load_u8 v39, v[4:5], off offset:2304
	global_load_u8 v35, v[6:7], off offset:2304
	;; [unrolled: 1-line block ×3, first 2 shown]
	v_or_b32_e32 v38, 0xa00, v0
	v_dual_mov_b32 v42, 0 :: v_dual_mov_b32 v41, 0
	v_dual_mov_b32 v43, 0 :: v_dual_mov_b32 v45, 0
	s_delay_alu instid0(VALU_DEP_3)
	v_cmp_gt_u32_e64 s0, s1, v38
	v_dual_mov_b32 v38, 0 :: v_dual_mov_b32 v40, 0
	v_dual_mov_b32 v44, 0 :: v_dual_mov_b32 v46, 0
	;; [unrolled: 1-line block ×7, first 2 shown]
	s_wait_xcnt 0x0
	s_and_saveexec_b32 s16, s0
	s_cbranch_execz .LBB40_25
; %bb.14:
	global_load_u8 v42, v[4:5], off offset:2560
	global_load_u8 v40, v[6:7], off offset:2560
	;; [unrolled: 1-line block ×3, first 2 shown]
	v_or_b32_e32 v41, 0xb00, v0
	v_dual_mov_b32 v45, 0 :: v_dual_mov_b32 v44, 0
	v_dual_mov_b32 v46, 0 :: v_dual_mov_b32 v48, 0
	s_delay_alu instid0(VALU_DEP_3)
	v_cmp_gt_u32_e64 s0, s1, v41
	v_dual_mov_b32 v41, 0 :: v_dual_mov_b32 v43, 0
	v_dual_mov_b32 v47, 0 :: v_dual_mov_b32 v49, 0
	;; [unrolled: 1-line block ×5, first 2 shown]
	v_mov_b32_e32 v56, 0
	s_wait_xcnt 0x0
	s_and_saveexec_b32 s17, s0
	s_cbranch_execz .LBB40_24
; %bb.15:
	global_load_u8 v45, v[4:5], off offset:2816
	global_load_u8 v43, v[6:7], off offset:2816
	global_load_u8 v41, v[8:9], off offset:2816
	v_or_b32_e32 v44, 0xc00, v0
	v_dual_mov_b32 v48, 0 :: v_dual_mov_b32 v47, 0
	v_dual_mov_b32 v49, 0 :: v_dual_mov_b32 v50, 0
	s_delay_alu instid0(VALU_DEP_3)
	v_cmp_gt_u32_e64 s0, s1, v44
	v_dual_mov_b32 v44, 0 :: v_dual_mov_b32 v46, 0
	v_dual_mov_b32 v51, 0 :: v_dual_mov_b32 v52, 0
	;; [unrolled: 1-line block ×4, first 2 shown]
	s_wait_xcnt 0x0
	s_and_saveexec_b32 s18, s0
	s_cbranch_execz .LBB40_23
; %bb.16:
	global_load_u8 v48, v[4:5], off offset:3072
	global_load_u8 v46, v[6:7], off offset:3072
	;; [unrolled: 1-line block ×3, first 2 shown]
	v_or_b32_e32 v47, 0xd00, v0
	v_dual_mov_b32 v50, 0 :: v_dual_mov_b32 v51, 0
	v_dual_mov_b32 v52, 0 :: v_dual_mov_b32 v53, 0
	s_delay_alu instid0(VALU_DEP_3)
	v_cmp_gt_u32_e64 s0, s1, v47
	v_dual_mov_b32 v47, 0 :: v_dual_mov_b32 v49, 0
	v_dual_mov_b32 v54, 0 :: v_dual_mov_b32 v55, 0
	v_mov_b32_e32 v56, 0
	s_wait_xcnt 0x0
	s_and_saveexec_b32 s19, s0
	s_cbranch_execz .LBB40_22
; %bb.17:
	global_load_u8 v50, v[4:5], off offset:3328
	global_load_u8 v49, v[6:7], off offset:3328
	;; [unrolled: 1-line block ×3, first 2 shown]
	v_or_b32_e32 v51, 0xe00, v0
	v_dual_mov_b32 v53, 0 :: v_dual_mov_b32 v54, 0
	v_dual_mov_b32 v55, 0 :: v_dual_mov_b32 v56, 0
	s_delay_alu instid0(VALU_DEP_3)
	v_cmp_gt_u32_e64 s0, s1, v51
	v_dual_mov_b32 v51, 0 :: v_dual_mov_b32 v52, 0
	s_wait_xcnt 0x0
	s_and_saveexec_b32 s20, s0
	s_cbranch_execz .LBB40_21
; %bb.18:
	global_load_u8 v53, v[4:5], off offset:3584
	global_load_u8 v52, v[6:7], off offset:3584
	;; [unrolled: 1-line block ×3, first 2 shown]
	v_or_b32_e32 v54, 0xf00, v0
	v_dual_mov_b32 v56, 0 :: v_dual_mov_b32 v55, 0
	s_delay_alu instid0(VALU_DEP_2)
	v_cmp_gt_u32_e64 s0, s1, v54
	v_mov_b32_e32 v54, 0
	s_wait_xcnt 0x0
	s_and_saveexec_b32 s21, s0
	s_cbranch_execz .LBB40_20
; %bb.19:
	global_load_u8 v56, v[4:5], off offset:3840
	global_load_u8 v55, v[6:7], off offset:3840
	;; [unrolled: 1-line block ×3, first 2 shown]
.LBB40_20:
	s_wait_xcnt 0x0
	s_or_b32 exec_lo, exec_lo, s21
.LBB40_21:
	s_delay_alu instid0(SALU_CYCLE_1)
	s_or_b32 exec_lo, exec_lo, s20
.LBB40_22:
	s_delay_alu instid0(SALU_CYCLE_1)
	s_or_b32 exec_lo, exec_lo, s19
.LBB40_23:
	s_delay_alu instid0(SALU_CYCLE_1)
	s_or_b32 exec_lo, exec_lo, s18
.LBB40_24:
	s_delay_alu instid0(SALU_CYCLE_1)
	s_or_b32 exec_lo, exec_lo, s17
.LBB40_25:
	s_delay_alu instid0(SALU_CYCLE_1)
	s_or_b32 exec_lo, exec_lo, s16
.LBB40_26:
	s_delay_alu instid0(SALU_CYCLE_1)
	s_or_b32 exec_lo, exec_lo, s15
.LBB40_27:
	s_delay_alu instid0(SALU_CYCLE_1)
	s_or_b32 exec_lo, exec_lo, s11
.LBB40_28:
	s_delay_alu instid0(SALU_CYCLE_1)
	s_or_b32 exec_lo, exec_lo, s10
.LBB40_29:
	s_delay_alu instid0(SALU_CYCLE_1)
	s_or_b32 exec_lo, exec_lo, s9
.LBB40_30:
	s_delay_alu instid0(SALU_CYCLE_1)
	s_or_b32 exec_lo, exec_lo, s8
.LBB40_31:
	s_delay_alu instid0(SALU_CYCLE_1)
	s_or_b32 exec_lo, exec_lo, s7
.LBB40_32:
	s_delay_alu instid0(SALU_CYCLE_1)
	s_or_b32 exec_lo, exec_lo, s6
	s_wait_loadcnt 0x0
	v_dual_mov_b32 v4, v3 :: v_dual_mov_b32 v3, v2
.LBB40_33:
	s_or_b32 exec_lo, exec_lo, s14
.LBB40_34:
	s_delay_alu instid0(SALU_CYCLE_1) | instskip(NEXT) | instid1(SALU_CYCLE_1)
	s_or_b32 exec_lo, exec_lo, s13
	s_or_b32 exec_lo, exec_lo, s3
                                        ; implicit-def: $vgpr2
	s_and_saveexec_b32 s0, vcc_lo
	s_cbranch_execz .LBB40_37
	s_branch .LBB40_36
.LBB40_35:
	s_or_b32 exec_lo, exec_lo, s3
                                        ; implicit-def: $vgpr2
	s_and_saveexec_b32 s0, vcc_lo
	s_cbranch_execz .LBB40_37
.LBB40_36:
	s_and_b32 s3, 0xffff, s12
	s_wait_loadcnt 0x2
	v_mul_lo_u16 v2, v34, s12
	s_lshr_b32 s3, s3, 8
	s_wait_loadcnt 0x1
	v_mul_lo_u16 v5, v36, s3
	s_wait_loadcnt 0x0
	s_delay_alu instid0(VALU_DEP_1)
	v_mad_u16 v2, v5, v37, v2
.LBB40_37:
	s_or_b32 exec_lo, exec_lo, s0
	s_delay_alu instid0(SALU_CYCLE_1)
	s_mov_b32 s3, exec_lo
                                        ; implicit-def: $vgpr5
	v_cmpx_gt_i32_e64 s1, v10
	s_cbranch_execz .LBB40_39
; %bb.38:
	s_and_b32 s0, 0xffff, s12
	s_wait_loadcnt 0x2
	v_mul_lo_u16 v5, v31, s12
	s_lshr_b32 s0, s0, 8
	s_wait_loadcnt 0x1
	v_mul_lo_u16 v6, v32, s0
	s_wait_loadcnt 0x0
	s_delay_alu instid0(VALU_DEP_1)
	v_mad_u16 v5, v6, v29, v5
.LBB40_39:
	s_or_b32 exec_lo, exec_lo, s3
	v_or_b32_e32 v6, 0x200, v0
	s_delay_alu instid0(VALU_DEP_1)
	v_cmp_gt_i32_e64 s0, s1, v6
                                        ; implicit-def: $vgpr6
	s_and_saveexec_b32 s3, s0
; %bb.40:
	s_and_b32 s0, 0xffff, s12
	v_mul_lo_u16 v6, v27, s12
	s_lshr_b32 s0, s0, 8
	s_delay_alu instid0(SALU_CYCLE_1) | instskip(NEXT) | instid1(VALU_DEP_1)
	v_mul_lo_u16 v7, v25, s0
	v_mad_u16 v6, v7, v3, v6
; %bb.41:
	s_or_b32 exec_lo, exec_lo, s3
	v_or_b32_e32 v3, 0x300, v0
	s_delay_alu instid0(VALU_DEP_1)
	v_cmp_gt_i32_e64 s0, s1, v3
                                        ; implicit-def: $vgpr3
	s_and_saveexec_b32 s3, s0
; %bb.42:
	s_and_b32 s0, 0xffff, s12
	v_mul_lo_u16 v3, v21, s12
	s_lshr_b32 s0, s0, 8
	s_delay_alu instid0(SALU_CYCLE_1) | instskip(NEXT) | instid1(VALU_DEP_1)
	v_mul_lo_u16 v7, v20, s0
	v_mad_u16 v3, v7, v4, v3
; %bb.43:
	s_or_b32 exec_lo, exec_lo, s3
	v_or_b32_e32 v4, 0x400, v0
	s_delay_alu instid0(VALU_DEP_1)
	v_cmp_gt_i32_e64 s0, s1, v4
                                        ; implicit-def: $vgpr4
	s_and_saveexec_b32 s3, s0
; %bb.44:
	s_and_b32 s0, 0xffff, s12
	v_mul_lo_u16 v4, v18, s12
	s_lshr_b32 s0, s0, 8
	s_delay_alu instid0(SALU_CYCLE_1) | instskip(NEXT) | instid1(VALU_DEP_1)
	v_mul_lo_u16 v7, v16, s0
	v_mad_u16 v4, v7, v13, v4
; %bb.45:
	s_or_b32 exec_lo, exec_lo, s3
	v_or_b32_e32 v7, 0x500, v0
	s_delay_alu instid0(VALU_DEP_1)
	v_cmp_gt_i32_e64 s0, s1, v7
                                        ; implicit-def: $vgpr7
	s_and_saveexec_b32 s3, s0
; %bb.46:
	s_and_b32 s0, 0xffff, s12
	v_mul_lo_u16 v7, v19, s12
	s_lshr_b32 s0, s0, 8
	s_delay_alu instid0(SALU_CYCLE_1) | instskip(NEXT) | instid1(VALU_DEP_1)
	v_mul_lo_u16 v8, v14, s0
	v_mad_u16 v7, v8, v11, v7
; %bb.47:
	s_or_b32 exec_lo, exec_lo, s3
	v_or_b32_e32 v8, 0x600, v0
	s_delay_alu instid0(VALU_DEP_1)
	v_cmp_gt_i32_e64 s0, s1, v8
                                        ; implicit-def: $vgpr8
	s_and_saveexec_b32 s3, s0
; %bb.48:
	s_and_b32 s0, 0xffff, s12
	v_mul_lo_u16 v8, v22, s12
	s_lshr_b32 s0, s0, 8
	s_delay_alu instid0(SALU_CYCLE_1) | instskip(NEXT) | instid1(VALU_DEP_1)
	v_mul_lo_u16 v9, v17, s0
	v_mad_u16 v8, v9, v12, v8
; %bb.49:
	s_or_b32 exec_lo, exec_lo, s3
	v_or_b32_e32 v9, 0x700, v0
	s_delay_alu instid0(VALU_DEP_1)
	v_cmp_gt_i32_e64 s0, s1, v9
                                        ; implicit-def: $vgpr9
	s_and_saveexec_b32 s3, s0
; %bb.50:
	s_and_b32 s0, 0xffff, s12
	v_mul_lo_u16 v9, v26, s12
	s_lshr_b32 s0, s0, 8
	s_delay_alu instid0(SALU_CYCLE_1) | instskip(NEXT) | instid1(VALU_DEP_1)
	v_mul_lo_u16 v11, v23, s0
	v_mad_u16 v9, v11, v15, v9
; %bb.51:
	s_or_b32 exec_lo, exec_lo, s3
	v_or_b32_e32 v11, 0x800, v0
	s_delay_alu instid0(VALU_DEP_1)
	v_cmp_gt_i32_e64 s0, s1, v11
                                        ; implicit-def: $vgpr11
	s_and_saveexec_b32 s3, s0
; %bb.52:
	s_and_b32 s0, 0xffff, s12
	v_mul_lo_u16 v11, v33, s12
	s_lshr_b32 s0, s0, 8
	s_delay_alu instid0(SALU_CYCLE_1) | instskip(NEXT) | instid1(VALU_DEP_1)
	v_mul_lo_u16 v12, v28, s0
	v_mad_u16 v11, v12, v24, v11
; %bb.53:
	s_or_b32 exec_lo, exec_lo, s3
	v_or_b32_e32 v12, 0x900, v0
	s_delay_alu instid0(VALU_DEP_1)
	v_cmp_gt_i32_e64 s0, s1, v12
                                        ; implicit-def: $vgpr12
	s_and_saveexec_b32 s3, s0
; %bb.54:
	s_and_b32 s0, 0xffff, s12
	v_mul_lo_u16 v12, v39, s12
	s_lshr_b32 s0, s0, 8
	s_delay_alu instid0(SALU_CYCLE_1) | instskip(NEXT) | instid1(VALU_DEP_1)
	v_mul_lo_u16 v13, v35, s0
	v_mad_u16 v12, v13, v30, v12
; %bb.55:
	s_or_b32 exec_lo, exec_lo, s3
	v_or_b32_e32 v13, 0xa00, v0
	s_delay_alu instid0(VALU_DEP_1)
	v_cmp_gt_i32_e64 s0, s1, v13
                                        ; implicit-def: $vgpr13
	s_and_saveexec_b32 s3, s0
; %bb.56:
	s_and_b32 s0, 0xffff, s12
	v_mul_lo_u16 v13, v42, s12
	s_lshr_b32 s0, s0, 8
	s_delay_alu instid0(SALU_CYCLE_1) | instskip(NEXT) | instid1(VALU_DEP_1)
	v_mul_lo_u16 v14, v40, s0
	v_mad_u16 v13, v14, v38, v13
; %bb.57:
	s_or_b32 exec_lo, exec_lo, s3
	v_or_b32_e32 v14, 0xb00, v0
	s_delay_alu instid0(VALU_DEP_1)
	v_cmp_gt_i32_e64 s0, s1, v14
                                        ; implicit-def: $vgpr14
	s_and_saveexec_b32 s3, s0
; %bb.58:
	s_and_b32 s0, 0xffff, s12
	v_mul_lo_u16 v14, v45, s12
	s_lshr_b32 s0, s0, 8
	s_delay_alu instid0(SALU_CYCLE_1) | instskip(NEXT) | instid1(VALU_DEP_1)
	v_mul_lo_u16 v15, v43, s0
	v_mad_u16 v14, v15, v41, v14
; %bb.59:
	s_or_b32 exec_lo, exec_lo, s3
	v_or_b32_e32 v15, 0xc00, v0
	s_delay_alu instid0(VALU_DEP_1)
	v_cmp_gt_i32_e64 s0, s1, v15
                                        ; implicit-def: $vgpr15
	s_and_saveexec_b32 s3, s0
; %bb.60:
	s_and_b32 s0, 0xffff, s12
	v_mul_lo_u16 v15, v48, s12
	s_lshr_b32 s0, s0, 8
	s_delay_alu instid0(SALU_CYCLE_1) | instskip(NEXT) | instid1(VALU_DEP_1)
	v_mul_lo_u16 v16, v46, s0
	v_mad_u16 v15, v16, v44, v15
; %bb.61:
	s_or_b32 exec_lo, exec_lo, s3
	v_or_b32_e32 v16, 0xd00, v0
	s_delay_alu instid0(VALU_DEP_1)
	v_cmp_gt_i32_e64 s0, s1, v16
                                        ; implicit-def: $vgpr16
	s_and_saveexec_b32 s3, s0
; %bb.62:
	s_and_b32 s0, 0xffff, s12
	v_mul_lo_u16 v16, v50, s12
	s_lshr_b32 s0, s0, 8
	s_delay_alu instid0(SALU_CYCLE_1) | instskip(NEXT) | instid1(VALU_DEP_1)
	v_mul_lo_u16 v17, v49, s0
	v_mad_u16 v16, v17, v47, v16
; %bb.63:
	s_or_b32 exec_lo, exec_lo, s3
	v_or_b32_e32 v17, 0xe00, v0
	s_delay_alu instid0(VALU_DEP_1)
	v_cmp_gt_i32_e64 s0, s1, v17
                                        ; implicit-def: $vgpr17
	s_and_saveexec_b32 s3, s0
; %bb.64:
	s_and_b32 s0, 0xffff, s12
	v_mul_lo_u16 v17, v53, s12
	s_lshr_b32 s0, s0, 8
	s_delay_alu instid0(SALU_CYCLE_1) | instskip(NEXT) | instid1(VALU_DEP_1)
	v_mul_lo_u16 v18, v52, s0
	v_mad_u16 v17, v18, v51, v17
; %bb.65:
	s_or_b32 exec_lo, exec_lo, s3
	v_or_b32_e32 v18, 0xf00, v0
	s_delay_alu instid0(VALU_DEP_1)
	v_cmp_gt_i32_e64 s0, s1, v18
                                        ; implicit-def: $vgpr18
	s_and_saveexec_b32 s3, s0
	s_cbranch_execz .LBB40_84
; %bb.66:
	s_and_b32 s0, 0xffff, s12
	v_mul_lo_u16 v18, v56, s12
	s_lshr_b32 s0, s0, 8
	s_delay_alu instid0(SALU_CYCLE_1) | instskip(NEXT) | instid1(VALU_DEP_1)
	v_mul_lo_u16 v19, v55, s0
	v_mad_u16 v18, v19, v54, v18
	s_or_b32 exec_lo, exec_lo, s3
	s_and_saveexec_b32 s0, vcc_lo
	s_delay_alu instid0(SALU_CYCLE_1)
	s_xor_b32 s0, exec_lo, s0
	s_cbranch_execnz .LBB40_85
.LBB40_67:
	s_or_b32 exec_lo, exec_lo, s0
	s_delay_alu instid0(SALU_CYCLE_1)
	s_mov_b32 s0, exec_lo
	v_cmpx_gt_i32_e64 s1, v0
	s_cbranch_execz .LBB40_86
.LBB40_68:
	v_add_nc_u32_e32 v1, s2, v0
	v_add_nc_u32_e32 v0, 0x100, v0
	global_store_b8 v1, v5, s[4:5]
	s_wait_xcnt 0x0
	s_or_b32 exec_lo, exec_lo, s0
	s_delay_alu instid0(SALU_CYCLE_1)
	s_mov_b32 s0, exec_lo
	v_cmpx_gt_i32_e64 s1, v0
	s_cbranch_execnz .LBB40_87
.LBB40_69:
	s_or_b32 exec_lo, exec_lo, s0
	s_delay_alu instid0(SALU_CYCLE_1)
	s_mov_b32 s0, exec_lo
	v_cmpx_gt_i32_e64 s1, v0
	s_cbranch_execz .LBB40_88
.LBB40_70:
	v_add_nc_u32_e32 v1, s2, v0
	v_add_nc_u32_e32 v0, 0x100, v0
	global_store_b8 v1, v3, s[4:5]
	s_wait_xcnt 0x0
	s_or_b32 exec_lo, exec_lo, s0
	s_delay_alu instid0(SALU_CYCLE_1)
	s_mov_b32 s0, exec_lo
	v_cmpx_gt_i32_e64 s1, v0
	s_cbranch_execnz .LBB40_89
.LBB40_71:
	s_or_b32 exec_lo, exec_lo, s0
	s_delay_alu instid0(SALU_CYCLE_1)
	s_mov_b32 s0, exec_lo
	v_cmpx_gt_i32_e64 s1, v0
	s_cbranch_execz .LBB40_90
.LBB40_72:
	v_add_nc_u32_e32 v1, s2, v0
	v_add_nc_u32_e32 v0, 0x100, v0
	global_store_b8 v1, v7, s[4:5]
	s_wait_xcnt 0x0
	s_or_b32 exec_lo, exec_lo, s0
	s_delay_alu instid0(SALU_CYCLE_1)
	s_mov_b32 s0, exec_lo
	v_cmpx_gt_i32_e64 s1, v0
	s_cbranch_execnz .LBB40_91
.LBB40_73:
	s_or_b32 exec_lo, exec_lo, s0
	s_delay_alu instid0(SALU_CYCLE_1)
	s_mov_b32 s0, exec_lo
	v_cmpx_gt_i32_e64 s1, v0
	s_cbranch_execz .LBB40_92
.LBB40_74:
	v_add_nc_u32_e32 v1, s2, v0
	v_add_nc_u32_e32 v0, 0x100, v0
	global_store_b8 v1, v9, s[4:5]
	s_wait_xcnt 0x0
	s_or_b32 exec_lo, exec_lo, s0
	s_delay_alu instid0(SALU_CYCLE_1)
	s_mov_b32 s0, exec_lo
	v_cmpx_gt_i32_e64 s1, v0
	s_cbranch_execnz .LBB40_93
.LBB40_75:
	s_or_b32 exec_lo, exec_lo, s0
	s_delay_alu instid0(SALU_CYCLE_1)
	s_mov_b32 s0, exec_lo
	v_cmpx_gt_i32_e64 s1, v0
	s_cbranch_execz .LBB40_94
.LBB40_76:
	v_add_nc_u32_e32 v1, s2, v0
	v_add_nc_u32_e32 v0, 0x100, v0
	global_store_b8 v1, v12, s[4:5]
	s_wait_xcnt 0x0
	s_or_b32 exec_lo, exec_lo, s0
	s_delay_alu instid0(SALU_CYCLE_1)
	s_mov_b32 s0, exec_lo
	v_cmpx_gt_i32_e64 s1, v0
	s_cbranch_execnz .LBB40_95
.LBB40_77:
	s_or_b32 exec_lo, exec_lo, s0
	s_delay_alu instid0(SALU_CYCLE_1)
	s_mov_b32 s0, exec_lo
	v_cmpx_gt_i32_e64 s1, v0
	s_cbranch_execz .LBB40_96
.LBB40_78:
	v_add_nc_u32_e32 v1, s2, v0
	v_add_nc_u32_e32 v0, 0x100, v0
	global_store_b8 v1, v14, s[4:5]
	s_wait_xcnt 0x0
	s_or_b32 exec_lo, exec_lo, s0
	s_delay_alu instid0(SALU_CYCLE_1)
	s_mov_b32 s0, exec_lo
	v_cmpx_gt_i32_e64 s1, v0
	s_cbranch_execnz .LBB40_97
.LBB40_79:
	s_or_b32 exec_lo, exec_lo, s0
	s_delay_alu instid0(SALU_CYCLE_1)
	s_mov_b32 s0, exec_lo
	v_cmpx_gt_i32_e64 s1, v0
	s_cbranch_execz .LBB40_98
.LBB40_80:
	v_add_nc_u32_e32 v1, s2, v0
	v_add_nc_u32_e32 v0, 0x100, v0
	global_store_b8 v1, v16, s[4:5]
	s_wait_xcnt 0x0
	s_or_b32 exec_lo, exec_lo, s0
	s_delay_alu instid0(SALU_CYCLE_1)
	s_mov_b32 s0, exec_lo
	v_cmpx_gt_i32_e64 s1, v0
	s_cbranch_execnz .LBB40_99
.LBB40_81:
	s_or_b32 exec_lo, exec_lo, s0
	s_delay_alu instid0(SALU_CYCLE_1)
	s_mov_b32 s0, exec_lo
	v_cmpx_gt_i32_e64 s1, v0
	s_cbranch_execz .LBB40_83
.LBB40_82:
	v_add_nc_u32_e32 v0, s2, v0
	global_store_b8 v0, v18, s[4:5]
.LBB40_83:
	s_endpgm
.LBB40_84:
	s_or_b32 exec_lo, exec_lo, s3
	s_and_saveexec_b32 s0, vcc_lo
	s_delay_alu instid0(SALU_CYCLE_1)
	s_xor_b32 s0, exec_lo, s0
	s_cbranch_execz .LBB40_67
.LBB40_85:
	v_mov_b32_e32 v0, v10
	global_store_b8 v1, v2, s[4:5]
	s_wait_xcnt 0x0
	s_or_b32 exec_lo, exec_lo, s0
	s_delay_alu instid0(SALU_CYCLE_1)
	s_mov_b32 s0, exec_lo
	v_cmpx_gt_i32_e64 s1, v0
	s_cbranch_execnz .LBB40_68
.LBB40_86:
	s_or_b32 exec_lo, exec_lo, s0
	s_delay_alu instid0(SALU_CYCLE_1)
	s_mov_b32 s0, exec_lo
	v_cmpx_gt_i32_e64 s1, v0
	s_cbranch_execz .LBB40_69
.LBB40_87:
	v_add_nc_u32_e32 v1, s2, v0
	v_add_nc_u32_e32 v0, 0x100, v0
	global_store_b8 v1, v6, s[4:5]
	s_wait_xcnt 0x0
	s_or_b32 exec_lo, exec_lo, s0
	s_delay_alu instid0(SALU_CYCLE_1)
	s_mov_b32 s0, exec_lo
	v_cmpx_gt_i32_e64 s1, v0
	s_cbranch_execnz .LBB40_70
.LBB40_88:
	s_or_b32 exec_lo, exec_lo, s0
	s_delay_alu instid0(SALU_CYCLE_1)
	s_mov_b32 s0, exec_lo
	v_cmpx_gt_i32_e64 s1, v0
	s_cbranch_execz .LBB40_71
.LBB40_89:
	v_add_nc_u32_e32 v1, s2, v0
	v_add_nc_u32_e32 v0, 0x100, v0
	global_store_b8 v1, v4, s[4:5]
	s_wait_xcnt 0x0
	s_or_b32 exec_lo, exec_lo, s0
	s_delay_alu instid0(SALU_CYCLE_1)
	s_mov_b32 s0, exec_lo
	v_cmpx_gt_i32_e64 s1, v0
	s_cbranch_execnz .LBB40_72
.LBB40_90:
	s_or_b32 exec_lo, exec_lo, s0
	s_delay_alu instid0(SALU_CYCLE_1)
	s_mov_b32 s0, exec_lo
	v_cmpx_gt_i32_e64 s1, v0
	s_cbranch_execz .LBB40_73
.LBB40_91:
	v_add_nc_u32_e32 v1, s2, v0
	v_add_nc_u32_e32 v0, 0x100, v0
	global_store_b8 v1, v8, s[4:5]
	s_wait_xcnt 0x0
	s_or_b32 exec_lo, exec_lo, s0
	s_delay_alu instid0(SALU_CYCLE_1)
	s_mov_b32 s0, exec_lo
	v_cmpx_gt_i32_e64 s1, v0
	s_cbranch_execnz .LBB40_74
.LBB40_92:
	s_or_b32 exec_lo, exec_lo, s0
	s_delay_alu instid0(SALU_CYCLE_1)
	s_mov_b32 s0, exec_lo
	v_cmpx_gt_i32_e64 s1, v0
	s_cbranch_execz .LBB40_75
.LBB40_93:
	v_add_nc_u32_e32 v1, s2, v0
	v_add_nc_u32_e32 v0, 0x100, v0
	global_store_b8 v1, v11, s[4:5]
	s_wait_xcnt 0x0
	s_or_b32 exec_lo, exec_lo, s0
	s_delay_alu instid0(SALU_CYCLE_1)
	s_mov_b32 s0, exec_lo
	v_cmpx_gt_i32_e64 s1, v0
	s_cbranch_execnz .LBB40_76
.LBB40_94:
	s_or_b32 exec_lo, exec_lo, s0
	s_delay_alu instid0(SALU_CYCLE_1)
	s_mov_b32 s0, exec_lo
	v_cmpx_gt_i32_e64 s1, v0
	s_cbranch_execz .LBB40_77
.LBB40_95:
	v_add_nc_u32_e32 v1, s2, v0
	v_add_nc_u32_e32 v0, 0x100, v0
	global_store_b8 v1, v13, s[4:5]
	s_wait_xcnt 0x0
	s_or_b32 exec_lo, exec_lo, s0
	s_delay_alu instid0(SALU_CYCLE_1)
	s_mov_b32 s0, exec_lo
	v_cmpx_gt_i32_e64 s1, v0
	s_cbranch_execnz .LBB40_78
.LBB40_96:
	s_or_b32 exec_lo, exec_lo, s0
	s_delay_alu instid0(SALU_CYCLE_1)
	s_mov_b32 s0, exec_lo
	v_cmpx_gt_i32_e64 s1, v0
	s_cbranch_execz .LBB40_79
.LBB40_97:
	v_add_nc_u32_e32 v1, s2, v0
	v_add_nc_u32_e32 v0, 0x100, v0
	global_store_b8 v1, v15, s[4:5]
	s_wait_xcnt 0x0
	s_or_b32 exec_lo, exec_lo, s0
	s_delay_alu instid0(SALU_CYCLE_1)
	s_mov_b32 s0, exec_lo
	v_cmpx_gt_i32_e64 s1, v0
	s_cbranch_execnz .LBB40_80
.LBB40_98:
	s_or_b32 exec_lo, exec_lo, s0
	s_delay_alu instid0(SALU_CYCLE_1)
	s_mov_b32 s0, exec_lo
	v_cmpx_gt_i32_e64 s1, v0
	s_cbranch_execz .LBB40_81
.LBB40_99:
	v_add_nc_u32_e32 v1, s2, v0
	v_add_nc_u32_e32 v0, 0x100, v0
	global_store_b8 v1, v17, s[4:5]
	s_wait_xcnt 0x0
	s_or_b32 exec_lo, exec_lo, s0
	s_delay_alu instid0(SALU_CYCLE_1)
	s_mov_b32 s0, exec_lo
	v_cmpx_gt_i32_e64 s1, v0
	s_cbranch_execnz .LBB40_82
	s_branch .LBB40_83
	.section	.rodata,"a",@progbits
	.p2align	6, 0x0
	.amdhsa_kernel _ZN2at6native29vectorized_elementwise_kernelILi16EZZZNS0_12_GLOBAL__N_116addr_kernel_cudaERNS_14TensorIteratorERKN3c106ScalarES8_ENKUlvE_clEvENKUlvE0_clEvEUlaaaE0_St5arrayIPcLm4EEEEviT0_T1_
		.amdhsa_group_segment_fixed_size 0
		.amdhsa_private_segment_fixed_size 0
		.amdhsa_kernarg_size 40
		.amdhsa_user_sgpr_count 2
		.amdhsa_user_sgpr_dispatch_ptr 0
		.amdhsa_user_sgpr_queue_ptr 0
		.amdhsa_user_sgpr_kernarg_segment_ptr 1
		.amdhsa_user_sgpr_dispatch_id 0
		.amdhsa_user_sgpr_kernarg_preload_length 0
		.amdhsa_user_sgpr_kernarg_preload_offset 0
		.amdhsa_user_sgpr_private_segment_size 0
		.amdhsa_wavefront_size32 1
		.amdhsa_uses_dynamic_stack 0
		.amdhsa_enable_private_segment 0
		.amdhsa_system_sgpr_workgroup_id_x 1
		.amdhsa_system_sgpr_workgroup_id_y 0
		.amdhsa_system_sgpr_workgroup_id_z 0
		.amdhsa_system_sgpr_workgroup_info 0
		.amdhsa_system_vgpr_workitem_id 0
		.amdhsa_next_free_vgpr 57
		.amdhsa_next_free_sgpr 22
		.amdhsa_named_barrier_count 0
		.amdhsa_reserve_vcc 1
		.amdhsa_float_round_mode_32 0
		.amdhsa_float_round_mode_16_64 0
		.amdhsa_float_denorm_mode_32 3
		.amdhsa_float_denorm_mode_16_64 3
		.amdhsa_fp16_overflow 0
		.amdhsa_memory_ordered 1
		.amdhsa_forward_progress 1
		.amdhsa_inst_pref_size 52
		.amdhsa_round_robin_scheduling 0
		.amdhsa_exception_fp_ieee_invalid_op 0
		.amdhsa_exception_fp_denorm_src 0
		.amdhsa_exception_fp_ieee_div_zero 0
		.amdhsa_exception_fp_ieee_overflow 0
		.amdhsa_exception_fp_ieee_underflow 0
		.amdhsa_exception_fp_ieee_inexact 0
		.amdhsa_exception_int_div_zero 0
	.end_amdhsa_kernel
	.section	.text._ZN2at6native29vectorized_elementwise_kernelILi16EZZZNS0_12_GLOBAL__N_116addr_kernel_cudaERNS_14TensorIteratorERKN3c106ScalarES8_ENKUlvE_clEvENKUlvE0_clEvEUlaaaE0_St5arrayIPcLm4EEEEviT0_T1_,"axG",@progbits,_ZN2at6native29vectorized_elementwise_kernelILi16EZZZNS0_12_GLOBAL__N_116addr_kernel_cudaERNS_14TensorIteratorERKN3c106ScalarES8_ENKUlvE_clEvENKUlvE0_clEvEUlaaaE0_St5arrayIPcLm4EEEEviT0_T1_,comdat
.Lfunc_end40:
	.size	_ZN2at6native29vectorized_elementwise_kernelILi16EZZZNS0_12_GLOBAL__N_116addr_kernel_cudaERNS_14TensorIteratorERKN3c106ScalarES8_ENKUlvE_clEvENKUlvE0_clEvEUlaaaE0_St5arrayIPcLm4EEEEviT0_T1_, .Lfunc_end40-_ZN2at6native29vectorized_elementwise_kernelILi16EZZZNS0_12_GLOBAL__N_116addr_kernel_cudaERNS_14TensorIteratorERKN3c106ScalarES8_ENKUlvE_clEvENKUlvE0_clEvEUlaaaE0_St5arrayIPcLm4EEEEviT0_T1_
                                        ; -- End function
	.set _ZN2at6native29vectorized_elementwise_kernelILi16EZZZNS0_12_GLOBAL__N_116addr_kernel_cudaERNS_14TensorIteratorERKN3c106ScalarES8_ENKUlvE_clEvENKUlvE0_clEvEUlaaaE0_St5arrayIPcLm4EEEEviT0_T1_.num_vgpr, 57
	.set _ZN2at6native29vectorized_elementwise_kernelILi16EZZZNS0_12_GLOBAL__N_116addr_kernel_cudaERNS_14TensorIteratorERKN3c106ScalarES8_ENKUlvE_clEvENKUlvE0_clEvEUlaaaE0_St5arrayIPcLm4EEEEviT0_T1_.num_agpr, 0
	.set _ZN2at6native29vectorized_elementwise_kernelILi16EZZZNS0_12_GLOBAL__N_116addr_kernel_cudaERNS_14TensorIteratorERKN3c106ScalarES8_ENKUlvE_clEvENKUlvE0_clEvEUlaaaE0_St5arrayIPcLm4EEEEviT0_T1_.numbered_sgpr, 22
	.set _ZN2at6native29vectorized_elementwise_kernelILi16EZZZNS0_12_GLOBAL__N_116addr_kernel_cudaERNS_14TensorIteratorERKN3c106ScalarES8_ENKUlvE_clEvENKUlvE0_clEvEUlaaaE0_St5arrayIPcLm4EEEEviT0_T1_.num_named_barrier, 0
	.set _ZN2at6native29vectorized_elementwise_kernelILi16EZZZNS0_12_GLOBAL__N_116addr_kernel_cudaERNS_14TensorIteratorERKN3c106ScalarES8_ENKUlvE_clEvENKUlvE0_clEvEUlaaaE0_St5arrayIPcLm4EEEEviT0_T1_.private_seg_size, 0
	.set _ZN2at6native29vectorized_elementwise_kernelILi16EZZZNS0_12_GLOBAL__N_116addr_kernel_cudaERNS_14TensorIteratorERKN3c106ScalarES8_ENKUlvE_clEvENKUlvE0_clEvEUlaaaE0_St5arrayIPcLm4EEEEviT0_T1_.uses_vcc, 1
	.set _ZN2at6native29vectorized_elementwise_kernelILi16EZZZNS0_12_GLOBAL__N_116addr_kernel_cudaERNS_14TensorIteratorERKN3c106ScalarES8_ENKUlvE_clEvENKUlvE0_clEvEUlaaaE0_St5arrayIPcLm4EEEEviT0_T1_.uses_flat_scratch, 0
	.set _ZN2at6native29vectorized_elementwise_kernelILi16EZZZNS0_12_GLOBAL__N_116addr_kernel_cudaERNS_14TensorIteratorERKN3c106ScalarES8_ENKUlvE_clEvENKUlvE0_clEvEUlaaaE0_St5arrayIPcLm4EEEEviT0_T1_.has_dyn_sized_stack, 0
	.set _ZN2at6native29vectorized_elementwise_kernelILi16EZZZNS0_12_GLOBAL__N_116addr_kernel_cudaERNS_14TensorIteratorERKN3c106ScalarES8_ENKUlvE_clEvENKUlvE0_clEvEUlaaaE0_St5arrayIPcLm4EEEEviT0_T1_.has_recursion, 0
	.set _ZN2at6native29vectorized_elementwise_kernelILi16EZZZNS0_12_GLOBAL__N_116addr_kernel_cudaERNS_14TensorIteratorERKN3c106ScalarES8_ENKUlvE_clEvENKUlvE0_clEvEUlaaaE0_St5arrayIPcLm4EEEEviT0_T1_.has_indirect_call, 0
	.section	.AMDGPU.csdata,"",@progbits
; Kernel info:
; codeLenInByte = 6564
; TotalNumSgprs: 24
; NumVgprs: 57
; ScratchSize: 0
; MemoryBound: 0
; FloatMode: 240
; IeeeMode: 1
; LDSByteSize: 0 bytes/workgroup (compile time only)
; SGPRBlocks: 0
; VGPRBlocks: 3
; NumSGPRsForWavesPerEU: 24
; NumVGPRsForWavesPerEU: 57
; NamedBarCnt: 0
; Occupancy: 16
; WaveLimiterHint : 0
; COMPUTE_PGM_RSRC2:SCRATCH_EN: 0
; COMPUTE_PGM_RSRC2:USER_SGPR: 2
; COMPUTE_PGM_RSRC2:TRAP_HANDLER: 0
; COMPUTE_PGM_RSRC2:TGID_X_EN: 1
; COMPUTE_PGM_RSRC2:TGID_Y_EN: 0
; COMPUTE_PGM_RSRC2:TGID_Z_EN: 0
; COMPUTE_PGM_RSRC2:TIDIG_COMP_CNT: 0
	.section	.text._ZN2at6native29vectorized_elementwise_kernelILi8EZZZNS0_12_GLOBAL__N_116addr_kernel_cudaERNS_14TensorIteratorERKN3c106ScalarES8_ENKUlvE_clEvENKUlvE0_clEvEUlaaaE0_St5arrayIPcLm4EEEEviT0_T1_,"axG",@progbits,_ZN2at6native29vectorized_elementwise_kernelILi8EZZZNS0_12_GLOBAL__N_116addr_kernel_cudaERNS_14TensorIteratorERKN3c106ScalarES8_ENKUlvE_clEvENKUlvE0_clEvEUlaaaE0_St5arrayIPcLm4EEEEviT0_T1_,comdat
	.globl	_ZN2at6native29vectorized_elementwise_kernelILi8EZZZNS0_12_GLOBAL__N_116addr_kernel_cudaERNS_14TensorIteratorERKN3c106ScalarES8_ENKUlvE_clEvENKUlvE0_clEvEUlaaaE0_St5arrayIPcLm4EEEEviT0_T1_ ; -- Begin function _ZN2at6native29vectorized_elementwise_kernelILi8EZZZNS0_12_GLOBAL__N_116addr_kernel_cudaERNS_14TensorIteratorERKN3c106ScalarES8_ENKUlvE_clEvENKUlvE0_clEvEUlaaaE0_St5arrayIPcLm4EEEEviT0_T1_
	.p2align	8
	.type	_ZN2at6native29vectorized_elementwise_kernelILi8EZZZNS0_12_GLOBAL__N_116addr_kernel_cudaERNS_14TensorIteratorERKN3c106ScalarES8_ENKUlvE_clEvENKUlvE0_clEvEUlaaaE0_St5arrayIPcLm4EEEEviT0_T1_,@function
_ZN2at6native29vectorized_elementwise_kernelILi8EZZZNS0_12_GLOBAL__N_116addr_kernel_cudaERNS_14TensorIteratorERKN3c106ScalarES8_ENKUlvE_clEvENKUlvE0_clEvEUlaaaE0_St5arrayIPcLm4EEEEviT0_T1_: ; @_ZN2at6native29vectorized_elementwise_kernelILi8EZZZNS0_12_GLOBAL__N_116addr_kernel_cudaERNS_14TensorIteratorERKN3c106ScalarES8_ENKUlvE_clEvENKUlvE0_clEvEUlaaaE0_St5arrayIPcLm4EEEEviT0_T1_
; %bb.0:
	v_mov_b32_e32 v1, 0
	s_clause 0x1
	s_load_b32 s3, s[0:1], 0x0
	s_load_b256 s[4:11], s[0:1], 0x8
	s_getreg_b32 s2, hwreg(HW_REG_IB_STS2, 6, 4)
	global_load_u16 v1, v1, s[0:1] offset:4
	s_wait_xcnt 0x0
	s_bfe_u32 s0, ttmp6, 0x4000c
	s_and_b32 s1, ttmp6, 15
	s_add_co_i32 s0, s0, 1
	s_delay_alu instid0(SALU_CYCLE_1) | instskip(NEXT) | instid1(SALU_CYCLE_1)
	s_mul_i32 s0, ttmp9, s0
	s_add_co_i32 s1, s1, s0
	s_cmp_eq_u32 s2, 0
	s_cselect_b32 s0, ttmp9, s1
	s_delay_alu instid0(SALU_CYCLE_1) | instskip(SKIP_3) | instid1(SALU_CYCLE_1)
	s_lshl_b32 s2, s0, 12
	s_mov_b32 s0, -1
	s_wait_kmcnt 0x0
	s_sub_co_i32 s1, s3, s2
	s_cmp_gt_i32 s1, 0xfff
	s_wait_loadcnt 0x0
	v_readfirstlane_b32 s12, v1
	s_cbranch_scc0 .LBB41_2
; %bb.1:
	s_ashr_i32 s3, s2, 31
	s_and_b32 s0, 0xffff, s12
	s_add_nc_u64 s[14:15], s[6:7], s[2:3]
	s_lshr_b32 s0, s0, 8
	s_clause 0x1
	global_load_b64 v[2:3], v0, s[14:15] scale_offset
	global_load_b64 v[4:5], v0, s[14:15] offset:2048 scale_offset
	s_wait_xcnt 0x0
	s_add_nc_u64 s[14:15], s[8:9], s[2:3]
	s_clause 0x1
	global_load_b64 v[6:7], v0, s[14:15] scale_offset
	global_load_b64 v[8:9], v0, s[14:15] offset:2048 scale_offset
	s_wait_xcnt 0x0
	s_add_nc_u64 s[14:15], s[10:11], s[2:3]
	;; [unrolled: 5-line block ×3, first 2 shown]
	s_wait_loadcnt 0x5
	v_dual_lshrrev_b32 v1, 8, v2 :: v_dual_lshrrev_b32 v14, 16, v2
	v_dual_lshrrev_b32 v15, 24, v2 :: v_dual_lshrrev_b32 v16, 8, v3
	;; [unrolled: 1-line block ×3, first 2 shown]
	s_wait_loadcnt 0x3
	v_dual_lshrrev_b32 v25, 8, v6 :: v_dual_lshrrev_b32 v26, 16, v6
	v_dual_lshrrev_b32 v27, 24, v6 :: v_dual_lshrrev_b32 v28, 8, v7
	v_dual_lshrrev_b32 v29, 16, v7 :: v_dual_lshrrev_b32 v30, 24, v7
	v_mul_lo_u16 v2, v2, s12
	v_mul_lo_u16 v6, v6, s0
	;; [unrolled: 1-line block ×4, first 2 shown]
	v_dual_lshrrev_b32 v19, 8, v4 :: v_dual_lshrrev_b32 v20, 16, v4
	v_dual_lshrrev_b32 v21, 24, v4 :: v_dual_lshrrev_b32 v22, 8, v5
	;; [unrolled: 1-line block ×3, first 2 shown]
	s_wait_loadcnt 0x2
	v_dual_lshrrev_b32 v31, 8, v8 :: v_dual_lshrrev_b32 v32, 16, v8
	v_dual_lshrrev_b32 v33, 24, v8 :: v_dual_lshrrev_b32 v34, 8, v9
	;; [unrolled: 1-line block ×3, first 2 shown]
	v_mul_lo_u16 v4, v4, s12
	v_mul_lo_u16 v8, v8, s0
	;; [unrolled: 1-line block ×4, first 2 shown]
	s_wait_loadcnt 0x1
	v_dual_lshrrev_b32 v37, 8, v10 :: v_dual_lshrrev_b32 v38, 16, v10
	v_dual_lshrrev_b32 v39, 24, v10 :: v_dual_lshrrev_b32 v40, 8, v11
	v_dual_lshrrev_b32 v41, 16, v11 :: v_dual_lshrrev_b32 v42, 24, v11
	v_mad_u16 v2, v6, v10, v2
	v_mul_lo_u16 v1, v1, s12
	v_mul_lo_u16 v6, v25, s0
	;; [unrolled: 1-line block ×4, first 2 shown]
	v_mad_u16 v3, v7, v11, v3
	v_mul_lo_u16 v7, v16, s12
	v_mul_lo_u16 v11, v28, s0
	;; [unrolled: 1-line block ×4, first 2 shown]
	s_wait_loadcnt 0x0
	v_dual_lshrrev_b32 v43, 8, v12 :: v_dual_lshrrev_b32 v44, 16, v12
	v_dual_lshrrev_b32 v45, 24, v12 :: v_dual_lshrrev_b32 v46, 8, v13
	;; [unrolled: 1-line block ×3, first 2 shown]
	v_mad_u16 v4, v8, v12, v4
	v_mul_lo_u16 v8, v19, s12
	v_mul_lo_u16 v12, v31, s0
	;; [unrolled: 1-line block ×4, first 2 shown]
	v_mad_u16 v5, v9, v13, v5
	v_mul_lo_u16 v9, v22, s12
	v_mul_lo_u16 v13, v34, s0
	;; [unrolled: 1-line block ×8, first 2 shown]
	v_mad_u16 v1, v6, v37, v1
	v_mad_u16 v6, v14, v38, v10
	;; [unrolled: 1-line block ×4, first 2 shown]
	v_mul_lo_u16 v21, v21, s12
	v_mul_lo_u16 v27, v33, s0
	;; [unrolled: 1-line block ×4, first 2 shown]
	v_mad_u16 v8, v12, v43, v8
	v_mad_u16 v12, v20, v44, v19
	;; [unrolled: 1-line block ×6, first 2 shown]
	v_and_b32_e32 v1, 0xff, v1
	v_and_b32_e32 v6, 0xff, v6
	;; [unrolled: 1-line block ×4, first 2 shown]
	v_mad_u16 v15, v27, v45, v21
	v_mad_u16 v16, v28, v48, v24
	v_and_b32_e32 v8, 0xff, v8
	v_and_b32_e32 v12, 0xff, v12
	;; [unrolled: 1-line block ×3, first 2 shown]
	v_dual_lshlrev_b32 v10, 24, v10 :: v_dual_lshlrev_b32 v15, 24, v15
	v_dual_lshlrev_b32 v14, 24, v14 :: v_dual_lshlrev_b32 v16, 24, v16
	v_perm_b32 v1, v1, v2, 0x6050400
	v_dual_lshlrev_b32 v2, 16, v6 :: v_dual_lshlrev_b32 v6, 8, v7
	v_lshlrev_b32_e32 v7, 16, v11
	v_and_b32_e32 v9, 0xff, v9
	v_perm_b32 v4, v8, v4, 0x6050400
	v_dual_lshlrev_b32 v8, 16, v13 :: v_dual_lshlrev_b32 v11, 16, v12
	v_and_b32_e32 v3, 0xff, v3
	v_or_b32_e32 v7, v14, v7
	v_or3_b32 v1, v1, v2, v10
	v_and_b32_e32 v5, 0xff, v5
	v_dual_lshlrev_b32 v9, 8, v9 :: v_dual_bitop2_b32 v8, v16, v8 bitop3:0x54
	v_or3_b32 v4, v4, v11, v15
	v_or3_b32 v3, v3, v6, v7
	;; [unrolled: 1-line block ×3, first 2 shown]
	s_mov_b32 s0, 0
	v_or3_b32 v5, v5, v9, v8
	v_or3_b32 v4, v4, 0, 0
	s_clause 0x1
	global_store_b64 v0, v[2:3], s[14:15] scale_offset
	global_store_b64 v0, v[4:5], s[14:15] offset:2048 scale_offset
.LBB41_2:
	s_and_not1_b32 vcc_lo, exec_lo, s0
	s_cbranch_vccnz .LBB41_83
; %bb.3:
	v_cmp_gt_i32_e32 vcc_lo, s1, v0
	v_dual_mov_b32 v56, 0 :: v_dual_bitop2_b32 v1, s2, v0 bitop3:0x54
	v_or_b32_e32 v10, 0x100, v0
	v_dual_mov_b32 v55, 0 :: v_dual_mov_b32 v54, 0
	v_dual_mov_b32 v53, 0 :: v_dual_mov_b32 v52, 0
	;; [unrolled: 1-line block ×18, first 2 shown]
	s_wait_xcnt 0x0
	v_dual_mov_b32 v20, 0 :: v_dual_mov_b32 v4, 0
	v_dual_mov_b32 v27, 0 :: v_dual_mov_b32 v25, 0
	v_dual_mov_b32 v3, 0 :: v_dual_mov_b32 v31, 0
	v_dual_mov_b32 v32, 0 :: v_dual_mov_b32 v29, 0
	v_dual_mov_b32 v34, 0 :: v_dual_mov_b32 v36, 0
	v_mov_b32_e32 v37, 0
	s_and_saveexec_b32 s3, vcc_lo
	s_cbranch_execz .LBB41_35
; %bb.4:
	s_clause 0x2
	global_load_u8 v34, v1, s[6:7]
	global_load_u8 v36, v1, s[8:9]
	;; [unrolled: 1-line block ×3, first 2 shown]
	v_or_b32_e32 v2, 0x100, v0
	v_dual_mov_b32 v29, 0 :: v_dual_mov_b32 v32, 0
	v_dual_mov_b32 v31, 0 :: v_dual_mov_b32 v3, 0
	s_delay_alu instid0(VALU_DEP_3)
	v_cmp_gt_u32_e64 s0, s1, v2
	v_dual_mov_b32 v25, 0 :: v_dual_mov_b32 v27, 0
	v_dual_mov_b32 v4, 0 :: v_dual_mov_b32 v20, 0
	v_dual_mov_b32 v21, 0 :: v_dual_mov_b32 v13, 0
	v_dual_mov_b32 v16, 0 :: v_dual_mov_b32 v18, 0
	v_dual_mov_b32 v11, 0 :: v_dual_mov_b32 v14, 0
	v_dual_mov_b32 v19, 0 :: v_dual_mov_b32 v12, 0
	v_dual_mov_b32 v17, 0 :: v_dual_mov_b32 v22, 0
	v_dual_mov_b32 v15, 0 :: v_dual_mov_b32 v23, 0
	v_dual_mov_b32 v26, 0 :: v_dual_mov_b32 v24, 0
	v_dual_mov_b32 v28, 0 :: v_dual_mov_b32 v33, 0
	v_dual_mov_b32 v30, 0 :: v_dual_mov_b32 v35, 0
	v_dual_mov_b32 v39, 0 :: v_dual_mov_b32 v38, 0
	v_dual_mov_b32 v40, 0 :: v_dual_mov_b32 v42, 0
	v_dual_mov_b32 v41, 0 :: v_dual_mov_b32 v43, 0
	v_dual_mov_b32 v45, 0 :: v_dual_mov_b32 v44, 0
	v_dual_mov_b32 v46, 0 :: v_dual_mov_b32 v48, 0
	v_dual_mov_b32 v47, 0 :: v_dual_mov_b32 v49, 0
	v_dual_mov_b32 v50, 0 :: v_dual_mov_b32 v51, 0
	v_dual_mov_b32 v52, 0 :: v_dual_mov_b32 v53, 0
	v_dual_mov_b32 v54, 0 :: v_dual_mov_b32 v55, 0
	v_mov_b32_e32 v56, 0
	s_wait_xcnt 0x0
	s_and_saveexec_b32 s13, s0
	s_cbranch_execz .LBB41_34
; %bb.5:
	v_dual_mov_b32 v3, 0 :: v_dual_add_nc_u32 v2, s2, v0
	v_or_b32_e32 v4, 0x200, v0
	v_dual_mov_b32 v25, 0 :: v_dual_mov_b32 v27, 0
	s_clause 0x2
	global_load_u8 v31, v2, s[6:7] offset:256
	global_load_u8 v32, v2, s[8:9] offset:256
	;; [unrolled: 1-line block ×3, first 2 shown]
	v_mov_b32_e32 v20, 0
	v_cmp_gt_u32_e64 s0, s1, v4
	v_dual_mov_b32 v4, 0 :: v_dual_mov_b32 v21, 0
	v_dual_mov_b32 v13, 0 :: v_dual_mov_b32 v16, 0
	;; [unrolled: 1-line block ×19, first 2 shown]
	s_wait_xcnt 0x0
	s_and_saveexec_b32 s14, s0
	s_cbranch_execz .LBB41_33
; %bb.6:
	v_add_nc_u64_e32 v[4:5], s[6:7], v[2:3]
	v_add_nc_u64_e32 v[6:7], s[8:9], v[2:3]
	;; [unrolled: 1-line block ×3, first 2 shown]
	v_or_b32_e32 v11, 0x300, v0
	v_dual_mov_b32 v20, 0 :: v_dual_mov_b32 v21, 0
	v_dual_mov_b32 v13, 0 :: v_dual_mov_b32 v16, 0
	global_load_u8 v27, v[4:5], off offset:512
	global_load_u8 v25, v[6:7], off offset:512
	;; [unrolled: 1-line block ×3, first 2 shown]
	v_cmp_gt_u32_e64 s0, s1, v11
	v_dual_mov_b32 v18, 0 :: v_dual_mov_b32 v11, 0
	v_dual_mov_b32 v14, 0 :: v_dual_mov_b32 v19, 0
	;; [unrolled: 1-line block ×17, first 2 shown]
	s_wait_xcnt 0x0
	s_and_saveexec_b32 s6, s0
	s_cbranch_execz .LBB41_32
; %bb.7:
	global_load_u8 v21, v[4:5], off offset:768
	global_load_u8 v20, v[6:7], off offset:768
	;; [unrolled: 1-line block ×3, first 2 shown]
	v_or_b32_e32 v11, 0x400, v0
	v_dual_mov_b32 v13, 0 :: v_dual_mov_b32 v16, 0
	v_dual_mov_b32 v18, 0 :: v_dual_mov_b32 v14, 0
	v_mov_b32_e32 v19, 0
	s_delay_alu instid0(VALU_DEP_4)
	v_cmp_gt_u32_e64 s0, s1, v11
	v_dual_mov_b32 v11, 0 :: v_dual_mov_b32 v12, 0
	v_dual_mov_b32 v17, 0 :: v_dual_mov_b32 v22, 0
	;; [unrolled: 1-line block ×15, first 2 shown]
	v_mov_b32_e32 v56, 0
	s_wait_xcnt 0x0
	s_and_saveexec_b32 s7, s0
	s_cbranch_execz .LBB41_31
; %bb.8:
	global_load_u8 v18, v[4:5], off offset:1024
	global_load_u8 v16, v[6:7], off offset:1024
	global_load_u8 v13, v[8:9], off offset:1024
	v_or_b32_e32 v11, 0x500, v0
	v_dual_mov_b32 v19, 0 :: v_dual_mov_b32 v12, 0
	v_dual_mov_b32 v17, 0 :: v_dual_mov_b32 v22, 0
	s_delay_alu instid0(VALU_DEP_3)
	v_cmp_gt_u32_e64 s0, s1, v11
	v_dual_mov_b32 v11, 0 :: v_dual_mov_b32 v14, 0
	v_dual_mov_b32 v15, 0 :: v_dual_mov_b32 v23, 0
	;; [unrolled: 1-line block ×14, first 2 shown]
	v_mov_b32_e32 v56, 0
	s_wait_xcnt 0x0
	s_and_saveexec_b32 s8, s0
	s_cbranch_execz .LBB41_30
; %bb.9:
	global_load_u8 v19, v[4:5], off offset:1280
	global_load_u8 v14, v[6:7], off offset:1280
	;; [unrolled: 1-line block ×3, first 2 shown]
	v_or_b32_e32 v12, 0x600, v0
	v_dual_mov_b32 v22, 0 :: v_dual_mov_b32 v15, 0
	v_dual_mov_b32 v23, 0 :: v_dual_mov_b32 v26, 0
	s_delay_alu instid0(VALU_DEP_3)
	v_cmp_gt_u32_e64 s0, s1, v12
	v_dual_mov_b32 v12, 0 :: v_dual_mov_b32 v17, 0
	v_dual_mov_b32 v24, 0 :: v_dual_mov_b32 v28, 0
	;; [unrolled: 1-line block ×13, first 2 shown]
	s_wait_xcnt 0x0
	s_and_saveexec_b32 s9, s0
	s_cbranch_execz .LBB41_29
; %bb.10:
	global_load_u8 v22, v[4:5], off offset:1536
	global_load_u8 v17, v[6:7], off offset:1536
	;; [unrolled: 1-line block ×3, first 2 shown]
	v_or_b32_e32 v15, 0x700, v0
	v_dual_mov_b32 v26, 0 :: v_dual_mov_b32 v24, 0
	v_dual_mov_b32 v28, 0 :: v_dual_mov_b32 v33, 0
	s_delay_alu instid0(VALU_DEP_3)
	v_cmp_gt_u32_e64 s0, s1, v15
	v_dual_mov_b32 v15, 0 :: v_dual_mov_b32 v23, 0
	v_dual_mov_b32 v30, 0 :: v_dual_mov_b32 v35, 0
	;; [unrolled: 1-line block ×11, first 2 shown]
	v_mov_b32_e32 v56, 0
	s_wait_xcnt 0x0
	s_and_saveexec_b32 s10, s0
	s_cbranch_execz .LBB41_28
; %bb.11:
	global_load_u8 v26, v[4:5], off offset:1792
	global_load_u8 v23, v[6:7], off offset:1792
	;; [unrolled: 1-line block ×3, first 2 shown]
	v_or_b32_e32 v24, 0x800, v0
	v_dual_mov_b32 v33, 0 :: v_dual_mov_b32 v30, 0
	v_dual_mov_b32 v35, 0 :: v_dual_mov_b32 v39, 0
	s_delay_alu instid0(VALU_DEP_3)
	v_cmp_gt_u32_e64 s0, s1, v24
	v_dual_mov_b32 v24, 0 :: v_dual_mov_b32 v28, 0
	v_dual_mov_b32 v38, 0 :: v_dual_mov_b32 v40, 0
	;; [unrolled: 1-line block ×10, first 2 shown]
	s_wait_xcnt 0x0
	s_and_saveexec_b32 s11, s0
	s_cbranch_execz .LBB41_27
; %bb.12:
	global_load_u8 v33, v[4:5], off offset:2048
	global_load_u8 v28, v[6:7], off offset:2048
	;; [unrolled: 1-line block ×3, first 2 shown]
	v_or_b32_e32 v30, 0x900, v0
	v_dual_mov_b32 v39, 0 :: v_dual_mov_b32 v38, 0
	v_dual_mov_b32 v40, 0 :: v_dual_mov_b32 v42, 0
	s_delay_alu instid0(VALU_DEP_3)
	v_cmp_gt_u32_e64 s0, s1, v30
	v_dual_mov_b32 v30, 0 :: v_dual_mov_b32 v35, 0
	v_dual_mov_b32 v41, 0 :: v_dual_mov_b32 v43, 0
	;; [unrolled: 1-line block ×8, first 2 shown]
	v_mov_b32_e32 v56, 0
	s_wait_xcnt 0x0
	s_and_saveexec_b32 s15, s0
	s_cbranch_execz .LBB41_26
; %bb.13:
	global_load_u8 v39, v[4:5], off offset:2304
	global_load_u8 v35, v[6:7], off offset:2304
	;; [unrolled: 1-line block ×3, first 2 shown]
	v_or_b32_e32 v38, 0xa00, v0
	v_dual_mov_b32 v42, 0 :: v_dual_mov_b32 v41, 0
	v_dual_mov_b32 v43, 0 :: v_dual_mov_b32 v45, 0
	s_delay_alu instid0(VALU_DEP_3)
	v_cmp_gt_u32_e64 s0, s1, v38
	v_dual_mov_b32 v38, 0 :: v_dual_mov_b32 v40, 0
	v_dual_mov_b32 v44, 0 :: v_dual_mov_b32 v46, 0
	;; [unrolled: 1-line block ×7, first 2 shown]
	s_wait_xcnt 0x0
	s_and_saveexec_b32 s16, s0
	s_cbranch_execz .LBB41_25
; %bb.14:
	global_load_u8 v42, v[4:5], off offset:2560
	global_load_u8 v40, v[6:7], off offset:2560
	;; [unrolled: 1-line block ×3, first 2 shown]
	v_or_b32_e32 v41, 0xb00, v0
	v_dual_mov_b32 v45, 0 :: v_dual_mov_b32 v44, 0
	v_dual_mov_b32 v46, 0 :: v_dual_mov_b32 v48, 0
	s_delay_alu instid0(VALU_DEP_3)
	v_cmp_gt_u32_e64 s0, s1, v41
	v_dual_mov_b32 v41, 0 :: v_dual_mov_b32 v43, 0
	v_dual_mov_b32 v47, 0 :: v_dual_mov_b32 v49, 0
	;; [unrolled: 1-line block ×5, first 2 shown]
	v_mov_b32_e32 v56, 0
	s_wait_xcnt 0x0
	s_and_saveexec_b32 s17, s0
	s_cbranch_execz .LBB41_24
; %bb.15:
	global_load_u8 v45, v[4:5], off offset:2816
	global_load_u8 v43, v[6:7], off offset:2816
	;; [unrolled: 1-line block ×3, first 2 shown]
	v_or_b32_e32 v44, 0xc00, v0
	v_dual_mov_b32 v48, 0 :: v_dual_mov_b32 v47, 0
	v_dual_mov_b32 v49, 0 :: v_dual_mov_b32 v50, 0
	s_delay_alu instid0(VALU_DEP_3)
	v_cmp_gt_u32_e64 s0, s1, v44
	v_dual_mov_b32 v44, 0 :: v_dual_mov_b32 v46, 0
	v_dual_mov_b32 v51, 0 :: v_dual_mov_b32 v52, 0
	;; [unrolled: 1-line block ×4, first 2 shown]
	s_wait_xcnt 0x0
	s_and_saveexec_b32 s18, s0
	s_cbranch_execz .LBB41_23
; %bb.16:
	global_load_u8 v48, v[4:5], off offset:3072
	global_load_u8 v46, v[6:7], off offset:3072
	;; [unrolled: 1-line block ×3, first 2 shown]
	v_or_b32_e32 v47, 0xd00, v0
	v_dual_mov_b32 v50, 0 :: v_dual_mov_b32 v51, 0
	v_dual_mov_b32 v52, 0 :: v_dual_mov_b32 v53, 0
	s_delay_alu instid0(VALU_DEP_3)
	v_cmp_gt_u32_e64 s0, s1, v47
	v_dual_mov_b32 v47, 0 :: v_dual_mov_b32 v49, 0
	v_dual_mov_b32 v54, 0 :: v_dual_mov_b32 v55, 0
	v_mov_b32_e32 v56, 0
	s_wait_xcnt 0x0
	s_and_saveexec_b32 s19, s0
	s_cbranch_execz .LBB41_22
; %bb.17:
	global_load_u8 v50, v[4:5], off offset:3328
	global_load_u8 v49, v[6:7], off offset:3328
	;; [unrolled: 1-line block ×3, first 2 shown]
	v_or_b32_e32 v51, 0xe00, v0
	v_dual_mov_b32 v53, 0 :: v_dual_mov_b32 v54, 0
	v_dual_mov_b32 v55, 0 :: v_dual_mov_b32 v56, 0
	s_delay_alu instid0(VALU_DEP_3)
	v_cmp_gt_u32_e64 s0, s1, v51
	v_dual_mov_b32 v51, 0 :: v_dual_mov_b32 v52, 0
	s_wait_xcnt 0x0
	s_and_saveexec_b32 s20, s0
	s_cbranch_execz .LBB41_21
; %bb.18:
	global_load_u8 v53, v[4:5], off offset:3584
	global_load_u8 v52, v[6:7], off offset:3584
	;; [unrolled: 1-line block ×3, first 2 shown]
	v_or_b32_e32 v54, 0xf00, v0
	v_dual_mov_b32 v56, 0 :: v_dual_mov_b32 v55, 0
	s_delay_alu instid0(VALU_DEP_2)
	v_cmp_gt_u32_e64 s0, s1, v54
	v_mov_b32_e32 v54, 0
	s_wait_xcnt 0x0
	s_and_saveexec_b32 s21, s0
	s_cbranch_execz .LBB41_20
; %bb.19:
	global_load_u8 v56, v[4:5], off offset:3840
	global_load_u8 v55, v[6:7], off offset:3840
	;; [unrolled: 1-line block ×3, first 2 shown]
.LBB41_20:
	s_wait_xcnt 0x0
	s_or_b32 exec_lo, exec_lo, s21
.LBB41_21:
	s_delay_alu instid0(SALU_CYCLE_1)
	s_or_b32 exec_lo, exec_lo, s20
.LBB41_22:
	s_delay_alu instid0(SALU_CYCLE_1)
	s_or_b32 exec_lo, exec_lo, s19
.LBB41_23:
	s_delay_alu instid0(SALU_CYCLE_1)
	s_or_b32 exec_lo, exec_lo, s18
.LBB41_24:
	s_delay_alu instid0(SALU_CYCLE_1)
	s_or_b32 exec_lo, exec_lo, s17
.LBB41_25:
	s_delay_alu instid0(SALU_CYCLE_1)
	s_or_b32 exec_lo, exec_lo, s16
.LBB41_26:
	s_delay_alu instid0(SALU_CYCLE_1)
	s_or_b32 exec_lo, exec_lo, s15
.LBB41_27:
	s_delay_alu instid0(SALU_CYCLE_1)
	s_or_b32 exec_lo, exec_lo, s11
.LBB41_28:
	s_delay_alu instid0(SALU_CYCLE_1)
	s_or_b32 exec_lo, exec_lo, s10
.LBB41_29:
	s_delay_alu instid0(SALU_CYCLE_1)
	s_or_b32 exec_lo, exec_lo, s9
.LBB41_30:
	s_delay_alu instid0(SALU_CYCLE_1)
	s_or_b32 exec_lo, exec_lo, s8
.LBB41_31:
	s_delay_alu instid0(SALU_CYCLE_1)
	s_or_b32 exec_lo, exec_lo, s7
.LBB41_32:
	s_delay_alu instid0(SALU_CYCLE_1)
	s_or_b32 exec_lo, exec_lo, s6
	s_wait_loadcnt 0x0
	v_dual_mov_b32 v4, v3 :: v_dual_mov_b32 v3, v2
.LBB41_33:
	s_or_b32 exec_lo, exec_lo, s14
.LBB41_34:
	s_delay_alu instid0(SALU_CYCLE_1) | instskip(NEXT) | instid1(SALU_CYCLE_1)
	s_or_b32 exec_lo, exec_lo, s13
	s_or_b32 exec_lo, exec_lo, s3
                                        ; implicit-def: $vgpr2
	s_and_saveexec_b32 s0, vcc_lo
	s_cbranch_execz .LBB41_37
	s_branch .LBB41_36
.LBB41_35:
	s_or_b32 exec_lo, exec_lo, s3
                                        ; implicit-def: $vgpr2
	s_and_saveexec_b32 s0, vcc_lo
	s_cbranch_execz .LBB41_37
.LBB41_36:
	s_and_b32 s3, 0xffff, s12
	s_wait_loadcnt 0x2
	v_mul_lo_u16 v2, v34, s12
	s_lshr_b32 s3, s3, 8
	s_wait_loadcnt 0x1
	v_mul_lo_u16 v5, v36, s3
	s_wait_loadcnt 0x0
	s_delay_alu instid0(VALU_DEP_1)
	v_mad_u16 v2, v5, v37, v2
.LBB41_37:
	s_or_b32 exec_lo, exec_lo, s0
	s_delay_alu instid0(SALU_CYCLE_1)
	s_mov_b32 s3, exec_lo
                                        ; implicit-def: $vgpr5
	v_cmpx_gt_i32_e64 s1, v10
	s_cbranch_execz .LBB41_39
; %bb.38:
	s_and_b32 s0, 0xffff, s12
	s_wait_loadcnt 0x2
	v_mul_lo_u16 v5, v31, s12
	s_lshr_b32 s0, s0, 8
	s_wait_loadcnt 0x1
	v_mul_lo_u16 v6, v32, s0
	s_wait_loadcnt 0x0
	s_delay_alu instid0(VALU_DEP_1)
	v_mad_u16 v5, v6, v29, v5
.LBB41_39:
	s_or_b32 exec_lo, exec_lo, s3
	v_or_b32_e32 v6, 0x200, v0
	s_delay_alu instid0(VALU_DEP_1)
	v_cmp_gt_i32_e64 s0, s1, v6
                                        ; implicit-def: $vgpr6
	s_and_saveexec_b32 s3, s0
; %bb.40:
	s_and_b32 s0, 0xffff, s12
	v_mul_lo_u16 v6, v27, s12
	s_lshr_b32 s0, s0, 8
	s_delay_alu instid0(SALU_CYCLE_1) | instskip(NEXT) | instid1(VALU_DEP_1)
	v_mul_lo_u16 v7, v25, s0
	v_mad_u16 v6, v7, v3, v6
; %bb.41:
	s_or_b32 exec_lo, exec_lo, s3
	v_or_b32_e32 v3, 0x300, v0
	s_delay_alu instid0(VALU_DEP_1)
	v_cmp_gt_i32_e64 s0, s1, v3
                                        ; implicit-def: $vgpr3
	s_and_saveexec_b32 s3, s0
; %bb.42:
	s_and_b32 s0, 0xffff, s12
	v_mul_lo_u16 v3, v21, s12
	s_lshr_b32 s0, s0, 8
	s_delay_alu instid0(SALU_CYCLE_1) | instskip(NEXT) | instid1(VALU_DEP_1)
	v_mul_lo_u16 v7, v20, s0
	v_mad_u16 v3, v7, v4, v3
; %bb.43:
	s_or_b32 exec_lo, exec_lo, s3
	v_or_b32_e32 v4, 0x400, v0
	s_delay_alu instid0(VALU_DEP_1)
	v_cmp_gt_i32_e64 s0, s1, v4
                                        ; implicit-def: $vgpr4
	s_and_saveexec_b32 s3, s0
; %bb.44:
	s_and_b32 s0, 0xffff, s12
	v_mul_lo_u16 v4, v18, s12
	s_lshr_b32 s0, s0, 8
	s_delay_alu instid0(SALU_CYCLE_1) | instskip(NEXT) | instid1(VALU_DEP_1)
	v_mul_lo_u16 v7, v16, s0
	v_mad_u16 v4, v7, v13, v4
; %bb.45:
	s_or_b32 exec_lo, exec_lo, s3
	v_or_b32_e32 v7, 0x500, v0
	s_delay_alu instid0(VALU_DEP_1)
	v_cmp_gt_i32_e64 s0, s1, v7
                                        ; implicit-def: $vgpr7
	s_and_saveexec_b32 s3, s0
; %bb.46:
	s_and_b32 s0, 0xffff, s12
	v_mul_lo_u16 v7, v19, s12
	s_lshr_b32 s0, s0, 8
	s_delay_alu instid0(SALU_CYCLE_1) | instskip(NEXT) | instid1(VALU_DEP_1)
	v_mul_lo_u16 v8, v14, s0
	v_mad_u16 v7, v8, v11, v7
; %bb.47:
	s_or_b32 exec_lo, exec_lo, s3
	v_or_b32_e32 v8, 0x600, v0
	s_delay_alu instid0(VALU_DEP_1)
	v_cmp_gt_i32_e64 s0, s1, v8
                                        ; implicit-def: $vgpr8
	s_and_saveexec_b32 s3, s0
; %bb.48:
	s_and_b32 s0, 0xffff, s12
	v_mul_lo_u16 v8, v22, s12
	s_lshr_b32 s0, s0, 8
	s_delay_alu instid0(SALU_CYCLE_1) | instskip(NEXT) | instid1(VALU_DEP_1)
	v_mul_lo_u16 v9, v17, s0
	v_mad_u16 v8, v9, v12, v8
; %bb.49:
	s_or_b32 exec_lo, exec_lo, s3
	v_or_b32_e32 v9, 0x700, v0
	s_delay_alu instid0(VALU_DEP_1)
	v_cmp_gt_i32_e64 s0, s1, v9
                                        ; implicit-def: $vgpr9
	s_and_saveexec_b32 s3, s0
; %bb.50:
	s_and_b32 s0, 0xffff, s12
	v_mul_lo_u16 v9, v26, s12
	s_lshr_b32 s0, s0, 8
	s_delay_alu instid0(SALU_CYCLE_1) | instskip(NEXT) | instid1(VALU_DEP_1)
	v_mul_lo_u16 v11, v23, s0
	v_mad_u16 v9, v11, v15, v9
; %bb.51:
	s_or_b32 exec_lo, exec_lo, s3
	v_or_b32_e32 v11, 0x800, v0
	s_delay_alu instid0(VALU_DEP_1)
	v_cmp_gt_i32_e64 s0, s1, v11
                                        ; implicit-def: $vgpr11
	s_and_saveexec_b32 s3, s0
; %bb.52:
	s_and_b32 s0, 0xffff, s12
	v_mul_lo_u16 v11, v33, s12
	s_lshr_b32 s0, s0, 8
	s_delay_alu instid0(SALU_CYCLE_1) | instskip(NEXT) | instid1(VALU_DEP_1)
	v_mul_lo_u16 v12, v28, s0
	v_mad_u16 v11, v12, v24, v11
; %bb.53:
	s_or_b32 exec_lo, exec_lo, s3
	v_or_b32_e32 v12, 0x900, v0
	s_delay_alu instid0(VALU_DEP_1)
	v_cmp_gt_i32_e64 s0, s1, v12
                                        ; implicit-def: $vgpr12
	s_and_saveexec_b32 s3, s0
; %bb.54:
	s_and_b32 s0, 0xffff, s12
	v_mul_lo_u16 v12, v39, s12
	s_lshr_b32 s0, s0, 8
	s_delay_alu instid0(SALU_CYCLE_1) | instskip(NEXT) | instid1(VALU_DEP_1)
	v_mul_lo_u16 v13, v35, s0
	v_mad_u16 v12, v13, v30, v12
; %bb.55:
	s_or_b32 exec_lo, exec_lo, s3
	v_or_b32_e32 v13, 0xa00, v0
	s_delay_alu instid0(VALU_DEP_1)
	v_cmp_gt_i32_e64 s0, s1, v13
                                        ; implicit-def: $vgpr13
	s_and_saveexec_b32 s3, s0
; %bb.56:
	s_and_b32 s0, 0xffff, s12
	v_mul_lo_u16 v13, v42, s12
	s_lshr_b32 s0, s0, 8
	s_delay_alu instid0(SALU_CYCLE_1) | instskip(NEXT) | instid1(VALU_DEP_1)
	v_mul_lo_u16 v14, v40, s0
	v_mad_u16 v13, v14, v38, v13
; %bb.57:
	s_or_b32 exec_lo, exec_lo, s3
	v_or_b32_e32 v14, 0xb00, v0
	s_delay_alu instid0(VALU_DEP_1)
	v_cmp_gt_i32_e64 s0, s1, v14
                                        ; implicit-def: $vgpr14
	s_and_saveexec_b32 s3, s0
; %bb.58:
	s_and_b32 s0, 0xffff, s12
	v_mul_lo_u16 v14, v45, s12
	s_lshr_b32 s0, s0, 8
	s_delay_alu instid0(SALU_CYCLE_1) | instskip(NEXT) | instid1(VALU_DEP_1)
	v_mul_lo_u16 v15, v43, s0
	v_mad_u16 v14, v15, v41, v14
; %bb.59:
	s_or_b32 exec_lo, exec_lo, s3
	v_or_b32_e32 v15, 0xc00, v0
	s_delay_alu instid0(VALU_DEP_1)
	v_cmp_gt_i32_e64 s0, s1, v15
                                        ; implicit-def: $vgpr15
	s_and_saveexec_b32 s3, s0
; %bb.60:
	s_and_b32 s0, 0xffff, s12
	v_mul_lo_u16 v15, v48, s12
	s_lshr_b32 s0, s0, 8
	s_delay_alu instid0(SALU_CYCLE_1) | instskip(NEXT) | instid1(VALU_DEP_1)
	v_mul_lo_u16 v16, v46, s0
	v_mad_u16 v15, v16, v44, v15
; %bb.61:
	s_or_b32 exec_lo, exec_lo, s3
	v_or_b32_e32 v16, 0xd00, v0
	s_delay_alu instid0(VALU_DEP_1)
	v_cmp_gt_i32_e64 s0, s1, v16
                                        ; implicit-def: $vgpr16
	s_and_saveexec_b32 s3, s0
; %bb.62:
	s_and_b32 s0, 0xffff, s12
	v_mul_lo_u16 v16, v50, s12
	s_lshr_b32 s0, s0, 8
	s_delay_alu instid0(SALU_CYCLE_1) | instskip(NEXT) | instid1(VALU_DEP_1)
	v_mul_lo_u16 v17, v49, s0
	v_mad_u16 v16, v17, v47, v16
; %bb.63:
	s_or_b32 exec_lo, exec_lo, s3
	v_or_b32_e32 v17, 0xe00, v0
	s_delay_alu instid0(VALU_DEP_1)
	v_cmp_gt_i32_e64 s0, s1, v17
                                        ; implicit-def: $vgpr17
	s_and_saveexec_b32 s3, s0
; %bb.64:
	s_and_b32 s0, 0xffff, s12
	v_mul_lo_u16 v17, v53, s12
	s_lshr_b32 s0, s0, 8
	s_delay_alu instid0(SALU_CYCLE_1) | instskip(NEXT) | instid1(VALU_DEP_1)
	v_mul_lo_u16 v18, v52, s0
	v_mad_u16 v17, v18, v51, v17
; %bb.65:
	s_or_b32 exec_lo, exec_lo, s3
	v_or_b32_e32 v18, 0xf00, v0
	s_delay_alu instid0(VALU_DEP_1)
	v_cmp_gt_i32_e64 s0, s1, v18
                                        ; implicit-def: $vgpr18
	s_and_saveexec_b32 s3, s0
	s_cbranch_execz .LBB41_84
; %bb.66:
	s_and_b32 s0, 0xffff, s12
	v_mul_lo_u16 v18, v56, s12
	s_lshr_b32 s0, s0, 8
	s_delay_alu instid0(SALU_CYCLE_1) | instskip(NEXT) | instid1(VALU_DEP_1)
	v_mul_lo_u16 v19, v55, s0
	v_mad_u16 v18, v19, v54, v18
	s_or_b32 exec_lo, exec_lo, s3
	s_and_saveexec_b32 s0, vcc_lo
	s_delay_alu instid0(SALU_CYCLE_1)
	s_xor_b32 s0, exec_lo, s0
	s_cbranch_execnz .LBB41_85
.LBB41_67:
	s_or_b32 exec_lo, exec_lo, s0
	s_delay_alu instid0(SALU_CYCLE_1)
	s_mov_b32 s0, exec_lo
	v_cmpx_gt_i32_e64 s1, v0
	s_cbranch_execz .LBB41_86
.LBB41_68:
	v_add_nc_u32_e32 v1, s2, v0
	v_add_nc_u32_e32 v0, 0x100, v0
	global_store_b8 v1, v5, s[4:5]
	s_wait_xcnt 0x0
	s_or_b32 exec_lo, exec_lo, s0
	s_delay_alu instid0(SALU_CYCLE_1)
	s_mov_b32 s0, exec_lo
	v_cmpx_gt_i32_e64 s1, v0
	s_cbranch_execnz .LBB41_87
.LBB41_69:
	s_or_b32 exec_lo, exec_lo, s0
	s_delay_alu instid0(SALU_CYCLE_1)
	s_mov_b32 s0, exec_lo
	v_cmpx_gt_i32_e64 s1, v0
	s_cbranch_execz .LBB41_88
.LBB41_70:
	v_add_nc_u32_e32 v1, s2, v0
	v_add_nc_u32_e32 v0, 0x100, v0
	global_store_b8 v1, v3, s[4:5]
	s_wait_xcnt 0x0
	s_or_b32 exec_lo, exec_lo, s0
	s_delay_alu instid0(SALU_CYCLE_1)
	s_mov_b32 s0, exec_lo
	v_cmpx_gt_i32_e64 s1, v0
	s_cbranch_execnz .LBB41_89
.LBB41_71:
	s_or_b32 exec_lo, exec_lo, s0
	s_delay_alu instid0(SALU_CYCLE_1)
	s_mov_b32 s0, exec_lo
	v_cmpx_gt_i32_e64 s1, v0
	s_cbranch_execz .LBB41_90
.LBB41_72:
	v_add_nc_u32_e32 v1, s2, v0
	v_add_nc_u32_e32 v0, 0x100, v0
	global_store_b8 v1, v7, s[4:5]
	s_wait_xcnt 0x0
	s_or_b32 exec_lo, exec_lo, s0
	s_delay_alu instid0(SALU_CYCLE_1)
	s_mov_b32 s0, exec_lo
	v_cmpx_gt_i32_e64 s1, v0
	s_cbranch_execnz .LBB41_91
.LBB41_73:
	s_or_b32 exec_lo, exec_lo, s0
	s_delay_alu instid0(SALU_CYCLE_1)
	s_mov_b32 s0, exec_lo
	v_cmpx_gt_i32_e64 s1, v0
	s_cbranch_execz .LBB41_92
.LBB41_74:
	v_add_nc_u32_e32 v1, s2, v0
	v_add_nc_u32_e32 v0, 0x100, v0
	global_store_b8 v1, v9, s[4:5]
	s_wait_xcnt 0x0
	s_or_b32 exec_lo, exec_lo, s0
	s_delay_alu instid0(SALU_CYCLE_1)
	s_mov_b32 s0, exec_lo
	v_cmpx_gt_i32_e64 s1, v0
	s_cbranch_execnz .LBB41_93
.LBB41_75:
	s_or_b32 exec_lo, exec_lo, s0
	s_delay_alu instid0(SALU_CYCLE_1)
	s_mov_b32 s0, exec_lo
	v_cmpx_gt_i32_e64 s1, v0
	s_cbranch_execz .LBB41_94
.LBB41_76:
	v_add_nc_u32_e32 v1, s2, v0
	v_add_nc_u32_e32 v0, 0x100, v0
	global_store_b8 v1, v12, s[4:5]
	s_wait_xcnt 0x0
	s_or_b32 exec_lo, exec_lo, s0
	s_delay_alu instid0(SALU_CYCLE_1)
	s_mov_b32 s0, exec_lo
	v_cmpx_gt_i32_e64 s1, v0
	s_cbranch_execnz .LBB41_95
.LBB41_77:
	s_or_b32 exec_lo, exec_lo, s0
	s_delay_alu instid0(SALU_CYCLE_1)
	s_mov_b32 s0, exec_lo
	v_cmpx_gt_i32_e64 s1, v0
	s_cbranch_execz .LBB41_96
.LBB41_78:
	v_add_nc_u32_e32 v1, s2, v0
	v_add_nc_u32_e32 v0, 0x100, v0
	global_store_b8 v1, v14, s[4:5]
	s_wait_xcnt 0x0
	s_or_b32 exec_lo, exec_lo, s0
	s_delay_alu instid0(SALU_CYCLE_1)
	s_mov_b32 s0, exec_lo
	v_cmpx_gt_i32_e64 s1, v0
	s_cbranch_execnz .LBB41_97
.LBB41_79:
	s_or_b32 exec_lo, exec_lo, s0
	s_delay_alu instid0(SALU_CYCLE_1)
	s_mov_b32 s0, exec_lo
	v_cmpx_gt_i32_e64 s1, v0
	s_cbranch_execz .LBB41_98
.LBB41_80:
	v_add_nc_u32_e32 v1, s2, v0
	v_add_nc_u32_e32 v0, 0x100, v0
	global_store_b8 v1, v16, s[4:5]
	s_wait_xcnt 0x0
	s_or_b32 exec_lo, exec_lo, s0
	s_delay_alu instid0(SALU_CYCLE_1)
	s_mov_b32 s0, exec_lo
	v_cmpx_gt_i32_e64 s1, v0
	s_cbranch_execnz .LBB41_99
.LBB41_81:
	s_or_b32 exec_lo, exec_lo, s0
	s_delay_alu instid0(SALU_CYCLE_1)
	s_mov_b32 s0, exec_lo
	v_cmpx_gt_i32_e64 s1, v0
	s_cbranch_execz .LBB41_83
.LBB41_82:
	v_add_nc_u32_e32 v0, s2, v0
	global_store_b8 v0, v18, s[4:5]
.LBB41_83:
	s_endpgm
.LBB41_84:
	s_or_b32 exec_lo, exec_lo, s3
	s_and_saveexec_b32 s0, vcc_lo
	s_delay_alu instid0(SALU_CYCLE_1)
	s_xor_b32 s0, exec_lo, s0
	s_cbranch_execz .LBB41_67
.LBB41_85:
	v_mov_b32_e32 v0, v10
	global_store_b8 v1, v2, s[4:5]
	s_wait_xcnt 0x0
	s_or_b32 exec_lo, exec_lo, s0
	s_delay_alu instid0(SALU_CYCLE_1)
	s_mov_b32 s0, exec_lo
	v_cmpx_gt_i32_e64 s1, v0
	s_cbranch_execnz .LBB41_68
.LBB41_86:
	s_or_b32 exec_lo, exec_lo, s0
	s_delay_alu instid0(SALU_CYCLE_1)
	s_mov_b32 s0, exec_lo
	v_cmpx_gt_i32_e64 s1, v0
	s_cbranch_execz .LBB41_69
.LBB41_87:
	v_add_nc_u32_e32 v1, s2, v0
	v_add_nc_u32_e32 v0, 0x100, v0
	global_store_b8 v1, v6, s[4:5]
	s_wait_xcnt 0x0
	s_or_b32 exec_lo, exec_lo, s0
	s_delay_alu instid0(SALU_CYCLE_1)
	s_mov_b32 s0, exec_lo
	v_cmpx_gt_i32_e64 s1, v0
	s_cbranch_execnz .LBB41_70
.LBB41_88:
	s_or_b32 exec_lo, exec_lo, s0
	s_delay_alu instid0(SALU_CYCLE_1)
	s_mov_b32 s0, exec_lo
	v_cmpx_gt_i32_e64 s1, v0
	s_cbranch_execz .LBB41_71
.LBB41_89:
	v_add_nc_u32_e32 v1, s2, v0
	v_add_nc_u32_e32 v0, 0x100, v0
	global_store_b8 v1, v4, s[4:5]
	s_wait_xcnt 0x0
	s_or_b32 exec_lo, exec_lo, s0
	s_delay_alu instid0(SALU_CYCLE_1)
	s_mov_b32 s0, exec_lo
	v_cmpx_gt_i32_e64 s1, v0
	s_cbranch_execnz .LBB41_72
.LBB41_90:
	s_or_b32 exec_lo, exec_lo, s0
	s_delay_alu instid0(SALU_CYCLE_1)
	s_mov_b32 s0, exec_lo
	v_cmpx_gt_i32_e64 s1, v0
	s_cbranch_execz .LBB41_73
.LBB41_91:
	v_add_nc_u32_e32 v1, s2, v0
	v_add_nc_u32_e32 v0, 0x100, v0
	global_store_b8 v1, v8, s[4:5]
	s_wait_xcnt 0x0
	s_or_b32 exec_lo, exec_lo, s0
	s_delay_alu instid0(SALU_CYCLE_1)
	s_mov_b32 s0, exec_lo
	v_cmpx_gt_i32_e64 s1, v0
	s_cbranch_execnz .LBB41_74
.LBB41_92:
	s_or_b32 exec_lo, exec_lo, s0
	s_delay_alu instid0(SALU_CYCLE_1)
	s_mov_b32 s0, exec_lo
	v_cmpx_gt_i32_e64 s1, v0
	s_cbranch_execz .LBB41_75
.LBB41_93:
	v_add_nc_u32_e32 v1, s2, v0
	v_add_nc_u32_e32 v0, 0x100, v0
	global_store_b8 v1, v11, s[4:5]
	s_wait_xcnt 0x0
	s_or_b32 exec_lo, exec_lo, s0
	s_delay_alu instid0(SALU_CYCLE_1)
	s_mov_b32 s0, exec_lo
	v_cmpx_gt_i32_e64 s1, v0
	s_cbranch_execnz .LBB41_76
.LBB41_94:
	s_or_b32 exec_lo, exec_lo, s0
	s_delay_alu instid0(SALU_CYCLE_1)
	s_mov_b32 s0, exec_lo
	v_cmpx_gt_i32_e64 s1, v0
	s_cbranch_execz .LBB41_77
.LBB41_95:
	v_add_nc_u32_e32 v1, s2, v0
	v_add_nc_u32_e32 v0, 0x100, v0
	global_store_b8 v1, v13, s[4:5]
	s_wait_xcnt 0x0
	s_or_b32 exec_lo, exec_lo, s0
	s_delay_alu instid0(SALU_CYCLE_1)
	s_mov_b32 s0, exec_lo
	v_cmpx_gt_i32_e64 s1, v0
	s_cbranch_execnz .LBB41_78
.LBB41_96:
	s_or_b32 exec_lo, exec_lo, s0
	s_delay_alu instid0(SALU_CYCLE_1)
	s_mov_b32 s0, exec_lo
	v_cmpx_gt_i32_e64 s1, v0
	s_cbranch_execz .LBB41_79
.LBB41_97:
	v_add_nc_u32_e32 v1, s2, v0
	v_add_nc_u32_e32 v0, 0x100, v0
	global_store_b8 v1, v15, s[4:5]
	s_wait_xcnt 0x0
	s_or_b32 exec_lo, exec_lo, s0
	s_delay_alu instid0(SALU_CYCLE_1)
	s_mov_b32 s0, exec_lo
	v_cmpx_gt_i32_e64 s1, v0
	s_cbranch_execnz .LBB41_80
.LBB41_98:
	s_or_b32 exec_lo, exec_lo, s0
	s_delay_alu instid0(SALU_CYCLE_1)
	s_mov_b32 s0, exec_lo
	v_cmpx_gt_i32_e64 s1, v0
	s_cbranch_execz .LBB41_81
.LBB41_99:
	v_add_nc_u32_e32 v1, s2, v0
	v_add_nc_u32_e32 v0, 0x100, v0
	global_store_b8 v1, v17, s[4:5]
	s_wait_xcnt 0x0
	s_or_b32 exec_lo, exec_lo, s0
	s_delay_alu instid0(SALU_CYCLE_1)
	s_mov_b32 s0, exec_lo
	v_cmpx_gt_i32_e64 s1, v0
	s_cbranch_execnz .LBB41_82
	s_branch .LBB41_83
	.section	.rodata,"a",@progbits
	.p2align	6, 0x0
	.amdhsa_kernel _ZN2at6native29vectorized_elementwise_kernelILi8EZZZNS0_12_GLOBAL__N_116addr_kernel_cudaERNS_14TensorIteratorERKN3c106ScalarES8_ENKUlvE_clEvENKUlvE0_clEvEUlaaaE0_St5arrayIPcLm4EEEEviT0_T1_
		.amdhsa_group_segment_fixed_size 0
		.amdhsa_private_segment_fixed_size 0
		.amdhsa_kernarg_size 40
		.amdhsa_user_sgpr_count 2
		.amdhsa_user_sgpr_dispatch_ptr 0
		.amdhsa_user_sgpr_queue_ptr 0
		.amdhsa_user_sgpr_kernarg_segment_ptr 1
		.amdhsa_user_sgpr_dispatch_id 0
		.amdhsa_user_sgpr_kernarg_preload_length 0
		.amdhsa_user_sgpr_kernarg_preload_offset 0
		.amdhsa_user_sgpr_private_segment_size 0
		.amdhsa_wavefront_size32 1
		.amdhsa_uses_dynamic_stack 0
		.amdhsa_enable_private_segment 0
		.amdhsa_system_sgpr_workgroup_id_x 1
		.amdhsa_system_sgpr_workgroup_id_y 0
		.amdhsa_system_sgpr_workgroup_id_z 0
		.amdhsa_system_sgpr_workgroup_info 0
		.amdhsa_system_vgpr_workitem_id 0
		.amdhsa_next_free_vgpr 57
		.amdhsa_next_free_sgpr 22
		.amdhsa_named_barrier_count 0
		.amdhsa_reserve_vcc 1
		.amdhsa_float_round_mode_32 0
		.amdhsa_float_round_mode_16_64 0
		.amdhsa_float_denorm_mode_32 3
		.amdhsa_float_denorm_mode_16_64 3
		.amdhsa_fp16_overflow 0
		.amdhsa_memory_ordered 1
		.amdhsa_forward_progress 1
		.amdhsa_inst_pref_size 52
		.amdhsa_round_robin_scheduling 0
		.amdhsa_exception_fp_ieee_invalid_op 0
		.amdhsa_exception_fp_denorm_src 0
		.amdhsa_exception_fp_ieee_div_zero 0
		.amdhsa_exception_fp_ieee_overflow 0
		.amdhsa_exception_fp_ieee_underflow 0
		.amdhsa_exception_fp_ieee_inexact 0
		.amdhsa_exception_int_div_zero 0
	.end_amdhsa_kernel
	.section	.text._ZN2at6native29vectorized_elementwise_kernelILi8EZZZNS0_12_GLOBAL__N_116addr_kernel_cudaERNS_14TensorIteratorERKN3c106ScalarES8_ENKUlvE_clEvENKUlvE0_clEvEUlaaaE0_St5arrayIPcLm4EEEEviT0_T1_,"axG",@progbits,_ZN2at6native29vectorized_elementwise_kernelILi8EZZZNS0_12_GLOBAL__N_116addr_kernel_cudaERNS_14TensorIteratorERKN3c106ScalarES8_ENKUlvE_clEvENKUlvE0_clEvEUlaaaE0_St5arrayIPcLm4EEEEviT0_T1_,comdat
.Lfunc_end41:
	.size	_ZN2at6native29vectorized_elementwise_kernelILi8EZZZNS0_12_GLOBAL__N_116addr_kernel_cudaERNS_14TensorIteratorERKN3c106ScalarES8_ENKUlvE_clEvENKUlvE0_clEvEUlaaaE0_St5arrayIPcLm4EEEEviT0_T1_, .Lfunc_end41-_ZN2at6native29vectorized_elementwise_kernelILi8EZZZNS0_12_GLOBAL__N_116addr_kernel_cudaERNS_14TensorIteratorERKN3c106ScalarES8_ENKUlvE_clEvENKUlvE0_clEvEUlaaaE0_St5arrayIPcLm4EEEEviT0_T1_
                                        ; -- End function
	.set _ZN2at6native29vectorized_elementwise_kernelILi8EZZZNS0_12_GLOBAL__N_116addr_kernel_cudaERNS_14TensorIteratorERKN3c106ScalarES8_ENKUlvE_clEvENKUlvE0_clEvEUlaaaE0_St5arrayIPcLm4EEEEviT0_T1_.num_vgpr, 57
	.set _ZN2at6native29vectorized_elementwise_kernelILi8EZZZNS0_12_GLOBAL__N_116addr_kernel_cudaERNS_14TensorIteratorERKN3c106ScalarES8_ENKUlvE_clEvENKUlvE0_clEvEUlaaaE0_St5arrayIPcLm4EEEEviT0_T1_.num_agpr, 0
	.set _ZN2at6native29vectorized_elementwise_kernelILi8EZZZNS0_12_GLOBAL__N_116addr_kernel_cudaERNS_14TensorIteratorERKN3c106ScalarES8_ENKUlvE_clEvENKUlvE0_clEvEUlaaaE0_St5arrayIPcLm4EEEEviT0_T1_.numbered_sgpr, 22
	.set _ZN2at6native29vectorized_elementwise_kernelILi8EZZZNS0_12_GLOBAL__N_116addr_kernel_cudaERNS_14TensorIteratorERKN3c106ScalarES8_ENKUlvE_clEvENKUlvE0_clEvEUlaaaE0_St5arrayIPcLm4EEEEviT0_T1_.num_named_barrier, 0
	.set _ZN2at6native29vectorized_elementwise_kernelILi8EZZZNS0_12_GLOBAL__N_116addr_kernel_cudaERNS_14TensorIteratorERKN3c106ScalarES8_ENKUlvE_clEvENKUlvE0_clEvEUlaaaE0_St5arrayIPcLm4EEEEviT0_T1_.private_seg_size, 0
	.set _ZN2at6native29vectorized_elementwise_kernelILi8EZZZNS0_12_GLOBAL__N_116addr_kernel_cudaERNS_14TensorIteratorERKN3c106ScalarES8_ENKUlvE_clEvENKUlvE0_clEvEUlaaaE0_St5arrayIPcLm4EEEEviT0_T1_.uses_vcc, 1
	.set _ZN2at6native29vectorized_elementwise_kernelILi8EZZZNS0_12_GLOBAL__N_116addr_kernel_cudaERNS_14TensorIteratorERKN3c106ScalarES8_ENKUlvE_clEvENKUlvE0_clEvEUlaaaE0_St5arrayIPcLm4EEEEviT0_T1_.uses_flat_scratch, 0
	.set _ZN2at6native29vectorized_elementwise_kernelILi8EZZZNS0_12_GLOBAL__N_116addr_kernel_cudaERNS_14TensorIteratorERKN3c106ScalarES8_ENKUlvE_clEvENKUlvE0_clEvEUlaaaE0_St5arrayIPcLm4EEEEviT0_T1_.has_dyn_sized_stack, 0
	.set _ZN2at6native29vectorized_elementwise_kernelILi8EZZZNS0_12_GLOBAL__N_116addr_kernel_cudaERNS_14TensorIteratorERKN3c106ScalarES8_ENKUlvE_clEvENKUlvE0_clEvEUlaaaE0_St5arrayIPcLm4EEEEviT0_T1_.has_recursion, 0
	.set _ZN2at6native29vectorized_elementwise_kernelILi8EZZZNS0_12_GLOBAL__N_116addr_kernel_cudaERNS_14TensorIteratorERKN3c106ScalarES8_ENKUlvE_clEvENKUlvE0_clEvEUlaaaE0_St5arrayIPcLm4EEEEviT0_T1_.has_indirect_call, 0
	.section	.AMDGPU.csdata,"",@progbits
; Kernel info:
; codeLenInByte = 6596
; TotalNumSgprs: 24
; NumVgprs: 57
; ScratchSize: 0
; MemoryBound: 0
; FloatMode: 240
; IeeeMode: 1
; LDSByteSize: 0 bytes/workgroup (compile time only)
; SGPRBlocks: 0
; VGPRBlocks: 3
; NumSGPRsForWavesPerEU: 24
; NumVGPRsForWavesPerEU: 57
; NamedBarCnt: 0
; Occupancy: 16
; WaveLimiterHint : 1
; COMPUTE_PGM_RSRC2:SCRATCH_EN: 0
; COMPUTE_PGM_RSRC2:USER_SGPR: 2
; COMPUTE_PGM_RSRC2:TRAP_HANDLER: 0
; COMPUTE_PGM_RSRC2:TGID_X_EN: 1
; COMPUTE_PGM_RSRC2:TGID_Y_EN: 0
; COMPUTE_PGM_RSRC2:TGID_Z_EN: 0
; COMPUTE_PGM_RSRC2:TIDIG_COMP_CNT: 0
	.section	.text._ZN2at6native29vectorized_elementwise_kernelILi4EZZZNS0_12_GLOBAL__N_116addr_kernel_cudaERNS_14TensorIteratorERKN3c106ScalarES8_ENKUlvE_clEvENKUlvE0_clEvEUlaaaE0_St5arrayIPcLm4EEEEviT0_T1_,"axG",@progbits,_ZN2at6native29vectorized_elementwise_kernelILi4EZZZNS0_12_GLOBAL__N_116addr_kernel_cudaERNS_14TensorIteratorERKN3c106ScalarES8_ENKUlvE_clEvENKUlvE0_clEvEUlaaaE0_St5arrayIPcLm4EEEEviT0_T1_,comdat
	.globl	_ZN2at6native29vectorized_elementwise_kernelILi4EZZZNS0_12_GLOBAL__N_116addr_kernel_cudaERNS_14TensorIteratorERKN3c106ScalarES8_ENKUlvE_clEvENKUlvE0_clEvEUlaaaE0_St5arrayIPcLm4EEEEviT0_T1_ ; -- Begin function _ZN2at6native29vectorized_elementwise_kernelILi4EZZZNS0_12_GLOBAL__N_116addr_kernel_cudaERNS_14TensorIteratorERKN3c106ScalarES8_ENKUlvE_clEvENKUlvE0_clEvEUlaaaE0_St5arrayIPcLm4EEEEviT0_T1_
	.p2align	8
	.type	_ZN2at6native29vectorized_elementwise_kernelILi4EZZZNS0_12_GLOBAL__N_116addr_kernel_cudaERNS_14TensorIteratorERKN3c106ScalarES8_ENKUlvE_clEvENKUlvE0_clEvEUlaaaE0_St5arrayIPcLm4EEEEviT0_T1_,@function
_ZN2at6native29vectorized_elementwise_kernelILi4EZZZNS0_12_GLOBAL__N_116addr_kernel_cudaERNS_14TensorIteratorERKN3c106ScalarES8_ENKUlvE_clEvENKUlvE0_clEvEUlaaaE0_St5arrayIPcLm4EEEEviT0_T1_: ; @_ZN2at6native29vectorized_elementwise_kernelILi4EZZZNS0_12_GLOBAL__N_116addr_kernel_cudaERNS_14TensorIteratorERKN3c106ScalarES8_ENKUlvE_clEvENKUlvE0_clEvEUlaaaE0_St5arrayIPcLm4EEEEviT0_T1_
; %bb.0:
	v_mov_b32_e32 v1, 0
	s_clause 0x1
	s_load_b32 s3, s[0:1], 0x0
	s_load_b256 s[4:11], s[0:1], 0x8
	s_getreg_b32 s2, hwreg(HW_REG_IB_STS2, 6, 4)
	global_load_u16 v1, v1, s[0:1] offset:4
	s_wait_xcnt 0x0
	s_bfe_u32 s0, ttmp6, 0x4000c
	s_and_b32 s1, ttmp6, 15
	s_add_co_i32 s0, s0, 1
	s_delay_alu instid0(SALU_CYCLE_1) | instskip(NEXT) | instid1(SALU_CYCLE_1)
	s_mul_i32 s0, ttmp9, s0
	s_add_co_i32 s1, s1, s0
	s_cmp_eq_u32 s2, 0
	s_cselect_b32 s0, ttmp9, s1
	s_delay_alu instid0(SALU_CYCLE_1) | instskip(SKIP_3) | instid1(SALU_CYCLE_1)
	s_lshl_b32 s2, s0, 12
	s_mov_b32 s0, -1
	s_wait_kmcnt 0x0
	s_sub_co_i32 s1, s3, s2
	s_cmp_gt_i32 s1, 0xfff
	s_wait_loadcnt 0x0
	v_readfirstlane_b32 s12, v1
	s_cbranch_scc0 .LBB42_2
; %bb.1:
	s_ashr_i32 s3, s2, 31
	s_and_b32 s0, 0xffff, s12
	s_add_nc_u64 s[14:15], s[6:7], s[2:3]
	s_lshr_b32 s0, s0, 8
	s_clause 0x3
	global_load_b32 v1, v0, s[14:15] scale_offset
	global_load_b32 v2, v0, s[14:15] offset:1024 scale_offset
	global_load_b32 v3, v0, s[14:15] offset:2048 scale_offset
	global_load_b32 v4, v0, s[14:15] offset:3072 scale_offset
	s_wait_xcnt 0x0
	s_add_nc_u64 s[14:15], s[8:9], s[2:3]
	s_clause 0x3
	global_load_b32 v5, v0, s[14:15] scale_offset
	global_load_b32 v6, v0, s[14:15] offset:1024 scale_offset
	global_load_b32 v7, v0, s[14:15] offset:2048 scale_offset
	global_load_b32 v8, v0, s[14:15] offset:3072 scale_offset
	s_wait_xcnt 0x0
	s_add_nc_u64 s[14:15], s[10:11], s[2:3]
	;; [unrolled: 7-line block ×3, first 2 shown]
	s_wait_loadcnt 0xb
	v_dual_lshrrev_b32 v13, 8, v1 :: v_dual_lshrrev_b32 v14, 16, v1
	s_wait_loadcnt 0xa
	v_dual_lshrrev_b32 v15, 24, v1 :: v_dual_lshrrev_b32 v16, 8, v2
	;; [unrolled: 2-line block ×4, first 2 shown]
	v_mul_lo_u16 v1, v1, s12
	v_mul_lo_u16 v5, v5, s0
	v_dual_lshrrev_b32 v17, 16, v2 :: v_dual_lshrrev_b32 v18, 24, v2
	v_dual_lshrrev_b32 v29, 16, v6 :: v_dual_lshrrev_b32 v30, 24, v6
	v_mul_lo_u16 v2, v2, s12
	v_mul_lo_u16 v6, v6, s0
	v_dual_lshrrev_b32 v19, 8, v3 :: v_dual_lshrrev_b32 v20, 16, v3
	v_dual_lshrrev_b32 v21, 24, v3 :: v_dual_lshrrev_b32 v22, 8, v4
	s_wait_loadcnt 0x5
	v_dual_lshrrev_b32 v31, 8, v7 :: v_dual_lshrrev_b32 v32, 16, v7
	s_wait_loadcnt 0x4
	v_dual_lshrrev_b32 v33, 24, v7 :: v_dual_lshrrev_b32 v34, 8, v8
	v_mul_lo_u16 v3, v3, s12
	v_mul_lo_u16 v7, v7, s0
	v_dual_lshrrev_b32 v23, 16, v4 :: v_dual_lshrrev_b32 v24, 24, v4
	v_dual_lshrrev_b32 v35, 16, v8 :: v_dual_lshrrev_b32 v36, 24, v8
	v_mul_lo_u16 v4, v4, s12
	v_mul_lo_u16 v8, v8, s0
	s_wait_loadcnt 0x3
	v_dual_lshrrev_b32 v37, 8, v9 :: v_dual_lshrrev_b32 v38, 16, v9
	s_wait_loadcnt 0x2
	v_dual_lshrrev_b32 v39, 24, v9 :: v_dual_lshrrev_b32 v40, 8, v10
	v_mad_u16 v1, v5, v9, v1
	v_mul_lo_u16 v5, v13, s12
	v_mul_lo_u16 v9, v25, s0
	;; [unrolled: 1-line block ×4, first 2 shown]
	v_dual_lshrrev_b32 v41, 16, v10 :: v_dual_lshrrev_b32 v42, 24, v10
	v_mad_u16 v2, v6, v10, v2
	v_mul_lo_u16 v6, v16, s12
	v_mul_lo_u16 v10, v28, s0
	;; [unrolled: 1-line block ×4, first 2 shown]
	s_wait_loadcnt 0x1
	v_dual_lshrrev_b32 v43, 8, v11 :: v_dual_lshrrev_b32 v44, 16, v11
	s_wait_loadcnt 0x0
	v_dual_lshrrev_b32 v45, 24, v11 :: v_dual_lshrrev_b32 v46, 8, v12
	v_mad_u16 v3, v7, v11, v3
	v_mul_lo_u16 v7, v19, s12
	v_mul_lo_u16 v11, v31, s0
	;; [unrolled: 1-line block ×4, first 2 shown]
	v_dual_lshrrev_b32 v47, 16, v12 :: v_dual_lshrrev_b32 v48, 24, v12
	v_mad_u16 v4, v8, v12, v4
	v_mul_lo_u16 v8, v22, s12
	v_mul_lo_u16 v12, v34, s0
	;; [unrolled: 1-line block ×6, first 2 shown]
	v_mad_u16 v5, v9, v37, v5
	v_mad_u16 v9, v14, v38, v13
	v_mul_lo_u16 v18, v18, s12
	v_mul_lo_u16 v26, v30, s0
	v_mad_u16 v6, v10, v40, v6
	v_mad_u16 v10, v17, v41, v16
	v_mul_lo_u16 v21, v21, s12
	v_mul_lo_u16 v27, v33, s0
	;; [unrolled: 4-line block ×3, first 2 shown]
	v_mad_u16 v8, v12, v46, v8
	v_mad_u16 v12, v23, v47, v22
	v_mad_u16 v13, v25, v39, v15
	v_and_b32_e32 v5, 0xff, v5
	v_and_b32_e32 v9, 0xff, v9
	v_mad_u16 v14, v26, v42, v18
	v_and_b32_e32 v6, 0xff, v6
	v_and_b32_e32 v10, 0xff, v10
	v_mad_u16 v15, v27, v45, v21
	;; [unrolled: 3-line block ×3, first 2 shown]
	v_and_b32_e32 v8, 0xff, v8
	v_and_b32_e32 v12, 0xff, v12
	v_dual_lshlrev_b32 v13, 24, v13 :: v_dual_lshlrev_b32 v14, 24, v14
	v_perm_b32 v1, v5, v1, 0x6050400
	v_lshlrev_b32_e32 v5, 16, v9
	v_perm_b32 v2, v6, v2, 0x6050400
	v_dual_lshlrev_b32 v6, 16, v10 :: v_dual_lshlrev_b32 v15, 24, v15
	v_lshlrev_b32_e32 v16, 24, v16
	v_perm_b32 v3, v7, v3, 0x6050400
	v_lshlrev_b32_e32 v7, 16, v11
	v_perm_b32 v4, v8, v4, 0x6050400
	v_lshlrev_b32_e32 v8, 16, v12
	v_or3_b32 v1, v1, v5, v13
	v_or3_b32 v2, v2, v6, v14
	;; [unrolled: 1-line block ×3, first 2 shown]
	s_mov_b32 s0, 0
	v_or3_b32 v4, v4, v8, v16
	s_clause 0x3
	global_store_b32 v0, v1, s[14:15] scale_offset
	global_store_b32 v0, v2, s[14:15] offset:1024 scale_offset
	global_store_b32 v0, v3, s[14:15] offset:2048 scale_offset
	;; [unrolled: 1-line block ×3, first 2 shown]
.LBB42_2:
	s_and_not1_b32 vcc_lo, exec_lo, s0
	s_cbranch_vccnz .LBB42_83
; %bb.3:
	v_cmp_gt_i32_e32 vcc_lo, s1, v0
	s_wait_xcnt 0x3
	v_dual_mov_b32 v56, 0 :: v_dual_bitop2_b32 v1, s2, v0 bitop3:0x54
	v_or_b32_e32 v10, 0x100, v0
	v_dual_mov_b32 v55, 0 :: v_dual_mov_b32 v54, 0
	v_dual_mov_b32 v53, 0 :: v_dual_mov_b32 v52, 0
	;; [unrolled: 1-line block ×18, first 2 shown]
	s_wait_xcnt 0x0
	v_dual_mov_b32 v20, 0 :: v_dual_mov_b32 v4, 0
	v_dual_mov_b32 v27, 0 :: v_dual_mov_b32 v25, 0
	v_dual_mov_b32 v3, 0 :: v_dual_mov_b32 v31, 0
	v_dual_mov_b32 v32, 0 :: v_dual_mov_b32 v29, 0
	v_dual_mov_b32 v34, 0 :: v_dual_mov_b32 v36, 0
	v_mov_b32_e32 v37, 0
	s_and_saveexec_b32 s3, vcc_lo
	s_cbranch_execz .LBB42_35
; %bb.4:
	s_clause 0x2
	global_load_u8 v34, v1, s[6:7]
	global_load_u8 v36, v1, s[8:9]
	;; [unrolled: 1-line block ×3, first 2 shown]
	v_or_b32_e32 v2, 0x100, v0
	v_dual_mov_b32 v29, 0 :: v_dual_mov_b32 v32, 0
	v_dual_mov_b32 v31, 0 :: v_dual_mov_b32 v3, 0
	s_delay_alu instid0(VALU_DEP_3)
	v_cmp_gt_u32_e64 s0, s1, v2
	v_dual_mov_b32 v25, 0 :: v_dual_mov_b32 v27, 0
	v_dual_mov_b32 v4, 0 :: v_dual_mov_b32 v20, 0
	;; [unrolled: 1-line block ×20, first 2 shown]
	v_mov_b32_e32 v56, 0
	s_wait_xcnt 0x0
	s_and_saveexec_b32 s13, s0
	s_cbranch_execz .LBB42_34
; %bb.5:
	v_dual_mov_b32 v3, 0 :: v_dual_add_nc_u32 v2, s2, v0
	v_or_b32_e32 v4, 0x200, v0
	v_dual_mov_b32 v25, 0 :: v_dual_mov_b32 v27, 0
	s_clause 0x2
	global_load_u8 v31, v2, s[6:7] offset:256
	global_load_u8 v32, v2, s[8:9] offset:256
	;; [unrolled: 1-line block ×3, first 2 shown]
	v_mov_b32_e32 v20, 0
	v_cmp_gt_u32_e64 s0, s1, v4
	v_dual_mov_b32 v4, 0 :: v_dual_mov_b32 v21, 0
	v_dual_mov_b32 v13, 0 :: v_dual_mov_b32 v16, 0
	;; [unrolled: 1-line block ×19, first 2 shown]
	s_wait_xcnt 0x0
	s_and_saveexec_b32 s14, s0
	s_cbranch_execz .LBB42_33
; %bb.6:
	v_add_nc_u64_e32 v[4:5], s[6:7], v[2:3]
	v_add_nc_u64_e32 v[6:7], s[8:9], v[2:3]
	;; [unrolled: 1-line block ×3, first 2 shown]
	v_or_b32_e32 v11, 0x300, v0
	v_dual_mov_b32 v20, 0 :: v_dual_mov_b32 v21, 0
	v_dual_mov_b32 v13, 0 :: v_dual_mov_b32 v16, 0
	global_load_u8 v27, v[4:5], off offset:512
	global_load_u8 v25, v[6:7], off offset:512
	;; [unrolled: 1-line block ×3, first 2 shown]
	v_cmp_gt_u32_e64 s0, s1, v11
	v_dual_mov_b32 v18, 0 :: v_dual_mov_b32 v11, 0
	v_dual_mov_b32 v14, 0 :: v_dual_mov_b32 v19, 0
	;; [unrolled: 1-line block ×17, first 2 shown]
	s_wait_xcnt 0x0
	s_and_saveexec_b32 s6, s0
	s_cbranch_execz .LBB42_32
; %bb.7:
	global_load_u8 v21, v[4:5], off offset:768
	global_load_u8 v20, v[6:7], off offset:768
	;; [unrolled: 1-line block ×3, first 2 shown]
	v_or_b32_e32 v11, 0x400, v0
	v_dual_mov_b32 v13, 0 :: v_dual_mov_b32 v16, 0
	v_dual_mov_b32 v18, 0 :: v_dual_mov_b32 v14, 0
	v_mov_b32_e32 v19, 0
	s_delay_alu instid0(VALU_DEP_4)
	v_cmp_gt_u32_e64 s0, s1, v11
	v_dual_mov_b32 v11, 0 :: v_dual_mov_b32 v12, 0
	v_dual_mov_b32 v17, 0 :: v_dual_mov_b32 v22, 0
	;; [unrolled: 1-line block ×15, first 2 shown]
	v_mov_b32_e32 v56, 0
	s_wait_xcnt 0x0
	s_and_saveexec_b32 s7, s0
	s_cbranch_execz .LBB42_31
; %bb.8:
	global_load_u8 v18, v[4:5], off offset:1024
	global_load_u8 v16, v[6:7], off offset:1024
	;; [unrolled: 1-line block ×3, first 2 shown]
	v_or_b32_e32 v11, 0x500, v0
	v_dual_mov_b32 v19, 0 :: v_dual_mov_b32 v12, 0
	v_dual_mov_b32 v17, 0 :: v_dual_mov_b32 v22, 0
	s_delay_alu instid0(VALU_DEP_3)
	v_cmp_gt_u32_e64 s0, s1, v11
	v_dual_mov_b32 v11, 0 :: v_dual_mov_b32 v14, 0
	v_dual_mov_b32 v15, 0 :: v_dual_mov_b32 v23, 0
	;; [unrolled: 1-line block ×14, first 2 shown]
	v_mov_b32_e32 v56, 0
	s_wait_xcnt 0x0
	s_and_saveexec_b32 s8, s0
	s_cbranch_execz .LBB42_30
; %bb.9:
	global_load_u8 v19, v[4:5], off offset:1280
	global_load_u8 v14, v[6:7], off offset:1280
	;; [unrolled: 1-line block ×3, first 2 shown]
	v_or_b32_e32 v12, 0x600, v0
	v_dual_mov_b32 v22, 0 :: v_dual_mov_b32 v15, 0
	v_dual_mov_b32 v23, 0 :: v_dual_mov_b32 v26, 0
	s_delay_alu instid0(VALU_DEP_3)
	v_cmp_gt_u32_e64 s0, s1, v12
	v_dual_mov_b32 v12, 0 :: v_dual_mov_b32 v17, 0
	v_dual_mov_b32 v24, 0 :: v_dual_mov_b32 v28, 0
	;; [unrolled: 1-line block ×13, first 2 shown]
	s_wait_xcnt 0x0
	s_and_saveexec_b32 s9, s0
	s_cbranch_execz .LBB42_29
; %bb.10:
	global_load_u8 v22, v[4:5], off offset:1536
	global_load_u8 v17, v[6:7], off offset:1536
	;; [unrolled: 1-line block ×3, first 2 shown]
	v_or_b32_e32 v15, 0x700, v0
	v_dual_mov_b32 v26, 0 :: v_dual_mov_b32 v24, 0
	v_dual_mov_b32 v28, 0 :: v_dual_mov_b32 v33, 0
	s_delay_alu instid0(VALU_DEP_3)
	v_cmp_gt_u32_e64 s0, s1, v15
	v_dual_mov_b32 v15, 0 :: v_dual_mov_b32 v23, 0
	v_dual_mov_b32 v30, 0 :: v_dual_mov_b32 v35, 0
	v_dual_mov_b32 v39, 0 :: v_dual_mov_b32 v38, 0
	v_dual_mov_b32 v40, 0 :: v_dual_mov_b32 v42, 0
	v_dual_mov_b32 v41, 0 :: v_dual_mov_b32 v43, 0
	v_dual_mov_b32 v45, 0 :: v_dual_mov_b32 v44, 0
	v_dual_mov_b32 v46, 0 :: v_dual_mov_b32 v48, 0
	v_dual_mov_b32 v47, 0 :: v_dual_mov_b32 v49, 0
	v_dual_mov_b32 v50, 0 :: v_dual_mov_b32 v51, 0
	v_dual_mov_b32 v52, 0 :: v_dual_mov_b32 v53, 0
	v_dual_mov_b32 v54, 0 :: v_dual_mov_b32 v55, 0
	v_mov_b32_e32 v56, 0
	s_wait_xcnt 0x0
	s_and_saveexec_b32 s10, s0
	s_cbranch_execz .LBB42_28
; %bb.11:
	global_load_u8 v26, v[4:5], off offset:1792
	global_load_u8 v23, v[6:7], off offset:1792
	;; [unrolled: 1-line block ×3, first 2 shown]
	v_or_b32_e32 v24, 0x800, v0
	v_dual_mov_b32 v33, 0 :: v_dual_mov_b32 v30, 0
	v_dual_mov_b32 v35, 0 :: v_dual_mov_b32 v39, 0
	s_delay_alu instid0(VALU_DEP_3)
	v_cmp_gt_u32_e64 s0, s1, v24
	v_dual_mov_b32 v24, 0 :: v_dual_mov_b32 v28, 0
	v_dual_mov_b32 v38, 0 :: v_dual_mov_b32 v40, 0
	;; [unrolled: 1-line block ×10, first 2 shown]
	s_wait_xcnt 0x0
	s_and_saveexec_b32 s11, s0
	s_cbranch_execz .LBB42_27
; %bb.12:
	global_load_u8 v33, v[4:5], off offset:2048
	global_load_u8 v28, v[6:7], off offset:2048
	;; [unrolled: 1-line block ×3, first 2 shown]
	v_or_b32_e32 v30, 0x900, v0
	v_dual_mov_b32 v39, 0 :: v_dual_mov_b32 v38, 0
	v_dual_mov_b32 v40, 0 :: v_dual_mov_b32 v42, 0
	s_delay_alu instid0(VALU_DEP_3)
	v_cmp_gt_u32_e64 s0, s1, v30
	v_dual_mov_b32 v30, 0 :: v_dual_mov_b32 v35, 0
	v_dual_mov_b32 v41, 0 :: v_dual_mov_b32 v43, 0
	;; [unrolled: 1-line block ×8, first 2 shown]
	v_mov_b32_e32 v56, 0
	s_wait_xcnt 0x0
	s_and_saveexec_b32 s15, s0
	s_cbranch_execz .LBB42_26
; %bb.13:
	global_load_u8 v39, v[4:5], off offset:2304
	global_load_u8 v35, v[6:7], off offset:2304
	;; [unrolled: 1-line block ×3, first 2 shown]
	v_or_b32_e32 v38, 0xa00, v0
	v_dual_mov_b32 v42, 0 :: v_dual_mov_b32 v41, 0
	v_dual_mov_b32 v43, 0 :: v_dual_mov_b32 v45, 0
	s_delay_alu instid0(VALU_DEP_3)
	v_cmp_gt_u32_e64 s0, s1, v38
	v_dual_mov_b32 v38, 0 :: v_dual_mov_b32 v40, 0
	v_dual_mov_b32 v44, 0 :: v_dual_mov_b32 v46, 0
	;; [unrolled: 1-line block ×7, first 2 shown]
	s_wait_xcnt 0x0
	s_and_saveexec_b32 s16, s0
	s_cbranch_execz .LBB42_25
; %bb.14:
	global_load_u8 v42, v[4:5], off offset:2560
	global_load_u8 v40, v[6:7], off offset:2560
	;; [unrolled: 1-line block ×3, first 2 shown]
	v_or_b32_e32 v41, 0xb00, v0
	v_dual_mov_b32 v45, 0 :: v_dual_mov_b32 v44, 0
	v_dual_mov_b32 v46, 0 :: v_dual_mov_b32 v48, 0
	s_delay_alu instid0(VALU_DEP_3)
	v_cmp_gt_u32_e64 s0, s1, v41
	v_dual_mov_b32 v41, 0 :: v_dual_mov_b32 v43, 0
	v_dual_mov_b32 v47, 0 :: v_dual_mov_b32 v49, 0
	;; [unrolled: 1-line block ×5, first 2 shown]
	v_mov_b32_e32 v56, 0
	s_wait_xcnt 0x0
	s_and_saveexec_b32 s17, s0
	s_cbranch_execz .LBB42_24
; %bb.15:
	global_load_u8 v45, v[4:5], off offset:2816
	global_load_u8 v43, v[6:7], off offset:2816
	global_load_u8 v41, v[8:9], off offset:2816
	v_or_b32_e32 v44, 0xc00, v0
	v_dual_mov_b32 v48, 0 :: v_dual_mov_b32 v47, 0
	v_dual_mov_b32 v49, 0 :: v_dual_mov_b32 v50, 0
	s_delay_alu instid0(VALU_DEP_3)
	v_cmp_gt_u32_e64 s0, s1, v44
	v_dual_mov_b32 v44, 0 :: v_dual_mov_b32 v46, 0
	v_dual_mov_b32 v51, 0 :: v_dual_mov_b32 v52, 0
	;; [unrolled: 1-line block ×4, first 2 shown]
	s_wait_xcnt 0x0
	s_and_saveexec_b32 s18, s0
	s_cbranch_execz .LBB42_23
; %bb.16:
	global_load_u8 v48, v[4:5], off offset:3072
	global_load_u8 v46, v[6:7], off offset:3072
	;; [unrolled: 1-line block ×3, first 2 shown]
	v_or_b32_e32 v47, 0xd00, v0
	v_dual_mov_b32 v50, 0 :: v_dual_mov_b32 v51, 0
	v_dual_mov_b32 v52, 0 :: v_dual_mov_b32 v53, 0
	s_delay_alu instid0(VALU_DEP_3)
	v_cmp_gt_u32_e64 s0, s1, v47
	v_dual_mov_b32 v47, 0 :: v_dual_mov_b32 v49, 0
	v_dual_mov_b32 v54, 0 :: v_dual_mov_b32 v55, 0
	v_mov_b32_e32 v56, 0
	s_wait_xcnt 0x0
	s_and_saveexec_b32 s19, s0
	s_cbranch_execz .LBB42_22
; %bb.17:
	global_load_u8 v50, v[4:5], off offset:3328
	global_load_u8 v49, v[6:7], off offset:3328
	;; [unrolled: 1-line block ×3, first 2 shown]
	v_or_b32_e32 v51, 0xe00, v0
	v_dual_mov_b32 v53, 0 :: v_dual_mov_b32 v54, 0
	v_dual_mov_b32 v55, 0 :: v_dual_mov_b32 v56, 0
	s_delay_alu instid0(VALU_DEP_3)
	v_cmp_gt_u32_e64 s0, s1, v51
	v_dual_mov_b32 v51, 0 :: v_dual_mov_b32 v52, 0
	s_wait_xcnt 0x0
	s_and_saveexec_b32 s20, s0
	s_cbranch_execz .LBB42_21
; %bb.18:
	global_load_u8 v53, v[4:5], off offset:3584
	global_load_u8 v52, v[6:7], off offset:3584
	;; [unrolled: 1-line block ×3, first 2 shown]
	v_or_b32_e32 v54, 0xf00, v0
	v_dual_mov_b32 v56, 0 :: v_dual_mov_b32 v55, 0
	s_delay_alu instid0(VALU_DEP_2)
	v_cmp_gt_u32_e64 s0, s1, v54
	v_mov_b32_e32 v54, 0
	s_wait_xcnt 0x0
	s_and_saveexec_b32 s21, s0
	s_cbranch_execz .LBB42_20
; %bb.19:
	global_load_u8 v56, v[4:5], off offset:3840
	global_load_u8 v55, v[6:7], off offset:3840
	;; [unrolled: 1-line block ×3, first 2 shown]
.LBB42_20:
	s_wait_xcnt 0x0
	s_or_b32 exec_lo, exec_lo, s21
.LBB42_21:
	s_delay_alu instid0(SALU_CYCLE_1)
	s_or_b32 exec_lo, exec_lo, s20
.LBB42_22:
	s_delay_alu instid0(SALU_CYCLE_1)
	s_or_b32 exec_lo, exec_lo, s19
.LBB42_23:
	s_delay_alu instid0(SALU_CYCLE_1)
	s_or_b32 exec_lo, exec_lo, s18
.LBB42_24:
	s_delay_alu instid0(SALU_CYCLE_1)
	s_or_b32 exec_lo, exec_lo, s17
.LBB42_25:
	s_delay_alu instid0(SALU_CYCLE_1)
	s_or_b32 exec_lo, exec_lo, s16
.LBB42_26:
	s_delay_alu instid0(SALU_CYCLE_1)
	s_or_b32 exec_lo, exec_lo, s15
.LBB42_27:
	s_delay_alu instid0(SALU_CYCLE_1)
	s_or_b32 exec_lo, exec_lo, s11
.LBB42_28:
	s_delay_alu instid0(SALU_CYCLE_1)
	s_or_b32 exec_lo, exec_lo, s10
.LBB42_29:
	s_delay_alu instid0(SALU_CYCLE_1)
	s_or_b32 exec_lo, exec_lo, s9
.LBB42_30:
	s_delay_alu instid0(SALU_CYCLE_1)
	s_or_b32 exec_lo, exec_lo, s8
.LBB42_31:
	s_delay_alu instid0(SALU_CYCLE_1)
	s_or_b32 exec_lo, exec_lo, s7
.LBB42_32:
	s_delay_alu instid0(SALU_CYCLE_1)
	s_or_b32 exec_lo, exec_lo, s6
	s_wait_loadcnt 0x0
	v_dual_mov_b32 v4, v3 :: v_dual_mov_b32 v3, v2
.LBB42_33:
	s_or_b32 exec_lo, exec_lo, s14
.LBB42_34:
	s_delay_alu instid0(SALU_CYCLE_1) | instskip(NEXT) | instid1(SALU_CYCLE_1)
	s_or_b32 exec_lo, exec_lo, s13
	s_or_b32 exec_lo, exec_lo, s3
                                        ; implicit-def: $vgpr2
	s_and_saveexec_b32 s0, vcc_lo
	s_cbranch_execz .LBB42_37
	s_branch .LBB42_36
.LBB42_35:
	s_or_b32 exec_lo, exec_lo, s3
                                        ; implicit-def: $vgpr2
	s_and_saveexec_b32 s0, vcc_lo
	s_cbranch_execz .LBB42_37
.LBB42_36:
	s_and_b32 s3, 0xffff, s12
	s_wait_loadcnt 0x2
	v_mul_lo_u16 v2, v34, s12
	s_lshr_b32 s3, s3, 8
	s_wait_loadcnt 0x1
	v_mul_lo_u16 v5, v36, s3
	s_wait_loadcnt 0x0
	s_delay_alu instid0(VALU_DEP_1)
	v_mad_u16 v2, v5, v37, v2
.LBB42_37:
	s_or_b32 exec_lo, exec_lo, s0
	s_delay_alu instid0(SALU_CYCLE_1)
	s_mov_b32 s3, exec_lo
                                        ; implicit-def: $vgpr5
	v_cmpx_gt_i32_e64 s1, v10
	s_cbranch_execz .LBB42_39
; %bb.38:
	s_and_b32 s0, 0xffff, s12
	s_wait_loadcnt 0x2
	v_mul_lo_u16 v5, v31, s12
	s_lshr_b32 s0, s0, 8
	s_wait_loadcnt 0x1
	v_mul_lo_u16 v6, v32, s0
	s_wait_loadcnt 0x0
	s_delay_alu instid0(VALU_DEP_1)
	v_mad_u16 v5, v6, v29, v5
.LBB42_39:
	s_or_b32 exec_lo, exec_lo, s3
	v_or_b32_e32 v6, 0x200, v0
	s_delay_alu instid0(VALU_DEP_1)
	v_cmp_gt_i32_e64 s0, s1, v6
                                        ; implicit-def: $vgpr6
	s_and_saveexec_b32 s3, s0
; %bb.40:
	s_and_b32 s0, 0xffff, s12
	v_mul_lo_u16 v6, v27, s12
	s_lshr_b32 s0, s0, 8
	s_delay_alu instid0(SALU_CYCLE_1) | instskip(NEXT) | instid1(VALU_DEP_1)
	v_mul_lo_u16 v7, v25, s0
	v_mad_u16 v6, v7, v3, v6
; %bb.41:
	s_or_b32 exec_lo, exec_lo, s3
	v_or_b32_e32 v3, 0x300, v0
	s_delay_alu instid0(VALU_DEP_1)
	v_cmp_gt_i32_e64 s0, s1, v3
                                        ; implicit-def: $vgpr3
	s_and_saveexec_b32 s3, s0
; %bb.42:
	s_and_b32 s0, 0xffff, s12
	v_mul_lo_u16 v3, v21, s12
	s_lshr_b32 s0, s0, 8
	s_delay_alu instid0(SALU_CYCLE_1) | instskip(NEXT) | instid1(VALU_DEP_1)
	v_mul_lo_u16 v7, v20, s0
	v_mad_u16 v3, v7, v4, v3
; %bb.43:
	s_or_b32 exec_lo, exec_lo, s3
	v_or_b32_e32 v4, 0x400, v0
	s_delay_alu instid0(VALU_DEP_1)
	v_cmp_gt_i32_e64 s0, s1, v4
                                        ; implicit-def: $vgpr4
	s_and_saveexec_b32 s3, s0
; %bb.44:
	s_and_b32 s0, 0xffff, s12
	v_mul_lo_u16 v4, v18, s12
	s_lshr_b32 s0, s0, 8
	s_delay_alu instid0(SALU_CYCLE_1) | instskip(NEXT) | instid1(VALU_DEP_1)
	v_mul_lo_u16 v7, v16, s0
	v_mad_u16 v4, v7, v13, v4
; %bb.45:
	s_or_b32 exec_lo, exec_lo, s3
	v_or_b32_e32 v7, 0x500, v0
	s_delay_alu instid0(VALU_DEP_1)
	v_cmp_gt_i32_e64 s0, s1, v7
                                        ; implicit-def: $vgpr7
	s_and_saveexec_b32 s3, s0
; %bb.46:
	s_and_b32 s0, 0xffff, s12
	v_mul_lo_u16 v7, v19, s12
	s_lshr_b32 s0, s0, 8
	s_delay_alu instid0(SALU_CYCLE_1) | instskip(NEXT) | instid1(VALU_DEP_1)
	v_mul_lo_u16 v8, v14, s0
	v_mad_u16 v7, v8, v11, v7
; %bb.47:
	s_or_b32 exec_lo, exec_lo, s3
	v_or_b32_e32 v8, 0x600, v0
	s_delay_alu instid0(VALU_DEP_1)
	v_cmp_gt_i32_e64 s0, s1, v8
                                        ; implicit-def: $vgpr8
	s_and_saveexec_b32 s3, s0
; %bb.48:
	s_and_b32 s0, 0xffff, s12
	v_mul_lo_u16 v8, v22, s12
	s_lshr_b32 s0, s0, 8
	s_delay_alu instid0(SALU_CYCLE_1) | instskip(NEXT) | instid1(VALU_DEP_1)
	v_mul_lo_u16 v9, v17, s0
	v_mad_u16 v8, v9, v12, v8
; %bb.49:
	s_or_b32 exec_lo, exec_lo, s3
	v_or_b32_e32 v9, 0x700, v0
	s_delay_alu instid0(VALU_DEP_1)
	v_cmp_gt_i32_e64 s0, s1, v9
                                        ; implicit-def: $vgpr9
	s_and_saveexec_b32 s3, s0
; %bb.50:
	s_and_b32 s0, 0xffff, s12
	v_mul_lo_u16 v9, v26, s12
	s_lshr_b32 s0, s0, 8
	s_delay_alu instid0(SALU_CYCLE_1) | instskip(NEXT) | instid1(VALU_DEP_1)
	v_mul_lo_u16 v11, v23, s0
	v_mad_u16 v9, v11, v15, v9
; %bb.51:
	s_or_b32 exec_lo, exec_lo, s3
	v_or_b32_e32 v11, 0x800, v0
	s_delay_alu instid0(VALU_DEP_1)
	v_cmp_gt_i32_e64 s0, s1, v11
                                        ; implicit-def: $vgpr11
	s_and_saveexec_b32 s3, s0
; %bb.52:
	s_and_b32 s0, 0xffff, s12
	v_mul_lo_u16 v11, v33, s12
	s_lshr_b32 s0, s0, 8
	s_delay_alu instid0(SALU_CYCLE_1) | instskip(NEXT) | instid1(VALU_DEP_1)
	v_mul_lo_u16 v12, v28, s0
	v_mad_u16 v11, v12, v24, v11
; %bb.53:
	s_or_b32 exec_lo, exec_lo, s3
	v_or_b32_e32 v12, 0x900, v0
	s_delay_alu instid0(VALU_DEP_1)
	v_cmp_gt_i32_e64 s0, s1, v12
                                        ; implicit-def: $vgpr12
	s_and_saveexec_b32 s3, s0
; %bb.54:
	s_and_b32 s0, 0xffff, s12
	v_mul_lo_u16 v12, v39, s12
	s_lshr_b32 s0, s0, 8
	s_delay_alu instid0(SALU_CYCLE_1) | instskip(NEXT) | instid1(VALU_DEP_1)
	v_mul_lo_u16 v13, v35, s0
	v_mad_u16 v12, v13, v30, v12
; %bb.55:
	s_or_b32 exec_lo, exec_lo, s3
	v_or_b32_e32 v13, 0xa00, v0
	s_delay_alu instid0(VALU_DEP_1)
	v_cmp_gt_i32_e64 s0, s1, v13
                                        ; implicit-def: $vgpr13
	s_and_saveexec_b32 s3, s0
; %bb.56:
	s_and_b32 s0, 0xffff, s12
	v_mul_lo_u16 v13, v42, s12
	s_lshr_b32 s0, s0, 8
	s_delay_alu instid0(SALU_CYCLE_1) | instskip(NEXT) | instid1(VALU_DEP_1)
	v_mul_lo_u16 v14, v40, s0
	v_mad_u16 v13, v14, v38, v13
; %bb.57:
	s_or_b32 exec_lo, exec_lo, s3
	v_or_b32_e32 v14, 0xb00, v0
	s_delay_alu instid0(VALU_DEP_1)
	v_cmp_gt_i32_e64 s0, s1, v14
                                        ; implicit-def: $vgpr14
	s_and_saveexec_b32 s3, s0
; %bb.58:
	s_and_b32 s0, 0xffff, s12
	v_mul_lo_u16 v14, v45, s12
	s_lshr_b32 s0, s0, 8
	s_delay_alu instid0(SALU_CYCLE_1) | instskip(NEXT) | instid1(VALU_DEP_1)
	v_mul_lo_u16 v15, v43, s0
	v_mad_u16 v14, v15, v41, v14
; %bb.59:
	s_or_b32 exec_lo, exec_lo, s3
	v_or_b32_e32 v15, 0xc00, v0
	s_delay_alu instid0(VALU_DEP_1)
	v_cmp_gt_i32_e64 s0, s1, v15
                                        ; implicit-def: $vgpr15
	s_and_saveexec_b32 s3, s0
; %bb.60:
	s_and_b32 s0, 0xffff, s12
	v_mul_lo_u16 v15, v48, s12
	s_lshr_b32 s0, s0, 8
	s_delay_alu instid0(SALU_CYCLE_1) | instskip(NEXT) | instid1(VALU_DEP_1)
	v_mul_lo_u16 v16, v46, s0
	v_mad_u16 v15, v16, v44, v15
; %bb.61:
	s_or_b32 exec_lo, exec_lo, s3
	v_or_b32_e32 v16, 0xd00, v0
	s_delay_alu instid0(VALU_DEP_1)
	v_cmp_gt_i32_e64 s0, s1, v16
                                        ; implicit-def: $vgpr16
	s_and_saveexec_b32 s3, s0
; %bb.62:
	s_and_b32 s0, 0xffff, s12
	v_mul_lo_u16 v16, v50, s12
	s_lshr_b32 s0, s0, 8
	s_delay_alu instid0(SALU_CYCLE_1) | instskip(NEXT) | instid1(VALU_DEP_1)
	v_mul_lo_u16 v17, v49, s0
	v_mad_u16 v16, v17, v47, v16
; %bb.63:
	s_or_b32 exec_lo, exec_lo, s3
	v_or_b32_e32 v17, 0xe00, v0
	s_delay_alu instid0(VALU_DEP_1)
	v_cmp_gt_i32_e64 s0, s1, v17
                                        ; implicit-def: $vgpr17
	s_and_saveexec_b32 s3, s0
; %bb.64:
	s_and_b32 s0, 0xffff, s12
	v_mul_lo_u16 v17, v53, s12
	s_lshr_b32 s0, s0, 8
	s_delay_alu instid0(SALU_CYCLE_1) | instskip(NEXT) | instid1(VALU_DEP_1)
	v_mul_lo_u16 v18, v52, s0
	v_mad_u16 v17, v18, v51, v17
; %bb.65:
	s_or_b32 exec_lo, exec_lo, s3
	v_or_b32_e32 v18, 0xf00, v0
	s_delay_alu instid0(VALU_DEP_1)
	v_cmp_gt_i32_e64 s0, s1, v18
                                        ; implicit-def: $vgpr18
	s_and_saveexec_b32 s3, s0
	s_cbranch_execz .LBB42_84
; %bb.66:
	s_and_b32 s0, 0xffff, s12
	v_mul_lo_u16 v18, v56, s12
	s_lshr_b32 s0, s0, 8
	s_delay_alu instid0(SALU_CYCLE_1) | instskip(NEXT) | instid1(VALU_DEP_1)
	v_mul_lo_u16 v19, v55, s0
	v_mad_u16 v18, v19, v54, v18
	s_or_b32 exec_lo, exec_lo, s3
	s_and_saveexec_b32 s0, vcc_lo
	s_delay_alu instid0(SALU_CYCLE_1)
	s_xor_b32 s0, exec_lo, s0
	s_cbranch_execnz .LBB42_85
.LBB42_67:
	s_or_b32 exec_lo, exec_lo, s0
	s_delay_alu instid0(SALU_CYCLE_1)
	s_mov_b32 s0, exec_lo
	v_cmpx_gt_i32_e64 s1, v0
	s_cbranch_execz .LBB42_86
.LBB42_68:
	v_add_nc_u32_e32 v1, s2, v0
	v_add_nc_u32_e32 v0, 0x100, v0
	global_store_b8 v1, v5, s[4:5]
	s_wait_xcnt 0x0
	s_or_b32 exec_lo, exec_lo, s0
	s_delay_alu instid0(SALU_CYCLE_1)
	s_mov_b32 s0, exec_lo
	v_cmpx_gt_i32_e64 s1, v0
	s_cbranch_execnz .LBB42_87
.LBB42_69:
	s_or_b32 exec_lo, exec_lo, s0
	s_delay_alu instid0(SALU_CYCLE_1)
	s_mov_b32 s0, exec_lo
	v_cmpx_gt_i32_e64 s1, v0
	s_cbranch_execz .LBB42_88
.LBB42_70:
	v_add_nc_u32_e32 v1, s2, v0
	v_add_nc_u32_e32 v0, 0x100, v0
	global_store_b8 v1, v3, s[4:5]
	s_wait_xcnt 0x0
	s_or_b32 exec_lo, exec_lo, s0
	s_delay_alu instid0(SALU_CYCLE_1)
	s_mov_b32 s0, exec_lo
	v_cmpx_gt_i32_e64 s1, v0
	s_cbranch_execnz .LBB42_89
.LBB42_71:
	s_or_b32 exec_lo, exec_lo, s0
	s_delay_alu instid0(SALU_CYCLE_1)
	s_mov_b32 s0, exec_lo
	v_cmpx_gt_i32_e64 s1, v0
	s_cbranch_execz .LBB42_90
.LBB42_72:
	v_add_nc_u32_e32 v1, s2, v0
	v_add_nc_u32_e32 v0, 0x100, v0
	global_store_b8 v1, v7, s[4:5]
	s_wait_xcnt 0x0
	s_or_b32 exec_lo, exec_lo, s0
	s_delay_alu instid0(SALU_CYCLE_1)
	s_mov_b32 s0, exec_lo
	v_cmpx_gt_i32_e64 s1, v0
	s_cbranch_execnz .LBB42_91
.LBB42_73:
	s_or_b32 exec_lo, exec_lo, s0
	s_delay_alu instid0(SALU_CYCLE_1)
	s_mov_b32 s0, exec_lo
	v_cmpx_gt_i32_e64 s1, v0
	s_cbranch_execz .LBB42_92
.LBB42_74:
	v_add_nc_u32_e32 v1, s2, v0
	v_add_nc_u32_e32 v0, 0x100, v0
	global_store_b8 v1, v9, s[4:5]
	s_wait_xcnt 0x0
	s_or_b32 exec_lo, exec_lo, s0
	s_delay_alu instid0(SALU_CYCLE_1)
	s_mov_b32 s0, exec_lo
	v_cmpx_gt_i32_e64 s1, v0
	s_cbranch_execnz .LBB42_93
.LBB42_75:
	s_or_b32 exec_lo, exec_lo, s0
	s_delay_alu instid0(SALU_CYCLE_1)
	s_mov_b32 s0, exec_lo
	v_cmpx_gt_i32_e64 s1, v0
	s_cbranch_execz .LBB42_94
.LBB42_76:
	v_add_nc_u32_e32 v1, s2, v0
	v_add_nc_u32_e32 v0, 0x100, v0
	global_store_b8 v1, v12, s[4:5]
	s_wait_xcnt 0x0
	s_or_b32 exec_lo, exec_lo, s0
	s_delay_alu instid0(SALU_CYCLE_1)
	s_mov_b32 s0, exec_lo
	v_cmpx_gt_i32_e64 s1, v0
	s_cbranch_execnz .LBB42_95
.LBB42_77:
	s_or_b32 exec_lo, exec_lo, s0
	s_delay_alu instid0(SALU_CYCLE_1)
	s_mov_b32 s0, exec_lo
	v_cmpx_gt_i32_e64 s1, v0
	s_cbranch_execz .LBB42_96
.LBB42_78:
	v_add_nc_u32_e32 v1, s2, v0
	v_add_nc_u32_e32 v0, 0x100, v0
	global_store_b8 v1, v14, s[4:5]
	s_wait_xcnt 0x0
	s_or_b32 exec_lo, exec_lo, s0
	s_delay_alu instid0(SALU_CYCLE_1)
	s_mov_b32 s0, exec_lo
	v_cmpx_gt_i32_e64 s1, v0
	s_cbranch_execnz .LBB42_97
.LBB42_79:
	s_or_b32 exec_lo, exec_lo, s0
	s_delay_alu instid0(SALU_CYCLE_1)
	s_mov_b32 s0, exec_lo
	v_cmpx_gt_i32_e64 s1, v0
	s_cbranch_execz .LBB42_98
.LBB42_80:
	v_add_nc_u32_e32 v1, s2, v0
	v_add_nc_u32_e32 v0, 0x100, v0
	global_store_b8 v1, v16, s[4:5]
	s_wait_xcnt 0x0
	s_or_b32 exec_lo, exec_lo, s0
	s_delay_alu instid0(SALU_CYCLE_1)
	s_mov_b32 s0, exec_lo
	v_cmpx_gt_i32_e64 s1, v0
	s_cbranch_execnz .LBB42_99
.LBB42_81:
	s_or_b32 exec_lo, exec_lo, s0
	s_delay_alu instid0(SALU_CYCLE_1)
	s_mov_b32 s0, exec_lo
	v_cmpx_gt_i32_e64 s1, v0
	s_cbranch_execz .LBB42_83
.LBB42_82:
	v_add_nc_u32_e32 v0, s2, v0
	global_store_b8 v0, v18, s[4:5]
.LBB42_83:
	s_endpgm
.LBB42_84:
	s_or_b32 exec_lo, exec_lo, s3
	s_and_saveexec_b32 s0, vcc_lo
	s_delay_alu instid0(SALU_CYCLE_1)
	s_xor_b32 s0, exec_lo, s0
	s_cbranch_execz .LBB42_67
.LBB42_85:
	v_mov_b32_e32 v0, v10
	global_store_b8 v1, v2, s[4:5]
	s_wait_xcnt 0x0
	s_or_b32 exec_lo, exec_lo, s0
	s_delay_alu instid0(SALU_CYCLE_1)
	s_mov_b32 s0, exec_lo
	v_cmpx_gt_i32_e64 s1, v0
	s_cbranch_execnz .LBB42_68
.LBB42_86:
	s_or_b32 exec_lo, exec_lo, s0
	s_delay_alu instid0(SALU_CYCLE_1)
	s_mov_b32 s0, exec_lo
	v_cmpx_gt_i32_e64 s1, v0
	s_cbranch_execz .LBB42_69
.LBB42_87:
	v_add_nc_u32_e32 v1, s2, v0
	v_add_nc_u32_e32 v0, 0x100, v0
	global_store_b8 v1, v6, s[4:5]
	s_wait_xcnt 0x0
	s_or_b32 exec_lo, exec_lo, s0
	s_delay_alu instid0(SALU_CYCLE_1)
	s_mov_b32 s0, exec_lo
	v_cmpx_gt_i32_e64 s1, v0
	s_cbranch_execnz .LBB42_70
.LBB42_88:
	s_or_b32 exec_lo, exec_lo, s0
	s_delay_alu instid0(SALU_CYCLE_1)
	s_mov_b32 s0, exec_lo
	v_cmpx_gt_i32_e64 s1, v0
	s_cbranch_execz .LBB42_71
.LBB42_89:
	v_add_nc_u32_e32 v1, s2, v0
	v_add_nc_u32_e32 v0, 0x100, v0
	global_store_b8 v1, v4, s[4:5]
	s_wait_xcnt 0x0
	s_or_b32 exec_lo, exec_lo, s0
	s_delay_alu instid0(SALU_CYCLE_1)
	s_mov_b32 s0, exec_lo
	v_cmpx_gt_i32_e64 s1, v0
	s_cbranch_execnz .LBB42_72
.LBB42_90:
	s_or_b32 exec_lo, exec_lo, s0
	s_delay_alu instid0(SALU_CYCLE_1)
	s_mov_b32 s0, exec_lo
	v_cmpx_gt_i32_e64 s1, v0
	s_cbranch_execz .LBB42_73
.LBB42_91:
	v_add_nc_u32_e32 v1, s2, v0
	v_add_nc_u32_e32 v0, 0x100, v0
	global_store_b8 v1, v8, s[4:5]
	s_wait_xcnt 0x0
	s_or_b32 exec_lo, exec_lo, s0
	s_delay_alu instid0(SALU_CYCLE_1)
	s_mov_b32 s0, exec_lo
	v_cmpx_gt_i32_e64 s1, v0
	s_cbranch_execnz .LBB42_74
.LBB42_92:
	s_or_b32 exec_lo, exec_lo, s0
	s_delay_alu instid0(SALU_CYCLE_1)
	s_mov_b32 s0, exec_lo
	v_cmpx_gt_i32_e64 s1, v0
	s_cbranch_execz .LBB42_75
.LBB42_93:
	v_add_nc_u32_e32 v1, s2, v0
	v_add_nc_u32_e32 v0, 0x100, v0
	global_store_b8 v1, v11, s[4:5]
	s_wait_xcnt 0x0
	s_or_b32 exec_lo, exec_lo, s0
	s_delay_alu instid0(SALU_CYCLE_1)
	s_mov_b32 s0, exec_lo
	v_cmpx_gt_i32_e64 s1, v0
	s_cbranch_execnz .LBB42_76
.LBB42_94:
	s_or_b32 exec_lo, exec_lo, s0
	s_delay_alu instid0(SALU_CYCLE_1)
	s_mov_b32 s0, exec_lo
	v_cmpx_gt_i32_e64 s1, v0
	s_cbranch_execz .LBB42_77
.LBB42_95:
	v_add_nc_u32_e32 v1, s2, v0
	v_add_nc_u32_e32 v0, 0x100, v0
	global_store_b8 v1, v13, s[4:5]
	s_wait_xcnt 0x0
	s_or_b32 exec_lo, exec_lo, s0
	s_delay_alu instid0(SALU_CYCLE_1)
	s_mov_b32 s0, exec_lo
	v_cmpx_gt_i32_e64 s1, v0
	s_cbranch_execnz .LBB42_78
.LBB42_96:
	s_or_b32 exec_lo, exec_lo, s0
	s_delay_alu instid0(SALU_CYCLE_1)
	s_mov_b32 s0, exec_lo
	v_cmpx_gt_i32_e64 s1, v0
	s_cbranch_execz .LBB42_79
.LBB42_97:
	v_add_nc_u32_e32 v1, s2, v0
	v_add_nc_u32_e32 v0, 0x100, v0
	global_store_b8 v1, v15, s[4:5]
	s_wait_xcnt 0x0
	s_or_b32 exec_lo, exec_lo, s0
	s_delay_alu instid0(SALU_CYCLE_1)
	s_mov_b32 s0, exec_lo
	v_cmpx_gt_i32_e64 s1, v0
	s_cbranch_execnz .LBB42_80
.LBB42_98:
	s_or_b32 exec_lo, exec_lo, s0
	s_delay_alu instid0(SALU_CYCLE_1)
	s_mov_b32 s0, exec_lo
	v_cmpx_gt_i32_e64 s1, v0
	s_cbranch_execz .LBB42_81
.LBB42_99:
	v_add_nc_u32_e32 v1, s2, v0
	v_add_nc_u32_e32 v0, 0x100, v0
	global_store_b8 v1, v17, s[4:5]
	s_wait_xcnt 0x0
	s_or_b32 exec_lo, exec_lo, s0
	s_delay_alu instid0(SALU_CYCLE_1)
	s_mov_b32 s0, exec_lo
	v_cmpx_gt_i32_e64 s1, v0
	s_cbranch_execnz .LBB42_82
	s_branch .LBB42_83
	.section	.rodata,"a",@progbits
	.p2align	6, 0x0
	.amdhsa_kernel _ZN2at6native29vectorized_elementwise_kernelILi4EZZZNS0_12_GLOBAL__N_116addr_kernel_cudaERNS_14TensorIteratorERKN3c106ScalarES8_ENKUlvE_clEvENKUlvE0_clEvEUlaaaE0_St5arrayIPcLm4EEEEviT0_T1_
		.amdhsa_group_segment_fixed_size 0
		.amdhsa_private_segment_fixed_size 0
		.amdhsa_kernarg_size 40
		.amdhsa_user_sgpr_count 2
		.amdhsa_user_sgpr_dispatch_ptr 0
		.amdhsa_user_sgpr_queue_ptr 0
		.amdhsa_user_sgpr_kernarg_segment_ptr 1
		.amdhsa_user_sgpr_dispatch_id 0
		.amdhsa_user_sgpr_kernarg_preload_length 0
		.amdhsa_user_sgpr_kernarg_preload_offset 0
		.amdhsa_user_sgpr_private_segment_size 0
		.amdhsa_wavefront_size32 1
		.amdhsa_uses_dynamic_stack 0
		.amdhsa_enable_private_segment 0
		.amdhsa_system_sgpr_workgroup_id_x 1
		.amdhsa_system_sgpr_workgroup_id_y 0
		.amdhsa_system_sgpr_workgroup_id_z 0
		.amdhsa_system_sgpr_workgroup_info 0
		.amdhsa_system_vgpr_workitem_id 0
		.amdhsa_next_free_vgpr 57
		.amdhsa_next_free_sgpr 22
		.amdhsa_named_barrier_count 0
		.amdhsa_reserve_vcc 1
		.amdhsa_float_round_mode_32 0
		.amdhsa_float_round_mode_16_64 0
		.amdhsa_float_denorm_mode_32 3
		.amdhsa_float_denorm_mode_16_64 3
		.amdhsa_fp16_overflow 0
		.amdhsa_memory_ordered 1
		.amdhsa_forward_progress 1
		.amdhsa_inst_pref_size 53
		.amdhsa_round_robin_scheduling 0
		.amdhsa_exception_fp_ieee_invalid_op 0
		.amdhsa_exception_fp_denorm_src 0
		.amdhsa_exception_fp_ieee_div_zero 0
		.amdhsa_exception_fp_ieee_overflow 0
		.amdhsa_exception_fp_ieee_underflow 0
		.amdhsa_exception_fp_ieee_inexact 0
		.amdhsa_exception_int_div_zero 0
	.end_amdhsa_kernel
	.section	.text._ZN2at6native29vectorized_elementwise_kernelILi4EZZZNS0_12_GLOBAL__N_116addr_kernel_cudaERNS_14TensorIteratorERKN3c106ScalarES8_ENKUlvE_clEvENKUlvE0_clEvEUlaaaE0_St5arrayIPcLm4EEEEviT0_T1_,"axG",@progbits,_ZN2at6native29vectorized_elementwise_kernelILi4EZZZNS0_12_GLOBAL__N_116addr_kernel_cudaERNS_14TensorIteratorERKN3c106ScalarES8_ENKUlvE_clEvENKUlvE0_clEvEUlaaaE0_St5arrayIPcLm4EEEEviT0_T1_,comdat
.Lfunc_end42:
	.size	_ZN2at6native29vectorized_elementwise_kernelILi4EZZZNS0_12_GLOBAL__N_116addr_kernel_cudaERNS_14TensorIteratorERKN3c106ScalarES8_ENKUlvE_clEvENKUlvE0_clEvEUlaaaE0_St5arrayIPcLm4EEEEviT0_T1_, .Lfunc_end42-_ZN2at6native29vectorized_elementwise_kernelILi4EZZZNS0_12_GLOBAL__N_116addr_kernel_cudaERNS_14TensorIteratorERKN3c106ScalarES8_ENKUlvE_clEvENKUlvE0_clEvEUlaaaE0_St5arrayIPcLm4EEEEviT0_T1_
                                        ; -- End function
	.set _ZN2at6native29vectorized_elementwise_kernelILi4EZZZNS0_12_GLOBAL__N_116addr_kernel_cudaERNS_14TensorIteratorERKN3c106ScalarES8_ENKUlvE_clEvENKUlvE0_clEvEUlaaaE0_St5arrayIPcLm4EEEEviT0_T1_.num_vgpr, 57
	.set _ZN2at6native29vectorized_elementwise_kernelILi4EZZZNS0_12_GLOBAL__N_116addr_kernel_cudaERNS_14TensorIteratorERKN3c106ScalarES8_ENKUlvE_clEvENKUlvE0_clEvEUlaaaE0_St5arrayIPcLm4EEEEviT0_T1_.num_agpr, 0
	.set _ZN2at6native29vectorized_elementwise_kernelILi4EZZZNS0_12_GLOBAL__N_116addr_kernel_cudaERNS_14TensorIteratorERKN3c106ScalarES8_ENKUlvE_clEvENKUlvE0_clEvEUlaaaE0_St5arrayIPcLm4EEEEviT0_T1_.numbered_sgpr, 22
	.set _ZN2at6native29vectorized_elementwise_kernelILi4EZZZNS0_12_GLOBAL__N_116addr_kernel_cudaERNS_14TensorIteratorERKN3c106ScalarES8_ENKUlvE_clEvENKUlvE0_clEvEUlaaaE0_St5arrayIPcLm4EEEEviT0_T1_.num_named_barrier, 0
	.set _ZN2at6native29vectorized_elementwise_kernelILi4EZZZNS0_12_GLOBAL__N_116addr_kernel_cudaERNS_14TensorIteratorERKN3c106ScalarES8_ENKUlvE_clEvENKUlvE0_clEvEUlaaaE0_St5arrayIPcLm4EEEEviT0_T1_.private_seg_size, 0
	.set _ZN2at6native29vectorized_elementwise_kernelILi4EZZZNS0_12_GLOBAL__N_116addr_kernel_cudaERNS_14TensorIteratorERKN3c106ScalarES8_ENKUlvE_clEvENKUlvE0_clEvEUlaaaE0_St5arrayIPcLm4EEEEviT0_T1_.uses_vcc, 1
	.set _ZN2at6native29vectorized_elementwise_kernelILi4EZZZNS0_12_GLOBAL__N_116addr_kernel_cudaERNS_14TensorIteratorERKN3c106ScalarES8_ENKUlvE_clEvENKUlvE0_clEvEUlaaaE0_St5arrayIPcLm4EEEEviT0_T1_.uses_flat_scratch, 0
	.set _ZN2at6native29vectorized_elementwise_kernelILi4EZZZNS0_12_GLOBAL__N_116addr_kernel_cudaERNS_14TensorIteratorERKN3c106ScalarES8_ENKUlvE_clEvENKUlvE0_clEvEUlaaaE0_St5arrayIPcLm4EEEEviT0_T1_.has_dyn_sized_stack, 0
	.set _ZN2at6native29vectorized_elementwise_kernelILi4EZZZNS0_12_GLOBAL__N_116addr_kernel_cudaERNS_14TensorIteratorERKN3c106ScalarES8_ENKUlvE_clEvENKUlvE0_clEvEUlaaaE0_St5arrayIPcLm4EEEEviT0_T1_.has_recursion, 0
	.set _ZN2at6native29vectorized_elementwise_kernelILi4EZZZNS0_12_GLOBAL__N_116addr_kernel_cudaERNS_14TensorIteratorERKN3c106ScalarES8_ENKUlvE_clEvENKUlvE0_clEvEUlaaaE0_St5arrayIPcLm4EEEEviT0_T1_.has_indirect_call, 0
	.section	.AMDGPU.csdata,"",@progbits
; Kernel info:
; codeLenInByte = 6680
; TotalNumSgprs: 24
; NumVgprs: 57
; ScratchSize: 0
; MemoryBound: 0
; FloatMode: 240
; IeeeMode: 1
; LDSByteSize: 0 bytes/workgroup (compile time only)
; SGPRBlocks: 0
; VGPRBlocks: 3
; NumSGPRsForWavesPerEU: 24
; NumVGPRsForWavesPerEU: 57
; NamedBarCnt: 0
; Occupancy: 16
; WaveLimiterHint : 1
; COMPUTE_PGM_RSRC2:SCRATCH_EN: 0
; COMPUTE_PGM_RSRC2:USER_SGPR: 2
; COMPUTE_PGM_RSRC2:TRAP_HANDLER: 0
; COMPUTE_PGM_RSRC2:TGID_X_EN: 1
; COMPUTE_PGM_RSRC2:TGID_Y_EN: 0
; COMPUTE_PGM_RSRC2:TGID_Z_EN: 0
; COMPUTE_PGM_RSRC2:TIDIG_COMP_CNT: 0
	.section	.text._ZN2at6native29vectorized_elementwise_kernelILi2EZZZNS0_12_GLOBAL__N_116addr_kernel_cudaERNS_14TensorIteratorERKN3c106ScalarES8_ENKUlvE_clEvENKUlvE0_clEvEUlaaaE0_St5arrayIPcLm4EEEEviT0_T1_,"axG",@progbits,_ZN2at6native29vectorized_elementwise_kernelILi2EZZZNS0_12_GLOBAL__N_116addr_kernel_cudaERNS_14TensorIteratorERKN3c106ScalarES8_ENKUlvE_clEvENKUlvE0_clEvEUlaaaE0_St5arrayIPcLm4EEEEviT0_T1_,comdat
	.globl	_ZN2at6native29vectorized_elementwise_kernelILi2EZZZNS0_12_GLOBAL__N_116addr_kernel_cudaERNS_14TensorIteratorERKN3c106ScalarES8_ENKUlvE_clEvENKUlvE0_clEvEUlaaaE0_St5arrayIPcLm4EEEEviT0_T1_ ; -- Begin function _ZN2at6native29vectorized_elementwise_kernelILi2EZZZNS0_12_GLOBAL__N_116addr_kernel_cudaERNS_14TensorIteratorERKN3c106ScalarES8_ENKUlvE_clEvENKUlvE0_clEvEUlaaaE0_St5arrayIPcLm4EEEEviT0_T1_
	.p2align	8
	.type	_ZN2at6native29vectorized_elementwise_kernelILi2EZZZNS0_12_GLOBAL__N_116addr_kernel_cudaERNS_14TensorIteratorERKN3c106ScalarES8_ENKUlvE_clEvENKUlvE0_clEvEUlaaaE0_St5arrayIPcLm4EEEEviT0_T1_,@function
_ZN2at6native29vectorized_elementwise_kernelILi2EZZZNS0_12_GLOBAL__N_116addr_kernel_cudaERNS_14TensorIteratorERKN3c106ScalarES8_ENKUlvE_clEvENKUlvE0_clEvEUlaaaE0_St5arrayIPcLm4EEEEviT0_T1_: ; @_ZN2at6native29vectorized_elementwise_kernelILi2EZZZNS0_12_GLOBAL__N_116addr_kernel_cudaERNS_14TensorIteratorERKN3c106ScalarES8_ENKUlvE_clEvENKUlvE0_clEvEUlaaaE0_St5arrayIPcLm4EEEEviT0_T1_
; %bb.0:
	v_mov_b32_e32 v1, 0
	s_clause 0x1
	s_load_b32 s3, s[0:1], 0x0
	s_load_b256 s[4:11], s[0:1], 0x8
	s_getreg_b32 s2, hwreg(HW_REG_IB_STS2, 6, 4)
	global_load_u16 v1, v1, s[0:1] offset:4
	s_wait_xcnt 0x0
	s_bfe_u32 s0, ttmp6, 0x4000c
	s_and_b32 s1, ttmp6, 15
	s_add_co_i32 s0, s0, 1
	s_delay_alu instid0(SALU_CYCLE_1) | instskip(NEXT) | instid1(SALU_CYCLE_1)
	s_mul_i32 s0, ttmp9, s0
	s_add_co_i32 s1, s1, s0
	s_cmp_eq_u32 s2, 0
	s_cselect_b32 s0, ttmp9, s1
	s_delay_alu instid0(SALU_CYCLE_1) | instskip(SKIP_3) | instid1(SALU_CYCLE_1)
	s_lshl_b32 s2, s0, 12
	s_mov_b32 s0, -1
	s_wait_kmcnt 0x0
	s_sub_co_i32 s1, s3, s2
	s_cmp_gt_i32 s1, 0xfff
	s_wait_loadcnt 0x0
	v_readfirstlane_b32 s12, v1
	s_cbranch_scc0 .LBB43_2
; %bb.1:
	s_ashr_i32 s3, s2, 31
	s_and_b32 s13, 0xffff, s12
	s_add_nc_u64 s[14:15], s[6:7], s[2:3]
	s_add_nc_u64 s[16:17], s[8:9], s[2:3]
	;; [unrolled: 1-line block ×3, first 2 shown]
	s_clause 0x17
	global_load_u16 v1, v0, s[14:15] scale_offset
	global_load_u16 v2, v0, s[14:15] offset:512 scale_offset
	global_load_u16 v3, v0, s[14:15] offset:1024 scale_offset
	;; [unrolled: 1-line block ×7, first 2 shown]
	global_load_u16 v9, v0, s[16:17] scale_offset
	global_load_u16 v10, v0, s[16:17] offset:512 scale_offset
	global_load_u16 v11, v0, s[16:17] offset:1024 scale_offset
	;; [unrolled: 1-line block ×6, first 2 shown]
	; meta instruction
	global_load_u16 v16, v0, s[16:17] offset:3584 scale_offset
	global_load_u16 v17, v0, s[18:19] scale_offset
	global_load_u16 v18, v0, s[18:19] offset:512 scale_offset
	global_load_u16 v19, v0, s[18:19] offset:1024 scale_offset
	;; [unrolled: 1-line block ×7, first 2 shown]
	s_lshr_b32 s13, s13, 8
	s_wait_xcnt 0x10
	s_add_nc_u64 s[14:15], s[4:5], s[2:3]
	s_mov_b32 s0, 0
	s_wait_loadcnt 0x17
	v_lshrrev_b16 v25, 8, v1
	v_mul_lo_u16 v1, v1, s12
	s_wait_loadcnt 0x16
	v_lshrrev_b16 v26, 8, v2
	v_mul_lo_u16 v2, v2, s12
	;; [unrolled: 3-line block ×8, first 2 shown]
	v_lshrrev_b16 v29, 8, v5
	s_wait_loadcnt 0xb
	v_lshrrev_b16 v37, 8, v13
	v_mul_lo_u16 v5, v5, s12
	v_mul_lo_u16 v13, v13, s13
	v_lshrrev_b16 v30, 8, v6
	v_lshrrev_b16 v31, 8, v7
	;; [unrolled: 1-line block ×3, first 2 shown]
	s_wait_loadcnt 0xa
	v_lshrrev_b16 v38, 8, v14
	s_wait_loadcnt 0x9
	v_lshrrev_b16 v39, 8, v15
	;; [unrolled: 2-line block ×4, first 2 shown]
	v_mul_lo_u16 v6, v6, s12
	v_mul_lo_u16 v14, v14, s13
	;; [unrolled: 1-line block ×6, first 2 shown]
	v_mad_u16 v1, v9, v17, v1
	v_mul_lo_u16 v9, v25, s12
	v_mul_lo_u16 v17, v33, s13
	s_wait_loadcnt 0x6
	v_lshrrev_b16 v42, 8, v18
	v_mad_u16 v2, v10, v18, v2
	v_mul_lo_u16 v10, v26, s12
	v_mul_lo_u16 v18, v34, s13
	s_wait_loadcnt 0x5
	v_lshrrev_b16 v43, 8, v19
	;; [unrolled: 5-line block ×5, first 2 shown]
	s_wait_loadcnt 0x1
	v_lshrrev_b16 v47, 8, v23
	s_wait_loadcnt 0x0
	v_lshrrev_b16 v48, 8, v24
	v_mad_u16 v6, v14, v22, v6
	v_mul_lo_u16 v14, v30, s12
	v_mul_lo_u16 v22, v38, s13
	v_mad_u16 v7, v15, v23, v7
	v_mul_lo_u16 v15, v31, s12
	v_mul_lo_u16 v23, v39, s13
	v_mad_u16 v8, v16, v24, v8
	v_mul_lo_u16 v16, v32, s12
	v_mul_lo_u16 v24, v40, s13
	v_mad_u16 v9, v17, v41, v9
	v_mad_u16 v10, v18, v42, v10
	;; [unrolled: 1-line block ×8, first 2 shown]
	v_lshlrev_b16 v9, 8, v9
	v_lshlrev_b16 v10, 8, v10
	;; [unrolled: 1-line block ×8, first 2 shown]
	v_bitop3_b16 v1, v9, v1, 0xff bitop3:0xf8
	v_bitop3_b16 v2, v10, v2, 0xff bitop3:0xf8
	;; [unrolled: 1-line block ×8, first 2 shown]
	s_clause 0x7
	global_store_b16 v0, v1, s[14:15] scale_offset
	global_store_b16 v0, v2, s[14:15] offset:512 scale_offset
	global_store_b16 v0, v3, s[14:15] offset:1024 scale_offset
	;; [unrolled: 1-line block ×7, first 2 shown]
.LBB43_2:
	s_and_not1_b32 vcc_lo, exec_lo, s0
	s_cbranch_vccnz .LBB43_83
; %bb.3:
	v_cmp_gt_i32_e32 vcc_lo, s1, v0
	s_wait_xcnt 0x7
	v_dual_mov_b32 v56, 0 :: v_dual_bitop2_b32 v1, s2, v0 bitop3:0x54
	v_or_b32_e32 v10, 0x100, v0
	v_dual_mov_b32 v55, 0 :: v_dual_mov_b32 v54, 0
	v_dual_mov_b32 v53, 0 :: v_dual_mov_b32 v52, 0
	;; [unrolled: 1-line block ×18, first 2 shown]
	s_wait_xcnt 0x4
	v_dual_mov_b32 v20, 0 :: v_dual_mov_b32 v4, 0
	v_dual_mov_b32 v27, 0 :: v_dual_mov_b32 v25, 0
	;; [unrolled: 1-line block ×5, first 2 shown]
	v_mov_b32_e32 v37, 0
	s_wait_xcnt 0x0
	s_and_saveexec_b32 s3, vcc_lo
	s_cbranch_execz .LBB43_35
; %bb.4:
	s_clause 0x2
	global_load_u8 v34, v1, s[6:7]
	global_load_u8 v36, v1, s[8:9]
	;; [unrolled: 1-line block ×3, first 2 shown]
	v_or_b32_e32 v2, 0x100, v0
	v_dual_mov_b32 v29, 0 :: v_dual_mov_b32 v32, 0
	v_dual_mov_b32 v31, 0 :: v_dual_mov_b32 v3, 0
	s_delay_alu instid0(VALU_DEP_3)
	v_cmp_gt_u32_e64 s0, s1, v2
	v_dual_mov_b32 v25, 0 :: v_dual_mov_b32 v27, 0
	v_dual_mov_b32 v4, 0 :: v_dual_mov_b32 v20, 0
	;; [unrolled: 1-line block ×20, first 2 shown]
	v_mov_b32_e32 v56, 0
	s_wait_xcnt 0x0
	s_and_saveexec_b32 s13, s0
	s_cbranch_execz .LBB43_34
; %bb.5:
	v_dual_mov_b32 v3, 0 :: v_dual_add_nc_u32 v2, s2, v0
	v_or_b32_e32 v4, 0x200, v0
	v_dual_mov_b32 v25, 0 :: v_dual_mov_b32 v27, 0
	s_clause 0x2
	global_load_u8 v31, v2, s[6:7] offset:256
	global_load_u8 v32, v2, s[8:9] offset:256
	;; [unrolled: 1-line block ×3, first 2 shown]
	v_mov_b32_e32 v20, 0
	v_cmp_gt_u32_e64 s0, s1, v4
	v_dual_mov_b32 v4, 0 :: v_dual_mov_b32 v21, 0
	v_dual_mov_b32 v13, 0 :: v_dual_mov_b32 v16, 0
	;; [unrolled: 1-line block ×19, first 2 shown]
	s_wait_xcnt 0x0
	s_and_saveexec_b32 s14, s0
	s_cbranch_execz .LBB43_33
; %bb.6:
	v_add_nc_u64_e32 v[4:5], s[6:7], v[2:3]
	v_add_nc_u64_e32 v[6:7], s[8:9], v[2:3]
	;; [unrolled: 1-line block ×3, first 2 shown]
	v_or_b32_e32 v11, 0x300, v0
	v_dual_mov_b32 v20, 0 :: v_dual_mov_b32 v21, 0
	v_dual_mov_b32 v13, 0 :: v_dual_mov_b32 v16, 0
	global_load_u8 v27, v[4:5], off offset:512
	global_load_u8 v25, v[6:7], off offset:512
	;; [unrolled: 1-line block ×3, first 2 shown]
	v_cmp_gt_u32_e64 s0, s1, v11
	v_dual_mov_b32 v18, 0 :: v_dual_mov_b32 v11, 0
	v_dual_mov_b32 v14, 0 :: v_dual_mov_b32 v19, 0
	;; [unrolled: 1-line block ×17, first 2 shown]
	s_wait_xcnt 0x0
	s_and_saveexec_b32 s6, s0
	s_cbranch_execz .LBB43_32
; %bb.7:
	global_load_u8 v21, v[4:5], off offset:768
	global_load_u8 v20, v[6:7], off offset:768
	;; [unrolled: 1-line block ×3, first 2 shown]
	v_or_b32_e32 v11, 0x400, v0
	v_dual_mov_b32 v13, 0 :: v_dual_mov_b32 v16, 0
	v_dual_mov_b32 v18, 0 :: v_dual_mov_b32 v14, 0
	v_mov_b32_e32 v19, 0
	s_delay_alu instid0(VALU_DEP_4)
	v_cmp_gt_u32_e64 s0, s1, v11
	v_dual_mov_b32 v11, 0 :: v_dual_mov_b32 v12, 0
	v_dual_mov_b32 v17, 0 :: v_dual_mov_b32 v22, 0
	;; [unrolled: 1-line block ×15, first 2 shown]
	v_mov_b32_e32 v56, 0
	s_wait_xcnt 0x0
	s_and_saveexec_b32 s7, s0
	s_cbranch_execz .LBB43_31
; %bb.8:
	global_load_u8 v18, v[4:5], off offset:1024
	global_load_u8 v16, v[6:7], off offset:1024
	;; [unrolled: 1-line block ×3, first 2 shown]
	v_or_b32_e32 v11, 0x500, v0
	v_dual_mov_b32 v19, 0 :: v_dual_mov_b32 v12, 0
	v_dual_mov_b32 v17, 0 :: v_dual_mov_b32 v22, 0
	s_delay_alu instid0(VALU_DEP_3)
	v_cmp_gt_u32_e64 s0, s1, v11
	v_dual_mov_b32 v11, 0 :: v_dual_mov_b32 v14, 0
	v_dual_mov_b32 v15, 0 :: v_dual_mov_b32 v23, 0
	;; [unrolled: 1-line block ×14, first 2 shown]
	v_mov_b32_e32 v56, 0
	s_wait_xcnt 0x0
	s_and_saveexec_b32 s8, s0
	s_cbranch_execz .LBB43_30
; %bb.9:
	global_load_u8 v19, v[4:5], off offset:1280
	global_load_u8 v14, v[6:7], off offset:1280
	;; [unrolled: 1-line block ×3, first 2 shown]
	v_or_b32_e32 v12, 0x600, v0
	v_dual_mov_b32 v22, 0 :: v_dual_mov_b32 v15, 0
	v_dual_mov_b32 v23, 0 :: v_dual_mov_b32 v26, 0
	s_delay_alu instid0(VALU_DEP_3)
	v_cmp_gt_u32_e64 s0, s1, v12
	v_dual_mov_b32 v12, 0 :: v_dual_mov_b32 v17, 0
	v_dual_mov_b32 v24, 0 :: v_dual_mov_b32 v28, 0
	;; [unrolled: 1-line block ×13, first 2 shown]
	s_wait_xcnt 0x0
	s_and_saveexec_b32 s9, s0
	s_cbranch_execz .LBB43_29
; %bb.10:
	global_load_u8 v22, v[4:5], off offset:1536
	global_load_u8 v17, v[6:7], off offset:1536
	;; [unrolled: 1-line block ×3, first 2 shown]
	v_or_b32_e32 v15, 0x700, v0
	v_dual_mov_b32 v26, 0 :: v_dual_mov_b32 v24, 0
	v_dual_mov_b32 v28, 0 :: v_dual_mov_b32 v33, 0
	s_delay_alu instid0(VALU_DEP_3)
	v_cmp_gt_u32_e64 s0, s1, v15
	v_dual_mov_b32 v15, 0 :: v_dual_mov_b32 v23, 0
	v_dual_mov_b32 v30, 0 :: v_dual_mov_b32 v35, 0
	;; [unrolled: 1-line block ×11, first 2 shown]
	v_mov_b32_e32 v56, 0
	s_wait_xcnt 0x0
	s_and_saveexec_b32 s10, s0
	s_cbranch_execz .LBB43_28
; %bb.11:
	global_load_u8 v26, v[4:5], off offset:1792
	global_load_u8 v23, v[6:7], off offset:1792
	global_load_u8 v15, v[8:9], off offset:1792
	v_or_b32_e32 v24, 0x800, v0
	v_dual_mov_b32 v33, 0 :: v_dual_mov_b32 v30, 0
	v_dual_mov_b32 v35, 0 :: v_dual_mov_b32 v39, 0
	s_delay_alu instid0(VALU_DEP_3)
	v_cmp_gt_u32_e64 s0, s1, v24
	v_dual_mov_b32 v24, 0 :: v_dual_mov_b32 v28, 0
	v_dual_mov_b32 v38, 0 :: v_dual_mov_b32 v40, 0
	;; [unrolled: 1-line block ×10, first 2 shown]
	s_wait_xcnt 0x0
	s_and_saveexec_b32 s11, s0
	s_cbranch_execz .LBB43_27
; %bb.12:
	global_load_u8 v33, v[4:5], off offset:2048
	global_load_u8 v28, v[6:7], off offset:2048
	;; [unrolled: 1-line block ×3, first 2 shown]
	v_or_b32_e32 v30, 0x900, v0
	v_dual_mov_b32 v39, 0 :: v_dual_mov_b32 v38, 0
	v_dual_mov_b32 v40, 0 :: v_dual_mov_b32 v42, 0
	s_delay_alu instid0(VALU_DEP_3)
	v_cmp_gt_u32_e64 s0, s1, v30
	v_dual_mov_b32 v30, 0 :: v_dual_mov_b32 v35, 0
	v_dual_mov_b32 v41, 0 :: v_dual_mov_b32 v43, 0
	;; [unrolled: 1-line block ×8, first 2 shown]
	v_mov_b32_e32 v56, 0
	s_wait_xcnt 0x0
	s_and_saveexec_b32 s15, s0
	s_cbranch_execz .LBB43_26
; %bb.13:
	global_load_u8 v39, v[4:5], off offset:2304
	global_load_u8 v35, v[6:7], off offset:2304
	global_load_u8 v30, v[8:9], off offset:2304
	v_or_b32_e32 v38, 0xa00, v0
	v_dual_mov_b32 v42, 0 :: v_dual_mov_b32 v41, 0
	v_dual_mov_b32 v43, 0 :: v_dual_mov_b32 v45, 0
	s_delay_alu instid0(VALU_DEP_3)
	v_cmp_gt_u32_e64 s0, s1, v38
	v_dual_mov_b32 v38, 0 :: v_dual_mov_b32 v40, 0
	v_dual_mov_b32 v44, 0 :: v_dual_mov_b32 v46, 0
	;; [unrolled: 1-line block ×7, first 2 shown]
	s_wait_xcnt 0x0
	s_and_saveexec_b32 s16, s0
	s_cbranch_execz .LBB43_25
; %bb.14:
	global_load_u8 v42, v[4:5], off offset:2560
	global_load_u8 v40, v[6:7], off offset:2560
	;; [unrolled: 1-line block ×3, first 2 shown]
	v_or_b32_e32 v41, 0xb00, v0
	v_dual_mov_b32 v45, 0 :: v_dual_mov_b32 v44, 0
	v_dual_mov_b32 v46, 0 :: v_dual_mov_b32 v48, 0
	s_delay_alu instid0(VALU_DEP_3)
	v_cmp_gt_u32_e64 s0, s1, v41
	v_dual_mov_b32 v41, 0 :: v_dual_mov_b32 v43, 0
	v_dual_mov_b32 v47, 0 :: v_dual_mov_b32 v49, 0
	;; [unrolled: 1-line block ×5, first 2 shown]
	v_mov_b32_e32 v56, 0
	s_wait_xcnt 0x0
	s_and_saveexec_b32 s17, s0
	s_cbranch_execz .LBB43_24
; %bb.15:
	global_load_u8 v45, v[4:5], off offset:2816
	global_load_u8 v43, v[6:7], off offset:2816
	;; [unrolled: 1-line block ×3, first 2 shown]
	v_or_b32_e32 v44, 0xc00, v0
	v_dual_mov_b32 v48, 0 :: v_dual_mov_b32 v47, 0
	v_dual_mov_b32 v49, 0 :: v_dual_mov_b32 v50, 0
	s_delay_alu instid0(VALU_DEP_3)
	v_cmp_gt_u32_e64 s0, s1, v44
	v_dual_mov_b32 v44, 0 :: v_dual_mov_b32 v46, 0
	v_dual_mov_b32 v51, 0 :: v_dual_mov_b32 v52, 0
	;; [unrolled: 1-line block ×4, first 2 shown]
	s_wait_xcnt 0x0
	s_and_saveexec_b32 s18, s0
	s_cbranch_execz .LBB43_23
; %bb.16:
	global_load_u8 v48, v[4:5], off offset:3072
	global_load_u8 v46, v[6:7], off offset:3072
	;; [unrolled: 1-line block ×3, first 2 shown]
	v_or_b32_e32 v47, 0xd00, v0
	v_dual_mov_b32 v50, 0 :: v_dual_mov_b32 v51, 0
	v_dual_mov_b32 v52, 0 :: v_dual_mov_b32 v53, 0
	s_delay_alu instid0(VALU_DEP_3)
	v_cmp_gt_u32_e64 s0, s1, v47
	v_dual_mov_b32 v47, 0 :: v_dual_mov_b32 v49, 0
	v_dual_mov_b32 v54, 0 :: v_dual_mov_b32 v55, 0
	v_mov_b32_e32 v56, 0
	s_wait_xcnt 0x0
	s_and_saveexec_b32 s19, s0
	s_cbranch_execz .LBB43_22
; %bb.17:
	global_load_u8 v50, v[4:5], off offset:3328
	global_load_u8 v49, v[6:7], off offset:3328
	;; [unrolled: 1-line block ×3, first 2 shown]
	v_or_b32_e32 v51, 0xe00, v0
	v_dual_mov_b32 v53, 0 :: v_dual_mov_b32 v54, 0
	v_dual_mov_b32 v55, 0 :: v_dual_mov_b32 v56, 0
	s_delay_alu instid0(VALU_DEP_3)
	v_cmp_gt_u32_e64 s0, s1, v51
	v_dual_mov_b32 v51, 0 :: v_dual_mov_b32 v52, 0
	s_wait_xcnt 0x0
	s_and_saveexec_b32 s20, s0
	s_cbranch_execz .LBB43_21
; %bb.18:
	global_load_u8 v53, v[4:5], off offset:3584
	global_load_u8 v52, v[6:7], off offset:3584
	;; [unrolled: 1-line block ×3, first 2 shown]
	v_or_b32_e32 v54, 0xf00, v0
	v_dual_mov_b32 v56, 0 :: v_dual_mov_b32 v55, 0
	s_delay_alu instid0(VALU_DEP_2)
	v_cmp_gt_u32_e64 s0, s1, v54
	v_mov_b32_e32 v54, 0
	s_wait_xcnt 0x0
	s_and_saveexec_b32 s21, s0
	s_cbranch_execz .LBB43_20
; %bb.19:
	global_load_u8 v56, v[4:5], off offset:3840
	global_load_u8 v55, v[6:7], off offset:3840
	;; [unrolled: 1-line block ×3, first 2 shown]
.LBB43_20:
	s_wait_xcnt 0x0
	s_or_b32 exec_lo, exec_lo, s21
.LBB43_21:
	s_delay_alu instid0(SALU_CYCLE_1)
	s_or_b32 exec_lo, exec_lo, s20
.LBB43_22:
	s_delay_alu instid0(SALU_CYCLE_1)
	s_or_b32 exec_lo, exec_lo, s19
.LBB43_23:
	s_delay_alu instid0(SALU_CYCLE_1)
	s_or_b32 exec_lo, exec_lo, s18
.LBB43_24:
	s_delay_alu instid0(SALU_CYCLE_1)
	s_or_b32 exec_lo, exec_lo, s17
.LBB43_25:
	s_delay_alu instid0(SALU_CYCLE_1)
	s_or_b32 exec_lo, exec_lo, s16
.LBB43_26:
	s_delay_alu instid0(SALU_CYCLE_1)
	s_or_b32 exec_lo, exec_lo, s15
.LBB43_27:
	s_delay_alu instid0(SALU_CYCLE_1)
	s_or_b32 exec_lo, exec_lo, s11
.LBB43_28:
	s_delay_alu instid0(SALU_CYCLE_1)
	s_or_b32 exec_lo, exec_lo, s10
.LBB43_29:
	s_delay_alu instid0(SALU_CYCLE_1)
	s_or_b32 exec_lo, exec_lo, s9
.LBB43_30:
	s_delay_alu instid0(SALU_CYCLE_1)
	s_or_b32 exec_lo, exec_lo, s8
.LBB43_31:
	s_delay_alu instid0(SALU_CYCLE_1)
	s_or_b32 exec_lo, exec_lo, s7
.LBB43_32:
	s_delay_alu instid0(SALU_CYCLE_1)
	s_or_b32 exec_lo, exec_lo, s6
	s_wait_loadcnt 0x0
	v_dual_mov_b32 v4, v3 :: v_dual_mov_b32 v3, v2
.LBB43_33:
	s_or_b32 exec_lo, exec_lo, s14
.LBB43_34:
	s_delay_alu instid0(SALU_CYCLE_1) | instskip(NEXT) | instid1(SALU_CYCLE_1)
	s_or_b32 exec_lo, exec_lo, s13
	s_or_b32 exec_lo, exec_lo, s3
                                        ; implicit-def: $vgpr2
	s_and_saveexec_b32 s0, vcc_lo
	s_cbranch_execz .LBB43_37
	s_branch .LBB43_36
.LBB43_35:
	s_or_b32 exec_lo, exec_lo, s3
                                        ; implicit-def: $vgpr2
	s_and_saveexec_b32 s0, vcc_lo
	s_cbranch_execz .LBB43_37
.LBB43_36:
	s_and_b32 s3, 0xffff, s12
	s_wait_loadcnt 0x2
	v_mul_lo_u16 v2, v34, s12
	s_lshr_b32 s3, s3, 8
	s_wait_loadcnt 0x1
	v_mul_lo_u16 v5, v36, s3
	s_wait_loadcnt 0x0
	s_delay_alu instid0(VALU_DEP_1)
	v_mad_u16 v2, v5, v37, v2
.LBB43_37:
	s_or_b32 exec_lo, exec_lo, s0
	s_delay_alu instid0(SALU_CYCLE_1)
	s_mov_b32 s3, exec_lo
                                        ; implicit-def: $vgpr5
	v_cmpx_gt_i32_e64 s1, v10
	s_cbranch_execz .LBB43_39
; %bb.38:
	s_and_b32 s0, 0xffff, s12
	s_wait_loadcnt 0x2
	v_mul_lo_u16 v5, v31, s12
	s_lshr_b32 s0, s0, 8
	s_wait_loadcnt 0x1
	v_mul_lo_u16 v6, v32, s0
	s_wait_loadcnt 0x0
	s_delay_alu instid0(VALU_DEP_1)
	v_mad_u16 v5, v6, v29, v5
.LBB43_39:
	s_or_b32 exec_lo, exec_lo, s3
	v_or_b32_e32 v6, 0x200, v0
	s_delay_alu instid0(VALU_DEP_1)
	v_cmp_gt_i32_e64 s0, s1, v6
                                        ; implicit-def: $vgpr6
	s_and_saveexec_b32 s3, s0
; %bb.40:
	s_and_b32 s0, 0xffff, s12
	v_mul_lo_u16 v6, v27, s12
	s_lshr_b32 s0, s0, 8
	s_delay_alu instid0(SALU_CYCLE_1) | instskip(NEXT) | instid1(VALU_DEP_1)
	v_mul_lo_u16 v7, v25, s0
	v_mad_u16 v6, v7, v3, v6
; %bb.41:
	s_or_b32 exec_lo, exec_lo, s3
	v_or_b32_e32 v3, 0x300, v0
	s_delay_alu instid0(VALU_DEP_1)
	v_cmp_gt_i32_e64 s0, s1, v3
                                        ; implicit-def: $vgpr3
	s_and_saveexec_b32 s3, s0
; %bb.42:
	s_and_b32 s0, 0xffff, s12
	v_mul_lo_u16 v3, v21, s12
	s_lshr_b32 s0, s0, 8
	s_delay_alu instid0(SALU_CYCLE_1) | instskip(NEXT) | instid1(VALU_DEP_1)
	v_mul_lo_u16 v7, v20, s0
	v_mad_u16 v3, v7, v4, v3
; %bb.43:
	s_or_b32 exec_lo, exec_lo, s3
	v_or_b32_e32 v4, 0x400, v0
	s_delay_alu instid0(VALU_DEP_1)
	v_cmp_gt_i32_e64 s0, s1, v4
                                        ; implicit-def: $vgpr4
	s_and_saveexec_b32 s3, s0
; %bb.44:
	s_and_b32 s0, 0xffff, s12
	v_mul_lo_u16 v4, v18, s12
	s_lshr_b32 s0, s0, 8
	s_delay_alu instid0(SALU_CYCLE_1) | instskip(NEXT) | instid1(VALU_DEP_1)
	v_mul_lo_u16 v7, v16, s0
	v_mad_u16 v4, v7, v13, v4
; %bb.45:
	s_or_b32 exec_lo, exec_lo, s3
	v_or_b32_e32 v7, 0x500, v0
	s_delay_alu instid0(VALU_DEP_1)
	v_cmp_gt_i32_e64 s0, s1, v7
                                        ; implicit-def: $vgpr7
	s_and_saveexec_b32 s3, s0
; %bb.46:
	s_and_b32 s0, 0xffff, s12
	v_mul_lo_u16 v7, v19, s12
	s_lshr_b32 s0, s0, 8
	s_delay_alu instid0(SALU_CYCLE_1) | instskip(NEXT) | instid1(VALU_DEP_1)
	v_mul_lo_u16 v8, v14, s0
	v_mad_u16 v7, v8, v11, v7
; %bb.47:
	s_or_b32 exec_lo, exec_lo, s3
	v_or_b32_e32 v8, 0x600, v0
	s_delay_alu instid0(VALU_DEP_1)
	v_cmp_gt_i32_e64 s0, s1, v8
                                        ; implicit-def: $vgpr8
	s_and_saveexec_b32 s3, s0
; %bb.48:
	s_and_b32 s0, 0xffff, s12
	v_mul_lo_u16 v8, v22, s12
	s_lshr_b32 s0, s0, 8
	s_delay_alu instid0(SALU_CYCLE_1) | instskip(NEXT) | instid1(VALU_DEP_1)
	v_mul_lo_u16 v9, v17, s0
	v_mad_u16 v8, v9, v12, v8
; %bb.49:
	s_or_b32 exec_lo, exec_lo, s3
	v_or_b32_e32 v9, 0x700, v0
	s_delay_alu instid0(VALU_DEP_1)
	v_cmp_gt_i32_e64 s0, s1, v9
                                        ; implicit-def: $vgpr9
	s_and_saveexec_b32 s3, s0
; %bb.50:
	s_and_b32 s0, 0xffff, s12
	v_mul_lo_u16 v9, v26, s12
	s_lshr_b32 s0, s0, 8
	s_delay_alu instid0(SALU_CYCLE_1) | instskip(NEXT) | instid1(VALU_DEP_1)
	v_mul_lo_u16 v11, v23, s0
	v_mad_u16 v9, v11, v15, v9
; %bb.51:
	s_or_b32 exec_lo, exec_lo, s3
	v_or_b32_e32 v11, 0x800, v0
	s_delay_alu instid0(VALU_DEP_1)
	v_cmp_gt_i32_e64 s0, s1, v11
                                        ; implicit-def: $vgpr11
	s_and_saveexec_b32 s3, s0
; %bb.52:
	s_and_b32 s0, 0xffff, s12
	v_mul_lo_u16 v11, v33, s12
	s_lshr_b32 s0, s0, 8
	s_delay_alu instid0(SALU_CYCLE_1) | instskip(NEXT) | instid1(VALU_DEP_1)
	v_mul_lo_u16 v12, v28, s0
	v_mad_u16 v11, v12, v24, v11
; %bb.53:
	s_or_b32 exec_lo, exec_lo, s3
	v_or_b32_e32 v12, 0x900, v0
	s_delay_alu instid0(VALU_DEP_1)
	v_cmp_gt_i32_e64 s0, s1, v12
                                        ; implicit-def: $vgpr12
	s_and_saveexec_b32 s3, s0
; %bb.54:
	s_and_b32 s0, 0xffff, s12
	v_mul_lo_u16 v12, v39, s12
	s_lshr_b32 s0, s0, 8
	s_delay_alu instid0(SALU_CYCLE_1) | instskip(NEXT) | instid1(VALU_DEP_1)
	v_mul_lo_u16 v13, v35, s0
	v_mad_u16 v12, v13, v30, v12
; %bb.55:
	s_or_b32 exec_lo, exec_lo, s3
	v_or_b32_e32 v13, 0xa00, v0
	s_delay_alu instid0(VALU_DEP_1)
	v_cmp_gt_i32_e64 s0, s1, v13
                                        ; implicit-def: $vgpr13
	s_and_saveexec_b32 s3, s0
; %bb.56:
	s_and_b32 s0, 0xffff, s12
	v_mul_lo_u16 v13, v42, s12
	s_lshr_b32 s0, s0, 8
	s_delay_alu instid0(SALU_CYCLE_1) | instskip(NEXT) | instid1(VALU_DEP_1)
	v_mul_lo_u16 v14, v40, s0
	v_mad_u16 v13, v14, v38, v13
; %bb.57:
	s_or_b32 exec_lo, exec_lo, s3
	v_or_b32_e32 v14, 0xb00, v0
	s_delay_alu instid0(VALU_DEP_1)
	v_cmp_gt_i32_e64 s0, s1, v14
                                        ; implicit-def: $vgpr14
	s_and_saveexec_b32 s3, s0
; %bb.58:
	s_and_b32 s0, 0xffff, s12
	v_mul_lo_u16 v14, v45, s12
	s_lshr_b32 s0, s0, 8
	s_delay_alu instid0(SALU_CYCLE_1) | instskip(NEXT) | instid1(VALU_DEP_1)
	v_mul_lo_u16 v15, v43, s0
	v_mad_u16 v14, v15, v41, v14
; %bb.59:
	s_or_b32 exec_lo, exec_lo, s3
	v_or_b32_e32 v15, 0xc00, v0
	s_delay_alu instid0(VALU_DEP_1)
	v_cmp_gt_i32_e64 s0, s1, v15
                                        ; implicit-def: $vgpr15
	s_and_saveexec_b32 s3, s0
; %bb.60:
	s_and_b32 s0, 0xffff, s12
	v_mul_lo_u16 v15, v48, s12
	s_lshr_b32 s0, s0, 8
	s_delay_alu instid0(SALU_CYCLE_1) | instskip(NEXT) | instid1(VALU_DEP_1)
	v_mul_lo_u16 v16, v46, s0
	v_mad_u16 v15, v16, v44, v15
; %bb.61:
	s_or_b32 exec_lo, exec_lo, s3
	v_or_b32_e32 v16, 0xd00, v0
	s_delay_alu instid0(VALU_DEP_1)
	v_cmp_gt_i32_e64 s0, s1, v16
                                        ; implicit-def: $vgpr16
	s_and_saveexec_b32 s3, s0
; %bb.62:
	s_and_b32 s0, 0xffff, s12
	v_mul_lo_u16 v16, v50, s12
	s_lshr_b32 s0, s0, 8
	s_delay_alu instid0(SALU_CYCLE_1) | instskip(NEXT) | instid1(VALU_DEP_1)
	v_mul_lo_u16 v17, v49, s0
	v_mad_u16 v16, v17, v47, v16
; %bb.63:
	s_or_b32 exec_lo, exec_lo, s3
	v_or_b32_e32 v17, 0xe00, v0
	s_delay_alu instid0(VALU_DEP_1)
	v_cmp_gt_i32_e64 s0, s1, v17
                                        ; implicit-def: $vgpr17
	s_and_saveexec_b32 s3, s0
; %bb.64:
	s_and_b32 s0, 0xffff, s12
	v_mul_lo_u16 v17, v53, s12
	s_lshr_b32 s0, s0, 8
	s_delay_alu instid0(SALU_CYCLE_1) | instskip(NEXT) | instid1(VALU_DEP_1)
	v_mul_lo_u16 v18, v52, s0
	v_mad_u16 v17, v18, v51, v17
; %bb.65:
	s_or_b32 exec_lo, exec_lo, s3
	v_or_b32_e32 v18, 0xf00, v0
	s_delay_alu instid0(VALU_DEP_1)
	v_cmp_gt_i32_e64 s0, s1, v18
                                        ; implicit-def: $vgpr18
	s_and_saveexec_b32 s3, s0
	s_cbranch_execz .LBB43_84
; %bb.66:
	s_and_b32 s0, 0xffff, s12
	v_mul_lo_u16 v18, v56, s12
	s_lshr_b32 s0, s0, 8
	s_delay_alu instid0(SALU_CYCLE_1) | instskip(NEXT) | instid1(VALU_DEP_1)
	v_mul_lo_u16 v19, v55, s0
	v_mad_u16 v18, v19, v54, v18
	s_or_b32 exec_lo, exec_lo, s3
	s_and_saveexec_b32 s0, vcc_lo
	s_delay_alu instid0(SALU_CYCLE_1)
	s_xor_b32 s0, exec_lo, s0
	s_cbranch_execnz .LBB43_85
.LBB43_67:
	s_or_b32 exec_lo, exec_lo, s0
	s_delay_alu instid0(SALU_CYCLE_1)
	s_mov_b32 s0, exec_lo
	v_cmpx_gt_i32_e64 s1, v0
	s_cbranch_execz .LBB43_86
.LBB43_68:
	v_add_nc_u32_e32 v1, s2, v0
	v_add_nc_u32_e32 v0, 0x100, v0
	global_store_b8 v1, v5, s[4:5]
	s_wait_xcnt 0x0
	s_or_b32 exec_lo, exec_lo, s0
	s_delay_alu instid0(SALU_CYCLE_1)
	s_mov_b32 s0, exec_lo
	v_cmpx_gt_i32_e64 s1, v0
	s_cbranch_execnz .LBB43_87
.LBB43_69:
	s_or_b32 exec_lo, exec_lo, s0
	s_delay_alu instid0(SALU_CYCLE_1)
	s_mov_b32 s0, exec_lo
	v_cmpx_gt_i32_e64 s1, v0
	s_cbranch_execz .LBB43_88
.LBB43_70:
	v_add_nc_u32_e32 v1, s2, v0
	v_add_nc_u32_e32 v0, 0x100, v0
	global_store_b8 v1, v3, s[4:5]
	s_wait_xcnt 0x0
	s_or_b32 exec_lo, exec_lo, s0
	s_delay_alu instid0(SALU_CYCLE_1)
	s_mov_b32 s0, exec_lo
	v_cmpx_gt_i32_e64 s1, v0
	s_cbranch_execnz .LBB43_89
.LBB43_71:
	s_or_b32 exec_lo, exec_lo, s0
	s_delay_alu instid0(SALU_CYCLE_1)
	s_mov_b32 s0, exec_lo
	v_cmpx_gt_i32_e64 s1, v0
	s_cbranch_execz .LBB43_90
.LBB43_72:
	v_add_nc_u32_e32 v1, s2, v0
	v_add_nc_u32_e32 v0, 0x100, v0
	global_store_b8 v1, v7, s[4:5]
	s_wait_xcnt 0x0
	s_or_b32 exec_lo, exec_lo, s0
	s_delay_alu instid0(SALU_CYCLE_1)
	s_mov_b32 s0, exec_lo
	v_cmpx_gt_i32_e64 s1, v0
	s_cbranch_execnz .LBB43_91
.LBB43_73:
	s_or_b32 exec_lo, exec_lo, s0
	s_delay_alu instid0(SALU_CYCLE_1)
	s_mov_b32 s0, exec_lo
	v_cmpx_gt_i32_e64 s1, v0
	s_cbranch_execz .LBB43_92
.LBB43_74:
	v_add_nc_u32_e32 v1, s2, v0
	v_add_nc_u32_e32 v0, 0x100, v0
	global_store_b8 v1, v9, s[4:5]
	s_wait_xcnt 0x0
	s_or_b32 exec_lo, exec_lo, s0
	s_delay_alu instid0(SALU_CYCLE_1)
	s_mov_b32 s0, exec_lo
	v_cmpx_gt_i32_e64 s1, v0
	s_cbranch_execnz .LBB43_93
.LBB43_75:
	s_or_b32 exec_lo, exec_lo, s0
	s_delay_alu instid0(SALU_CYCLE_1)
	s_mov_b32 s0, exec_lo
	v_cmpx_gt_i32_e64 s1, v0
	s_cbranch_execz .LBB43_94
.LBB43_76:
	v_add_nc_u32_e32 v1, s2, v0
	v_add_nc_u32_e32 v0, 0x100, v0
	global_store_b8 v1, v12, s[4:5]
	s_wait_xcnt 0x0
	s_or_b32 exec_lo, exec_lo, s0
	s_delay_alu instid0(SALU_CYCLE_1)
	s_mov_b32 s0, exec_lo
	v_cmpx_gt_i32_e64 s1, v0
	s_cbranch_execnz .LBB43_95
.LBB43_77:
	s_or_b32 exec_lo, exec_lo, s0
	s_delay_alu instid0(SALU_CYCLE_1)
	s_mov_b32 s0, exec_lo
	v_cmpx_gt_i32_e64 s1, v0
	s_cbranch_execz .LBB43_96
.LBB43_78:
	v_add_nc_u32_e32 v1, s2, v0
	v_add_nc_u32_e32 v0, 0x100, v0
	global_store_b8 v1, v14, s[4:5]
	s_wait_xcnt 0x0
	s_or_b32 exec_lo, exec_lo, s0
	s_delay_alu instid0(SALU_CYCLE_1)
	s_mov_b32 s0, exec_lo
	v_cmpx_gt_i32_e64 s1, v0
	s_cbranch_execnz .LBB43_97
.LBB43_79:
	s_or_b32 exec_lo, exec_lo, s0
	s_delay_alu instid0(SALU_CYCLE_1)
	s_mov_b32 s0, exec_lo
	v_cmpx_gt_i32_e64 s1, v0
	s_cbranch_execz .LBB43_98
.LBB43_80:
	v_add_nc_u32_e32 v1, s2, v0
	v_add_nc_u32_e32 v0, 0x100, v0
	global_store_b8 v1, v16, s[4:5]
	s_wait_xcnt 0x0
	s_or_b32 exec_lo, exec_lo, s0
	s_delay_alu instid0(SALU_CYCLE_1)
	s_mov_b32 s0, exec_lo
	v_cmpx_gt_i32_e64 s1, v0
	s_cbranch_execnz .LBB43_99
.LBB43_81:
	s_or_b32 exec_lo, exec_lo, s0
	s_delay_alu instid0(SALU_CYCLE_1)
	s_mov_b32 s0, exec_lo
	v_cmpx_gt_i32_e64 s1, v0
	s_cbranch_execz .LBB43_83
.LBB43_82:
	v_add_nc_u32_e32 v0, s2, v0
	global_store_b8 v0, v18, s[4:5]
.LBB43_83:
	s_endpgm
.LBB43_84:
	s_or_b32 exec_lo, exec_lo, s3
	s_and_saveexec_b32 s0, vcc_lo
	s_delay_alu instid0(SALU_CYCLE_1)
	s_xor_b32 s0, exec_lo, s0
	s_cbranch_execz .LBB43_67
.LBB43_85:
	v_mov_b32_e32 v0, v10
	global_store_b8 v1, v2, s[4:5]
	s_wait_xcnt 0x0
	s_or_b32 exec_lo, exec_lo, s0
	s_delay_alu instid0(SALU_CYCLE_1)
	s_mov_b32 s0, exec_lo
	v_cmpx_gt_i32_e64 s1, v0
	s_cbranch_execnz .LBB43_68
.LBB43_86:
	s_or_b32 exec_lo, exec_lo, s0
	s_delay_alu instid0(SALU_CYCLE_1)
	s_mov_b32 s0, exec_lo
	v_cmpx_gt_i32_e64 s1, v0
	s_cbranch_execz .LBB43_69
.LBB43_87:
	v_add_nc_u32_e32 v1, s2, v0
	v_add_nc_u32_e32 v0, 0x100, v0
	global_store_b8 v1, v6, s[4:5]
	s_wait_xcnt 0x0
	s_or_b32 exec_lo, exec_lo, s0
	s_delay_alu instid0(SALU_CYCLE_1)
	s_mov_b32 s0, exec_lo
	v_cmpx_gt_i32_e64 s1, v0
	s_cbranch_execnz .LBB43_70
.LBB43_88:
	s_or_b32 exec_lo, exec_lo, s0
	s_delay_alu instid0(SALU_CYCLE_1)
	s_mov_b32 s0, exec_lo
	v_cmpx_gt_i32_e64 s1, v0
	s_cbranch_execz .LBB43_71
.LBB43_89:
	v_add_nc_u32_e32 v1, s2, v0
	v_add_nc_u32_e32 v0, 0x100, v0
	global_store_b8 v1, v4, s[4:5]
	s_wait_xcnt 0x0
	s_or_b32 exec_lo, exec_lo, s0
	s_delay_alu instid0(SALU_CYCLE_1)
	s_mov_b32 s0, exec_lo
	v_cmpx_gt_i32_e64 s1, v0
	s_cbranch_execnz .LBB43_72
.LBB43_90:
	s_or_b32 exec_lo, exec_lo, s0
	s_delay_alu instid0(SALU_CYCLE_1)
	s_mov_b32 s0, exec_lo
	v_cmpx_gt_i32_e64 s1, v0
	s_cbranch_execz .LBB43_73
.LBB43_91:
	v_add_nc_u32_e32 v1, s2, v0
	v_add_nc_u32_e32 v0, 0x100, v0
	global_store_b8 v1, v8, s[4:5]
	s_wait_xcnt 0x0
	s_or_b32 exec_lo, exec_lo, s0
	s_delay_alu instid0(SALU_CYCLE_1)
	s_mov_b32 s0, exec_lo
	v_cmpx_gt_i32_e64 s1, v0
	s_cbranch_execnz .LBB43_74
.LBB43_92:
	s_or_b32 exec_lo, exec_lo, s0
	s_delay_alu instid0(SALU_CYCLE_1)
	s_mov_b32 s0, exec_lo
	v_cmpx_gt_i32_e64 s1, v0
	s_cbranch_execz .LBB43_75
.LBB43_93:
	v_add_nc_u32_e32 v1, s2, v0
	v_add_nc_u32_e32 v0, 0x100, v0
	global_store_b8 v1, v11, s[4:5]
	s_wait_xcnt 0x0
	s_or_b32 exec_lo, exec_lo, s0
	s_delay_alu instid0(SALU_CYCLE_1)
	s_mov_b32 s0, exec_lo
	v_cmpx_gt_i32_e64 s1, v0
	s_cbranch_execnz .LBB43_76
.LBB43_94:
	s_or_b32 exec_lo, exec_lo, s0
	s_delay_alu instid0(SALU_CYCLE_1)
	s_mov_b32 s0, exec_lo
	v_cmpx_gt_i32_e64 s1, v0
	s_cbranch_execz .LBB43_77
.LBB43_95:
	v_add_nc_u32_e32 v1, s2, v0
	v_add_nc_u32_e32 v0, 0x100, v0
	global_store_b8 v1, v13, s[4:5]
	s_wait_xcnt 0x0
	s_or_b32 exec_lo, exec_lo, s0
	s_delay_alu instid0(SALU_CYCLE_1)
	s_mov_b32 s0, exec_lo
	v_cmpx_gt_i32_e64 s1, v0
	s_cbranch_execnz .LBB43_78
.LBB43_96:
	s_or_b32 exec_lo, exec_lo, s0
	s_delay_alu instid0(SALU_CYCLE_1)
	s_mov_b32 s0, exec_lo
	v_cmpx_gt_i32_e64 s1, v0
	s_cbranch_execz .LBB43_79
.LBB43_97:
	v_add_nc_u32_e32 v1, s2, v0
	v_add_nc_u32_e32 v0, 0x100, v0
	global_store_b8 v1, v15, s[4:5]
	s_wait_xcnt 0x0
	s_or_b32 exec_lo, exec_lo, s0
	s_delay_alu instid0(SALU_CYCLE_1)
	s_mov_b32 s0, exec_lo
	v_cmpx_gt_i32_e64 s1, v0
	s_cbranch_execnz .LBB43_80
.LBB43_98:
	s_or_b32 exec_lo, exec_lo, s0
	s_delay_alu instid0(SALU_CYCLE_1)
	s_mov_b32 s0, exec_lo
	v_cmpx_gt_i32_e64 s1, v0
	s_cbranch_execz .LBB43_81
.LBB43_99:
	v_add_nc_u32_e32 v1, s2, v0
	v_add_nc_u32_e32 v0, 0x100, v0
	global_store_b8 v1, v17, s[4:5]
	s_wait_xcnt 0x0
	s_or_b32 exec_lo, exec_lo, s0
	s_delay_alu instid0(SALU_CYCLE_1)
	s_mov_b32 s0, exec_lo
	v_cmpx_gt_i32_e64 s1, v0
	s_cbranch_execnz .LBB43_82
	s_branch .LBB43_83
	.section	.rodata,"a",@progbits
	.p2align	6, 0x0
	.amdhsa_kernel _ZN2at6native29vectorized_elementwise_kernelILi2EZZZNS0_12_GLOBAL__N_116addr_kernel_cudaERNS_14TensorIteratorERKN3c106ScalarES8_ENKUlvE_clEvENKUlvE0_clEvEUlaaaE0_St5arrayIPcLm4EEEEviT0_T1_
		.amdhsa_group_segment_fixed_size 0
		.amdhsa_private_segment_fixed_size 0
		.amdhsa_kernarg_size 40
		.amdhsa_user_sgpr_count 2
		.amdhsa_user_sgpr_dispatch_ptr 0
		.amdhsa_user_sgpr_queue_ptr 0
		.amdhsa_user_sgpr_kernarg_segment_ptr 1
		.amdhsa_user_sgpr_dispatch_id 0
		.amdhsa_user_sgpr_kernarg_preload_length 0
		.amdhsa_user_sgpr_kernarg_preload_offset 0
		.amdhsa_user_sgpr_private_segment_size 0
		.amdhsa_wavefront_size32 1
		.amdhsa_uses_dynamic_stack 0
		.amdhsa_enable_private_segment 0
		.amdhsa_system_sgpr_workgroup_id_x 1
		.amdhsa_system_sgpr_workgroup_id_y 0
		.amdhsa_system_sgpr_workgroup_id_z 0
		.amdhsa_system_sgpr_workgroup_info 0
		.amdhsa_system_vgpr_workitem_id 0
		.amdhsa_next_free_vgpr 57
		.amdhsa_next_free_sgpr 22
		.amdhsa_named_barrier_count 0
		.amdhsa_reserve_vcc 1
		.amdhsa_float_round_mode_32 0
		.amdhsa_float_round_mode_16_64 0
		.amdhsa_float_denorm_mode_32 3
		.amdhsa_float_denorm_mode_16_64 3
		.amdhsa_fp16_overflow 0
		.amdhsa_memory_ordered 1
		.amdhsa_forward_progress 1
		.amdhsa_inst_pref_size 54
		.amdhsa_round_robin_scheduling 0
		.amdhsa_exception_fp_ieee_invalid_op 0
		.amdhsa_exception_fp_denorm_src 0
		.amdhsa_exception_fp_ieee_div_zero 0
		.amdhsa_exception_fp_ieee_overflow 0
		.amdhsa_exception_fp_ieee_underflow 0
		.amdhsa_exception_fp_ieee_inexact 0
		.amdhsa_exception_int_div_zero 0
	.end_amdhsa_kernel
	.section	.text._ZN2at6native29vectorized_elementwise_kernelILi2EZZZNS0_12_GLOBAL__N_116addr_kernel_cudaERNS_14TensorIteratorERKN3c106ScalarES8_ENKUlvE_clEvENKUlvE0_clEvEUlaaaE0_St5arrayIPcLm4EEEEviT0_T1_,"axG",@progbits,_ZN2at6native29vectorized_elementwise_kernelILi2EZZZNS0_12_GLOBAL__N_116addr_kernel_cudaERNS_14TensorIteratorERKN3c106ScalarES8_ENKUlvE_clEvENKUlvE0_clEvEUlaaaE0_St5arrayIPcLm4EEEEviT0_T1_,comdat
.Lfunc_end43:
	.size	_ZN2at6native29vectorized_elementwise_kernelILi2EZZZNS0_12_GLOBAL__N_116addr_kernel_cudaERNS_14TensorIteratorERKN3c106ScalarES8_ENKUlvE_clEvENKUlvE0_clEvEUlaaaE0_St5arrayIPcLm4EEEEviT0_T1_, .Lfunc_end43-_ZN2at6native29vectorized_elementwise_kernelILi2EZZZNS0_12_GLOBAL__N_116addr_kernel_cudaERNS_14TensorIteratorERKN3c106ScalarES8_ENKUlvE_clEvENKUlvE0_clEvEUlaaaE0_St5arrayIPcLm4EEEEviT0_T1_
                                        ; -- End function
	.set _ZN2at6native29vectorized_elementwise_kernelILi2EZZZNS0_12_GLOBAL__N_116addr_kernel_cudaERNS_14TensorIteratorERKN3c106ScalarES8_ENKUlvE_clEvENKUlvE0_clEvEUlaaaE0_St5arrayIPcLm4EEEEviT0_T1_.num_vgpr, 57
	.set _ZN2at6native29vectorized_elementwise_kernelILi2EZZZNS0_12_GLOBAL__N_116addr_kernel_cudaERNS_14TensorIteratorERKN3c106ScalarES8_ENKUlvE_clEvENKUlvE0_clEvEUlaaaE0_St5arrayIPcLm4EEEEviT0_T1_.num_agpr, 0
	.set _ZN2at6native29vectorized_elementwise_kernelILi2EZZZNS0_12_GLOBAL__N_116addr_kernel_cudaERNS_14TensorIteratorERKN3c106ScalarES8_ENKUlvE_clEvENKUlvE0_clEvEUlaaaE0_St5arrayIPcLm4EEEEviT0_T1_.numbered_sgpr, 22
	.set _ZN2at6native29vectorized_elementwise_kernelILi2EZZZNS0_12_GLOBAL__N_116addr_kernel_cudaERNS_14TensorIteratorERKN3c106ScalarES8_ENKUlvE_clEvENKUlvE0_clEvEUlaaaE0_St5arrayIPcLm4EEEEviT0_T1_.num_named_barrier, 0
	.set _ZN2at6native29vectorized_elementwise_kernelILi2EZZZNS0_12_GLOBAL__N_116addr_kernel_cudaERNS_14TensorIteratorERKN3c106ScalarES8_ENKUlvE_clEvENKUlvE0_clEvEUlaaaE0_St5arrayIPcLm4EEEEviT0_T1_.private_seg_size, 0
	.set _ZN2at6native29vectorized_elementwise_kernelILi2EZZZNS0_12_GLOBAL__N_116addr_kernel_cudaERNS_14TensorIteratorERKN3c106ScalarES8_ENKUlvE_clEvENKUlvE0_clEvEUlaaaE0_St5arrayIPcLm4EEEEviT0_T1_.uses_vcc, 1
	.set _ZN2at6native29vectorized_elementwise_kernelILi2EZZZNS0_12_GLOBAL__N_116addr_kernel_cudaERNS_14TensorIteratorERKN3c106ScalarES8_ENKUlvE_clEvENKUlvE0_clEvEUlaaaE0_St5arrayIPcLm4EEEEviT0_T1_.uses_flat_scratch, 0
	.set _ZN2at6native29vectorized_elementwise_kernelILi2EZZZNS0_12_GLOBAL__N_116addr_kernel_cudaERNS_14TensorIteratorERKN3c106ScalarES8_ENKUlvE_clEvENKUlvE0_clEvEUlaaaE0_St5arrayIPcLm4EEEEviT0_T1_.has_dyn_sized_stack, 0
	.set _ZN2at6native29vectorized_elementwise_kernelILi2EZZZNS0_12_GLOBAL__N_116addr_kernel_cudaERNS_14TensorIteratorERKN3c106ScalarES8_ENKUlvE_clEvENKUlvE0_clEvEUlaaaE0_St5arrayIPcLm4EEEEviT0_T1_.has_recursion, 0
	.set _ZN2at6native29vectorized_elementwise_kernelILi2EZZZNS0_12_GLOBAL__N_116addr_kernel_cudaERNS_14TensorIteratorERKN3c106ScalarES8_ENKUlvE_clEvENKUlvE0_clEvEUlaaaE0_St5arrayIPcLm4EEEEviT0_T1_.has_indirect_call, 0
	.section	.AMDGPU.csdata,"",@progbits
; Kernel info:
; codeLenInByte = 6852
; TotalNumSgprs: 24
; NumVgprs: 57
; ScratchSize: 0
; MemoryBound: 0
; FloatMode: 240
; IeeeMode: 1
; LDSByteSize: 0 bytes/workgroup (compile time only)
; SGPRBlocks: 0
; VGPRBlocks: 3
; NumSGPRsForWavesPerEU: 24
; NumVGPRsForWavesPerEU: 57
; NamedBarCnt: 0
; Occupancy: 16
; WaveLimiterHint : 1
; COMPUTE_PGM_RSRC2:SCRATCH_EN: 0
; COMPUTE_PGM_RSRC2:USER_SGPR: 2
; COMPUTE_PGM_RSRC2:TRAP_HANDLER: 0
; COMPUTE_PGM_RSRC2:TGID_X_EN: 1
; COMPUTE_PGM_RSRC2:TGID_Y_EN: 0
; COMPUTE_PGM_RSRC2:TGID_Z_EN: 0
; COMPUTE_PGM_RSRC2:TIDIG_COMP_CNT: 0
	.section	.text._ZN2at6native27unrolled_elementwise_kernelIZZZNS0_12_GLOBAL__N_116addr_kernel_cudaERNS_14TensorIteratorERKN3c106ScalarES8_ENKUlvE_clEvENKUlvE0_clEvEUlaaaE0_St5arrayIPcLm4EELi4E23TrivialOffsetCalculatorILi3EjESF_ILi1EjENS0_6memory15LoadWithoutCastENSI_16StoreWithoutCastEEEviT_T0_T2_T3_T4_T5_,"axG",@progbits,_ZN2at6native27unrolled_elementwise_kernelIZZZNS0_12_GLOBAL__N_116addr_kernel_cudaERNS_14TensorIteratorERKN3c106ScalarES8_ENKUlvE_clEvENKUlvE0_clEvEUlaaaE0_St5arrayIPcLm4EELi4E23TrivialOffsetCalculatorILi3EjESF_ILi1EjENS0_6memory15LoadWithoutCastENSI_16StoreWithoutCastEEEviT_T0_T2_T3_T4_T5_,comdat
	.globl	_ZN2at6native27unrolled_elementwise_kernelIZZZNS0_12_GLOBAL__N_116addr_kernel_cudaERNS_14TensorIteratorERKN3c106ScalarES8_ENKUlvE_clEvENKUlvE0_clEvEUlaaaE0_St5arrayIPcLm4EELi4E23TrivialOffsetCalculatorILi3EjESF_ILi1EjENS0_6memory15LoadWithoutCastENSI_16StoreWithoutCastEEEviT_T0_T2_T3_T4_T5_ ; -- Begin function _ZN2at6native27unrolled_elementwise_kernelIZZZNS0_12_GLOBAL__N_116addr_kernel_cudaERNS_14TensorIteratorERKN3c106ScalarES8_ENKUlvE_clEvENKUlvE0_clEvEUlaaaE0_St5arrayIPcLm4EELi4E23TrivialOffsetCalculatorILi3EjESF_ILi1EjENS0_6memory15LoadWithoutCastENSI_16StoreWithoutCastEEEviT_T0_T2_T3_T4_T5_
	.p2align	8
	.type	_ZN2at6native27unrolled_elementwise_kernelIZZZNS0_12_GLOBAL__N_116addr_kernel_cudaERNS_14TensorIteratorERKN3c106ScalarES8_ENKUlvE_clEvENKUlvE0_clEvEUlaaaE0_St5arrayIPcLm4EELi4E23TrivialOffsetCalculatorILi3EjESF_ILi1EjENS0_6memory15LoadWithoutCastENSI_16StoreWithoutCastEEEviT_T0_T2_T3_T4_T5_,@function
_ZN2at6native27unrolled_elementwise_kernelIZZZNS0_12_GLOBAL__N_116addr_kernel_cudaERNS_14TensorIteratorERKN3c106ScalarES8_ENKUlvE_clEvENKUlvE0_clEvEUlaaaE0_St5arrayIPcLm4EELi4E23TrivialOffsetCalculatorILi3EjESF_ILi1EjENS0_6memory15LoadWithoutCastENSI_16StoreWithoutCastEEEviT_T0_T2_T3_T4_T5_: ; @_ZN2at6native27unrolled_elementwise_kernelIZZZNS0_12_GLOBAL__N_116addr_kernel_cudaERNS_14TensorIteratorERKN3c106ScalarES8_ENKUlvE_clEvENKUlvE0_clEvEUlaaaE0_St5arrayIPcLm4EELi4E23TrivialOffsetCalculatorILi3EjESF_ILi1EjENS0_6memory15LoadWithoutCastENSI_16StoreWithoutCastEEEviT_T0_T2_T3_T4_T5_
; %bb.0:
	v_dual_mov_b32 v3, 0 :: v_dual_mov_b32 v5, 0
	s_bfe_u32 s3, ttmp6, 0x4000c
	s_load_b256 s[4:11], s[0:1], 0x8
	s_add_co_i32 s3, s3, 1
	global_load_u16 v14, v3, s[0:1] offset:4
	s_load_b32 s12, s[0:1], 0x0
	s_and_b32 s2, ttmp6, 15
	s_wait_xcnt 0x0
	s_mul_i32 s0, ttmp9, s3
	s_getreg_b32 s13, hwreg(HW_REG_IB_STS2, 6, 4)
	s_add_co_i32 s2, s2, s0
	s_cmp_eq_u32 s13, 0
	v_dual_mov_b32 v4, 0 :: v_dual_mov_b32 v8, 0
	s_cselect_b32 s0, ttmp9, s2
	v_dual_mov_b32 v7, 0 :: v_dual_mov_b32 v6, 0
	s_lshl_b32 s1, s0, 10
	v_dual_mov_b32 v9, 0 :: v_dual_mov_b32 v10, 0
	v_dual_mov_b32 v11, 0 :: v_dual_mov_b32 v12, 0
	v_dual_mov_b32 v13, 0 :: v_dual_bitop2_b32 v2, s1, v0 bitop3:0x54
	v_or_b32_e32 v1, 0x100, v0
	s_wait_kmcnt 0x0
	s_sub_co_i32 s2, s12, s1
	s_delay_alu instid0(SALU_CYCLE_1)
	v_cmp_gt_i32_e32 vcc_lo, s2, v0
	s_wait_loadcnt 0x0
	v_readfirstlane_b32 s3, v14
	v_mov_b32_e32 v14, 0
	s_and_saveexec_b32 s12, vcc_lo
	s_cbranch_execz .LBB44_8
; %bb.1:
	s_clause 0x2
	global_load_u8 v12, v2, s[6:7]
	global_load_u8 v13, v2, s[8:9]
	;; [unrolled: 1-line block ×3, first 2 shown]
	v_or_b32_e32 v15, 0x100, v0
	v_dual_mov_b32 v11, 0 :: v_dual_mov_b32 v10, 0
	v_dual_mov_b32 v9, 0 :: v_dual_mov_b32 v6, 0
	v_dual_mov_b32 v7, 0 :: v_dual_mov_b32 v8, 0
	v_dual_mov_b32 v4, 0 :: v_dual_mov_b32 v5, 0
	v_mov_b32_e32 v3, 0
	s_mov_b32 s13, exec_lo
	s_wait_xcnt 0x0
	v_cmpx_gt_u32_e64 s2, v15
	s_cbranch_execz .LBB44_7
; %bb.2:
	v_dual_mov_b32 v6, 0 :: v_dual_add_nc_u32 v3, s1, v15
	v_or_b32_e32 v15, 0x200, v0
	v_dual_mov_b32 v7, 0 :: v_dual_mov_b32 v8, 0
	s_clause 0x2
	global_load_u8 v9, v3, s[6:7]
	global_load_u8 v10, v3, s[8:9]
	;; [unrolled: 1-line block ×3, first 2 shown]
	v_dual_mov_b32 v4, 0 :: v_dual_mov_b32 v5, 0
	s_wait_xcnt 0x0
	v_mov_b32_e32 v3, 0
	s_mov_b32 s14, exec_lo
	v_cmpx_gt_u32_e64 s2, v15
	s_cbranch_execz .LBB44_6
; %bb.3:
	v_dual_mov_b32 v4, 0 :: v_dual_add_nc_u32 v3, s1, v15
	v_or_b32_e32 v15, 0x300, v0
	v_mov_b32_e32 v5, 0
	s_mov_b32 s15, exec_lo
	s_clause 0x2
	global_load_u8 v8, v3, s[6:7]
	global_load_u8 v7, v3, s[8:9]
	;; [unrolled: 1-line block ×3, first 2 shown]
	s_wait_xcnt 0x0
	v_mov_b32_e32 v3, 0
	v_cmpx_gt_u32_e64 s2, v15
	s_cbranch_execz .LBB44_5
; %bb.4:
	v_add_nc_u32_e32 v15, s1, v15
	s_clause 0x2
	global_load_u8 v3, v15, s[6:7]
	global_load_u8 v5, v15, s[8:9]
	;; [unrolled: 1-line block ×3, first 2 shown]
.LBB44_5:
	s_wait_xcnt 0x0
	s_or_b32 exec_lo, exec_lo, s15
.LBB44_6:
	s_delay_alu instid0(SALU_CYCLE_1)
	s_or_b32 exec_lo, exec_lo, s14
.LBB44_7:
	s_delay_alu instid0(SALU_CYCLE_1) | instskip(NEXT) | instid1(SALU_CYCLE_1)
	s_or_b32 exec_lo, exec_lo, s13
	s_or_b32 exec_lo, exec_lo, s12
                                        ; implicit-def: $vgpr15
	s_and_saveexec_b32 s0, vcc_lo
	s_cbranch_execz .LBB44_10
	s_branch .LBB44_9
.LBB44_8:
	s_or_b32 exec_lo, exec_lo, s12
                                        ; implicit-def: $vgpr15
	s_and_saveexec_b32 s0, vcc_lo
	s_cbranch_execz .LBB44_10
.LBB44_9:
	s_and_b32 s6, 0xffff, s3
	s_wait_loadcnt 0x2
	v_mul_lo_u16 v12, v12, s3
	s_lshr_b32 s6, s6, 8
	s_wait_loadcnt 0x1
	v_mul_lo_u16 v13, v13, s6
	s_wait_loadcnt 0x0
	s_delay_alu instid0(VALU_DEP_1)
	v_mad_u16 v15, v13, v14, v12
.LBB44_10:
	s_or_b32 exec_lo, exec_lo, s0
	s_delay_alu instid0(SALU_CYCLE_1)
	s_mov_b32 s6, exec_lo
                                        ; implicit-def: $vgpr12
	v_cmpx_gt_i32_e64 s2, v1
	s_cbranch_execz .LBB44_12
; %bb.11:
	s_and_b32 s0, 0xffff, s3
	s_wait_loadcnt 0x2
	v_mul_lo_u16 v9, v9, s3
	s_lshr_b32 s0, s0, 8
	s_wait_loadcnt 0x1
	v_mul_lo_u16 v10, v10, s0
	s_wait_loadcnt 0x0
	s_delay_alu instid0(VALU_DEP_1)
	v_mad_u16 v12, v10, v11, v9
.LBB44_12:
	s_or_b32 exec_lo, exec_lo, s6
	s_wait_loadcnt 0x2
	v_or_b32_e32 v9, 0x200, v0
	s_delay_alu instid0(VALU_DEP_1)
	v_cmp_gt_i32_e64 s0, s2, v9
                                        ; implicit-def: $vgpr9
	s_and_saveexec_b32 s6, s0
	s_cbranch_execz .LBB44_14
; %bb.13:
	s_and_b32 s0, 0xffff, s3
	v_mul_lo_u16 v8, v8, s3
	s_lshr_b32 s0, s0, 8
	s_wait_loadcnt 0x1
	v_mul_lo_u16 v7, v7, s0
	s_wait_loadcnt 0x0
	s_delay_alu instid0(VALU_DEP_1)
	v_mad_u16 v9, v7, v6, v8
.LBB44_14:
	s_or_b32 exec_lo, exec_lo, s6
	s_wait_loadcnt 0x0
	v_or_b32_e32 v6, 0x300, v0
	s_delay_alu instid0(VALU_DEP_1)
	v_cmp_gt_i32_e64 s0, s2, v6
                                        ; implicit-def: $vgpr6
	s_and_saveexec_b32 s6, s0
	s_cbranch_execz .LBB44_20
; %bb.15:
	s_and_b32 s0, 0xffff, s3
	v_mul_lo_u16 v3, v3, s3
	s_lshr_b32 s0, s0, 8
	s_delay_alu instid0(SALU_CYCLE_1) | instskip(NEXT) | instid1(VALU_DEP_1)
	v_mul_lo_u16 v5, v5, s0
	v_mad_u16 v6, v5, v4, v3
	s_or_b32 exec_lo, exec_lo, s6
	s_and_saveexec_b32 s0, vcc_lo
	s_delay_alu instid0(SALU_CYCLE_1)
	s_xor_b32 s0, exec_lo, s0
	s_cbranch_execnz .LBB44_21
.LBB44_16:
	s_or_b32 exec_lo, exec_lo, s0
	s_delay_alu instid0(SALU_CYCLE_1)
	s_mov_b32 s0, exec_lo
	v_cmpx_gt_i32_e64 s2, v0
	s_cbranch_execz .LBB44_22
.LBB44_17:
	v_add_nc_u32_e32 v1, 0x100, v0
	s_delay_alu instid0(VALU_DEP_1) | instskip(SKIP_3) | instid1(SALU_CYCLE_1)
	v_dual_add_nc_u32 v2, s1, v0 :: v_dual_mov_b32 v0, v1
	global_store_b8 v2, v12, s[4:5]
	s_wait_xcnt 0x0
	s_or_b32 exec_lo, exec_lo, s0
	s_mov_b32 s0, exec_lo
	v_cmpx_gt_i32_e64 s2, v0
	s_cbranch_execnz .LBB44_23
.LBB44_18:
	s_or_b32 exec_lo, exec_lo, s0
	s_delay_alu instid0(SALU_CYCLE_1)
	s_mov_b32 s0, exec_lo
	v_cmpx_gt_i32_e64 s2, v0
	s_cbranch_execz .LBB44_24
.LBB44_19:
	v_add_nc_u32_e32 v0, s1, v0
	global_store_b8 v0, v6, s[4:5]
	s_endpgm
.LBB44_20:
	s_or_b32 exec_lo, exec_lo, s6
	s_and_saveexec_b32 s0, vcc_lo
	s_delay_alu instid0(SALU_CYCLE_1)
	s_xor_b32 s0, exec_lo, s0
	s_cbranch_execz .LBB44_16
.LBB44_21:
	v_mov_b32_e32 v0, v1
	global_store_b8 v2, v15, s[4:5]
	s_wait_xcnt 0x0
	s_or_b32 exec_lo, exec_lo, s0
	s_delay_alu instid0(SALU_CYCLE_1)
	s_mov_b32 s0, exec_lo
	v_cmpx_gt_i32_e64 s2, v0
	s_cbranch_execnz .LBB44_17
.LBB44_22:
	s_or_b32 exec_lo, exec_lo, s0
	s_delay_alu instid0(SALU_CYCLE_1)
	s_mov_b32 s0, exec_lo
	v_cmpx_gt_i32_e64 s2, v0
	s_cbranch_execz .LBB44_18
.LBB44_23:
	v_add_nc_u32_e32 v1, 0x100, v0
	s_delay_alu instid0(VALU_DEP_1) | instskip(SKIP_3) | instid1(SALU_CYCLE_1)
	v_dual_add_nc_u32 v2, s1, v0 :: v_dual_mov_b32 v0, v1
	global_store_b8 v2, v9, s[4:5]
	s_wait_xcnt 0x0
	s_or_b32 exec_lo, exec_lo, s0
	s_mov_b32 s0, exec_lo
	v_cmpx_gt_i32_e64 s2, v0
	s_cbranch_execnz .LBB44_19
.LBB44_24:
	s_endpgm
	.section	.rodata,"a",@progbits
	.p2align	6, 0x0
	.amdhsa_kernel _ZN2at6native27unrolled_elementwise_kernelIZZZNS0_12_GLOBAL__N_116addr_kernel_cudaERNS_14TensorIteratorERKN3c106ScalarES8_ENKUlvE_clEvENKUlvE0_clEvEUlaaaE0_St5arrayIPcLm4EELi4E23TrivialOffsetCalculatorILi3EjESF_ILi1EjENS0_6memory15LoadWithoutCastENSI_16StoreWithoutCastEEEviT_T0_T2_T3_T4_T5_
		.amdhsa_group_segment_fixed_size 0
		.amdhsa_private_segment_fixed_size 0
		.amdhsa_kernarg_size 44
		.amdhsa_user_sgpr_count 2
		.amdhsa_user_sgpr_dispatch_ptr 0
		.amdhsa_user_sgpr_queue_ptr 0
		.amdhsa_user_sgpr_kernarg_segment_ptr 1
		.amdhsa_user_sgpr_dispatch_id 0
		.amdhsa_user_sgpr_kernarg_preload_length 0
		.amdhsa_user_sgpr_kernarg_preload_offset 0
		.amdhsa_user_sgpr_private_segment_size 0
		.amdhsa_wavefront_size32 1
		.amdhsa_uses_dynamic_stack 0
		.amdhsa_enable_private_segment 0
		.amdhsa_system_sgpr_workgroup_id_x 1
		.amdhsa_system_sgpr_workgroup_id_y 0
		.amdhsa_system_sgpr_workgroup_id_z 0
		.amdhsa_system_sgpr_workgroup_info 0
		.amdhsa_system_vgpr_workitem_id 0
		.amdhsa_next_free_vgpr 16
		.amdhsa_next_free_sgpr 16
		.amdhsa_named_barrier_count 0
		.amdhsa_reserve_vcc 1
		.amdhsa_float_round_mode_32 0
		.amdhsa_float_round_mode_16_64 0
		.amdhsa_float_denorm_mode_32 3
		.amdhsa_float_denorm_mode_16_64 3
		.amdhsa_fp16_overflow 0
		.amdhsa_memory_ordered 1
		.amdhsa_forward_progress 1
		.amdhsa_inst_pref_size 9
		.amdhsa_round_robin_scheduling 0
		.amdhsa_exception_fp_ieee_invalid_op 0
		.amdhsa_exception_fp_denorm_src 0
		.amdhsa_exception_fp_ieee_div_zero 0
		.amdhsa_exception_fp_ieee_overflow 0
		.amdhsa_exception_fp_ieee_underflow 0
		.amdhsa_exception_fp_ieee_inexact 0
		.amdhsa_exception_int_div_zero 0
	.end_amdhsa_kernel
	.section	.text._ZN2at6native27unrolled_elementwise_kernelIZZZNS0_12_GLOBAL__N_116addr_kernel_cudaERNS_14TensorIteratorERKN3c106ScalarES8_ENKUlvE_clEvENKUlvE0_clEvEUlaaaE0_St5arrayIPcLm4EELi4E23TrivialOffsetCalculatorILi3EjESF_ILi1EjENS0_6memory15LoadWithoutCastENSI_16StoreWithoutCastEEEviT_T0_T2_T3_T4_T5_,"axG",@progbits,_ZN2at6native27unrolled_elementwise_kernelIZZZNS0_12_GLOBAL__N_116addr_kernel_cudaERNS_14TensorIteratorERKN3c106ScalarES8_ENKUlvE_clEvENKUlvE0_clEvEUlaaaE0_St5arrayIPcLm4EELi4E23TrivialOffsetCalculatorILi3EjESF_ILi1EjENS0_6memory15LoadWithoutCastENSI_16StoreWithoutCastEEEviT_T0_T2_T3_T4_T5_,comdat
.Lfunc_end44:
	.size	_ZN2at6native27unrolled_elementwise_kernelIZZZNS0_12_GLOBAL__N_116addr_kernel_cudaERNS_14TensorIteratorERKN3c106ScalarES8_ENKUlvE_clEvENKUlvE0_clEvEUlaaaE0_St5arrayIPcLm4EELi4E23TrivialOffsetCalculatorILi3EjESF_ILi1EjENS0_6memory15LoadWithoutCastENSI_16StoreWithoutCastEEEviT_T0_T2_T3_T4_T5_, .Lfunc_end44-_ZN2at6native27unrolled_elementwise_kernelIZZZNS0_12_GLOBAL__N_116addr_kernel_cudaERNS_14TensorIteratorERKN3c106ScalarES8_ENKUlvE_clEvENKUlvE0_clEvEUlaaaE0_St5arrayIPcLm4EELi4E23TrivialOffsetCalculatorILi3EjESF_ILi1EjENS0_6memory15LoadWithoutCastENSI_16StoreWithoutCastEEEviT_T0_T2_T3_T4_T5_
                                        ; -- End function
	.set _ZN2at6native27unrolled_elementwise_kernelIZZZNS0_12_GLOBAL__N_116addr_kernel_cudaERNS_14TensorIteratorERKN3c106ScalarES8_ENKUlvE_clEvENKUlvE0_clEvEUlaaaE0_St5arrayIPcLm4EELi4E23TrivialOffsetCalculatorILi3EjESF_ILi1EjENS0_6memory15LoadWithoutCastENSI_16StoreWithoutCastEEEviT_T0_T2_T3_T4_T5_.num_vgpr, 16
	.set _ZN2at6native27unrolled_elementwise_kernelIZZZNS0_12_GLOBAL__N_116addr_kernel_cudaERNS_14TensorIteratorERKN3c106ScalarES8_ENKUlvE_clEvENKUlvE0_clEvEUlaaaE0_St5arrayIPcLm4EELi4E23TrivialOffsetCalculatorILi3EjESF_ILi1EjENS0_6memory15LoadWithoutCastENSI_16StoreWithoutCastEEEviT_T0_T2_T3_T4_T5_.num_agpr, 0
	.set _ZN2at6native27unrolled_elementwise_kernelIZZZNS0_12_GLOBAL__N_116addr_kernel_cudaERNS_14TensorIteratorERKN3c106ScalarES8_ENKUlvE_clEvENKUlvE0_clEvEUlaaaE0_St5arrayIPcLm4EELi4E23TrivialOffsetCalculatorILi3EjESF_ILi1EjENS0_6memory15LoadWithoutCastENSI_16StoreWithoutCastEEEviT_T0_T2_T3_T4_T5_.numbered_sgpr, 16
	.set _ZN2at6native27unrolled_elementwise_kernelIZZZNS0_12_GLOBAL__N_116addr_kernel_cudaERNS_14TensorIteratorERKN3c106ScalarES8_ENKUlvE_clEvENKUlvE0_clEvEUlaaaE0_St5arrayIPcLm4EELi4E23TrivialOffsetCalculatorILi3EjESF_ILi1EjENS0_6memory15LoadWithoutCastENSI_16StoreWithoutCastEEEviT_T0_T2_T3_T4_T5_.num_named_barrier, 0
	.set _ZN2at6native27unrolled_elementwise_kernelIZZZNS0_12_GLOBAL__N_116addr_kernel_cudaERNS_14TensorIteratorERKN3c106ScalarES8_ENKUlvE_clEvENKUlvE0_clEvEUlaaaE0_St5arrayIPcLm4EELi4E23TrivialOffsetCalculatorILi3EjESF_ILi1EjENS0_6memory15LoadWithoutCastENSI_16StoreWithoutCastEEEviT_T0_T2_T3_T4_T5_.private_seg_size, 0
	.set _ZN2at6native27unrolled_elementwise_kernelIZZZNS0_12_GLOBAL__N_116addr_kernel_cudaERNS_14TensorIteratorERKN3c106ScalarES8_ENKUlvE_clEvENKUlvE0_clEvEUlaaaE0_St5arrayIPcLm4EELi4E23TrivialOffsetCalculatorILi3EjESF_ILi1EjENS0_6memory15LoadWithoutCastENSI_16StoreWithoutCastEEEviT_T0_T2_T3_T4_T5_.uses_vcc, 1
	.set _ZN2at6native27unrolled_elementwise_kernelIZZZNS0_12_GLOBAL__N_116addr_kernel_cudaERNS_14TensorIteratorERKN3c106ScalarES8_ENKUlvE_clEvENKUlvE0_clEvEUlaaaE0_St5arrayIPcLm4EELi4E23TrivialOffsetCalculatorILi3EjESF_ILi1EjENS0_6memory15LoadWithoutCastENSI_16StoreWithoutCastEEEviT_T0_T2_T3_T4_T5_.uses_flat_scratch, 0
	.set _ZN2at6native27unrolled_elementwise_kernelIZZZNS0_12_GLOBAL__N_116addr_kernel_cudaERNS_14TensorIteratorERKN3c106ScalarES8_ENKUlvE_clEvENKUlvE0_clEvEUlaaaE0_St5arrayIPcLm4EELi4E23TrivialOffsetCalculatorILi3EjESF_ILi1EjENS0_6memory15LoadWithoutCastENSI_16StoreWithoutCastEEEviT_T0_T2_T3_T4_T5_.has_dyn_sized_stack, 0
	.set _ZN2at6native27unrolled_elementwise_kernelIZZZNS0_12_GLOBAL__N_116addr_kernel_cudaERNS_14TensorIteratorERKN3c106ScalarES8_ENKUlvE_clEvENKUlvE0_clEvEUlaaaE0_St5arrayIPcLm4EELi4E23TrivialOffsetCalculatorILi3EjESF_ILi1EjENS0_6memory15LoadWithoutCastENSI_16StoreWithoutCastEEEviT_T0_T2_T3_T4_T5_.has_recursion, 0
	.set _ZN2at6native27unrolled_elementwise_kernelIZZZNS0_12_GLOBAL__N_116addr_kernel_cudaERNS_14TensorIteratorERKN3c106ScalarES8_ENKUlvE_clEvENKUlvE0_clEvEUlaaaE0_St5arrayIPcLm4EELi4E23TrivialOffsetCalculatorILi3EjESF_ILi1EjENS0_6memory15LoadWithoutCastENSI_16StoreWithoutCastEEEviT_T0_T2_T3_T4_T5_.has_indirect_call, 0
	.section	.AMDGPU.csdata,"",@progbits
; Kernel info:
; codeLenInByte = 1144
; TotalNumSgprs: 18
; NumVgprs: 16
; ScratchSize: 0
; MemoryBound: 0
; FloatMode: 240
; IeeeMode: 1
; LDSByteSize: 0 bytes/workgroup (compile time only)
; SGPRBlocks: 0
; VGPRBlocks: 0
; NumSGPRsForWavesPerEU: 18
; NumVGPRsForWavesPerEU: 16
; NamedBarCnt: 0
; Occupancy: 16
; WaveLimiterHint : 0
; COMPUTE_PGM_RSRC2:SCRATCH_EN: 0
; COMPUTE_PGM_RSRC2:USER_SGPR: 2
; COMPUTE_PGM_RSRC2:TRAP_HANDLER: 0
; COMPUTE_PGM_RSRC2:TGID_X_EN: 1
; COMPUTE_PGM_RSRC2:TGID_Y_EN: 0
; COMPUTE_PGM_RSRC2:TGID_Z_EN: 0
; COMPUTE_PGM_RSRC2:TIDIG_COMP_CNT: 0
	.section	.text._ZN2at6native32elementwise_kernel_manual_unrollILi128ELi8EZNS0_22gpu_kernel_impl_nocastIZZZNS0_12_GLOBAL__N_116addr_kernel_cudaERNS_14TensorIteratorERKN3c106ScalarES9_ENKUlvE_clEvENKUlvE0_clEvEUlaaaE0_EEvRNS_18TensorIteratorBaseERKT_EUlibE_EEviT1_,"axG",@progbits,_ZN2at6native32elementwise_kernel_manual_unrollILi128ELi8EZNS0_22gpu_kernel_impl_nocastIZZZNS0_12_GLOBAL__N_116addr_kernel_cudaERNS_14TensorIteratorERKN3c106ScalarES9_ENKUlvE_clEvENKUlvE0_clEvEUlaaaE0_EEvRNS_18TensorIteratorBaseERKT_EUlibE_EEviT1_,comdat
	.globl	_ZN2at6native32elementwise_kernel_manual_unrollILi128ELi8EZNS0_22gpu_kernel_impl_nocastIZZZNS0_12_GLOBAL__N_116addr_kernel_cudaERNS_14TensorIteratorERKN3c106ScalarES9_ENKUlvE_clEvENKUlvE0_clEvEUlaaaE0_EEvRNS_18TensorIteratorBaseERKT_EUlibE_EEviT1_ ; -- Begin function _ZN2at6native32elementwise_kernel_manual_unrollILi128ELi8EZNS0_22gpu_kernel_impl_nocastIZZZNS0_12_GLOBAL__N_116addr_kernel_cudaERNS_14TensorIteratorERKN3c106ScalarES9_ENKUlvE_clEvENKUlvE0_clEvEUlaaaE0_EEvRNS_18TensorIteratorBaseERKT_EUlibE_EEviT1_
	.p2align	8
	.type	_ZN2at6native32elementwise_kernel_manual_unrollILi128ELi8EZNS0_22gpu_kernel_impl_nocastIZZZNS0_12_GLOBAL__N_116addr_kernel_cudaERNS_14TensorIteratorERKN3c106ScalarES9_ENKUlvE_clEvENKUlvE0_clEvEUlaaaE0_EEvRNS_18TensorIteratorBaseERKT_EUlibE_EEviT1_,@function
_ZN2at6native32elementwise_kernel_manual_unrollILi128ELi8EZNS0_22gpu_kernel_impl_nocastIZZZNS0_12_GLOBAL__N_116addr_kernel_cudaERNS_14TensorIteratorERKN3c106ScalarES9_ENKUlvE_clEvENKUlvE0_clEvEUlaaaE0_EEvRNS_18TensorIteratorBaseERKT_EUlibE_EEviT1_: ; @_ZN2at6native32elementwise_kernel_manual_unrollILi128ELi8EZNS0_22gpu_kernel_impl_nocastIZZZNS0_12_GLOBAL__N_116addr_kernel_cudaERNS_14TensorIteratorERKN3c106ScalarES9_ENKUlvE_clEvENKUlvE0_clEvEUlaaaE0_EEvRNS_18TensorIteratorBaseERKT_EUlibE_EEviT1_
; %bb.0:
	s_clause 0x1
	s_load_b32 s33, s[0:1], 0x8
	s_load_b32 s40, s[0:1], 0x0
	s_bfe_u32 s2, ttmp6, 0x4000c
	s_and_b32 s3, ttmp6, 15
	s_add_co_i32 s2, s2, 1
	s_getreg_b32 s4, hwreg(HW_REG_IB_STS2, 6, 4)
	s_mul_i32 s2, ttmp9, s2
	s_add_nc_u64 s[20:21], s[0:1], 8
	s_add_co_i32 s3, s3, s2
	s_cmp_eq_u32 s4, 0
	s_mov_b32 s25, 0
	s_cselect_b32 s2, ttmp9, s3
	s_wait_xcnt 0x0
	s_mov_b32 s0, exec_lo
	v_lshl_or_b32 v0, s2, 10, v0
	s_delay_alu instid0(VALU_DEP_1) | instskip(SKIP_2) | instid1(SALU_CYCLE_1)
	v_or_b32_e32 v5, 0x380, v0
	s_wait_kmcnt 0x0
	s_add_co_i32 s34, s33, -1
	s_cmp_gt_u32 s34, 1
	s_cselect_b32 s35, -1, 0
	v_cmpx_le_i32_e64 s40, v5
	s_xor_b32 s36, exec_lo, s0
	s_cbranch_execz .LBB45_106
; %bb.1:
	s_clause 0x4
	s_load_b128 s[16:19], s[20:21], 0x4
	s_load_b64 s[22:23], s[20:21], 0x14
	s_load_b32 s37, s[20:21], 0x1e8
	s_load_b256 s[8:15], s[20:21], 0xc4
	s_load_b256 s[0:7], s[20:21], 0x1c8
	s_cmp_lg_u32 s33, 0
	s_mov_b32 s27, s25
	s_cselect_b32 s41, -1, 0
	s_min_u32 s39, s34, 15
	s_cmp_gt_u32 s33, 1
	s_cselect_b32 s38, -1, 0
	s_wait_kmcnt 0x0
	s_mov_b32 s24, s17
	s_mov_b32 s26, s22
	s_bfe_u32 s17, s37, 0x80008
	s_mov_b32 s22, exec_lo
	v_cmpx_gt_i32_e64 s40, v0
	s_cbranch_execnz .LBB45_9
; %bb.2:
	s_or_b32 exec_lo, exec_lo, s22
	s_delay_alu instid0(SALU_CYCLE_1)
	s_mov_b32 s22, exec_lo
	v_cmpx_gt_i32_e64 s40, v0
	s_cbranch_execnz .LBB45_21
.LBB45_3:
	s_or_b32 exec_lo, exec_lo, s22
	s_delay_alu instid0(SALU_CYCLE_1)
	s_mov_b32 s22, exec_lo
	v_cmpx_gt_i32_e64 s40, v0
	s_cbranch_execnz .LBB45_33
.LBB45_4:
	s_or_b32 exec_lo, exec_lo, s22
	s_delay_alu instid0(SALU_CYCLE_1)
	s_mov_b32 s22, exec_lo
	v_cmpx_gt_i32_e64 s40, v0
	s_cbranch_execnz .LBB45_45
.LBB45_5:
	s_or_b32 exec_lo, exec_lo, s22
	s_delay_alu instid0(SALU_CYCLE_1)
	s_mov_b32 s22, exec_lo
	v_cmpx_gt_i32_e64 s40, v0
	s_cbranch_execnz .LBB45_57
.LBB45_6:
	s_or_b32 exec_lo, exec_lo, s22
	s_delay_alu instid0(SALU_CYCLE_1)
	s_mov_b32 s22, exec_lo
	v_cmpx_gt_i32_e64 s40, v0
	s_cbranch_execnz .LBB45_69
.LBB45_7:
	s_or_b32 exec_lo, exec_lo, s22
	s_delay_alu instid0(SALU_CYCLE_1)
	s_mov_b32 s22, exec_lo
	v_cmpx_gt_i32_e64 s40, v0
	s_cbranch_execnz .LBB45_81
.LBB45_8:
	s_or_b32 exec_lo, exec_lo, s22
	s_delay_alu instid0(SALU_CYCLE_1)
	s_mov_b32 s22, exec_lo
	v_cmpx_gt_i32_e64 s40, v0
	s_cbranch_execnz .LBB45_93
	s_branch .LBB45_105
.LBB45_9:
	s_and_not1_b32 vcc_lo, exec_lo, s35
	s_cbranch_vccnz .LBB45_15
; %bb.10:
	s_and_not1_b32 vcc_lo, exec_lo, s41
	s_cbranch_vccnz .LBB45_16
; %bb.11:
	v_dual_mov_b32 v6, 0 :: v_dual_mov_b32 v1, v0
	v_dual_mov_b32 v7, 0 :: v_dual_mov_b32 v4, 0
	v_mov_b32_e32 v5, 0
	s_add_co_i32 s30, s39, 1
	s_mov_b64 s[28:29], 0xffffffffffffffe0
	s_and_b32 s42, s30, 30
	s_add_nc_u64 s[28:29], s[20:21], s[28:29]
	s_mov_b64 s[30:31], s[20:21]
.LBB45_12:                              ; =>This Inner Loop Header: Depth=1
	s_clause 0x1
	s_load_b128 s[52:55], s[30:31], 0x4
	s_load_b64 s[56:57], s[30:31], 0x14
	s_load_b256 s[44:51], s[28:29], 0xe4
	s_add_co_i32 s42, s42, -2
	s_wait_xcnt 0x0
	s_add_nc_u64 s[30:31], s[30:31], 24
	s_cmp_lg_u32 s42, 0
	s_add_nc_u64 s[28:29], s[28:29], 32
	s_wait_kmcnt 0x0
	v_mul_hi_u32 v2, s53, v1
	s_delay_alu instid0(VALU_DEP_1) | instskip(NEXT) | instid1(VALU_DEP_1)
	v_add_nc_u32_e32 v2, v1, v2
	v_lshrrev_b32_e32 v2, s54, v2
	s_delay_alu instid0(VALU_DEP_1) | instskip(SKIP_1) | instid1(VALU_DEP_1)
	v_mul_hi_u32 v3, s56, v2
	v_mul_lo_u32 v8, v2, s52
	v_dual_add_nc_u32 v3, v2, v3 :: v_dual_sub_nc_u32 v8, v1, v8
	s_delay_alu instid0(VALU_DEP_1) | instskip(NEXT) | instid1(VALU_DEP_2)
	v_lshrrev_b32_e32 v1, s57, v3
	v_mad_u32 v5, v8, s45, v5
	v_mad_u32 v4, v8, s44, v4
	;; [unrolled: 1-line block ×4, first 2 shown]
	v_mul_lo_u32 v3, v1, s55
	s_delay_alu instid0(VALU_DEP_1) | instskip(NEXT) | instid1(VALU_DEP_1)
	v_sub_nc_u32_e32 v2, v2, v3
	v_mad_u32 v5, v2, s49, v5
	v_mad_u32 v4, v2, s48, v4
	;; [unrolled: 1-line block ×4, first 2 shown]
	s_cbranch_scc1 .LBB45_12
; %bb.13:
	s_bitcmp1_b32 s39, 0
	s_cselect_b32 s42, -1, 0
	s_delay_alu instid0(SALU_CYCLE_1)
	s_and_b32 vcc_lo, exec_lo, s42
	s_cbranch_vccnz .LBB45_17
; %bb.14:
	s_load_b96 s[48:50], s[30:31], 0x4
	s_load_b128 s[44:47], s[28:29], 0xe4
	s_wait_xcnt 0x0
	s_wait_kmcnt 0x0
	v_mul_hi_u32 v2, s49, v1
	s_delay_alu instid0(VALU_DEP_1) | instskip(NEXT) | instid1(VALU_DEP_1)
	v_add_nc_u32_e32 v2, v1, v2
	v_lshrrev_b32_e32 v2, s50, v2
	s_delay_alu instid0(VALU_DEP_1) | instskip(NEXT) | instid1(VALU_DEP_1)
	v_mul_lo_u32 v2, v2, s48
	v_sub_nc_u32_e32 v1, v1, v2
	s_delay_alu instid0(VALU_DEP_1)
	v_mad_u32 v4, v1, s44, v4
	v_mad_u32 v5, v1, s45, v5
	;; [unrolled: 1-line block ×4, first 2 shown]
	s_cbranch_execz .LBB45_18
	s_branch .LBB45_20
.LBB45_15:
                                        ; implicit-def: $vgpr5
                                        ; implicit-def: $vgpr4
                                        ; implicit-def: $vgpr7
                                        ; implicit-def: $vgpr6
	s_branch .LBB45_18
.LBB45_16:
	v_dual_mov_b32 v5, 0 :: v_dual_mov_b32 v4, 0
	v_dual_mov_b32 v7, 0 :: v_dual_mov_b32 v6, 0
.LBB45_17:
	s_cbranch_execnz .LBB45_20
.LBB45_18:
	v_mov_b32_e32 v1, 0
	s_and_not1_b32 vcc_lo, exec_lo, s38
	s_delay_alu instid0(VALU_DEP_1) | instskip(NEXT) | instid1(VALU_DEP_1)
	v_mul_u64_e32 v[2:3], s[24:25], v[0:1]
	v_add_nc_u32_e32 v2, v0, v3
	s_delay_alu instid0(VALU_DEP_1) | instskip(NEXT) | instid1(VALU_DEP_1)
	v_lshrrev_b32_e32 v2, s18, v2
	v_mul_lo_u32 v3, v2, s16
	s_delay_alu instid0(VALU_DEP_1) | instskip(NEXT) | instid1(VALU_DEP_1)
	v_sub_nc_u32_e32 v3, v0, v3
	v_mul_lo_u32 v5, v3, s9
	v_mul_lo_u32 v4, v3, s8
	v_mul_lo_u32 v7, v3, s11
	v_mul_lo_u32 v6, v3, s10
	s_cbranch_vccnz .LBB45_20
; %bb.19:
	v_mov_b32_e32 v3, v1
	s_delay_alu instid0(VALU_DEP_1) | instskip(NEXT) | instid1(VALU_DEP_1)
	v_mul_u64_e32 v[8:9], s[26:27], v[2:3]
	v_add_nc_u32_e32 v1, v2, v9
	s_delay_alu instid0(VALU_DEP_1) | instskip(NEXT) | instid1(VALU_DEP_1)
	v_lshrrev_b32_e32 v1, s23, v1
	v_mul_lo_u32 v1, v1, s19
	s_delay_alu instid0(VALU_DEP_1) | instskip(NEXT) | instid1(VALU_DEP_1)
	v_sub_nc_u32_e32 v1, v2, v1
	v_mad_u32 v4, v1, s12, v4
	v_mad_u32 v5, v1, s13, v5
	;; [unrolled: 1-line block ×4, first 2 shown]
.LBB45_20:
	global_load_u8 v1, v5, s[2:3]
	global_load_u8 v2, v6, s[4:5]
	;; [unrolled: 1-line block ×3, first 2 shown]
	v_add_nc_u32_e32 v0, 0x80, v0
	s_wait_loadcnt 0x2
	v_mul_lo_u16 v1, v1, s37
	s_wait_loadcnt 0x1
	v_mul_lo_u16 v2, v2, s17
	s_wait_loadcnt 0x0
	s_delay_alu instid0(VALU_DEP_1) | instskip(SKIP_3) | instid1(SALU_CYCLE_1)
	v_mad_u16 v1, v2, v3, v1
	global_store_b8 v4, v1, s[0:1]
	s_wait_xcnt 0x0
	s_or_b32 exec_lo, exec_lo, s22
	s_mov_b32 s22, exec_lo
	v_cmpx_gt_i32_e64 s40, v0
	s_cbranch_execz .LBB45_3
.LBB45_21:
	s_and_not1_b32 vcc_lo, exec_lo, s35
	s_cbranch_vccnz .LBB45_27
; %bb.22:
	s_and_not1_b32 vcc_lo, exec_lo, s41
	s_cbranch_vccnz .LBB45_28
; %bb.23:
	v_dual_mov_b32 v6, 0 :: v_dual_mov_b32 v1, v0
	v_dual_mov_b32 v7, 0 :: v_dual_mov_b32 v4, 0
	v_mov_b32_e32 v5, 0
	s_add_co_i32 s30, s39, 1
	s_mov_b64 s[28:29], 0xffffffffffffffe0
	s_and_b32 s42, s30, 30
	s_add_nc_u64 s[28:29], s[20:21], s[28:29]
	s_mov_b64 s[30:31], s[20:21]
.LBB45_24:                              ; =>This Inner Loop Header: Depth=1
	s_clause 0x1
	s_load_b128 s[52:55], s[30:31], 0x4
	s_load_b64 s[56:57], s[30:31], 0x14
	s_load_b256 s[44:51], s[28:29], 0xe4
	s_add_co_i32 s42, s42, -2
	s_wait_xcnt 0x0
	s_add_nc_u64 s[30:31], s[30:31], 24
	s_cmp_eq_u32 s42, 0
	s_add_nc_u64 s[28:29], s[28:29], 32
	s_wait_kmcnt 0x0
	v_mul_hi_u32 v2, s53, v1
	s_delay_alu instid0(VALU_DEP_1) | instskip(NEXT) | instid1(VALU_DEP_1)
	v_add_nc_u32_e32 v2, v1, v2
	v_lshrrev_b32_e32 v2, s54, v2
	s_delay_alu instid0(VALU_DEP_1) | instskip(SKIP_1) | instid1(VALU_DEP_1)
	v_mul_hi_u32 v3, s56, v2
	v_mul_lo_u32 v8, v2, s52
	v_dual_add_nc_u32 v3, v2, v3 :: v_dual_sub_nc_u32 v8, v1, v8
	s_delay_alu instid0(VALU_DEP_1) | instskip(NEXT) | instid1(VALU_DEP_2)
	v_lshrrev_b32_e32 v1, s57, v3
	v_mad_u32 v5, v8, s45, v5
	v_mad_u32 v4, v8, s44, v4
	;; [unrolled: 1-line block ×4, first 2 shown]
	v_mul_lo_u32 v3, v1, s55
	s_delay_alu instid0(VALU_DEP_1) | instskip(NEXT) | instid1(VALU_DEP_1)
	v_sub_nc_u32_e32 v2, v2, v3
	v_mad_u32 v5, v2, s49, v5
	v_mad_u32 v4, v2, s48, v4
	;; [unrolled: 1-line block ×4, first 2 shown]
	s_cbranch_scc0 .LBB45_24
; %bb.25:
	s_bitcmp1_b32 s39, 0
	s_cselect_b32 s42, -1, 0
	s_delay_alu instid0(SALU_CYCLE_1)
	s_and_b32 vcc_lo, exec_lo, s42
	s_cbranch_vccnz .LBB45_29
; %bb.26:
	s_load_b96 s[48:50], s[30:31], 0x4
	s_load_b128 s[44:47], s[28:29], 0xe4
	s_wait_kmcnt 0x0
	v_mul_hi_u32 v2, s49, v1
	s_delay_alu instid0(VALU_DEP_1) | instskip(NEXT) | instid1(VALU_DEP_1)
	v_add_nc_u32_e32 v2, v1, v2
	v_lshrrev_b32_e32 v2, s50, v2
	s_delay_alu instid0(VALU_DEP_1) | instskip(NEXT) | instid1(VALU_DEP_1)
	v_mul_lo_u32 v2, v2, s48
	v_sub_nc_u32_e32 v1, v1, v2
	s_delay_alu instid0(VALU_DEP_1)
	v_mad_u32 v4, v1, s44, v4
	v_mad_u32 v5, v1, s45, v5
	;; [unrolled: 1-line block ×4, first 2 shown]
	s_branch .LBB45_29
.LBB45_27:
                                        ; implicit-def: $vgpr5
                                        ; implicit-def: $vgpr4
                                        ; implicit-def: $vgpr7
                                        ; implicit-def: $vgpr6
	s_branch .LBB45_30
.LBB45_28:
	v_dual_mov_b32 v5, 0 :: v_dual_mov_b32 v4, 0
	v_dual_mov_b32 v7, 0 :: v_dual_mov_b32 v6, 0
.LBB45_29:
	s_cbranch_execnz .LBB45_32
.LBB45_30:
	v_mov_b32_e32 v1, 0
	s_and_not1_b32 vcc_lo, exec_lo, s38
	s_delay_alu instid0(VALU_DEP_1) | instskip(NEXT) | instid1(VALU_DEP_1)
	v_mul_u64_e32 v[2:3], s[24:25], v[0:1]
	v_add_nc_u32_e32 v2, v0, v3
	s_delay_alu instid0(VALU_DEP_1) | instskip(NEXT) | instid1(VALU_DEP_1)
	v_lshrrev_b32_e32 v2, s18, v2
	v_mul_lo_u32 v3, v2, s16
	s_delay_alu instid0(VALU_DEP_1) | instskip(NEXT) | instid1(VALU_DEP_1)
	v_sub_nc_u32_e32 v3, v0, v3
	v_mul_lo_u32 v5, v3, s9
	v_mul_lo_u32 v4, v3, s8
	;; [unrolled: 1-line block ×4, first 2 shown]
	s_cbranch_vccnz .LBB45_32
; %bb.31:
	v_mov_b32_e32 v3, v1
	s_delay_alu instid0(VALU_DEP_1) | instskip(NEXT) | instid1(VALU_DEP_1)
	v_mul_u64_e32 v[8:9], s[26:27], v[2:3]
	v_add_nc_u32_e32 v1, v2, v9
	s_delay_alu instid0(VALU_DEP_1) | instskip(NEXT) | instid1(VALU_DEP_1)
	v_lshrrev_b32_e32 v1, s23, v1
	v_mul_lo_u32 v1, v1, s19
	s_delay_alu instid0(VALU_DEP_1) | instskip(NEXT) | instid1(VALU_DEP_1)
	v_sub_nc_u32_e32 v1, v2, v1
	v_mad_u32 v4, v1, s12, v4
	v_mad_u32 v5, v1, s13, v5
	;; [unrolled: 1-line block ×4, first 2 shown]
.LBB45_32:
	global_load_u8 v1, v5, s[2:3]
	global_load_u8 v2, v6, s[4:5]
	;; [unrolled: 1-line block ×3, first 2 shown]
	v_add_nc_u32_e32 v0, 0x80, v0
	s_wait_loadcnt 0x2
	v_mul_lo_u16 v1, v1, s37
	s_wait_loadcnt 0x1
	v_mul_lo_u16 v2, v2, s17
	s_wait_loadcnt 0x0
	s_delay_alu instid0(VALU_DEP_1) | instskip(SKIP_3) | instid1(SALU_CYCLE_1)
	v_mad_u16 v1, v2, v3, v1
	global_store_b8 v4, v1, s[0:1]
	s_wait_xcnt 0x0
	s_or_b32 exec_lo, exec_lo, s22
	s_mov_b32 s22, exec_lo
	v_cmpx_gt_i32_e64 s40, v0
	s_cbranch_execz .LBB45_4
.LBB45_33:
	s_and_not1_b32 vcc_lo, exec_lo, s35
	s_cbranch_vccnz .LBB45_39
; %bb.34:
	s_and_not1_b32 vcc_lo, exec_lo, s41
	s_cbranch_vccnz .LBB45_40
; %bb.35:
	v_dual_mov_b32 v6, 0 :: v_dual_mov_b32 v1, v0
	v_dual_mov_b32 v7, 0 :: v_dual_mov_b32 v4, 0
	v_mov_b32_e32 v5, 0
	s_add_co_i32 s30, s39, 1
	s_mov_b64 s[28:29], 0xffffffffffffffe0
	s_and_b32 s42, s30, 30
	s_add_nc_u64 s[28:29], s[20:21], s[28:29]
	s_mov_b64 s[30:31], s[20:21]
.LBB45_36:                              ; =>This Inner Loop Header: Depth=1
	s_clause 0x1
	s_load_b128 s[52:55], s[30:31], 0x4
	s_load_b64 s[56:57], s[30:31], 0x14
	s_load_b256 s[44:51], s[28:29], 0xe4
	s_add_co_i32 s42, s42, -2
	s_wait_xcnt 0x0
	s_add_nc_u64 s[30:31], s[30:31], 24
	s_cmp_eq_u32 s42, 0
	s_add_nc_u64 s[28:29], s[28:29], 32
	s_wait_kmcnt 0x0
	v_mul_hi_u32 v2, s53, v1
	s_delay_alu instid0(VALU_DEP_1) | instskip(NEXT) | instid1(VALU_DEP_1)
	v_add_nc_u32_e32 v2, v1, v2
	v_lshrrev_b32_e32 v2, s54, v2
	s_delay_alu instid0(VALU_DEP_1) | instskip(SKIP_1) | instid1(VALU_DEP_1)
	v_mul_hi_u32 v3, s56, v2
	v_mul_lo_u32 v8, v2, s52
	v_dual_add_nc_u32 v3, v2, v3 :: v_dual_sub_nc_u32 v8, v1, v8
	s_delay_alu instid0(VALU_DEP_1) | instskip(NEXT) | instid1(VALU_DEP_2)
	v_lshrrev_b32_e32 v1, s57, v3
	v_mad_u32 v5, v8, s45, v5
	v_mad_u32 v4, v8, s44, v4
	v_mad_u32 v7, v8, s47, v7
	v_mad_u32 v6, v8, s46, v6
	v_mul_lo_u32 v3, v1, s55
	s_delay_alu instid0(VALU_DEP_1) | instskip(NEXT) | instid1(VALU_DEP_1)
	v_sub_nc_u32_e32 v2, v2, v3
	v_mad_u32 v5, v2, s49, v5
	v_mad_u32 v4, v2, s48, v4
	;; [unrolled: 1-line block ×4, first 2 shown]
	s_cbranch_scc0 .LBB45_36
; %bb.37:
	s_bitcmp1_b32 s39, 0
	s_cselect_b32 s42, -1, 0
	s_delay_alu instid0(SALU_CYCLE_1)
	s_and_b32 vcc_lo, exec_lo, s42
	s_cbranch_vccnz .LBB45_41
; %bb.38:
	s_load_b96 s[48:50], s[30:31], 0x4
	s_load_b128 s[44:47], s[28:29], 0xe4
	s_wait_kmcnt 0x0
	v_mul_hi_u32 v2, s49, v1
	s_delay_alu instid0(VALU_DEP_1) | instskip(NEXT) | instid1(VALU_DEP_1)
	v_add_nc_u32_e32 v2, v1, v2
	v_lshrrev_b32_e32 v2, s50, v2
	s_delay_alu instid0(VALU_DEP_1) | instskip(NEXT) | instid1(VALU_DEP_1)
	v_mul_lo_u32 v2, v2, s48
	v_sub_nc_u32_e32 v1, v1, v2
	s_delay_alu instid0(VALU_DEP_1)
	v_mad_u32 v4, v1, s44, v4
	v_mad_u32 v5, v1, s45, v5
	;; [unrolled: 1-line block ×4, first 2 shown]
	s_branch .LBB45_41
.LBB45_39:
                                        ; implicit-def: $vgpr5
                                        ; implicit-def: $vgpr4
                                        ; implicit-def: $vgpr7
                                        ; implicit-def: $vgpr6
	s_branch .LBB45_42
.LBB45_40:
	v_dual_mov_b32 v5, 0 :: v_dual_mov_b32 v4, 0
	v_dual_mov_b32 v7, 0 :: v_dual_mov_b32 v6, 0
.LBB45_41:
	s_cbranch_execnz .LBB45_44
.LBB45_42:
	v_mov_b32_e32 v1, 0
	s_and_not1_b32 vcc_lo, exec_lo, s38
	s_delay_alu instid0(VALU_DEP_1) | instskip(NEXT) | instid1(VALU_DEP_1)
	v_mul_u64_e32 v[2:3], s[24:25], v[0:1]
	v_add_nc_u32_e32 v2, v0, v3
	s_delay_alu instid0(VALU_DEP_1) | instskip(NEXT) | instid1(VALU_DEP_1)
	v_lshrrev_b32_e32 v2, s18, v2
	v_mul_lo_u32 v3, v2, s16
	s_delay_alu instid0(VALU_DEP_1) | instskip(NEXT) | instid1(VALU_DEP_1)
	v_sub_nc_u32_e32 v3, v0, v3
	v_mul_lo_u32 v5, v3, s9
	v_mul_lo_u32 v4, v3, s8
	;; [unrolled: 1-line block ×4, first 2 shown]
	s_cbranch_vccnz .LBB45_44
; %bb.43:
	v_mov_b32_e32 v3, v1
	s_delay_alu instid0(VALU_DEP_1) | instskip(NEXT) | instid1(VALU_DEP_1)
	v_mul_u64_e32 v[8:9], s[26:27], v[2:3]
	v_add_nc_u32_e32 v1, v2, v9
	s_delay_alu instid0(VALU_DEP_1) | instskip(NEXT) | instid1(VALU_DEP_1)
	v_lshrrev_b32_e32 v1, s23, v1
	v_mul_lo_u32 v1, v1, s19
	s_delay_alu instid0(VALU_DEP_1) | instskip(NEXT) | instid1(VALU_DEP_1)
	v_sub_nc_u32_e32 v1, v2, v1
	v_mad_u32 v4, v1, s12, v4
	v_mad_u32 v5, v1, s13, v5
	;; [unrolled: 1-line block ×4, first 2 shown]
.LBB45_44:
	global_load_u8 v1, v5, s[2:3]
	global_load_u8 v2, v6, s[4:5]
	;; [unrolled: 1-line block ×3, first 2 shown]
	v_add_nc_u32_e32 v0, 0x80, v0
	s_wait_loadcnt 0x2
	v_mul_lo_u16 v1, v1, s37
	s_wait_loadcnt 0x1
	v_mul_lo_u16 v2, v2, s17
	s_wait_loadcnt 0x0
	s_delay_alu instid0(VALU_DEP_1) | instskip(SKIP_3) | instid1(SALU_CYCLE_1)
	v_mad_u16 v1, v2, v3, v1
	global_store_b8 v4, v1, s[0:1]
	s_wait_xcnt 0x0
	s_or_b32 exec_lo, exec_lo, s22
	s_mov_b32 s22, exec_lo
	v_cmpx_gt_i32_e64 s40, v0
	s_cbranch_execz .LBB45_5
.LBB45_45:
	s_and_not1_b32 vcc_lo, exec_lo, s35
	s_cbranch_vccnz .LBB45_51
; %bb.46:
	s_and_not1_b32 vcc_lo, exec_lo, s41
	s_cbranch_vccnz .LBB45_52
; %bb.47:
	v_dual_mov_b32 v5, 0 :: v_dual_mov_b32 v1, v0
	v_dual_mov_b32 v7, 0 :: v_dual_mov_b32 v4, 0
	v_mov_b32_e32 v6, 0
	s_add_co_i32 s30, s39, 1
	s_mov_b64 s[28:29], 0xffffffffffffffe0
	s_and_b32 s42, s30, 30
	s_add_nc_u64 s[28:29], s[20:21], s[28:29]
	s_mov_b64 s[30:31], s[20:21]
.LBB45_48:                              ; =>This Inner Loop Header: Depth=1
	s_clause 0x1
	s_load_b128 s[52:55], s[30:31], 0x4
	s_load_b64 s[56:57], s[30:31], 0x14
	s_load_b256 s[44:51], s[28:29], 0xe4
	s_add_co_i32 s42, s42, -2
	s_wait_xcnt 0x0
	s_add_nc_u64 s[30:31], s[30:31], 24
	s_cmp_eq_u32 s42, 0
	s_add_nc_u64 s[28:29], s[28:29], 32
	s_wait_kmcnt 0x0
	v_mul_hi_u32 v2, s53, v1
	s_delay_alu instid0(VALU_DEP_1) | instskip(NEXT) | instid1(VALU_DEP_1)
	v_add_nc_u32_e32 v2, v1, v2
	v_lshrrev_b32_e32 v2, s54, v2
	s_delay_alu instid0(VALU_DEP_1) | instskip(SKIP_1) | instid1(VALU_DEP_1)
	v_mul_hi_u32 v3, s56, v2
	v_mul_lo_u32 v8, v2, s52
	v_dual_add_nc_u32 v3, v2, v3 :: v_dual_sub_nc_u32 v8, v1, v8
	s_delay_alu instid0(VALU_DEP_1) | instskip(NEXT) | instid1(VALU_DEP_2)
	v_lshrrev_b32_e32 v1, s57, v3
	v_mad_u32 v6, v8, s45, v6
	v_mad_u32 v4, v8, s44, v4
	;; [unrolled: 1-line block ×4, first 2 shown]
	v_mul_lo_u32 v3, v1, s55
	s_delay_alu instid0(VALU_DEP_1) | instskip(NEXT) | instid1(VALU_DEP_1)
	v_sub_nc_u32_e32 v2, v2, v3
	v_mad_u32 v6, v2, s49, v6
	v_mad_u32 v4, v2, s48, v4
	;; [unrolled: 1-line block ×4, first 2 shown]
	s_cbranch_scc0 .LBB45_48
; %bb.49:
	s_bitcmp1_b32 s39, 0
	s_cselect_b32 s42, -1, 0
	s_delay_alu instid0(SALU_CYCLE_1)
	s_and_b32 vcc_lo, exec_lo, s42
	s_cbranch_vccnz .LBB45_53
; %bb.50:
	s_load_b96 s[48:50], s[30:31], 0x4
	s_load_b128 s[44:47], s[28:29], 0xe4
	s_wait_kmcnt 0x0
	v_mul_hi_u32 v2, s49, v1
	s_delay_alu instid0(VALU_DEP_1) | instskip(NEXT) | instid1(VALU_DEP_1)
	v_add_nc_u32_e32 v2, v1, v2
	v_lshrrev_b32_e32 v2, s50, v2
	s_delay_alu instid0(VALU_DEP_1) | instskip(NEXT) | instid1(VALU_DEP_1)
	v_mul_lo_u32 v2, v2, s48
	v_sub_nc_u32_e32 v1, v1, v2
	s_delay_alu instid0(VALU_DEP_1)
	v_mad_u32 v4, v1, s44, v4
	v_mad_u32 v6, v1, s45, v6
	;; [unrolled: 1-line block ×4, first 2 shown]
	s_branch .LBB45_53
.LBB45_51:
                                        ; implicit-def: $vgpr6
                                        ; implicit-def: $vgpr4
                                        ; implicit-def: $vgpr7
                                        ; implicit-def: $vgpr5
	s_branch .LBB45_54
.LBB45_52:
	v_dual_mov_b32 v6, 0 :: v_dual_mov_b32 v4, 0
	v_dual_mov_b32 v7, 0 :: v_dual_mov_b32 v5, 0
.LBB45_53:
	s_cbranch_execnz .LBB45_56
.LBB45_54:
	v_mov_b32_e32 v1, 0
	s_and_not1_b32 vcc_lo, exec_lo, s38
	s_delay_alu instid0(VALU_DEP_1) | instskip(NEXT) | instid1(VALU_DEP_1)
	v_mul_u64_e32 v[2:3], s[24:25], v[0:1]
	v_add_nc_u32_e32 v2, v0, v3
	s_delay_alu instid0(VALU_DEP_1) | instskip(NEXT) | instid1(VALU_DEP_1)
	v_lshrrev_b32_e32 v2, s18, v2
	v_mul_lo_u32 v3, v2, s16
	s_delay_alu instid0(VALU_DEP_1) | instskip(NEXT) | instid1(VALU_DEP_1)
	v_sub_nc_u32_e32 v3, v0, v3
	v_mul_lo_u32 v6, v3, s9
	v_mul_lo_u32 v4, v3, s8
	;; [unrolled: 1-line block ×4, first 2 shown]
	s_cbranch_vccnz .LBB45_56
; %bb.55:
	v_mov_b32_e32 v3, v1
	s_delay_alu instid0(VALU_DEP_1) | instskip(NEXT) | instid1(VALU_DEP_1)
	v_mul_u64_e32 v[8:9], s[26:27], v[2:3]
	v_add_nc_u32_e32 v1, v2, v9
	s_delay_alu instid0(VALU_DEP_1) | instskip(NEXT) | instid1(VALU_DEP_1)
	v_lshrrev_b32_e32 v1, s23, v1
	v_mul_lo_u32 v1, v1, s19
	s_delay_alu instid0(VALU_DEP_1) | instskip(NEXT) | instid1(VALU_DEP_1)
	v_sub_nc_u32_e32 v1, v2, v1
	v_mad_u32 v4, v1, s12, v4
	v_mad_u32 v6, v1, s13, v6
	;; [unrolled: 1-line block ×4, first 2 shown]
.LBB45_56:
	global_load_u8 v1, v6, s[2:3]
	global_load_u8 v2, v5, s[4:5]
	;; [unrolled: 1-line block ×3, first 2 shown]
	v_add_nc_u32_e32 v0, 0x80, v0
	s_wait_loadcnt 0x2
	v_mul_lo_u16 v1, v1, s37
	s_wait_loadcnt 0x1
	v_mul_lo_u16 v2, v2, s17
	s_wait_loadcnt 0x0
	s_delay_alu instid0(VALU_DEP_1) | instskip(SKIP_3) | instid1(SALU_CYCLE_1)
	v_mad_u16 v1, v2, v3, v1
	global_store_b8 v4, v1, s[0:1]
	s_wait_xcnt 0x0
	s_or_b32 exec_lo, exec_lo, s22
	s_mov_b32 s22, exec_lo
	v_cmpx_gt_i32_e64 s40, v0
	s_cbranch_execz .LBB45_6
.LBB45_57:
	s_and_not1_b32 vcc_lo, exec_lo, s35
	s_cbranch_vccnz .LBB45_63
; %bb.58:
	s_and_not1_b32 vcc_lo, exec_lo, s41
	s_cbranch_vccnz .LBB45_64
; %bb.59:
	v_dual_mov_b32 v6, 0 :: v_dual_mov_b32 v1, v0
	v_dual_mov_b32 v7, 0 :: v_dual_mov_b32 v4, 0
	v_mov_b32_e32 v5, 0
	s_add_co_i32 s30, s39, 1
	s_mov_b64 s[28:29], 0xffffffffffffffe0
	s_and_b32 s42, s30, 30
	s_add_nc_u64 s[28:29], s[20:21], s[28:29]
	s_mov_b64 s[30:31], s[20:21]
.LBB45_60:                              ; =>This Inner Loop Header: Depth=1
	s_clause 0x1
	s_load_b128 s[52:55], s[30:31], 0x4
	s_load_b64 s[56:57], s[30:31], 0x14
	s_load_b256 s[44:51], s[28:29], 0xe4
	s_add_co_i32 s42, s42, -2
	s_wait_xcnt 0x0
	s_add_nc_u64 s[30:31], s[30:31], 24
	s_cmp_eq_u32 s42, 0
	s_add_nc_u64 s[28:29], s[28:29], 32
	s_wait_kmcnt 0x0
	v_mul_hi_u32 v2, s53, v1
	s_delay_alu instid0(VALU_DEP_1) | instskip(NEXT) | instid1(VALU_DEP_1)
	v_add_nc_u32_e32 v2, v1, v2
	v_lshrrev_b32_e32 v2, s54, v2
	s_delay_alu instid0(VALU_DEP_1) | instskip(SKIP_1) | instid1(VALU_DEP_1)
	v_mul_hi_u32 v3, s56, v2
	v_mul_lo_u32 v8, v2, s52
	v_dual_add_nc_u32 v3, v2, v3 :: v_dual_sub_nc_u32 v8, v1, v8
	s_delay_alu instid0(VALU_DEP_1) | instskip(NEXT) | instid1(VALU_DEP_2)
	v_lshrrev_b32_e32 v1, s57, v3
	v_mad_u32 v5, v8, s45, v5
	v_mad_u32 v4, v8, s44, v4
	;; [unrolled: 1-line block ×4, first 2 shown]
	v_mul_lo_u32 v3, v1, s55
	s_delay_alu instid0(VALU_DEP_1) | instskip(NEXT) | instid1(VALU_DEP_1)
	v_sub_nc_u32_e32 v2, v2, v3
	v_mad_u32 v5, v2, s49, v5
	v_mad_u32 v4, v2, s48, v4
	;; [unrolled: 1-line block ×4, first 2 shown]
	s_cbranch_scc0 .LBB45_60
; %bb.61:
	s_bitcmp1_b32 s39, 0
	s_cselect_b32 s42, -1, 0
	s_delay_alu instid0(SALU_CYCLE_1)
	s_and_b32 vcc_lo, exec_lo, s42
	s_cbranch_vccnz .LBB45_65
; %bb.62:
	s_load_b96 s[48:50], s[30:31], 0x4
	s_load_b128 s[44:47], s[28:29], 0xe4
	s_wait_kmcnt 0x0
	v_mul_hi_u32 v2, s49, v1
	s_delay_alu instid0(VALU_DEP_1) | instskip(NEXT) | instid1(VALU_DEP_1)
	v_add_nc_u32_e32 v2, v1, v2
	v_lshrrev_b32_e32 v2, s50, v2
	s_delay_alu instid0(VALU_DEP_1) | instskip(NEXT) | instid1(VALU_DEP_1)
	v_mul_lo_u32 v2, v2, s48
	v_sub_nc_u32_e32 v1, v1, v2
	s_delay_alu instid0(VALU_DEP_1)
	v_mad_u32 v4, v1, s44, v4
	v_mad_u32 v5, v1, s45, v5
	v_mad_u32 v6, v1, s46, v6
	v_mad_u32 v7, v1, s47, v7
	s_branch .LBB45_65
.LBB45_63:
                                        ; implicit-def: $vgpr5
                                        ; implicit-def: $vgpr4
                                        ; implicit-def: $vgpr7
                                        ; implicit-def: $vgpr6
	s_branch .LBB45_66
.LBB45_64:
	v_dual_mov_b32 v5, 0 :: v_dual_mov_b32 v4, 0
	v_dual_mov_b32 v7, 0 :: v_dual_mov_b32 v6, 0
.LBB45_65:
	s_cbranch_execnz .LBB45_68
.LBB45_66:
	v_mov_b32_e32 v1, 0
	s_and_not1_b32 vcc_lo, exec_lo, s38
	s_delay_alu instid0(VALU_DEP_1) | instskip(NEXT) | instid1(VALU_DEP_1)
	v_mul_u64_e32 v[2:3], s[24:25], v[0:1]
	v_add_nc_u32_e32 v2, v0, v3
	s_delay_alu instid0(VALU_DEP_1) | instskip(NEXT) | instid1(VALU_DEP_1)
	v_lshrrev_b32_e32 v2, s18, v2
	v_mul_lo_u32 v3, v2, s16
	s_delay_alu instid0(VALU_DEP_1) | instskip(NEXT) | instid1(VALU_DEP_1)
	v_sub_nc_u32_e32 v3, v0, v3
	v_mul_lo_u32 v5, v3, s9
	v_mul_lo_u32 v4, v3, s8
	;; [unrolled: 1-line block ×4, first 2 shown]
	s_cbranch_vccnz .LBB45_68
; %bb.67:
	v_mov_b32_e32 v3, v1
	s_delay_alu instid0(VALU_DEP_1) | instskip(NEXT) | instid1(VALU_DEP_1)
	v_mul_u64_e32 v[8:9], s[26:27], v[2:3]
	v_add_nc_u32_e32 v1, v2, v9
	s_delay_alu instid0(VALU_DEP_1) | instskip(NEXT) | instid1(VALU_DEP_1)
	v_lshrrev_b32_e32 v1, s23, v1
	v_mul_lo_u32 v1, v1, s19
	s_delay_alu instid0(VALU_DEP_1) | instskip(NEXT) | instid1(VALU_DEP_1)
	v_sub_nc_u32_e32 v1, v2, v1
	v_mad_u32 v4, v1, s12, v4
	v_mad_u32 v5, v1, s13, v5
	;; [unrolled: 1-line block ×4, first 2 shown]
.LBB45_68:
	global_load_u8 v1, v5, s[2:3]
	global_load_u8 v2, v6, s[4:5]
	;; [unrolled: 1-line block ×3, first 2 shown]
	v_add_nc_u32_e32 v0, 0x80, v0
	s_wait_loadcnt 0x2
	v_mul_lo_u16 v1, v1, s37
	s_wait_loadcnt 0x1
	v_mul_lo_u16 v2, v2, s17
	s_wait_loadcnt 0x0
	s_delay_alu instid0(VALU_DEP_1) | instskip(SKIP_3) | instid1(SALU_CYCLE_1)
	v_mad_u16 v1, v2, v3, v1
	global_store_b8 v4, v1, s[0:1]
	s_wait_xcnt 0x0
	s_or_b32 exec_lo, exec_lo, s22
	s_mov_b32 s22, exec_lo
	v_cmpx_gt_i32_e64 s40, v0
	s_cbranch_execz .LBB45_7
.LBB45_69:
	s_and_not1_b32 vcc_lo, exec_lo, s35
	s_cbranch_vccnz .LBB45_75
; %bb.70:
	s_and_not1_b32 vcc_lo, exec_lo, s41
	s_cbranch_vccnz .LBB45_76
; %bb.71:
	v_dual_mov_b32 v6, 0 :: v_dual_mov_b32 v1, v0
	v_dual_mov_b32 v7, 0 :: v_dual_mov_b32 v4, 0
	v_mov_b32_e32 v5, 0
	s_add_co_i32 s30, s39, 1
	s_mov_b64 s[28:29], 0xffffffffffffffe0
	s_and_b32 s42, s30, 30
	s_add_nc_u64 s[28:29], s[20:21], s[28:29]
	s_mov_b64 s[30:31], s[20:21]
.LBB45_72:                              ; =>This Inner Loop Header: Depth=1
	s_clause 0x1
	s_load_b128 s[52:55], s[30:31], 0x4
	s_load_b64 s[56:57], s[30:31], 0x14
	s_load_b256 s[44:51], s[28:29], 0xe4
	s_add_co_i32 s42, s42, -2
	s_wait_xcnt 0x0
	s_add_nc_u64 s[30:31], s[30:31], 24
	s_cmp_eq_u32 s42, 0
	s_add_nc_u64 s[28:29], s[28:29], 32
	s_wait_kmcnt 0x0
	v_mul_hi_u32 v2, s53, v1
	s_delay_alu instid0(VALU_DEP_1) | instskip(NEXT) | instid1(VALU_DEP_1)
	v_add_nc_u32_e32 v2, v1, v2
	v_lshrrev_b32_e32 v2, s54, v2
	s_delay_alu instid0(VALU_DEP_1) | instskip(SKIP_1) | instid1(VALU_DEP_1)
	v_mul_hi_u32 v3, s56, v2
	v_mul_lo_u32 v8, v2, s52
	v_dual_add_nc_u32 v3, v2, v3 :: v_dual_sub_nc_u32 v8, v1, v8
	s_delay_alu instid0(VALU_DEP_1) | instskip(NEXT) | instid1(VALU_DEP_2)
	v_lshrrev_b32_e32 v1, s57, v3
	v_mad_u32 v5, v8, s45, v5
	v_mad_u32 v4, v8, s44, v4
	v_mad_u32 v7, v8, s47, v7
	v_mad_u32 v6, v8, s46, v6
	v_mul_lo_u32 v3, v1, s55
	s_delay_alu instid0(VALU_DEP_1) | instskip(NEXT) | instid1(VALU_DEP_1)
	v_sub_nc_u32_e32 v2, v2, v3
	v_mad_u32 v5, v2, s49, v5
	v_mad_u32 v4, v2, s48, v4
	;; [unrolled: 1-line block ×4, first 2 shown]
	s_cbranch_scc0 .LBB45_72
; %bb.73:
	s_bitcmp1_b32 s39, 0
	s_cselect_b32 s42, -1, 0
	s_delay_alu instid0(SALU_CYCLE_1)
	s_and_b32 vcc_lo, exec_lo, s42
	s_cbranch_vccnz .LBB45_77
; %bb.74:
	s_load_b96 s[48:50], s[30:31], 0x4
	s_load_b128 s[44:47], s[28:29], 0xe4
	s_wait_kmcnt 0x0
	v_mul_hi_u32 v2, s49, v1
	s_delay_alu instid0(VALU_DEP_1) | instskip(NEXT) | instid1(VALU_DEP_1)
	v_add_nc_u32_e32 v2, v1, v2
	v_lshrrev_b32_e32 v2, s50, v2
	s_delay_alu instid0(VALU_DEP_1) | instskip(NEXT) | instid1(VALU_DEP_1)
	v_mul_lo_u32 v2, v2, s48
	v_sub_nc_u32_e32 v1, v1, v2
	s_delay_alu instid0(VALU_DEP_1)
	v_mad_u32 v4, v1, s44, v4
	v_mad_u32 v5, v1, s45, v5
	;; [unrolled: 1-line block ×4, first 2 shown]
	s_branch .LBB45_77
.LBB45_75:
                                        ; implicit-def: $vgpr5
                                        ; implicit-def: $vgpr4
                                        ; implicit-def: $vgpr7
                                        ; implicit-def: $vgpr6
	s_branch .LBB45_78
.LBB45_76:
	v_dual_mov_b32 v5, 0 :: v_dual_mov_b32 v4, 0
	v_dual_mov_b32 v7, 0 :: v_dual_mov_b32 v6, 0
.LBB45_77:
	s_cbranch_execnz .LBB45_80
.LBB45_78:
	v_mov_b32_e32 v1, 0
	s_and_not1_b32 vcc_lo, exec_lo, s38
	s_delay_alu instid0(VALU_DEP_1) | instskip(NEXT) | instid1(VALU_DEP_1)
	v_mul_u64_e32 v[2:3], s[24:25], v[0:1]
	v_add_nc_u32_e32 v2, v0, v3
	s_delay_alu instid0(VALU_DEP_1) | instskip(NEXT) | instid1(VALU_DEP_1)
	v_lshrrev_b32_e32 v2, s18, v2
	v_mul_lo_u32 v3, v2, s16
	s_delay_alu instid0(VALU_DEP_1) | instskip(NEXT) | instid1(VALU_DEP_1)
	v_sub_nc_u32_e32 v3, v0, v3
	v_mul_lo_u32 v5, v3, s9
	v_mul_lo_u32 v4, v3, s8
	;; [unrolled: 1-line block ×4, first 2 shown]
	s_cbranch_vccnz .LBB45_80
; %bb.79:
	v_mov_b32_e32 v3, v1
	s_delay_alu instid0(VALU_DEP_1) | instskip(NEXT) | instid1(VALU_DEP_1)
	v_mul_u64_e32 v[8:9], s[26:27], v[2:3]
	v_add_nc_u32_e32 v1, v2, v9
	s_delay_alu instid0(VALU_DEP_1) | instskip(NEXT) | instid1(VALU_DEP_1)
	v_lshrrev_b32_e32 v1, s23, v1
	v_mul_lo_u32 v1, v1, s19
	s_delay_alu instid0(VALU_DEP_1) | instskip(NEXT) | instid1(VALU_DEP_1)
	v_sub_nc_u32_e32 v1, v2, v1
	v_mad_u32 v4, v1, s12, v4
	v_mad_u32 v5, v1, s13, v5
	v_mad_u32 v6, v1, s14, v6
	v_mad_u32 v7, v1, s15, v7
.LBB45_80:
	global_load_u8 v1, v5, s[2:3]
	global_load_u8 v2, v6, s[4:5]
	;; [unrolled: 1-line block ×3, first 2 shown]
	v_add_nc_u32_e32 v0, 0x80, v0
	s_wait_loadcnt 0x2
	v_mul_lo_u16 v1, v1, s37
	s_wait_loadcnt 0x1
	v_mul_lo_u16 v2, v2, s17
	s_wait_loadcnt 0x0
	s_delay_alu instid0(VALU_DEP_1) | instskip(SKIP_3) | instid1(SALU_CYCLE_1)
	v_mad_u16 v1, v2, v3, v1
	global_store_b8 v4, v1, s[0:1]
	s_wait_xcnt 0x0
	s_or_b32 exec_lo, exec_lo, s22
	s_mov_b32 s22, exec_lo
	v_cmpx_gt_i32_e64 s40, v0
	s_cbranch_execz .LBB45_8
.LBB45_81:
	s_and_not1_b32 vcc_lo, exec_lo, s35
	s_cbranch_vccnz .LBB45_87
; %bb.82:
	s_and_not1_b32 vcc_lo, exec_lo, s41
	s_cbranch_vccnz .LBB45_88
; %bb.83:
	v_dual_mov_b32 v5, 0 :: v_dual_mov_b32 v1, v0
	v_dual_mov_b32 v7, 0 :: v_dual_mov_b32 v4, 0
	v_mov_b32_e32 v6, 0
	s_add_co_i32 s30, s39, 1
	s_mov_b64 s[28:29], 0xffffffffffffffe0
	s_and_b32 s42, s30, 30
	s_add_nc_u64 s[28:29], s[20:21], s[28:29]
	s_mov_b64 s[30:31], s[20:21]
.LBB45_84:                              ; =>This Inner Loop Header: Depth=1
	s_clause 0x1
	s_load_b128 s[52:55], s[30:31], 0x4
	s_load_b64 s[56:57], s[30:31], 0x14
	s_load_b256 s[44:51], s[28:29], 0xe4
	s_add_co_i32 s42, s42, -2
	s_wait_xcnt 0x0
	s_add_nc_u64 s[30:31], s[30:31], 24
	s_cmp_eq_u32 s42, 0
	s_add_nc_u64 s[28:29], s[28:29], 32
	s_wait_kmcnt 0x0
	v_mul_hi_u32 v2, s53, v1
	s_delay_alu instid0(VALU_DEP_1) | instskip(NEXT) | instid1(VALU_DEP_1)
	v_add_nc_u32_e32 v2, v1, v2
	v_lshrrev_b32_e32 v2, s54, v2
	s_delay_alu instid0(VALU_DEP_1) | instskip(SKIP_1) | instid1(VALU_DEP_1)
	v_mul_hi_u32 v3, s56, v2
	v_mul_lo_u32 v8, v2, s52
	v_dual_add_nc_u32 v3, v2, v3 :: v_dual_sub_nc_u32 v8, v1, v8
	s_delay_alu instid0(VALU_DEP_1) | instskip(NEXT) | instid1(VALU_DEP_2)
	v_lshrrev_b32_e32 v1, s57, v3
	v_mad_u32 v6, v8, s45, v6
	v_mad_u32 v4, v8, s44, v4
	;; [unrolled: 1-line block ×4, first 2 shown]
	v_mul_lo_u32 v3, v1, s55
	s_delay_alu instid0(VALU_DEP_1) | instskip(NEXT) | instid1(VALU_DEP_1)
	v_sub_nc_u32_e32 v2, v2, v3
	v_mad_u32 v6, v2, s49, v6
	v_mad_u32 v4, v2, s48, v4
	;; [unrolled: 1-line block ×4, first 2 shown]
	s_cbranch_scc0 .LBB45_84
; %bb.85:
	s_bitcmp1_b32 s39, 0
	s_cselect_b32 s42, -1, 0
	s_delay_alu instid0(SALU_CYCLE_1)
	s_and_b32 vcc_lo, exec_lo, s42
	s_cbranch_vccnz .LBB45_89
; %bb.86:
	s_load_b96 s[48:50], s[30:31], 0x4
	s_load_b128 s[44:47], s[28:29], 0xe4
	s_wait_kmcnt 0x0
	v_mul_hi_u32 v2, s49, v1
	s_delay_alu instid0(VALU_DEP_1) | instskip(NEXT) | instid1(VALU_DEP_1)
	v_add_nc_u32_e32 v2, v1, v2
	v_lshrrev_b32_e32 v2, s50, v2
	s_delay_alu instid0(VALU_DEP_1) | instskip(NEXT) | instid1(VALU_DEP_1)
	v_mul_lo_u32 v2, v2, s48
	v_sub_nc_u32_e32 v1, v1, v2
	s_delay_alu instid0(VALU_DEP_1)
	v_mad_u32 v4, v1, s44, v4
	v_mad_u32 v6, v1, s45, v6
	;; [unrolled: 1-line block ×4, first 2 shown]
	s_branch .LBB45_89
.LBB45_87:
                                        ; implicit-def: $vgpr6
                                        ; implicit-def: $vgpr4
                                        ; implicit-def: $vgpr7
                                        ; implicit-def: $vgpr5
	s_branch .LBB45_90
.LBB45_88:
	v_dual_mov_b32 v6, 0 :: v_dual_mov_b32 v4, 0
	v_dual_mov_b32 v7, 0 :: v_dual_mov_b32 v5, 0
.LBB45_89:
	s_cbranch_execnz .LBB45_92
.LBB45_90:
	v_mov_b32_e32 v1, 0
	s_and_not1_b32 vcc_lo, exec_lo, s38
	s_delay_alu instid0(VALU_DEP_1) | instskip(NEXT) | instid1(VALU_DEP_1)
	v_mul_u64_e32 v[2:3], s[24:25], v[0:1]
	v_add_nc_u32_e32 v2, v0, v3
	s_delay_alu instid0(VALU_DEP_1) | instskip(NEXT) | instid1(VALU_DEP_1)
	v_lshrrev_b32_e32 v2, s18, v2
	v_mul_lo_u32 v3, v2, s16
	s_delay_alu instid0(VALU_DEP_1) | instskip(NEXT) | instid1(VALU_DEP_1)
	v_sub_nc_u32_e32 v3, v0, v3
	v_mul_lo_u32 v6, v3, s9
	v_mul_lo_u32 v4, v3, s8
	;; [unrolled: 1-line block ×4, first 2 shown]
	s_cbranch_vccnz .LBB45_92
; %bb.91:
	v_mov_b32_e32 v3, v1
	s_delay_alu instid0(VALU_DEP_1) | instskip(NEXT) | instid1(VALU_DEP_1)
	v_mul_u64_e32 v[8:9], s[26:27], v[2:3]
	v_add_nc_u32_e32 v1, v2, v9
	s_delay_alu instid0(VALU_DEP_1) | instskip(NEXT) | instid1(VALU_DEP_1)
	v_lshrrev_b32_e32 v1, s23, v1
	v_mul_lo_u32 v1, v1, s19
	s_delay_alu instid0(VALU_DEP_1) | instskip(NEXT) | instid1(VALU_DEP_1)
	v_sub_nc_u32_e32 v1, v2, v1
	v_mad_u32 v4, v1, s12, v4
	v_mad_u32 v6, v1, s13, v6
	;; [unrolled: 1-line block ×4, first 2 shown]
.LBB45_92:
	global_load_u8 v1, v6, s[2:3]
	global_load_u8 v2, v5, s[4:5]
	;; [unrolled: 1-line block ×3, first 2 shown]
	v_add_nc_u32_e32 v0, 0x80, v0
	s_wait_loadcnt 0x2
	v_mul_lo_u16 v1, v1, s37
	s_wait_loadcnt 0x1
	v_mul_lo_u16 v2, v2, s17
	s_wait_loadcnt 0x0
	s_delay_alu instid0(VALU_DEP_1) | instskip(SKIP_3) | instid1(SALU_CYCLE_1)
	v_mad_u16 v1, v2, v3, v1
	global_store_b8 v4, v1, s[0:1]
	s_wait_xcnt 0x0
	s_or_b32 exec_lo, exec_lo, s22
	s_mov_b32 s22, exec_lo
	v_cmpx_gt_i32_e64 s40, v0
	s_cbranch_execz .LBB45_105
.LBB45_93:
	s_and_not1_b32 vcc_lo, exec_lo, s35
	s_cbranch_vccnz .LBB45_99
; %bb.94:
	s_and_not1_b32 vcc_lo, exec_lo, s41
	s_cbranch_vccnz .LBB45_100
; %bb.95:
	v_dual_mov_b32 v6, 0 :: v_dual_mov_b32 v1, v0
	v_dual_mov_b32 v7, 0 :: v_dual_mov_b32 v4, 0
	v_mov_b32_e32 v5, 0
	s_add_co_i32 s30, s39, 1
	s_mov_b64 s[28:29], 0xffffffffffffffe0
	s_and_b32 s40, s30, 30
	s_add_nc_u64 s[28:29], s[20:21], s[28:29]
	s_mov_b64 s[30:31], s[20:21]
.LBB45_96:                              ; =>This Inner Loop Header: Depth=1
	s_clause 0x1
	s_load_b128 s[52:55], s[30:31], 0x4
	s_load_b64 s[42:43], s[30:31], 0x14
	s_load_b256 s[44:51], s[28:29], 0xe4
	s_add_co_i32 s40, s40, -2
	s_wait_xcnt 0x0
	s_add_nc_u64 s[30:31], s[30:31], 24
	s_cmp_eq_u32 s40, 0
	s_add_nc_u64 s[28:29], s[28:29], 32
	s_wait_kmcnt 0x0
	v_mul_hi_u32 v2, s53, v1
	s_delay_alu instid0(VALU_DEP_1) | instskip(NEXT) | instid1(VALU_DEP_1)
	v_add_nc_u32_e32 v2, v1, v2
	v_lshrrev_b32_e32 v2, s54, v2
	s_delay_alu instid0(VALU_DEP_1) | instskip(SKIP_1) | instid1(VALU_DEP_1)
	v_mul_hi_u32 v3, s42, v2
	v_mul_lo_u32 v8, v2, s52
	v_dual_add_nc_u32 v3, v2, v3 :: v_dual_sub_nc_u32 v8, v1, v8
	s_delay_alu instid0(VALU_DEP_1) | instskip(NEXT) | instid1(VALU_DEP_2)
	v_lshrrev_b32_e32 v1, s43, v3
	v_mad_u32 v5, v8, s45, v5
	v_mad_u32 v4, v8, s44, v4
	;; [unrolled: 1-line block ×4, first 2 shown]
	v_mul_lo_u32 v3, v1, s55
	s_delay_alu instid0(VALU_DEP_1) | instskip(NEXT) | instid1(VALU_DEP_1)
	v_sub_nc_u32_e32 v2, v2, v3
	v_mad_u32 v5, v2, s49, v5
	v_mad_u32 v4, v2, s48, v4
	;; [unrolled: 1-line block ×4, first 2 shown]
	s_cbranch_scc0 .LBB45_96
; %bb.97:
	s_bitcmp1_b32 s39, 0
	s_cselect_b32 s39, -1, 0
	s_delay_alu instid0(SALU_CYCLE_1)
	s_and_b32 vcc_lo, exec_lo, s39
	s_cbranch_vccnz .LBB45_101
; %bb.98:
	s_load_b96 s[44:46], s[30:31], 0x4
	s_load_b128 s[40:43], s[28:29], 0xe4
	s_wait_kmcnt 0x0
	v_mul_hi_u32 v2, s45, v1
	s_delay_alu instid0(VALU_DEP_1) | instskip(NEXT) | instid1(VALU_DEP_1)
	v_add_nc_u32_e32 v2, v1, v2
	v_lshrrev_b32_e32 v2, s46, v2
	s_delay_alu instid0(VALU_DEP_1) | instskip(NEXT) | instid1(VALU_DEP_1)
	v_mul_lo_u32 v2, v2, s44
	v_sub_nc_u32_e32 v1, v1, v2
	s_delay_alu instid0(VALU_DEP_1)
	v_mad_u32 v4, v1, s40, v4
	v_mad_u32 v5, v1, s41, v5
	;; [unrolled: 1-line block ×4, first 2 shown]
	s_branch .LBB45_101
.LBB45_99:
                                        ; implicit-def: $vgpr5
                                        ; implicit-def: $vgpr4
                                        ; implicit-def: $vgpr7
                                        ; implicit-def: $vgpr6
	s_branch .LBB45_102
.LBB45_100:
	v_dual_mov_b32 v5, 0 :: v_dual_mov_b32 v4, 0
	v_dual_mov_b32 v7, 0 :: v_dual_mov_b32 v6, 0
.LBB45_101:
	s_cbranch_execnz .LBB45_104
.LBB45_102:
	v_mov_b32_e32 v1, 0
	s_and_not1_b32 vcc_lo, exec_lo, s38
	s_delay_alu instid0(VALU_DEP_1) | instskip(NEXT) | instid1(VALU_DEP_1)
	v_mul_u64_e32 v[2:3], s[24:25], v[0:1]
	v_add_nc_u32_e32 v2, v0, v3
	s_delay_alu instid0(VALU_DEP_1) | instskip(NEXT) | instid1(VALU_DEP_1)
	v_lshrrev_b32_e32 v2, s18, v2
	v_mul_lo_u32 v3, v2, s16
	s_delay_alu instid0(VALU_DEP_1) | instskip(NEXT) | instid1(VALU_DEP_1)
	v_sub_nc_u32_e32 v0, v0, v3
	v_mul_lo_u32 v5, v0, s9
	v_mul_lo_u32 v4, v0, s8
	;; [unrolled: 1-line block ×4, first 2 shown]
	s_cbranch_vccnz .LBB45_104
; %bb.103:
	v_mov_b32_e32 v3, v1
	s_delay_alu instid0(VALU_DEP_1) | instskip(NEXT) | instid1(VALU_DEP_1)
	v_mul_u64_e32 v[0:1], s[26:27], v[2:3]
	v_add_nc_u32_e32 v0, v2, v1
	s_delay_alu instid0(VALU_DEP_1) | instskip(NEXT) | instid1(VALU_DEP_1)
	v_lshrrev_b32_e32 v0, s23, v0
	v_mul_lo_u32 v0, v0, s19
	s_delay_alu instid0(VALU_DEP_1) | instskip(NEXT) | instid1(VALU_DEP_1)
	v_sub_nc_u32_e32 v0, v2, v0
	v_mad_u32 v4, v0, s12, v4
	v_mad_u32 v5, v0, s13, v5
	;; [unrolled: 1-line block ×4, first 2 shown]
.LBB45_104:
	global_load_u8 v0, v5, s[2:3]
	global_load_u8 v1, v6, s[4:5]
	;; [unrolled: 1-line block ×3, first 2 shown]
	s_wait_loadcnt 0x2
	v_mul_lo_u16 v0, v0, s37
	s_wait_loadcnt 0x1
	v_mul_lo_u16 v1, v1, s17
	s_wait_loadcnt 0x0
	s_delay_alu instid0(VALU_DEP_1)
	v_mad_u16 v0, v1, v2, v0
	global_store_b8 v4, v0, s[0:1]
.LBB45_105:
	s_wait_xcnt 0x0
	s_or_b32 exec_lo, exec_lo, s22
                                        ; implicit-def: $vgpr5
                                        ; implicit-def: $vgpr0
.LBB45_106:
	s_and_not1_saveexec_b32 s0, s36
	s_cbranch_execz .LBB45_113
; %bb.107:
	v_cndmask_b32_e64 v10, 0, 1, s35
	s_and_not1_b32 vcc_lo, exec_lo, s35
	s_cbranch_vccnz .LBB45_114
; %bb.108:
	s_cmp_lg_u32 s33, 0
	s_mov_b32 s4, 0
	s_cbranch_scc0 .LBB45_118
; %bb.109:
	s_min_u32 s5, s34, 15
	v_dual_mov_b32 v3, 0 :: v_dual_mov_b32 v6, v0
	v_dual_mov_b32 v2, 0 :: v_dual_mov_b32 v1, 0
	v_mov_b32_e32 v4, 0
	s_add_co_i32 s2, s5, 1
	s_mov_b64 s[0:1], 0xffffffffffffffe0
	s_and_b32 s6, s2, 30
	s_add_nc_u64 s[0:1], s[20:21], s[0:1]
	s_mov_b64 s[2:3], s[20:21]
.LBB45_110:                             ; =>This Inner Loop Header: Depth=1
	s_clause 0x1
	s_load_b128 s[16:19], s[2:3], 0x4
	s_load_b64 s[22:23], s[2:3], 0x14
	s_load_b256 s[8:15], s[0:1], 0xe4
	s_add_co_i32 s6, s6, -2
	s_wait_xcnt 0x0
	s_add_nc_u64 s[2:3], s[2:3], 24
	s_cmp_lg_u32 s6, 0
	s_add_nc_u64 s[0:1], s[0:1], 32
	s_wait_kmcnt 0x0
	v_mul_hi_u32 v7, s17, v6
	s_delay_alu instid0(VALU_DEP_1) | instskip(NEXT) | instid1(VALU_DEP_1)
	v_add_nc_u32_e32 v7, v6, v7
	v_lshrrev_b32_e32 v7, s18, v7
	s_delay_alu instid0(VALU_DEP_1) | instskip(SKIP_1) | instid1(VALU_DEP_1)
	v_mul_hi_u32 v8, s22, v7
	v_mul_lo_u32 v9, v7, s16
	v_dual_add_nc_u32 v8, v7, v8 :: v_dual_sub_nc_u32 v9, v6, v9
	s_delay_alu instid0(VALU_DEP_1) | instskip(NEXT) | instid1(VALU_DEP_2)
	v_lshrrev_b32_e32 v6, s23, v8
	v_mad_u32 v4, v9, s9, v4
	v_mad_u32 v1, v9, s8, v1
	;; [unrolled: 1-line block ×4, first 2 shown]
	v_mul_lo_u32 v8, v6, s19
	s_delay_alu instid0(VALU_DEP_1) | instskip(NEXT) | instid1(VALU_DEP_1)
	v_sub_nc_u32_e32 v7, v7, v8
	v_mad_u32 v4, v7, s13, v4
	v_mad_u32 v1, v7, s12, v1
	v_mad_u32 v2, v7, s15, v2
	v_mad_u32 v3, v7, s14, v3
	s_cbranch_scc1 .LBB45_110
; %bb.111:
	s_bitcmp1_b32 s5, 0
	s_cselect_b32 s5, -1, 0
	s_delay_alu instid0(SALU_CYCLE_1)
	s_and_b32 vcc_lo, exec_lo, s5
	s_cbranch_vccnz .LBB45_115
; %bb.112:
	s_load_b96 s[12:14], s[2:3], 0x4
	s_load_b128 s[8:11], s[0:1], 0xe4
	s_wait_kmcnt 0x0
	v_mul_hi_u32 v7, s13, v6
	s_delay_alu instid0(VALU_DEP_1) | instskip(NEXT) | instid1(VALU_DEP_1)
	v_add_nc_u32_e32 v7, v6, v7
	v_lshrrev_b32_e32 v7, s14, v7
	s_delay_alu instid0(VALU_DEP_1) | instskip(NEXT) | instid1(VALU_DEP_1)
	v_mul_lo_u32 v7, v7, s12
	v_sub_nc_u32_e32 v6, v6, v7
	s_delay_alu instid0(VALU_DEP_1)
	v_mad_u32 v1, v6, s8, v1
	v_mad_u32 v4, v6, s9, v4
	;; [unrolled: 1-line block ×4, first 2 shown]
	s_and_not1_b32 vcc_lo, exec_lo, s4
	s_cbranch_vccz .LBB45_116
	s_branch .LBB45_119
.LBB45_113:
	s_endpgm
.LBB45_114:
	s_mov_b32 s4, -1
                                        ; implicit-def: $vgpr4
                                        ; implicit-def: $vgpr1
                                        ; implicit-def: $vgpr2
                                        ; implicit-def: $vgpr3
.LBB45_115:
	s_delay_alu instid0(SALU_CYCLE_1)
	s_and_not1_b32 vcc_lo, exec_lo, s4
	s_cbranch_vccnz .LBB45_119
.LBB45_116:
	s_clause 0x1
	s_load_b96 s[4:6], s[20:21], 0x4
	s_load_b128 s[0:3], s[20:21], 0xc4
	s_cmp_lt_u32 s33, 2
	s_wait_kmcnt 0x0
	v_mul_hi_u32 v1, s5, v0
	s_delay_alu instid0(VALU_DEP_1) | instskip(NEXT) | instid1(VALU_DEP_1)
	v_add_nc_u32_e32 v1, v0, v1
	v_lshrrev_b32_e32 v6, s6, v1
	s_delay_alu instid0(VALU_DEP_1) | instskip(NEXT) | instid1(VALU_DEP_1)
	v_mul_lo_u32 v1, v6, s4
	v_sub_nc_u32_e32 v3, v0, v1
	s_delay_alu instid0(VALU_DEP_1)
	v_mul_lo_u32 v4, v3, s1
	v_mul_lo_u32 v1, v3, s0
	v_mul_lo_u32 v2, v3, s3
	v_mul_lo_u32 v3, v3, s2
	s_cbranch_scc1 .LBB45_119
; %bb.117:
	s_clause 0x1
	s_load_b96 s[4:6], s[20:21], 0x10
	s_load_b128 s[0:3], s[20:21], 0xd4
	s_wait_kmcnt 0x0
	v_mul_hi_u32 v7, s5, v6
	s_delay_alu instid0(VALU_DEP_1) | instskip(NEXT) | instid1(VALU_DEP_1)
	v_add_nc_u32_e32 v7, v6, v7
	v_lshrrev_b32_e32 v7, s6, v7
	s_delay_alu instid0(VALU_DEP_1) | instskip(NEXT) | instid1(VALU_DEP_1)
	v_mul_lo_u32 v7, v7, s4
	v_sub_nc_u32_e32 v6, v6, v7
	s_delay_alu instid0(VALU_DEP_1)
	v_mad_u32 v1, v6, s0, v1
	v_mad_u32 v4, v6, s1, v4
	;; [unrolled: 1-line block ×4, first 2 shown]
	s_branch .LBB45_119
.LBB45_118:
	v_dual_mov_b32 v4, 0 :: v_dual_mov_b32 v1, 0
	v_dual_mov_b32 v2, 0 :: v_dual_mov_b32 v3, 0
	s_and_not1_b32 vcc_lo, exec_lo, s4
	s_cbranch_vccz .LBB45_116
.LBB45_119:
	v_cmp_ne_u32_e32 vcc_lo, 1, v10
	v_add_nc_u32_e32 v11, 0x80, v0
	s_cbranch_vccnz .LBB45_125
; %bb.120:
	s_cmp_lg_u32 s33, 0
	s_mov_b32 s4, 0
	s_cbranch_scc0 .LBB45_129
; %bb.121:
	s_min_u32 s5, s34, 15
	v_dual_mov_b32 v9, 0 :: v_dual_mov_b32 v12, v11
	v_dual_mov_b32 v7, 0 :: v_dual_mov_b32 v6, 0
	v_mov_b32_e32 v8, 0
	s_add_co_i32 s2, s5, 1
	s_mov_b64 s[0:1], 0xffffffffffffffe0
	s_and_b32 s6, s2, 30
	s_add_nc_u64 s[0:1], s[20:21], s[0:1]
	s_mov_b64 s[2:3], s[20:21]
.LBB45_122:                             ; =>This Inner Loop Header: Depth=1
	s_clause 0x1
	s_load_b128 s[16:19], s[2:3], 0x4
	s_load_b64 s[22:23], s[2:3], 0x14
	s_load_b256 s[8:15], s[0:1], 0xe4
	s_add_co_i32 s6, s6, -2
	s_wait_xcnt 0x0
	s_add_nc_u64 s[2:3], s[2:3], 24
	s_cmp_lg_u32 s6, 0
	s_add_nc_u64 s[0:1], s[0:1], 32
	s_wait_kmcnt 0x0
	v_mul_hi_u32 v13, s17, v12
	s_delay_alu instid0(VALU_DEP_1) | instskip(NEXT) | instid1(VALU_DEP_1)
	v_add_nc_u32_e32 v13, v12, v13
	v_lshrrev_b32_e32 v13, s18, v13
	s_delay_alu instid0(VALU_DEP_1) | instskip(SKIP_1) | instid1(VALU_DEP_1)
	v_mul_hi_u32 v14, s22, v13
	v_mul_lo_u32 v15, v13, s16
	v_dual_add_nc_u32 v14, v13, v14 :: v_dual_sub_nc_u32 v15, v12, v15
	s_delay_alu instid0(VALU_DEP_1) | instskip(NEXT) | instid1(VALU_DEP_2)
	v_lshrrev_b32_e32 v12, s23, v14
	v_mad_u32 v8, v15, s9, v8
	v_mad_u32 v6, v15, s8, v6
	;; [unrolled: 1-line block ×4, first 2 shown]
	v_mul_lo_u32 v14, v12, s19
	s_delay_alu instid0(VALU_DEP_1) | instskip(NEXT) | instid1(VALU_DEP_1)
	v_sub_nc_u32_e32 v13, v13, v14
	v_mad_u32 v8, v13, s13, v8
	v_mad_u32 v6, v13, s12, v6
	;; [unrolled: 1-line block ×4, first 2 shown]
	s_cbranch_scc1 .LBB45_122
; %bb.123:
	s_bitcmp1_b32 s5, 0
	s_cselect_b32 s5, -1, 0
	s_delay_alu instid0(SALU_CYCLE_1)
	s_and_b32 vcc_lo, exec_lo, s5
	s_cbranch_vccnz .LBB45_126
; %bb.124:
	s_load_b96 s[12:14], s[2:3], 0x4
	s_load_b128 s[8:11], s[0:1], 0xe4
	s_wait_kmcnt 0x0
	v_mul_hi_u32 v13, s13, v12
	s_delay_alu instid0(VALU_DEP_1) | instskip(NEXT) | instid1(VALU_DEP_1)
	v_add_nc_u32_e32 v13, v12, v13
	v_lshrrev_b32_e32 v13, s14, v13
	s_delay_alu instid0(VALU_DEP_1) | instskip(NEXT) | instid1(VALU_DEP_1)
	v_mul_lo_u32 v13, v13, s12
	v_sub_nc_u32_e32 v12, v12, v13
	s_delay_alu instid0(VALU_DEP_1)
	v_mad_u32 v6, v12, s8, v6
	v_mad_u32 v8, v12, s9, v8
	;; [unrolled: 1-line block ×4, first 2 shown]
	s_and_not1_b32 vcc_lo, exec_lo, s4
	s_cbranch_vccz .LBB45_127
	s_branch .LBB45_130
.LBB45_125:
	s_mov_b32 s4, -1
                                        ; implicit-def: $vgpr8
                                        ; implicit-def: $vgpr6
                                        ; implicit-def: $vgpr7
                                        ; implicit-def: $vgpr9
.LBB45_126:
	s_delay_alu instid0(SALU_CYCLE_1)
	s_and_not1_b32 vcc_lo, exec_lo, s4
	s_cbranch_vccnz .LBB45_130
.LBB45_127:
	s_clause 0x1
	s_load_b96 s[4:6], s[20:21], 0x4
	s_load_b128 s[0:3], s[20:21], 0xc4
	s_cmp_lt_u32 s33, 2
	s_wait_kmcnt 0x0
	v_mul_hi_u32 v6, s5, v11
	s_delay_alu instid0(VALU_DEP_1) | instskip(NEXT) | instid1(VALU_DEP_1)
	v_add_nc_u32_e32 v6, v11, v6
	v_lshrrev_b32_e32 v12, s6, v6
	s_delay_alu instid0(VALU_DEP_1) | instskip(NEXT) | instid1(VALU_DEP_1)
	v_mul_lo_u32 v6, v12, s4
	v_sub_nc_u32_e32 v9, v11, v6
	s_delay_alu instid0(VALU_DEP_1)
	v_mul_lo_u32 v8, v9, s1
	v_mul_lo_u32 v6, v9, s0
	;; [unrolled: 1-line block ×4, first 2 shown]
	s_cbranch_scc1 .LBB45_130
; %bb.128:
	s_clause 0x1
	s_load_b96 s[4:6], s[20:21], 0x10
	s_load_b128 s[0:3], s[20:21], 0xd4
	s_wait_kmcnt 0x0
	v_mul_hi_u32 v11, s5, v12
	s_delay_alu instid0(VALU_DEP_1) | instskip(NEXT) | instid1(VALU_DEP_1)
	v_add_nc_u32_e32 v11, v12, v11
	v_lshrrev_b32_e32 v11, s6, v11
	s_delay_alu instid0(VALU_DEP_1) | instskip(NEXT) | instid1(VALU_DEP_1)
	v_mul_lo_u32 v11, v11, s4
	v_sub_nc_u32_e32 v11, v12, v11
	s_delay_alu instid0(VALU_DEP_1)
	v_mad_u32 v6, v11, s0, v6
	v_mad_u32 v8, v11, s1, v8
	;; [unrolled: 1-line block ×4, first 2 shown]
	s_branch .LBB45_130
.LBB45_129:
	v_dual_mov_b32 v8, 0 :: v_dual_mov_b32 v6, 0
	v_dual_mov_b32 v7, 0 :: v_dual_mov_b32 v9, 0
	s_and_not1_b32 vcc_lo, exec_lo, s4
	s_cbranch_vccz .LBB45_127
.LBB45_130:
	v_cmp_ne_u32_e32 vcc_lo, 1, v10
	v_add_nc_u32_e32 v15, 0x100, v0
	s_cbranch_vccnz .LBB45_136
; %bb.131:
	s_cmp_lg_u32 s33, 0
	s_mov_b32 s4, 0
	s_cbranch_scc0 .LBB45_140
; %bb.132:
	s_min_u32 s5, s34, 15
	v_dual_mov_b32 v14, 0 :: v_dual_mov_b32 v16, v15
	v_dual_mov_b32 v12, 0 :: v_dual_mov_b32 v11, 0
	v_mov_b32_e32 v13, 0
	s_add_co_i32 s2, s5, 1
	s_mov_b64 s[0:1], 0xffffffffffffffe0
	s_and_b32 s6, s2, 30
	s_add_nc_u64 s[0:1], s[20:21], s[0:1]
	s_mov_b64 s[2:3], s[20:21]
.LBB45_133:                             ; =>This Inner Loop Header: Depth=1
	s_clause 0x1
	s_load_b128 s[16:19], s[2:3], 0x4
	s_load_b64 s[22:23], s[2:3], 0x14
	s_load_b256 s[8:15], s[0:1], 0xe4
	s_add_co_i32 s6, s6, -2
	s_wait_xcnt 0x0
	s_add_nc_u64 s[2:3], s[2:3], 24
	s_cmp_lg_u32 s6, 0
	s_add_nc_u64 s[0:1], s[0:1], 32
	s_wait_kmcnt 0x0
	v_mul_hi_u32 v17, s17, v16
	s_delay_alu instid0(VALU_DEP_1) | instskip(NEXT) | instid1(VALU_DEP_1)
	v_add_nc_u32_e32 v17, v16, v17
	v_lshrrev_b32_e32 v17, s18, v17
	s_delay_alu instid0(VALU_DEP_1) | instskip(SKIP_1) | instid1(VALU_DEP_1)
	v_mul_hi_u32 v18, s22, v17
	v_mul_lo_u32 v19, v17, s16
	v_dual_add_nc_u32 v18, v17, v18 :: v_dual_sub_nc_u32 v19, v16, v19
	s_delay_alu instid0(VALU_DEP_1) | instskip(NEXT) | instid1(VALU_DEP_2)
	v_lshrrev_b32_e32 v16, s23, v18
	v_mad_u32 v13, v19, s9, v13
	v_mad_u32 v11, v19, s8, v11
	;; [unrolled: 1-line block ×4, first 2 shown]
	v_mul_lo_u32 v18, v16, s19
	s_delay_alu instid0(VALU_DEP_1) | instskip(NEXT) | instid1(VALU_DEP_1)
	v_sub_nc_u32_e32 v17, v17, v18
	v_mad_u32 v13, v17, s13, v13
	v_mad_u32 v11, v17, s12, v11
	;; [unrolled: 1-line block ×4, first 2 shown]
	s_cbranch_scc1 .LBB45_133
; %bb.134:
	s_bitcmp1_b32 s5, 0
	s_cselect_b32 s5, -1, 0
	s_delay_alu instid0(SALU_CYCLE_1)
	s_and_b32 vcc_lo, exec_lo, s5
	s_cbranch_vccnz .LBB45_137
; %bb.135:
	s_load_b96 s[12:14], s[2:3], 0x4
	s_load_b128 s[8:11], s[0:1], 0xe4
	s_wait_kmcnt 0x0
	v_mul_hi_u32 v17, s13, v16
	s_delay_alu instid0(VALU_DEP_1) | instskip(NEXT) | instid1(VALU_DEP_1)
	v_add_nc_u32_e32 v17, v16, v17
	v_lshrrev_b32_e32 v17, s14, v17
	s_delay_alu instid0(VALU_DEP_1) | instskip(NEXT) | instid1(VALU_DEP_1)
	v_mul_lo_u32 v17, v17, s12
	v_sub_nc_u32_e32 v16, v16, v17
	s_delay_alu instid0(VALU_DEP_1)
	v_mad_u32 v11, v16, s8, v11
	v_mad_u32 v13, v16, s9, v13
	;; [unrolled: 1-line block ×4, first 2 shown]
	s_and_not1_b32 vcc_lo, exec_lo, s4
	s_cbranch_vccz .LBB45_138
	s_branch .LBB45_141
.LBB45_136:
	s_mov_b32 s4, -1
                                        ; implicit-def: $vgpr13
                                        ; implicit-def: $vgpr11
                                        ; implicit-def: $vgpr12
                                        ; implicit-def: $vgpr14
.LBB45_137:
	s_delay_alu instid0(SALU_CYCLE_1)
	s_and_not1_b32 vcc_lo, exec_lo, s4
	s_cbranch_vccnz .LBB45_141
.LBB45_138:
	s_clause 0x1
	s_load_b96 s[4:6], s[20:21], 0x4
	s_load_b128 s[0:3], s[20:21], 0xc4
	s_cmp_lt_u32 s33, 2
	s_wait_kmcnt 0x0
	v_mul_hi_u32 v11, s5, v15
	s_delay_alu instid0(VALU_DEP_1) | instskip(NEXT) | instid1(VALU_DEP_1)
	v_add_nc_u32_e32 v11, v15, v11
	v_lshrrev_b32_e32 v16, s6, v11
	s_delay_alu instid0(VALU_DEP_1) | instskip(NEXT) | instid1(VALU_DEP_1)
	v_mul_lo_u32 v11, v16, s4
	v_sub_nc_u32_e32 v14, v15, v11
	s_delay_alu instid0(VALU_DEP_1)
	v_mul_lo_u32 v13, v14, s1
	v_mul_lo_u32 v11, v14, s0
	;; [unrolled: 1-line block ×4, first 2 shown]
	s_cbranch_scc1 .LBB45_141
; %bb.139:
	s_clause 0x1
	s_load_b96 s[4:6], s[20:21], 0x10
	s_load_b128 s[0:3], s[20:21], 0xd4
	s_wait_kmcnt 0x0
	v_mul_hi_u32 v15, s5, v16
	s_delay_alu instid0(VALU_DEP_1) | instskip(NEXT) | instid1(VALU_DEP_1)
	v_add_nc_u32_e32 v15, v16, v15
	v_lshrrev_b32_e32 v15, s6, v15
	s_delay_alu instid0(VALU_DEP_1) | instskip(NEXT) | instid1(VALU_DEP_1)
	v_mul_lo_u32 v15, v15, s4
	v_sub_nc_u32_e32 v15, v16, v15
	s_delay_alu instid0(VALU_DEP_1)
	v_mad_u32 v11, v15, s0, v11
	v_mad_u32 v13, v15, s1, v13
	v_mad_u32 v14, v15, s2, v14
	v_mad_u32 v12, v15, s3, v12
	s_branch .LBB45_141
.LBB45_140:
	v_dual_mov_b32 v13, 0 :: v_dual_mov_b32 v11, 0
	v_dual_mov_b32 v12, 0 :: v_dual_mov_b32 v14, 0
	s_and_not1_b32 vcc_lo, exec_lo, s4
	s_cbranch_vccz .LBB45_138
.LBB45_141:
	v_cmp_ne_u32_e32 vcc_lo, 1, v10
	v_add_nc_u32_e32 v19, 0x180, v0
	s_cbranch_vccnz .LBB45_147
; %bb.142:
	s_cmp_lg_u32 s33, 0
	s_mov_b32 s4, 0
	s_cbranch_scc0 .LBB45_151
; %bb.143:
	s_min_u32 s5, s34, 15
	v_dual_mov_b32 v18, 0 :: v_dual_mov_b32 v20, v19
	v_dual_mov_b32 v16, 0 :: v_dual_mov_b32 v15, 0
	v_mov_b32_e32 v17, 0
	s_add_co_i32 s2, s5, 1
	s_mov_b64 s[0:1], 0xffffffffffffffe0
	s_and_b32 s6, s2, 30
	s_add_nc_u64 s[0:1], s[20:21], s[0:1]
	s_mov_b64 s[2:3], s[20:21]
.LBB45_144:                             ; =>This Inner Loop Header: Depth=1
	s_clause 0x1
	s_load_b128 s[16:19], s[2:3], 0x4
	s_load_b64 s[22:23], s[2:3], 0x14
	s_load_b256 s[8:15], s[0:1], 0xe4
	s_add_co_i32 s6, s6, -2
	s_wait_xcnt 0x0
	s_add_nc_u64 s[2:3], s[2:3], 24
	s_cmp_lg_u32 s6, 0
	s_add_nc_u64 s[0:1], s[0:1], 32
	s_wait_kmcnt 0x0
	v_mul_hi_u32 v21, s17, v20
	s_delay_alu instid0(VALU_DEP_1) | instskip(NEXT) | instid1(VALU_DEP_1)
	v_add_nc_u32_e32 v21, v20, v21
	v_lshrrev_b32_e32 v21, s18, v21
	s_delay_alu instid0(VALU_DEP_1) | instskip(SKIP_1) | instid1(VALU_DEP_1)
	v_mul_hi_u32 v22, s22, v21
	v_mul_lo_u32 v23, v21, s16
	v_dual_add_nc_u32 v22, v21, v22 :: v_dual_sub_nc_u32 v23, v20, v23
	s_delay_alu instid0(VALU_DEP_1) | instskip(NEXT) | instid1(VALU_DEP_2)
	v_lshrrev_b32_e32 v20, s23, v22
	v_mad_u32 v17, v23, s9, v17
	v_mad_u32 v15, v23, s8, v15
	;; [unrolled: 1-line block ×4, first 2 shown]
	v_mul_lo_u32 v22, v20, s19
	s_delay_alu instid0(VALU_DEP_1) | instskip(NEXT) | instid1(VALU_DEP_1)
	v_sub_nc_u32_e32 v21, v21, v22
	v_mad_u32 v17, v21, s13, v17
	v_mad_u32 v15, v21, s12, v15
	;; [unrolled: 1-line block ×4, first 2 shown]
	s_cbranch_scc1 .LBB45_144
; %bb.145:
	s_bitcmp1_b32 s5, 0
	s_cselect_b32 s5, -1, 0
	s_delay_alu instid0(SALU_CYCLE_1)
	s_and_b32 vcc_lo, exec_lo, s5
	s_cbranch_vccnz .LBB45_148
; %bb.146:
	s_load_b96 s[12:14], s[2:3], 0x4
	s_load_b128 s[8:11], s[0:1], 0xe4
	s_wait_kmcnt 0x0
	v_mul_hi_u32 v21, s13, v20
	s_delay_alu instid0(VALU_DEP_1) | instskip(NEXT) | instid1(VALU_DEP_1)
	v_add_nc_u32_e32 v21, v20, v21
	v_lshrrev_b32_e32 v21, s14, v21
	s_delay_alu instid0(VALU_DEP_1) | instskip(NEXT) | instid1(VALU_DEP_1)
	v_mul_lo_u32 v21, v21, s12
	v_sub_nc_u32_e32 v20, v20, v21
	s_delay_alu instid0(VALU_DEP_1)
	v_mad_u32 v15, v20, s8, v15
	v_mad_u32 v17, v20, s9, v17
	;; [unrolled: 1-line block ×4, first 2 shown]
	s_and_not1_b32 vcc_lo, exec_lo, s4
	s_cbranch_vccz .LBB45_149
	s_branch .LBB45_152
.LBB45_147:
	s_mov_b32 s4, -1
                                        ; implicit-def: $vgpr17
                                        ; implicit-def: $vgpr15
                                        ; implicit-def: $vgpr16
                                        ; implicit-def: $vgpr18
.LBB45_148:
	s_delay_alu instid0(SALU_CYCLE_1)
	s_and_not1_b32 vcc_lo, exec_lo, s4
	s_cbranch_vccnz .LBB45_152
.LBB45_149:
	s_clause 0x1
	s_load_b96 s[4:6], s[20:21], 0x4
	s_load_b128 s[0:3], s[20:21], 0xc4
	s_cmp_lt_u32 s33, 2
	s_wait_kmcnt 0x0
	v_mul_hi_u32 v15, s5, v19
	s_delay_alu instid0(VALU_DEP_1) | instskip(NEXT) | instid1(VALU_DEP_1)
	v_add_nc_u32_e32 v15, v19, v15
	v_lshrrev_b32_e32 v20, s6, v15
	s_delay_alu instid0(VALU_DEP_1) | instskip(NEXT) | instid1(VALU_DEP_1)
	v_mul_lo_u32 v15, v20, s4
	v_sub_nc_u32_e32 v18, v19, v15
	s_delay_alu instid0(VALU_DEP_1)
	v_mul_lo_u32 v17, v18, s1
	v_mul_lo_u32 v15, v18, s0
	;; [unrolled: 1-line block ×4, first 2 shown]
	s_cbranch_scc1 .LBB45_152
; %bb.150:
	s_clause 0x1
	s_load_b96 s[4:6], s[20:21], 0x10
	s_load_b128 s[0:3], s[20:21], 0xd4
	s_wait_kmcnt 0x0
	v_mul_hi_u32 v19, s5, v20
	s_delay_alu instid0(VALU_DEP_1) | instskip(NEXT) | instid1(VALU_DEP_1)
	v_add_nc_u32_e32 v19, v20, v19
	v_lshrrev_b32_e32 v19, s6, v19
	s_delay_alu instid0(VALU_DEP_1) | instskip(NEXT) | instid1(VALU_DEP_1)
	v_mul_lo_u32 v19, v19, s4
	v_sub_nc_u32_e32 v19, v20, v19
	s_delay_alu instid0(VALU_DEP_1)
	v_mad_u32 v15, v19, s0, v15
	v_mad_u32 v17, v19, s1, v17
	;; [unrolled: 1-line block ×4, first 2 shown]
	s_branch .LBB45_152
.LBB45_151:
	v_dual_mov_b32 v17, 0 :: v_dual_mov_b32 v15, 0
	v_dual_mov_b32 v16, 0 :: v_dual_mov_b32 v18, 0
	s_and_not1_b32 vcc_lo, exec_lo, s4
	s_cbranch_vccz .LBB45_149
.LBB45_152:
	v_cmp_ne_u32_e32 vcc_lo, 1, v10
	v_add_nc_u32_e32 v23, 0x200, v0
	s_cbranch_vccnz .LBB45_158
; %bb.153:
	s_cmp_lg_u32 s33, 0
	s_mov_b32 s4, 0
	s_cbranch_scc0 .LBB45_162
; %bb.154:
	s_min_u32 s5, s34, 15
	v_dual_mov_b32 v21, 0 :: v_dual_mov_b32 v24, v23
	v_dual_mov_b32 v20, 0 :: v_dual_mov_b32 v19, 0
	v_mov_b32_e32 v22, 0
	s_add_co_i32 s2, s5, 1
	s_mov_b64 s[0:1], 0xffffffffffffffe0
	s_and_b32 s6, s2, 30
	s_add_nc_u64 s[0:1], s[20:21], s[0:1]
	s_mov_b64 s[2:3], s[20:21]
.LBB45_155:                             ; =>This Inner Loop Header: Depth=1
	s_clause 0x1
	s_load_b128 s[16:19], s[2:3], 0x4
	s_load_b64 s[22:23], s[2:3], 0x14
	s_load_b256 s[8:15], s[0:1], 0xe4
	s_add_co_i32 s6, s6, -2
	s_wait_xcnt 0x0
	s_add_nc_u64 s[2:3], s[2:3], 24
	s_cmp_lg_u32 s6, 0
	s_add_nc_u64 s[0:1], s[0:1], 32
	s_wait_kmcnt 0x0
	v_mul_hi_u32 v25, s17, v24
	s_delay_alu instid0(VALU_DEP_1) | instskip(NEXT) | instid1(VALU_DEP_1)
	v_add_nc_u32_e32 v25, v24, v25
	v_lshrrev_b32_e32 v25, s18, v25
	s_delay_alu instid0(VALU_DEP_1) | instskip(SKIP_1) | instid1(VALU_DEP_1)
	v_mul_hi_u32 v26, s22, v25
	v_mul_lo_u32 v27, v25, s16
	v_dual_add_nc_u32 v26, v25, v26 :: v_dual_sub_nc_u32 v27, v24, v27
	s_delay_alu instid0(VALU_DEP_1) | instskip(NEXT) | instid1(VALU_DEP_2)
	v_lshrrev_b32_e32 v24, s23, v26
	v_mad_u32 v22, v27, s9, v22
	v_mad_u32 v19, v27, s8, v19
	;; [unrolled: 1-line block ×4, first 2 shown]
	v_mul_lo_u32 v26, v24, s19
	s_delay_alu instid0(VALU_DEP_1) | instskip(NEXT) | instid1(VALU_DEP_1)
	v_sub_nc_u32_e32 v25, v25, v26
	v_mad_u32 v22, v25, s13, v22
	v_mad_u32 v19, v25, s12, v19
	;; [unrolled: 1-line block ×4, first 2 shown]
	s_cbranch_scc1 .LBB45_155
; %bb.156:
	s_bitcmp1_b32 s5, 0
	s_cselect_b32 s5, -1, 0
	s_delay_alu instid0(SALU_CYCLE_1)
	s_and_b32 vcc_lo, exec_lo, s5
	s_cbranch_vccnz .LBB45_159
; %bb.157:
	s_load_b96 s[12:14], s[2:3], 0x4
	s_load_b128 s[8:11], s[0:1], 0xe4
	s_wait_kmcnt 0x0
	v_mul_hi_u32 v25, s13, v24
	s_delay_alu instid0(VALU_DEP_1) | instskip(NEXT) | instid1(VALU_DEP_1)
	v_add_nc_u32_e32 v25, v24, v25
	v_lshrrev_b32_e32 v25, s14, v25
	s_delay_alu instid0(VALU_DEP_1) | instskip(NEXT) | instid1(VALU_DEP_1)
	v_mul_lo_u32 v25, v25, s12
	v_sub_nc_u32_e32 v24, v24, v25
	s_delay_alu instid0(VALU_DEP_1)
	v_mad_u32 v19, v24, s8, v19
	v_mad_u32 v22, v24, s9, v22
	;; [unrolled: 1-line block ×4, first 2 shown]
	s_and_not1_b32 vcc_lo, exec_lo, s4
	s_cbranch_vccz .LBB45_160
	s_branch .LBB45_163
.LBB45_158:
	s_mov_b32 s4, -1
                                        ; implicit-def: $vgpr22
                                        ; implicit-def: $vgpr19
                                        ; implicit-def: $vgpr20
                                        ; implicit-def: $vgpr21
.LBB45_159:
	s_delay_alu instid0(SALU_CYCLE_1)
	s_and_not1_b32 vcc_lo, exec_lo, s4
	s_cbranch_vccnz .LBB45_163
.LBB45_160:
	s_clause 0x1
	s_load_b96 s[4:6], s[20:21], 0x4
	s_load_b128 s[0:3], s[20:21], 0xc4
	s_cmp_lt_u32 s33, 2
	s_wait_kmcnt 0x0
	v_mul_hi_u32 v19, s5, v23
	s_delay_alu instid0(VALU_DEP_1) | instskip(NEXT) | instid1(VALU_DEP_1)
	v_add_nc_u32_e32 v19, v23, v19
	v_lshrrev_b32_e32 v24, s6, v19
	s_delay_alu instid0(VALU_DEP_1) | instskip(NEXT) | instid1(VALU_DEP_1)
	v_mul_lo_u32 v19, v24, s4
	v_sub_nc_u32_e32 v21, v23, v19
	s_delay_alu instid0(VALU_DEP_1)
	v_mul_lo_u32 v22, v21, s1
	v_mul_lo_u32 v19, v21, s0
	;; [unrolled: 1-line block ×4, first 2 shown]
	s_cbranch_scc1 .LBB45_163
; %bb.161:
	s_clause 0x1
	s_load_b96 s[4:6], s[20:21], 0x10
	s_load_b128 s[0:3], s[20:21], 0xd4
	s_wait_kmcnt 0x0
	v_mul_hi_u32 v23, s5, v24
	s_delay_alu instid0(VALU_DEP_1) | instskip(NEXT) | instid1(VALU_DEP_1)
	v_add_nc_u32_e32 v23, v24, v23
	v_lshrrev_b32_e32 v23, s6, v23
	s_delay_alu instid0(VALU_DEP_1) | instskip(NEXT) | instid1(VALU_DEP_1)
	v_mul_lo_u32 v23, v23, s4
	v_sub_nc_u32_e32 v23, v24, v23
	s_delay_alu instid0(VALU_DEP_1)
	v_mad_u32 v19, v23, s0, v19
	v_mad_u32 v22, v23, s1, v22
	;; [unrolled: 1-line block ×4, first 2 shown]
	s_branch .LBB45_163
.LBB45_162:
	v_dual_mov_b32 v22, 0 :: v_dual_mov_b32 v19, 0
	v_dual_mov_b32 v20, 0 :: v_dual_mov_b32 v21, 0
	s_and_not1_b32 vcc_lo, exec_lo, s4
	s_cbranch_vccz .LBB45_160
.LBB45_163:
	v_cmp_ne_u32_e32 vcc_lo, 1, v10
	v_add_nc_u32_e32 v27, 0x280, v0
	s_cbranch_vccnz .LBB45_169
; %bb.164:
	s_cmp_lg_u32 s33, 0
	s_mov_b32 s4, 0
	s_cbranch_scc0 .LBB45_173
; %bb.165:
	s_min_u32 s5, s34, 15
	v_dual_mov_b32 v25, 0 :: v_dual_mov_b32 v28, v27
	v_dual_mov_b32 v24, 0 :: v_dual_mov_b32 v23, 0
	v_mov_b32_e32 v26, 0
	s_add_co_i32 s2, s5, 1
	s_mov_b64 s[0:1], 0xffffffffffffffe0
	s_and_b32 s6, s2, 30
	s_add_nc_u64 s[0:1], s[20:21], s[0:1]
	s_mov_b64 s[2:3], s[20:21]
.LBB45_166:                             ; =>This Inner Loop Header: Depth=1
	s_clause 0x1
	s_load_b128 s[16:19], s[2:3], 0x4
	s_load_b64 s[22:23], s[2:3], 0x14
	s_load_b256 s[8:15], s[0:1], 0xe4
	s_add_co_i32 s6, s6, -2
	s_wait_xcnt 0x0
	s_add_nc_u64 s[2:3], s[2:3], 24
	s_cmp_lg_u32 s6, 0
	s_add_nc_u64 s[0:1], s[0:1], 32
	s_wait_kmcnt 0x0
	v_mul_hi_u32 v29, s17, v28
	s_delay_alu instid0(VALU_DEP_1) | instskip(NEXT) | instid1(VALU_DEP_1)
	v_add_nc_u32_e32 v29, v28, v29
	v_lshrrev_b32_e32 v29, s18, v29
	s_delay_alu instid0(VALU_DEP_1) | instskip(SKIP_1) | instid1(VALU_DEP_1)
	v_mul_hi_u32 v30, s22, v29
	v_mul_lo_u32 v31, v29, s16
	v_dual_add_nc_u32 v30, v29, v30 :: v_dual_sub_nc_u32 v31, v28, v31
	s_delay_alu instid0(VALU_DEP_1) | instskip(NEXT) | instid1(VALU_DEP_2)
	v_lshrrev_b32_e32 v28, s23, v30
	v_mad_u32 v26, v31, s9, v26
	v_mad_u32 v23, v31, s8, v23
	;; [unrolled: 1-line block ×4, first 2 shown]
	v_mul_lo_u32 v30, v28, s19
	s_delay_alu instid0(VALU_DEP_1) | instskip(NEXT) | instid1(VALU_DEP_1)
	v_sub_nc_u32_e32 v29, v29, v30
	v_mad_u32 v26, v29, s13, v26
	v_mad_u32 v23, v29, s12, v23
	;; [unrolled: 1-line block ×4, first 2 shown]
	s_cbranch_scc1 .LBB45_166
; %bb.167:
	s_bitcmp1_b32 s5, 0
	s_cselect_b32 s5, -1, 0
	s_delay_alu instid0(SALU_CYCLE_1)
	s_and_b32 vcc_lo, exec_lo, s5
	s_cbranch_vccnz .LBB45_170
; %bb.168:
	s_load_b96 s[12:14], s[2:3], 0x4
	s_load_b128 s[8:11], s[0:1], 0xe4
	s_wait_kmcnt 0x0
	v_mul_hi_u32 v29, s13, v28
	s_delay_alu instid0(VALU_DEP_1) | instskip(NEXT) | instid1(VALU_DEP_1)
	v_add_nc_u32_e32 v29, v28, v29
	v_lshrrev_b32_e32 v29, s14, v29
	s_delay_alu instid0(VALU_DEP_1) | instskip(NEXT) | instid1(VALU_DEP_1)
	v_mul_lo_u32 v29, v29, s12
	v_sub_nc_u32_e32 v28, v28, v29
	s_delay_alu instid0(VALU_DEP_1)
	v_mad_u32 v23, v28, s8, v23
	v_mad_u32 v26, v28, s9, v26
	;; [unrolled: 1-line block ×4, first 2 shown]
	s_and_not1_b32 vcc_lo, exec_lo, s4
	s_cbranch_vccz .LBB45_171
	s_branch .LBB45_174
.LBB45_169:
	s_mov_b32 s4, -1
                                        ; implicit-def: $vgpr26
                                        ; implicit-def: $vgpr23
                                        ; implicit-def: $vgpr24
                                        ; implicit-def: $vgpr25
.LBB45_170:
	s_delay_alu instid0(SALU_CYCLE_1)
	s_and_not1_b32 vcc_lo, exec_lo, s4
	s_cbranch_vccnz .LBB45_174
.LBB45_171:
	s_clause 0x1
	s_load_b96 s[4:6], s[20:21], 0x4
	s_load_b128 s[0:3], s[20:21], 0xc4
	s_cmp_lt_u32 s33, 2
	s_wait_kmcnt 0x0
	v_mul_hi_u32 v23, s5, v27
	s_delay_alu instid0(VALU_DEP_1) | instskip(NEXT) | instid1(VALU_DEP_1)
	v_add_nc_u32_e32 v23, v27, v23
	v_lshrrev_b32_e32 v28, s6, v23
	s_delay_alu instid0(VALU_DEP_1) | instskip(NEXT) | instid1(VALU_DEP_1)
	v_mul_lo_u32 v23, v28, s4
	v_sub_nc_u32_e32 v25, v27, v23
	s_delay_alu instid0(VALU_DEP_1)
	v_mul_lo_u32 v26, v25, s1
	v_mul_lo_u32 v23, v25, s0
	;; [unrolled: 1-line block ×4, first 2 shown]
	s_cbranch_scc1 .LBB45_174
; %bb.172:
	s_clause 0x1
	s_load_b96 s[4:6], s[20:21], 0x10
	s_load_b128 s[0:3], s[20:21], 0xd4
	s_wait_kmcnt 0x0
	v_mul_hi_u32 v27, s5, v28
	s_delay_alu instid0(VALU_DEP_1) | instskip(NEXT) | instid1(VALU_DEP_1)
	v_add_nc_u32_e32 v27, v28, v27
	v_lshrrev_b32_e32 v27, s6, v27
	s_delay_alu instid0(VALU_DEP_1) | instskip(NEXT) | instid1(VALU_DEP_1)
	v_mul_lo_u32 v27, v27, s4
	v_sub_nc_u32_e32 v27, v28, v27
	s_delay_alu instid0(VALU_DEP_1)
	v_mad_u32 v23, v27, s0, v23
	v_mad_u32 v26, v27, s1, v26
	;; [unrolled: 1-line block ×4, first 2 shown]
	s_branch .LBB45_174
.LBB45_173:
	v_dual_mov_b32 v26, 0 :: v_dual_mov_b32 v23, 0
	v_dual_mov_b32 v24, 0 :: v_dual_mov_b32 v25, 0
	s_and_not1_b32 vcc_lo, exec_lo, s4
	s_cbranch_vccz .LBB45_171
.LBB45_174:
	v_cmp_ne_u32_e32 vcc_lo, 1, v10
	v_add_nc_u32_e32 v30, 0x300, v0
	s_cbranch_vccnz .LBB45_180
; %bb.175:
	s_cmp_lg_u32 s33, 0
	s_mov_b32 s4, 0
	s_cbranch_scc0 .LBB45_184
; %bb.176:
	s_min_u32 s5, s34, 15
	v_dual_mov_b32 v29, 0 :: v_dual_mov_b32 v31, v30
	v_dual_mov_b32 v27, 0 :: v_dual_mov_b32 v0, 0
	v_mov_b32_e32 v28, 0
	s_add_co_i32 s2, s5, 1
	s_mov_b64 s[0:1], 0xffffffffffffffe0
	s_and_b32 s6, s2, 30
	s_add_nc_u64 s[0:1], s[20:21], s[0:1]
	s_mov_b64 s[2:3], s[20:21]
.LBB45_177:                             ; =>This Inner Loop Header: Depth=1
	s_clause 0x1
	s_load_b128 s[16:19], s[2:3], 0x4
	s_load_b64 s[22:23], s[2:3], 0x14
	s_load_b256 s[8:15], s[0:1], 0xe4
	s_add_co_i32 s6, s6, -2
	s_wait_xcnt 0x0
	s_add_nc_u64 s[2:3], s[2:3], 24
	s_cmp_lg_u32 s6, 0
	s_add_nc_u64 s[0:1], s[0:1], 32
	s_wait_kmcnt 0x0
	v_mul_hi_u32 v32, s17, v31
	s_delay_alu instid0(VALU_DEP_1) | instskip(NEXT) | instid1(VALU_DEP_1)
	v_add_nc_u32_e32 v32, v31, v32
	v_lshrrev_b32_e32 v32, s18, v32
	s_delay_alu instid0(VALU_DEP_1) | instskip(SKIP_1) | instid1(VALU_DEP_1)
	v_mul_hi_u32 v33, s22, v32
	v_mul_lo_u32 v34, v32, s16
	v_dual_add_nc_u32 v33, v32, v33 :: v_dual_sub_nc_u32 v34, v31, v34
	s_delay_alu instid0(VALU_DEP_1) | instskip(NEXT) | instid1(VALU_DEP_2)
	v_lshrrev_b32_e32 v31, s23, v33
	v_mad_u32 v28, v34, s9, v28
	v_mad_u32 v0, v34, s8, v0
	;; [unrolled: 1-line block ×4, first 2 shown]
	v_mul_lo_u32 v33, v31, s19
	s_delay_alu instid0(VALU_DEP_1) | instskip(NEXT) | instid1(VALU_DEP_1)
	v_sub_nc_u32_e32 v32, v32, v33
	v_mad_u32 v28, v32, s13, v28
	v_mad_u32 v0, v32, s12, v0
	;; [unrolled: 1-line block ×4, first 2 shown]
	s_cbranch_scc1 .LBB45_177
; %bb.178:
	s_bitcmp1_b32 s5, 0
	s_cselect_b32 s5, -1, 0
	s_delay_alu instid0(SALU_CYCLE_1)
	s_and_b32 vcc_lo, exec_lo, s5
	s_cbranch_vccnz .LBB45_181
; %bb.179:
	s_load_b96 s[12:14], s[2:3], 0x4
	s_load_b128 s[8:11], s[0:1], 0xe4
	s_wait_kmcnt 0x0
	v_mul_hi_u32 v32, s13, v31
	s_delay_alu instid0(VALU_DEP_1) | instskip(NEXT) | instid1(VALU_DEP_1)
	v_add_nc_u32_e32 v32, v31, v32
	v_lshrrev_b32_e32 v32, s14, v32
	s_delay_alu instid0(VALU_DEP_1) | instskip(NEXT) | instid1(VALU_DEP_1)
	v_mul_lo_u32 v32, v32, s12
	v_sub_nc_u32_e32 v31, v31, v32
	s_delay_alu instid0(VALU_DEP_1)
	v_mad_u32 v0, v31, s8, v0
	v_mad_u32 v28, v31, s9, v28
	;; [unrolled: 1-line block ×4, first 2 shown]
	s_and_not1_b32 vcc_lo, exec_lo, s4
	s_cbranch_vccz .LBB45_182
	s_branch .LBB45_185
.LBB45_180:
	s_mov_b32 s4, -1
                                        ; implicit-def: $vgpr28
                                        ; implicit-def: $vgpr0
                                        ; implicit-def: $vgpr27
                                        ; implicit-def: $vgpr29
.LBB45_181:
	s_delay_alu instid0(SALU_CYCLE_1)
	s_and_not1_b32 vcc_lo, exec_lo, s4
	s_cbranch_vccnz .LBB45_185
.LBB45_182:
	s_clause 0x1
	s_load_b96 s[4:6], s[20:21], 0x4
	s_load_b128 s[0:3], s[20:21], 0xc4
	s_cmp_lt_u32 s33, 2
	s_wait_kmcnt 0x0
	v_mul_hi_u32 v0, s5, v30
	s_delay_alu instid0(VALU_DEP_1) | instskip(NEXT) | instid1(VALU_DEP_1)
	v_add_nc_u32_e32 v0, v30, v0
	v_lshrrev_b32_e32 v31, s6, v0
	s_delay_alu instid0(VALU_DEP_1) | instskip(NEXT) | instid1(VALU_DEP_1)
	v_mul_lo_u32 v0, v31, s4
	v_sub_nc_u32_e32 v29, v30, v0
	s_delay_alu instid0(VALU_DEP_1)
	v_mul_lo_u32 v28, v29, s1
	v_mul_lo_u32 v0, v29, s0
	;; [unrolled: 1-line block ×4, first 2 shown]
	s_cbranch_scc1 .LBB45_185
; %bb.183:
	s_clause 0x1
	s_load_b96 s[4:6], s[20:21], 0x10
	s_load_b128 s[0:3], s[20:21], 0xd4
	s_wait_kmcnt 0x0
	v_mul_hi_u32 v30, s5, v31
	s_delay_alu instid0(VALU_DEP_1) | instskip(NEXT) | instid1(VALU_DEP_1)
	v_add_nc_u32_e32 v30, v31, v30
	v_lshrrev_b32_e32 v30, s6, v30
	s_delay_alu instid0(VALU_DEP_1) | instskip(NEXT) | instid1(VALU_DEP_1)
	v_mul_lo_u32 v30, v30, s4
	v_sub_nc_u32_e32 v30, v31, v30
	s_delay_alu instid0(VALU_DEP_1)
	v_mad_u32 v0, v30, s0, v0
	v_mad_u32 v28, v30, s1, v28
	;; [unrolled: 1-line block ×4, first 2 shown]
	s_branch .LBB45_185
.LBB45_184:
	v_dual_mov_b32 v28, 0 :: v_dual_mov_b32 v0, 0
	v_dual_mov_b32 v27, 0 :: v_dual_mov_b32 v29, 0
	s_and_not1_b32 vcc_lo, exec_lo, s4
	s_cbranch_vccz .LBB45_182
.LBB45_185:
	v_cmp_ne_u32_e32 vcc_lo, 1, v10
	s_cbranch_vccnz .LBB45_191
; %bb.186:
	s_cmp_lg_u32 s33, 0
	s_mov_b32 s4, 0
	s_cbranch_scc0 .LBB45_195
; %bb.187:
	s_min_u32 s5, s34, 15
	v_dual_mov_b32 v31, 0 :: v_dual_mov_b32 v33, v5
	v_dual_mov_b32 v30, 0 :: v_dual_mov_b32 v10, 0
	v_mov_b32_e32 v32, 0
	s_add_co_i32 s2, s5, 1
	s_mov_b64 s[0:1], 0xffffffffffffffe0
	s_and_b32 s6, s2, 30
	s_add_nc_u64 s[0:1], s[20:21], s[0:1]
	s_mov_b64 s[2:3], s[20:21]
.LBB45_188:                             ; =>This Inner Loop Header: Depth=1
	s_clause 0x1
	s_load_b128 s[16:19], s[2:3], 0x4
	s_load_b64 s[22:23], s[2:3], 0x14
	s_load_b256 s[8:15], s[0:1], 0xe4
	s_add_co_i32 s6, s6, -2
	s_wait_xcnt 0x0
	s_add_nc_u64 s[2:3], s[2:3], 24
	s_cmp_lg_u32 s6, 0
	s_add_nc_u64 s[0:1], s[0:1], 32
	s_wait_kmcnt 0x0
	v_mul_hi_u32 v34, s17, v33
	s_delay_alu instid0(VALU_DEP_1) | instskip(NEXT) | instid1(VALU_DEP_1)
	v_add_nc_u32_e32 v34, v33, v34
	v_lshrrev_b32_e32 v34, s18, v34
	s_delay_alu instid0(VALU_DEP_1) | instskip(SKIP_1) | instid1(VALU_DEP_1)
	v_mul_hi_u32 v35, s22, v34
	v_mul_lo_u32 v36, v34, s16
	v_dual_add_nc_u32 v35, v34, v35 :: v_dual_sub_nc_u32 v36, v33, v36
	s_delay_alu instid0(VALU_DEP_1) | instskip(NEXT) | instid1(VALU_DEP_2)
	v_lshrrev_b32_e32 v33, s23, v35
	v_mad_u32 v32, v36, s9, v32
	v_mad_u32 v10, v36, s8, v10
	v_mad_u32 v30, v36, s11, v30
	v_mad_u32 v31, v36, s10, v31
	v_mul_lo_u32 v35, v33, s19
	s_delay_alu instid0(VALU_DEP_1) | instskip(NEXT) | instid1(VALU_DEP_1)
	v_sub_nc_u32_e32 v34, v34, v35
	v_mad_u32 v32, v34, s13, v32
	v_mad_u32 v10, v34, s12, v10
	;; [unrolled: 1-line block ×4, first 2 shown]
	s_cbranch_scc1 .LBB45_188
; %bb.189:
	s_bitcmp1_b32 s5, 0
	s_cselect_b32 s5, -1, 0
	s_delay_alu instid0(SALU_CYCLE_1)
	s_and_b32 vcc_lo, exec_lo, s5
	s_cbranch_vccnz .LBB45_192
; %bb.190:
	s_load_b96 s[12:14], s[2:3], 0x4
	s_load_b128 s[8:11], s[0:1], 0xe4
	s_wait_kmcnt 0x0
	v_mul_hi_u32 v34, s13, v33
	s_delay_alu instid0(VALU_DEP_1) | instskip(NEXT) | instid1(VALU_DEP_1)
	v_add_nc_u32_e32 v34, v33, v34
	v_lshrrev_b32_e32 v34, s14, v34
	s_delay_alu instid0(VALU_DEP_1) | instskip(NEXT) | instid1(VALU_DEP_1)
	v_mul_lo_u32 v34, v34, s12
	v_sub_nc_u32_e32 v33, v33, v34
	s_delay_alu instid0(VALU_DEP_1)
	v_mad_u32 v10, v33, s8, v10
	v_mad_u32 v32, v33, s9, v32
	;; [unrolled: 1-line block ×4, first 2 shown]
	s_and_not1_b32 vcc_lo, exec_lo, s4
	s_cbranch_vccz .LBB45_193
	s_branch .LBB45_196
.LBB45_191:
	s_mov_b32 s4, -1
                                        ; implicit-def: $vgpr32
                                        ; implicit-def: $vgpr10
                                        ; implicit-def: $vgpr30
                                        ; implicit-def: $vgpr31
.LBB45_192:
	s_delay_alu instid0(SALU_CYCLE_1)
	s_and_not1_b32 vcc_lo, exec_lo, s4
	s_cbranch_vccnz .LBB45_196
.LBB45_193:
	s_clause 0x1
	s_load_b96 s[4:6], s[20:21], 0x4
	s_load_b128 s[0:3], s[20:21], 0xc4
	s_cmp_lt_u32 s33, 2
	s_wait_kmcnt 0x0
	v_mul_hi_u32 v10, s5, v5
	s_delay_alu instid0(VALU_DEP_1) | instskip(NEXT) | instid1(VALU_DEP_1)
	v_add_nc_u32_e32 v10, v5, v10
	v_lshrrev_b32_e32 v33, s6, v10
	s_delay_alu instid0(VALU_DEP_1) | instskip(NEXT) | instid1(VALU_DEP_1)
	v_mul_lo_u32 v10, v33, s4
	v_sub_nc_u32_e32 v5, v5, v10
	s_delay_alu instid0(VALU_DEP_1)
	v_mul_lo_u32 v32, v5, s1
	v_mul_lo_u32 v10, v5, s0
	;; [unrolled: 1-line block ×4, first 2 shown]
	s_cbranch_scc1 .LBB45_196
; %bb.194:
	s_clause 0x1
	s_load_b96 s[4:6], s[20:21], 0x10
	s_load_b128 s[0:3], s[20:21], 0xd4
	s_wait_kmcnt 0x0
	v_mul_hi_u32 v5, s5, v33
	s_delay_alu instid0(VALU_DEP_1) | instskip(NEXT) | instid1(VALU_DEP_1)
	v_add_nc_u32_e32 v5, v33, v5
	v_lshrrev_b32_e32 v5, s6, v5
	s_delay_alu instid0(VALU_DEP_1) | instskip(NEXT) | instid1(VALU_DEP_1)
	v_mul_lo_u32 v5, v5, s4
	v_sub_nc_u32_e32 v5, v33, v5
	s_delay_alu instid0(VALU_DEP_1)
	v_mad_u32 v10, v5, s0, v10
	v_mad_u32 v32, v5, s1, v32
	;; [unrolled: 1-line block ×4, first 2 shown]
	s_branch .LBB45_196
.LBB45_195:
	v_dual_mov_b32 v32, 0 :: v_dual_mov_b32 v10, 0
	v_dual_mov_b32 v30, 0 :: v_dual_mov_b32 v31, 0
	s_and_not1_b32 vcc_lo, exec_lo, s4
	s_cbranch_vccz .LBB45_193
.LBB45_196:
	s_load_b256 s[0:7], s[20:21], 0x1c8
	s_wait_kmcnt 0x0
	global_load_u8 v5, v4, s[2:3]
	global_load_u8 v33, v3, s[4:5]
	;; [unrolled: 1-line block ×15, first 2 shown]
                                        ; kill: killed $vgpr22
                                        ; kill: killed $vgpr9
                                        ; kill: killed $vgpr4
                                        ; kill: killed $vgpr29
                                        ; kill: killed $vgpr26
                                        ; kill: killed $vgpr14
                                        ; kill: killed $vgpr8
                                        ; kill: killed $vgpr28
                                        ; kill: killed $vgpr18
                                        ; kill: killed $vgpr13
                                        ; kill: killed $sgpr2_sgpr3
                                        ; kill: killed $vgpr32
                                        ; kill: killed $vgpr21
                                        ; kill: killed $vgpr17
                                        ; kill: killed $vgpr3
                                        ; kill: killed $vgpr25
	global_load_u8 v3, v31, s[4:5]
	s_clause 0x7
	global_load_u8 v4, v2, s[6:7]
	global_load_u8 v8, v7, s[6:7]
	;; [unrolled: 1-line block ×8, first 2 shown]
	s_wait_xcnt 0x9
	s_load_b32 s2, s[20:21], 0x1e8
	s_wait_kmcnt 0x0
	s_bfe_u32 s3, s2, 0x80008
	s_wait_loadcnt 0x17
	v_mul_lo_u16 v2, v5, s2
	s_wait_loadcnt 0x16
	v_mul_lo_u16 v5, v33, s3
	s_wait_loadcnt 0x15
	v_mul_lo_u16 v7, v34, s2
	s_wait_loadcnt 0x14
	v_mul_lo_u16 v12, v35, s3
	s_wait_loadcnt 0x13
	v_mul_lo_u16 v16, v36, s2
	s_wait_loadcnt 0x12
	v_mul_lo_u16 v20, v37, s3
	s_wait_loadcnt 0x11
	v_mul_lo_u16 v22, v38, s2
	s_wait_loadcnt 0x10
	v_mul_lo_u16 v24, v39, s3
	s_wait_loadcnt 0xf
	v_mul_lo_u16 v25, v40, s2
	s_wait_loadcnt 0xe
	v_mul_lo_u16 v26, v41, s3
	s_wait_loadcnt 0xd
	v_mul_lo_u16 v27, v42, s2
	s_wait_loadcnt 0xc
	v_mul_lo_u16 v28, v43, s3
	s_wait_loadcnt 0xb
	v_mul_lo_u16 v29, v44, s2
	s_wait_loadcnt 0xa
	v_mul_lo_u16 v30, v45, s3
	s_wait_loadcnt 0x9
	v_mul_lo_u16 v31, v46, s2
	s_wait_loadcnt 0x8
	v_mul_lo_u16 v3, v3, s3
	s_wait_loadcnt 0x7
	v_mad_u16 v2, v5, v4, v2
	s_wait_loadcnt 0x6
	v_mad_u16 v4, v12, v8, v7
	;; [unrolled: 2-line block ×8, first 2 shown]
	s_clause 0x7
	global_store_b8 v1, v2, s[0:1]
	global_store_b8 v6, v4, s[0:1]
	;; [unrolled: 1-line block ×8, first 2 shown]
	s_endpgm
	.section	.rodata,"a",@progbits
	.p2align	6, 0x0
	.amdhsa_kernel _ZN2at6native32elementwise_kernel_manual_unrollILi128ELi8EZNS0_22gpu_kernel_impl_nocastIZZZNS0_12_GLOBAL__N_116addr_kernel_cudaERNS_14TensorIteratorERKN3c106ScalarES9_ENKUlvE_clEvENKUlvE0_clEvEUlaaaE0_EEvRNS_18TensorIteratorBaseERKT_EUlibE_EEviT1_
		.amdhsa_group_segment_fixed_size 0
		.amdhsa_private_segment_fixed_size 0
		.amdhsa_kernarg_size 504
		.amdhsa_user_sgpr_count 2
		.amdhsa_user_sgpr_dispatch_ptr 0
		.amdhsa_user_sgpr_queue_ptr 0
		.amdhsa_user_sgpr_kernarg_segment_ptr 1
		.amdhsa_user_sgpr_dispatch_id 0
		.amdhsa_user_sgpr_kernarg_preload_length 0
		.amdhsa_user_sgpr_kernarg_preload_offset 0
		.amdhsa_user_sgpr_private_segment_size 0
		.amdhsa_wavefront_size32 1
		.amdhsa_uses_dynamic_stack 0
		.amdhsa_enable_private_segment 0
		.amdhsa_system_sgpr_workgroup_id_x 1
		.amdhsa_system_sgpr_workgroup_id_y 0
		.amdhsa_system_sgpr_workgroup_id_z 0
		.amdhsa_system_sgpr_workgroup_info 0
		.amdhsa_system_vgpr_workitem_id 0
		.amdhsa_next_free_vgpr 47
		.amdhsa_next_free_sgpr 58
		.amdhsa_named_barrier_count 0
		.amdhsa_reserve_vcc 1
		.amdhsa_float_round_mode_32 0
		.amdhsa_float_round_mode_16_64 0
		.amdhsa_float_denorm_mode_32 3
		.amdhsa_float_denorm_mode_16_64 3
		.amdhsa_fp16_overflow 0
		.amdhsa_memory_ordered 1
		.amdhsa_forward_progress 1
		.amdhsa_inst_pref_size 92
		.amdhsa_round_robin_scheduling 0
		.amdhsa_exception_fp_ieee_invalid_op 0
		.amdhsa_exception_fp_denorm_src 0
		.amdhsa_exception_fp_ieee_div_zero 0
		.amdhsa_exception_fp_ieee_overflow 0
		.amdhsa_exception_fp_ieee_underflow 0
		.amdhsa_exception_fp_ieee_inexact 0
		.amdhsa_exception_int_div_zero 0
	.end_amdhsa_kernel
	.section	.text._ZN2at6native32elementwise_kernel_manual_unrollILi128ELi8EZNS0_22gpu_kernel_impl_nocastIZZZNS0_12_GLOBAL__N_116addr_kernel_cudaERNS_14TensorIteratorERKN3c106ScalarES9_ENKUlvE_clEvENKUlvE0_clEvEUlaaaE0_EEvRNS_18TensorIteratorBaseERKT_EUlibE_EEviT1_,"axG",@progbits,_ZN2at6native32elementwise_kernel_manual_unrollILi128ELi8EZNS0_22gpu_kernel_impl_nocastIZZZNS0_12_GLOBAL__N_116addr_kernel_cudaERNS_14TensorIteratorERKN3c106ScalarES9_ENKUlvE_clEvENKUlvE0_clEvEUlaaaE0_EEvRNS_18TensorIteratorBaseERKT_EUlibE_EEviT1_,comdat
.Lfunc_end45:
	.size	_ZN2at6native32elementwise_kernel_manual_unrollILi128ELi8EZNS0_22gpu_kernel_impl_nocastIZZZNS0_12_GLOBAL__N_116addr_kernel_cudaERNS_14TensorIteratorERKN3c106ScalarES9_ENKUlvE_clEvENKUlvE0_clEvEUlaaaE0_EEvRNS_18TensorIteratorBaseERKT_EUlibE_EEviT1_, .Lfunc_end45-_ZN2at6native32elementwise_kernel_manual_unrollILi128ELi8EZNS0_22gpu_kernel_impl_nocastIZZZNS0_12_GLOBAL__N_116addr_kernel_cudaERNS_14TensorIteratorERKN3c106ScalarES9_ENKUlvE_clEvENKUlvE0_clEvEUlaaaE0_EEvRNS_18TensorIteratorBaseERKT_EUlibE_EEviT1_
                                        ; -- End function
	.set _ZN2at6native32elementwise_kernel_manual_unrollILi128ELi8EZNS0_22gpu_kernel_impl_nocastIZZZNS0_12_GLOBAL__N_116addr_kernel_cudaERNS_14TensorIteratorERKN3c106ScalarES9_ENKUlvE_clEvENKUlvE0_clEvEUlaaaE0_EEvRNS_18TensorIteratorBaseERKT_EUlibE_EEviT1_.num_vgpr, 47
	.set _ZN2at6native32elementwise_kernel_manual_unrollILi128ELi8EZNS0_22gpu_kernel_impl_nocastIZZZNS0_12_GLOBAL__N_116addr_kernel_cudaERNS_14TensorIteratorERKN3c106ScalarES9_ENKUlvE_clEvENKUlvE0_clEvEUlaaaE0_EEvRNS_18TensorIteratorBaseERKT_EUlibE_EEviT1_.num_agpr, 0
	.set _ZN2at6native32elementwise_kernel_manual_unrollILi128ELi8EZNS0_22gpu_kernel_impl_nocastIZZZNS0_12_GLOBAL__N_116addr_kernel_cudaERNS_14TensorIteratorERKN3c106ScalarES9_ENKUlvE_clEvENKUlvE0_clEvEUlaaaE0_EEvRNS_18TensorIteratorBaseERKT_EUlibE_EEviT1_.numbered_sgpr, 58
	.set _ZN2at6native32elementwise_kernel_manual_unrollILi128ELi8EZNS0_22gpu_kernel_impl_nocastIZZZNS0_12_GLOBAL__N_116addr_kernel_cudaERNS_14TensorIteratorERKN3c106ScalarES9_ENKUlvE_clEvENKUlvE0_clEvEUlaaaE0_EEvRNS_18TensorIteratorBaseERKT_EUlibE_EEviT1_.num_named_barrier, 0
	.set _ZN2at6native32elementwise_kernel_manual_unrollILi128ELi8EZNS0_22gpu_kernel_impl_nocastIZZZNS0_12_GLOBAL__N_116addr_kernel_cudaERNS_14TensorIteratorERKN3c106ScalarES9_ENKUlvE_clEvENKUlvE0_clEvEUlaaaE0_EEvRNS_18TensorIteratorBaseERKT_EUlibE_EEviT1_.private_seg_size, 0
	.set _ZN2at6native32elementwise_kernel_manual_unrollILi128ELi8EZNS0_22gpu_kernel_impl_nocastIZZZNS0_12_GLOBAL__N_116addr_kernel_cudaERNS_14TensorIteratorERKN3c106ScalarES9_ENKUlvE_clEvENKUlvE0_clEvEUlaaaE0_EEvRNS_18TensorIteratorBaseERKT_EUlibE_EEviT1_.uses_vcc, 1
	.set _ZN2at6native32elementwise_kernel_manual_unrollILi128ELi8EZNS0_22gpu_kernel_impl_nocastIZZZNS0_12_GLOBAL__N_116addr_kernel_cudaERNS_14TensorIteratorERKN3c106ScalarES9_ENKUlvE_clEvENKUlvE0_clEvEUlaaaE0_EEvRNS_18TensorIteratorBaseERKT_EUlibE_EEviT1_.uses_flat_scratch, 0
	.set _ZN2at6native32elementwise_kernel_manual_unrollILi128ELi8EZNS0_22gpu_kernel_impl_nocastIZZZNS0_12_GLOBAL__N_116addr_kernel_cudaERNS_14TensorIteratorERKN3c106ScalarES9_ENKUlvE_clEvENKUlvE0_clEvEUlaaaE0_EEvRNS_18TensorIteratorBaseERKT_EUlibE_EEviT1_.has_dyn_sized_stack, 0
	.set _ZN2at6native32elementwise_kernel_manual_unrollILi128ELi8EZNS0_22gpu_kernel_impl_nocastIZZZNS0_12_GLOBAL__N_116addr_kernel_cudaERNS_14TensorIteratorERKN3c106ScalarES9_ENKUlvE_clEvENKUlvE0_clEvEUlaaaE0_EEvRNS_18TensorIteratorBaseERKT_EUlibE_EEviT1_.has_recursion, 0
	.set _ZN2at6native32elementwise_kernel_manual_unrollILi128ELi8EZNS0_22gpu_kernel_impl_nocastIZZZNS0_12_GLOBAL__N_116addr_kernel_cudaERNS_14TensorIteratorERKN3c106ScalarES9_ENKUlvE_clEvENKUlvE0_clEvEUlaaaE0_EEvRNS_18TensorIteratorBaseERKT_EUlibE_EEviT1_.has_indirect_call, 0
	.section	.AMDGPU.csdata,"",@progbits
; Kernel info:
; codeLenInByte = 11652
; TotalNumSgprs: 60
; NumVgprs: 47
; ScratchSize: 0
; MemoryBound: 0
; FloatMode: 240
; IeeeMode: 1
; LDSByteSize: 0 bytes/workgroup (compile time only)
; SGPRBlocks: 0
; VGPRBlocks: 2
; NumSGPRsForWavesPerEU: 60
; NumVGPRsForWavesPerEU: 47
; NamedBarCnt: 0
; Occupancy: 16
; WaveLimiterHint : 1
; COMPUTE_PGM_RSRC2:SCRATCH_EN: 0
; COMPUTE_PGM_RSRC2:USER_SGPR: 2
; COMPUTE_PGM_RSRC2:TRAP_HANDLER: 0
; COMPUTE_PGM_RSRC2:TGID_X_EN: 1
; COMPUTE_PGM_RSRC2:TGID_Y_EN: 0
; COMPUTE_PGM_RSRC2:TGID_Z_EN: 0
; COMPUTE_PGM_RSRC2:TIDIG_COMP_CNT: 0
	.section	.text._ZN2at6native32elementwise_kernel_manual_unrollILi128ELi4EZNS0_15gpu_kernel_implIZZZNS0_12_GLOBAL__N_116addr_kernel_cudaERNS_14TensorIteratorERKN3c106ScalarES9_ENKUlvE_clEvENKUlvE0_clEvEUlaaaE0_EEvRNS_18TensorIteratorBaseERKT_EUlibE_EEviT1_,"axG",@progbits,_ZN2at6native32elementwise_kernel_manual_unrollILi128ELi4EZNS0_15gpu_kernel_implIZZZNS0_12_GLOBAL__N_116addr_kernel_cudaERNS_14TensorIteratorERKN3c106ScalarES9_ENKUlvE_clEvENKUlvE0_clEvEUlaaaE0_EEvRNS_18TensorIteratorBaseERKT_EUlibE_EEviT1_,comdat
	.globl	_ZN2at6native32elementwise_kernel_manual_unrollILi128ELi4EZNS0_15gpu_kernel_implIZZZNS0_12_GLOBAL__N_116addr_kernel_cudaERNS_14TensorIteratorERKN3c106ScalarES9_ENKUlvE_clEvENKUlvE0_clEvEUlaaaE0_EEvRNS_18TensorIteratorBaseERKT_EUlibE_EEviT1_ ; -- Begin function _ZN2at6native32elementwise_kernel_manual_unrollILi128ELi4EZNS0_15gpu_kernel_implIZZZNS0_12_GLOBAL__N_116addr_kernel_cudaERNS_14TensorIteratorERKN3c106ScalarES9_ENKUlvE_clEvENKUlvE0_clEvEUlaaaE0_EEvRNS_18TensorIteratorBaseERKT_EUlibE_EEviT1_
	.p2align	8
	.type	_ZN2at6native32elementwise_kernel_manual_unrollILi128ELi4EZNS0_15gpu_kernel_implIZZZNS0_12_GLOBAL__N_116addr_kernel_cudaERNS_14TensorIteratorERKN3c106ScalarES9_ENKUlvE_clEvENKUlvE0_clEvEUlaaaE0_EEvRNS_18TensorIteratorBaseERKT_EUlibE_EEviT1_,@function
_ZN2at6native32elementwise_kernel_manual_unrollILi128ELi4EZNS0_15gpu_kernel_implIZZZNS0_12_GLOBAL__N_116addr_kernel_cudaERNS_14TensorIteratorERKN3c106ScalarES9_ENKUlvE_clEvENKUlvE0_clEvEUlaaaE0_EEvRNS_18TensorIteratorBaseERKT_EUlibE_EEviT1_: ; @_ZN2at6native32elementwise_kernel_manual_unrollILi128ELi4EZNS0_15gpu_kernel_implIZZZNS0_12_GLOBAL__N_116addr_kernel_cudaERNS_14TensorIteratorERKN3c106ScalarES9_ENKUlvE_clEvENKUlvE0_clEvEUlaaaE0_EEvRNS_18TensorIteratorBaseERKT_EUlibE_EEviT1_
; %bb.0:
	s_clause 0x1
	s_load_b64 s[2:3], s[0:1], 0x38
	s_load_b128 s[12:15], s[0:1], 0x28
	s_bfe_u32 s4, ttmp6, 0x4000c
	s_load_b32 s22, s[0:1], 0x0
	s_add_co_i32 s16, s4, 1
	s_load_b256 s[4:11], s[0:1], 0x8
	s_and_b32 s19, ttmp6, 15
	s_wait_xcnt 0x0
	s_mul_i32 s0, ttmp9, s16
	s_getreg_b32 s20, hwreg(HW_REG_IB_STS2, 6, 4)
	s_add_co_i32 s19, s19, s0
	s_mov_b32 s21, 0
	s_wait_kmcnt 0x0
	s_lshr_b64 s[16:17], s[2:3], 24
	s_lshr_b32 s1, s2, 8
	s_lshr_b32 s18, s2, 16
	;; [unrolled: 1-line block ×3, first 2 shown]
	s_cmp_eq_u32 s20, 0
	s_cselect_b32 s0, ttmp9, s19
	s_mov_b32 s19, 0
	v_lshl_or_b32 v26, s0, 9, v0
	s_mov_b32 s0, exec_lo
	s_delay_alu instid0(VALU_DEP_1) | instskip(NEXT) | instid1(VALU_DEP_1)
	v_or_b32_e32 v0, 0x180, v26
	v_cmpx_le_i32_e64 s22, v0
	s_xor_b32 s20, exec_lo, s0
	s_cbranch_execz .LBB46_2015
; %bb.1:
	s_mov_b32 s30, -1
	s_mov_b32 s27, 0
	s_mov_b32 s25, 0
	;; [unrolled: 1-line block ×4, first 2 shown]
	s_mov_b32 s26, exec_lo
	v_cmpx_gt_i32_e64 s22, v26
	s_cbranch_execz .LBB46_500
; %bb.2:
	v_mul_lo_u32 v0, v26, s13
	s_and_b32 s0, s16, 0xff
	s_delay_alu instid0(SALU_CYCLE_1) | instskip(NEXT) | instid1(VALU_DEP_1)
	s_cmp_lt_i32 s0, 11
	v_ashrrev_i32_e32 v1, 31, v0
	s_delay_alu instid0(VALU_DEP_1)
	v_add_nc_u64_e32 v[2:3], s[6:7], v[0:1]
	s_cbranch_scc1 .LBB46_9
; %bb.3:
	s_and_b32 s21, 0xffff, s0
	s_delay_alu instid0(SALU_CYCLE_1)
	s_cmp_gt_i32 s21, 25
	s_cbranch_scc0 .LBB46_18
; %bb.4:
	s_cmp_gt_i32 s21, 28
	s_cbranch_scc0 .LBB46_28
; %bb.5:
	;; [unrolled: 3-line block ×4, first 2 shown]
	s_cmp_eq_u32 s21, 46
	s_cbranch_scc0 .LBB46_37
; %bb.8:
	global_load_b32 v0, v[2:3], off
	s_mov_b32 s23, -1
	s_wait_loadcnt 0x0
	v_lshlrev_b32_e32 v0, 16, v0
	s_delay_alu instid0(VALU_DEP_1)
	v_cvt_i32_f32_e32 v0, v0
	s_branch .LBB46_39
.LBB46_9:
                                        ; implicit-def: $vgpr0
	s_cbranch_execnz .LBB46_101
.LBB46_10:
	s_and_not1_b32 vcc_lo, exec_lo, s23
	s_cbranch_vccnz .LBB46_148
.LBB46_11:
	s_wait_xcnt 0x0
	v_mul_lo_u32 v2, v26, s14
	s_and_b32 s0, s3, 0xff
	s_delay_alu instid0(SALU_CYCLE_1) | instskip(NEXT) | instid1(VALU_DEP_1)
	s_cmp_lt_i32 s0, 11
	v_ashrrev_i32_e32 v3, 31, v2
	s_delay_alu instid0(VALU_DEP_1)
	v_add_nc_u64_e32 v[4:5], s[8:9], v[2:3]
	s_cbranch_scc1 .LBB46_19
; %bb.12:
	s_and_b32 s21, 0xffff, s0
	s_delay_alu instid0(SALU_CYCLE_1)
	s_cmp_gt_i32 s21, 25
	s_cbranch_scc0 .LBB46_29
; %bb.13:
	s_cmp_gt_i32 s21, 28
	s_cbranch_scc0 .LBB46_32
; %bb.14:
	;; [unrolled: 3-line block ×4, first 2 shown]
	s_cmp_eq_u32 s21, 46
	s_mov_b32 s28, 0
	s_cbranch_scc0 .LBB46_149
; %bb.17:
	s_wait_loadcnt 0x0
	global_load_b32 v1, v[4:5], off
	s_mov_b32 s23, -1
	s_mov_b32 s24, 0
	s_wait_loadcnt 0x0
	v_lshlrev_b32_e32 v1, 16, v1
	s_delay_alu instid0(VALU_DEP_1)
	v_cvt_i32_f32_e32 v2, v1
	s_branch .LBB46_151
.LBB46_18:
                                        ; implicit-def: $vgpr0
	s_cbranch_execnz .LBB46_68
	s_branch .LBB46_100
.LBB46_19:
	s_mov_b32 s24, 0
	s_mov_b32 s23, 0
                                        ; implicit-def: $vgpr2
	s_cbranch_execnz .LBB46_213
.LBB46_20:
	s_and_not1_b32 vcc_lo, exec_lo, s23
	s_cbranch_vccnz .LBB46_261
.LBB46_21:
	s_wait_xcnt 0x0
	v_mul_lo_u32 v4, v26, s15
	s_and_b32 s0, s17, 0xff
	s_delay_alu instid0(SALU_CYCLE_1) | instskip(NEXT) | instid1(VALU_DEP_1)
	s_cmp_lt_i32 s0, 11
	v_ashrrev_i32_e32 v5, 31, v4
	s_delay_alu instid0(VALU_DEP_1)
	v_add_nc_u64_e32 v[4:5], s[10:11], v[4:5]
	s_cbranch_scc1 .LBB46_30
; %bb.22:
	s_and_b32 s21, 0xffff, s0
	s_delay_alu instid0(SALU_CYCLE_1)
	s_cmp_gt_i32 s21, 25
	s_cbranch_scc0 .LBB46_33
; %bb.23:
	s_cmp_gt_i32 s21, 28
	s_cbranch_scc0 .LBB46_36
; %bb.24:
	;; [unrolled: 3-line block ×4, first 2 shown]
	s_cmp_eq_u32 s21, 46
	s_mov_b32 s29, 0
	s_cbranch_scc0 .LBB46_262
; %bb.27:
	s_wait_loadcnt 0x0
	global_load_b32 v1, v[4:5], off
	s_mov_b32 s28, -1
	s_mov_b32 s23, 0
	s_wait_loadcnt 0x0
	v_lshlrev_b32_e32 v1, 16, v1
	s_delay_alu instid0(VALU_DEP_1)
	v_cvt_i32_f32_e32 v6, v1
	s_branch .LBB46_264
.LBB46_28:
	s_mov_b32 s24, -1
                                        ; implicit-def: $vgpr0
	s_branch .LBB46_51
.LBB46_29:
	s_mov_b32 s28, -1
	s_mov_b32 s24, 0
	s_mov_b32 s23, 0
                                        ; implicit-def: $vgpr2
	s_branch .LBB46_179
.LBB46_30:
	s_mov_b32 s21, -1
	s_mov_b32 s23, 0
	s_mov_b32 s28, 0
                                        ; implicit-def: $vgpr6
	s_branch .LBB46_325
.LBB46_31:
	s_mov_b32 s24, -1
                                        ; implicit-def: $vgpr0
	s_branch .LBB46_46
.LBB46_32:
	s_mov_b32 s28, -1
	s_mov_b32 s24, 0
	s_mov_b32 s23, 0
                                        ; implicit-def: $vgpr2
	s_branch .LBB46_162
.LBB46_33:
	s_mov_b32 s29, -1
	s_mov_b32 s23, 0
	s_mov_b32 s28, 0
                                        ; implicit-def: $vgpr6
	s_branch .LBB46_291
.LBB46_34:
	s_mov_b32 s24, -1
	s_branch .LBB46_38
.LBB46_35:
	s_mov_b32 s28, -1
	s_mov_b32 s24, 0
	s_mov_b32 s23, 0
                                        ; implicit-def: $vgpr2
	s_branch .LBB46_157
.LBB46_36:
	s_mov_b32 s29, -1
	s_mov_b32 s23, 0
	s_mov_b32 s28, 0
                                        ; implicit-def: $vgpr6
	s_branch .LBB46_274
.LBB46_37:
	s_mov_b32 s25, -1
.LBB46_38:
                                        ; implicit-def: $vgpr0
.LBB46_39:
	s_and_b32 vcc_lo, exec_lo, s24
	s_cbranch_vccz .LBB46_45
; %bb.40:
	s_cmp_eq_u32 s21, 44
	s_cbranch_scc0 .LBB46_44
; %bb.41:
	global_load_u8 v0, v[2:3], off
	s_mov_b32 s25, 0
	s_mov_b32 s23, -1
	s_wait_loadcnt 0x0
	v_lshlrev_b32_e32 v1, 23, v0
	v_cmp_ne_u32_e32 vcc_lo, 0, v0
	s_delay_alu instid0(VALU_DEP_2) | instskip(NEXT) | instid1(VALU_DEP_1)
	v_cvt_i32_f32_e32 v1, v1
	v_cndmask_b32_e32 v0, 0, v1, vcc_lo
	s_branch .LBB46_45
.LBB46_42:
	s_mov_b32 s28, -1
	s_mov_b32 s24, 0
	s_branch .LBB46_150
.LBB46_43:
	s_mov_b32 s29, -1
	s_mov_b32 s23, 0
	s_mov_b32 s28, 0
                                        ; implicit-def: $vgpr6
	s_branch .LBB46_269
.LBB46_44:
	s_mov_b32 s25, -1
                                        ; implicit-def: $vgpr0
.LBB46_45:
	s_mov_b32 s24, 0
.LBB46_46:
	s_delay_alu instid0(SALU_CYCLE_1)
	s_and_b32 vcc_lo, exec_lo, s24
	s_cbranch_vccz .LBB46_50
; %bb.47:
	s_cmp_eq_u32 s21, 29
	s_cbranch_scc0 .LBB46_49
; %bb.48:
	global_load_b64 v[0:1], v[2:3], off
	s_mov_b32 s23, -1
	s_mov_b32 s25, 0
	s_branch .LBB46_50
.LBB46_49:
	s_mov_b32 s25, -1
                                        ; implicit-def: $vgpr0
.LBB46_50:
	s_mov_b32 s24, 0
.LBB46_51:
	s_delay_alu instid0(SALU_CYCLE_1)
	s_and_b32 vcc_lo, exec_lo, s24
	s_cbranch_vccz .LBB46_67
; %bb.52:
	s_cmp_lt_i32 s21, 27
	s_cbranch_scc1 .LBB46_55
; %bb.53:
	s_cmp_gt_i32 s21, 27
	s_cbranch_scc0 .LBB46_56
; %bb.54:
	s_wait_loadcnt 0x0
	global_load_b32 v0, v[2:3], off
	s_mov_b32 s23, 0
	s_branch .LBB46_57
.LBB46_55:
	s_mov_b32 s23, -1
                                        ; implicit-def: $vgpr0
	s_branch .LBB46_60
.LBB46_56:
	s_mov_b32 s23, -1
                                        ; implicit-def: $vgpr0
.LBB46_57:
	s_delay_alu instid0(SALU_CYCLE_1)
	s_and_not1_b32 vcc_lo, exec_lo, s23
	s_cbranch_vccnz .LBB46_59
; %bb.58:
	s_wait_loadcnt 0x0
	global_load_u16 v0, v[2:3], off
.LBB46_59:
	s_mov_b32 s23, 0
.LBB46_60:
	s_delay_alu instid0(SALU_CYCLE_1)
	s_and_not1_b32 vcc_lo, exec_lo, s23
	s_cbranch_vccnz .LBB46_66
; %bb.61:
	s_wait_loadcnt 0x0
	global_load_u8 v1, v[2:3], off
	s_mov_b32 s24, 0
	s_mov_b32 s23, exec_lo
	s_wait_loadcnt 0x0
	v_cmpx_lt_i16_e32 0x7f, v1
	s_xor_b32 s23, exec_lo, s23
	s_cbranch_execz .LBB46_77
; %bb.62:
	v_cmp_ne_u16_e32 vcc_lo, 0x80, v1
	s_and_b32 s24, vcc_lo, exec_lo
	s_and_not1_saveexec_b32 s23, s23
	s_cbranch_execnz .LBB46_78
.LBB46_63:
	s_or_b32 exec_lo, exec_lo, s23
	v_mov_b32_e32 v0, 0
	s_and_saveexec_b32 s23, s24
	s_cbranch_execz .LBB46_65
.LBB46_64:
	v_and_b32_e32 v0, 0xffff, v1
	s_delay_alu instid0(VALU_DEP_1) | instskip(SKIP_1) | instid1(VALU_DEP_2)
	v_and_b32_e32 v4, 7, v0
	v_bfe_u32 v7, v0, 3, 4
	v_clz_i32_u32_e32 v5, v4
	s_delay_alu instid0(VALU_DEP_2) | instskip(NEXT) | instid1(VALU_DEP_2)
	v_cmp_eq_u32_e32 vcc_lo, 0, v7
	v_min_u32_e32 v5, 32, v5
	s_delay_alu instid0(VALU_DEP_1) | instskip(NEXT) | instid1(VALU_DEP_1)
	v_subrev_nc_u32_e32 v6, 28, v5
	v_dual_lshlrev_b32 v0, v6, v0 :: v_dual_sub_nc_u32 v5, 29, v5
	s_delay_alu instid0(VALU_DEP_1) | instskip(NEXT) | instid1(VALU_DEP_1)
	v_dual_lshlrev_b32 v1, 24, v1 :: v_dual_bitop2_b32 v0, 7, v0 bitop3:0x40
	v_dual_cndmask_b32 v0, v4, v0 :: v_dual_cndmask_b32 v5, v7, v5
	s_delay_alu instid0(VALU_DEP_2) | instskip(NEXT) | instid1(VALU_DEP_2)
	v_and_b32_e32 v1, 0x80000000, v1
	v_lshlrev_b32_e32 v0, 20, v0
	s_delay_alu instid0(VALU_DEP_3) | instskip(NEXT) | instid1(VALU_DEP_1)
	v_lshl_add_u32 v4, v5, 23, 0x3b800000
	v_or3_b32 v0, v1, v4, v0
	s_delay_alu instid0(VALU_DEP_1)
	v_cvt_i32_f32_e32 v0, v0
.LBB46_65:
	s_or_b32 exec_lo, exec_lo, s23
.LBB46_66:
	s_mov_b32 s23, -1
.LBB46_67:
	s_branch .LBB46_100
.LBB46_68:
	s_cmp_gt_i32 s21, 22
	s_cbranch_scc0 .LBB46_76
; %bb.69:
	s_cmp_lt_i32 s21, 24
	s_cbranch_scc1 .LBB46_79
; %bb.70:
	s_cmp_gt_i32 s21, 24
	s_cbranch_scc0 .LBB46_80
; %bb.71:
	s_wait_loadcnt 0x0
	global_load_u8 v1, v[2:3], off
	s_mov_b32 s24, 0
	s_mov_b32 s23, exec_lo
	s_wait_loadcnt 0x0
	v_cmpx_lt_i16_e32 0x7f, v1
	s_xor_b32 s23, exec_lo, s23
	s_cbranch_execz .LBB46_92
; %bb.72:
	v_cmp_ne_u16_e32 vcc_lo, 0x80, v1
	s_and_b32 s24, vcc_lo, exec_lo
	s_and_not1_saveexec_b32 s23, s23
	s_cbranch_execnz .LBB46_93
.LBB46_73:
	s_or_b32 exec_lo, exec_lo, s23
	v_mov_b32_e32 v0, 0
	s_and_saveexec_b32 s23, s24
	s_cbranch_execz .LBB46_75
.LBB46_74:
	v_and_b32_e32 v0, 0xffff, v1
	s_delay_alu instid0(VALU_DEP_1) | instskip(SKIP_1) | instid1(VALU_DEP_2)
	v_and_b32_e32 v4, 3, v0
	v_bfe_u32 v7, v0, 2, 5
	v_clz_i32_u32_e32 v5, v4
	s_delay_alu instid0(VALU_DEP_2) | instskip(NEXT) | instid1(VALU_DEP_2)
	v_cmp_eq_u32_e32 vcc_lo, 0, v7
	v_min_u32_e32 v5, 32, v5
	s_delay_alu instid0(VALU_DEP_1) | instskip(NEXT) | instid1(VALU_DEP_1)
	v_subrev_nc_u32_e32 v6, 29, v5
	v_dual_lshlrev_b32 v0, v6, v0 :: v_dual_sub_nc_u32 v5, 30, v5
	s_delay_alu instid0(VALU_DEP_1) | instskip(NEXT) | instid1(VALU_DEP_1)
	v_dual_lshlrev_b32 v1, 24, v1 :: v_dual_bitop2_b32 v0, 3, v0 bitop3:0x40
	v_dual_cndmask_b32 v0, v4, v0 :: v_dual_cndmask_b32 v5, v7, v5
	s_delay_alu instid0(VALU_DEP_2) | instskip(NEXT) | instid1(VALU_DEP_2)
	v_and_b32_e32 v1, 0x80000000, v1
	v_lshlrev_b32_e32 v0, 21, v0
	s_delay_alu instid0(VALU_DEP_3) | instskip(NEXT) | instid1(VALU_DEP_1)
	v_lshl_add_u32 v4, v5, 23, 0x37800000
	v_or3_b32 v0, v1, v4, v0
	s_delay_alu instid0(VALU_DEP_1)
	v_cvt_i32_f32_e32 v0, v0
.LBB46_75:
	s_or_b32 exec_lo, exec_lo, s23
	s_mov_b32 s23, 0
	s_branch .LBB46_81
.LBB46_76:
	s_mov_b32 s24, -1
                                        ; implicit-def: $vgpr0
	s_branch .LBB46_87
.LBB46_77:
	s_and_not1_saveexec_b32 s23, s23
	s_cbranch_execz .LBB46_63
.LBB46_78:
	v_cmp_ne_u16_e32 vcc_lo, 0, v1
	s_and_not1_b32 s24, s24, exec_lo
	s_and_b32 s28, vcc_lo, exec_lo
	s_delay_alu instid0(SALU_CYCLE_1)
	s_or_b32 s24, s24, s28
	s_or_b32 exec_lo, exec_lo, s23
	v_mov_b32_e32 v0, 0
	s_and_saveexec_b32 s23, s24
	s_cbranch_execnz .LBB46_64
	s_branch .LBB46_65
.LBB46_79:
	s_mov_b32 s23, -1
                                        ; implicit-def: $vgpr0
	s_branch .LBB46_84
.LBB46_80:
	s_mov_b32 s23, -1
                                        ; implicit-def: $vgpr0
.LBB46_81:
	s_delay_alu instid0(SALU_CYCLE_1)
	s_and_b32 vcc_lo, exec_lo, s23
	s_cbranch_vccz .LBB46_83
; %bb.82:
	s_wait_loadcnt 0x0
	global_load_u8 v0, v[2:3], off
	s_wait_loadcnt 0x0
	v_lshlrev_b32_e32 v0, 24, v0
	s_delay_alu instid0(VALU_DEP_1) | instskip(NEXT) | instid1(VALU_DEP_1)
	v_and_b32_e32 v1, 0x7f000000, v0
	v_clz_i32_u32_e32 v4, v1
	v_cmp_ne_u32_e32 vcc_lo, 0, v1
	v_add_nc_u32_e32 v6, 0x1000000, v1
	s_delay_alu instid0(VALU_DEP_3) | instskip(NEXT) | instid1(VALU_DEP_1)
	v_min_u32_e32 v4, 32, v4
	v_sub_nc_u32_e64 v4, v4, 4 clamp
	s_delay_alu instid0(VALU_DEP_1) | instskip(NEXT) | instid1(VALU_DEP_1)
	v_dual_lshlrev_b32 v5, v4, v1 :: v_dual_lshlrev_b32 v4, 23, v4
	v_lshrrev_b32_e32 v5, 4, v5
	s_delay_alu instid0(VALU_DEP_1) | instskip(NEXT) | instid1(VALU_DEP_1)
	v_dual_sub_nc_u32 v4, v5, v4 :: v_dual_ashrrev_i32 v5, 8, v6
	v_add_nc_u32_e32 v4, 0x3c000000, v4
	s_delay_alu instid0(VALU_DEP_1) | instskip(NEXT) | instid1(VALU_DEP_1)
	v_and_or_b32 v4, 0x7f800000, v5, v4
	v_cndmask_b32_e32 v1, 0, v4, vcc_lo
	s_delay_alu instid0(VALU_DEP_1) | instskip(NEXT) | instid1(VALU_DEP_1)
	v_and_or_b32 v0, 0x80000000, v0, v1
	v_cvt_i32_f32_e32 v0, v0
.LBB46_83:
	s_mov_b32 s23, 0
.LBB46_84:
	s_delay_alu instid0(SALU_CYCLE_1)
	s_and_not1_b32 vcc_lo, exec_lo, s23
	s_cbranch_vccnz .LBB46_86
; %bb.85:
	s_wait_loadcnt 0x0
	global_load_u8 v0, v[2:3], off
	s_wait_loadcnt 0x0
	v_lshlrev_b32_e32 v1, 25, v0
	v_lshlrev_b16 v0, 8, v0
	s_delay_alu instid0(VALU_DEP_1) | instskip(SKIP_1) | instid1(VALU_DEP_2)
	v_and_or_b32 v5, 0x7f00, v0, 0.5
	v_bfe_i32 v0, v0, 0, 16
	v_add_f32_e32 v5, -0.5, v5
	v_lshrrev_b32_e32 v4, 4, v1
	v_cmp_gt_u32_e32 vcc_lo, 0x8000000, v1
	s_delay_alu instid0(VALU_DEP_2) | instskip(NEXT) | instid1(VALU_DEP_1)
	v_or_b32_e32 v4, 0x70000000, v4
	v_mul_f32_e32 v4, 0x7800000, v4
	s_delay_alu instid0(VALU_DEP_1) | instskip(NEXT) | instid1(VALU_DEP_1)
	v_cndmask_b32_e32 v1, v4, v5, vcc_lo
	v_and_or_b32 v0, 0x80000000, v0, v1
	s_delay_alu instid0(VALU_DEP_1)
	v_cvt_i32_f32_e32 v0, v0
.LBB46_86:
	s_mov_b32 s24, 0
	s_mov_b32 s23, -1
.LBB46_87:
	s_and_not1_b32 vcc_lo, exec_lo, s24
	s_cbranch_vccnz .LBB46_100
; %bb.88:
	s_cmp_gt_i32 s21, 14
	s_cbranch_scc0 .LBB46_91
; %bb.89:
	s_cmp_eq_u32 s21, 15
	s_cbranch_scc0 .LBB46_94
; %bb.90:
	s_wait_loadcnt 0x0
	global_load_u16 v0, v[2:3], off
	s_mov_b32 s23, -1
	s_mov_b32 s25, 0
	s_wait_loadcnt 0x0
	v_lshlrev_b32_e32 v0, 16, v0
	s_delay_alu instid0(VALU_DEP_1)
	v_cvt_i32_f32_e32 v0, v0
	s_branch .LBB46_95
.LBB46_91:
	s_mov_b32 s24, -1
                                        ; implicit-def: $vgpr0
	s_branch .LBB46_96
.LBB46_92:
	s_and_not1_saveexec_b32 s23, s23
	s_cbranch_execz .LBB46_73
.LBB46_93:
	v_cmp_ne_u16_e32 vcc_lo, 0, v1
	s_and_not1_b32 s24, s24, exec_lo
	s_and_b32 s28, vcc_lo, exec_lo
	s_delay_alu instid0(SALU_CYCLE_1)
	s_or_b32 s24, s24, s28
	s_or_b32 exec_lo, exec_lo, s23
	v_mov_b32_e32 v0, 0
	s_and_saveexec_b32 s23, s24
	s_cbranch_execnz .LBB46_74
	s_branch .LBB46_75
.LBB46_94:
	s_mov_b32 s25, -1
                                        ; implicit-def: $vgpr0
.LBB46_95:
	s_mov_b32 s24, 0
.LBB46_96:
	s_delay_alu instid0(SALU_CYCLE_1)
	s_and_b32 vcc_lo, exec_lo, s24
	s_cbranch_vccz .LBB46_100
; %bb.97:
	s_cmp_eq_u32 s21, 11
	s_cbranch_scc0 .LBB46_99
; %bb.98:
	s_wait_loadcnt 0x0
	global_load_u8 v0, v[2:3], off
	s_mov_b32 s25, 0
	s_mov_b32 s23, -1
	s_wait_loadcnt 0x0
	v_cmp_ne_u16_e32 vcc_lo, 0, v0
	v_cndmask_b32_e64 v0, 0, 1, vcc_lo
	s_branch .LBB46_100
.LBB46_99:
	s_mov_b32 s25, -1
                                        ; implicit-def: $vgpr0
.LBB46_100:
	s_branch .LBB46_10
.LBB46_101:
	s_and_b32 s0, 0xffff, s0
	s_delay_alu instid0(SALU_CYCLE_1)
	s_cmp_lt_i32 s0, 5
	s_cbranch_scc1 .LBB46_106
; %bb.102:
	s_cmp_lt_i32 s0, 8
	s_cbranch_scc1 .LBB46_107
; %bb.103:
	;; [unrolled: 3-line block ×3, first 2 shown]
	s_cmp_gt_i32 s0, 9
	s_cbranch_scc0 .LBB46_109
; %bb.105:
	s_wait_loadcnt 0x0
	global_load_b64 v[0:1], v[2:3], off
	s_mov_b32 s21, 0
	s_wait_loadcnt 0x0
	v_cvt_i32_f64_e32 v0, v[0:1]
	s_branch .LBB46_110
.LBB46_106:
                                        ; implicit-def: $vgpr0
	s_branch .LBB46_128
.LBB46_107:
	s_mov_b32 s21, -1
                                        ; implicit-def: $vgpr0
	s_branch .LBB46_116
.LBB46_108:
	s_mov_b32 s21, -1
                                        ; implicit-def: $vgpr0
	s_branch .LBB46_113
.LBB46_109:
	s_mov_b32 s21, -1
                                        ; implicit-def: $vgpr0
.LBB46_110:
	s_delay_alu instid0(SALU_CYCLE_1)
	s_and_not1_b32 vcc_lo, exec_lo, s21
	s_cbranch_vccnz .LBB46_112
; %bb.111:
	s_wait_loadcnt 0x0
	global_load_b32 v0, v[2:3], off
	s_wait_loadcnt 0x0
	v_cvt_i32_f32_e32 v0, v0
.LBB46_112:
	s_mov_b32 s21, 0
.LBB46_113:
	s_delay_alu instid0(SALU_CYCLE_1)
	s_and_not1_b32 vcc_lo, exec_lo, s21
	s_cbranch_vccnz .LBB46_115
; %bb.114:
	s_wait_loadcnt 0x0
	global_load_b32 v0, v[2:3], off
	s_wait_loadcnt 0x0
	v_cvt_i16_f16_e32 v0, v0
.LBB46_115:
	s_mov_b32 s21, 0
.LBB46_116:
	s_delay_alu instid0(SALU_CYCLE_1)
	s_and_not1_b32 vcc_lo, exec_lo, s21
	s_cbranch_vccnz .LBB46_127
; %bb.117:
	s_cmp_lt_i32 s0, 6
	s_cbranch_scc1 .LBB46_120
; %bb.118:
	s_cmp_gt_i32 s0, 6
	s_cbranch_scc0 .LBB46_121
; %bb.119:
	s_wait_loadcnt 0x0
	global_load_b64 v[0:1], v[2:3], off
	s_mov_b32 s21, 0
	s_wait_loadcnt 0x0
	v_cvt_i32_f64_e32 v0, v[0:1]
	s_branch .LBB46_122
.LBB46_120:
	s_mov_b32 s21, -1
                                        ; implicit-def: $vgpr0
	s_branch .LBB46_125
.LBB46_121:
	s_mov_b32 s21, -1
                                        ; implicit-def: $vgpr0
.LBB46_122:
	s_delay_alu instid0(SALU_CYCLE_1)
	s_and_not1_b32 vcc_lo, exec_lo, s21
	s_cbranch_vccnz .LBB46_124
; %bb.123:
	s_wait_loadcnt 0x0
	global_load_b32 v0, v[2:3], off
	s_wait_loadcnt 0x0
	v_cvt_i32_f32_e32 v0, v0
.LBB46_124:
	s_mov_b32 s21, 0
.LBB46_125:
	s_delay_alu instid0(SALU_CYCLE_1)
	s_and_not1_b32 vcc_lo, exec_lo, s21
	s_cbranch_vccnz .LBB46_127
; %bb.126:
	s_wait_loadcnt 0x0
	global_load_u16 v0, v[2:3], off
	s_wait_loadcnt 0x0
	v_cvt_i16_f16_e32 v0, v0
.LBB46_127:
	s_cbranch_execnz .LBB46_147
.LBB46_128:
	s_cmp_lt_i32 s0, 2
	s_cbranch_scc1 .LBB46_132
; %bb.129:
	s_cmp_lt_i32 s0, 3
	s_cbranch_scc1 .LBB46_133
; %bb.130:
	s_cmp_gt_i32 s0, 3
	s_cbranch_scc0 .LBB46_134
; %bb.131:
	s_wait_loadcnt 0x0
	global_load_b64 v[0:1], v[2:3], off
	s_mov_b32 s21, 0
	s_branch .LBB46_135
.LBB46_132:
	s_mov_b32 s21, -1
                                        ; implicit-def: $vgpr0
	s_branch .LBB46_141
.LBB46_133:
	s_mov_b32 s21, -1
                                        ; implicit-def: $vgpr0
	s_branch .LBB46_138
.LBB46_134:
	s_mov_b32 s21, -1
                                        ; implicit-def: $vgpr0
.LBB46_135:
	s_delay_alu instid0(SALU_CYCLE_1)
	s_and_not1_b32 vcc_lo, exec_lo, s21
	s_cbranch_vccnz .LBB46_137
; %bb.136:
	s_wait_loadcnt 0x0
	global_load_b32 v0, v[2:3], off
.LBB46_137:
	s_mov_b32 s21, 0
.LBB46_138:
	s_delay_alu instid0(SALU_CYCLE_1)
	s_and_not1_b32 vcc_lo, exec_lo, s21
	s_cbranch_vccnz .LBB46_140
; %bb.139:
	s_wait_loadcnt 0x0
	global_load_u16 v0, v[2:3], off
.LBB46_140:
	s_mov_b32 s21, 0
.LBB46_141:
	s_delay_alu instid0(SALU_CYCLE_1)
	s_and_not1_b32 vcc_lo, exec_lo, s21
	s_cbranch_vccnz .LBB46_147
; %bb.142:
	s_cmp_gt_i32 s0, 0
	s_mov_b32 s0, 0
	s_cbranch_scc0 .LBB46_144
; %bb.143:
	s_wait_loadcnt 0x0
	global_load_u8 v0, v[2:3], off
	s_branch .LBB46_145
.LBB46_144:
	s_mov_b32 s0, -1
                                        ; implicit-def: $vgpr0
.LBB46_145:
	s_delay_alu instid0(SALU_CYCLE_1)
	s_and_not1_b32 vcc_lo, exec_lo, s0
	s_cbranch_vccnz .LBB46_147
; %bb.146:
	s_wait_loadcnt 0x0
	global_load_u8 v0, v[2:3], off
.LBB46_147:
	s_branch .LBB46_11
.LBB46_148:
	s_mov_b32 s0, 0
	s_mov_b32 s23, 0
	;; [unrolled: 1-line block ×3, first 2 shown]
	s_branch .LBB46_498
.LBB46_149:
	s_mov_b32 s24, -1
.LBB46_150:
	s_mov_b32 s23, 0
                                        ; implicit-def: $vgpr2
.LBB46_151:
	s_and_b32 vcc_lo, exec_lo, s28
	s_cbranch_vccz .LBB46_156
; %bb.152:
	s_cmp_eq_u32 s21, 44
	s_cbranch_scc0 .LBB46_155
; %bb.153:
	s_wait_loadcnt 0x0
	global_load_u8 v1, v[4:5], off
	s_mov_b32 s24, 0
	s_mov_b32 s23, -1
	s_wait_loadcnt 0x0
	v_lshlrev_b32_e32 v2, 23, v1
	v_cmp_ne_u32_e32 vcc_lo, 0, v1
	s_delay_alu instid0(VALU_DEP_2) | instskip(NEXT) | instid1(VALU_DEP_1)
	v_cvt_i32_f32_e32 v2, v2
	v_cndmask_b32_e32 v2, 0, v2, vcc_lo
	s_branch .LBB46_156
.LBB46_154:
	s_mov_b32 s29, -1
	s_mov_b32 s23, 0
	s_branch .LBB46_263
.LBB46_155:
	s_mov_b32 s24, -1
                                        ; implicit-def: $vgpr2
.LBB46_156:
	s_mov_b32 s28, 0
.LBB46_157:
	s_delay_alu instid0(SALU_CYCLE_1)
	s_and_b32 vcc_lo, exec_lo, s28
	s_cbranch_vccz .LBB46_161
; %bb.158:
	s_cmp_eq_u32 s21, 29
	s_cbranch_scc0 .LBB46_160
; %bb.159:
	global_load_b64 v[2:3], v[4:5], off
	s_mov_b32 s23, -1
	s_mov_b32 s24, 0
	s_branch .LBB46_161
.LBB46_160:
	s_mov_b32 s24, -1
                                        ; implicit-def: $vgpr2
.LBB46_161:
	s_mov_b32 s28, 0
.LBB46_162:
	s_delay_alu instid0(SALU_CYCLE_1)
	s_and_b32 vcc_lo, exec_lo, s28
	s_cbranch_vccz .LBB46_178
; %bb.163:
	s_cmp_lt_i32 s21, 27
	s_cbranch_scc1 .LBB46_166
; %bb.164:
	s_cmp_gt_i32 s21, 27
	s_cbranch_scc0 .LBB46_167
; %bb.165:
	s_wait_loadcnt 0x0
	global_load_b32 v2, v[4:5], off
	s_mov_b32 s23, 0
	s_branch .LBB46_168
.LBB46_166:
	s_mov_b32 s23, -1
                                        ; implicit-def: $vgpr2
	s_branch .LBB46_171
.LBB46_167:
	s_mov_b32 s23, -1
                                        ; implicit-def: $vgpr2
.LBB46_168:
	s_delay_alu instid0(SALU_CYCLE_1)
	s_and_not1_b32 vcc_lo, exec_lo, s23
	s_cbranch_vccnz .LBB46_170
; %bb.169:
	s_wait_loadcnt 0x0
	global_load_u16 v2, v[4:5], off
.LBB46_170:
	s_mov_b32 s23, 0
.LBB46_171:
	s_delay_alu instid0(SALU_CYCLE_1)
	s_and_not1_b32 vcc_lo, exec_lo, s23
	s_cbranch_vccnz .LBB46_177
; %bb.172:
	s_wait_loadcnt 0x0
	global_load_u8 v1, v[4:5], off
	s_mov_b32 s28, 0
	s_mov_b32 s23, exec_lo
	s_wait_loadcnt 0x0
	v_cmpx_lt_i16_e32 0x7f, v1
	s_xor_b32 s23, exec_lo, s23
	s_cbranch_execz .LBB46_189
; %bb.173:
	v_cmp_ne_u16_e32 vcc_lo, 0x80, v1
	s_and_b32 s28, vcc_lo, exec_lo
	s_and_not1_saveexec_b32 s23, s23
	s_cbranch_execnz .LBB46_190
.LBB46_174:
	s_or_b32 exec_lo, exec_lo, s23
	v_mov_b32_e32 v2, 0
	s_and_saveexec_b32 s23, s28
	s_cbranch_execz .LBB46_176
.LBB46_175:
	v_and_b32_e32 v2, 0xffff, v1
	s_delay_alu instid0(VALU_DEP_1) | instskip(SKIP_1) | instid1(VALU_DEP_2)
	v_dual_lshlrev_b32 v1, 24, v1 :: v_dual_bitop2_b32 v3, 7, v2 bitop3:0x40
	v_bfe_u32 v8, v2, 3, 4
	v_and_b32_e32 v1, 0x80000000, v1
	s_delay_alu instid0(VALU_DEP_3) | instskip(NEXT) | instid1(VALU_DEP_3)
	v_clz_i32_u32_e32 v6, v3
	v_cmp_eq_u32_e32 vcc_lo, 0, v8
	s_delay_alu instid0(VALU_DEP_2) | instskip(NEXT) | instid1(VALU_DEP_1)
	v_min_u32_e32 v6, 32, v6
	v_subrev_nc_u32_e32 v7, 28, v6
	v_sub_nc_u32_e32 v6, 29, v6
	s_delay_alu instid0(VALU_DEP_2) | instskip(NEXT) | instid1(VALU_DEP_2)
	v_lshlrev_b32_e32 v2, v7, v2
	v_cndmask_b32_e32 v6, v8, v6, vcc_lo
	s_delay_alu instid0(VALU_DEP_2) | instskip(NEXT) | instid1(VALU_DEP_1)
	v_and_b32_e32 v2, 7, v2
	v_cndmask_b32_e32 v2, v3, v2, vcc_lo
	s_delay_alu instid0(VALU_DEP_3) | instskip(NEXT) | instid1(VALU_DEP_2)
	v_lshl_add_u32 v3, v6, 23, 0x3b800000
	v_lshlrev_b32_e32 v2, 20, v2
	s_delay_alu instid0(VALU_DEP_1) | instskip(NEXT) | instid1(VALU_DEP_1)
	v_or3_b32 v1, v1, v3, v2
	v_cvt_i32_f32_e32 v2, v1
.LBB46_176:
	s_or_b32 exec_lo, exec_lo, s23
.LBB46_177:
	s_mov_b32 s23, -1
.LBB46_178:
	s_mov_b32 s28, 0
.LBB46_179:
	s_delay_alu instid0(SALU_CYCLE_1)
	s_and_b32 vcc_lo, exec_lo, s28
	s_cbranch_vccz .LBB46_212
; %bb.180:
	s_cmp_gt_i32 s21, 22
	s_cbranch_scc0 .LBB46_188
; %bb.181:
	s_cmp_lt_i32 s21, 24
	s_cbranch_scc1 .LBB46_191
; %bb.182:
	s_cmp_gt_i32 s21, 24
	s_cbranch_scc0 .LBB46_192
; %bb.183:
	s_wait_loadcnt 0x0
	global_load_u8 v1, v[4:5], off
	s_mov_b32 s28, 0
	s_mov_b32 s23, exec_lo
	s_wait_loadcnt 0x0
	v_cmpx_lt_i16_e32 0x7f, v1
	s_xor_b32 s23, exec_lo, s23
	s_cbranch_execz .LBB46_204
; %bb.184:
	v_cmp_ne_u16_e32 vcc_lo, 0x80, v1
	s_and_b32 s28, vcc_lo, exec_lo
	s_and_not1_saveexec_b32 s23, s23
	s_cbranch_execnz .LBB46_205
.LBB46_185:
	s_or_b32 exec_lo, exec_lo, s23
	v_mov_b32_e32 v2, 0
	s_and_saveexec_b32 s23, s28
	s_cbranch_execz .LBB46_187
.LBB46_186:
	v_and_b32_e32 v2, 0xffff, v1
	s_delay_alu instid0(VALU_DEP_1) | instskip(SKIP_1) | instid1(VALU_DEP_2)
	v_dual_lshlrev_b32 v1, 24, v1 :: v_dual_bitop2_b32 v3, 3, v2 bitop3:0x40
	v_bfe_u32 v8, v2, 2, 5
	v_and_b32_e32 v1, 0x80000000, v1
	s_delay_alu instid0(VALU_DEP_3) | instskip(NEXT) | instid1(VALU_DEP_3)
	v_clz_i32_u32_e32 v6, v3
	v_cmp_eq_u32_e32 vcc_lo, 0, v8
	s_delay_alu instid0(VALU_DEP_2) | instskip(NEXT) | instid1(VALU_DEP_1)
	v_min_u32_e32 v6, 32, v6
	v_subrev_nc_u32_e32 v7, 29, v6
	v_sub_nc_u32_e32 v6, 30, v6
	s_delay_alu instid0(VALU_DEP_2) | instskip(NEXT) | instid1(VALU_DEP_2)
	v_lshlrev_b32_e32 v2, v7, v2
	v_cndmask_b32_e32 v6, v8, v6, vcc_lo
	s_delay_alu instid0(VALU_DEP_2) | instskip(NEXT) | instid1(VALU_DEP_1)
	v_and_b32_e32 v2, 3, v2
	v_cndmask_b32_e32 v2, v3, v2, vcc_lo
	s_delay_alu instid0(VALU_DEP_3) | instskip(NEXT) | instid1(VALU_DEP_2)
	v_lshl_add_u32 v3, v6, 23, 0x37800000
	v_lshlrev_b32_e32 v2, 21, v2
	s_delay_alu instid0(VALU_DEP_1) | instskip(NEXT) | instid1(VALU_DEP_1)
	v_or3_b32 v1, v1, v3, v2
	v_cvt_i32_f32_e32 v2, v1
.LBB46_187:
	s_or_b32 exec_lo, exec_lo, s23
	s_mov_b32 s23, 0
	s_branch .LBB46_193
.LBB46_188:
	s_mov_b32 s28, -1
                                        ; implicit-def: $vgpr2
	s_branch .LBB46_199
.LBB46_189:
	s_and_not1_saveexec_b32 s23, s23
	s_cbranch_execz .LBB46_174
.LBB46_190:
	v_cmp_ne_u16_e32 vcc_lo, 0, v1
	s_and_not1_b32 s28, s28, exec_lo
	s_and_b32 s29, vcc_lo, exec_lo
	s_delay_alu instid0(SALU_CYCLE_1)
	s_or_b32 s28, s28, s29
	s_or_b32 exec_lo, exec_lo, s23
	v_mov_b32_e32 v2, 0
	s_and_saveexec_b32 s23, s28
	s_cbranch_execnz .LBB46_175
	s_branch .LBB46_176
.LBB46_191:
	s_mov_b32 s23, -1
                                        ; implicit-def: $vgpr2
	s_branch .LBB46_196
.LBB46_192:
	s_mov_b32 s23, -1
                                        ; implicit-def: $vgpr2
.LBB46_193:
	s_delay_alu instid0(SALU_CYCLE_1)
	s_and_b32 vcc_lo, exec_lo, s23
	s_cbranch_vccz .LBB46_195
; %bb.194:
	s_wait_loadcnt 0x0
	global_load_u8 v1, v[4:5], off
	s_wait_loadcnt 0x0
	v_lshlrev_b32_e32 v1, 24, v1
	s_delay_alu instid0(VALU_DEP_1) | instskip(NEXT) | instid1(VALU_DEP_1)
	v_and_b32_e32 v2, 0x7f000000, v1
	v_clz_i32_u32_e32 v3, v2
	v_cmp_ne_u32_e32 vcc_lo, 0, v2
	v_add_nc_u32_e32 v7, 0x1000000, v2
	s_delay_alu instid0(VALU_DEP_3) | instskip(NEXT) | instid1(VALU_DEP_1)
	v_min_u32_e32 v3, 32, v3
	v_sub_nc_u32_e64 v3, v3, 4 clamp
	s_delay_alu instid0(VALU_DEP_1) | instskip(NEXT) | instid1(VALU_DEP_1)
	v_dual_lshlrev_b32 v6, v3, v2 :: v_dual_lshlrev_b32 v3, 23, v3
	v_lshrrev_b32_e32 v6, 4, v6
	s_delay_alu instid0(VALU_DEP_1) | instskip(SKIP_1) | instid1(VALU_DEP_2)
	v_sub_nc_u32_e32 v3, v6, v3
	v_ashrrev_i32_e32 v6, 8, v7
	v_add_nc_u32_e32 v3, 0x3c000000, v3
	s_delay_alu instid0(VALU_DEP_1) | instskip(NEXT) | instid1(VALU_DEP_1)
	v_and_or_b32 v3, 0x7f800000, v6, v3
	v_cndmask_b32_e32 v2, 0, v3, vcc_lo
	s_delay_alu instid0(VALU_DEP_1) | instskip(NEXT) | instid1(VALU_DEP_1)
	v_and_or_b32 v1, 0x80000000, v1, v2
	v_cvt_i32_f32_e32 v2, v1
.LBB46_195:
	s_mov_b32 s23, 0
.LBB46_196:
	s_delay_alu instid0(SALU_CYCLE_1)
	s_and_not1_b32 vcc_lo, exec_lo, s23
	s_cbranch_vccnz .LBB46_198
; %bb.197:
	s_wait_loadcnt 0x0
	global_load_u8 v1, v[4:5], off
	s_wait_loadcnt 0x0
	v_lshlrev_b32_e32 v2, 25, v1
	v_lshlrev_b16 v1, 8, v1
	s_delay_alu instid0(VALU_DEP_1) | instskip(SKIP_1) | instid1(VALU_DEP_2)
	v_and_or_b32 v6, 0x7f00, v1, 0.5
	v_bfe_i32 v1, v1, 0, 16
	v_add_f32_e32 v6, -0.5, v6
	v_lshrrev_b32_e32 v3, 4, v2
	v_cmp_gt_u32_e32 vcc_lo, 0x8000000, v2
	s_delay_alu instid0(VALU_DEP_2) | instskip(NEXT) | instid1(VALU_DEP_1)
	v_or_b32_e32 v3, 0x70000000, v3
	v_mul_f32_e32 v3, 0x7800000, v3
	s_delay_alu instid0(VALU_DEP_1) | instskip(NEXT) | instid1(VALU_DEP_1)
	v_cndmask_b32_e32 v2, v3, v6, vcc_lo
	v_and_or_b32 v1, 0x80000000, v1, v2
	s_delay_alu instid0(VALU_DEP_1)
	v_cvt_i32_f32_e32 v2, v1
.LBB46_198:
	s_mov_b32 s28, 0
	s_mov_b32 s23, -1
.LBB46_199:
	s_and_not1_b32 vcc_lo, exec_lo, s28
	s_cbranch_vccnz .LBB46_212
; %bb.200:
	s_cmp_gt_i32 s21, 14
	s_cbranch_scc0 .LBB46_203
; %bb.201:
	s_cmp_eq_u32 s21, 15
	s_cbranch_scc0 .LBB46_206
; %bb.202:
	s_wait_loadcnt 0x0
	global_load_u16 v1, v[4:5], off
	s_mov_b32 s23, -1
	s_mov_b32 s24, 0
	s_wait_loadcnt 0x0
	v_lshlrev_b32_e32 v1, 16, v1
	s_delay_alu instid0(VALU_DEP_1)
	v_cvt_i32_f32_e32 v2, v1
	s_branch .LBB46_207
.LBB46_203:
	s_mov_b32 s28, -1
                                        ; implicit-def: $vgpr2
	s_branch .LBB46_208
.LBB46_204:
	s_and_not1_saveexec_b32 s23, s23
	s_cbranch_execz .LBB46_185
.LBB46_205:
	v_cmp_ne_u16_e32 vcc_lo, 0, v1
	s_and_not1_b32 s28, s28, exec_lo
	s_and_b32 s29, vcc_lo, exec_lo
	s_delay_alu instid0(SALU_CYCLE_1)
	s_or_b32 s28, s28, s29
	s_or_b32 exec_lo, exec_lo, s23
	v_mov_b32_e32 v2, 0
	s_and_saveexec_b32 s23, s28
	s_cbranch_execnz .LBB46_186
	s_branch .LBB46_187
.LBB46_206:
	s_mov_b32 s24, -1
                                        ; implicit-def: $vgpr2
.LBB46_207:
	s_mov_b32 s28, 0
.LBB46_208:
	s_delay_alu instid0(SALU_CYCLE_1)
	s_and_b32 vcc_lo, exec_lo, s28
	s_cbranch_vccz .LBB46_212
; %bb.209:
	s_cmp_eq_u32 s21, 11
	s_cbranch_scc0 .LBB46_211
; %bb.210:
	s_wait_loadcnt 0x0
	global_load_u8 v1, v[4:5], off
	s_mov_b32 s24, 0
	s_mov_b32 s23, -1
	s_wait_loadcnt 0x0
	v_cmp_ne_u16_e32 vcc_lo, 0, v1
	v_cndmask_b32_e64 v2, 0, 1, vcc_lo
	s_branch .LBB46_212
.LBB46_211:
	s_mov_b32 s24, -1
                                        ; implicit-def: $vgpr2
.LBB46_212:
	s_branch .LBB46_20
.LBB46_213:
	s_and_b32 s0, 0xffff, s0
	s_delay_alu instid0(SALU_CYCLE_1)
	s_cmp_lt_i32 s0, 5
	s_cbranch_scc1 .LBB46_218
; %bb.214:
	s_cmp_lt_i32 s0, 8
	s_cbranch_scc1 .LBB46_219
; %bb.215:
	;; [unrolled: 3-line block ×3, first 2 shown]
	s_cmp_gt_i32 s0, 9
	s_cbranch_scc0 .LBB46_221
; %bb.217:
	s_wait_loadcnt 0x0
	global_load_b64 v[2:3], v[4:5], off
	s_mov_b32 s21, 0
	s_wait_loadcnt 0x0
	v_cvt_i32_f64_e32 v2, v[2:3]
	s_branch .LBB46_222
.LBB46_218:
	s_mov_b32 s21, -1
                                        ; implicit-def: $vgpr2
	s_branch .LBB46_240
.LBB46_219:
	s_mov_b32 s21, -1
                                        ; implicit-def: $vgpr2
	s_branch .LBB46_228
.LBB46_220:
	s_mov_b32 s21, -1
                                        ; implicit-def: $vgpr2
	s_branch .LBB46_225
.LBB46_221:
	s_mov_b32 s21, -1
                                        ; implicit-def: $vgpr2
.LBB46_222:
	s_delay_alu instid0(SALU_CYCLE_1)
	s_and_not1_b32 vcc_lo, exec_lo, s21
	s_cbranch_vccnz .LBB46_224
; %bb.223:
	s_wait_loadcnt 0x0
	global_load_b32 v1, v[4:5], off
	s_wait_loadcnt 0x0
	v_cvt_i32_f32_e32 v2, v1
.LBB46_224:
	s_mov_b32 s21, 0
.LBB46_225:
	s_delay_alu instid0(SALU_CYCLE_1)
	s_and_not1_b32 vcc_lo, exec_lo, s21
	s_cbranch_vccnz .LBB46_227
; %bb.226:
	s_wait_loadcnt 0x0
	global_load_b32 v1, v[4:5], off
	s_wait_loadcnt 0x0
	v_cvt_i16_f16_e32 v2, v1
.LBB46_227:
	s_mov_b32 s21, 0
.LBB46_228:
	s_delay_alu instid0(SALU_CYCLE_1)
	s_and_not1_b32 vcc_lo, exec_lo, s21
	s_cbranch_vccnz .LBB46_239
; %bb.229:
	s_cmp_lt_i32 s0, 6
	s_cbranch_scc1 .LBB46_232
; %bb.230:
	s_cmp_gt_i32 s0, 6
	s_cbranch_scc0 .LBB46_233
; %bb.231:
	s_wait_loadcnt 0x0
	global_load_b64 v[2:3], v[4:5], off
	s_mov_b32 s21, 0
	s_wait_loadcnt 0x0
	v_cvt_i32_f64_e32 v2, v[2:3]
	s_branch .LBB46_234
.LBB46_232:
	s_mov_b32 s21, -1
                                        ; implicit-def: $vgpr2
	s_branch .LBB46_237
.LBB46_233:
	s_mov_b32 s21, -1
                                        ; implicit-def: $vgpr2
.LBB46_234:
	s_delay_alu instid0(SALU_CYCLE_1)
	s_and_not1_b32 vcc_lo, exec_lo, s21
	s_cbranch_vccnz .LBB46_236
; %bb.235:
	s_wait_loadcnt 0x0
	global_load_b32 v1, v[4:5], off
	s_wait_loadcnt 0x0
	v_cvt_i32_f32_e32 v2, v1
.LBB46_236:
	s_mov_b32 s21, 0
.LBB46_237:
	s_delay_alu instid0(SALU_CYCLE_1)
	s_and_not1_b32 vcc_lo, exec_lo, s21
	s_cbranch_vccnz .LBB46_239
; %bb.238:
	s_wait_loadcnt 0x0
	global_load_u16 v1, v[4:5], off
	s_wait_loadcnt 0x0
	v_cvt_i16_f16_e32 v2, v1
.LBB46_239:
	s_mov_b32 s21, 0
.LBB46_240:
	s_delay_alu instid0(SALU_CYCLE_1)
	s_and_not1_b32 vcc_lo, exec_lo, s21
	s_cbranch_vccnz .LBB46_260
; %bb.241:
	s_cmp_lt_i32 s0, 2
	s_cbranch_scc1 .LBB46_245
; %bb.242:
	s_cmp_lt_i32 s0, 3
	s_cbranch_scc1 .LBB46_246
; %bb.243:
	s_cmp_gt_i32 s0, 3
	s_cbranch_scc0 .LBB46_247
; %bb.244:
	s_wait_loadcnt 0x0
	global_load_b64 v[2:3], v[4:5], off
	s_mov_b32 s21, 0
	s_branch .LBB46_248
.LBB46_245:
	s_mov_b32 s21, -1
                                        ; implicit-def: $vgpr2
	s_branch .LBB46_254
.LBB46_246:
	s_mov_b32 s21, -1
                                        ; implicit-def: $vgpr2
	s_branch .LBB46_251
.LBB46_247:
	s_mov_b32 s21, -1
                                        ; implicit-def: $vgpr2
.LBB46_248:
	s_delay_alu instid0(SALU_CYCLE_1)
	s_and_not1_b32 vcc_lo, exec_lo, s21
	s_cbranch_vccnz .LBB46_250
; %bb.249:
	s_wait_loadcnt 0x0
	global_load_b32 v2, v[4:5], off
.LBB46_250:
	s_mov_b32 s21, 0
.LBB46_251:
	s_delay_alu instid0(SALU_CYCLE_1)
	s_and_not1_b32 vcc_lo, exec_lo, s21
	s_cbranch_vccnz .LBB46_253
; %bb.252:
	s_wait_loadcnt 0x0
	global_load_u16 v2, v[4:5], off
.LBB46_253:
	s_mov_b32 s21, 0
.LBB46_254:
	s_delay_alu instid0(SALU_CYCLE_1)
	s_and_not1_b32 vcc_lo, exec_lo, s21
	s_cbranch_vccnz .LBB46_260
; %bb.255:
	s_cmp_gt_i32 s0, 0
	s_mov_b32 s0, 0
	s_cbranch_scc0 .LBB46_257
; %bb.256:
	s_wait_loadcnt 0x0
	global_load_u8 v2, v[4:5], off
	s_branch .LBB46_258
.LBB46_257:
	s_mov_b32 s0, -1
                                        ; implicit-def: $vgpr2
.LBB46_258:
	s_delay_alu instid0(SALU_CYCLE_1)
	s_and_not1_b32 vcc_lo, exec_lo, s0
	s_cbranch_vccnz .LBB46_260
; %bb.259:
	s_wait_loadcnt 0x0
	global_load_u8 v2, v[4:5], off
.LBB46_260:
	s_branch .LBB46_21
.LBB46_261:
	s_mov_b32 s0, 0
	s_mov_b32 s23, 0
	s_branch .LBB46_498
.LBB46_262:
	s_mov_b32 s23, -1
.LBB46_263:
	s_mov_b32 s28, 0
                                        ; implicit-def: $vgpr6
.LBB46_264:
	s_and_b32 vcc_lo, exec_lo, s29
	s_cbranch_vccz .LBB46_268
; %bb.265:
	s_cmp_eq_u32 s21, 44
	s_cbranch_scc0 .LBB46_267
; %bb.266:
	s_wait_loadcnt 0x0
	global_load_u8 v1, v[4:5], off
	s_mov_b32 s23, 0
	s_mov_b32 s28, -1
	s_wait_loadcnt 0x0
	v_lshlrev_b32_e32 v3, 23, v1
	v_cmp_ne_u32_e32 vcc_lo, 0, v1
	s_delay_alu instid0(VALU_DEP_2) | instskip(NEXT) | instid1(VALU_DEP_1)
	v_cvt_i32_f32_e32 v3, v3
	v_cndmask_b32_e32 v6, 0, v3, vcc_lo
	s_branch .LBB46_268
.LBB46_267:
	s_mov_b32 s23, -1
                                        ; implicit-def: $vgpr6
.LBB46_268:
	s_mov_b32 s29, 0
.LBB46_269:
	s_delay_alu instid0(SALU_CYCLE_1)
	s_and_b32 vcc_lo, exec_lo, s29
	s_cbranch_vccz .LBB46_273
; %bb.270:
	s_cmp_eq_u32 s21, 29
	s_cbranch_scc0 .LBB46_272
; %bb.271:
	global_load_b64 v[6:7], v[4:5], off
	s_mov_b32 s28, -1
	s_mov_b32 s23, 0
	s_branch .LBB46_273
.LBB46_272:
	s_mov_b32 s23, -1
                                        ; implicit-def: $vgpr6
.LBB46_273:
	s_mov_b32 s29, 0
.LBB46_274:
	s_delay_alu instid0(SALU_CYCLE_1)
	s_and_b32 vcc_lo, exec_lo, s29
	s_cbranch_vccz .LBB46_290
; %bb.275:
	s_cmp_lt_i32 s21, 27
	s_cbranch_scc1 .LBB46_278
; %bb.276:
	s_cmp_gt_i32 s21, 27
	s_cbranch_scc0 .LBB46_279
; %bb.277:
	s_wait_loadcnt 0x0
	global_load_b32 v6, v[4:5], off
	s_mov_b32 s28, 0
	s_branch .LBB46_280
.LBB46_278:
	s_mov_b32 s28, -1
                                        ; implicit-def: $vgpr6
	s_branch .LBB46_283
.LBB46_279:
	s_mov_b32 s28, -1
                                        ; implicit-def: $vgpr6
.LBB46_280:
	s_delay_alu instid0(SALU_CYCLE_1)
	s_and_not1_b32 vcc_lo, exec_lo, s28
	s_cbranch_vccnz .LBB46_282
; %bb.281:
	s_wait_loadcnt 0x0
	global_load_u16 v6, v[4:5], off
.LBB46_282:
	s_mov_b32 s28, 0
.LBB46_283:
	s_delay_alu instid0(SALU_CYCLE_1)
	s_and_not1_b32 vcc_lo, exec_lo, s28
	s_cbranch_vccnz .LBB46_289
; %bb.284:
	s_wait_loadcnt 0x0
	global_load_u8 v1, v[4:5], off
	s_mov_b32 s29, 0
	s_mov_b32 s28, exec_lo
	s_wait_loadcnt 0x0
	v_cmpx_lt_i16_e32 0x7f, v1
	s_xor_b32 s28, exec_lo, s28
	s_cbranch_execz .LBB46_301
; %bb.285:
	v_cmp_ne_u16_e32 vcc_lo, 0x80, v1
	s_and_b32 s29, vcc_lo, exec_lo
	s_and_not1_saveexec_b32 s28, s28
	s_cbranch_execnz .LBB46_302
.LBB46_286:
	s_or_b32 exec_lo, exec_lo, s28
	v_mov_b32_e32 v6, 0
	s_and_saveexec_b32 s28, s29
	s_cbranch_execz .LBB46_288
.LBB46_287:
	v_and_b32_e32 v3, 0xffff, v1
	s_delay_alu instid0(VALU_DEP_1) | instskip(SKIP_1) | instid1(VALU_DEP_2)
	v_dual_lshlrev_b32 v1, 24, v1 :: v_dual_bitop2_b32 v6, 7, v3 bitop3:0x40
	v_bfe_u32 v9, v3, 3, 4
	v_and_b32_e32 v1, 0x80000000, v1
	s_delay_alu instid0(VALU_DEP_3) | instskip(NEXT) | instid1(VALU_DEP_3)
	v_clz_i32_u32_e32 v7, v6
	v_cmp_eq_u32_e32 vcc_lo, 0, v9
	s_delay_alu instid0(VALU_DEP_2) | instskip(NEXT) | instid1(VALU_DEP_1)
	v_min_u32_e32 v7, 32, v7
	v_subrev_nc_u32_e32 v8, 28, v7
	v_sub_nc_u32_e32 v7, 29, v7
	s_delay_alu instid0(VALU_DEP_2) | instskip(NEXT) | instid1(VALU_DEP_2)
	v_lshlrev_b32_e32 v3, v8, v3
	v_cndmask_b32_e32 v7, v9, v7, vcc_lo
	s_delay_alu instid0(VALU_DEP_2) | instskip(NEXT) | instid1(VALU_DEP_1)
	v_and_b32_e32 v3, 7, v3
	v_cndmask_b32_e32 v3, v6, v3, vcc_lo
	s_delay_alu instid0(VALU_DEP_3) | instskip(NEXT) | instid1(VALU_DEP_2)
	v_lshl_add_u32 v6, v7, 23, 0x3b800000
	v_lshlrev_b32_e32 v3, 20, v3
	s_delay_alu instid0(VALU_DEP_1) | instskip(NEXT) | instid1(VALU_DEP_1)
	v_or3_b32 v1, v1, v6, v3
	v_cvt_i32_f32_e32 v6, v1
.LBB46_288:
	s_or_b32 exec_lo, exec_lo, s28
.LBB46_289:
	s_mov_b32 s28, -1
.LBB46_290:
	s_mov_b32 s29, 0
.LBB46_291:
	s_delay_alu instid0(SALU_CYCLE_1)
	s_and_b32 vcc_lo, exec_lo, s29
	s_cbranch_vccz .LBB46_324
; %bb.292:
	s_cmp_gt_i32 s21, 22
	s_cbranch_scc0 .LBB46_300
; %bb.293:
	s_cmp_lt_i32 s21, 24
	s_cbranch_scc1 .LBB46_303
; %bb.294:
	s_cmp_gt_i32 s21, 24
	s_cbranch_scc0 .LBB46_304
; %bb.295:
	s_wait_loadcnt 0x0
	global_load_u8 v1, v[4:5], off
	s_mov_b32 s29, 0
	s_mov_b32 s28, exec_lo
	s_wait_loadcnt 0x0
	v_cmpx_lt_i16_e32 0x7f, v1
	s_xor_b32 s28, exec_lo, s28
	s_cbranch_execz .LBB46_316
; %bb.296:
	v_cmp_ne_u16_e32 vcc_lo, 0x80, v1
	s_and_b32 s29, vcc_lo, exec_lo
	s_and_not1_saveexec_b32 s28, s28
	s_cbranch_execnz .LBB46_317
.LBB46_297:
	s_or_b32 exec_lo, exec_lo, s28
	v_mov_b32_e32 v6, 0
	s_and_saveexec_b32 s28, s29
	s_cbranch_execz .LBB46_299
.LBB46_298:
	v_and_b32_e32 v3, 0xffff, v1
	s_delay_alu instid0(VALU_DEP_1) | instskip(SKIP_1) | instid1(VALU_DEP_2)
	v_dual_lshlrev_b32 v1, 24, v1 :: v_dual_bitop2_b32 v6, 3, v3 bitop3:0x40
	v_bfe_u32 v9, v3, 2, 5
	v_and_b32_e32 v1, 0x80000000, v1
	s_delay_alu instid0(VALU_DEP_3) | instskip(NEXT) | instid1(VALU_DEP_3)
	v_clz_i32_u32_e32 v7, v6
	v_cmp_eq_u32_e32 vcc_lo, 0, v9
	s_delay_alu instid0(VALU_DEP_2) | instskip(NEXT) | instid1(VALU_DEP_1)
	v_min_u32_e32 v7, 32, v7
	v_subrev_nc_u32_e32 v8, 29, v7
	v_sub_nc_u32_e32 v7, 30, v7
	s_delay_alu instid0(VALU_DEP_2) | instskip(NEXT) | instid1(VALU_DEP_2)
	v_lshlrev_b32_e32 v3, v8, v3
	v_cndmask_b32_e32 v7, v9, v7, vcc_lo
	s_delay_alu instid0(VALU_DEP_2) | instskip(NEXT) | instid1(VALU_DEP_1)
	v_and_b32_e32 v3, 3, v3
	v_cndmask_b32_e32 v3, v6, v3, vcc_lo
	s_delay_alu instid0(VALU_DEP_3) | instskip(NEXT) | instid1(VALU_DEP_2)
	v_lshl_add_u32 v6, v7, 23, 0x37800000
	v_lshlrev_b32_e32 v3, 21, v3
	s_delay_alu instid0(VALU_DEP_1) | instskip(NEXT) | instid1(VALU_DEP_1)
	v_or3_b32 v1, v1, v6, v3
	v_cvt_i32_f32_e32 v6, v1
.LBB46_299:
	s_or_b32 exec_lo, exec_lo, s28
	s_mov_b32 s28, 0
	s_branch .LBB46_305
.LBB46_300:
	s_mov_b32 s29, -1
                                        ; implicit-def: $vgpr6
	s_branch .LBB46_311
.LBB46_301:
	s_and_not1_saveexec_b32 s28, s28
	s_cbranch_execz .LBB46_286
.LBB46_302:
	v_cmp_ne_u16_e32 vcc_lo, 0, v1
	s_and_not1_b32 s29, s29, exec_lo
	s_and_b32 s30, vcc_lo, exec_lo
	s_delay_alu instid0(SALU_CYCLE_1)
	s_or_b32 s29, s29, s30
	s_or_b32 exec_lo, exec_lo, s28
	v_mov_b32_e32 v6, 0
	s_and_saveexec_b32 s28, s29
	s_cbranch_execnz .LBB46_287
	s_branch .LBB46_288
.LBB46_303:
	s_mov_b32 s28, -1
                                        ; implicit-def: $vgpr6
	s_branch .LBB46_308
.LBB46_304:
	s_mov_b32 s28, -1
                                        ; implicit-def: $vgpr6
.LBB46_305:
	s_delay_alu instid0(SALU_CYCLE_1)
	s_and_b32 vcc_lo, exec_lo, s28
	s_cbranch_vccz .LBB46_307
; %bb.306:
	s_wait_loadcnt 0x0
	global_load_u8 v1, v[4:5], off
	s_wait_loadcnt 0x0
	v_lshlrev_b32_e32 v1, 24, v1
	s_delay_alu instid0(VALU_DEP_1) | instskip(NEXT) | instid1(VALU_DEP_1)
	v_and_b32_e32 v3, 0x7f000000, v1
	v_clz_i32_u32_e32 v6, v3
	v_cmp_ne_u32_e32 vcc_lo, 0, v3
	v_add_nc_u32_e32 v8, 0x1000000, v3
	s_delay_alu instid0(VALU_DEP_3) | instskip(NEXT) | instid1(VALU_DEP_1)
	v_min_u32_e32 v6, 32, v6
	v_sub_nc_u32_e64 v6, v6, 4 clamp
	s_delay_alu instid0(VALU_DEP_1) | instskip(NEXT) | instid1(VALU_DEP_1)
	v_dual_lshlrev_b32 v7, v6, v3 :: v_dual_lshlrev_b32 v6, 23, v6
	v_lshrrev_b32_e32 v7, 4, v7
	s_delay_alu instid0(VALU_DEP_1) | instskip(NEXT) | instid1(VALU_DEP_1)
	v_dual_sub_nc_u32 v6, v7, v6 :: v_dual_ashrrev_i32 v7, 8, v8
	v_add_nc_u32_e32 v6, 0x3c000000, v6
	s_delay_alu instid0(VALU_DEP_1) | instskip(NEXT) | instid1(VALU_DEP_1)
	v_and_or_b32 v6, 0x7f800000, v7, v6
	v_cndmask_b32_e32 v3, 0, v6, vcc_lo
	s_delay_alu instid0(VALU_DEP_1) | instskip(NEXT) | instid1(VALU_DEP_1)
	v_and_or_b32 v1, 0x80000000, v1, v3
	v_cvt_i32_f32_e32 v6, v1
.LBB46_307:
	s_mov_b32 s28, 0
.LBB46_308:
	s_delay_alu instid0(SALU_CYCLE_1)
	s_and_not1_b32 vcc_lo, exec_lo, s28
	s_cbranch_vccnz .LBB46_310
; %bb.309:
	s_wait_loadcnt 0x0
	global_load_u8 v1, v[4:5], off
	s_wait_loadcnt 0x0
	v_lshlrev_b32_e32 v3, 25, v1
	v_lshlrev_b16 v1, 8, v1
	s_delay_alu instid0(VALU_DEP_1) | instskip(SKIP_1) | instid1(VALU_DEP_2)
	v_and_or_b32 v7, 0x7f00, v1, 0.5
	v_bfe_i32 v1, v1, 0, 16
	v_add_f32_e32 v7, -0.5, v7
	v_lshrrev_b32_e32 v6, 4, v3
	v_cmp_gt_u32_e32 vcc_lo, 0x8000000, v3
	s_delay_alu instid0(VALU_DEP_2) | instskip(NEXT) | instid1(VALU_DEP_1)
	v_or_b32_e32 v6, 0x70000000, v6
	v_mul_f32_e32 v6, 0x7800000, v6
	s_delay_alu instid0(VALU_DEP_1) | instskip(NEXT) | instid1(VALU_DEP_1)
	v_cndmask_b32_e32 v3, v6, v7, vcc_lo
	v_and_or_b32 v1, 0x80000000, v1, v3
	s_delay_alu instid0(VALU_DEP_1)
	v_cvt_i32_f32_e32 v6, v1
.LBB46_310:
	s_mov_b32 s29, 0
	s_mov_b32 s28, -1
.LBB46_311:
	s_and_not1_b32 vcc_lo, exec_lo, s29
	s_cbranch_vccnz .LBB46_324
; %bb.312:
	s_cmp_gt_i32 s21, 14
	s_cbranch_scc0 .LBB46_315
; %bb.313:
	s_cmp_eq_u32 s21, 15
	s_cbranch_scc0 .LBB46_318
; %bb.314:
	s_wait_loadcnt 0x0
	global_load_u16 v1, v[4:5], off
	s_mov_b32 s28, -1
	s_mov_b32 s23, 0
	s_wait_loadcnt 0x0
	v_lshlrev_b32_e32 v1, 16, v1
	s_delay_alu instid0(VALU_DEP_1)
	v_cvt_i32_f32_e32 v6, v1
	s_branch .LBB46_319
.LBB46_315:
	s_mov_b32 s29, -1
                                        ; implicit-def: $vgpr6
	s_branch .LBB46_320
.LBB46_316:
	s_and_not1_saveexec_b32 s28, s28
	s_cbranch_execz .LBB46_297
.LBB46_317:
	v_cmp_ne_u16_e32 vcc_lo, 0, v1
	s_and_not1_b32 s29, s29, exec_lo
	s_and_b32 s30, vcc_lo, exec_lo
	s_delay_alu instid0(SALU_CYCLE_1)
	s_or_b32 s29, s29, s30
	s_or_b32 exec_lo, exec_lo, s28
	v_mov_b32_e32 v6, 0
	s_and_saveexec_b32 s28, s29
	s_cbranch_execnz .LBB46_298
	s_branch .LBB46_299
.LBB46_318:
	s_mov_b32 s23, -1
                                        ; implicit-def: $vgpr6
.LBB46_319:
	s_mov_b32 s29, 0
.LBB46_320:
	s_delay_alu instid0(SALU_CYCLE_1)
	s_and_b32 vcc_lo, exec_lo, s29
	s_cbranch_vccz .LBB46_324
; %bb.321:
	s_cmp_eq_u32 s21, 11
	s_cbranch_scc0 .LBB46_323
; %bb.322:
	s_wait_loadcnt 0x0
	global_load_u8 v1, v[4:5], off
	s_mov_b32 s23, 0
	s_mov_b32 s28, -1
	s_wait_loadcnt 0x0
	v_cmp_ne_u16_e32 vcc_lo, 0, v1
	v_cndmask_b32_e64 v6, 0, 1, vcc_lo
	s_branch .LBB46_324
.LBB46_323:
	s_mov_b32 s23, -1
                                        ; implicit-def: $vgpr6
.LBB46_324:
	s_mov_b32 s21, 0
.LBB46_325:
	s_delay_alu instid0(SALU_CYCLE_1)
	s_and_b32 vcc_lo, exec_lo, s21
	s_cbranch_vccz .LBB46_374
; %bb.326:
	s_and_b32 s0, 0xffff, s0
	s_delay_alu instid0(SALU_CYCLE_1)
	s_cmp_lt_i32 s0, 5
	s_cbranch_scc1 .LBB46_331
; %bb.327:
	s_cmp_lt_i32 s0, 8
	s_cbranch_scc1 .LBB46_332
; %bb.328:
	;; [unrolled: 3-line block ×3, first 2 shown]
	s_cmp_gt_i32 s0, 9
	s_cbranch_scc0 .LBB46_334
; %bb.330:
	s_wait_loadcnt 0x0
	global_load_b64 v[6:7], v[4:5], off
	s_mov_b32 s21, 0
	s_wait_loadcnt 0x0
	v_cvt_i32_f64_e32 v6, v[6:7]
	s_branch .LBB46_335
.LBB46_331:
	s_mov_b32 s21, -1
                                        ; implicit-def: $vgpr6
	s_branch .LBB46_353
.LBB46_332:
	s_mov_b32 s21, -1
                                        ; implicit-def: $vgpr6
	s_branch .LBB46_341
.LBB46_333:
	s_mov_b32 s21, -1
                                        ; implicit-def: $vgpr6
	s_branch .LBB46_338
.LBB46_334:
	s_mov_b32 s21, -1
                                        ; implicit-def: $vgpr6
.LBB46_335:
	s_delay_alu instid0(SALU_CYCLE_1)
	s_and_not1_b32 vcc_lo, exec_lo, s21
	s_cbranch_vccnz .LBB46_337
; %bb.336:
	s_wait_loadcnt 0x0
	global_load_b32 v1, v[4:5], off
	s_wait_loadcnt 0x0
	v_cvt_i32_f32_e32 v6, v1
.LBB46_337:
	s_mov_b32 s21, 0
.LBB46_338:
	s_delay_alu instid0(SALU_CYCLE_1)
	s_and_not1_b32 vcc_lo, exec_lo, s21
	s_cbranch_vccnz .LBB46_340
; %bb.339:
	s_wait_loadcnt 0x0
	global_load_b32 v1, v[4:5], off
	s_wait_loadcnt 0x0
	v_cvt_i16_f16_e32 v6, v1
.LBB46_340:
	s_mov_b32 s21, 0
.LBB46_341:
	s_delay_alu instid0(SALU_CYCLE_1)
	s_and_not1_b32 vcc_lo, exec_lo, s21
	s_cbranch_vccnz .LBB46_352
; %bb.342:
	s_cmp_lt_i32 s0, 6
	s_cbranch_scc1 .LBB46_345
; %bb.343:
	s_cmp_gt_i32 s0, 6
	s_cbranch_scc0 .LBB46_346
; %bb.344:
	s_wait_loadcnt 0x0
	global_load_b64 v[6:7], v[4:5], off
	s_mov_b32 s21, 0
	s_wait_loadcnt 0x0
	v_cvt_i32_f64_e32 v6, v[6:7]
	s_branch .LBB46_347
.LBB46_345:
	s_mov_b32 s21, -1
                                        ; implicit-def: $vgpr6
	s_branch .LBB46_350
.LBB46_346:
	s_mov_b32 s21, -1
                                        ; implicit-def: $vgpr6
.LBB46_347:
	s_delay_alu instid0(SALU_CYCLE_1)
	s_and_not1_b32 vcc_lo, exec_lo, s21
	s_cbranch_vccnz .LBB46_349
; %bb.348:
	s_wait_loadcnt 0x0
	global_load_b32 v1, v[4:5], off
	s_wait_loadcnt 0x0
	v_cvt_i32_f32_e32 v6, v1
.LBB46_349:
	s_mov_b32 s21, 0
.LBB46_350:
	s_delay_alu instid0(SALU_CYCLE_1)
	s_and_not1_b32 vcc_lo, exec_lo, s21
	s_cbranch_vccnz .LBB46_352
; %bb.351:
	s_wait_loadcnt 0x0
	global_load_u16 v1, v[4:5], off
	s_wait_loadcnt 0x0
	v_cvt_i16_f16_e32 v6, v1
.LBB46_352:
	s_mov_b32 s21, 0
.LBB46_353:
	s_delay_alu instid0(SALU_CYCLE_1)
	s_and_not1_b32 vcc_lo, exec_lo, s21
	s_cbranch_vccnz .LBB46_373
; %bb.354:
	s_cmp_lt_i32 s0, 2
	s_cbranch_scc1 .LBB46_358
; %bb.355:
	s_cmp_lt_i32 s0, 3
	s_cbranch_scc1 .LBB46_359
; %bb.356:
	s_cmp_gt_i32 s0, 3
	s_cbranch_scc0 .LBB46_360
; %bb.357:
	s_wait_loadcnt 0x0
	global_load_b64 v[6:7], v[4:5], off
	s_mov_b32 s21, 0
	s_branch .LBB46_361
.LBB46_358:
	s_mov_b32 s21, -1
                                        ; implicit-def: $vgpr6
	s_branch .LBB46_367
.LBB46_359:
	s_mov_b32 s21, -1
                                        ; implicit-def: $vgpr6
	s_branch .LBB46_364
.LBB46_360:
	s_mov_b32 s21, -1
                                        ; implicit-def: $vgpr6
.LBB46_361:
	s_delay_alu instid0(SALU_CYCLE_1)
	s_and_not1_b32 vcc_lo, exec_lo, s21
	s_cbranch_vccnz .LBB46_363
; %bb.362:
	s_wait_loadcnt 0x0
	global_load_b32 v6, v[4:5], off
.LBB46_363:
	s_mov_b32 s21, 0
.LBB46_364:
	s_delay_alu instid0(SALU_CYCLE_1)
	s_and_not1_b32 vcc_lo, exec_lo, s21
	s_cbranch_vccnz .LBB46_366
; %bb.365:
	s_wait_loadcnt 0x0
	global_load_u16 v6, v[4:5], off
.LBB46_366:
	s_mov_b32 s21, 0
.LBB46_367:
	s_delay_alu instid0(SALU_CYCLE_1)
	s_and_not1_b32 vcc_lo, exec_lo, s21
	s_cbranch_vccnz .LBB46_373
; %bb.368:
	s_cmp_gt_i32 s0, 0
	s_mov_b32 s0, 0
	s_cbranch_scc0 .LBB46_370
; %bb.369:
	s_wait_loadcnt 0x0
	global_load_u8 v6, v[4:5], off
	s_branch .LBB46_371
.LBB46_370:
	s_mov_b32 s0, -1
                                        ; implicit-def: $vgpr6
.LBB46_371:
	s_delay_alu instid0(SALU_CYCLE_1)
	s_and_not1_b32 vcc_lo, exec_lo, s0
	s_cbranch_vccnz .LBB46_373
; %bb.372:
	s_wait_loadcnt 0x0
	global_load_u8 v6, v[4:5], off
.LBB46_373:
	s_mov_b32 s28, -1
.LBB46_374:
	s_delay_alu instid0(SALU_CYCLE_1)
	s_and_not1_b32 vcc_lo, exec_lo, s28
	s_cbranch_vccnz .LBB46_382
; %bb.375:
	s_wait_xcnt 0x0
	v_mul_lo_u32 v4, v26, s12
	s_wait_loadcnt 0x0
	v_mul_lo_u16 v3, v0, s2
	v_mul_lo_u16 v2, v2, s1
	s_and_b32 s21, s18, 0xff
	s_delay_alu instid0(SALU_CYCLE_1) | instskip(NEXT) | instid1(VALU_DEP_1)
	s_cmp_lt_i32 s21, 11
	v_mad_u16 v2, v2, v6, v3
	s_delay_alu instid0(VALU_DEP_4) | instskip(NEXT) | instid1(VALU_DEP_1)
	v_ashrrev_i32_e32 v5, 31, v4
	v_add_nc_u64_e32 v[0:1], s[4:5], v[4:5]
	s_cbranch_scc1 .LBB46_383
; %bb.376:
	s_and_b32 s28, 0xffff, s21
	s_delay_alu instid0(SALU_CYCLE_1)
	s_cmp_gt_i32 s28, 25
	s_cbranch_scc0 .LBB46_384
; %bb.377:
	s_cmp_gt_i32 s28, 28
	s_cbranch_scc0 .LBB46_385
; %bb.378:
	;; [unrolled: 3-line block ×4, first 2 shown]
	s_mov_b32 s30, 0
	s_mov_b32 s0, -1
	s_cmp_eq_u32 s28, 46
	s_mov_b32 s29, 0
	s_cbranch_scc0 .LBB46_388
; %bb.381:
	v_bfe_i32 v3, v2, 0, 8
	s_mov_b32 s29, -1
	s_mov_b32 s0, 0
	s_delay_alu instid0(VALU_DEP_1) | instskip(NEXT) | instid1(VALU_DEP_1)
	v_bfe_i32 v3, v3, 0, 16
	v_cvt_f32_i32_e32 v3, v3
	s_delay_alu instid0(VALU_DEP_1) | instskip(NEXT) | instid1(VALU_DEP_1)
	v_bfe_u32 v4, v3, 16, 1
	v_add3_u32 v3, v3, v4, 0x7fff
	s_delay_alu instid0(VALU_DEP_1)
	v_lshrrev_b32_e32 v3, 16, v3
	global_store_b32 v[0:1], v3, off
	s_branch .LBB46_388
.LBB46_382:
	s_mov_b32 s0, 0
	s_branch .LBB46_498
.LBB46_383:
	s_mov_b32 s28, -1
	s_mov_b32 s0, 0
	s_mov_b32 s29, 0
	s_branch .LBB46_457
.LBB46_384:
	s_mov_b32 s30, -1
	s_mov_b32 s0, 0
	s_mov_b32 s29, 0
	s_branch .LBB46_415
.LBB46_385:
	s_mov_b32 s30, -1
	s_mov_b32 s0, 0
	s_mov_b32 s29, 0
	s_branch .LBB46_398
.LBB46_386:
	s_mov_b32 s30, -1
	s_mov_b32 s0, 0
	s_mov_b32 s29, 0
	s_branch .LBB46_394
.LBB46_387:
	s_mov_b32 s30, -1
	s_mov_b32 s0, 0
	s_mov_b32 s29, 0
.LBB46_388:
	s_and_b32 vcc_lo, exec_lo, s30
	s_cbranch_vccz .LBB46_393
; %bb.389:
	s_cmp_eq_u32 s28, 44
	s_mov_b32 s0, -1
	s_cbranch_scc0 .LBB46_393
; %bb.390:
	s_wait_xcnt 0x0
	v_bfe_i32 v3, v2, 0, 8
	v_mov_b32_e32 v4, 0xff
	s_mov_b32 s29, exec_lo
	s_delay_alu instid0(VALU_DEP_2) | instskip(NEXT) | instid1(VALU_DEP_1)
	v_bfe_i32 v3, v3, 0, 16
	v_cvt_f32_i32_e32 v3, v3
	s_delay_alu instid0(VALU_DEP_1) | instskip(NEXT) | instid1(VALU_DEP_1)
	v_bfe_u32 v5, v3, 23, 8
	v_cmpx_ne_u32_e32 0xff, v5
	s_cbranch_execz .LBB46_392
; %bb.391:
	v_and_b32_e32 v4, 0x400000, v3
	v_and_or_b32 v5, 0x3fffff, v3, v5
	v_lshrrev_b32_e32 v3, 23, v3
	s_delay_alu instid0(VALU_DEP_3) | instskip(NEXT) | instid1(VALU_DEP_3)
	v_cmp_ne_u32_e32 vcc_lo, 0, v4
	v_cmp_ne_u32_e64 s0, 0, v5
	s_and_b32 s0, vcc_lo, s0
	s_delay_alu instid0(SALU_CYCLE_1) | instskip(NEXT) | instid1(VALU_DEP_1)
	v_cndmask_b32_e64 v4, 0, 1, s0
	v_add_nc_u32_e32 v4, v3, v4
.LBB46_392:
	s_or_b32 exec_lo, exec_lo, s29
	s_mov_b32 s29, -1
	s_mov_b32 s0, 0
	global_store_b8 v[0:1], v4, off
.LBB46_393:
	s_mov_b32 s30, 0
.LBB46_394:
	s_delay_alu instid0(SALU_CYCLE_1)
	s_and_b32 vcc_lo, exec_lo, s30
	s_cbranch_vccz .LBB46_397
; %bb.395:
	s_cmp_eq_u32 s28, 29
	s_mov_b32 s0, -1
	s_cbranch_scc0 .LBB46_397
; %bb.396:
	s_wait_xcnt 0x0
	v_bfe_i32 v4, v2, 0, 8
	s_mov_b32 s29, -1
	s_mov_b32 s0, 0
	s_mov_b32 s30, 0
	s_delay_alu instid0(VALU_DEP_1)
	v_ashrrev_i32_e32 v5, 31, v4
	global_store_b64 v[0:1], v[4:5], off
	s_branch .LBB46_398
.LBB46_397:
	s_mov_b32 s30, 0
.LBB46_398:
	s_delay_alu instid0(SALU_CYCLE_1)
	s_and_b32 vcc_lo, exec_lo, s30
	s_cbranch_vccz .LBB46_414
; %bb.399:
	s_cmp_lt_i32 s28, 27
	s_mov_b32 s29, -1
	s_cbranch_scc1 .LBB46_405
; %bb.400:
	s_cmp_gt_i32 s28, 27
	s_cbranch_scc0 .LBB46_402
; %bb.401:
	s_wait_xcnt 0x0
	v_bfe_i32 v3, v2, 0, 8
	s_mov_b32 s29, 0
	global_store_b32 v[0:1], v3, off
.LBB46_402:
	s_and_not1_b32 vcc_lo, exec_lo, s29
	s_cbranch_vccnz .LBB46_404
; %bb.403:
	s_wait_xcnt 0x0
	v_bfe_i32 v3, v2, 0, 8
	global_store_b16 v[0:1], v3, off
.LBB46_404:
	s_mov_b32 s29, 0
.LBB46_405:
	s_delay_alu instid0(SALU_CYCLE_1)
	s_and_not1_b32 vcc_lo, exec_lo, s29
	s_cbranch_vccnz .LBB46_413
; %bb.406:
	s_wait_xcnt 0x0
	v_bfe_i32 v3, v2, 0, 8
	v_mov_b32_e32 v5, 0x80
	s_mov_b32 s29, exec_lo
	s_delay_alu instid0(VALU_DEP_2) | instskip(NEXT) | instid1(VALU_DEP_1)
	v_bfe_i32 v3, v3, 0, 16
	v_cvt_f32_i32_e32 v3, v3
	s_delay_alu instid0(VALU_DEP_1) | instskip(NEXT) | instid1(VALU_DEP_1)
	v_and_b32_e32 v4, 0x7fffffff, v3
	v_cmpx_gt_u32_e32 0x43800000, v4
	s_cbranch_execz .LBB46_412
; %bb.407:
	v_cmp_lt_u32_e32 vcc_lo, 0x3bffffff, v4
	s_mov_b32 s30, 0
                                        ; implicit-def: $vgpr4
	s_and_saveexec_b32 s31, vcc_lo
	s_delay_alu instid0(SALU_CYCLE_1)
	s_xor_b32 s31, exec_lo, s31
	s_cbranch_execz .LBB46_642
; %bb.408:
	v_bfe_u32 v4, v3, 20, 1
	s_mov_b32 s30, exec_lo
	s_delay_alu instid0(VALU_DEP_1) | instskip(NEXT) | instid1(VALU_DEP_1)
	v_add3_u32 v4, v3, v4, 0x487ffff
	v_lshrrev_b32_e32 v4, 20, v4
	s_and_not1_saveexec_b32 s31, s31
	s_cbranch_execnz .LBB46_643
.LBB46_409:
	s_or_b32 exec_lo, exec_lo, s31
	v_mov_b32_e32 v5, 0
	s_and_saveexec_b32 s31, s30
.LBB46_410:
	v_lshrrev_b32_e32 v3, 24, v3
	s_delay_alu instid0(VALU_DEP_1)
	v_and_or_b32 v5, 0x80, v3, v4
.LBB46_411:
	s_or_b32 exec_lo, exec_lo, s31
.LBB46_412:
	s_delay_alu instid0(SALU_CYCLE_1)
	s_or_b32 exec_lo, exec_lo, s29
	global_store_b8 v[0:1], v5, off
.LBB46_413:
	s_mov_b32 s29, -1
.LBB46_414:
	s_mov_b32 s30, 0
.LBB46_415:
	s_delay_alu instid0(SALU_CYCLE_1)
	s_and_b32 vcc_lo, exec_lo, s30
	s_cbranch_vccz .LBB46_456
; %bb.416:
	s_cmp_gt_i32 s28, 22
	s_mov_b32 s30, -1
	s_cbranch_scc0 .LBB46_448
; %bb.417:
	s_cmp_lt_i32 s28, 24
	s_mov_b32 s29, -1
	s_cbranch_scc1 .LBB46_437
; %bb.418:
	s_cmp_gt_i32 s28, 24
	s_cbranch_scc0 .LBB46_426
; %bb.419:
	s_wait_xcnt 0x0
	v_bfe_i32 v3, v2, 0, 8
	v_mov_b32_e32 v5, 0x80
	s_mov_b32 s29, exec_lo
	s_delay_alu instid0(VALU_DEP_2) | instskip(NEXT) | instid1(VALU_DEP_1)
	v_bfe_i32 v3, v3, 0, 16
	v_cvt_f32_i32_e32 v3, v3
	s_delay_alu instid0(VALU_DEP_1) | instskip(NEXT) | instid1(VALU_DEP_1)
	v_and_b32_e32 v4, 0x7fffffff, v3
	v_cmpx_gt_u32_e32 0x47800000, v4
	s_cbranch_execz .LBB46_425
; %bb.420:
	v_cmp_lt_u32_e32 vcc_lo, 0x37ffffff, v4
	s_mov_b32 s30, 0
                                        ; implicit-def: $vgpr4
	s_and_saveexec_b32 s31, vcc_lo
	s_delay_alu instid0(SALU_CYCLE_1)
	s_xor_b32 s31, exec_lo, s31
	s_cbranch_execz .LBB46_770
; %bb.421:
	v_bfe_u32 v4, v3, 21, 1
	s_mov_b32 s30, exec_lo
	s_delay_alu instid0(VALU_DEP_1) | instskip(NEXT) | instid1(VALU_DEP_1)
	v_add3_u32 v4, v3, v4, 0x88fffff
	v_lshrrev_b32_e32 v4, 21, v4
	s_and_not1_saveexec_b32 s31, s31
	s_cbranch_execnz .LBB46_771
.LBB46_422:
	s_or_b32 exec_lo, exec_lo, s31
	v_mov_b32_e32 v5, 0
	s_and_saveexec_b32 s31, s30
.LBB46_423:
	v_lshrrev_b32_e32 v3, 24, v3
	s_delay_alu instid0(VALU_DEP_1)
	v_and_or_b32 v5, 0x80, v3, v4
.LBB46_424:
	s_or_b32 exec_lo, exec_lo, s31
.LBB46_425:
	s_delay_alu instid0(SALU_CYCLE_1)
	s_or_b32 exec_lo, exec_lo, s29
	s_mov_b32 s29, 0
	global_store_b8 v[0:1], v5, off
.LBB46_426:
	s_and_b32 vcc_lo, exec_lo, s29
	s_cbranch_vccz .LBB46_436
; %bb.427:
	s_wait_xcnt 0x0
	v_bfe_i32 v3, v2, 0, 8
	s_mov_b32 s29, exec_lo
                                        ; implicit-def: $vgpr4
	s_delay_alu instid0(VALU_DEP_1) | instskip(NEXT) | instid1(VALU_DEP_1)
	v_bfe_i32 v3, v3, 0, 16
	v_cvt_f32_i32_e32 v3, v3
	s_delay_alu instid0(VALU_DEP_1) | instskip(NEXT) | instid1(VALU_DEP_1)
	v_and_b32_e32 v5, 0x7fffffff, v3
	v_cmpx_gt_u32_e32 0x43f00000, v5
	s_xor_b32 s29, exec_lo, s29
	s_cbranch_execz .LBB46_433
; %bb.428:
	s_mov_b32 s30, exec_lo
                                        ; implicit-def: $vgpr4
	v_cmpx_lt_u32_e32 0x3c7fffff, v5
	s_xor_b32 s30, exec_lo, s30
; %bb.429:
	v_bfe_u32 v4, v3, 20, 1
	s_delay_alu instid0(VALU_DEP_1) | instskip(NEXT) | instid1(VALU_DEP_1)
	v_add3_u32 v4, v3, v4, 0x407ffff
	v_and_b32_e32 v5, 0xff00000, v4
	v_lshrrev_b32_e32 v4, 20, v4
	s_delay_alu instid0(VALU_DEP_2) | instskip(NEXT) | instid1(VALU_DEP_2)
	v_cmp_ne_u32_e32 vcc_lo, 0x7f00000, v5
	v_cndmask_b32_e32 v4, 0x7e, v4, vcc_lo
; %bb.430:
	s_and_not1_saveexec_b32 s30, s30
; %bb.431:
	v_add_f32_e64 v4, 0x46800000, |v3|
; %bb.432:
	s_or_b32 exec_lo, exec_lo, s30
                                        ; implicit-def: $vgpr5
.LBB46_433:
	s_and_not1_saveexec_b32 s29, s29
; %bb.434:
	v_mov_b32_e32 v4, 0x7f
	v_cmp_lt_u32_e32 vcc_lo, 0x7f800000, v5
	s_delay_alu instid0(VALU_DEP_2)
	v_cndmask_b32_e32 v4, 0x7e, v4, vcc_lo
; %bb.435:
	s_or_b32 exec_lo, exec_lo, s29
	v_lshrrev_b32_e32 v3, 24, v3
	s_delay_alu instid0(VALU_DEP_1)
	v_and_or_b32 v3, 0x80, v3, v4
	global_store_b8 v[0:1], v3, off
.LBB46_436:
	s_mov_b32 s29, 0
.LBB46_437:
	s_delay_alu instid0(SALU_CYCLE_1)
	s_and_not1_b32 vcc_lo, exec_lo, s29
	s_cbranch_vccnz .LBB46_447
; %bb.438:
	s_wait_xcnt 0x0
	v_bfe_i32 v3, v2, 0, 8
	s_mov_b32 s29, exec_lo
                                        ; implicit-def: $vgpr4
	s_delay_alu instid0(VALU_DEP_1) | instskip(NEXT) | instid1(VALU_DEP_1)
	v_bfe_i32 v3, v3, 0, 16
	v_cvt_f32_i32_e32 v3, v3
	s_delay_alu instid0(VALU_DEP_1) | instskip(NEXT) | instid1(VALU_DEP_1)
	v_and_b32_e32 v5, 0x7fffffff, v3
	v_cmpx_gt_u32_e32 0x47800000, v5
	s_xor_b32 s29, exec_lo, s29
	s_cbranch_execz .LBB46_444
; %bb.439:
	s_mov_b32 s30, exec_lo
                                        ; implicit-def: $vgpr4
	v_cmpx_lt_u32_e32 0x387fffff, v5
	s_xor_b32 s30, exec_lo, s30
; %bb.440:
	v_bfe_u32 v4, v3, 21, 1
	s_delay_alu instid0(VALU_DEP_1) | instskip(NEXT) | instid1(VALU_DEP_1)
	v_add3_u32 v4, v3, v4, 0x80fffff
	v_lshrrev_b32_e32 v4, 21, v4
; %bb.441:
	s_and_not1_saveexec_b32 s30, s30
; %bb.442:
	v_add_f32_e64 v4, 0x43000000, |v3|
; %bb.443:
	s_or_b32 exec_lo, exec_lo, s30
                                        ; implicit-def: $vgpr5
.LBB46_444:
	s_and_not1_saveexec_b32 s29, s29
; %bb.445:
	v_mov_b32_e32 v4, 0x7f
	v_cmp_lt_u32_e32 vcc_lo, 0x7f800000, v5
	s_delay_alu instid0(VALU_DEP_2)
	v_cndmask_b32_e32 v4, 0x7c, v4, vcc_lo
; %bb.446:
	s_or_b32 exec_lo, exec_lo, s29
	v_lshrrev_b32_e32 v3, 24, v3
	s_delay_alu instid0(VALU_DEP_1)
	v_and_or_b32 v3, 0x80, v3, v4
	global_store_b8 v[0:1], v3, off
.LBB46_447:
	s_mov_b32 s30, 0
	s_mov_b32 s29, -1
.LBB46_448:
	s_and_not1_b32 vcc_lo, exec_lo, s30
	s_cbranch_vccnz .LBB46_456
; %bb.449:
	s_cmp_gt_i32 s28, 14
	s_mov_b32 s30, -1
	s_cbranch_scc0 .LBB46_453
; %bb.450:
	s_cmp_eq_u32 s28, 15
	s_mov_b32 s0, -1
	s_cbranch_scc0 .LBB46_452
; %bb.451:
	s_wait_xcnt 0x0
	v_bfe_i32 v3, v2, 0, 8
	s_mov_b32 s29, -1
	s_mov_b32 s0, 0
	s_delay_alu instid0(VALU_DEP_1) | instskip(NEXT) | instid1(VALU_DEP_1)
	v_bfe_i32 v3, v3, 0, 16
	v_cvt_f32_i32_e32 v3, v3
	s_delay_alu instid0(VALU_DEP_1) | instskip(NEXT) | instid1(VALU_DEP_1)
	v_bfe_u32 v4, v3, 16, 1
	v_add3_u32 v3, v3, v4, 0x7fff
	global_store_d16_hi_b16 v[0:1], v3, off
.LBB46_452:
	s_mov_b32 s30, 0
.LBB46_453:
	s_delay_alu instid0(SALU_CYCLE_1)
	s_and_b32 vcc_lo, exec_lo, s30
	s_cbranch_vccz .LBB46_456
; %bb.454:
	s_cmp_eq_u32 s28, 11
	s_mov_b32 s0, -1
	s_cbranch_scc0 .LBB46_456
; %bb.455:
	s_wait_xcnt 0x0
	v_and_b32_e32 v3, 0xff, v2
	s_mov_b32 s0, 0
	s_mov_b32 s29, -1
	s_delay_alu instid0(VALU_DEP_1)
	v_cmp_ne_u16_e32 vcc_lo, 0, v3
	v_cndmask_b32_e64 v3, 0, 1, vcc_lo
	global_store_b8 v[0:1], v3, off
.LBB46_456:
	s_mov_b32 s28, 0
.LBB46_457:
	s_delay_alu instid0(SALU_CYCLE_1)
	s_and_b32 vcc_lo, exec_lo, s28
	s_cbranch_vccz .LBB46_496
; %bb.458:
	s_and_b32 s21, 0xffff, s21
	s_mov_b32 s28, -1
	s_cmp_lt_i32 s21, 5
	s_cbranch_scc1 .LBB46_479
; %bb.459:
	s_cmp_lt_i32 s21, 8
	s_cbranch_scc1 .LBB46_469
; %bb.460:
	s_cmp_lt_i32 s21, 9
	s_cbranch_scc1 .LBB46_466
; %bb.461:
	s_cmp_gt_i32 s21, 9
	s_cbranch_scc0 .LBB46_463
; %bb.462:
	s_wait_xcnt 0x0
	v_bfe_i32 v3, v2, 0, 8
	v_mov_b32_e32 v6, 0
	s_mov_b32 s28, 0
	s_delay_alu instid0(VALU_DEP_2) | instskip(NEXT) | instid1(VALU_DEP_2)
	v_bfe_i32 v3, v3, 0, 16
	v_mov_b32_e32 v7, v6
	s_delay_alu instid0(VALU_DEP_2)
	v_cvt_f64_i32_e32 v[4:5], v3
	global_store_b128 v[0:1], v[4:7], off
.LBB46_463:
	s_and_not1_b32 vcc_lo, exec_lo, s28
	s_cbranch_vccnz .LBB46_465
; %bb.464:
	s_wait_xcnt 0x0
	v_bfe_i32 v3, v2, 0, 8
	v_mov_b32_e32 v5, 0
	s_delay_alu instid0(VALU_DEP_2) | instskip(NEXT) | instid1(VALU_DEP_1)
	v_bfe_i32 v3, v3, 0, 16
	v_cvt_f32_i32_e32 v4, v3
	global_store_b64 v[0:1], v[4:5], off
.LBB46_465:
	s_mov_b32 s28, 0
.LBB46_466:
	s_delay_alu instid0(SALU_CYCLE_1)
	s_and_not1_b32 vcc_lo, exec_lo, s28
	s_cbranch_vccnz .LBB46_468
; %bb.467:
	s_wait_xcnt 0x0
	v_bfe_i32 v3, v2, 0, 8
	s_delay_alu instid0(VALU_DEP_1) | instskip(NEXT) | instid1(VALU_DEP_1)
	v_cvt_f16_i16_e32 v3, v3
	v_and_b32_e32 v3, 0xffff, v3
	global_store_b32 v[0:1], v3, off
.LBB46_468:
	s_mov_b32 s28, 0
.LBB46_469:
	s_delay_alu instid0(SALU_CYCLE_1)
	s_and_not1_b32 vcc_lo, exec_lo, s28
	s_cbranch_vccnz .LBB46_478
; %bb.470:
	s_cmp_lt_i32 s21, 6
	s_mov_b32 s28, -1
	s_cbranch_scc1 .LBB46_476
; %bb.471:
	s_cmp_gt_i32 s21, 6
	s_cbranch_scc0 .LBB46_473
; %bb.472:
	s_wait_xcnt 0x0
	v_bfe_i32 v3, v2, 0, 8
	s_mov_b32 s28, 0
	s_delay_alu instid0(VALU_DEP_1) | instskip(NEXT) | instid1(VALU_DEP_1)
	v_bfe_i32 v3, v3, 0, 16
	v_cvt_f64_i32_e32 v[4:5], v3
	global_store_b64 v[0:1], v[4:5], off
.LBB46_473:
	s_and_not1_b32 vcc_lo, exec_lo, s28
	s_cbranch_vccnz .LBB46_475
; %bb.474:
	s_wait_xcnt 0x0
	v_bfe_i32 v3, v2, 0, 8
	s_delay_alu instid0(VALU_DEP_1) | instskip(NEXT) | instid1(VALU_DEP_1)
	v_bfe_i32 v3, v3, 0, 16
	v_cvt_f32_i32_e32 v3, v3
	global_store_b32 v[0:1], v3, off
.LBB46_475:
	s_mov_b32 s28, 0
.LBB46_476:
	s_delay_alu instid0(SALU_CYCLE_1)
	s_and_not1_b32 vcc_lo, exec_lo, s28
	s_cbranch_vccnz .LBB46_478
; %bb.477:
	s_wait_xcnt 0x0
	v_bfe_i32 v3, v2, 0, 8
	s_delay_alu instid0(VALU_DEP_1)
	v_cvt_f16_i16_e32 v3, v3
	global_store_b16 v[0:1], v3, off
.LBB46_478:
	s_mov_b32 s28, 0
.LBB46_479:
	s_delay_alu instid0(SALU_CYCLE_1)
	s_and_not1_b32 vcc_lo, exec_lo, s28
	s_cbranch_vccnz .LBB46_495
; %bb.480:
	s_cmp_lt_i32 s21, 2
	s_mov_b32 s28, -1
	s_cbranch_scc1 .LBB46_490
; %bb.481:
	s_cmp_lt_i32 s21, 3
	s_cbranch_scc1 .LBB46_487
; %bb.482:
	s_cmp_gt_i32 s21, 3
	s_cbranch_scc0 .LBB46_484
; %bb.483:
	s_wait_xcnt 0x0
	v_bfe_i32 v4, v2, 0, 8
	s_mov_b32 s28, 0
	s_delay_alu instid0(VALU_DEP_1)
	v_ashrrev_i32_e32 v5, 31, v4
	global_store_b64 v[0:1], v[4:5], off
.LBB46_484:
	s_and_not1_b32 vcc_lo, exec_lo, s28
	s_cbranch_vccnz .LBB46_486
; %bb.485:
	s_wait_xcnt 0x0
	v_bfe_i32 v3, v2, 0, 8
	global_store_b32 v[0:1], v3, off
.LBB46_486:
	s_mov_b32 s28, 0
.LBB46_487:
	s_delay_alu instid0(SALU_CYCLE_1)
	s_and_not1_b32 vcc_lo, exec_lo, s28
	s_cbranch_vccnz .LBB46_489
; %bb.488:
	s_wait_xcnt 0x0
	v_bfe_i32 v3, v2, 0, 8
	global_store_b16 v[0:1], v3, off
.LBB46_489:
	s_mov_b32 s28, 0
.LBB46_490:
	s_delay_alu instid0(SALU_CYCLE_1)
	s_and_not1_b32 vcc_lo, exec_lo, s28
	s_cbranch_vccnz .LBB46_495
; %bb.491:
	s_cmp_gt_i32 s21, 0
	s_mov_b32 s21, -1
	s_cbranch_scc0 .LBB46_493
; %bb.492:
	s_mov_b32 s21, 0
	global_store_b8 v[0:1], v2, off
.LBB46_493:
	s_and_not1_b32 vcc_lo, exec_lo, s21
	s_cbranch_vccnz .LBB46_495
; %bb.494:
	global_store_b8 v[0:1], v2, off
.LBB46_495:
	s_mov_b32 s29, -1
.LBB46_496:
	s_delay_alu instid0(SALU_CYCLE_1)
	s_and_not1_b32 vcc_lo, exec_lo, s29
	s_cbranch_vccnz .LBB46_498
; %bb.497:
	v_add_nc_u32_e32 v26, 0x80, v26
	s_mov_b32 s28, -1
	s_branch .LBB46_499
.LBB46_498:
	s_mov_b32 s28, 0
                                        ; implicit-def: $vgpr26
.LBB46_499:
	s_and_b32 s21, s0, exec_lo
	s_and_b32 s23, s23, exec_lo
	;; [unrolled: 1-line block ×4, first 2 shown]
	s_or_not1_b32 s30, s28, exec_lo
.LBB46_500:
	s_wait_xcnt 0x0
	s_or_b32 exec_lo, exec_lo, s26
	s_mov_b32 s29, 0
	s_mov_b32 s28, 0
                                        ; implicit-def: $sgpr0
                                        ; implicit-def: $vgpr2_vgpr3
                                        ; implicit-def: $vgpr0
	s_and_saveexec_b32 s26, s30
	s_cbranch_execz .LBB46_509
; %bb.501:
	s_mov_b32 s34, -1
	s_mov_b32 s27, s25
	s_mov_b32 s30, s24
	;; [unrolled: 1-line block ×4, first 2 shown]
	s_mov_b32 s31, exec_lo
	v_cmpx_gt_i32_e64 s22, v26
	s_cbranch_execz .LBB46_1011
; %bb.502:
	s_wait_loadcnt 0x0
	v_mul_lo_u32 v0, v26, s13
	s_and_b32 s0, s16, 0xff
	s_delay_alu instid0(SALU_CYCLE_1) | instskip(NEXT) | instid1(VALU_DEP_1)
	s_cmp_lt_i32 s0, 11
	v_ashrrev_i32_e32 v1, 31, v0
	s_delay_alu instid0(VALU_DEP_1)
	v_add_nc_u64_e32 v[2:3], s[6:7], v[0:1]
	s_cbranch_scc1 .LBB46_512
; %bb.503:
	s_and_b32 s28, 0xffff, s0
	s_delay_alu instid0(SALU_CYCLE_1)
	s_cmp_gt_i32 s28, 25
	s_cbranch_scc0 .LBB46_521
; %bb.504:
	s_cmp_gt_i32 s28, 28
	s_cbranch_scc0 .LBB46_523
; %bb.505:
	;; [unrolled: 3-line block ×4, first 2 shown]
	s_cmp_eq_u32 s28, 46
	s_mov_b32 s30, 0
	s_cbranch_scc0 .LBB46_529
; %bb.508:
	global_load_b32 v0, v[2:3], off
	s_mov_b32 s29, -1
	s_mov_b32 s27, 0
	s_wait_loadcnt 0x0
	v_lshlrev_b32_e32 v0, 16, v0
	s_delay_alu instid0(VALU_DEP_1)
	v_cvt_i32_f32_e32 v0, v0
	s_branch .LBB46_531
.LBB46_509:
	s_or_b32 exec_lo, exec_lo, s26
	s_mov_b32 s22, 0
	s_and_saveexec_b32 s26, s25
	s_cbranch_execnz .LBB46_1599
.LBB46_510:
	s_or_b32 exec_lo, exec_lo, s26
	s_and_saveexec_b32 s25, s27
	s_delay_alu instid0(SALU_CYCLE_1)
	s_xor_b32 s25, exec_lo, s25
	s_cbranch_execz .LBB46_1600
.LBB46_511:
	s_wait_loadcnt 0x0
	global_load_u8 v0, v[2:3], off
	s_or_b32 s28, s28, exec_lo
	s_wait_loadcnt 0x0
	v_cmp_ne_u16_e32 vcc_lo, 0, v0
	v_cndmask_b32_e64 v0, 0, 1, vcc_lo
	s_wait_xcnt 0x0
	s_or_b32 exec_lo, exec_lo, s25
	s_and_saveexec_b32 s25, s29
	s_cbranch_execz .LBB46_1646
	s_branch .LBB46_1601
.LBB46_512:
	s_mov_b32 s29, 0
	s_mov_b32 s27, s25
                                        ; implicit-def: $vgpr0
	s_cbranch_execnz .LBB46_593
.LBB46_513:
	s_and_not1_b32 vcc_lo, exec_lo, s29
	s_cbranch_vccnz .LBB46_641
.LBB46_514:
	s_wait_xcnt 0x0
	v_mul_lo_u32 v2, v26, s14
	s_and_b32 s0, s3, 0xff
	s_delay_alu instid0(SALU_CYCLE_1) | instskip(NEXT) | instid1(VALU_DEP_1)
	s_cmp_lt_i32 s0, 11
	v_ashrrev_i32_e32 v3, 31, v2
	s_delay_alu instid0(VALU_DEP_1)
	v_add_nc_u64_e32 v[4:5], s[8:9], v[2:3]
	s_cbranch_scc1 .LBB46_522
; %bb.515:
	s_and_b32 s28, 0xffff, s0
	s_delay_alu instid0(SALU_CYCLE_1)
	s_cmp_gt_i32 s28, 25
	s_cbranch_scc0 .LBB46_524
; %bb.516:
	s_cmp_gt_i32 s28, 28
	s_cbranch_scc0 .LBB46_526
; %bb.517:
	;; [unrolled: 3-line block ×4, first 2 shown]
	s_cmp_eq_u32 s28, 46
	s_mov_b32 s33, 0
	s_cbranch_scc0 .LBB46_644
; %bb.520:
	s_wait_loadcnt 0x0
	global_load_b32 v1, v[4:5], off
	s_mov_b32 s29, -1
	s_mov_b32 s30, 0
	s_wait_loadcnt 0x0
	v_lshlrev_b32_e32 v1, 16, v1
	s_delay_alu instid0(VALU_DEP_1)
	v_cvt_i32_f32_e32 v2, v1
	s_branch .LBB46_646
.LBB46_521:
	s_mov_b32 s30, -1
	s_mov_b32 s29, 0
	s_mov_b32 s27, s25
                                        ; implicit-def: $vgpr0
	s_branch .LBB46_559
.LBB46_522:
	s_mov_b32 s28, -1
	s_mov_b32 s29, 0
	s_mov_b32 s30, s24
                                        ; implicit-def: $vgpr2
	s_branch .LBB46_707
.LBB46_523:
	s_mov_b32 s30, -1
	s_mov_b32 s29, 0
	s_mov_b32 s27, s25
                                        ; implicit-def: $vgpr0
	s_branch .LBB46_542
.LBB46_524:
	s_mov_b32 s33, -1
	s_mov_b32 s29, 0
	s_mov_b32 s30, s24
                                        ; implicit-def: $vgpr2
	s_branch .LBB46_673
.LBB46_525:
	s_mov_b32 s30, -1
	s_mov_b32 s29, 0
	s_mov_b32 s27, s25
                                        ; implicit-def: $vgpr0
	s_branch .LBB46_537
.LBB46_526:
	s_mov_b32 s33, -1
	s_mov_b32 s29, 0
	s_mov_b32 s30, s24
                                        ; implicit-def: $vgpr2
	s_branch .LBB46_656
.LBB46_527:
	s_mov_b32 s30, -1
	s_mov_b32 s29, 0
	s_mov_b32 s27, s25
	s_branch .LBB46_530
.LBB46_528:
	s_mov_b32 s33, -1
	s_mov_b32 s29, 0
	s_mov_b32 s30, s24
                                        ; implicit-def: $vgpr2
	s_branch .LBB46_651
.LBB46_529:
	s_mov_b32 s27, -1
	s_mov_b32 s29, 0
.LBB46_530:
                                        ; implicit-def: $vgpr0
.LBB46_531:
	s_and_b32 vcc_lo, exec_lo, s30
	s_cbranch_vccz .LBB46_536
; %bb.532:
	s_cmp_eq_u32 s28, 44
	s_cbranch_scc0 .LBB46_535
; %bb.533:
	global_load_u8 v0, v[2:3], off
	s_mov_b32 s27, 0
	s_mov_b32 s29, -1
	s_wait_loadcnt 0x0
	v_lshlrev_b32_e32 v1, 23, v0
	v_cmp_ne_u32_e32 vcc_lo, 0, v0
	s_delay_alu instid0(VALU_DEP_2) | instskip(NEXT) | instid1(VALU_DEP_1)
	v_cvt_i32_f32_e32 v1, v1
	v_cndmask_b32_e32 v0, 0, v1, vcc_lo
	s_branch .LBB46_536
.LBB46_534:
	s_mov_b32 s33, -1
	s_mov_b32 s29, 0
	s_mov_b32 s30, s24
	s_branch .LBB46_645
.LBB46_535:
	s_mov_b32 s27, -1
                                        ; implicit-def: $vgpr0
.LBB46_536:
	s_mov_b32 s30, 0
.LBB46_537:
	s_delay_alu instid0(SALU_CYCLE_1)
	s_and_b32 vcc_lo, exec_lo, s30
	s_cbranch_vccz .LBB46_541
; %bb.538:
	s_cmp_eq_u32 s28, 29
	s_cbranch_scc0 .LBB46_540
; %bb.539:
	global_load_b64 v[0:1], v[2:3], off
	s_mov_b32 s29, -1
	s_mov_b32 s27, 0
	s_branch .LBB46_541
.LBB46_540:
	s_mov_b32 s27, -1
                                        ; implicit-def: $vgpr0
.LBB46_541:
	s_mov_b32 s30, 0
.LBB46_542:
	s_delay_alu instid0(SALU_CYCLE_1)
	s_and_b32 vcc_lo, exec_lo, s30
	s_cbranch_vccz .LBB46_558
; %bb.543:
	s_cmp_lt_i32 s28, 27
	s_cbranch_scc1 .LBB46_546
; %bb.544:
	s_cmp_gt_i32 s28, 27
	s_cbranch_scc0 .LBB46_547
; %bb.545:
	s_wait_loadcnt 0x0
	global_load_b32 v0, v[2:3], off
	s_mov_b32 s29, 0
	s_branch .LBB46_548
.LBB46_546:
	s_mov_b32 s29, -1
                                        ; implicit-def: $vgpr0
	s_branch .LBB46_551
.LBB46_547:
	s_mov_b32 s29, -1
                                        ; implicit-def: $vgpr0
.LBB46_548:
	s_delay_alu instid0(SALU_CYCLE_1)
	s_and_not1_b32 vcc_lo, exec_lo, s29
	s_cbranch_vccnz .LBB46_550
; %bb.549:
	s_wait_loadcnt 0x0
	global_load_u16 v0, v[2:3], off
.LBB46_550:
	s_mov_b32 s29, 0
.LBB46_551:
	s_delay_alu instid0(SALU_CYCLE_1)
	s_and_not1_b32 vcc_lo, exec_lo, s29
	s_cbranch_vccnz .LBB46_557
; %bb.552:
	s_wait_loadcnt 0x0
	global_load_u8 v1, v[2:3], off
	s_mov_b32 s30, 0
	s_mov_b32 s29, exec_lo
	s_wait_loadcnt 0x0
	v_cmpx_lt_i16_e32 0x7f, v1
	s_xor_b32 s29, exec_lo, s29
	s_cbranch_execz .LBB46_569
; %bb.553:
	v_cmp_ne_u16_e32 vcc_lo, 0x80, v1
	s_and_b32 s30, vcc_lo, exec_lo
	s_and_not1_saveexec_b32 s29, s29
	s_cbranch_execnz .LBB46_570
.LBB46_554:
	s_or_b32 exec_lo, exec_lo, s29
	v_mov_b32_e32 v0, 0
	s_and_saveexec_b32 s29, s30
	s_cbranch_execz .LBB46_556
.LBB46_555:
	v_and_b32_e32 v0, 0xffff, v1
	s_delay_alu instid0(VALU_DEP_1) | instskip(SKIP_1) | instid1(VALU_DEP_2)
	v_and_b32_e32 v4, 7, v0
	v_bfe_u32 v7, v0, 3, 4
	v_clz_i32_u32_e32 v5, v4
	s_delay_alu instid0(VALU_DEP_2) | instskip(NEXT) | instid1(VALU_DEP_2)
	v_cmp_eq_u32_e32 vcc_lo, 0, v7
	v_min_u32_e32 v5, 32, v5
	s_delay_alu instid0(VALU_DEP_1) | instskip(NEXT) | instid1(VALU_DEP_1)
	v_subrev_nc_u32_e32 v6, 28, v5
	v_dual_lshlrev_b32 v0, v6, v0 :: v_dual_sub_nc_u32 v5, 29, v5
	s_delay_alu instid0(VALU_DEP_1) | instskip(NEXT) | instid1(VALU_DEP_1)
	v_dual_lshlrev_b32 v1, 24, v1 :: v_dual_bitop2_b32 v0, 7, v0 bitop3:0x40
	v_dual_cndmask_b32 v0, v4, v0 :: v_dual_cndmask_b32 v5, v7, v5
	s_delay_alu instid0(VALU_DEP_2) | instskip(NEXT) | instid1(VALU_DEP_2)
	v_and_b32_e32 v1, 0x80000000, v1
	v_lshlrev_b32_e32 v0, 20, v0
	s_delay_alu instid0(VALU_DEP_3) | instskip(NEXT) | instid1(VALU_DEP_1)
	v_lshl_add_u32 v4, v5, 23, 0x3b800000
	v_or3_b32 v0, v1, v4, v0
	s_delay_alu instid0(VALU_DEP_1)
	v_cvt_i32_f32_e32 v0, v0
.LBB46_556:
	s_or_b32 exec_lo, exec_lo, s29
.LBB46_557:
	s_mov_b32 s29, -1
.LBB46_558:
	s_mov_b32 s30, 0
.LBB46_559:
	s_delay_alu instid0(SALU_CYCLE_1)
	s_and_b32 vcc_lo, exec_lo, s30
	s_cbranch_vccz .LBB46_592
; %bb.560:
	s_cmp_gt_i32 s28, 22
	s_cbranch_scc0 .LBB46_568
; %bb.561:
	s_cmp_lt_i32 s28, 24
	s_cbranch_scc1 .LBB46_571
; %bb.562:
	s_cmp_gt_i32 s28, 24
	s_cbranch_scc0 .LBB46_572
; %bb.563:
	s_wait_loadcnt 0x0
	global_load_u8 v1, v[2:3], off
	s_mov_b32 s30, 0
	s_mov_b32 s29, exec_lo
	s_wait_loadcnt 0x0
	v_cmpx_lt_i16_e32 0x7f, v1
	s_xor_b32 s29, exec_lo, s29
	s_cbranch_execz .LBB46_584
; %bb.564:
	v_cmp_ne_u16_e32 vcc_lo, 0x80, v1
	s_and_b32 s30, vcc_lo, exec_lo
	s_and_not1_saveexec_b32 s29, s29
	s_cbranch_execnz .LBB46_585
.LBB46_565:
	s_or_b32 exec_lo, exec_lo, s29
	v_mov_b32_e32 v0, 0
	s_and_saveexec_b32 s29, s30
	s_cbranch_execz .LBB46_567
.LBB46_566:
	v_and_b32_e32 v0, 0xffff, v1
	s_delay_alu instid0(VALU_DEP_1) | instskip(SKIP_1) | instid1(VALU_DEP_2)
	v_and_b32_e32 v4, 3, v0
	v_bfe_u32 v7, v0, 2, 5
	v_clz_i32_u32_e32 v5, v4
	s_delay_alu instid0(VALU_DEP_2) | instskip(NEXT) | instid1(VALU_DEP_2)
	v_cmp_eq_u32_e32 vcc_lo, 0, v7
	v_min_u32_e32 v5, 32, v5
	s_delay_alu instid0(VALU_DEP_1) | instskip(NEXT) | instid1(VALU_DEP_1)
	v_subrev_nc_u32_e32 v6, 29, v5
	v_dual_lshlrev_b32 v0, v6, v0 :: v_dual_sub_nc_u32 v5, 30, v5
	s_delay_alu instid0(VALU_DEP_1) | instskip(NEXT) | instid1(VALU_DEP_1)
	v_dual_lshlrev_b32 v1, 24, v1 :: v_dual_bitop2_b32 v0, 3, v0 bitop3:0x40
	v_dual_cndmask_b32 v0, v4, v0 :: v_dual_cndmask_b32 v5, v7, v5
	s_delay_alu instid0(VALU_DEP_2) | instskip(NEXT) | instid1(VALU_DEP_2)
	v_and_b32_e32 v1, 0x80000000, v1
	v_lshlrev_b32_e32 v0, 21, v0
	s_delay_alu instid0(VALU_DEP_3) | instskip(NEXT) | instid1(VALU_DEP_1)
	v_lshl_add_u32 v4, v5, 23, 0x37800000
	v_or3_b32 v0, v1, v4, v0
	s_delay_alu instid0(VALU_DEP_1)
	v_cvt_i32_f32_e32 v0, v0
.LBB46_567:
	s_or_b32 exec_lo, exec_lo, s29
	s_mov_b32 s29, 0
	s_branch .LBB46_573
.LBB46_568:
	s_mov_b32 s30, -1
                                        ; implicit-def: $vgpr0
	s_branch .LBB46_579
.LBB46_569:
	s_and_not1_saveexec_b32 s29, s29
	s_cbranch_execz .LBB46_554
.LBB46_570:
	v_cmp_ne_u16_e32 vcc_lo, 0, v1
	s_and_not1_b32 s30, s30, exec_lo
	s_and_b32 s33, vcc_lo, exec_lo
	s_delay_alu instid0(SALU_CYCLE_1)
	s_or_b32 s30, s30, s33
	s_or_b32 exec_lo, exec_lo, s29
	v_mov_b32_e32 v0, 0
	s_and_saveexec_b32 s29, s30
	s_cbranch_execnz .LBB46_555
	s_branch .LBB46_556
.LBB46_571:
	s_mov_b32 s29, -1
                                        ; implicit-def: $vgpr0
	s_branch .LBB46_576
.LBB46_572:
	s_mov_b32 s29, -1
                                        ; implicit-def: $vgpr0
.LBB46_573:
	s_delay_alu instid0(SALU_CYCLE_1)
	s_and_b32 vcc_lo, exec_lo, s29
	s_cbranch_vccz .LBB46_575
; %bb.574:
	s_wait_loadcnt 0x0
	global_load_u8 v0, v[2:3], off
	s_wait_loadcnt 0x0
	v_lshlrev_b32_e32 v0, 24, v0
	s_delay_alu instid0(VALU_DEP_1) | instskip(NEXT) | instid1(VALU_DEP_1)
	v_and_b32_e32 v1, 0x7f000000, v0
	v_clz_i32_u32_e32 v4, v1
	v_cmp_ne_u32_e32 vcc_lo, 0, v1
	v_add_nc_u32_e32 v6, 0x1000000, v1
	s_delay_alu instid0(VALU_DEP_3) | instskip(NEXT) | instid1(VALU_DEP_1)
	v_min_u32_e32 v4, 32, v4
	v_sub_nc_u32_e64 v4, v4, 4 clamp
	s_delay_alu instid0(VALU_DEP_1) | instskip(NEXT) | instid1(VALU_DEP_1)
	v_dual_lshlrev_b32 v5, v4, v1 :: v_dual_lshlrev_b32 v4, 23, v4
	v_lshrrev_b32_e32 v5, 4, v5
	s_delay_alu instid0(VALU_DEP_1) | instskip(NEXT) | instid1(VALU_DEP_1)
	v_dual_sub_nc_u32 v4, v5, v4 :: v_dual_ashrrev_i32 v5, 8, v6
	v_add_nc_u32_e32 v4, 0x3c000000, v4
	s_delay_alu instid0(VALU_DEP_1) | instskip(NEXT) | instid1(VALU_DEP_1)
	v_and_or_b32 v4, 0x7f800000, v5, v4
	v_cndmask_b32_e32 v1, 0, v4, vcc_lo
	s_delay_alu instid0(VALU_DEP_1) | instskip(NEXT) | instid1(VALU_DEP_1)
	v_and_or_b32 v0, 0x80000000, v0, v1
	v_cvt_i32_f32_e32 v0, v0
.LBB46_575:
	s_mov_b32 s29, 0
.LBB46_576:
	s_delay_alu instid0(SALU_CYCLE_1)
	s_and_not1_b32 vcc_lo, exec_lo, s29
	s_cbranch_vccnz .LBB46_578
; %bb.577:
	s_wait_loadcnt 0x0
	global_load_u8 v0, v[2:3], off
	s_wait_loadcnt 0x0
	v_lshlrev_b32_e32 v1, 25, v0
	v_lshlrev_b16 v0, 8, v0
	s_delay_alu instid0(VALU_DEP_1) | instskip(SKIP_1) | instid1(VALU_DEP_2)
	v_and_or_b32 v5, 0x7f00, v0, 0.5
	v_bfe_i32 v0, v0, 0, 16
	v_add_f32_e32 v5, -0.5, v5
	v_lshrrev_b32_e32 v4, 4, v1
	v_cmp_gt_u32_e32 vcc_lo, 0x8000000, v1
	s_delay_alu instid0(VALU_DEP_2) | instskip(NEXT) | instid1(VALU_DEP_1)
	v_or_b32_e32 v4, 0x70000000, v4
	v_mul_f32_e32 v4, 0x7800000, v4
	s_delay_alu instid0(VALU_DEP_1) | instskip(NEXT) | instid1(VALU_DEP_1)
	v_cndmask_b32_e32 v1, v4, v5, vcc_lo
	v_and_or_b32 v0, 0x80000000, v0, v1
	s_delay_alu instid0(VALU_DEP_1)
	v_cvt_i32_f32_e32 v0, v0
.LBB46_578:
	s_mov_b32 s30, 0
	s_mov_b32 s29, -1
.LBB46_579:
	s_and_not1_b32 vcc_lo, exec_lo, s30
	s_cbranch_vccnz .LBB46_592
; %bb.580:
	s_cmp_gt_i32 s28, 14
	s_cbranch_scc0 .LBB46_583
; %bb.581:
	s_cmp_eq_u32 s28, 15
	s_cbranch_scc0 .LBB46_586
; %bb.582:
	s_wait_loadcnt 0x0
	global_load_u16 v0, v[2:3], off
	s_mov_b32 s29, -1
	s_mov_b32 s27, 0
	s_wait_loadcnt 0x0
	v_lshlrev_b32_e32 v0, 16, v0
	s_delay_alu instid0(VALU_DEP_1)
	v_cvt_i32_f32_e32 v0, v0
	s_branch .LBB46_587
.LBB46_583:
	s_mov_b32 s30, -1
                                        ; implicit-def: $vgpr0
	s_branch .LBB46_588
.LBB46_584:
	s_and_not1_saveexec_b32 s29, s29
	s_cbranch_execz .LBB46_565
.LBB46_585:
	v_cmp_ne_u16_e32 vcc_lo, 0, v1
	s_and_not1_b32 s30, s30, exec_lo
	s_and_b32 s33, vcc_lo, exec_lo
	s_delay_alu instid0(SALU_CYCLE_1)
	s_or_b32 s30, s30, s33
	s_or_b32 exec_lo, exec_lo, s29
	v_mov_b32_e32 v0, 0
	s_and_saveexec_b32 s29, s30
	s_cbranch_execnz .LBB46_566
	s_branch .LBB46_567
.LBB46_586:
	s_mov_b32 s27, -1
                                        ; implicit-def: $vgpr0
.LBB46_587:
	s_mov_b32 s30, 0
.LBB46_588:
	s_delay_alu instid0(SALU_CYCLE_1)
	s_and_b32 vcc_lo, exec_lo, s30
	s_cbranch_vccz .LBB46_592
; %bb.589:
	s_cmp_eq_u32 s28, 11
	s_cbranch_scc0 .LBB46_591
; %bb.590:
	s_wait_loadcnt 0x0
	global_load_u8 v0, v[2:3], off
	s_mov_b32 s27, 0
	s_mov_b32 s29, -1
	s_wait_loadcnt 0x0
	v_cmp_ne_u16_e32 vcc_lo, 0, v0
	v_cndmask_b32_e64 v0, 0, 1, vcc_lo
	s_branch .LBB46_592
.LBB46_591:
	s_mov_b32 s27, -1
                                        ; implicit-def: $vgpr0
.LBB46_592:
	s_branch .LBB46_513
.LBB46_593:
	s_and_b32 s0, 0xffff, s0
	s_delay_alu instid0(SALU_CYCLE_1)
	s_cmp_lt_i32 s0, 5
	s_cbranch_scc1 .LBB46_598
; %bb.594:
	s_cmp_lt_i32 s0, 8
	s_cbranch_scc1 .LBB46_599
; %bb.595:
	;; [unrolled: 3-line block ×3, first 2 shown]
	s_cmp_gt_i32 s0, 9
	s_cbranch_scc0 .LBB46_601
; %bb.597:
	s_wait_loadcnt 0x0
	global_load_b64 v[0:1], v[2:3], off
	s_mov_b32 s28, 0
	s_wait_loadcnt 0x0
	v_cvt_i32_f64_e32 v0, v[0:1]
	s_branch .LBB46_602
.LBB46_598:
	s_mov_b32 s28, -1
                                        ; implicit-def: $vgpr0
	s_branch .LBB46_620
.LBB46_599:
	s_mov_b32 s28, -1
                                        ; implicit-def: $vgpr0
	s_branch .LBB46_608
.LBB46_600:
	s_mov_b32 s28, -1
                                        ; implicit-def: $vgpr0
	s_branch .LBB46_605
.LBB46_601:
	s_mov_b32 s28, -1
                                        ; implicit-def: $vgpr0
.LBB46_602:
	s_delay_alu instid0(SALU_CYCLE_1)
	s_and_not1_b32 vcc_lo, exec_lo, s28
	s_cbranch_vccnz .LBB46_604
; %bb.603:
	s_wait_loadcnt 0x0
	global_load_b32 v0, v[2:3], off
	s_wait_loadcnt 0x0
	v_cvt_i32_f32_e32 v0, v0
.LBB46_604:
	s_mov_b32 s28, 0
.LBB46_605:
	s_delay_alu instid0(SALU_CYCLE_1)
	s_and_not1_b32 vcc_lo, exec_lo, s28
	s_cbranch_vccnz .LBB46_607
; %bb.606:
	s_wait_loadcnt 0x0
	global_load_b32 v0, v[2:3], off
	s_wait_loadcnt 0x0
	v_cvt_i16_f16_e32 v0, v0
.LBB46_607:
	s_mov_b32 s28, 0
.LBB46_608:
	s_delay_alu instid0(SALU_CYCLE_1)
	s_and_not1_b32 vcc_lo, exec_lo, s28
	s_cbranch_vccnz .LBB46_619
; %bb.609:
	s_cmp_lt_i32 s0, 6
	s_cbranch_scc1 .LBB46_612
; %bb.610:
	s_cmp_gt_i32 s0, 6
	s_cbranch_scc0 .LBB46_613
; %bb.611:
	s_wait_loadcnt 0x0
	global_load_b64 v[0:1], v[2:3], off
	s_mov_b32 s28, 0
	s_wait_loadcnt 0x0
	v_cvt_i32_f64_e32 v0, v[0:1]
	s_branch .LBB46_614
.LBB46_612:
	s_mov_b32 s28, -1
                                        ; implicit-def: $vgpr0
	s_branch .LBB46_617
.LBB46_613:
	s_mov_b32 s28, -1
                                        ; implicit-def: $vgpr0
.LBB46_614:
	s_delay_alu instid0(SALU_CYCLE_1)
	s_and_not1_b32 vcc_lo, exec_lo, s28
	s_cbranch_vccnz .LBB46_616
; %bb.615:
	s_wait_loadcnt 0x0
	global_load_b32 v0, v[2:3], off
	s_wait_loadcnt 0x0
	v_cvt_i32_f32_e32 v0, v0
.LBB46_616:
	s_mov_b32 s28, 0
.LBB46_617:
	s_delay_alu instid0(SALU_CYCLE_1)
	s_and_not1_b32 vcc_lo, exec_lo, s28
	s_cbranch_vccnz .LBB46_619
; %bb.618:
	s_wait_loadcnt 0x0
	global_load_u16 v0, v[2:3], off
	s_wait_loadcnt 0x0
	v_cvt_i16_f16_e32 v0, v0
.LBB46_619:
	s_mov_b32 s28, 0
.LBB46_620:
	s_delay_alu instid0(SALU_CYCLE_1)
	s_and_not1_b32 vcc_lo, exec_lo, s28
	s_cbranch_vccnz .LBB46_640
; %bb.621:
	s_cmp_lt_i32 s0, 2
	s_cbranch_scc1 .LBB46_625
; %bb.622:
	s_cmp_lt_i32 s0, 3
	s_cbranch_scc1 .LBB46_626
; %bb.623:
	s_cmp_gt_i32 s0, 3
	s_cbranch_scc0 .LBB46_627
; %bb.624:
	s_wait_loadcnt 0x0
	global_load_b64 v[0:1], v[2:3], off
	s_mov_b32 s28, 0
	s_branch .LBB46_628
.LBB46_625:
	s_mov_b32 s28, -1
                                        ; implicit-def: $vgpr0
	s_branch .LBB46_634
.LBB46_626:
	s_mov_b32 s28, -1
                                        ; implicit-def: $vgpr0
	s_branch .LBB46_631
.LBB46_627:
	s_mov_b32 s28, -1
                                        ; implicit-def: $vgpr0
.LBB46_628:
	s_delay_alu instid0(SALU_CYCLE_1)
	s_and_not1_b32 vcc_lo, exec_lo, s28
	s_cbranch_vccnz .LBB46_630
; %bb.629:
	s_wait_loadcnt 0x0
	global_load_b32 v0, v[2:3], off
.LBB46_630:
	s_mov_b32 s28, 0
.LBB46_631:
	s_delay_alu instid0(SALU_CYCLE_1)
	s_and_not1_b32 vcc_lo, exec_lo, s28
	s_cbranch_vccnz .LBB46_633
; %bb.632:
	s_wait_loadcnt 0x0
	global_load_u16 v0, v[2:3], off
.LBB46_633:
	s_mov_b32 s28, 0
.LBB46_634:
	s_delay_alu instid0(SALU_CYCLE_1)
	s_and_not1_b32 vcc_lo, exec_lo, s28
	s_cbranch_vccnz .LBB46_640
; %bb.635:
	s_cmp_gt_i32 s0, 0
	s_mov_b32 s0, 0
	s_cbranch_scc0 .LBB46_637
; %bb.636:
	s_wait_loadcnt 0x0
	global_load_u8 v0, v[2:3], off
	s_branch .LBB46_638
.LBB46_637:
	s_mov_b32 s0, -1
                                        ; implicit-def: $vgpr0
.LBB46_638:
	s_delay_alu instid0(SALU_CYCLE_1)
	s_and_not1_b32 vcc_lo, exec_lo, s0
	s_cbranch_vccnz .LBB46_640
; %bb.639:
	s_wait_loadcnt 0x0
	global_load_u8 v0, v[2:3], off
.LBB46_640:
	s_branch .LBB46_514
.LBB46_641:
	s_mov_b32 s33, 0
	s_mov_b32 s0, s21
	;; [unrolled: 1-line block ×4, first 2 shown]
	s_branch .LBB46_1009
.LBB46_642:
	s_and_not1_saveexec_b32 s31, s31
	s_cbranch_execz .LBB46_409
.LBB46_643:
	v_add_f32_e64 v4, 0x46000000, |v3|
	s_and_not1_b32 s30, s30, exec_lo
	s_delay_alu instid0(VALU_DEP_1) | instskip(NEXT) | instid1(VALU_DEP_1)
	v_and_b32_e32 v4, 0xff, v4
	v_cmp_ne_u32_e32 vcc_lo, 0, v4
	s_and_b32 s33, vcc_lo, exec_lo
	s_delay_alu instid0(SALU_CYCLE_1)
	s_or_b32 s30, s30, s33
	s_or_b32 exec_lo, exec_lo, s31
	v_mov_b32_e32 v5, 0
	s_and_saveexec_b32 s31, s30
	s_cbranch_execnz .LBB46_410
	s_branch .LBB46_411
.LBB46_644:
	s_mov_b32 s30, -1
	s_mov_b32 s29, 0
.LBB46_645:
                                        ; implicit-def: $vgpr2
.LBB46_646:
	s_and_b32 vcc_lo, exec_lo, s33
	s_cbranch_vccz .LBB46_650
; %bb.647:
	s_cmp_eq_u32 s28, 44
	s_cbranch_scc0 .LBB46_649
; %bb.648:
	s_wait_loadcnt 0x0
	global_load_u8 v1, v[4:5], off
	s_mov_b32 s30, 0
	s_mov_b32 s29, -1
	s_wait_loadcnt 0x0
	v_lshlrev_b32_e32 v2, 23, v1
	v_cmp_ne_u32_e32 vcc_lo, 0, v1
	s_delay_alu instid0(VALU_DEP_2) | instskip(NEXT) | instid1(VALU_DEP_1)
	v_cvt_i32_f32_e32 v2, v2
	v_cndmask_b32_e32 v2, 0, v2, vcc_lo
	s_branch .LBB46_650
.LBB46_649:
	s_mov_b32 s30, -1
                                        ; implicit-def: $vgpr2
.LBB46_650:
	s_mov_b32 s33, 0
.LBB46_651:
	s_delay_alu instid0(SALU_CYCLE_1)
	s_and_b32 vcc_lo, exec_lo, s33
	s_cbranch_vccz .LBB46_655
; %bb.652:
	s_cmp_eq_u32 s28, 29
	s_cbranch_scc0 .LBB46_654
; %bb.653:
	global_load_b64 v[2:3], v[4:5], off
	s_mov_b32 s29, -1
	s_mov_b32 s30, 0
	s_branch .LBB46_655
.LBB46_654:
	s_mov_b32 s30, -1
                                        ; implicit-def: $vgpr2
.LBB46_655:
	s_mov_b32 s33, 0
.LBB46_656:
	s_delay_alu instid0(SALU_CYCLE_1)
	s_and_b32 vcc_lo, exec_lo, s33
	s_cbranch_vccz .LBB46_672
; %bb.657:
	s_cmp_lt_i32 s28, 27
	s_cbranch_scc1 .LBB46_660
; %bb.658:
	s_cmp_gt_i32 s28, 27
	s_cbranch_scc0 .LBB46_661
; %bb.659:
	s_wait_loadcnt 0x0
	global_load_b32 v2, v[4:5], off
	s_mov_b32 s29, 0
	s_branch .LBB46_662
.LBB46_660:
	s_mov_b32 s29, -1
                                        ; implicit-def: $vgpr2
	s_branch .LBB46_665
.LBB46_661:
	s_mov_b32 s29, -1
                                        ; implicit-def: $vgpr2
.LBB46_662:
	s_delay_alu instid0(SALU_CYCLE_1)
	s_and_not1_b32 vcc_lo, exec_lo, s29
	s_cbranch_vccnz .LBB46_664
; %bb.663:
	s_wait_loadcnt 0x0
	global_load_u16 v2, v[4:5], off
.LBB46_664:
	s_mov_b32 s29, 0
.LBB46_665:
	s_delay_alu instid0(SALU_CYCLE_1)
	s_and_not1_b32 vcc_lo, exec_lo, s29
	s_cbranch_vccnz .LBB46_671
; %bb.666:
	s_wait_loadcnt 0x0
	global_load_u8 v1, v[4:5], off
	s_mov_b32 s33, 0
	s_mov_b32 s29, exec_lo
	s_wait_loadcnt 0x0
	v_cmpx_lt_i16_e32 0x7f, v1
	s_xor_b32 s29, exec_lo, s29
	s_cbranch_execz .LBB46_683
; %bb.667:
	v_cmp_ne_u16_e32 vcc_lo, 0x80, v1
	s_and_b32 s33, vcc_lo, exec_lo
	s_and_not1_saveexec_b32 s29, s29
	s_cbranch_execnz .LBB46_684
.LBB46_668:
	s_or_b32 exec_lo, exec_lo, s29
	v_mov_b32_e32 v2, 0
	s_and_saveexec_b32 s29, s33
	s_cbranch_execz .LBB46_670
.LBB46_669:
	v_and_b32_e32 v2, 0xffff, v1
	s_delay_alu instid0(VALU_DEP_1) | instskip(SKIP_1) | instid1(VALU_DEP_2)
	v_dual_lshlrev_b32 v1, 24, v1 :: v_dual_bitop2_b32 v3, 7, v2 bitop3:0x40
	v_bfe_u32 v8, v2, 3, 4
	v_and_b32_e32 v1, 0x80000000, v1
	s_delay_alu instid0(VALU_DEP_3) | instskip(NEXT) | instid1(VALU_DEP_3)
	v_clz_i32_u32_e32 v6, v3
	v_cmp_eq_u32_e32 vcc_lo, 0, v8
	s_delay_alu instid0(VALU_DEP_2) | instskip(NEXT) | instid1(VALU_DEP_1)
	v_min_u32_e32 v6, 32, v6
	v_subrev_nc_u32_e32 v7, 28, v6
	v_sub_nc_u32_e32 v6, 29, v6
	s_delay_alu instid0(VALU_DEP_2) | instskip(NEXT) | instid1(VALU_DEP_2)
	v_lshlrev_b32_e32 v2, v7, v2
	v_cndmask_b32_e32 v6, v8, v6, vcc_lo
	s_delay_alu instid0(VALU_DEP_2) | instskip(NEXT) | instid1(VALU_DEP_1)
	v_and_b32_e32 v2, 7, v2
	v_cndmask_b32_e32 v2, v3, v2, vcc_lo
	s_delay_alu instid0(VALU_DEP_3) | instskip(NEXT) | instid1(VALU_DEP_2)
	v_lshl_add_u32 v3, v6, 23, 0x3b800000
	v_lshlrev_b32_e32 v2, 20, v2
	s_delay_alu instid0(VALU_DEP_1) | instskip(NEXT) | instid1(VALU_DEP_1)
	v_or3_b32 v1, v1, v3, v2
	v_cvt_i32_f32_e32 v2, v1
.LBB46_670:
	s_or_b32 exec_lo, exec_lo, s29
.LBB46_671:
	s_mov_b32 s29, -1
.LBB46_672:
	s_mov_b32 s33, 0
.LBB46_673:
	s_delay_alu instid0(SALU_CYCLE_1)
	s_and_b32 vcc_lo, exec_lo, s33
	s_cbranch_vccz .LBB46_706
; %bb.674:
	s_cmp_gt_i32 s28, 22
	s_cbranch_scc0 .LBB46_682
; %bb.675:
	s_cmp_lt_i32 s28, 24
	s_cbranch_scc1 .LBB46_685
; %bb.676:
	s_cmp_gt_i32 s28, 24
	s_cbranch_scc0 .LBB46_686
; %bb.677:
	s_wait_loadcnt 0x0
	global_load_u8 v1, v[4:5], off
	s_mov_b32 s33, 0
	s_mov_b32 s29, exec_lo
	s_wait_loadcnt 0x0
	v_cmpx_lt_i16_e32 0x7f, v1
	s_xor_b32 s29, exec_lo, s29
	s_cbranch_execz .LBB46_698
; %bb.678:
	v_cmp_ne_u16_e32 vcc_lo, 0x80, v1
	s_and_b32 s33, vcc_lo, exec_lo
	s_and_not1_saveexec_b32 s29, s29
	s_cbranch_execnz .LBB46_699
.LBB46_679:
	s_or_b32 exec_lo, exec_lo, s29
	v_mov_b32_e32 v2, 0
	s_and_saveexec_b32 s29, s33
	s_cbranch_execz .LBB46_681
.LBB46_680:
	v_and_b32_e32 v2, 0xffff, v1
	s_delay_alu instid0(VALU_DEP_1) | instskip(SKIP_1) | instid1(VALU_DEP_2)
	v_dual_lshlrev_b32 v1, 24, v1 :: v_dual_bitop2_b32 v3, 3, v2 bitop3:0x40
	v_bfe_u32 v8, v2, 2, 5
	v_and_b32_e32 v1, 0x80000000, v1
	s_delay_alu instid0(VALU_DEP_3) | instskip(NEXT) | instid1(VALU_DEP_3)
	v_clz_i32_u32_e32 v6, v3
	v_cmp_eq_u32_e32 vcc_lo, 0, v8
	s_delay_alu instid0(VALU_DEP_2) | instskip(NEXT) | instid1(VALU_DEP_1)
	v_min_u32_e32 v6, 32, v6
	v_subrev_nc_u32_e32 v7, 29, v6
	v_sub_nc_u32_e32 v6, 30, v6
	s_delay_alu instid0(VALU_DEP_2) | instskip(NEXT) | instid1(VALU_DEP_2)
	v_lshlrev_b32_e32 v2, v7, v2
	v_cndmask_b32_e32 v6, v8, v6, vcc_lo
	s_delay_alu instid0(VALU_DEP_2) | instskip(NEXT) | instid1(VALU_DEP_1)
	v_and_b32_e32 v2, 3, v2
	v_cndmask_b32_e32 v2, v3, v2, vcc_lo
	s_delay_alu instid0(VALU_DEP_3) | instskip(NEXT) | instid1(VALU_DEP_2)
	v_lshl_add_u32 v3, v6, 23, 0x37800000
	v_lshlrev_b32_e32 v2, 21, v2
	s_delay_alu instid0(VALU_DEP_1) | instskip(NEXT) | instid1(VALU_DEP_1)
	v_or3_b32 v1, v1, v3, v2
	v_cvt_i32_f32_e32 v2, v1
.LBB46_681:
	s_or_b32 exec_lo, exec_lo, s29
	s_mov_b32 s29, 0
	s_branch .LBB46_687
.LBB46_682:
	s_mov_b32 s33, -1
                                        ; implicit-def: $vgpr2
	s_branch .LBB46_693
.LBB46_683:
	s_and_not1_saveexec_b32 s29, s29
	s_cbranch_execz .LBB46_668
.LBB46_684:
	v_cmp_ne_u16_e32 vcc_lo, 0, v1
	s_and_not1_b32 s33, s33, exec_lo
	s_and_b32 s34, vcc_lo, exec_lo
	s_delay_alu instid0(SALU_CYCLE_1)
	s_or_b32 s33, s33, s34
	s_or_b32 exec_lo, exec_lo, s29
	v_mov_b32_e32 v2, 0
	s_and_saveexec_b32 s29, s33
	s_cbranch_execnz .LBB46_669
	s_branch .LBB46_670
.LBB46_685:
	s_mov_b32 s29, -1
                                        ; implicit-def: $vgpr2
	s_branch .LBB46_690
.LBB46_686:
	s_mov_b32 s29, -1
                                        ; implicit-def: $vgpr2
.LBB46_687:
	s_delay_alu instid0(SALU_CYCLE_1)
	s_and_b32 vcc_lo, exec_lo, s29
	s_cbranch_vccz .LBB46_689
; %bb.688:
	s_wait_loadcnt 0x0
	global_load_u8 v1, v[4:5], off
	s_wait_loadcnt 0x0
	v_lshlrev_b32_e32 v1, 24, v1
	s_delay_alu instid0(VALU_DEP_1) | instskip(NEXT) | instid1(VALU_DEP_1)
	v_and_b32_e32 v2, 0x7f000000, v1
	v_clz_i32_u32_e32 v3, v2
	v_cmp_ne_u32_e32 vcc_lo, 0, v2
	v_add_nc_u32_e32 v7, 0x1000000, v2
	s_delay_alu instid0(VALU_DEP_3) | instskip(NEXT) | instid1(VALU_DEP_1)
	v_min_u32_e32 v3, 32, v3
	v_sub_nc_u32_e64 v3, v3, 4 clamp
	s_delay_alu instid0(VALU_DEP_1) | instskip(NEXT) | instid1(VALU_DEP_1)
	v_dual_lshlrev_b32 v6, v3, v2 :: v_dual_lshlrev_b32 v3, 23, v3
	v_lshrrev_b32_e32 v6, 4, v6
	s_delay_alu instid0(VALU_DEP_1) | instskip(SKIP_1) | instid1(VALU_DEP_2)
	v_sub_nc_u32_e32 v3, v6, v3
	v_ashrrev_i32_e32 v6, 8, v7
	v_add_nc_u32_e32 v3, 0x3c000000, v3
	s_delay_alu instid0(VALU_DEP_1) | instskip(NEXT) | instid1(VALU_DEP_1)
	v_and_or_b32 v3, 0x7f800000, v6, v3
	v_cndmask_b32_e32 v2, 0, v3, vcc_lo
	s_delay_alu instid0(VALU_DEP_1) | instskip(NEXT) | instid1(VALU_DEP_1)
	v_and_or_b32 v1, 0x80000000, v1, v2
	v_cvt_i32_f32_e32 v2, v1
.LBB46_689:
	s_mov_b32 s29, 0
.LBB46_690:
	s_delay_alu instid0(SALU_CYCLE_1)
	s_and_not1_b32 vcc_lo, exec_lo, s29
	s_cbranch_vccnz .LBB46_692
; %bb.691:
	s_wait_loadcnt 0x0
	global_load_u8 v1, v[4:5], off
	s_wait_loadcnt 0x0
	v_lshlrev_b32_e32 v2, 25, v1
	v_lshlrev_b16 v1, 8, v1
	s_delay_alu instid0(VALU_DEP_1) | instskip(SKIP_1) | instid1(VALU_DEP_2)
	v_and_or_b32 v6, 0x7f00, v1, 0.5
	v_bfe_i32 v1, v1, 0, 16
	v_add_f32_e32 v6, -0.5, v6
	v_lshrrev_b32_e32 v3, 4, v2
	v_cmp_gt_u32_e32 vcc_lo, 0x8000000, v2
	s_delay_alu instid0(VALU_DEP_2) | instskip(NEXT) | instid1(VALU_DEP_1)
	v_or_b32_e32 v3, 0x70000000, v3
	v_mul_f32_e32 v3, 0x7800000, v3
	s_delay_alu instid0(VALU_DEP_1) | instskip(NEXT) | instid1(VALU_DEP_1)
	v_cndmask_b32_e32 v2, v3, v6, vcc_lo
	v_and_or_b32 v1, 0x80000000, v1, v2
	s_delay_alu instid0(VALU_DEP_1)
	v_cvt_i32_f32_e32 v2, v1
.LBB46_692:
	s_mov_b32 s33, 0
	s_mov_b32 s29, -1
.LBB46_693:
	s_and_not1_b32 vcc_lo, exec_lo, s33
	s_cbranch_vccnz .LBB46_706
; %bb.694:
	s_cmp_gt_i32 s28, 14
	s_cbranch_scc0 .LBB46_697
; %bb.695:
	s_cmp_eq_u32 s28, 15
	s_cbranch_scc0 .LBB46_700
; %bb.696:
	s_wait_loadcnt 0x0
	global_load_u16 v1, v[4:5], off
	s_mov_b32 s29, -1
	s_mov_b32 s30, 0
	s_wait_loadcnt 0x0
	v_lshlrev_b32_e32 v1, 16, v1
	s_delay_alu instid0(VALU_DEP_1)
	v_cvt_i32_f32_e32 v2, v1
	s_branch .LBB46_701
.LBB46_697:
	s_mov_b32 s33, -1
                                        ; implicit-def: $vgpr2
	s_branch .LBB46_702
.LBB46_698:
	s_and_not1_saveexec_b32 s29, s29
	s_cbranch_execz .LBB46_679
.LBB46_699:
	v_cmp_ne_u16_e32 vcc_lo, 0, v1
	s_and_not1_b32 s33, s33, exec_lo
	s_and_b32 s34, vcc_lo, exec_lo
	s_delay_alu instid0(SALU_CYCLE_1)
	s_or_b32 s33, s33, s34
	s_or_b32 exec_lo, exec_lo, s29
	v_mov_b32_e32 v2, 0
	s_and_saveexec_b32 s29, s33
	s_cbranch_execnz .LBB46_680
	s_branch .LBB46_681
.LBB46_700:
	s_mov_b32 s30, -1
                                        ; implicit-def: $vgpr2
.LBB46_701:
	s_mov_b32 s33, 0
.LBB46_702:
	s_delay_alu instid0(SALU_CYCLE_1)
	s_and_b32 vcc_lo, exec_lo, s33
	s_cbranch_vccz .LBB46_706
; %bb.703:
	s_cmp_eq_u32 s28, 11
	s_cbranch_scc0 .LBB46_705
; %bb.704:
	s_wait_loadcnt 0x0
	global_load_u8 v1, v[4:5], off
	s_mov_b32 s30, 0
	s_mov_b32 s29, -1
	s_wait_loadcnt 0x0
	v_cmp_ne_u16_e32 vcc_lo, 0, v1
	v_cndmask_b32_e64 v2, 0, 1, vcc_lo
	s_branch .LBB46_706
.LBB46_705:
	s_mov_b32 s30, -1
                                        ; implicit-def: $vgpr2
.LBB46_706:
	s_mov_b32 s28, 0
.LBB46_707:
	s_delay_alu instid0(SALU_CYCLE_1)
	s_and_b32 vcc_lo, exec_lo, s28
	s_cbranch_vccz .LBB46_756
; %bb.708:
	s_and_b32 s0, 0xffff, s0
	s_delay_alu instid0(SALU_CYCLE_1)
	s_cmp_lt_i32 s0, 5
	s_cbranch_scc1 .LBB46_713
; %bb.709:
	s_cmp_lt_i32 s0, 8
	s_cbranch_scc1 .LBB46_714
; %bb.710:
	s_cmp_lt_i32 s0, 9
	s_cbranch_scc1 .LBB46_715
; %bb.711:
	s_cmp_gt_i32 s0, 9
	s_cbranch_scc0 .LBB46_716
; %bb.712:
	s_wait_loadcnt 0x0
	global_load_b64 v[2:3], v[4:5], off
	s_mov_b32 s28, 0
	s_wait_loadcnt 0x0
	v_cvt_i32_f64_e32 v2, v[2:3]
	s_branch .LBB46_717
.LBB46_713:
	s_mov_b32 s28, -1
                                        ; implicit-def: $vgpr2
	s_branch .LBB46_735
.LBB46_714:
	s_mov_b32 s28, -1
                                        ; implicit-def: $vgpr2
	s_branch .LBB46_723
.LBB46_715:
	s_mov_b32 s28, -1
                                        ; implicit-def: $vgpr2
	s_branch .LBB46_720
.LBB46_716:
	s_mov_b32 s28, -1
                                        ; implicit-def: $vgpr2
.LBB46_717:
	s_delay_alu instid0(SALU_CYCLE_1)
	s_and_not1_b32 vcc_lo, exec_lo, s28
	s_cbranch_vccnz .LBB46_719
; %bb.718:
	s_wait_loadcnt 0x0
	global_load_b32 v1, v[4:5], off
	s_wait_loadcnt 0x0
	v_cvt_i32_f32_e32 v2, v1
.LBB46_719:
	s_mov_b32 s28, 0
.LBB46_720:
	s_delay_alu instid0(SALU_CYCLE_1)
	s_and_not1_b32 vcc_lo, exec_lo, s28
	s_cbranch_vccnz .LBB46_722
; %bb.721:
	s_wait_loadcnt 0x0
	global_load_b32 v1, v[4:5], off
	s_wait_loadcnt 0x0
	v_cvt_i16_f16_e32 v2, v1
.LBB46_722:
	s_mov_b32 s28, 0
.LBB46_723:
	s_delay_alu instid0(SALU_CYCLE_1)
	s_and_not1_b32 vcc_lo, exec_lo, s28
	s_cbranch_vccnz .LBB46_734
; %bb.724:
	s_cmp_lt_i32 s0, 6
	s_cbranch_scc1 .LBB46_727
; %bb.725:
	s_cmp_gt_i32 s0, 6
	s_cbranch_scc0 .LBB46_728
; %bb.726:
	s_wait_loadcnt 0x0
	global_load_b64 v[2:3], v[4:5], off
	s_mov_b32 s28, 0
	s_wait_loadcnt 0x0
	v_cvt_i32_f64_e32 v2, v[2:3]
	s_branch .LBB46_729
.LBB46_727:
	s_mov_b32 s28, -1
                                        ; implicit-def: $vgpr2
	s_branch .LBB46_732
.LBB46_728:
	s_mov_b32 s28, -1
                                        ; implicit-def: $vgpr2
.LBB46_729:
	s_delay_alu instid0(SALU_CYCLE_1)
	s_and_not1_b32 vcc_lo, exec_lo, s28
	s_cbranch_vccnz .LBB46_731
; %bb.730:
	s_wait_loadcnt 0x0
	global_load_b32 v1, v[4:5], off
	s_wait_loadcnt 0x0
	v_cvt_i32_f32_e32 v2, v1
.LBB46_731:
	s_mov_b32 s28, 0
.LBB46_732:
	s_delay_alu instid0(SALU_CYCLE_1)
	s_and_not1_b32 vcc_lo, exec_lo, s28
	s_cbranch_vccnz .LBB46_734
; %bb.733:
	s_wait_loadcnt 0x0
	global_load_u16 v1, v[4:5], off
	s_wait_loadcnt 0x0
	v_cvt_i16_f16_e32 v2, v1
.LBB46_734:
	s_mov_b32 s28, 0
.LBB46_735:
	s_delay_alu instid0(SALU_CYCLE_1)
	s_and_not1_b32 vcc_lo, exec_lo, s28
	s_cbranch_vccnz .LBB46_755
; %bb.736:
	s_cmp_lt_i32 s0, 2
	s_cbranch_scc1 .LBB46_740
; %bb.737:
	s_cmp_lt_i32 s0, 3
	s_cbranch_scc1 .LBB46_741
; %bb.738:
	s_cmp_gt_i32 s0, 3
	s_cbranch_scc0 .LBB46_742
; %bb.739:
	s_wait_loadcnt 0x0
	global_load_b64 v[2:3], v[4:5], off
	s_mov_b32 s28, 0
	s_branch .LBB46_743
.LBB46_740:
	s_mov_b32 s28, -1
                                        ; implicit-def: $vgpr2
	s_branch .LBB46_749
.LBB46_741:
	s_mov_b32 s28, -1
                                        ; implicit-def: $vgpr2
	s_branch .LBB46_746
.LBB46_742:
	s_mov_b32 s28, -1
                                        ; implicit-def: $vgpr2
.LBB46_743:
	s_delay_alu instid0(SALU_CYCLE_1)
	s_and_not1_b32 vcc_lo, exec_lo, s28
	s_cbranch_vccnz .LBB46_745
; %bb.744:
	s_wait_loadcnt 0x0
	global_load_b32 v2, v[4:5], off
.LBB46_745:
	s_mov_b32 s28, 0
.LBB46_746:
	s_delay_alu instid0(SALU_CYCLE_1)
	s_and_not1_b32 vcc_lo, exec_lo, s28
	s_cbranch_vccnz .LBB46_748
; %bb.747:
	s_wait_loadcnt 0x0
	global_load_u16 v2, v[4:5], off
.LBB46_748:
	s_mov_b32 s28, 0
.LBB46_749:
	s_delay_alu instid0(SALU_CYCLE_1)
	s_and_not1_b32 vcc_lo, exec_lo, s28
	s_cbranch_vccnz .LBB46_755
; %bb.750:
	s_cmp_gt_i32 s0, 0
	s_mov_b32 s0, 0
	s_cbranch_scc0 .LBB46_752
; %bb.751:
	s_wait_loadcnt 0x0
	global_load_u8 v2, v[4:5], off
	s_branch .LBB46_753
.LBB46_752:
	s_mov_b32 s0, -1
                                        ; implicit-def: $vgpr2
.LBB46_753:
	s_delay_alu instid0(SALU_CYCLE_1)
	s_and_not1_b32 vcc_lo, exec_lo, s0
	s_cbranch_vccnz .LBB46_755
; %bb.754:
	s_wait_loadcnt 0x0
	global_load_u8 v2, v[4:5], off
.LBB46_755:
	s_mov_b32 s29, -1
.LBB46_756:
	s_delay_alu instid0(SALU_CYCLE_1)
	s_and_not1_b32 vcc_lo, exec_lo, s29
	s_cbranch_vccnz .LBB46_764
; %bb.757:
	s_wait_xcnt 0x0
	v_mul_lo_u32 v4, v26, s15
	s_and_b32 s0, s17, 0xff
	s_delay_alu instid0(SALU_CYCLE_1) | instskip(NEXT) | instid1(VALU_DEP_1)
	s_cmp_lt_i32 s0, 11
	v_ashrrev_i32_e32 v5, 31, v4
	s_delay_alu instid0(VALU_DEP_1)
	v_add_nc_u64_e32 v[4:5], s[10:11], v[4:5]
	s_cbranch_scc1 .LBB46_765
; %bb.758:
	s_and_b32 s29, 0xffff, s0
	s_delay_alu instid0(SALU_CYCLE_1)
	s_cmp_gt_i32 s29, 25
	s_cbranch_scc0 .LBB46_766
; %bb.759:
	s_cmp_gt_i32 s29, 28
	s_cbranch_scc0 .LBB46_767
; %bb.760:
	;; [unrolled: 3-line block ×4, first 2 shown]
	s_cmp_eq_u32 s29, 46
	s_mov_b32 s34, 0
	s_cbranch_scc0 .LBB46_772
; %bb.763:
	s_wait_loadcnt 0x0
	global_load_b32 v1, v[4:5], off
	s_mov_b32 s33, -1
	s_mov_b32 s28, 0
	s_wait_loadcnt 0x0
	v_lshlrev_b32_e32 v1, 16, v1
	s_delay_alu instid0(VALU_DEP_1)
	v_cvt_i32_f32_e32 v6, v1
	s_branch .LBB46_774
.LBB46_764:
	s_mov_b32 s33, 0
	s_mov_b32 s0, s21
	s_mov_b32 s28, s23
	s_branch .LBB46_1009
.LBB46_765:
	s_mov_b32 s29, -1
	s_mov_b32 s33, 0
	s_mov_b32 s28, s23
                                        ; implicit-def: $vgpr6
	s_branch .LBB46_835
.LBB46_766:
	s_mov_b32 s34, -1
	s_mov_b32 s33, 0
	s_mov_b32 s28, s23
                                        ; implicit-def: $vgpr6
	s_branch .LBB46_801
.LBB46_767:
	s_mov_b32 s34, -1
	s_mov_b32 s33, 0
	s_mov_b32 s28, s23
                                        ; implicit-def: $vgpr6
	s_branch .LBB46_784
.LBB46_768:
	s_mov_b32 s34, -1
	s_mov_b32 s33, 0
	s_mov_b32 s28, s23
                                        ; implicit-def: $vgpr6
	s_branch .LBB46_779
.LBB46_769:
	s_mov_b32 s34, -1
	s_mov_b32 s33, 0
	s_mov_b32 s28, s23
	s_branch .LBB46_773
.LBB46_770:
	s_and_not1_saveexec_b32 s31, s31
	s_cbranch_execz .LBB46_422
.LBB46_771:
	v_add_f32_e64 v4, 0x42800000, |v3|
	s_and_not1_b32 s30, s30, exec_lo
	s_delay_alu instid0(VALU_DEP_1) | instskip(NEXT) | instid1(VALU_DEP_1)
	v_and_b32_e32 v4, 0xff, v4
	v_cmp_ne_u32_e32 vcc_lo, 0, v4
	s_and_b32 s33, vcc_lo, exec_lo
	s_delay_alu instid0(SALU_CYCLE_1)
	s_or_b32 s30, s30, s33
	s_or_b32 exec_lo, exec_lo, s31
	v_mov_b32_e32 v5, 0
	s_and_saveexec_b32 s31, s30
	s_cbranch_execnz .LBB46_423
	s_branch .LBB46_424
.LBB46_772:
	s_mov_b32 s28, -1
	s_mov_b32 s33, 0
.LBB46_773:
                                        ; implicit-def: $vgpr6
.LBB46_774:
	s_and_b32 vcc_lo, exec_lo, s34
	s_cbranch_vccz .LBB46_778
; %bb.775:
	s_cmp_eq_u32 s29, 44
	s_cbranch_scc0 .LBB46_777
; %bb.776:
	s_wait_loadcnt 0x0
	global_load_u8 v1, v[4:5], off
	s_mov_b32 s28, 0
	s_mov_b32 s33, -1
	s_wait_loadcnt 0x0
	v_lshlrev_b32_e32 v3, 23, v1
	v_cmp_ne_u32_e32 vcc_lo, 0, v1
	s_delay_alu instid0(VALU_DEP_2) | instskip(NEXT) | instid1(VALU_DEP_1)
	v_cvt_i32_f32_e32 v3, v3
	v_cndmask_b32_e32 v6, 0, v3, vcc_lo
	s_branch .LBB46_778
.LBB46_777:
	s_mov_b32 s28, -1
                                        ; implicit-def: $vgpr6
.LBB46_778:
	s_mov_b32 s34, 0
.LBB46_779:
	s_delay_alu instid0(SALU_CYCLE_1)
	s_and_b32 vcc_lo, exec_lo, s34
	s_cbranch_vccz .LBB46_783
; %bb.780:
	s_cmp_eq_u32 s29, 29
	s_cbranch_scc0 .LBB46_782
; %bb.781:
	global_load_b64 v[6:7], v[4:5], off
	s_mov_b32 s33, -1
	s_mov_b32 s28, 0
	s_branch .LBB46_783
.LBB46_782:
	s_mov_b32 s28, -1
                                        ; implicit-def: $vgpr6
.LBB46_783:
	s_mov_b32 s34, 0
.LBB46_784:
	s_delay_alu instid0(SALU_CYCLE_1)
	s_and_b32 vcc_lo, exec_lo, s34
	s_cbranch_vccz .LBB46_800
; %bb.785:
	s_cmp_lt_i32 s29, 27
	s_cbranch_scc1 .LBB46_788
; %bb.786:
	s_cmp_gt_i32 s29, 27
	s_cbranch_scc0 .LBB46_789
; %bb.787:
	s_wait_loadcnt 0x0
	global_load_b32 v6, v[4:5], off
	s_mov_b32 s33, 0
	s_branch .LBB46_790
.LBB46_788:
	s_mov_b32 s33, -1
                                        ; implicit-def: $vgpr6
	s_branch .LBB46_793
.LBB46_789:
	s_mov_b32 s33, -1
                                        ; implicit-def: $vgpr6
.LBB46_790:
	s_delay_alu instid0(SALU_CYCLE_1)
	s_and_not1_b32 vcc_lo, exec_lo, s33
	s_cbranch_vccnz .LBB46_792
; %bb.791:
	s_wait_loadcnt 0x0
	global_load_u16 v6, v[4:5], off
.LBB46_792:
	s_mov_b32 s33, 0
.LBB46_793:
	s_delay_alu instid0(SALU_CYCLE_1)
	s_and_not1_b32 vcc_lo, exec_lo, s33
	s_cbranch_vccnz .LBB46_799
; %bb.794:
	s_wait_loadcnt 0x0
	global_load_u8 v1, v[4:5], off
	s_mov_b32 s34, 0
	s_mov_b32 s33, exec_lo
	s_wait_loadcnt 0x0
	v_cmpx_lt_i16_e32 0x7f, v1
	s_xor_b32 s33, exec_lo, s33
	s_cbranch_execz .LBB46_811
; %bb.795:
	v_cmp_ne_u16_e32 vcc_lo, 0x80, v1
	s_and_b32 s34, vcc_lo, exec_lo
	s_and_not1_saveexec_b32 s33, s33
	s_cbranch_execnz .LBB46_812
.LBB46_796:
	s_or_b32 exec_lo, exec_lo, s33
	v_mov_b32_e32 v6, 0
	s_and_saveexec_b32 s33, s34
	s_cbranch_execz .LBB46_798
.LBB46_797:
	v_and_b32_e32 v3, 0xffff, v1
	s_delay_alu instid0(VALU_DEP_1) | instskip(SKIP_1) | instid1(VALU_DEP_2)
	v_dual_lshlrev_b32 v1, 24, v1 :: v_dual_bitop2_b32 v6, 7, v3 bitop3:0x40
	v_bfe_u32 v9, v3, 3, 4
	v_and_b32_e32 v1, 0x80000000, v1
	s_delay_alu instid0(VALU_DEP_3) | instskip(NEXT) | instid1(VALU_DEP_3)
	v_clz_i32_u32_e32 v7, v6
	v_cmp_eq_u32_e32 vcc_lo, 0, v9
	s_delay_alu instid0(VALU_DEP_2) | instskip(NEXT) | instid1(VALU_DEP_1)
	v_min_u32_e32 v7, 32, v7
	v_subrev_nc_u32_e32 v8, 28, v7
	v_sub_nc_u32_e32 v7, 29, v7
	s_delay_alu instid0(VALU_DEP_2) | instskip(NEXT) | instid1(VALU_DEP_2)
	v_lshlrev_b32_e32 v3, v8, v3
	v_cndmask_b32_e32 v7, v9, v7, vcc_lo
	s_delay_alu instid0(VALU_DEP_2) | instskip(NEXT) | instid1(VALU_DEP_1)
	v_and_b32_e32 v3, 7, v3
	v_cndmask_b32_e32 v3, v6, v3, vcc_lo
	s_delay_alu instid0(VALU_DEP_3) | instskip(NEXT) | instid1(VALU_DEP_2)
	v_lshl_add_u32 v6, v7, 23, 0x3b800000
	v_lshlrev_b32_e32 v3, 20, v3
	s_delay_alu instid0(VALU_DEP_1) | instskip(NEXT) | instid1(VALU_DEP_1)
	v_or3_b32 v1, v1, v6, v3
	v_cvt_i32_f32_e32 v6, v1
.LBB46_798:
	s_or_b32 exec_lo, exec_lo, s33
.LBB46_799:
	s_mov_b32 s33, -1
.LBB46_800:
	s_mov_b32 s34, 0
.LBB46_801:
	s_delay_alu instid0(SALU_CYCLE_1)
	s_and_b32 vcc_lo, exec_lo, s34
	s_cbranch_vccz .LBB46_834
; %bb.802:
	s_cmp_gt_i32 s29, 22
	s_cbranch_scc0 .LBB46_810
; %bb.803:
	s_cmp_lt_i32 s29, 24
	s_cbranch_scc1 .LBB46_813
; %bb.804:
	s_cmp_gt_i32 s29, 24
	s_cbranch_scc0 .LBB46_814
; %bb.805:
	s_wait_loadcnt 0x0
	global_load_u8 v1, v[4:5], off
	s_mov_b32 s34, 0
	s_mov_b32 s33, exec_lo
	s_wait_loadcnt 0x0
	v_cmpx_lt_i16_e32 0x7f, v1
	s_xor_b32 s33, exec_lo, s33
	s_cbranch_execz .LBB46_826
; %bb.806:
	v_cmp_ne_u16_e32 vcc_lo, 0x80, v1
	s_and_b32 s34, vcc_lo, exec_lo
	s_and_not1_saveexec_b32 s33, s33
	s_cbranch_execnz .LBB46_827
.LBB46_807:
	s_or_b32 exec_lo, exec_lo, s33
	v_mov_b32_e32 v6, 0
	s_and_saveexec_b32 s33, s34
	s_cbranch_execz .LBB46_809
.LBB46_808:
	v_and_b32_e32 v3, 0xffff, v1
	s_delay_alu instid0(VALU_DEP_1) | instskip(SKIP_1) | instid1(VALU_DEP_2)
	v_dual_lshlrev_b32 v1, 24, v1 :: v_dual_bitop2_b32 v6, 3, v3 bitop3:0x40
	v_bfe_u32 v9, v3, 2, 5
	v_and_b32_e32 v1, 0x80000000, v1
	s_delay_alu instid0(VALU_DEP_3) | instskip(NEXT) | instid1(VALU_DEP_3)
	v_clz_i32_u32_e32 v7, v6
	v_cmp_eq_u32_e32 vcc_lo, 0, v9
	s_delay_alu instid0(VALU_DEP_2) | instskip(NEXT) | instid1(VALU_DEP_1)
	v_min_u32_e32 v7, 32, v7
	v_subrev_nc_u32_e32 v8, 29, v7
	v_sub_nc_u32_e32 v7, 30, v7
	s_delay_alu instid0(VALU_DEP_2) | instskip(NEXT) | instid1(VALU_DEP_2)
	v_lshlrev_b32_e32 v3, v8, v3
	v_cndmask_b32_e32 v7, v9, v7, vcc_lo
	s_delay_alu instid0(VALU_DEP_2) | instskip(NEXT) | instid1(VALU_DEP_1)
	v_and_b32_e32 v3, 3, v3
	v_cndmask_b32_e32 v3, v6, v3, vcc_lo
	s_delay_alu instid0(VALU_DEP_3) | instskip(NEXT) | instid1(VALU_DEP_2)
	v_lshl_add_u32 v6, v7, 23, 0x37800000
	v_lshlrev_b32_e32 v3, 21, v3
	s_delay_alu instid0(VALU_DEP_1) | instskip(NEXT) | instid1(VALU_DEP_1)
	v_or3_b32 v1, v1, v6, v3
	v_cvt_i32_f32_e32 v6, v1
.LBB46_809:
	s_or_b32 exec_lo, exec_lo, s33
	s_mov_b32 s33, 0
	s_branch .LBB46_815
.LBB46_810:
	s_mov_b32 s34, -1
                                        ; implicit-def: $vgpr6
	s_branch .LBB46_821
.LBB46_811:
	s_and_not1_saveexec_b32 s33, s33
	s_cbranch_execz .LBB46_796
.LBB46_812:
	v_cmp_ne_u16_e32 vcc_lo, 0, v1
	s_and_not1_b32 s34, s34, exec_lo
	s_and_b32 s35, vcc_lo, exec_lo
	s_delay_alu instid0(SALU_CYCLE_1)
	s_or_b32 s34, s34, s35
	s_or_b32 exec_lo, exec_lo, s33
	v_mov_b32_e32 v6, 0
	s_and_saveexec_b32 s33, s34
	s_cbranch_execnz .LBB46_797
	s_branch .LBB46_798
.LBB46_813:
	s_mov_b32 s33, -1
                                        ; implicit-def: $vgpr6
	s_branch .LBB46_818
.LBB46_814:
	s_mov_b32 s33, -1
                                        ; implicit-def: $vgpr6
.LBB46_815:
	s_delay_alu instid0(SALU_CYCLE_1)
	s_and_b32 vcc_lo, exec_lo, s33
	s_cbranch_vccz .LBB46_817
; %bb.816:
	s_wait_loadcnt 0x0
	global_load_u8 v1, v[4:5], off
	s_wait_loadcnt 0x0
	v_lshlrev_b32_e32 v1, 24, v1
	s_delay_alu instid0(VALU_DEP_1) | instskip(NEXT) | instid1(VALU_DEP_1)
	v_and_b32_e32 v3, 0x7f000000, v1
	v_clz_i32_u32_e32 v6, v3
	v_cmp_ne_u32_e32 vcc_lo, 0, v3
	v_add_nc_u32_e32 v8, 0x1000000, v3
	s_delay_alu instid0(VALU_DEP_3) | instskip(NEXT) | instid1(VALU_DEP_1)
	v_min_u32_e32 v6, 32, v6
	v_sub_nc_u32_e64 v6, v6, 4 clamp
	s_delay_alu instid0(VALU_DEP_1) | instskip(NEXT) | instid1(VALU_DEP_1)
	v_dual_lshlrev_b32 v7, v6, v3 :: v_dual_lshlrev_b32 v6, 23, v6
	v_lshrrev_b32_e32 v7, 4, v7
	s_delay_alu instid0(VALU_DEP_1) | instskip(NEXT) | instid1(VALU_DEP_1)
	v_dual_sub_nc_u32 v6, v7, v6 :: v_dual_ashrrev_i32 v7, 8, v8
	v_add_nc_u32_e32 v6, 0x3c000000, v6
	s_delay_alu instid0(VALU_DEP_1) | instskip(NEXT) | instid1(VALU_DEP_1)
	v_and_or_b32 v6, 0x7f800000, v7, v6
	v_cndmask_b32_e32 v3, 0, v6, vcc_lo
	s_delay_alu instid0(VALU_DEP_1) | instskip(NEXT) | instid1(VALU_DEP_1)
	v_and_or_b32 v1, 0x80000000, v1, v3
	v_cvt_i32_f32_e32 v6, v1
.LBB46_817:
	s_mov_b32 s33, 0
.LBB46_818:
	s_delay_alu instid0(SALU_CYCLE_1)
	s_and_not1_b32 vcc_lo, exec_lo, s33
	s_cbranch_vccnz .LBB46_820
; %bb.819:
	s_wait_loadcnt 0x0
	global_load_u8 v1, v[4:5], off
	s_wait_loadcnt 0x0
	v_lshlrev_b32_e32 v3, 25, v1
	v_lshlrev_b16 v1, 8, v1
	s_delay_alu instid0(VALU_DEP_1) | instskip(SKIP_1) | instid1(VALU_DEP_2)
	v_and_or_b32 v7, 0x7f00, v1, 0.5
	v_bfe_i32 v1, v1, 0, 16
	v_add_f32_e32 v7, -0.5, v7
	v_lshrrev_b32_e32 v6, 4, v3
	v_cmp_gt_u32_e32 vcc_lo, 0x8000000, v3
	s_delay_alu instid0(VALU_DEP_2) | instskip(NEXT) | instid1(VALU_DEP_1)
	v_or_b32_e32 v6, 0x70000000, v6
	v_mul_f32_e32 v6, 0x7800000, v6
	s_delay_alu instid0(VALU_DEP_1) | instskip(NEXT) | instid1(VALU_DEP_1)
	v_cndmask_b32_e32 v3, v6, v7, vcc_lo
	v_and_or_b32 v1, 0x80000000, v1, v3
	s_delay_alu instid0(VALU_DEP_1)
	v_cvt_i32_f32_e32 v6, v1
.LBB46_820:
	s_mov_b32 s34, 0
	s_mov_b32 s33, -1
.LBB46_821:
	s_and_not1_b32 vcc_lo, exec_lo, s34
	s_cbranch_vccnz .LBB46_834
; %bb.822:
	s_cmp_gt_i32 s29, 14
	s_cbranch_scc0 .LBB46_825
; %bb.823:
	s_cmp_eq_u32 s29, 15
	s_cbranch_scc0 .LBB46_828
; %bb.824:
	s_wait_loadcnt 0x0
	global_load_u16 v1, v[4:5], off
	s_mov_b32 s33, -1
	s_mov_b32 s28, 0
	s_wait_loadcnt 0x0
	v_lshlrev_b32_e32 v1, 16, v1
	s_delay_alu instid0(VALU_DEP_1)
	v_cvt_i32_f32_e32 v6, v1
	s_branch .LBB46_829
.LBB46_825:
	s_mov_b32 s34, -1
                                        ; implicit-def: $vgpr6
	s_branch .LBB46_830
.LBB46_826:
	s_and_not1_saveexec_b32 s33, s33
	s_cbranch_execz .LBB46_807
.LBB46_827:
	v_cmp_ne_u16_e32 vcc_lo, 0, v1
	s_and_not1_b32 s34, s34, exec_lo
	s_and_b32 s35, vcc_lo, exec_lo
	s_delay_alu instid0(SALU_CYCLE_1)
	s_or_b32 s34, s34, s35
	s_or_b32 exec_lo, exec_lo, s33
	v_mov_b32_e32 v6, 0
	s_and_saveexec_b32 s33, s34
	s_cbranch_execnz .LBB46_808
	s_branch .LBB46_809
.LBB46_828:
	s_mov_b32 s28, -1
                                        ; implicit-def: $vgpr6
.LBB46_829:
	s_mov_b32 s34, 0
.LBB46_830:
	s_delay_alu instid0(SALU_CYCLE_1)
	s_and_b32 vcc_lo, exec_lo, s34
	s_cbranch_vccz .LBB46_834
; %bb.831:
	s_cmp_eq_u32 s29, 11
	s_cbranch_scc0 .LBB46_833
; %bb.832:
	s_wait_loadcnt 0x0
	global_load_u8 v1, v[4:5], off
	s_mov_b32 s28, 0
	s_mov_b32 s33, -1
	s_wait_loadcnt 0x0
	v_cmp_ne_u16_e32 vcc_lo, 0, v1
	v_cndmask_b32_e64 v6, 0, 1, vcc_lo
	s_branch .LBB46_834
.LBB46_833:
	s_mov_b32 s28, -1
                                        ; implicit-def: $vgpr6
.LBB46_834:
	s_mov_b32 s29, 0
.LBB46_835:
	s_delay_alu instid0(SALU_CYCLE_1)
	s_and_b32 vcc_lo, exec_lo, s29
	s_cbranch_vccz .LBB46_884
; %bb.836:
	s_and_b32 s0, 0xffff, s0
	s_delay_alu instid0(SALU_CYCLE_1)
	s_cmp_lt_i32 s0, 5
	s_cbranch_scc1 .LBB46_841
; %bb.837:
	s_cmp_lt_i32 s0, 8
	s_cbranch_scc1 .LBB46_842
; %bb.838:
	;; [unrolled: 3-line block ×3, first 2 shown]
	s_cmp_gt_i32 s0, 9
	s_cbranch_scc0 .LBB46_844
; %bb.840:
	s_wait_loadcnt 0x0
	global_load_b64 v[6:7], v[4:5], off
	s_mov_b32 s29, 0
	s_wait_loadcnt 0x0
	v_cvt_i32_f64_e32 v6, v[6:7]
	s_branch .LBB46_845
.LBB46_841:
	s_mov_b32 s29, -1
                                        ; implicit-def: $vgpr6
	s_branch .LBB46_863
.LBB46_842:
	s_mov_b32 s29, -1
                                        ; implicit-def: $vgpr6
	s_branch .LBB46_851
.LBB46_843:
	s_mov_b32 s29, -1
                                        ; implicit-def: $vgpr6
	s_branch .LBB46_848
.LBB46_844:
	s_mov_b32 s29, -1
                                        ; implicit-def: $vgpr6
.LBB46_845:
	s_delay_alu instid0(SALU_CYCLE_1)
	s_and_not1_b32 vcc_lo, exec_lo, s29
	s_cbranch_vccnz .LBB46_847
; %bb.846:
	s_wait_loadcnt 0x0
	global_load_b32 v1, v[4:5], off
	s_wait_loadcnt 0x0
	v_cvt_i32_f32_e32 v6, v1
.LBB46_847:
	s_mov_b32 s29, 0
.LBB46_848:
	s_delay_alu instid0(SALU_CYCLE_1)
	s_and_not1_b32 vcc_lo, exec_lo, s29
	s_cbranch_vccnz .LBB46_850
; %bb.849:
	s_wait_loadcnt 0x0
	global_load_b32 v1, v[4:5], off
	s_wait_loadcnt 0x0
	v_cvt_i16_f16_e32 v6, v1
.LBB46_850:
	s_mov_b32 s29, 0
.LBB46_851:
	s_delay_alu instid0(SALU_CYCLE_1)
	s_and_not1_b32 vcc_lo, exec_lo, s29
	s_cbranch_vccnz .LBB46_862
; %bb.852:
	s_cmp_lt_i32 s0, 6
	s_cbranch_scc1 .LBB46_855
; %bb.853:
	s_cmp_gt_i32 s0, 6
	s_cbranch_scc0 .LBB46_856
; %bb.854:
	s_wait_loadcnt 0x0
	global_load_b64 v[6:7], v[4:5], off
	s_mov_b32 s29, 0
	s_wait_loadcnt 0x0
	v_cvt_i32_f64_e32 v6, v[6:7]
	s_branch .LBB46_857
.LBB46_855:
	s_mov_b32 s29, -1
                                        ; implicit-def: $vgpr6
	s_branch .LBB46_860
.LBB46_856:
	s_mov_b32 s29, -1
                                        ; implicit-def: $vgpr6
.LBB46_857:
	s_delay_alu instid0(SALU_CYCLE_1)
	s_and_not1_b32 vcc_lo, exec_lo, s29
	s_cbranch_vccnz .LBB46_859
; %bb.858:
	s_wait_loadcnt 0x0
	global_load_b32 v1, v[4:5], off
	s_wait_loadcnt 0x0
	v_cvt_i32_f32_e32 v6, v1
.LBB46_859:
	s_mov_b32 s29, 0
.LBB46_860:
	s_delay_alu instid0(SALU_CYCLE_1)
	s_and_not1_b32 vcc_lo, exec_lo, s29
	s_cbranch_vccnz .LBB46_862
; %bb.861:
	s_wait_loadcnt 0x0
	global_load_u16 v1, v[4:5], off
	s_wait_loadcnt 0x0
	v_cvt_i16_f16_e32 v6, v1
.LBB46_862:
	s_mov_b32 s29, 0
.LBB46_863:
	s_delay_alu instid0(SALU_CYCLE_1)
	s_and_not1_b32 vcc_lo, exec_lo, s29
	s_cbranch_vccnz .LBB46_883
; %bb.864:
	s_cmp_lt_i32 s0, 2
	s_cbranch_scc1 .LBB46_868
; %bb.865:
	s_cmp_lt_i32 s0, 3
	s_cbranch_scc1 .LBB46_869
; %bb.866:
	s_cmp_gt_i32 s0, 3
	s_cbranch_scc0 .LBB46_870
; %bb.867:
	s_wait_loadcnt 0x0
	global_load_b64 v[6:7], v[4:5], off
	s_mov_b32 s29, 0
	s_branch .LBB46_871
.LBB46_868:
	s_mov_b32 s29, -1
                                        ; implicit-def: $vgpr6
	s_branch .LBB46_877
.LBB46_869:
	s_mov_b32 s29, -1
                                        ; implicit-def: $vgpr6
	s_branch .LBB46_874
.LBB46_870:
	s_mov_b32 s29, -1
                                        ; implicit-def: $vgpr6
.LBB46_871:
	s_delay_alu instid0(SALU_CYCLE_1)
	s_and_not1_b32 vcc_lo, exec_lo, s29
	s_cbranch_vccnz .LBB46_873
; %bb.872:
	s_wait_loadcnt 0x0
	global_load_b32 v6, v[4:5], off
.LBB46_873:
	s_mov_b32 s29, 0
.LBB46_874:
	s_delay_alu instid0(SALU_CYCLE_1)
	s_and_not1_b32 vcc_lo, exec_lo, s29
	s_cbranch_vccnz .LBB46_876
; %bb.875:
	s_wait_loadcnt 0x0
	global_load_u16 v6, v[4:5], off
.LBB46_876:
	s_mov_b32 s29, 0
.LBB46_877:
	s_delay_alu instid0(SALU_CYCLE_1)
	s_and_not1_b32 vcc_lo, exec_lo, s29
	s_cbranch_vccnz .LBB46_883
; %bb.878:
	s_cmp_gt_i32 s0, 0
	s_mov_b32 s0, 0
	s_cbranch_scc0 .LBB46_880
; %bb.879:
	s_wait_loadcnt 0x0
	global_load_u8 v6, v[4:5], off
	s_branch .LBB46_881
.LBB46_880:
	s_mov_b32 s0, -1
                                        ; implicit-def: $vgpr6
.LBB46_881:
	s_delay_alu instid0(SALU_CYCLE_1)
	s_and_not1_b32 vcc_lo, exec_lo, s0
	s_cbranch_vccnz .LBB46_883
; %bb.882:
	s_wait_loadcnt 0x0
	global_load_u8 v6, v[4:5], off
.LBB46_883:
	s_mov_b32 s33, -1
.LBB46_884:
	s_delay_alu instid0(SALU_CYCLE_1)
	s_and_not1_b32 vcc_lo, exec_lo, s33
	s_cbranch_vccnz .LBB46_892
; %bb.885:
	s_wait_xcnt 0x0
	v_mul_lo_u32 v4, v26, s12
	s_wait_loadcnt 0x0
	v_mul_lo_u16 v3, v0, s2
	v_mul_lo_u16 v2, v2, s1
	s_and_b32 s29, s18, 0xff
	s_delay_alu instid0(SALU_CYCLE_1) | instskip(NEXT) | instid1(VALU_DEP_1)
	s_cmp_lt_i32 s29, 11
	v_mad_u16 v2, v2, v6, v3
	s_delay_alu instid0(VALU_DEP_4) | instskip(NEXT) | instid1(VALU_DEP_1)
	v_ashrrev_i32_e32 v5, 31, v4
	v_add_nc_u64_e32 v[0:1], s[4:5], v[4:5]
	s_cbranch_scc1 .LBB46_893
; %bb.886:
	s_and_b32 s33, 0xffff, s29
	s_delay_alu instid0(SALU_CYCLE_1)
	s_cmp_gt_i32 s33, 25
	s_cbranch_scc0 .LBB46_894
; %bb.887:
	s_cmp_gt_i32 s33, 28
	s_cbranch_scc0 .LBB46_895
; %bb.888:
	;; [unrolled: 3-line block ×4, first 2 shown]
	s_mov_b32 s35, 0
	s_mov_b32 s0, -1
	s_cmp_eq_u32 s33, 46
	s_mov_b32 s34, 0
	s_cbranch_scc0 .LBB46_898
; %bb.891:
	v_bfe_i32 v3, v2, 0, 8
	s_mov_b32 s34, -1
	s_mov_b32 s0, 0
	s_delay_alu instid0(VALU_DEP_1) | instskip(NEXT) | instid1(VALU_DEP_1)
	v_bfe_i32 v3, v3, 0, 16
	v_cvt_f32_i32_e32 v3, v3
	s_delay_alu instid0(VALU_DEP_1) | instskip(NEXT) | instid1(VALU_DEP_1)
	v_bfe_u32 v4, v3, 16, 1
	v_add3_u32 v3, v3, v4, 0x7fff
	s_delay_alu instid0(VALU_DEP_1)
	v_lshrrev_b32_e32 v3, 16, v3
	global_store_b32 v[0:1], v3, off
	s_branch .LBB46_898
.LBB46_892:
	s_mov_b32 s33, 0
	s_mov_b32 s0, s21
	s_branch .LBB46_1009
.LBB46_893:
	s_mov_b32 s33, -1
	s_mov_b32 s34, 0
	s_mov_b32 s0, s21
	s_branch .LBB46_967
.LBB46_894:
	s_mov_b32 s35, -1
	s_mov_b32 s34, 0
	s_mov_b32 s0, s21
	s_branch .LBB46_925
.LBB46_895:
	s_mov_b32 s35, -1
	s_mov_b32 s34, 0
	s_mov_b32 s0, s21
	s_branch .LBB46_908
.LBB46_896:
	s_mov_b32 s35, -1
	s_mov_b32 s34, 0
	s_mov_b32 s0, s21
	s_branch .LBB46_904
.LBB46_897:
	s_mov_b32 s35, -1
	s_mov_b32 s34, 0
	s_mov_b32 s0, s21
.LBB46_898:
	s_and_b32 vcc_lo, exec_lo, s35
	s_cbranch_vccz .LBB46_903
; %bb.899:
	s_cmp_eq_u32 s33, 44
	s_mov_b32 s0, -1
	s_cbranch_scc0 .LBB46_903
; %bb.900:
	s_wait_xcnt 0x0
	v_bfe_i32 v3, v2, 0, 8
	v_mov_b32_e32 v4, 0xff
	s_mov_b32 s34, exec_lo
	s_delay_alu instid0(VALU_DEP_2) | instskip(NEXT) | instid1(VALU_DEP_1)
	v_bfe_i32 v3, v3, 0, 16
	v_cvt_f32_i32_e32 v3, v3
	s_delay_alu instid0(VALU_DEP_1) | instskip(NEXT) | instid1(VALU_DEP_1)
	v_bfe_u32 v5, v3, 23, 8
	v_cmpx_ne_u32_e32 0xff, v5
	s_cbranch_execz .LBB46_902
; %bb.901:
	v_and_b32_e32 v4, 0x400000, v3
	v_and_or_b32 v5, 0x3fffff, v3, v5
	v_lshrrev_b32_e32 v3, 23, v3
	s_delay_alu instid0(VALU_DEP_3) | instskip(NEXT) | instid1(VALU_DEP_3)
	v_cmp_ne_u32_e32 vcc_lo, 0, v4
	v_cmp_ne_u32_e64 s0, 0, v5
	s_and_b32 s0, vcc_lo, s0
	s_delay_alu instid0(SALU_CYCLE_1) | instskip(NEXT) | instid1(VALU_DEP_1)
	v_cndmask_b32_e64 v4, 0, 1, s0
	v_add_nc_u32_e32 v4, v3, v4
.LBB46_902:
	s_or_b32 exec_lo, exec_lo, s34
	s_mov_b32 s34, -1
	s_mov_b32 s0, 0
	global_store_b8 v[0:1], v4, off
.LBB46_903:
	s_mov_b32 s35, 0
.LBB46_904:
	s_delay_alu instid0(SALU_CYCLE_1)
	s_and_b32 vcc_lo, exec_lo, s35
	s_cbranch_vccz .LBB46_907
; %bb.905:
	s_cmp_eq_u32 s33, 29
	s_mov_b32 s0, -1
	s_cbranch_scc0 .LBB46_907
; %bb.906:
	s_wait_xcnt 0x0
	v_bfe_i32 v4, v2, 0, 8
	s_mov_b32 s34, -1
	s_mov_b32 s0, 0
	s_mov_b32 s35, 0
	s_delay_alu instid0(VALU_DEP_1)
	v_ashrrev_i32_e32 v5, 31, v4
	global_store_b64 v[0:1], v[4:5], off
	s_branch .LBB46_908
.LBB46_907:
	s_mov_b32 s35, 0
.LBB46_908:
	s_delay_alu instid0(SALU_CYCLE_1)
	s_and_b32 vcc_lo, exec_lo, s35
	s_cbranch_vccz .LBB46_924
; %bb.909:
	s_cmp_lt_i32 s33, 27
	s_mov_b32 s34, -1
	s_cbranch_scc1 .LBB46_915
; %bb.910:
	s_cmp_gt_i32 s33, 27
	s_cbranch_scc0 .LBB46_912
; %bb.911:
	s_wait_xcnt 0x0
	v_bfe_i32 v3, v2, 0, 8
	s_mov_b32 s34, 0
	global_store_b32 v[0:1], v3, off
.LBB46_912:
	s_and_not1_b32 vcc_lo, exec_lo, s34
	s_cbranch_vccnz .LBB46_914
; %bb.913:
	s_wait_xcnt 0x0
	v_bfe_i32 v3, v2, 0, 8
	global_store_b16 v[0:1], v3, off
.LBB46_914:
	s_mov_b32 s34, 0
.LBB46_915:
	s_delay_alu instid0(SALU_CYCLE_1)
	s_and_not1_b32 vcc_lo, exec_lo, s34
	s_cbranch_vccnz .LBB46_923
; %bb.916:
	s_wait_xcnt 0x0
	v_bfe_i32 v3, v2, 0, 8
	v_mov_b32_e32 v5, 0x80
	s_mov_b32 s34, exec_lo
	s_delay_alu instid0(VALU_DEP_2) | instskip(NEXT) | instid1(VALU_DEP_1)
	v_bfe_i32 v3, v3, 0, 16
	v_cvt_f32_i32_e32 v3, v3
	s_delay_alu instid0(VALU_DEP_1) | instskip(NEXT) | instid1(VALU_DEP_1)
	v_and_b32_e32 v4, 0x7fffffff, v3
	v_cmpx_gt_u32_e32 0x43800000, v4
	s_cbranch_execz .LBB46_922
; %bb.917:
	v_cmp_lt_u32_e32 vcc_lo, 0x3bffffff, v4
	s_mov_b32 s35, 0
                                        ; implicit-def: $vgpr4
	s_and_saveexec_b32 s36, vcc_lo
	s_delay_alu instid0(SALU_CYCLE_1)
	s_xor_b32 s36, exec_lo, s36
	s_cbranch_execz .LBB46_1151
; %bb.918:
	v_bfe_u32 v4, v3, 20, 1
	s_mov_b32 s35, exec_lo
	s_delay_alu instid0(VALU_DEP_1) | instskip(NEXT) | instid1(VALU_DEP_1)
	v_add3_u32 v4, v3, v4, 0x487ffff
	v_lshrrev_b32_e32 v4, 20, v4
	s_and_not1_saveexec_b32 s36, s36
	s_cbranch_execnz .LBB46_1152
.LBB46_919:
	s_or_b32 exec_lo, exec_lo, s36
	v_mov_b32_e32 v5, 0
	s_and_saveexec_b32 s36, s35
.LBB46_920:
	v_lshrrev_b32_e32 v3, 24, v3
	s_delay_alu instid0(VALU_DEP_1)
	v_and_or_b32 v5, 0x80, v3, v4
.LBB46_921:
	s_or_b32 exec_lo, exec_lo, s36
.LBB46_922:
	s_delay_alu instid0(SALU_CYCLE_1)
	s_or_b32 exec_lo, exec_lo, s34
	global_store_b8 v[0:1], v5, off
.LBB46_923:
	s_mov_b32 s34, -1
.LBB46_924:
	s_mov_b32 s35, 0
.LBB46_925:
	s_delay_alu instid0(SALU_CYCLE_1)
	s_and_b32 vcc_lo, exec_lo, s35
	s_cbranch_vccz .LBB46_966
; %bb.926:
	s_cmp_gt_i32 s33, 22
	s_mov_b32 s35, -1
	s_cbranch_scc0 .LBB46_958
; %bb.927:
	s_cmp_lt_i32 s33, 24
	s_mov_b32 s34, -1
	s_cbranch_scc1 .LBB46_947
; %bb.928:
	s_cmp_gt_i32 s33, 24
	s_cbranch_scc0 .LBB46_936
; %bb.929:
	s_wait_xcnt 0x0
	v_bfe_i32 v3, v2, 0, 8
	v_mov_b32_e32 v5, 0x80
	s_mov_b32 s34, exec_lo
	s_delay_alu instid0(VALU_DEP_2) | instskip(NEXT) | instid1(VALU_DEP_1)
	v_bfe_i32 v3, v3, 0, 16
	v_cvt_f32_i32_e32 v3, v3
	s_delay_alu instid0(VALU_DEP_1) | instskip(NEXT) | instid1(VALU_DEP_1)
	v_and_b32_e32 v4, 0x7fffffff, v3
	v_cmpx_gt_u32_e32 0x47800000, v4
	s_cbranch_execz .LBB46_935
; %bb.930:
	v_cmp_lt_u32_e32 vcc_lo, 0x37ffffff, v4
	s_mov_b32 s35, 0
                                        ; implicit-def: $vgpr4
	s_and_saveexec_b32 s36, vcc_lo
	s_delay_alu instid0(SALU_CYCLE_1)
	s_xor_b32 s36, exec_lo, s36
	s_cbranch_execz .LBB46_1279
; %bb.931:
	v_bfe_u32 v4, v3, 21, 1
	s_mov_b32 s35, exec_lo
	s_delay_alu instid0(VALU_DEP_1) | instskip(NEXT) | instid1(VALU_DEP_1)
	v_add3_u32 v4, v3, v4, 0x88fffff
	v_lshrrev_b32_e32 v4, 21, v4
	s_and_not1_saveexec_b32 s36, s36
	s_cbranch_execnz .LBB46_1280
.LBB46_932:
	s_or_b32 exec_lo, exec_lo, s36
	v_mov_b32_e32 v5, 0
	s_and_saveexec_b32 s36, s35
.LBB46_933:
	v_lshrrev_b32_e32 v3, 24, v3
	s_delay_alu instid0(VALU_DEP_1)
	v_and_or_b32 v5, 0x80, v3, v4
.LBB46_934:
	s_or_b32 exec_lo, exec_lo, s36
.LBB46_935:
	s_delay_alu instid0(SALU_CYCLE_1)
	s_or_b32 exec_lo, exec_lo, s34
	s_mov_b32 s34, 0
	global_store_b8 v[0:1], v5, off
.LBB46_936:
	s_and_b32 vcc_lo, exec_lo, s34
	s_cbranch_vccz .LBB46_946
; %bb.937:
	s_wait_xcnt 0x0
	v_bfe_i32 v3, v2, 0, 8
	s_mov_b32 s34, exec_lo
                                        ; implicit-def: $vgpr4
	s_delay_alu instid0(VALU_DEP_1) | instskip(NEXT) | instid1(VALU_DEP_1)
	v_bfe_i32 v3, v3, 0, 16
	v_cvt_f32_i32_e32 v3, v3
	s_delay_alu instid0(VALU_DEP_1) | instskip(NEXT) | instid1(VALU_DEP_1)
	v_and_b32_e32 v5, 0x7fffffff, v3
	v_cmpx_gt_u32_e32 0x43f00000, v5
	s_xor_b32 s34, exec_lo, s34
	s_cbranch_execz .LBB46_943
; %bb.938:
	s_mov_b32 s35, exec_lo
                                        ; implicit-def: $vgpr4
	v_cmpx_lt_u32_e32 0x3c7fffff, v5
	s_xor_b32 s35, exec_lo, s35
; %bb.939:
	v_bfe_u32 v4, v3, 20, 1
	s_delay_alu instid0(VALU_DEP_1) | instskip(NEXT) | instid1(VALU_DEP_1)
	v_add3_u32 v4, v3, v4, 0x407ffff
	v_and_b32_e32 v5, 0xff00000, v4
	v_lshrrev_b32_e32 v4, 20, v4
	s_delay_alu instid0(VALU_DEP_2) | instskip(NEXT) | instid1(VALU_DEP_2)
	v_cmp_ne_u32_e32 vcc_lo, 0x7f00000, v5
	v_cndmask_b32_e32 v4, 0x7e, v4, vcc_lo
; %bb.940:
	s_and_not1_saveexec_b32 s35, s35
; %bb.941:
	v_add_f32_e64 v4, 0x46800000, |v3|
; %bb.942:
	s_or_b32 exec_lo, exec_lo, s35
                                        ; implicit-def: $vgpr5
.LBB46_943:
	s_and_not1_saveexec_b32 s34, s34
; %bb.944:
	v_mov_b32_e32 v4, 0x7f
	v_cmp_lt_u32_e32 vcc_lo, 0x7f800000, v5
	s_delay_alu instid0(VALU_DEP_2)
	v_cndmask_b32_e32 v4, 0x7e, v4, vcc_lo
; %bb.945:
	s_or_b32 exec_lo, exec_lo, s34
	v_lshrrev_b32_e32 v3, 24, v3
	s_delay_alu instid0(VALU_DEP_1)
	v_and_or_b32 v3, 0x80, v3, v4
	global_store_b8 v[0:1], v3, off
.LBB46_946:
	s_mov_b32 s34, 0
.LBB46_947:
	s_delay_alu instid0(SALU_CYCLE_1)
	s_and_not1_b32 vcc_lo, exec_lo, s34
	s_cbranch_vccnz .LBB46_957
; %bb.948:
	s_wait_xcnt 0x0
	v_bfe_i32 v3, v2, 0, 8
	s_mov_b32 s34, exec_lo
                                        ; implicit-def: $vgpr4
	s_delay_alu instid0(VALU_DEP_1) | instskip(NEXT) | instid1(VALU_DEP_1)
	v_bfe_i32 v3, v3, 0, 16
	v_cvt_f32_i32_e32 v3, v3
	s_delay_alu instid0(VALU_DEP_1) | instskip(NEXT) | instid1(VALU_DEP_1)
	v_and_b32_e32 v5, 0x7fffffff, v3
	v_cmpx_gt_u32_e32 0x47800000, v5
	s_xor_b32 s34, exec_lo, s34
	s_cbranch_execz .LBB46_954
; %bb.949:
	s_mov_b32 s35, exec_lo
                                        ; implicit-def: $vgpr4
	v_cmpx_lt_u32_e32 0x387fffff, v5
	s_xor_b32 s35, exec_lo, s35
; %bb.950:
	v_bfe_u32 v4, v3, 21, 1
	s_delay_alu instid0(VALU_DEP_1) | instskip(NEXT) | instid1(VALU_DEP_1)
	v_add3_u32 v4, v3, v4, 0x80fffff
	v_lshrrev_b32_e32 v4, 21, v4
; %bb.951:
	s_and_not1_saveexec_b32 s35, s35
; %bb.952:
	v_add_f32_e64 v4, 0x43000000, |v3|
; %bb.953:
	s_or_b32 exec_lo, exec_lo, s35
                                        ; implicit-def: $vgpr5
.LBB46_954:
	s_and_not1_saveexec_b32 s34, s34
; %bb.955:
	v_mov_b32_e32 v4, 0x7f
	v_cmp_lt_u32_e32 vcc_lo, 0x7f800000, v5
	s_delay_alu instid0(VALU_DEP_2)
	v_cndmask_b32_e32 v4, 0x7c, v4, vcc_lo
; %bb.956:
	s_or_b32 exec_lo, exec_lo, s34
	v_lshrrev_b32_e32 v3, 24, v3
	s_delay_alu instid0(VALU_DEP_1)
	v_and_or_b32 v3, 0x80, v3, v4
	global_store_b8 v[0:1], v3, off
.LBB46_957:
	s_mov_b32 s35, 0
	s_mov_b32 s34, -1
.LBB46_958:
	s_and_not1_b32 vcc_lo, exec_lo, s35
	s_cbranch_vccnz .LBB46_966
; %bb.959:
	s_cmp_gt_i32 s33, 14
	s_mov_b32 s35, -1
	s_cbranch_scc0 .LBB46_963
; %bb.960:
	s_cmp_eq_u32 s33, 15
	s_mov_b32 s0, -1
	s_cbranch_scc0 .LBB46_962
; %bb.961:
	s_wait_xcnt 0x0
	v_bfe_i32 v3, v2, 0, 8
	s_mov_b32 s34, -1
	s_mov_b32 s0, 0
	s_delay_alu instid0(VALU_DEP_1) | instskip(NEXT) | instid1(VALU_DEP_1)
	v_bfe_i32 v3, v3, 0, 16
	v_cvt_f32_i32_e32 v3, v3
	s_delay_alu instid0(VALU_DEP_1) | instskip(NEXT) | instid1(VALU_DEP_1)
	v_bfe_u32 v4, v3, 16, 1
	v_add3_u32 v3, v3, v4, 0x7fff
	global_store_d16_hi_b16 v[0:1], v3, off
.LBB46_962:
	s_mov_b32 s35, 0
.LBB46_963:
	s_delay_alu instid0(SALU_CYCLE_1)
	s_and_b32 vcc_lo, exec_lo, s35
	s_cbranch_vccz .LBB46_966
; %bb.964:
	s_cmp_eq_u32 s33, 11
	s_mov_b32 s0, -1
	s_cbranch_scc0 .LBB46_966
; %bb.965:
	s_wait_xcnt 0x0
	v_and_b32_e32 v3, 0xff, v2
	s_mov_b32 s0, 0
	s_mov_b32 s34, -1
	s_delay_alu instid0(VALU_DEP_1)
	v_cmp_ne_u16_e32 vcc_lo, 0, v3
	v_cndmask_b32_e64 v3, 0, 1, vcc_lo
	global_store_b8 v[0:1], v3, off
.LBB46_966:
	s_mov_b32 s33, 0
.LBB46_967:
	s_delay_alu instid0(SALU_CYCLE_1)
	s_and_b32 vcc_lo, exec_lo, s33
	s_cbranch_vccz .LBB46_1006
; %bb.968:
	s_and_b32 s29, 0xffff, s29
	s_mov_b32 s33, -1
	s_cmp_lt_i32 s29, 5
	s_cbranch_scc1 .LBB46_989
; %bb.969:
	s_cmp_lt_i32 s29, 8
	s_cbranch_scc1 .LBB46_979
; %bb.970:
	;; [unrolled: 3-line block ×3, first 2 shown]
	s_cmp_gt_i32 s29, 9
	s_cbranch_scc0 .LBB46_973
; %bb.972:
	s_wait_xcnt 0x0
	v_bfe_i32 v3, v2, 0, 8
	v_mov_b32_e32 v6, 0
	s_mov_b32 s33, 0
	s_delay_alu instid0(VALU_DEP_2) | instskip(NEXT) | instid1(VALU_DEP_2)
	v_bfe_i32 v3, v3, 0, 16
	v_mov_b32_e32 v7, v6
	s_delay_alu instid0(VALU_DEP_2)
	v_cvt_f64_i32_e32 v[4:5], v3
	global_store_b128 v[0:1], v[4:7], off
.LBB46_973:
	s_and_not1_b32 vcc_lo, exec_lo, s33
	s_cbranch_vccnz .LBB46_975
; %bb.974:
	s_wait_xcnt 0x0
	v_bfe_i32 v3, v2, 0, 8
	v_mov_b32_e32 v5, 0
	s_delay_alu instid0(VALU_DEP_2) | instskip(NEXT) | instid1(VALU_DEP_1)
	v_bfe_i32 v3, v3, 0, 16
	v_cvt_f32_i32_e32 v4, v3
	global_store_b64 v[0:1], v[4:5], off
.LBB46_975:
	s_mov_b32 s33, 0
.LBB46_976:
	s_delay_alu instid0(SALU_CYCLE_1)
	s_and_not1_b32 vcc_lo, exec_lo, s33
	s_cbranch_vccnz .LBB46_978
; %bb.977:
	s_wait_xcnt 0x0
	v_bfe_i32 v3, v2, 0, 8
	s_delay_alu instid0(VALU_DEP_1) | instskip(NEXT) | instid1(VALU_DEP_1)
	v_cvt_f16_i16_e32 v3, v3
	v_and_b32_e32 v3, 0xffff, v3
	global_store_b32 v[0:1], v3, off
.LBB46_978:
	s_mov_b32 s33, 0
.LBB46_979:
	s_delay_alu instid0(SALU_CYCLE_1)
	s_and_not1_b32 vcc_lo, exec_lo, s33
	s_cbranch_vccnz .LBB46_988
; %bb.980:
	s_cmp_lt_i32 s29, 6
	s_mov_b32 s33, -1
	s_cbranch_scc1 .LBB46_986
; %bb.981:
	s_cmp_gt_i32 s29, 6
	s_cbranch_scc0 .LBB46_983
; %bb.982:
	s_wait_xcnt 0x0
	v_bfe_i32 v3, v2, 0, 8
	s_mov_b32 s33, 0
	s_delay_alu instid0(VALU_DEP_1) | instskip(NEXT) | instid1(VALU_DEP_1)
	v_bfe_i32 v3, v3, 0, 16
	v_cvt_f64_i32_e32 v[4:5], v3
	global_store_b64 v[0:1], v[4:5], off
.LBB46_983:
	s_and_not1_b32 vcc_lo, exec_lo, s33
	s_cbranch_vccnz .LBB46_985
; %bb.984:
	s_wait_xcnt 0x0
	v_bfe_i32 v3, v2, 0, 8
	s_delay_alu instid0(VALU_DEP_1) | instskip(NEXT) | instid1(VALU_DEP_1)
	v_bfe_i32 v3, v3, 0, 16
	v_cvt_f32_i32_e32 v3, v3
	global_store_b32 v[0:1], v3, off
.LBB46_985:
	s_mov_b32 s33, 0
.LBB46_986:
	s_delay_alu instid0(SALU_CYCLE_1)
	s_and_not1_b32 vcc_lo, exec_lo, s33
	s_cbranch_vccnz .LBB46_988
; %bb.987:
	s_wait_xcnt 0x0
	v_bfe_i32 v3, v2, 0, 8
	s_delay_alu instid0(VALU_DEP_1)
	v_cvt_f16_i16_e32 v3, v3
	global_store_b16 v[0:1], v3, off
.LBB46_988:
	s_mov_b32 s33, 0
.LBB46_989:
	s_delay_alu instid0(SALU_CYCLE_1)
	s_and_not1_b32 vcc_lo, exec_lo, s33
	s_cbranch_vccnz .LBB46_1005
; %bb.990:
	s_cmp_lt_i32 s29, 2
	s_mov_b32 s33, -1
	s_cbranch_scc1 .LBB46_1000
; %bb.991:
	s_cmp_lt_i32 s29, 3
	s_cbranch_scc1 .LBB46_997
; %bb.992:
	s_cmp_gt_i32 s29, 3
	s_cbranch_scc0 .LBB46_994
; %bb.993:
	s_wait_xcnt 0x0
	v_bfe_i32 v4, v2, 0, 8
	s_mov_b32 s33, 0
	s_delay_alu instid0(VALU_DEP_1)
	v_ashrrev_i32_e32 v5, 31, v4
	global_store_b64 v[0:1], v[4:5], off
.LBB46_994:
	s_and_not1_b32 vcc_lo, exec_lo, s33
	s_cbranch_vccnz .LBB46_996
; %bb.995:
	s_wait_xcnt 0x0
	v_bfe_i32 v3, v2, 0, 8
	global_store_b32 v[0:1], v3, off
.LBB46_996:
	s_mov_b32 s33, 0
.LBB46_997:
	s_delay_alu instid0(SALU_CYCLE_1)
	s_and_not1_b32 vcc_lo, exec_lo, s33
	s_cbranch_vccnz .LBB46_999
; %bb.998:
	s_wait_xcnt 0x0
	v_bfe_i32 v3, v2, 0, 8
	global_store_b16 v[0:1], v3, off
.LBB46_999:
	s_mov_b32 s33, 0
.LBB46_1000:
	s_delay_alu instid0(SALU_CYCLE_1)
	s_and_not1_b32 vcc_lo, exec_lo, s33
	s_cbranch_vccnz .LBB46_1005
; %bb.1001:
	s_cmp_gt_i32 s29, 0
	s_mov_b32 s29, -1
	s_cbranch_scc0 .LBB46_1003
; %bb.1002:
	s_mov_b32 s29, 0
	global_store_b8 v[0:1], v2, off
.LBB46_1003:
	s_and_not1_b32 vcc_lo, exec_lo, s29
	s_cbranch_vccnz .LBB46_1005
; %bb.1004:
	global_store_b8 v[0:1], v2, off
.LBB46_1005:
	s_mov_b32 s34, -1
.LBB46_1006:
	s_delay_alu instid0(SALU_CYCLE_1)
	s_and_not1_b32 vcc_lo, exec_lo, s34
	s_cbranch_vccnz .LBB46_1008
; %bb.1007:
	v_add_nc_u32_e32 v26, 0x80, v26
	s_mov_b32 s33, -1
	s_branch .LBB46_1010
.LBB46_1008:
	s_mov_b32 s33, 0
.LBB46_1009:
                                        ; implicit-def: $vgpr26
.LBB46_1010:
	s_and_not1_b32 s29, s21, exec_lo
	s_and_b32 s0, s0, exec_lo
	s_and_not1_b32 s34, s23, exec_lo
	s_and_b32 s35, s28, exec_lo
	s_or_b32 s28, s29, s0
	s_or_b32 s29, s34, s35
	s_and_not1_b32 s0, s24, exec_lo
	s_and_b32 s30, s30, exec_lo
	s_and_not1_b32 s34, s25, exec_lo
	s_and_b32 s27, s27, exec_lo
	s_or_b32 s30, s0, s30
	s_or_b32 s27, s34, s27
	s_or_not1_b32 s34, s33, exec_lo
.LBB46_1011:
	s_wait_xcnt 0x0
	s_or_b32 exec_lo, exec_lo, s31
	s_mov_b32 s33, 0
	s_mov_b32 s35, 0
	;; [unrolled: 1-line block ×3, first 2 shown]
                                        ; implicit-def: $sgpr0
                                        ; implicit-def: $vgpr2_vgpr3
                                        ; implicit-def: $vgpr0
	s_and_saveexec_b32 s31, s34
	s_cbranch_execz .LBB46_1598
; %bb.1012:
	s_mov_b32 s41, -1
	s_mov_b32 s34, s27
	s_mov_b32 s35, s30
	;; [unrolled: 1-line block ×4, first 2 shown]
	s_mov_b32 s33, exec_lo
	v_cmpx_gt_i32_e64 s22, v26
	s_cbranch_execz .LBB46_1520
; %bb.1013:
	s_wait_loadcnt 0x0
	v_mul_lo_u32 v0, v26, s13
	s_and_b32 s0, s16, 0xff
	s_delay_alu instid0(SALU_CYCLE_1) | instskip(NEXT) | instid1(VALU_DEP_1)
	s_cmp_lt_i32 s0, 11
	v_ashrrev_i32_e32 v1, 31, v0
	s_delay_alu instid0(VALU_DEP_1)
	v_add_nc_u64_e32 v[2:3], s[6:7], v[0:1]
	s_cbranch_scc1 .LBB46_1020
; %bb.1014:
	s_and_b32 s35, 0xffff, s0
	s_delay_alu instid0(SALU_CYCLE_1)
	s_cmp_gt_i32 s35, 25
	s_cbranch_scc0 .LBB46_1021
; %bb.1015:
	s_cmp_gt_i32 s35, 28
	s_cbranch_scc0 .LBB46_1022
; %bb.1016:
	s_cmp_gt_i32 s35, 43
	s_cbranch_scc0 .LBB46_1023
; %bb.1017:
	s_cmp_gt_i32 s35, 45
	s_cbranch_scc0 .LBB46_1024
; %bb.1018:
	s_cmp_eq_u32 s35, 46
	s_mov_b32 s37, 0
	s_cbranch_scc0 .LBB46_1025
; %bb.1019:
	global_load_b32 v0, v[2:3], off
	s_mov_b32 s36, -1
	s_mov_b32 s34, 0
	s_wait_loadcnt 0x0
	v_lshlrev_b32_e32 v0, 16, v0
	s_delay_alu instid0(VALU_DEP_1)
	v_cvt_i32_f32_e32 v0, v0
	s_branch .LBB46_1027
.LBB46_1020:
	s_mov_b32 s35, -1
	s_mov_b32 s36, 0
	s_mov_b32 s34, s27
                                        ; implicit-def: $vgpr0
	s_branch .LBB46_1088
.LBB46_1021:
	s_mov_b32 s37, -1
	s_mov_b32 s36, 0
	s_mov_b32 s34, s27
                                        ; implicit-def: $vgpr0
	s_branch .LBB46_1054
.LBB46_1022:
	s_mov_b32 s37, -1
	s_mov_b32 s36, 0
	s_mov_b32 s34, s27
                                        ; implicit-def: $vgpr0
	s_branch .LBB46_1037
.LBB46_1023:
	s_mov_b32 s37, -1
	s_mov_b32 s36, 0
	s_mov_b32 s34, s27
                                        ; implicit-def: $vgpr0
	s_branch .LBB46_1032
.LBB46_1024:
	s_mov_b32 s37, -1
	s_mov_b32 s36, 0
	s_mov_b32 s34, s27
	s_branch .LBB46_1026
.LBB46_1025:
	s_mov_b32 s34, -1
	s_mov_b32 s36, 0
.LBB46_1026:
                                        ; implicit-def: $vgpr0
.LBB46_1027:
	s_and_b32 vcc_lo, exec_lo, s37
	s_cbranch_vccz .LBB46_1031
; %bb.1028:
	s_cmp_eq_u32 s35, 44
	s_cbranch_scc0 .LBB46_1030
; %bb.1029:
	global_load_u8 v0, v[2:3], off
	s_mov_b32 s34, 0
	s_mov_b32 s36, -1
	s_wait_loadcnt 0x0
	v_lshlrev_b32_e32 v1, 23, v0
	v_cmp_ne_u32_e32 vcc_lo, 0, v0
	s_delay_alu instid0(VALU_DEP_2) | instskip(NEXT) | instid1(VALU_DEP_1)
	v_cvt_i32_f32_e32 v1, v1
	v_cndmask_b32_e32 v0, 0, v1, vcc_lo
	s_branch .LBB46_1031
.LBB46_1030:
	s_mov_b32 s34, -1
                                        ; implicit-def: $vgpr0
.LBB46_1031:
	s_mov_b32 s37, 0
.LBB46_1032:
	s_delay_alu instid0(SALU_CYCLE_1)
	s_and_b32 vcc_lo, exec_lo, s37
	s_cbranch_vccz .LBB46_1036
; %bb.1033:
	s_cmp_eq_u32 s35, 29
	s_cbranch_scc0 .LBB46_1035
; %bb.1034:
	global_load_b64 v[0:1], v[2:3], off
	s_mov_b32 s36, -1
	s_mov_b32 s34, 0
	s_branch .LBB46_1036
.LBB46_1035:
	s_mov_b32 s34, -1
                                        ; implicit-def: $vgpr0
.LBB46_1036:
	s_mov_b32 s37, 0
.LBB46_1037:
	s_delay_alu instid0(SALU_CYCLE_1)
	s_and_b32 vcc_lo, exec_lo, s37
	s_cbranch_vccz .LBB46_1053
; %bb.1038:
	s_cmp_lt_i32 s35, 27
	s_cbranch_scc1 .LBB46_1041
; %bb.1039:
	s_cmp_gt_i32 s35, 27
	s_cbranch_scc0 .LBB46_1042
; %bb.1040:
	s_wait_loadcnt 0x0
	global_load_b32 v0, v[2:3], off
	s_mov_b32 s36, 0
	s_branch .LBB46_1043
.LBB46_1041:
	s_mov_b32 s36, -1
                                        ; implicit-def: $vgpr0
	s_branch .LBB46_1046
.LBB46_1042:
	s_mov_b32 s36, -1
                                        ; implicit-def: $vgpr0
.LBB46_1043:
	s_delay_alu instid0(SALU_CYCLE_1)
	s_and_not1_b32 vcc_lo, exec_lo, s36
	s_cbranch_vccnz .LBB46_1045
; %bb.1044:
	s_wait_loadcnt 0x0
	global_load_u16 v0, v[2:3], off
.LBB46_1045:
	s_mov_b32 s36, 0
.LBB46_1046:
	s_delay_alu instid0(SALU_CYCLE_1)
	s_and_not1_b32 vcc_lo, exec_lo, s36
	s_cbranch_vccnz .LBB46_1052
; %bb.1047:
	s_wait_loadcnt 0x0
	global_load_u8 v1, v[2:3], off
	s_mov_b32 s37, 0
	s_mov_b32 s36, exec_lo
	s_wait_loadcnt 0x0
	v_cmpx_lt_i16_e32 0x7f, v1
	s_xor_b32 s36, exec_lo, s36
	s_cbranch_execz .LBB46_1064
; %bb.1048:
	v_cmp_ne_u16_e32 vcc_lo, 0x80, v1
	s_and_b32 s37, vcc_lo, exec_lo
	s_and_not1_saveexec_b32 s36, s36
	s_cbranch_execnz .LBB46_1065
.LBB46_1049:
	s_or_b32 exec_lo, exec_lo, s36
	v_mov_b32_e32 v0, 0
	s_and_saveexec_b32 s36, s37
	s_cbranch_execz .LBB46_1051
.LBB46_1050:
	v_and_b32_e32 v0, 0xffff, v1
	s_delay_alu instid0(VALU_DEP_1) | instskip(SKIP_1) | instid1(VALU_DEP_2)
	v_and_b32_e32 v4, 7, v0
	v_bfe_u32 v7, v0, 3, 4
	v_clz_i32_u32_e32 v5, v4
	s_delay_alu instid0(VALU_DEP_2) | instskip(NEXT) | instid1(VALU_DEP_2)
	v_cmp_eq_u32_e32 vcc_lo, 0, v7
	v_min_u32_e32 v5, 32, v5
	s_delay_alu instid0(VALU_DEP_1) | instskip(NEXT) | instid1(VALU_DEP_1)
	v_subrev_nc_u32_e32 v6, 28, v5
	v_dual_lshlrev_b32 v0, v6, v0 :: v_dual_sub_nc_u32 v5, 29, v5
	s_delay_alu instid0(VALU_DEP_1) | instskip(NEXT) | instid1(VALU_DEP_1)
	v_dual_lshlrev_b32 v1, 24, v1 :: v_dual_bitop2_b32 v0, 7, v0 bitop3:0x40
	v_dual_cndmask_b32 v0, v4, v0 :: v_dual_cndmask_b32 v5, v7, v5
	s_delay_alu instid0(VALU_DEP_2) | instskip(NEXT) | instid1(VALU_DEP_2)
	v_and_b32_e32 v1, 0x80000000, v1
	v_lshlrev_b32_e32 v0, 20, v0
	s_delay_alu instid0(VALU_DEP_3) | instskip(NEXT) | instid1(VALU_DEP_1)
	v_lshl_add_u32 v4, v5, 23, 0x3b800000
	v_or3_b32 v0, v1, v4, v0
	s_delay_alu instid0(VALU_DEP_1)
	v_cvt_i32_f32_e32 v0, v0
.LBB46_1051:
	s_or_b32 exec_lo, exec_lo, s36
.LBB46_1052:
	s_mov_b32 s36, -1
.LBB46_1053:
	s_mov_b32 s37, 0
.LBB46_1054:
	s_delay_alu instid0(SALU_CYCLE_1)
	s_and_b32 vcc_lo, exec_lo, s37
	s_cbranch_vccz .LBB46_1087
; %bb.1055:
	s_cmp_gt_i32 s35, 22
	s_cbranch_scc0 .LBB46_1063
; %bb.1056:
	s_cmp_lt_i32 s35, 24
	s_cbranch_scc1 .LBB46_1066
; %bb.1057:
	s_cmp_gt_i32 s35, 24
	s_cbranch_scc0 .LBB46_1067
; %bb.1058:
	s_wait_loadcnt 0x0
	global_load_u8 v1, v[2:3], off
	s_mov_b32 s37, 0
	s_mov_b32 s36, exec_lo
	s_wait_loadcnt 0x0
	v_cmpx_lt_i16_e32 0x7f, v1
	s_xor_b32 s36, exec_lo, s36
	s_cbranch_execz .LBB46_1079
; %bb.1059:
	v_cmp_ne_u16_e32 vcc_lo, 0x80, v1
	s_and_b32 s37, vcc_lo, exec_lo
	s_and_not1_saveexec_b32 s36, s36
	s_cbranch_execnz .LBB46_1080
.LBB46_1060:
	s_or_b32 exec_lo, exec_lo, s36
	v_mov_b32_e32 v0, 0
	s_and_saveexec_b32 s36, s37
	s_cbranch_execz .LBB46_1062
.LBB46_1061:
	v_and_b32_e32 v0, 0xffff, v1
	s_delay_alu instid0(VALU_DEP_1) | instskip(SKIP_1) | instid1(VALU_DEP_2)
	v_and_b32_e32 v4, 3, v0
	v_bfe_u32 v7, v0, 2, 5
	v_clz_i32_u32_e32 v5, v4
	s_delay_alu instid0(VALU_DEP_2) | instskip(NEXT) | instid1(VALU_DEP_2)
	v_cmp_eq_u32_e32 vcc_lo, 0, v7
	v_min_u32_e32 v5, 32, v5
	s_delay_alu instid0(VALU_DEP_1) | instskip(NEXT) | instid1(VALU_DEP_1)
	v_subrev_nc_u32_e32 v6, 29, v5
	v_dual_lshlrev_b32 v0, v6, v0 :: v_dual_sub_nc_u32 v5, 30, v5
	s_delay_alu instid0(VALU_DEP_1) | instskip(NEXT) | instid1(VALU_DEP_1)
	v_dual_lshlrev_b32 v1, 24, v1 :: v_dual_bitop2_b32 v0, 3, v0 bitop3:0x40
	v_dual_cndmask_b32 v0, v4, v0 :: v_dual_cndmask_b32 v5, v7, v5
	s_delay_alu instid0(VALU_DEP_2) | instskip(NEXT) | instid1(VALU_DEP_2)
	v_and_b32_e32 v1, 0x80000000, v1
	v_lshlrev_b32_e32 v0, 21, v0
	s_delay_alu instid0(VALU_DEP_3) | instskip(NEXT) | instid1(VALU_DEP_1)
	v_lshl_add_u32 v4, v5, 23, 0x37800000
	v_or3_b32 v0, v1, v4, v0
	s_delay_alu instid0(VALU_DEP_1)
	v_cvt_i32_f32_e32 v0, v0
.LBB46_1062:
	s_or_b32 exec_lo, exec_lo, s36
	s_mov_b32 s36, 0
	s_branch .LBB46_1068
.LBB46_1063:
	s_mov_b32 s37, -1
                                        ; implicit-def: $vgpr0
	s_branch .LBB46_1074
.LBB46_1064:
	s_and_not1_saveexec_b32 s36, s36
	s_cbranch_execz .LBB46_1049
.LBB46_1065:
	v_cmp_ne_u16_e32 vcc_lo, 0, v1
	s_and_not1_b32 s37, s37, exec_lo
	s_and_b32 s38, vcc_lo, exec_lo
	s_delay_alu instid0(SALU_CYCLE_1)
	s_or_b32 s37, s37, s38
	s_or_b32 exec_lo, exec_lo, s36
	v_mov_b32_e32 v0, 0
	s_and_saveexec_b32 s36, s37
	s_cbranch_execnz .LBB46_1050
	s_branch .LBB46_1051
.LBB46_1066:
	s_mov_b32 s36, -1
                                        ; implicit-def: $vgpr0
	s_branch .LBB46_1071
.LBB46_1067:
	s_mov_b32 s36, -1
                                        ; implicit-def: $vgpr0
.LBB46_1068:
	s_delay_alu instid0(SALU_CYCLE_1)
	s_and_b32 vcc_lo, exec_lo, s36
	s_cbranch_vccz .LBB46_1070
; %bb.1069:
	s_wait_loadcnt 0x0
	global_load_u8 v0, v[2:3], off
	s_wait_loadcnt 0x0
	v_lshlrev_b32_e32 v0, 24, v0
	s_delay_alu instid0(VALU_DEP_1) | instskip(NEXT) | instid1(VALU_DEP_1)
	v_and_b32_e32 v1, 0x7f000000, v0
	v_clz_i32_u32_e32 v4, v1
	v_cmp_ne_u32_e32 vcc_lo, 0, v1
	v_add_nc_u32_e32 v6, 0x1000000, v1
	s_delay_alu instid0(VALU_DEP_3) | instskip(NEXT) | instid1(VALU_DEP_1)
	v_min_u32_e32 v4, 32, v4
	v_sub_nc_u32_e64 v4, v4, 4 clamp
	s_delay_alu instid0(VALU_DEP_1) | instskip(NEXT) | instid1(VALU_DEP_1)
	v_dual_lshlrev_b32 v5, v4, v1 :: v_dual_lshlrev_b32 v4, 23, v4
	v_lshrrev_b32_e32 v5, 4, v5
	s_delay_alu instid0(VALU_DEP_1) | instskip(NEXT) | instid1(VALU_DEP_1)
	v_dual_sub_nc_u32 v4, v5, v4 :: v_dual_ashrrev_i32 v5, 8, v6
	v_add_nc_u32_e32 v4, 0x3c000000, v4
	s_delay_alu instid0(VALU_DEP_1) | instskip(NEXT) | instid1(VALU_DEP_1)
	v_and_or_b32 v4, 0x7f800000, v5, v4
	v_cndmask_b32_e32 v1, 0, v4, vcc_lo
	s_delay_alu instid0(VALU_DEP_1) | instskip(NEXT) | instid1(VALU_DEP_1)
	v_and_or_b32 v0, 0x80000000, v0, v1
	v_cvt_i32_f32_e32 v0, v0
.LBB46_1070:
	s_mov_b32 s36, 0
.LBB46_1071:
	s_delay_alu instid0(SALU_CYCLE_1)
	s_and_not1_b32 vcc_lo, exec_lo, s36
	s_cbranch_vccnz .LBB46_1073
; %bb.1072:
	s_wait_loadcnt 0x0
	global_load_u8 v0, v[2:3], off
	s_wait_loadcnt 0x0
	v_lshlrev_b32_e32 v1, 25, v0
	v_lshlrev_b16 v0, 8, v0
	s_delay_alu instid0(VALU_DEP_1) | instskip(SKIP_1) | instid1(VALU_DEP_2)
	v_and_or_b32 v5, 0x7f00, v0, 0.5
	v_bfe_i32 v0, v0, 0, 16
	v_add_f32_e32 v5, -0.5, v5
	v_lshrrev_b32_e32 v4, 4, v1
	v_cmp_gt_u32_e32 vcc_lo, 0x8000000, v1
	s_delay_alu instid0(VALU_DEP_2) | instskip(NEXT) | instid1(VALU_DEP_1)
	v_or_b32_e32 v4, 0x70000000, v4
	v_mul_f32_e32 v4, 0x7800000, v4
	s_delay_alu instid0(VALU_DEP_1) | instskip(NEXT) | instid1(VALU_DEP_1)
	v_cndmask_b32_e32 v1, v4, v5, vcc_lo
	v_and_or_b32 v0, 0x80000000, v0, v1
	s_delay_alu instid0(VALU_DEP_1)
	v_cvt_i32_f32_e32 v0, v0
.LBB46_1073:
	s_mov_b32 s37, 0
	s_mov_b32 s36, -1
.LBB46_1074:
	s_and_not1_b32 vcc_lo, exec_lo, s37
	s_cbranch_vccnz .LBB46_1087
; %bb.1075:
	s_cmp_gt_i32 s35, 14
	s_cbranch_scc0 .LBB46_1078
; %bb.1076:
	s_cmp_eq_u32 s35, 15
	s_cbranch_scc0 .LBB46_1081
; %bb.1077:
	s_wait_loadcnt 0x0
	global_load_u16 v0, v[2:3], off
	s_mov_b32 s36, -1
	s_mov_b32 s34, 0
	s_wait_loadcnt 0x0
	v_lshlrev_b32_e32 v0, 16, v0
	s_delay_alu instid0(VALU_DEP_1)
	v_cvt_i32_f32_e32 v0, v0
	s_branch .LBB46_1082
.LBB46_1078:
	s_mov_b32 s37, -1
                                        ; implicit-def: $vgpr0
	s_branch .LBB46_1083
.LBB46_1079:
	s_and_not1_saveexec_b32 s36, s36
	s_cbranch_execz .LBB46_1060
.LBB46_1080:
	v_cmp_ne_u16_e32 vcc_lo, 0, v1
	s_and_not1_b32 s37, s37, exec_lo
	s_and_b32 s38, vcc_lo, exec_lo
	s_delay_alu instid0(SALU_CYCLE_1)
	s_or_b32 s37, s37, s38
	s_or_b32 exec_lo, exec_lo, s36
	v_mov_b32_e32 v0, 0
	s_and_saveexec_b32 s36, s37
	s_cbranch_execnz .LBB46_1061
	s_branch .LBB46_1062
.LBB46_1081:
	s_mov_b32 s34, -1
                                        ; implicit-def: $vgpr0
.LBB46_1082:
	s_mov_b32 s37, 0
.LBB46_1083:
	s_delay_alu instid0(SALU_CYCLE_1)
	s_and_b32 vcc_lo, exec_lo, s37
	s_cbranch_vccz .LBB46_1087
; %bb.1084:
	s_cmp_eq_u32 s35, 11
	s_cbranch_scc0 .LBB46_1086
; %bb.1085:
	s_wait_loadcnt 0x0
	global_load_u8 v0, v[2:3], off
	s_mov_b32 s34, 0
	s_mov_b32 s36, -1
	s_wait_loadcnt 0x0
	v_cmp_ne_u16_e32 vcc_lo, 0, v0
	v_cndmask_b32_e64 v0, 0, 1, vcc_lo
	s_branch .LBB46_1087
.LBB46_1086:
	s_mov_b32 s34, -1
                                        ; implicit-def: $vgpr0
.LBB46_1087:
	s_mov_b32 s35, 0
.LBB46_1088:
	s_delay_alu instid0(SALU_CYCLE_1)
	s_and_b32 vcc_lo, exec_lo, s35
	s_cbranch_vccz .LBB46_1137
; %bb.1089:
	s_and_b32 s0, 0xffff, s0
	s_delay_alu instid0(SALU_CYCLE_1)
	s_cmp_lt_i32 s0, 5
	s_cbranch_scc1 .LBB46_1094
; %bb.1090:
	s_cmp_lt_i32 s0, 8
	s_cbranch_scc1 .LBB46_1095
; %bb.1091:
	;; [unrolled: 3-line block ×3, first 2 shown]
	s_cmp_gt_i32 s0, 9
	s_cbranch_scc0 .LBB46_1097
; %bb.1093:
	s_wait_loadcnt 0x0
	global_load_b64 v[0:1], v[2:3], off
	s_mov_b32 s35, 0
	s_wait_loadcnt 0x0
	v_cvt_i32_f64_e32 v0, v[0:1]
	s_branch .LBB46_1098
.LBB46_1094:
	s_mov_b32 s35, -1
                                        ; implicit-def: $vgpr0
	s_branch .LBB46_1116
.LBB46_1095:
	s_mov_b32 s35, -1
                                        ; implicit-def: $vgpr0
	s_branch .LBB46_1104
.LBB46_1096:
	s_mov_b32 s35, -1
                                        ; implicit-def: $vgpr0
	s_branch .LBB46_1101
.LBB46_1097:
	s_mov_b32 s35, -1
                                        ; implicit-def: $vgpr0
.LBB46_1098:
	s_delay_alu instid0(SALU_CYCLE_1)
	s_and_not1_b32 vcc_lo, exec_lo, s35
	s_cbranch_vccnz .LBB46_1100
; %bb.1099:
	s_wait_loadcnt 0x0
	global_load_b32 v0, v[2:3], off
	s_wait_loadcnt 0x0
	v_cvt_i32_f32_e32 v0, v0
.LBB46_1100:
	s_mov_b32 s35, 0
.LBB46_1101:
	s_delay_alu instid0(SALU_CYCLE_1)
	s_and_not1_b32 vcc_lo, exec_lo, s35
	s_cbranch_vccnz .LBB46_1103
; %bb.1102:
	s_wait_loadcnt 0x0
	global_load_b32 v0, v[2:3], off
	s_wait_loadcnt 0x0
	v_cvt_i16_f16_e32 v0, v0
.LBB46_1103:
	s_mov_b32 s35, 0
.LBB46_1104:
	s_delay_alu instid0(SALU_CYCLE_1)
	s_and_not1_b32 vcc_lo, exec_lo, s35
	s_cbranch_vccnz .LBB46_1115
; %bb.1105:
	s_cmp_lt_i32 s0, 6
	s_cbranch_scc1 .LBB46_1108
; %bb.1106:
	s_cmp_gt_i32 s0, 6
	s_cbranch_scc0 .LBB46_1109
; %bb.1107:
	s_wait_loadcnt 0x0
	global_load_b64 v[0:1], v[2:3], off
	s_mov_b32 s35, 0
	s_wait_loadcnt 0x0
	v_cvt_i32_f64_e32 v0, v[0:1]
	s_branch .LBB46_1110
.LBB46_1108:
	s_mov_b32 s35, -1
                                        ; implicit-def: $vgpr0
	s_branch .LBB46_1113
.LBB46_1109:
	s_mov_b32 s35, -1
                                        ; implicit-def: $vgpr0
.LBB46_1110:
	s_delay_alu instid0(SALU_CYCLE_1)
	s_and_not1_b32 vcc_lo, exec_lo, s35
	s_cbranch_vccnz .LBB46_1112
; %bb.1111:
	s_wait_loadcnt 0x0
	global_load_b32 v0, v[2:3], off
	s_wait_loadcnt 0x0
	v_cvt_i32_f32_e32 v0, v0
.LBB46_1112:
	s_mov_b32 s35, 0
.LBB46_1113:
	s_delay_alu instid0(SALU_CYCLE_1)
	s_and_not1_b32 vcc_lo, exec_lo, s35
	s_cbranch_vccnz .LBB46_1115
; %bb.1114:
	s_wait_loadcnt 0x0
	global_load_u16 v0, v[2:3], off
	s_wait_loadcnt 0x0
	v_cvt_i16_f16_e32 v0, v0
.LBB46_1115:
	s_mov_b32 s35, 0
.LBB46_1116:
	s_delay_alu instid0(SALU_CYCLE_1)
	s_and_not1_b32 vcc_lo, exec_lo, s35
	s_cbranch_vccnz .LBB46_1136
; %bb.1117:
	s_cmp_lt_i32 s0, 2
	s_cbranch_scc1 .LBB46_1121
; %bb.1118:
	s_cmp_lt_i32 s0, 3
	s_cbranch_scc1 .LBB46_1122
; %bb.1119:
	s_cmp_gt_i32 s0, 3
	s_cbranch_scc0 .LBB46_1123
; %bb.1120:
	s_wait_loadcnt 0x0
	global_load_b64 v[0:1], v[2:3], off
	s_mov_b32 s35, 0
	s_branch .LBB46_1124
.LBB46_1121:
	s_mov_b32 s35, -1
                                        ; implicit-def: $vgpr0
	s_branch .LBB46_1130
.LBB46_1122:
	s_mov_b32 s35, -1
                                        ; implicit-def: $vgpr0
	s_branch .LBB46_1127
.LBB46_1123:
	s_mov_b32 s35, -1
                                        ; implicit-def: $vgpr0
.LBB46_1124:
	s_delay_alu instid0(SALU_CYCLE_1)
	s_and_not1_b32 vcc_lo, exec_lo, s35
	s_cbranch_vccnz .LBB46_1126
; %bb.1125:
	s_wait_loadcnt 0x0
	global_load_b32 v0, v[2:3], off
.LBB46_1126:
	s_mov_b32 s35, 0
.LBB46_1127:
	s_delay_alu instid0(SALU_CYCLE_1)
	s_and_not1_b32 vcc_lo, exec_lo, s35
	s_cbranch_vccnz .LBB46_1129
; %bb.1128:
	s_wait_loadcnt 0x0
	global_load_u16 v0, v[2:3], off
.LBB46_1129:
	s_mov_b32 s35, 0
.LBB46_1130:
	s_delay_alu instid0(SALU_CYCLE_1)
	s_and_not1_b32 vcc_lo, exec_lo, s35
	s_cbranch_vccnz .LBB46_1136
; %bb.1131:
	s_cmp_gt_i32 s0, 0
	s_mov_b32 s0, 0
	s_cbranch_scc0 .LBB46_1133
; %bb.1132:
	s_wait_loadcnt 0x0
	global_load_u8 v0, v[2:3], off
	s_branch .LBB46_1134
.LBB46_1133:
	s_mov_b32 s0, -1
                                        ; implicit-def: $vgpr0
.LBB46_1134:
	s_delay_alu instid0(SALU_CYCLE_1)
	s_and_not1_b32 vcc_lo, exec_lo, s0
	s_cbranch_vccnz .LBB46_1136
; %bb.1135:
	s_wait_loadcnt 0x0
	global_load_u8 v0, v[2:3], off
.LBB46_1136:
	s_mov_b32 s36, -1
.LBB46_1137:
	s_delay_alu instid0(SALU_CYCLE_1)
	s_and_not1_b32 vcc_lo, exec_lo, s36
	s_cbranch_vccnz .LBB46_1145
; %bb.1138:
	s_wait_xcnt 0x0
	v_mul_lo_u32 v2, v26, s14
	s_and_b32 s0, s3, 0xff
	s_delay_alu instid0(SALU_CYCLE_1) | instskip(NEXT) | instid1(VALU_DEP_1)
	s_cmp_lt_i32 s0, 11
	v_ashrrev_i32_e32 v3, 31, v2
	s_delay_alu instid0(VALU_DEP_1)
	v_add_nc_u64_e32 v[4:5], s[8:9], v[2:3]
	s_cbranch_scc1 .LBB46_1146
; %bb.1139:
	s_and_b32 s36, 0xffff, s0
	s_delay_alu instid0(SALU_CYCLE_1)
	s_cmp_gt_i32 s36, 25
	s_cbranch_scc0 .LBB46_1147
; %bb.1140:
	s_cmp_gt_i32 s36, 28
	s_cbranch_scc0 .LBB46_1148
; %bb.1141:
	;; [unrolled: 3-line block ×4, first 2 shown]
	s_cmp_eq_u32 s36, 46
	s_mov_b32 s38, 0
	s_cbranch_scc0 .LBB46_1153
; %bb.1144:
	s_wait_loadcnt 0x0
	global_load_b32 v1, v[4:5], off
	s_mov_b32 s37, -1
	s_mov_b32 s35, 0
	s_wait_loadcnt 0x0
	v_lshlrev_b32_e32 v1, 16, v1
	s_delay_alu instid0(VALU_DEP_1)
	v_cvt_i32_f32_e32 v2, v1
	s_branch .LBB46_1155
.LBB46_1145:
	s_mov_b32 s38, 0
	s_mov_b32 s0, s28
	;; [unrolled: 1-line block ×4, first 2 shown]
	s_branch .LBB46_1518
.LBB46_1146:
	s_mov_b32 s36, -1
	s_mov_b32 s37, 0
	s_mov_b32 s35, s30
                                        ; implicit-def: $vgpr2
	s_branch .LBB46_1216
.LBB46_1147:
	s_mov_b32 s38, -1
	s_mov_b32 s37, 0
	s_mov_b32 s35, s30
                                        ; implicit-def: $vgpr2
	s_branch .LBB46_1182
.LBB46_1148:
	s_mov_b32 s38, -1
	s_mov_b32 s37, 0
	s_mov_b32 s35, s30
                                        ; implicit-def: $vgpr2
	s_branch .LBB46_1165
.LBB46_1149:
	s_mov_b32 s38, -1
	s_mov_b32 s37, 0
	s_mov_b32 s35, s30
                                        ; implicit-def: $vgpr2
	s_branch .LBB46_1160
.LBB46_1150:
	s_mov_b32 s38, -1
	s_mov_b32 s37, 0
	s_mov_b32 s35, s30
	s_branch .LBB46_1154
.LBB46_1151:
	s_and_not1_saveexec_b32 s36, s36
	s_cbranch_execz .LBB46_919
.LBB46_1152:
	v_add_f32_e64 v4, 0x46000000, |v3|
	s_and_not1_b32 s35, s35, exec_lo
	s_delay_alu instid0(VALU_DEP_1) | instskip(NEXT) | instid1(VALU_DEP_1)
	v_and_b32_e32 v4, 0xff, v4
	v_cmp_ne_u32_e32 vcc_lo, 0, v4
	s_and_b32 s37, vcc_lo, exec_lo
	s_delay_alu instid0(SALU_CYCLE_1)
	s_or_b32 s35, s35, s37
	s_or_b32 exec_lo, exec_lo, s36
	v_mov_b32_e32 v5, 0
	s_and_saveexec_b32 s36, s35
	s_cbranch_execnz .LBB46_920
	s_branch .LBB46_921
.LBB46_1153:
	s_mov_b32 s35, -1
	s_mov_b32 s37, 0
.LBB46_1154:
                                        ; implicit-def: $vgpr2
.LBB46_1155:
	s_and_b32 vcc_lo, exec_lo, s38
	s_cbranch_vccz .LBB46_1159
; %bb.1156:
	s_cmp_eq_u32 s36, 44
	s_cbranch_scc0 .LBB46_1158
; %bb.1157:
	s_wait_loadcnt 0x0
	global_load_u8 v1, v[4:5], off
	s_mov_b32 s35, 0
	s_mov_b32 s37, -1
	s_wait_loadcnt 0x0
	v_lshlrev_b32_e32 v2, 23, v1
	v_cmp_ne_u32_e32 vcc_lo, 0, v1
	s_delay_alu instid0(VALU_DEP_2) | instskip(NEXT) | instid1(VALU_DEP_1)
	v_cvt_i32_f32_e32 v2, v2
	v_cndmask_b32_e32 v2, 0, v2, vcc_lo
	s_branch .LBB46_1159
.LBB46_1158:
	s_mov_b32 s35, -1
                                        ; implicit-def: $vgpr2
.LBB46_1159:
	s_mov_b32 s38, 0
.LBB46_1160:
	s_delay_alu instid0(SALU_CYCLE_1)
	s_and_b32 vcc_lo, exec_lo, s38
	s_cbranch_vccz .LBB46_1164
; %bb.1161:
	s_cmp_eq_u32 s36, 29
	s_cbranch_scc0 .LBB46_1163
; %bb.1162:
	global_load_b64 v[2:3], v[4:5], off
	s_mov_b32 s37, -1
	s_mov_b32 s35, 0
	s_branch .LBB46_1164
.LBB46_1163:
	s_mov_b32 s35, -1
                                        ; implicit-def: $vgpr2
.LBB46_1164:
	s_mov_b32 s38, 0
.LBB46_1165:
	s_delay_alu instid0(SALU_CYCLE_1)
	s_and_b32 vcc_lo, exec_lo, s38
	s_cbranch_vccz .LBB46_1181
; %bb.1166:
	s_cmp_lt_i32 s36, 27
	s_cbranch_scc1 .LBB46_1169
; %bb.1167:
	s_cmp_gt_i32 s36, 27
	s_cbranch_scc0 .LBB46_1170
; %bb.1168:
	s_wait_loadcnt 0x0
	global_load_b32 v2, v[4:5], off
	s_mov_b32 s37, 0
	s_branch .LBB46_1171
.LBB46_1169:
	s_mov_b32 s37, -1
                                        ; implicit-def: $vgpr2
	s_branch .LBB46_1174
.LBB46_1170:
	s_mov_b32 s37, -1
                                        ; implicit-def: $vgpr2
.LBB46_1171:
	s_delay_alu instid0(SALU_CYCLE_1)
	s_and_not1_b32 vcc_lo, exec_lo, s37
	s_cbranch_vccnz .LBB46_1173
; %bb.1172:
	s_wait_loadcnt 0x0
	global_load_u16 v2, v[4:5], off
.LBB46_1173:
	s_mov_b32 s37, 0
.LBB46_1174:
	s_delay_alu instid0(SALU_CYCLE_1)
	s_and_not1_b32 vcc_lo, exec_lo, s37
	s_cbranch_vccnz .LBB46_1180
; %bb.1175:
	s_wait_loadcnt 0x0
	global_load_u8 v1, v[4:5], off
	s_mov_b32 s38, 0
	s_mov_b32 s37, exec_lo
	s_wait_loadcnt 0x0
	v_cmpx_lt_i16_e32 0x7f, v1
	s_xor_b32 s37, exec_lo, s37
	s_cbranch_execz .LBB46_1192
; %bb.1176:
	v_cmp_ne_u16_e32 vcc_lo, 0x80, v1
	s_and_b32 s38, vcc_lo, exec_lo
	s_and_not1_saveexec_b32 s37, s37
	s_cbranch_execnz .LBB46_1193
.LBB46_1177:
	s_or_b32 exec_lo, exec_lo, s37
	v_mov_b32_e32 v2, 0
	s_and_saveexec_b32 s37, s38
	s_cbranch_execz .LBB46_1179
.LBB46_1178:
	v_and_b32_e32 v2, 0xffff, v1
	s_delay_alu instid0(VALU_DEP_1) | instskip(SKIP_1) | instid1(VALU_DEP_2)
	v_dual_lshlrev_b32 v1, 24, v1 :: v_dual_bitop2_b32 v3, 7, v2 bitop3:0x40
	v_bfe_u32 v8, v2, 3, 4
	v_and_b32_e32 v1, 0x80000000, v1
	s_delay_alu instid0(VALU_DEP_3) | instskip(NEXT) | instid1(VALU_DEP_3)
	v_clz_i32_u32_e32 v6, v3
	v_cmp_eq_u32_e32 vcc_lo, 0, v8
	s_delay_alu instid0(VALU_DEP_2) | instskip(NEXT) | instid1(VALU_DEP_1)
	v_min_u32_e32 v6, 32, v6
	v_subrev_nc_u32_e32 v7, 28, v6
	v_sub_nc_u32_e32 v6, 29, v6
	s_delay_alu instid0(VALU_DEP_2) | instskip(NEXT) | instid1(VALU_DEP_2)
	v_lshlrev_b32_e32 v2, v7, v2
	v_cndmask_b32_e32 v6, v8, v6, vcc_lo
	s_delay_alu instid0(VALU_DEP_2) | instskip(NEXT) | instid1(VALU_DEP_1)
	v_and_b32_e32 v2, 7, v2
	v_cndmask_b32_e32 v2, v3, v2, vcc_lo
	s_delay_alu instid0(VALU_DEP_3) | instskip(NEXT) | instid1(VALU_DEP_2)
	v_lshl_add_u32 v3, v6, 23, 0x3b800000
	v_lshlrev_b32_e32 v2, 20, v2
	s_delay_alu instid0(VALU_DEP_1) | instskip(NEXT) | instid1(VALU_DEP_1)
	v_or3_b32 v1, v1, v3, v2
	v_cvt_i32_f32_e32 v2, v1
.LBB46_1179:
	s_or_b32 exec_lo, exec_lo, s37
.LBB46_1180:
	s_mov_b32 s37, -1
.LBB46_1181:
	s_mov_b32 s38, 0
.LBB46_1182:
	s_delay_alu instid0(SALU_CYCLE_1)
	s_and_b32 vcc_lo, exec_lo, s38
	s_cbranch_vccz .LBB46_1215
; %bb.1183:
	s_cmp_gt_i32 s36, 22
	s_cbranch_scc0 .LBB46_1191
; %bb.1184:
	s_cmp_lt_i32 s36, 24
	s_cbranch_scc1 .LBB46_1194
; %bb.1185:
	s_cmp_gt_i32 s36, 24
	s_cbranch_scc0 .LBB46_1195
; %bb.1186:
	s_wait_loadcnt 0x0
	global_load_u8 v1, v[4:5], off
	s_mov_b32 s38, 0
	s_mov_b32 s37, exec_lo
	s_wait_loadcnt 0x0
	v_cmpx_lt_i16_e32 0x7f, v1
	s_xor_b32 s37, exec_lo, s37
	s_cbranch_execz .LBB46_1207
; %bb.1187:
	v_cmp_ne_u16_e32 vcc_lo, 0x80, v1
	s_and_b32 s38, vcc_lo, exec_lo
	s_and_not1_saveexec_b32 s37, s37
	s_cbranch_execnz .LBB46_1208
.LBB46_1188:
	s_or_b32 exec_lo, exec_lo, s37
	v_mov_b32_e32 v2, 0
	s_and_saveexec_b32 s37, s38
	s_cbranch_execz .LBB46_1190
.LBB46_1189:
	v_and_b32_e32 v2, 0xffff, v1
	s_delay_alu instid0(VALU_DEP_1) | instskip(SKIP_1) | instid1(VALU_DEP_2)
	v_dual_lshlrev_b32 v1, 24, v1 :: v_dual_bitop2_b32 v3, 3, v2 bitop3:0x40
	v_bfe_u32 v8, v2, 2, 5
	v_and_b32_e32 v1, 0x80000000, v1
	s_delay_alu instid0(VALU_DEP_3) | instskip(NEXT) | instid1(VALU_DEP_3)
	v_clz_i32_u32_e32 v6, v3
	v_cmp_eq_u32_e32 vcc_lo, 0, v8
	s_delay_alu instid0(VALU_DEP_2) | instskip(NEXT) | instid1(VALU_DEP_1)
	v_min_u32_e32 v6, 32, v6
	v_subrev_nc_u32_e32 v7, 29, v6
	v_sub_nc_u32_e32 v6, 30, v6
	s_delay_alu instid0(VALU_DEP_2) | instskip(NEXT) | instid1(VALU_DEP_2)
	v_lshlrev_b32_e32 v2, v7, v2
	v_cndmask_b32_e32 v6, v8, v6, vcc_lo
	s_delay_alu instid0(VALU_DEP_2) | instskip(NEXT) | instid1(VALU_DEP_1)
	v_and_b32_e32 v2, 3, v2
	v_cndmask_b32_e32 v2, v3, v2, vcc_lo
	s_delay_alu instid0(VALU_DEP_3) | instskip(NEXT) | instid1(VALU_DEP_2)
	v_lshl_add_u32 v3, v6, 23, 0x37800000
	v_lshlrev_b32_e32 v2, 21, v2
	s_delay_alu instid0(VALU_DEP_1) | instskip(NEXT) | instid1(VALU_DEP_1)
	v_or3_b32 v1, v1, v3, v2
	v_cvt_i32_f32_e32 v2, v1
.LBB46_1190:
	s_or_b32 exec_lo, exec_lo, s37
	s_mov_b32 s37, 0
	s_branch .LBB46_1196
.LBB46_1191:
	s_mov_b32 s38, -1
                                        ; implicit-def: $vgpr2
	s_branch .LBB46_1202
.LBB46_1192:
	s_and_not1_saveexec_b32 s37, s37
	s_cbranch_execz .LBB46_1177
.LBB46_1193:
	v_cmp_ne_u16_e32 vcc_lo, 0, v1
	s_and_not1_b32 s38, s38, exec_lo
	s_and_b32 s39, vcc_lo, exec_lo
	s_delay_alu instid0(SALU_CYCLE_1)
	s_or_b32 s38, s38, s39
	s_or_b32 exec_lo, exec_lo, s37
	v_mov_b32_e32 v2, 0
	s_and_saveexec_b32 s37, s38
	s_cbranch_execnz .LBB46_1178
	s_branch .LBB46_1179
.LBB46_1194:
	s_mov_b32 s37, -1
                                        ; implicit-def: $vgpr2
	s_branch .LBB46_1199
.LBB46_1195:
	s_mov_b32 s37, -1
                                        ; implicit-def: $vgpr2
.LBB46_1196:
	s_delay_alu instid0(SALU_CYCLE_1)
	s_and_b32 vcc_lo, exec_lo, s37
	s_cbranch_vccz .LBB46_1198
; %bb.1197:
	s_wait_loadcnt 0x0
	global_load_u8 v1, v[4:5], off
	s_wait_loadcnt 0x0
	v_lshlrev_b32_e32 v1, 24, v1
	s_delay_alu instid0(VALU_DEP_1) | instskip(NEXT) | instid1(VALU_DEP_1)
	v_and_b32_e32 v2, 0x7f000000, v1
	v_clz_i32_u32_e32 v3, v2
	v_cmp_ne_u32_e32 vcc_lo, 0, v2
	v_add_nc_u32_e32 v7, 0x1000000, v2
	s_delay_alu instid0(VALU_DEP_3) | instskip(NEXT) | instid1(VALU_DEP_1)
	v_min_u32_e32 v3, 32, v3
	v_sub_nc_u32_e64 v3, v3, 4 clamp
	s_delay_alu instid0(VALU_DEP_1) | instskip(NEXT) | instid1(VALU_DEP_1)
	v_dual_lshlrev_b32 v6, v3, v2 :: v_dual_lshlrev_b32 v3, 23, v3
	v_lshrrev_b32_e32 v6, 4, v6
	s_delay_alu instid0(VALU_DEP_1) | instskip(SKIP_1) | instid1(VALU_DEP_2)
	v_sub_nc_u32_e32 v3, v6, v3
	v_ashrrev_i32_e32 v6, 8, v7
	v_add_nc_u32_e32 v3, 0x3c000000, v3
	s_delay_alu instid0(VALU_DEP_1) | instskip(NEXT) | instid1(VALU_DEP_1)
	v_and_or_b32 v3, 0x7f800000, v6, v3
	v_cndmask_b32_e32 v2, 0, v3, vcc_lo
	s_delay_alu instid0(VALU_DEP_1) | instskip(NEXT) | instid1(VALU_DEP_1)
	v_and_or_b32 v1, 0x80000000, v1, v2
	v_cvt_i32_f32_e32 v2, v1
.LBB46_1198:
	s_mov_b32 s37, 0
.LBB46_1199:
	s_delay_alu instid0(SALU_CYCLE_1)
	s_and_not1_b32 vcc_lo, exec_lo, s37
	s_cbranch_vccnz .LBB46_1201
; %bb.1200:
	s_wait_loadcnt 0x0
	global_load_u8 v1, v[4:5], off
	s_wait_loadcnt 0x0
	v_lshlrev_b32_e32 v2, 25, v1
	v_lshlrev_b16 v1, 8, v1
	s_delay_alu instid0(VALU_DEP_1) | instskip(SKIP_1) | instid1(VALU_DEP_2)
	v_and_or_b32 v6, 0x7f00, v1, 0.5
	v_bfe_i32 v1, v1, 0, 16
	v_add_f32_e32 v6, -0.5, v6
	v_lshrrev_b32_e32 v3, 4, v2
	v_cmp_gt_u32_e32 vcc_lo, 0x8000000, v2
	s_delay_alu instid0(VALU_DEP_2) | instskip(NEXT) | instid1(VALU_DEP_1)
	v_or_b32_e32 v3, 0x70000000, v3
	v_mul_f32_e32 v3, 0x7800000, v3
	s_delay_alu instid0(VALU_DEP_1) | instskip(NEXT) | instid1(VALU_DEP_1)
	v_cndmask_b32_e32 v2, v3, v6, vcc_lo
	v_and_or_b32 v1, 0x80000000, v1, v2
	s_delay_alu instid0(VALU_DEP_1)
	v_cvt_i32_f32_e32 v2, v1
.LBB46_1201:
	s_mov_b32 s38, 0
	s_mov_b32 s37, -1
.LBB46_1202:
	s_and_not1_b32 vcc_lo, exec_lo, s38
	s_cbranch_vccnz .LBB46_1215
; %bb.1203:
	s_cmp_gt_i32 s36, 14
	s_cbranch_scc0 .LBB46_1206
; %bb.1204:
	s_cmp_eq_u32 s36, 15
	s_cbranch_scc0 .LBB46_1209
; %bb.1205:
	s_wait_loadcnt 0x0
	global_load_u16 v1, v[4:5], off
	s_mov_b32 s37, -1
	s_mov_b32 s35, 0
	s_wait_loadcnt 0x0
	v_lshlrev_b32_e32 v1, 16, v1
	s_delay_alu instid0(VALU_DEP_1)
	v_cvt_i32_f32_e32 v2, v1
	s_branch .LBB46_1210
.LBB46_1206:
	s_mov_b32 s38, -1
                                        ; implicit-def: $vgpr2
	s_branch .LBB46_1211
.LBB46_1207:
	s_and_not1_saveexec_b32 s37, s37
	s_cbranch_execz .LBB46_1188
.LBB46_1208:
	v_cmp_ne_u16_e32 vcc_lo, 0, v1
	s_and_not1_b32 s38, s38, exec_lo
	s_and_b32 s39, vcc_lo, exec_lo
	s_delay_alu instid0(SALU_CYCLE_1)
	s_or_b32 s38, s38, s39
	s_or_b32 exec_lo, exec_lo, s37
	v_mov_b32_e32 v2, 0
	s_and_saveexec_b32 s37, s38
	s_cbranch_execnz .LBB46_1189
	s_branch .LBB46_1190
.LBB46_1209:
	s_mov_b32 s35, -1
                                        ; implicit-def: $vgpr2
.LBB46_1210:
	s_mov_b32 s38, 0
.LBB46_1211:
	s_delay_alu instid0(SALU_CYCLE_1)
	s_and_b32 vcc_lo, exec_lo, s38
	s_cbranch_vccz .LBB46_1215
; %bb.1212:
	s_cmp_eq_u32 s36, 11
	s_cbranch_scc0 .LBB46_1214
; %bb.1213:
	s_wait_loadcnt 0x0
	global_load_u8 v1, v[4:5], off
	s_mov_b32 s35, 0
	s_mov_b32 s37, -1
	s_wait_loadcnt 0x0
	v_cmp_ne_u16_e32 vcc_lo, 0, v1
	v_cndmask_b32_e64 v2, 0, 1, vcc_lo
	s_branch .LBB46_1215
.LBB46_1214:
	s_mov_b32 s35, -1
                                        ; implicit-def: $vgpr2
.LBB46_1215:
	s_mov_b32 s36, 0
.LBB46_1216:
	s_delay_alu instid0(SALU_CYCLE_1)
	s_and_b32 vcc_lo, exec_lo, s36
	s_cbranch_vccz .LBB46_1265
; %bb.1217:
	s_and_b32 s0, 0xffff, s0
	s_delay_alu instid0(SALU_CYCLE_1)
	s_cmp_lt_i32 s0, 5
	s_cbranch_scc1 .LBB46_1222
; %bb.1218:
	s_cmp_lt_i32 s0, 8
	s_cbranch_scc1 .LBB46_1223
; %bb.1219:
	;; [unrolled: 3-line block ×3, first 2 shown]
	s_cmp_gt_i32 s0, 9
	s_cbranch_scc0 .LBB46_1225
; %bb.1221:
	s_wait_loadcnt 0x0
	global_load_b64 v[2:3], v[4:5], off
	s_mov_b32 s36, 0
	s_wait_loadcnt 0x0
	v_cvt_i32_f64_e32 v2, v[2:3]
	s_branch .LBB46_1226
.LBB46_1222:
	s_mov_b32 s36, -1
                                        ; implicit-def: $vgpr2
	s_branch .LBB46_1244
.LBB46_1223:
	s_mov_b32 s36, -1
                                        ; implicit-def: $vgpr2
	s_branch .LBB46_1232
.LBB46_1224:
	s_mov_b32 s36, -1
                                        ; implicit-def: $vgpr2
	s_branch .LBB46_1229
.LBB46_1225:
	s_mov_b32 s36, -1
                                        ; implicit-def: $vgpr2
.LBB46_1226:
	s_delay_alu instid0(SALU_CYCLE_1)
	s_and_not1_b32 vcc_lo, exec_lo, s36
	s_cbranch_vccnz .LBB46_1228
; %bb.1227:
	s_wait_loadcnt 0x0
	global_load_b32 v1, v[4:5], off
	s_wait_loadcnt 0x0
	v_cvt_i32_f32_e32 v2, v1
.LBB46_1228:
	s_mov_b32 s36, 0
.LBB46_1229:
	s_delay_alu instid0(SALU_CYCLE_1)
	s_and_not1_b32 vcc_lo, exec_lo, s36
	s_cbranch_vccnz .LBB46_1231
; %bb.1230:
	s_wait_loadcnt 0x0
	global_load_b32 v1, v[4:5], off
	s_wait_loadcnt 0x0
	v_cvt_i16_f16_e32 v2, v1
.LBB46_1231:
	s_mov_b32 s36, 0
.LBB46_1232:
	s_delay_alu instid0(SALU_CYCLE_1)
	s_and_not1_b32 vcc_lo, exec_lo, s36
	s_cbranch_vccnz .LBB46_1243
; %bb.1233:
	s_cmp_lt_i32 s0, 6
	s_cbranch_scc1 .LBB46_1236
; %bb.1234:
	s_cmp_gt_i32 s0, 6
	s_cbranch_scc0 .LBB46_1237
; %bb.1235:
	s_wait_loadcnt 0x0
	global_load_b64 v[2:3], v[4:5], off
	s_mov_b32 s36, 0
	s_wait_loadcnt 0x0
	v_cvt_i32_f64_e32 v2, v[2:3]
	s_branch .LBB46_1238
.LBB46_1236:
	s_mov_b32 s36, -1
                                        ; implicit-def: $vgpr2
	s_branch .LBB46_1241
.LBB46_1237:
	s_mov_b32 s36, -1
                                        ; implicit-def: $vgpr2
.LBB46_1238:
	s_delay_alu instid0(SALU_CYCLE_1)
	s_and_not1_b32 vcc_lo, exec_lo, s36
	s_cbranch_vccnz .LBB46_1240
; %bb.1239:
	s_wait_loadcnt 0x0
	global_load_b32 v1, v[4:5], off
	s_wait_loadcnt 0x0
	v_cvt_i32_f32_e32 v2, v1
.LBB46_1240:
	s_mov_b32 s36, 0
.LBB46_1241:
	s_delay_alu instid0(SALU_CYCLE_1)
	s_and_not1_b32 vcc_lo, exec_lo, s36
	s_cbranch_vccnz .LBB46_1243
; %bb.1242:
	s_wait_loadcnt 0x0
	global_load_u16 v1, v[4:5], off
	s_wait_loadcnt 0x0
	v_cvt_i16_f16_e32 v2, v1
.LBB46_1243:
	s_mov_b32 s36, 0
.LBB46_1244:
	s_delay_alu instid0(SALU_CYCLE_1)
	s_and_not1_b32 vcc_lo, exec_lo, s36
	s_cbranch_vccnz .LBB46_1264
; %bb.1245:
	s_cmp_lt_i32 s0, 2
	s_cbranch_scc1 .LBB46_1249
; %bb.1246:
	s_cmp_lt_i32 s0, 3
	s_cbranch_scc1 .LBB46_1250
; %bb.1247:
	s_cmp_gt_i32 s0, 3
	s_cbranch_scc0 .LBB46_1251
; %bb.1248:
	s_wait_loadcnt 0x0
	global_load_b64 v[2:3], v[4:5], off
	s_mov_b32 s36, 0
	s_branch .LBB46_1252
.LBB46_1249:
	s_mov_b32 s36, -1
                                        ; implicit-def: $vgpr2
	s_branch .LBB46_1258
.LBB46_1250:
	s_mov_b32 s36, -1
                                        ; implicit-def: $vgpr2
	s_branch .LBB46_1255
.LBB46_1251:
	s_mov_b32 s36, -1
                                        ; implicit-def: $vgpr2
.LBB46_1252:
	s_delay_alu instid0(SALU_CYCLE_1)
	s_and_not1_b32 vcc_lo, exec_lo, s36
	s_cbranch_vccnz .LBB46_1254
; %bb.1253:
	s_wait_loadcnt 0x0
	global_load_b32 v2, v[4:5], off
.LBB46_1254:
	s_mov_b32 s36, 0
.LBB46_1255:
	s_delay_alu instid0(SALU_CYCLE_1)
	s_and_not1_b32 vcc_lo, exec_lo, s36
	s_cbranch_vccnz .LBB46_1257
; %bb.1256:
	s_wait_loadcnt 0x0
	global_load_u16 v2, v[4:5], off
.LBB46_1257:
	s_mov_b32 s36, 0
.LBB46_1258:
	s_delay_alu instid0(SALU_CYCLE_1)
	s_and_not1_b32 vcc_lo, exec_lo, s36
	s_cbranch_vccnz .LBB46_1264
; %bb.1259:
	s_cmp_gt_i32 s0, 0
	s_mov_b32 s0, 0
	s_cbranch_scc0 .LBB46_1261
; %bb.1260:
	s_wait_loadcnt 0x0
	global_load_u8 v2, v[4:5], off
	s_branch .LBB46_1262
.LBB46_1261:
	s_mov_b32 s0, -1
                                        ; implicit-def: $vgpr2
.LBB46_1262:
	s_delay_alu instid0(SALU_CYCLE_1)
	s_and_not1_b32 vcc_lo, exec_lo, s0
	s_cbranch_vccnz .LBB46_1264
; %bb.1263:
	s_wait_loadcnt 0x0
	global_load_u8 v2, v[4:5], off
.LBB46_1264:
	s_mov_b32 s37, -1
.LBB46_1265:
	s_delay_alu instid0(SALU_CYCLE_1)
	s_and_not1_b32 vcc_lo, exec_lo, s37
	s_cbranch_vccnz .LBB46_1273
; %bb.1266:
	s_wait_xcnt 0x0
	v_mul_lo_u32 v4, v26, s15
	s_and_b32 s0, s17, 0xff
	s_delay_alu instid0(SALU_CYCLE_1) | instskip(NEXT) | instid1(VALU_DEP_1)
	s_cmp_lt_i32 s0, 11
	v_ashrrev_i32_e32 v5, 31, v4
	s_delay_alu instid0(VALU_DEP_1)
	v_add_nc_u64_e32 v[4:5], s[10:11], v[4:5]
	s_cbranch_scc1 .LBB46_1274
; %bb.1267:
	s_and_b32 s37, 0xffff, s0
	s_delay_alu instid0(SALU_CYCLE_1)
	s_cmp_gt_i32 s37, 25
	s_cbranch_scc0 .LBB46_1275
; %bb.1268:
	s_cmp_gt_i32 s37, 28
	s_cbranch_scc0 .LBB46_1276
; %bb.1269:
	;; [unrolled: 3-line block ×4, first 2 shown]
	s_cmp_eq_u32 s37, 46
	s_mov_b32 s39, 0
	s_cbranch_scc0 .LBB46_1281
; %bb.1272:
	s_wait_loadcnt 0x0
	global_load_b32 v1, v[4:5], off
	s_mov_b32 s38, -1
	s_mov_b32 s36, 0
	s_wait_loadcnt 0x0
	v_lshlrev_b32_e32 v1, 16, v1
	s_delay_alu instid0(VALU_DEP_1)
	v_cvt_i32_f32_e32 v6, v1
	s_branch .LBB46_1283
.LBB46_1273:
	s_mov_b32 s38, 0
	s_mov_b32 s0, s28
	;; [unrolled: 1-line block ×3, first 2 shown]
	s_branch .LBB46_1518
.LBB46_1274:
	s_mov_b32 s37, -1
	s_mov_b32 s38, 0
	s_mov_b32 s36, s29
                                        ; implicit-def: $vgpr6
	s_branch .LBB46_1344
.LBB46_1275:
	s_mov_b32 s39, -1
	s_mov_b32 s38, 0
	s_mov_b32 s36, s29
                                        ; implicit-def: $vgpr6
	s_branch .LBB46_1310
.LBB46_1276:
	s_mov_b32 s39, -1
	s_mov_b32 s38, 0
	s_mov_b32 s36, s29
                                        ; implicit-def: $vgpr6
	s_branch .LBB46_1293
.LBB46_1277:
	s_mov_b32 s39, -1
	s_mov_b32 s38, 0
	s_mov_b32 s36, s29
                                        ; implicit-def: $vgpr6
	s_branch .LBB46_1288
.LBB46_1278:
	s_mov_b32 s39, -1
	s_mov_b32 s38, 0
	s_mov_b32 s36, s29
	s_branch .LBB46_1282
.LBB46_1279:
	s_and_not1_saveexec_b32 s36, s36
	s_cbranch_execz .LBB46_932
.LBB46_1280:
	v_add_f32_e64 v4, 0x42800000, |v3|
	s_and_not1_b32 s35, s35, exec_lo
	s_delay_alu instid0(VALU_DEP_1) | instskip(NEXT) | instid1(VALU_DEP_1)
	v_and_b32_e32 v4, 0xff, v4
	v_cmp_ne_u32_e32 vcc_lo, 0, v4
	s_and_b32 s37, vcc_lo, exec_lo
	s_delay_alu instid0(SALU_CYCLE_1)
	s_or_b32 s35, s35, s37
	s_or_b32 exec_lo, exec_lo, s36
	v_mov_b32_e32 v5, 0
	s_and_saveexec_b32 s36, s35
	s_cbranch_execnz .LBB46_933
	s_branch .LBB46_934
.LBB46_1281:
	s_mov_b32 s36, -1
	s_mov_b32 s38, 0
.LBB46_1282:
                                        ; implicit-def: $vgpr6
.LBB46_1283:
	s_and_b32 vcc_lo, exec_lo, s39
	s_cbranch_vccz .LBB46_1287
; %bb.1284:
	s_cmp_eq_u32 s37, 44
	s_cbranch_scc0 .LBB46_1286
; %bb.1285:
	s_wait_loadcnt 0x0
	global_load_u8 v1, v[4:5], off
	s_mov_b32 s36, 0
	s_mov_b32 s38, -1
	s_wait_loadcnt 0x0
	v_lshlrev_b32_e32 v3, 23, v1
	v_cmp_ne_u32_e32 vcc_lo, 0, v1
	s_delay_alu instid0(VALU_DEP_2) | instskip(NEXT) | instid1(VALU_DEP_1)
	v_cvt_i32_f32_e32 v3, v3
	v_cndmask_b32_e32 v6, 0, v3, vcc_lo
	s_branch .LBB46_1287
.LBB46_1286:
	s_mov_b32 s36, -1
                                        ; implicit-def: $vgpr6
.LBB46_1287:
	s_mov_b32 s39, 0
.LBB46_1288:
	s_delay_alu instid0(SALU_CYCLE_1)
	s_and_b32 vcc_lo, exec_lo, s39
	s_cbranch_vccz .LBB46_1292
; %bb.1289:
	s_cmp_eq_u32 s37, 29
	s_cbranch_scc0 .LBB46_1291
; %bb.1290:
	global_load_b64 v[6:7], v[4:5], off
	s_mov_b32 s38, -1
	s_mov_b32 s36, 0
	s_branch .LBB46_1292
.LBB46_1291:
	s_mov_b32 s36, -1
                                        ; implicit-def: $vgpr6
.LBB46_1292:
	s_mov_b32 s39, 0
.LBB46_1293:
	s_delay_alu instid0(SALU_CYCLE_1)
	s_and_b32 vcc_lo, exec_lo, s39
	s_cbranch_vccz .LBB46_1309
; %bb.1294:
	s_cmp_lt_i32 s37, 27
	s_cbranch_scc1 .LBB46_1297
; %bb.1295:
	s_cmp_gt_i32 s37, 27
	s_cbranch_scc0 .LBB46_1298
; %bb.1296:
	s_wait_loadcnt 0x0
	global_load_b32 v6, v[4:5], off
	s_mov_b32 s38, 0
	s_branch .LBB46_1299
.LBB46_1297:
	s_mov_b32 s38, -1
                                        ; implicit-def: $vgpr6
	s_branch .LBB46_1302
.LBB46_1298:
	s_mov_b32 s38, -1
                                        ; implicit-def: $vgpr6
.LBB46_1299:
	s_delay_alu instid0(SALU_CYCLE_1)
	s_and_not1_b32 vcc_lo, exec_lo, s38
	s_cbranch_vccnz .LBB46_1301
; %bb.1300:
	s_wait_loadcnt 0x0
	global_load_u16 v6, v[4:5], off
.LBB46_1301:
	s_mov_b32 s38, 0
.LBB46_1302:
	s_delay_alu instid0(SALU_CYCLE_1)
	s_and_not1_b32 vcc_lo, exec_lo, s38
	s_cbranch_vccnz .LBB46_1308
; %bb.1303:
	s_wait_loadcnt 0x0
	global_load_u8 v1, v[4:5], off
	s_mov_b32 s39, 0
	s_mov_b32 s38, exec_lo
	s_wait_loadcnt 0x0
	v_cmpx_lt_i16_e32 0x7f, v1
	s_xor_b32 s38, exec_lo, s38
	s_cbranch_execz .LBB46_1320
; %bb.1304:
	v_cmp_ne_u16_e32 vcc_lo, 0x80, v1
	s_and_b32 s39, vcc_lo, exec_lo
	s_and_not1_saveexec_b32 s38, s38
	s_cbranch_execnz .LBB46_1321
.LBB46_1305:
	s_or_b32 exec_lo, exec_lo, s38
	v_mov_b32_e32 v6, 0
	s_and_saveexec_b32 s38, s39
	s_cbranch_execz .LBB46_1307
.LBB46_1306:
	v_and_b32_e32 v3, 0xffff, v1
	s_delay_alu instid0(VALU_DEP_1) | instskip(SKIP_1) | instid1(VALU_DEP_2)
	v_dual_lshlrev_b32 v1, 24, v1 :: v_dual_bitop2_b32 v6, 7, v3 bitop3:0x40
	v_bfe_u32 v9, v3, 3, 4
	v_and_b32_e32 v1, 0x80000000, v1
	s_delay_alu instid0(VALU_DEP_3) | instskip(NEXT) | instid1(VALU_DEP_3)
	v_clz_i32_u32_e32 v7, v6
	v_cmp_eq_u32_e32 vcc_lo, 0, v9
	s_delay_alu instid0(VALU_DEP_2) | instskip(NEXT) | instid1(VALU_DEP_1)
	v_min_u32_e32 v7, 32, v7
	v_subrev_nc_u32_e32 v8, 28, v7
	v_sub_nc_u32_e32 v7, 29, v7
	s_delay_alu instid0(VALU_DEP_2) | instskip(NEXT) | instid1(VALU_DEP_2)
	v_lshlrev_b32_e32 v3, v8, v3
	v_cndmask_b32_e32 v7, v9, v7, vcc_lo
	s_delay_alu instid0(VALU_DEP_2) | instskip(NEXT) | instid1(VALU_DEP_1)
	v_and_b32_e32 v3, 7, v3
	v_cndmask_b32_e32 v3, v6, v3, vcc_lo
	s_delay_alu instid0(VALU_DEP_3) | instskip(NEXT) | instid1(VALU_DEP_2)
	v_lshl_add_u32 v6, v7, 23, 0x3b800000
	v_lshlrev_b32_e32 v3, 20, v3
	s_delay_alu instid0(VALU_DEP_1) | instskip(NEXT) | instid1(VALU_DEP_1)
	v_or3_b32 v1, v1, v6, v3
	v_cvt_i32_f32_e32 v6, v1
.LBB46_1307:
	s_or_b32 exec_lo, exec_lo, s38
.LBB46_1308:
	s_mov_b32 s38, -1
.LBB46_1309:
	s_mov_b32 s39, 0
.LBB46_1310:
	s_delay_alu instid0(SALU_CYCLE_1)
	s_and_b32 vcc_lo, exec_lo, s39
	s_cbranch_vccz .LBB46_1343
; %bb.1311:
	s_cmp_gt_i32 s37, 22
	s_cbranch_scc0 .LBB46_1319
; %bb.1312:
	s_cmp_lt_i32 s37, 24
	s_cbranch_scc1 .LBB46_1322
; %bb.1313:
	s_cmp_gt_i32 s37, 24
	s_cbranch_scc0 .LBB46_1323
; %bb.1314:
	s_wait_loadcnt 0x0
	global_load_u8 v1, v[4:5], off
	s_mov_b32 s39, 0
	s_mov_b32 s38, exec_lo
	s_wait_loadcnt 0x0
	v_cmpx_lt_i16_e32 0x7f, v1
	s_xor_b32 s38, exec_lo, s38
	s_cbranch_execz .LBB46_1335
; %bb.1315:
	v_cmp_ne_u16_e32 vcc_lo, 0x80, v1
	s_and_b32 s39, vcc_lo, exec_lo
	s_and_not1_saveexec_b32 s38, s38
	s_cbranch_execnz .LBB46_1336
.LBB46_1316:
	s_or_b32 exec_lo, exec_lo, s38
	v_mov_b32_e32 v6, 0
	s_and_saveexec_b32 s38, s39
	s_cbranch_execz .LBB46_1318
.LBB46_1317:
	v_and_b32_e32 v3, 0xffff, v1
	s_delay_alu instid0(VALU_DEP_1) | instskip(SKIP_1) | instid1(VALU_DEP_2)
	v_dual_lshlrev_b32 v1, 24, v1 :: v_dual_bitop2_b32 v6, 3, v3 bitop3:0x40
	v_bfe_u32 v9, v3, 2, 5
	v_and_b32_e32 v1, 0x80000000, v1
	s_delay_alu instid0(VALU_DEP_3) | instskip(NEXT) | instid1(VALU_DEP_3)
	v_clz_i32_u32_e32 v7, v6
	v_cmp_eq_u32_e32 vcc_lo, 0, v9
	s_delay_alu instid0(VALU_DEP_2) | instskip(NEXT) | instid1(VALU_DEP_1)
	v_min_u32_e32 v7, 32, v7
	v_subrev_nc_u32_e32 v8, 29, v7
	v_sub_nc_u32_e32 v7, 30, v7
	s_delay_alu instid0(VALU_DEP_2) | instskip(NEXT) | instid1(VALU_DEP_2)
	v_lshlrev_b32_e32 v3, v8, v3
	v_cndmask_b32_e32 v7, v9, v7, vcc_lo
	s_delay_alu instid0(VALU_DEP_2) | instskip(NEXT) | instid1(VALU_DEP_1)
	v_and_b32_e32 v3, 3, v3
	v_cndmask_b32_e32 v3, v6, v3, vcc_lo
	s_delay_alu instid0(VALU_DEP_3) | instskip(NEXT) | instid1(VALU_DEP_2)
	v_lshl_add_u32 v6, v7, 23, 0x37800000
	v_lshlrev_b32_e32 v3, 21, v3
	s_delay_alu instid0(VALU_DEP_1) | instskip(NEXT) | instid1(VALU_DEP_1)
	v_or3_b32 v1, v1, v6, v3
	v_cvt_i32_f32_e32 v6, v1
.LBB46_1318:
	s_or_b32 exec_lo, exec_lo, s38
	s_mov_b32 s38, 0
	s_branch .LBB46_1324
.LBB46_1319:
	s_mov_b32 s39, -1
                                        ; implicit-def: $vgpr6
	s_branch .LBB46_1330
.LBB46_1320:
	s_and_not1_saveexec_b32 s38, s38
	s_cbranch_execz .LBB46_1305
.LBB46_1321:
	v_cmp_ne_u16_e32 vcc_lo, 0, v1
	s_and_not1_b32 s39, s39, exec_lo
	s_and_b32 s40, vcc_lo, exec_lo
	s_delay_alu instid0(SALU_CYCLE_1)
	s_or_b32 s39, s39, s40
	s_or_b32 exec_lo, exec_lo, s38
	v_mov_b32_e32 v6, 0
	s_and_saveexec_b32 s38, s39
	s_cbranch_execnz .LBB46_1306
	s_branch .LBB46_1307
.LBB46_1322:
	s_mov_b32 s38, -1
                                        ; implicit-def: $vgpr6
	s_branch .LBB46_1327
.LBB46_1323:
	s_mov_b32 s38, -1
                                        ; implicit-def: $vgpr6
.LBB46_1324:
	s_delay_alu instid0(SALU_CYCLE_1)
	s_and_b32 vcc_lo, exec_lo, s38
	s_cbranch_vccz .LBB46_1326
; %bb.1325:
	s_wait_loadcnt 0x0
	global_load_u8 v1, v[4:5], off
	s_wait_loadcnt 0x0
	v_lshlrev_b32_e32 v1, 24, v1
	s_delay_alu instid0(VALU_DEP_1) | instskip(NEXT) | instid1(VALU_DEP_1)
	v_and_b32_e32 v3, 0x7f000000, v1
	v_clz_i32_u32_e32 v6, v3
	v_cmp_ne_u32_e32 vcc_lo, 0, v3
	v_add_nc_u32_e32 v8, 0x1000000, v3
	s_delay_alu instid0(VALU_DEP_3) | instskip(NEXT) | instid1(VALU_DEP_1)
	v_min_u32_e32 v6, 32, v6
	v_sub_nc_u32_e64 v6, v6, 4 clamp
	s_delay_alu instid0(VALU_DEP_1) | instskip(NEXT) | instid1(VALU_DEP_1)
	v_dual_lshlrev_b32 v7, v6, v3 :: v_dual_lshlrev_b32 v6, 23, v6
	v_lshrrev_b32_e32 v7, 4, v7
	s_delay_alu instid0(VALU_DEP_1) | instskip(NEXT) | instid1(VALU_DEP_1)
	v_dual_sub_nc_u32 v6, v7, v6 :: v_dual_ashrrev_i32 v7, 8, v8
	v_add_nc_u32_e32 v6, 0x3c000000, v6
	s_delay_alu instid0(VALU_DEP_1) | instskip(NEXT) | instid1(VALU_DEP_1)
	v_and_or_b32 v6, 0x7f800000, v7, v6
	v_cndmask_b32_e32 v3, 0, v6, vcc_lo
	s_delay_alu instid0(VALU_DEP_1) | instskip(NEXT) | instid1(VALU_DEP_1)
	v_and_or_b32 v1, 0x80000000, v1, v3
	v_cvt_i32_f32_e32 v6, v1
.LBB46_1326:
	s_mov_b32 s38, 0
.LBB46_1327:
	s_delay_alu instid0(SALU_CYCLE_1)
	s_and_not1_b32 vcc_lo, exec_lo, s38
	s_cbranch_vccnz .LBB46_1329
; %bb.1328:
	s_wait_loadcnt 0x0
	global_load_u8 v1, v[4:5], off
	s_wait_loadcnt 0x0
	v_lshlrev_b32_e32 v3, 25, v1
	v_lshlrev_b16 v1, 8, v1
	s_delay_alu instid0(VALU_DEP_1) | instskip(SKIP_1) | instid1(VALU_DEP_2)
	v_and_or_b32 v7, 0x7f00, v1, 0.5
	v_bfe_i32 v1, v1, 0, 16
	v_add_f32_e32 v7, -0.5, v7
	v_lshrrev_b32_e32 v6, 4, v3
	v_cmp_gt_u32_e32 vcc_lo, 0x8000000, v3
	s_delay_alu instid0(VALU_DEP_2) | instskip(NEXT) | instid1(VALU_DEP_1)
	v_or_b32_e32 v6, 0x70000000, v6
	v_mul_f32_e32 v6, 0x7800000, v6
	s_delay_alu instid0(VALU_DEP_1) | instskip(NEXT) | instid1(VALU_DEP_1)
	v_cndmask_b32_e32 v3, v6, v7, vcc_lo
	v_and_or_b32 v1, 0x80000000, v1, v3
	s_delay_alu instid0(VALU_DEP_1)
	v_cvt_i32_f32_e32 v6, v1
.LBB46_1329:
	s_mov_b32 s39, 0
	s_mov_b32 s38, -1
.LBB46_1330:
	s_and_not1_b32 vcc_lo, exec_lo, s39
	s_cbranch_vccnz .LBB46_1343
; %bb.1331:
	s_cmp_gt_i32 s37, 14
	s_cbranch_scc0 .LBB46_1334
; %bb.1332:
	s_cmp_eq_u32 s37, 15
	s_cbranch_scc0 .LBB46_1337
; %bb.1333:
	s_wait_loadcnt 0x0
	global_load_u16 v1, v[4:5], off
	s_mov_b32 s38, -1
	s_mov_b32 s36, 0
	s_wait_loadcnt 0x0
	v_lshlrev_b32_e32 v1, 16, v1
	s_delay_alu instid0(VALU_DEP_1)
	v_cvt_i32_f32_e32 v6, v1
	s_branch .LBB46_1338
.LBB46_1334:
	s_mov_b32 s39, -1
                                        ; implicit-def: $vgpr6
	s_branch .LBB46_1339
.LBB46_1335:
	s_and_not1_saveexec_b32 s38, s38
	s_cbranch_execz .LBB46_1316
.LBB46_1336:
	v_cmp_ne_u16_e32 vcc_lo, 0, v1
	s_and_not1_b32 s39, s39, exec_lo
	s_and_b32 s40, vcc_lo, exec_lo
	s_delay_alu instid0(SALU_CYCLE_1)
	s_or_b32 s39, s39, s40
	s_or_b32 exec_lo, exec_lo, s38
	v_mov_b32_e32 v6, 0
	s_and_saveexec_b32 s38, s39
	s_cbranch_execnz .LBB46_1317
	s_branch .LBB46_1318
.LBB46_1337:
	s_mov_b32 s36, -1
                                        ; implicit-def: $vgpr6
.LBB46_1338:
	s_mov_b32 s39, 0
.LBB46_1339:
	s_delay_alu instid0(SALU_CYCLE_1)
	s_and_b32 vcc_lo, exec_lo, s39
	s_cbranch_vccz .LBB46_1343
; %bb.1340:
	s_cmp_eq_u32 s37, 11
	s_cbranch_scc0 .LBB46_1342
; %bb.1341:
	s_wait_loadcnt 0x0
	global_load_u8 v1, v[4:5], off
	s_mov_b32 s36, 0
	s_mov_b32 s38, -1
	s_wait_loadcnt 0x0
	v_cmp_ne_u16_e32 vcc_lo, 0, v1
	v_cndmask_b32_e64 v6, 0, 1, vcc_lo
	s_branch .LBB46_1343
.LBB46_1342:
	s_mov_b32 s36, -1
                                        ; implicit-def: $vgpr6
.LBB46_1343:
	s_mov_b32 s37, 0
.LBB46_1344:
	s_delay_alu instid0(SALU_CYCLE_1)
	s_and_b32 vcc_lo, exec_lo, s37
	s_cbranch_vccz .LBB46_1393
; %bb.1345:
	s_and_b32 s0, 0xffff, s0
	s_delay_alu instid0(SALU_CYCLE_1)
	s_cmp_lt_i32 s0, 5
	s_cbranch_scc1 .LBB46_1350
; %bb.1346:
	s_cmp_lt_i32 s0, 8
	s_cbranch_scc1 .LBB46_1351
; %bb.1347:
	s_cmp_lt_i32 s0, 9
	s_cbranch_scc1 .LBB46_1352
; %bb.1348:
	s_cmp_gt_i32 s0, 9
	s_cbranch_scc0 .LBB46_1353
; %bb.1349:
	s_wait_loadcnt 0x0
	global_load_b64 v[6:7], v[4:5], off
	s_mov_b32 s37, 0
	s_wait_loadcnt 0x0
	v_cvt_i32_f64_e32 v6, v[6:7]
	s_branch .LBB46_1354
.LBB46_1350:
	s_mov_b32 s37, -1
                                        ; implicit-def: $vgpr6
	s_branch .LBB46_1372
.LBB46_1351:
	s_mov_b32 s37, -1
                                        ; implicit-def: $vgpr6
	s_branch .LBB46_1360
.LBB46_1352:
	s_mov_b32 s37, -1
                                        ; implicit-def: $vgpr6
	s_branch .LBB46_1357
.LBB46_1353:
	s_mov_b32 s37, -1
                                        ; implicit-def: $vgpr6
.LBB46_1354:
	s_delay_alu instid0(SALU_CYCLE_1)
	s_and_not1_b32 vcc_lo, exec_lo, s37
	s_cbranch_vccnz .LBB46_1356
; %bb.1355:
	s_wait_loadcnt 0x0
	global_load_b32 v1, v[4:5], off
	s_wait_loadcnt 0x0
	v_cvt_i32_f32_e32 v6, v1
.LBB46_1356:
	s_mov_b32 s37, 0
.LBB46_1357:
	s_delay_alu instid0(SALU_CYCLE_1)
	s_and_not1_b32 vcc_lo, exec_lo, s37
	s_cbranch_vccnz .LBB46_1359
; %bb.1358:
	s_wait_loadcnt 0x0
	global_load_b32 v1, v[4:5], off
	s_wait_loadcnt 0x0
	v_cvt_i16_f16_e32 v6, v1
.LBB46_1359:
	s_mov_b32 s37, 0
.LBB46_1360:
	s_delay_alu instid0(SALU_CYCLE_1)
	s_and_not1_b32 vcc_lo, exec_lo, s37
	s_cbranch_vccnz .LBB46_1371
; %bb.1361:
	s_cmp_lt_i32 s0, 6
	s_cbranch_scc1 .LBB46_1364
; %bb.1362:
	s_cmp_gt_i32 s0, 6
	s_cbranch_scc0 .LBB46_1365
; %bb.1363:
	s_wait_loadcnt 0x0
	global_load_b64 v[6:7], v[4:5], off
	s_mov_b32 s37, 0
	s_wait_loadcnt 0x0
	v_cvt_i32_f64_e32 v6, v[6:7]
	s_branch .LBB46_1366
.LBB46_1364:
	s_mov_b32 s37, -1
                                        ; implicit-def: $vgpr6
	s_branch .LBB46_1369
.LBB46_1365:
	s_mov_b32 s37, -1
                                        ; implicit-def: $vgpr6
.LBB46_1366:
	s_delay_alu instid0(SALU_CYCLE_1)
	s_and_not1_b32 vcc_lo, exec_lo, s37
	s_cbranch_vccnz .LBB46_1368
; %bb.1367:
	s_wait_loadcnt 0x0
	global_load_b32 v1, v[4:5], off
	s_wait_loadcnt 0x0
	v_cvt_i32_f32_e32 v6, v1
.LBB46_1368:
	s_mov_b32 s37, 0
.LBB46_1369:
	s_delay_alu instid0(SALU_CYCLE_1)
	s_and_not1_b32 vcc_lo, exec_lo, s37
	s_cbranch_vccnz .LBB46_1371
; %bb.1370:
	s_wait_loadcnt 0x0
	global_load_u16 v1, v[4:5], off
	s_wait_loadcnt 0x0
	v_cvt_i16_f16_e32 v6, v1
.LBB46_1371:
	s_mov_b32 s37, 0
.LBB46_1372:
	s_delay_alu instid0(SALU_CYCLE_1)
	s_and_not1_b32 vcc_lo, exec_lo, s37
	s_cbranch_vccnz .LBB46_1392
; %bb.1373:
	s_cmp_lt_i32 s0, 2
	s_cbranch_scc1 .LBB46_1377
; %bb.1374:
	s_cmp_lt_i32 s0, 3
	s_cbranch_scc1 .LBB46_1378
; %bb.1375:
	s_cmp_gt_i32 s0, 3
	s_cbranch_scc0 .LBB46_1379
; %bb.1376:
	s_wait_loadcnt 0x0
	global_load_b64 v[6:7], v[4:5], off
	s_mov_b32 s37, 0
	s_branch .LBB46_1380
.LBB46_1377:
	s_mov_b32 s37, -1
                                        ; implicit-def: $vgpr6
	s_branch .LBB46_1386
.LBB46_1378:
	s_mov_b32 s37, -1
                                        ; implicit-def: $vgpr6
	s_branch .LBB46_1383
.LBB46_1379:
	s_mov_b32 s37, -1
                                        ; implicit-def: $vgpr6
.LBB46_1380:
	s_delay_alu instid0(SALU_CYCLE_1)
	s_and_not1_b32 vcc_lo, exec_lo, s37
	s_cbranch_vccnz .LBB46_1382
; %bb.1381:
	s_wait_loadcnt 0x0
	global_load_b32 v6, v[4:5], off
.LBB46_1382:
	s_mov_b32 s37, 0
.LBB46_1383:
	s_delay_alu instid0(SALU_CYCLE_1)
	s_and_not1_b32 vcc_lo, exec_lo, s37
	s_cbranch_vccnz .LBB46_1385
; %bb.1384:
	s_wait_loadcnt 0x0
	global_load_u16 v6, v[4:5], off
.LBB46_1385:
	s_mov_b32 s37, 0
.LBB46_1386:
	s_delay_alu instid0(SALU_CYCLE_1)
	s_and_not1_b32 vcc_lo, exec_lo, s37
	s_cbranch_vccnz .LBB46_1392
; %bb.1387:
	s_cmp_gt_i32 s0, 0
	s_mov_b32 s0, 0
	s_cbranch_scc0 .LBB46_1389
; %bb.1388:
	s_wait_loadcnt 0x0
	global_load_u8 v6, v[4:5], off
	s_branch .LBB46_1390
.LBB46_1389:
	s_mov_b32 s0, -1
                                        ; implicit-def: $vgpr6
.LBB46_1390:
	s_delay_alu instid0(SALU_CYCLE_1)
	s_and_not1_b32 vcc_lo, exec_lo, s0
	s_cbranch_vccnz .LBB46_1392
; %bb.1391:
	s_wait_loadcnt 0x0
	global_load_u8 v6, v[4:5], off
.LBB46_1392:
	s_mov_b32 s38, -1
.LBB46_1393:
	s_delay_alu instid0(SALU_CYCLE_1)
	s_and_not1_b32 vcc_lo, exec_lo, s38
	s_cbranch_vccnz .LBB46_1401
; %bb.1394:
	s_wait_xcnt 0x0
	v_mul_lo_u32 v4, v26, s12
	s_wait_loadcnt 0x0
	v_mul_lo_u16 v3, v0, s2
	v_mul_lo_u16 v2, v2, s1
	s_and_b32 s37, s18, 0xff
	s_delay_alu instid0(SALU_CYCLE_1) | instskip(NEXT) | instid1(VALU_DEP_1)
	s_cmp_lt_i32 s37, 11
	v_mad_u16 v2, v2, v6, v3
	s_delay_alu instid0(VALU_DEP_4) | instskip(NEXT) | instid1(VALU_DEP_1)
	v_ashrrev_i32_e32 v5, 31, v4
	v_add_nc_u64_e32 v[0:1], s[4:5], v[4:5]
	s_cbranch_scc1 .LBB46_1402
; %bb.1395:
	s_and_b32 s38, 0xffff, s37
	s_delay_alu instid0(SALU_CYCLE_1)
	s_cmp_gt_i32 s38, 25
	s_cbranch_scc0 .LBB46_1403
; %bb.1396:
	s_cmp_gt_i32 s38, 28
	s_cbranch_scc0 .LBB46_1404
; %bb.1397:
	;; [unrolled: 3-line block ×4, first 2 shown]
	s_mov_b32 s40, 0
	s_mov_b32 s0, -1
	s_cmp_eq_u32 s38, 46
	s_mov_b32 s39, 0
	s_cbranch_scc0 .LBB46_1407
; %bb.1400:
	v_bfe_i32 v3, v2, 0, 8
	s_mov_b32 s39, -1
	s_mov_b32 s0, 0
	s_delay_alu instid0(VALU_DEP_1) | instskip(NEXT) | instid1(VALU_DEP_1)
	v_bfe_i32 v3, v3, 0, 16
	v_cvt_f32_i32_e32 v3, v3
	s_delay_alu instid0(VALU_DEP_1) | instskip(NEXT) | instid1(VALU_DEP_1)
	v_bfe_u32 v4, v3, 16, 1
	v_add3_u32 v3, v3, v4, 0x7fff
	s_delay_alu instid0(VALU_DEP_1)
	v_lshrrev_b32_e32 v3, 16, v3
	global_store_b32 v[0:1], v3, off
	s_branch .LBB46_1407
.LBB46_1401:
	s_mov_b32 s38, 0
	s_mov_b32 s0, s28
	s_branch .LBB46_1518
.LBB46_1402:
	s_mov_b32 s38, -1
	s_mov_b32 s39, 0
	s_mov_b32 s0, s28
	s_branch .LBB46_1476
.LBB46_1403:
	s_mov_b32 s40, -1
	s_mov_b32 s39, 0
	s_mov_b32 s0, s28
	s_branch .LBB46_1434
.LBB46_1404:
	s_mov_b32 s40, -1
	s_mov_b32 s39, 0
	s_mov_b32 s0, s28
	s_branch .LBB46_1417
.LBB46_1405:
	s_mov_b32 s40, -1
	s_mov_b32 s39, 0
	s_mov_b32 s0, s28
	s_branch .LBB46_1413
.LBB46_1406:
	s_mov_b32 s40, -1
	s_mov_b32 s39, 0
	s_mov_b32 s0, s28
.LBB46_1407:
	s_and_b32 vcc_lo, exec_lo, s40
	s_cbranch_vccz .LBB46_1412
; %bb.1408:
	s_cmp_eq_u32 s38, 44
	s_mov_b32 s0, -1
	s_cbranch_scc0 .LBB46_1412
; %bb.1409:
	s_wait_xcnt 0x0
	v_bfe_i32 v3, v2, 0, 8
	v_mov_b32_e32 v4, 0xff
	s_mov_b32 s39, exec_lo
	s_delay_alu instid0(VALU_DEP_2) | instskip(NEXT) | instid1(VALU_DEP_1)
	v_bfe_i32 v3, v3, 0, 16
	v_cvt_f32_i32_e32 v3, v3
	s_delay_alu instid0(VALU_DEP_1) | instskip(NEXT) | instid1(VALU_DEP_1)
	v_bfe_u32 v5, v3, 23, 8
	v_cmpx_ne_u32_e32 0xff, v5
	s_cbranch_execz .LBB46_1411
; %bb.1410:
	v_and_b32_e32 v4, 0x400000, v3
	v_and_or_b32 v5, 0x3fffff, v3, v5
	v_lshrrev_b32_e32 v3, 23, v3
	s_delay_alu instid0(VALU_DEP_3) | instskip(NEXT) | instid1(VALU_DEP_3)
	v_cmp_ne_u32_e32 vcc_lo, 0, v4
	v_cmp_ne_u32_e64 s0, 0, v5
	s_and_b32 s0, vcc_lo, s0
	s_delay_alu instid0(SALU_CYCLE_1) | instskip(NEXT) | instid1(VALU_DEP_1)
	v_cndmask_b32_e64 v4, 0, 1, s0
	v_add_nc_u32_e32 v4, v3, v4
.LBB46_1411:
	s_or_b32 exec_lo, exec_lo, s39
	s_mov_b32 s39, -1
	s_mov_b32 s0, 0
	global_store_b8 v[0:1], v4, off
.LBB46_1412:
	s_mov_b32 s40, 0
.LBB46_1413:
	s_delay_alu instid0(SALU_CYCLE_1)
	s_and_b32 vcc_lo, exec_lo, s40
	s_cbranch_vccz .LBB46_1416
; %bb.1414:
	s_cmp_eq_u32 s38, 29
	s_mov_b32 s0, -1
	s_cbranch_scc0 .LBB46_1416
; %bb.1415:
	s_wait_xcnt 0x0
	v_bfe_i32 v4, v2, 0, 8
	s_mov_b32 s39, -1
	s_mov_b32 s0, 0
	s_mov_b32 s40, 0
	s_delay_alu instid0(VALU_DEP_1)
	v_ashrrev_i32_e32 v5, 31, v4
	global_store_b64 v[0:1], v[4:5], off
	s_branch .LBB46_1417
.LBB46_1416:
	s_mov_b32 s40, 0
.LBB46_1417:
	s_delay_alu instid0(SALU_CYCLE_1)
	s_and_b32 vcc_lo, exec_lo, s40
	s_cbranch_vccz .LBB46_1433
; %bb.1418:
	s_cmp_lt_i32 s38, 27
	s_mov_b32 s39, -1
	s_cbranch_scc1 .LBB46_1424
; %bb.1419:
	s_cmp_gt_i32 s38, 27
	s_cbranch_scc0 .LBB46_1421
; %bb.1420:
	s_wait_xcnt 0x0
	v_bfe_i32 v3, v2, 0, 8
	s_mov_b32 s39, 0
	global_store_b32 v[0:1], v3, off
.LBB46_1421:
	s_and_not1_b32 vcc_lo, exec_lo, s39
	s_cbranch_vccnz .LBB46_1423
; %bb.1422:
	s_wait_xcnt 0x0
	v_bfe_i32 v3, v2, 0, 8
	global_store_b16 v[0:1], v3, off
.LBB46_1423:
	s_mov_b32 s39, 0
.LBB46_1424:
	s_delay_alu instid0(SALU_CYCLE_1)
	s_and_not1_b32 vcc_lo, exec_lo, s39
	s_cbranch_vccnz .LBB46_1432
; %bb.1425:
	s_wait_xcnt 0x0
	v_bfe_i32 v3, v2, 0, 8
	v_mov_b32_e32 v5, 0x80
	s_mov_b32 s39, exec_lo
	s_delay_alu instid0(VALU_DEP_2) | instskip(NEXT) | instid1(VALU_DEP_1)
	v_bfe_i32 v3, v3, 0, 16
	v_cvt_f32_i32_e32 v3, v3
	s_delay_alu instid0(VALU_DEP_1) | instskip(NEXT) | instid1(VALU_DEP_1)
	v_and_b32_e32 v4, 0x7fffffff, v3
	v_cmpx_gt_u32_e32 0x43800000, v4
	s_cbranch_execz .LBB46_1431
; %bb.1426:
	v_cmp_lt_u32_e32 vcc_lo, 0x3bffffff, v4
	s_mov_b32 s40, 0
                                        ; implicit-def: $vgpr4
	s_and_saveexec_b32 s41, vcc_lo
	s_delay_alu instid0(SALU_CYCLE_1)
	s_xor_b32 s41, exec_lo, s41
	s_cbranch_execz .LBB46_2655
; %bb.1427:
	v_bfe_u32 v4, v3, 20, 1
	s_mov_b32 s40, exec_lo
	s_delay_alu instid0(VALU_DEP_1) | instskip(NEXT) | instid1(VALU_DEP_1)
	v_add3_u32 v4, v3, v4, 0x487ffff
	v_lshrrev_b32_e32 v4, 20, v4
	s_and_not1_saveexec_b32 s41, s41
	s_cbranch_execnz .LBB46_2656
.LBB46_1428:
	s_or_b32 exec_lo, exec_lo, s41
	v_mov_b32_e32 v5, 0
	s_and_saveexec_b32 s41, s40
.LBB46_1429:
	v_lshrrev_b32_e32 v3, 24, v3
	s_delay_alu instid0(VALU_DEP_1)
	v_and_or_b32 v5, 0x80, v3, v4
.LBB46_1430:
	s_or_b32 exec_lo, exec_lo, s41
.LBB46_1431:
	s_delay_alu instid0(SALU_CYCLE_1)
	s_or_b32 exec_lo, exec_lo, s39
	global_store_b8 v[0:1], v5, off
.LBB46_1432:
	s_mov_b32 s39, -1
.LBB46_1433:
	s_mov_b32 s40, 0
.LBB46_1434:
	s_delay_alu instid0(SALU_CYCLE_1)
	s_and_b32 vcc_lo, exec_lo, s40
	s_cbranch_vccz .LBB46_1475
; %bb.1435:
	s_cmp_gt_i32 s38, 22
	s_mov_b32 s40, -1
	s_cbranch_scc0 .LBB46_1467
; %bb.1436:
	s_cmp_lt_i32 s38, 24
	s_mov_b32 s39, -1
	s_cbranch_scc1 .LBB46_1456
; %bb.1437:
	s_cmp_gt_i32 s38, 24
	s_cbranch_scc0 .LBB46_1445
; %bb.1438:
	s_wait_xcnt 0x0
	v_bfe_i32 v3, v2, 0, 8
	v_mov_b32_e32 v5, 0x80
	s_mov_b32 s39, exec_lo
	s_delay_alu instid0(VALU_DEP_2) | instskip(NEXT) | instid1(VALU_DEP_1)
	v_bfe_i32 v3, v3, 0, 16
	v_cvt_f32_i32_e32 v3, v3
	s_delay_alu instid0(VALU_DEP_1) | instskip(NEXT) | instid1(VALU_DEP_1)
	v_and_b32_e32 v4, 0x7fffffff, v3
	v_cmpx_gt_u32_e32 0x47800000, v4
	s_cbranch_execz .LBB46_1444
; %bb.1439:
	v_cmp_lt_u32_e32 vcc_lo, 0x37ffffff, v4
	s_mov_b32 s40, 0
                                        ; implicit-def: $vgpr4
	s_and_saveexec_b32 s41, vcc_lo
	s_delay_alu instid0(SALU_CYCLE_1)
	s_xor_b32 s41, exec_lo, s41
	s_cbranch_execz .LBB46_2784
; %bb.1440:
	v_bfe_u32 v4, v3, 21, 1
	s_mov_b32 s40, exec_lo
	s_delay_alu instid0(VALU_DEP_1) | instskip(NEXT) | instid1(VALU_DEP_1)
	v_add3_u32 v4, v3, v4, 0x88fffff
	v_lshrrev_b32_e32 v4, 21, v4
	s_and_not1_saveexec_b32 s41, s41
	s_cbranch_execnz .LBB46_2785
.LBB46_1441:
	s_or_b32 exec_lo, exec_lo, s41
	v_mov_b32_e32 v5, 0
	s_and_saveexec_b32 s41, s40
.LBB46_1442:
	v_lshrrev_b32_e32 v3, 24, v3
	s_delay_alu instid0(VALU_DEP_1)
	v_and_or_b32 v5, 0x80, v3, v4
.LBB46_1443:
	s_or_b32 exec_lo, exec_lo, s41
.LBB46_1444:
	s_delay_alu instid0(SALU_CYCLE_1)
	s_or_b32 exec_lo, exec_lo, s39
	s_mov_b32 s39, 0
	global_store_b8 v[0:1], v5, off
.LBB46_1445:
	s_and_b32 vcc_lo, exec_lo, s39
	s_cbranch_vccz .LBB46_1455
; %bb.1446:
	s_wait_xcnt 0x0
	v_bfe_i32 v3, v2, 0, 8
	s_mov_b32 s39, exec_lo
                                        ; implicit-def: $vgpr4
	s_delay_alu instid0(VALU_DEP_1) | instskip(NEXT) | instid1(VALU_DEP_1)
	v_bfe_i32 v3, v3, 0, 16
	v_cvt_f32_i32_e32 v3, v3
	s_delay_alu instid0(VALU_DEP_1) | instskip(NEXT) | instid1(VALU_DEP_1)
	v_and_b32_e32 v5, 0x7fffffff, v3
	v_cmpx_gt_u32_e32 0x43f00000, v5
	s_xor_b32 s39, exec_lo, s39
	s_cbranch_execz .LBB46_1452
; %bb.1447:
	s_mov_b32 s40, exec_lo
                                        ; implicit-def: $vgpr4
	v_cmpx_lt_u32_e32 0x3c7fffff, v5
	s_xor_b32 s40, exec_lo, s40
; %bb.1448:
	v_bfe_u32 v4, v3, 20, 1
	s_delay_alu instid0(VALU_DEP_1) | instskip(NEXT) | instid1(VALU_DEP_1)
	v_add3_u32 v4, v3, v4, 0x407ffff
	v_and_b32_e32 v5, 0xff00000, v4
	v_lshrrev_b32_e32 v4, 20, v4
	s_delay_alu instid0(VALU_DEP_2) | instskip(NEXT) | instid1(VALU_DEP_2)
	v_cmp_ne_u32_e32 vcc_lo, 0x7f00000, v5
	v_cndmask_b32_e32 v4, 0x7e, v4, vcc_lo
; %bb.1449:
	s_and_not1_saveexec_b32 s40, s40
; %bb.1450:
	v_add_f32_e64 v4, 0x46800000, |v3|
; %bb.1451:
	s_or_b32 exec_lo, exec_lo, s40
                                        ; implicit-def: $vgpr5
.LBB46_1452:
	s_and_not1_saveexec_b32 s39, s39
; %bb.1453:
	v_mov_b32_e32 v4, 0x7f
	v_cmp_lt_u32_e32 vcc_lo, 0x7f800000, v5
	s_delay_alu instid0(VALU_DEP_2)
	v_cndmask_b32_e32 v4, 0x7e, v4, vcc_lo
; %bb.1454:
	s_or_b32 exec_lo, exec_lo, s39
	v_lshrrev_b32_e32 v3, 24, v3
	s_delay_alu instid0(VALU_DEP_1)
	v_and_or_b32 v3, 0x80, v3, v4
	global_store_b8 v[0:1], v3, off
.LBB46_1455:
	s_mov_b32 s39, 0
.LBB46_1456:
	s_delay_alu instid0(SALU_CYCLE_1)
	s_and_not1_b32 vcc_lo, exec_lo, s39
	s_cbranch_vccnz .LBB46_1466
; %bb.1457:
	s_wait_xcnt 0x0
	v_bfe_i32 v3, v2, 0, 8
	s_mov_b32 s39, exec_lo
                                        ; implicit-def: $vgpr4
	s_delay_alu instid0(VALU_DEP_1) | instskip(NEXT) | instid1(VALU_DEP_1)
	v_bfe_i32 v3, v3, 0, 16
	v_cvt_f32_i32_e32 v3, v3
	s_delay_alu instid0(VALU_DEP_1) | instskip(NEXT) | instid1(VALU_DEP_1)
	v_and_b32_e32 v5, 0x7fffffff, v3
	v_cmpx_gt_u32_e32 0x47800000, v5
	s_xor_b32 s39, exec_lo, s39
	s_cbranch_execz .LBB46_1463
; %bb.1458:
	s_mov_b32 s40, exec_lo
                                        ; implicit-def: $vgpr4
	v_cmpx_lt_u32_e32 0x387fffff, v5
	s_xor_b32 s40, exec_lo, s40
; %bb.1459:
	v_bfe_u32 v4, v3, 21, 1
	s_delay_alu instid0(VALU_DEP_1) | instskip(NEXT) | instid1(VALU_DEP_1)
	v_add3_u32 v4, v3, v4, 0x80fffff
	v_lshrrev_b32_e32 v4, 21, v4
; %bb.1460:
	s_and_not1_saveexec_b32 s40, s40
; %bb.1461:
	v_add_f32_e64 v4, 0x43000000, |v3|
; %bb.1462:
	s_or_b32 exec_lo, exec_lo, s40
                                        ; implicit-def: $vgpr5
.LBB46_1463:
	s_and_not1_saveexec_b32 s39, s39
; %bb.1464:
	v_mov_b32_e32 v4, 0x7f
	v_cmp_lt_u32_e32 vcc_lo, 0x7f800000, v5
	s_delay_alu instid0(VALU_DEP_2)
	v_cndmask_b32_e32 v4, 0x7c, v4, vcc_lo
; %bb.1465:
	s_or_b32 exec_lo, exec_lo, s39
	v_lshrrev_b32_e32 v3, 24, v3
	s_delay_alu instid0(VALU_DEP_1)
	v_and_or_b32 v3, 0x80, v3, v4
	global_store_b8 v[0:1], v3, off
.LBB46_1466:
	s_mov_b32 s40, 0
	s_mov_b32 s39, -1
.LBB46_1467:
	s_and_not1_b32 vcc_lo, exec_lo, s40
	s_cbranch_vccnz .LBB46_1475
; %bb.1468:
	s_cmp_gt_i32 s38, 14
	s_mov_b32 s40, -1
	s_cbranch_scc0 .LBB46_1472
; %bb.1469:
	s_cmp_eq_u32 s38, 15
	s_mov_b32 s0, -1
	s_cbranch_scc0 .LBB46_1471
; %bb.1470:
	s_wait_xcnt 0x0
	v_bfe_i32 v3, v2, 0, 8
	s_mov_b32 s39, -1
	s_mov_b32 s0, 0
	s_delay_alu instid0(VALU_DEP_1) | instskip(NEXT) | instid1(VALU_DEP_1)
	v_bfe_i32 v3, v3, 0, 16
	v_cvt_f32_i32_e32 v3, v3
	s_delay_alu instid0(VALU_DEP_1) | instskip(NEXT) | instid1(VALU_DEP_1)
	v_bfe_u32 v4, v3, 16, 1
	v_add3_u32 v3, v3, v4, 0x7fff
	global_store_d16_hi_b16 v[0:1], v3, off
.LBB46_1471:
	s_mov_b32 s40, 0
.LBB46_1472:
	s_delay_alu instid0(SALU_CYCLE_1)
	s_and_b32 vcc_lo, exec_lo, s40
	s_cbranch_vccz .LBB46_1475
; %bb.1473:
	s_cmp_eq_u32 s38, 11
	s_mov_b32 s0, -1
	s_cbranch_scc0 .LBB46_1475
; %bb.1474:
	s_wait_xcnt 0x0
	v_and_b32_e32 v3, 0xff, v2
	s_mov_b32 s0, 0
	s_mov_b32 s39, -1
	s_delay_alu instid0(VALU_DEP_1)
	v_cmp_ne_u16_e32 vcc_lo, 0, v3
	v_cndmask_b32_e64 v3, 0, 1, vcc_lo
	global_store_b8 v[0:1], v3, off
.LBB46_1475:
	s_mov_b32 s38, 0
.LBB46_1476:
	s_delay_alu instid0(SALU_CYCLE_1)
	s_and_b32 vcc_lo, exec_lo, s38
	s_cbranch_vccz .LBB46_1515
; %bb.1477:
	s_and_b32 s37, 0xffff, s37
	s_mov_b32 s38, -1
	s_cmp_lt_i32 s37, 5
	s_cbranch_scc1 .LBB46_1498
; %bb.1478:
	s_cmp_lt_i32 s37, 8
	s_cbranch_scc1 .LBB46_1488
; %bb.1479:
	;; [unrolled: 3-line block ×3, first 2 shown]
	s_cmp_gt_i32 s37, 9
	s_cbranch_scc0 .LBB46_1482
; %bb.1481:
	s_wait_xcnt 0x0
	v_bfe_i32 v3, v2, 0, 8
	v_mov_b32_e32 v6, 0
	s_mov_b32 s38, 0
	s_delay_alu instid0(VALU_DEP_2) | instskip(NEXT) | instid1(VALU_DEP_2)
	v_bfe_i32 v3, v3, 0, 16
	v_mov_b32_e32 v7, v6
	s_delay_alu instid0(VALU_DEP_2)
	v_cvt_f64_i32_e32 v[4:5], v3
	global_store_b128 v[0:1], v[4:7], off
.LBB46_1482:
	s_and_not1_b32 vcc_lo, exec_lo, s38
	s_cbranch_vccnz .LBB46_1484
; %bb.1483:
	s_wait_xcnt 0x0
	v_bfe_i32 v3, v2, 0, 8
	v_mov_b32_e32 v5, 0
	s_delay_alu instid0(VALU_DEP_2) | instskip(NEXT) | instid1(VALU_DEP_1)
	v_bfe_i32 v3, v3, 0, 16
	v_cvt_f32_i32_e32 v4, v3
	global_store_b64 v[0:1], v[4:5], off
.LBB46_1484:
	s_mov_b32 s38, 0
.LBB46_1485:
	s_delay_alu instid0(SALU_CYCLE_1)
	s_and_not1_b32 vcc_lo, exec_lo, s38
	s_cbranch_vccnz .LBB46_1487
; %bb.1486:
	s_wait_xcnt 0x0
	v_bfe_i32 v3, v2, 0, 8
	s_delay_alu instid0(VALU_DEP_1) | instskip(NEXT) | instid1(VALU_DEP_1)
	v_cvt_f16_i16_e32 v3, v3
	v_and_b32_e32 v3, 0xffff, v3
	global_store_b32 v[0:1], v3, off
.LBB46_1487:
	s_mov_b32 s38, 0
.LBB46_1488:
	s_delay_alu instid0(SALU_CYCLE_1)
	s_and_not1_b32 vcc_lo, exec_lo, s38
	s_cbranch_vccnz .LBB46_1497
; %bb.1489:
	s_cmp_lt_i32 s37, 6
	s_mov_b32 s38, -1
	s_cbranch_scc1 .LBB46_1495
; %bb.1490:
	s_cmp_gt_i32 s37, 6
	s_cbranch_scc0 .LBB46_1492
; %bb.1491:
	s_wait_xcnt 0x0
	v_bfe_i32 v3, v2, 0, 8
	s_mov_b32 s38, 0
	s_delay_alu instid0(VALU_DEP_1) | instskip(NEXT) | instid1(VALU_DEP_1)
	v_bfe_i32 v3, v3, 0, 16
	v_cvt_f64_i32_e32 v[4:5], v3
	global_store_b64 v[0:1], v[4:5], off
.LBB46_1492:
	s_and_not1_b32 vcc_lo, exec_lo, s38
	s_cbranch_vccnz .LBB46_1494
; %bb.1493:
	s_wait_xcnt 0x0
	v_bfe_i32 v3, v2, 0, 8
	s_delay_alu instid0(VALU_DEP_1) | instskip(NEXT) | instid1(VALU_DEP_1)
	v_bfe_i32 v3, v3, 0, 16
	v_cvt_f32_i32_e32 v3, v3
	global_store_b32 v[0:1], v3, off
.LBB46_1494:
	s_mov_b32 s38, 0
.LBB46_1495:
	s_delay_alu instid0(SALU_CYCLE_1)
	s_and_not1_b32 vcc_lo, exec_lo, s38
	s_cbranch_vccnz .LBB46_1497
; %bb.1496:
	s_wait_xcnt 0x0
	v_bfe_i32 v3, v2, 0, 8
	s_delay_alu instid0(VALU_DEP_1)
	v_cvt_f16_i16_e32 v3, v3
	global_store_b16 v[0:1], v3, off
.LBB46_1497:
	s_mov_b32 s38, 0
.LBB46_1498:
	s_delay_alu instid0(SALU_CYCLE_1)
	s_and_not1_b32 vcc_lo, exec_lo, s38
	s_cbranch_vccnz .LBB46_1514
; %bb.1499:
	s_cmp_lt_i32 s37, 2
	s_mov_b32 s38, -1
	s_cbranch_scc1 .LBB46_1509
; %bb.1500:
	s_cmp_lt_i32 s37, 3
	s_cbranch_scc1 .LBB46_1506
; %bb.1501:
	s_cmp_gt_i32 s37, 3
	s_cbranch_scc0 .LBB46_1503
; %bb.1502:
	s_wait_xcnt 0x0
	v_bfe_i32 v4, v2, 0, 8
	s_mov_b32 s38, 0
	s_delay_alu instid0(VALU_DEP_1)
	v_ashrrev_i32_e32 v5, 31, v4
	global_store_b64 v[0:1], v[4:5], off
.LBB46_1503:
	s_and_not1_b32 vcc_lo, exec_lo, s38
	s_cbranch_vccnz .LBB46_1505
; %bb.1504:
	s_wait_xcnt 0x0
	v_bfe_i32 v3, v2, 0, 8
	global_store_b32 v[0:1], v3, off
.LBB46_1505:
	s_mov_b32 s38, 0
.LBB46_1506:
	s_delay_alu instid0(SALU_CYCLE_1)
	s_and_not1_b32 vcc_lo, exec_lo, s38
	s_cbranch_vccnz .LBB46_1508
; %bb.1507:
	s_wait_xcnt 0x0
	v_bfe_i32 v3, v2, 0, 8
	global_store_b16 v[0:1], v3, off
.LBB46_1508:
	s_mov_b32 s38, 0
.LBB46_1509:
	s_delay_alu instid0(SALU_CYCLE_1)
	s_and_not1_b32 vcc_lo, exec_lo, s38
	s_cbranch_vccnz .LBB46_1514
; %bb.1510:
	s_cmp_gt_i32 s37, 0
	s_mov_b32 s37, -1
	s_cbranch_scc0 .LBB46_1512
; %bb.1511:
	s_mov_b32 s37, 0
	global_store_b8 v[0:1], v2, off
.LBB46_1512:
	s_and_not1_b32 vcc_lo, exec_lo, s37
	s_cbranch_vccnz .LBB46_1514
; %bb.1513:
	global_store_b8 v[0:1], v2, off
.LBB46_1514:
	s_mov_b32 s39, -1
.LBB46_1515:
	s_delay_alu instid0(SALU_CYCLE_1)
	s_and_not1_b32 vcc_lo, exec_lo, s39
	s_cbranch_vccnz .LBB46_1517
; %bb.1516:
	v_add_nc_u32_e32 v26, 0x80, v26
	s_mov_b32 s38, -1
	s_branch .LBB46_1519
.LBB46_1517:
	s_mov_b32 s38, 0
.LBB46_1518:
                                        ; implicit-def: $vgpr26
.LBB46_1519:
	s_and_not1_b32 s37, s28, exec_lo
	s_and_b32 s0, s0, exec_lo
	s_and_not1_b32 s39, s29, exec_lo
	s_and_b32 s36, s36, exec_lo
	s_or_b32 s37, s37, s0
	s_or_b32 s36, s39, s36
	s_and_not1_b32 s0, s30, exec_lo
	s_and_b32 s35, s35, exec_lo
	s_and_not1_b32 s39, s27, exec_lo
	s_and_b32 s34, s34, exec_lo
	s_or_b32 s35, s0, s35
	s_or_b32 s34, s39, s34
	s_or_not1_b32 s41, s38, exec_lo
.LBB46_1520:
	s_wait_xcnt 0x0
	s_or_b32 exec_lo, exec_lo, s33
	s_mov_b32 s38, 0
	s_mov_b32 s39, 0
	;; [unrolled: 1-line block ×3, first 2 shown]
                                        ; implicit-def: $sgpr0
                                        ; implicit-def: $vgpr2_vgpr3
                                        ; implicit-def: $vgpr0
	s_and_saveexec_b32 s33, s41
	s_cbranch_execz .LBB46_1597
; %bb.1521:
	v_cmp_gt_i32_e32 vcc_lo, s22, v26
	s_mov_b32 s42, s34
	s_mov_b32 s41, 0
	;; [unrolled: 1-line block ×3, first 2 shown]
                                        ; implicit-def: $sgpr0
                                        ; implicit-def: $vgpr2_vgpr3
                                        ; implicit-def: $vgpr0
	s_and_saveexec_b32 s22, vcc_lo
	s_cbranch_execz .LBB46_1596
; %bb.1522:
	s_wait_loadcnt 0x0
	v_mul_lo_u32 v0, v26, s13
	s_and_b32 s0, s16, 0xff
	s_delay_alu instid0(SALU_CYCLE_1) | instskip(NEXT) | instid1(VALU_DEP_1)
	s_cmp_lt_i32 s0, 11
	v_ashrrev_i32_e32 v1, 31, v0
	s_delay_alu instid0(VALU_DEP_1)
	v_add_nc_u64_e32 v[2:3], s[6:7], v[0:1]
	s_cbranch_scc1 .LBB46_1529
; %bb.1523:
	s_and_b32 s38, 0xffff, s0
	s_delay_alu instid0(SALU_CYCLE_1)
	s_cmp_gt_i32 s38, 25
	s_cbranch_scc0 .LBB46_1530
; %bb.1524:
	s_cmp_gt_i32 s38, 28
	s_cbranch_scc0 .LBB46_1531
; %bb.1525:
	;; [unrolled: 3-line block ×4, first 2 shown]
	s_cmp_eq_u32 s38, 46
	s_mov_b32 s42, 0
	s_cbranch_scc0 .LBB46_1534
; %bb.1528:
	global_load_b32 v0, v[2:3], off
	s_mov_b32 s41, -1
	s_wait_loadcnt 0x0
	v_lshlrev_b32_e32 v0, 16, v0
	s_delay_alu instid0(VALU_DEP_1)
	v_cvt_i32_f32_e32 v0, v0
	s_branch .LBB46_1536
.LBB46_1529:
	s_mov_b32 s38, -1
	s_mov_b32 s39, s34
                                        ; implicit-def: $vgpr0
	s_branch .LBB46_1595
.LBB46_1530:
	s_mov_b32 s42, -1
	s_mov_b32 s39, s34
                                        ; implicit-def: $vgpr0
	s_branch .LBB46_1563
.LBB46_1531:
	s_mov_b32 s42, -1
	s_mov_b32 s39, s34
                                        ; implicit-def: $vgpr0
	s_branch .LBB46_1546
.LBB46_1532:
	s_mov_b32 s42, -1
	s_mov_b32 s39, s34
                                        ; implicit-def: $vgpr0
	s_branch .LBB46_1541
.LBB46_1533:
	s_mov_b32 s42, -1
	s_mov_b32 s39, s34
	s_branch .LBB46_1535
.LBB46_1534:
	s_mov_b32 s39, -1
.LBB46_1535:
                                        ; implicit-def: $vgpr0
.LBB46_1536:
	s_and_b32 vcc_lo, exec_lo, s42
	s_cbranch_vccz .LBB46_1540
; %bb.1537:
	s_cmp_eq_u32 s38, 44
	s_cbranch_scc0 .LBB46_1539
; %bb.1538:
	global_load_u8 v0, v[2:3], off
	s_mov_b32 s39, 0
	s_mov_b32 s41, -1
	s_wait_loadcnt 0x0
	v_lshlrev_b32_e32 v1, 23, v0
	v_cmp_ne_u32_e32 vcc_lo, 0, v0
	s_delay_alu instid0(VALU_DEP_2) | instskip(NEXT) | instid1(VALU_DEP_1)
	v_cvt_i32_f32_e32 v1, v1
	v_cndmask_b32_e32 v0, 0, v1, vcc_lo
	s_branch .LBB46_1540
.LBB46_1539:
	s_mov_b32 s39, -1
                                        ; implicit-def: $vgpr0
.LBB46_1540:
	s_mov_b32 s42, 0
.LBB46_1541:
	s_delay_alu instid0(SALU_CYCLE_1)
	s_and_b32 vcc_lo, exec_lo, s42
	s_cbranch_vccz .LBB46_1545
; %bb.1542:
	s_cmp_eq_u32 s38, 29
	s_cbranch_scc0 .LBB46_1544
; %bb.1543:
	global_load_b64 v[0:1], v[2:3], off
	s_mov_b32 s39, 0
	s_mov_b32 s41, -1
	s_branch .LBB46_1545
.LBB46_1544:
	s_mov_b32 s39, -1
                                        ; implicit-def: $vgpr0
.LBB46_1545:
	s_mov_b32 s42, 0
.LBB46_1546:
	s_delay_alu instid0(SALU_CYCLE_1)
	s_and_b32 vcc_lo, exec_lo, s42
	s_cbranch_vccz .LBB46_1562
; %bb.1547:
	s_cmp_lt_i32 s38, 27
	s_cbranch_scc1 .LBB46_1550
; %bb.1548:
	s_cmp_gt_i32 s38, 27
	s_cbranch_scc0 .LBB46_1551
; %bb.1549:
	s_wait_loadcnt 0x0
	global_load_b32 v0, v[2:3], off
	s_mov_b32 s41, 0
	s_branch .LBB46_1552
.LBB46_1550:
	s_mov_b32 s41, -1
                                        ; implicit-def: $vgpr0
	s_branch .LBB46_1555
.LBB46_1551:
	s_mov_b32 s41, -1
                                        ; implicit-def: $vgpr0
.LBB46_1552:
	s_delay_alu instid0(SALU_CYCLE_1)
	s_and_not1_b32 vcc_lo, exec_lo, s41
	s_cbranch_vccnz .LBB46_1554
; %bb.1553:
	s_wait_loadcnt 0x0
	global_load_u16 v0, v[2:3], off
.LBB46_1554:
	s_mov_b32 s41, 0
.LBB46_1555:
	s_delay_alu instid0(SALU_CYCLE_1)
	s_and_not1_b32 vcc_lo, exec_lo, s41
	s_cbranch_vccnz .LBB46_1561
; %bb.1556:
	s_wait_loadcnt 0x0
	global_load_u8 v1, v[2:3], off
	s_mov_b32 s42, 0
	s_mov_b32 s41, exec_lo
	s_wait_loadcnt 0x0
	v_cmpx_lt_i16_e32 0x7f, v1
	s_xor_b32 s41, exec_lo, s41
	s_cbranch_execz .LBB46_1573
; %bb.1557:
	v_cmp_ne_u16_e32 vcc_lo, 0x80, v1
	s_and_b32 s42, vcc_lo, exec_lo
	s_and_not1_saveexec_b32 s41, s41
	s_cbranch_execnz .LBB46_1574
.LBB46_1558:
	s_or_b32 exec_lo, exec_lo, s41
	v_mov_b32_e32 v0, 0
	s_and_saveexec_b32 s41, s42
	s_cbranch_execz .LBB46_1560
.LBB46_1559:
	v_and_b32_e32 v0, 0xffff, v1
	s_delay_alu instid0(VALU_DEP_1) | instskip(SKIP_1) | instid1(VALU_DEP_2)
	v_and_b32_e32 v4, 7, v0
	v_bfe_u32 v7, v0, 3, 4
	v_clz_i32_u32_e32 v5, v4
	s_delay_alu instid0(VALU_DEP_2) | instskip(NEXT) | instid1(VALU_DEP_2)
	v_cmp_eq_u32_e32 vcc_lo, 0, v7
	v_min_u32_e32 v5, 32, v5
	s_delay_alu instid0(VALU_DEP_1) | instskip(NEXT) | instid1(VALU_DEP_1)
	v_subrev_nc_u32_e32 v6, 28, v5
	v_dual_lshlrev_b32 v0, v6, v0 :: v_dual_sub_nc_u32 v5, 29, v5
	s_delay_alu instid0(VALU_DEP_1) | instskip(NEXT) | instid1(VALU_DEP_1)
	v_dual_lshlrev_b32 v1, 24, v1 :: v_dual_bitop2_b32 v0, 7, v0 bitop3:0x40
	v_dual_cndmask_b32 v0, v4, v0 :: v_dual_cndmask_b32 v5, v7, v5
	s_delay_alu instid0(VALU_DEP_2) | instskip(NEXT) | instid1(VALU_DEP_2)
	v_and_b32_e32 v1, 0x80000000, v1
	v_lshlrev_b32_e32 v0, 20, v0
	s_delay_alu instid0(VALU_DEP_3) | instskip(NEXT) | instid1(VALU_DEP_1)
	v_lshl_add_u32 v4, v5, 23, 0x3b800000
	v_or3_b32 v0, v1, v4, v0
	s_delay_alu instid0(VALU_DEP_1)
	v_cvt_i32_f32_e32 v0, v0
.LBB46_1560:
	s_or_b32 exec_lo, exec_lo, s41
.LBB46_1561:
	s_mov_b32 s41, -1
.LBB46_1562:
	s_mov_b32 s42, 0
.LBB46_1563:
	s_delay_alu instid0(SALU_CYCLE_1)
	s_and_b32 vcc_lo, exec_lo, s42
	s_cbranch_vccz .LBB46_1594
; %bb.1564:
	s_cmp_gt_i32 s38, 22
	s_cbranch_scc0 .LBB46_1572
; %bb.1565:
	s_cmp_lt_i32 s38, 24
	s_cbranch_scc1 .LBB46_1575
; %bb.1566:
	s_cmp_gt_i32 s38, 24
	s_cbranch_scc0 .LBB46_1576
; %bb.1567:
	s_wait_loadcnt 0x0
	global_load_u8 v1, v[2:3], off
	s_mov_b32 s41, 0
	s_mov_b32 s40, exec_lo
	s_wait_loadcnt 0x0
	v_cmpx_lt_i16_e32 0x7f, v1
	s_xor_b32 s40, exec_lo, s40
	s_cbranch_execz .LBB46_1588
; %bb.1568:
	v_cmp_ne_u16_e32 vcc_lo, 0x80, v1
	s_and_b32 s41, vcc_lo, exec_lo
	s_and_not1_saveexec_b32 s40, s40
	s_cbranch_execnz .LBB46_1589
.LBB46_1569:
	s_or_b32 exec_lo, exec_lo, s40
	v_mov_b32_e32 v0, 0
	s_and_saveexec_b32 s40, s41
	s_cbranch_execz .LBB46_1571
.LBB46_1570:
	v_and_b32_e32 v0, 0xffff, v1
	s_delay_alu instid0(VALU_DEP_1) | instskip(SKIP_1) | instid1(VALU_DEP_2)
	v_and_b32_e32 v4, 3, v0
	v_bfe_u32 v7, v0, 2, 5
	v_clz_i32_u32_e32 v5, v4
	s_delay_alu instid0(VALU_DEP_2) | instskip(NEXT) | instid1(VALU_DEP_2)
	v_cmp_eq_u32_e32 vcc_lo, 0, v7
	v_min_u32_e32 v5, 32, v5
	s_delay_alu instid0(VALU_DEP_1) | instskip(NEXT) | instid1(VALU_DEP_1)
	v_subrev_nc_u32_e32 v6, 29, v5
	v_dual_lshlrev_b32 v0, v6, v0 :: v_dual_sub_nc_u32 v5, 30, v5
	s_delay_alu instid0(VALU_DEP_1) | instskip(NEXT) | instid1(VALU_DEP_1)
	v_dual_lshlrev_b32 v1, 24, v1 :: v_dual_bitop2_b32 v0, 3, v0 bitop3:0x40
	v_dual_cndmask_b32 v0, v4, v0 :: v_dual_cndmask_b32 v5, v7, v5
	s_delay_alu instid0(VALU_DEP_2) | instskip(NEXT) | instid1(VALU_DEP_2)
	v_and_b32_e32 v1, 0x80000000, v1
	v_lshlrev_b32_e32 v0, 21, v0
	s_delay_alu instid0(VALU_DEP_3) | instskip(NEXT) | instid1(VALU_DEP_1)
	v_lshl_add_u32 v4, v5, 23, 0x37800000
	v_or3_b32 v0, v1, v4, v0
	s_delay_alu instid0(VALU_DEP_1)
	v_cvt_i32_f32_e32 v0, v0
.LBB46_1571:
	s_or_b32 exec_lo, exec_lo, s40
	s_mov_b32 s40, 0
	s_branch .LBB46_1577
.LBB46_1572:
	s_mov_b32 s40, -1
                                        ; implicit-def: $vgpr0
	s_branch .LBB46_1583
.LBB46_1573:
	s_and_not1_saveexec_b32 s41, s41
	s_cbranch_execz .LBB46_1558
.LBB46_1574:
	v_cmp_ne_u16_e32 vcc_lo, 0, v1
	s_and_not1_b32 s42, s42, exec_lo
	s_and_b32 s43, vcc_lo, exec_lo
	s_delay_alu instid0(SALU_CYCLE_1)
	s_or_b32 s42, s42, s43
	s_or_b32 exec_lo, exec_lo, s41
	v_mov_b32_e32 v0, 0
	s_and_saveexec_b32 s41, s42
	s_cbranch_execnz .LBB46_1559
	s_branch .LBB46_1560
.LBB46_1575:
	s_mov_b32 s40, -1
                                        ; implicit-def: $vgpr0
	s_branch .LBB46_1580
.LBB46_1576:
	s_mov_b32 s40, -1
                                        ; implicit-def: $vgpr0
.LBB46_1577:
	s_delay_alu instid0(SALU_CYCLE_1)
	s_and_b32 vcc_lo, exec_lo, s40
	s_cbranch_vccz .LBB46_1579
; %bb.1578:
	s_wait_loadcnt 0x0
	global_load_u8 v0, v[2:3], off
	s_wait_loadcnt 0x0
	v_lshlrev_b32_e32 v0, 24, v0
	s_delay_alu instid0(VALU_DEP_1) | instskip(NEXT) | instid1(VALU_DEP_1)
	v_and_b32_e32 v1, 0x7f000000, v0
	v_clz_i32_u32_e32 v4, v1
	v_cmp_ne_u32_e32 vcc_lo, 0, v1
	v_add_nc_u32_e32 v6, 0x1000000, v1
	s_delay_alu instid0(VALU_DEP_3) | instskip(NEXT) | instid1(VALU_DEP_1)
	v_min_u32_e32 v4, 32, v4
	v_sub_nc_u32_e64 v4, v4, 4 clamp
	s_delay_alu instid0(VALU_DEP_1) | instskip(NEXT) | instid1(VALU_DEP_1)
	v_dual_lshlrev_b32 v5, v4, v1 :: v_dual_lshlrev_b32 v4, 23, v4
	v_lshrrev_b32_e32 v5, 4, v5
	s_delay_alu instid0(VALU_DEP_1) | instskip(NEXT) | instid1(VALU_DEP_1)
	v_dual_sub_nc_u32 v4, v5, v4 :: v_dual_ashrrev_i32 v5, 8, v6
	v_add_nc_u32_e32 v4, 0x3c000000, v4
	s_delay_alu instid0(VALU_DEP_1) | instskip(NEXT) | instid1(VALU_DEP_1)
	v_and_or_b32 v4, 0x7f800000, v5, v4
	v_cndmask_b32_e32 v1, 0, v4, vcc_lo
	s_delay_alu instid0(VALU_DEP_1) | instskip(NEXT) | instid1(VALU_DEP_1)
	v_and_or_b32 v0, 0x80000000, v0, v1
	v_cvt_i32_f32_e32 v0, v0
.LBB46_1579:
	s_mov_b32 s40, 0
.LBB46_1580:
	s_delay_alu instid0(SALU_CYCLE_1)
	s_and_not1_b32 vcc_lo, exec_lo, s40
	s_cbranch_vccnz .LBB46_1582
; %bb.1581:
	s_wait_loadcnt 0x0
	global_load_u8 v0, v[2:3], off
	s_wait_loadcnt 0x0
	v_lshlrev_b32_e32 v1, 25, v0
	v_lshlrev_b16 v0, 8, v0
	s_delay_alu instid0(VALU_DEP_1) | instskip(SKIP_1) | instid1(VALU_DEP_2)
	v_and_or_b32 v5, 0x7f00, v0, 0.5
	v_bfe_i32 v0, v0, 0, 16
	v_add_f32_e32 v5, -0.5, v5
	v_lshrrev_b32_e32 v4, 4, v1
	v_cmp_gt_u32_e32 vcc_lo, 0x8000000, v1
	s_delay_alu instid0(VALU_DEP_2) | instskip(NEXT) | instid1(VALU_DEP_1)
	v_or_b32_e32 v4, 0x70000000, v4
	v_mul_f32_e32 v4, 0x7800000, v4
	s_delay_alu instid0(VALU_DEP_1) | instskip(NEXT) | instid1(VALU_DEP_1)
	v_cndmask_b32_e32 v1, v4, v5, vcc_lo
	v_and_or_b32 v0, 0x80000000, v0, v1
	s_delay_alu instid0(VALU_DEP_1)
	v_cvt_i32_f32_e32 v0, v0
.LBB46_1582:
	s_mov_b32 s40, 0
	s_mov_b32 s41, -1
.LBB46_1583:
	s_and_not1_b32 vcc_lo, exec_lo, s40
	s_mov_b32 s40, 0
	s_cbranch_vccnz .LBB46_1594
; %bb.1584:
	s_cmp_gt_i32 s38, 14
	s_cbranch_scc0 .LBB46_1587
; %bb.1585:
	s_cmp_eq_u32 s38, 15
	s_cbranch_scc0 .LBB46_1590
; %bb.1586:
	s_wait_loadcnt 0x0
	global_load_u16 v0, v[2:3], off
	s_mov_b32 s39, 0
	s_mov_b32 s41, -1
	s_wait_loadcnt 0x0
	v_lshlrev_b32_e32 v0, 16, v0
	s_delay_alu instid0(VALU_DEP_1)
	v_cvt_i32_f32_e32 v0, v0
	s_branch .LBB46_1592
.LBB46_1587:
	s_mov_b32 s40, -1
	s_branch .LBB46_1591
.LBB46_1588:
	s_and_not1_saveexec_b32 s40, s40
	s_cbranch_execz .LBB46_1569
.LBB46_1589:
	v_cmp_ne_u16_e32 vcc_lo, 0, v1
	s_and_not1_b32 s41, s41, exec_lo
	s_and_b32 s42, vcc_lo, exec_lo
	s_delay_alu instid0(SALU_CYCLE_1)
	s_or_b32 s41, s41, s42
	s_or_b32 exec_lo, exec_lo, s40
	v_mov_b32_e32 v0, 0
	s_and_saveexec_b32 s40, s41
	s_cbranch_execnz .LBB46_1570
	s_branch .LBB46_1571
.LBB46_1590:
	s_mov_b32 s39, -1
.LBB46_1591:
                                        ; implicit-def: $vgpr0
.LBB46_1592:
	s_and_b32 vcc_lo, exec_lo, s40
	s_mov_b32 s40, 0
	s_cbranch_vccz .LBB46_1594
; %bb.1593:
	s_cmp_lg_u32 s38, 11
	s_mov_b32 s40, -1
	s_cselect_b32 s38, -1, 0
	s_and_not1_b32 s39, s39, exec_lo
	s_and_b32 s38, s38, exec_lo
	s_delay_alu instid0(SALU_CYCLE_1)
	s_or_b32 s39, s39, s38
.LBB46_1594:
	s_mov_b32 s38, 0
.LBB46_1595:
	s_and_not1_b32 s42, s34, exec_lo
	s_and_b32 s39, s39, exec_lo
	s_and_b32 s43, s41, exec_lo
	;; [unrolled: 1-line block ×4, first 2 shown]
	s_or_b32 s42, s42, s39
.LBB46_1596:
	s_wait_xcnt 0x0
	s_or_b32 exec_lo, exec_lo, s22
	s_delay_alu instid0(SALU_CYCLE_1)
	s_and_not1_b32 s22, s34, exec_lo
	s_and_b32 s34, s42, exec_lo
	s_and_b32 s40, s43, exec_lo
	;; [unrolled: 1-line block ×4, first 2 shown]
	s_or_b32 s34, s22, s34
.LBB46_1597:
	s_or_b32 exec_lo, exec_lo, s33
	s_delay_alu instid0(SALU_CYCLE_1)
	s_and_not1_b32 s22, s28, exec_lo
	s_and_b32 s28, s37, exec_lo
	s_and_not1_b32 s30, s30, exec_lo
	s_or_b32 s28, s22, s28
	s_and_not1_b32 s22, s29, exec_lo
	s_and_b32 s29, s36, exec_lo
	s_and_b32 s33, s35, exec_lo
	s_or_b32 s29, s22, s29
	s_and_not1_b32 s22, s27, exec_lo
	s_and_b32 s27, s34, exec_lo
	s_or_b32 s30, s30, s33
	s_and_b32 s36, s40, exec_lo
	s_and_b32 s35, s39, exec_lo
	;; [unrolled: 1-line block ×3, first 2 shown]
	s_or_b32 s27, s22, s27
.LBB46_1598:
	s_or_b32 exec_lo, exec_lo, s31
	s_delay_alu instid0(SALU_CYCLE_1)
	s_and_not1_b32 s21, s21, exec_lo
	s_and_b32 s22, s28, exec_lo
	s_and_not1_b32 s24, s24, exec_lo
	s_or_b32 s21, s21, s22
	s_and_not1_b32 s22, s23, exec_lo
	s_and_b32 s23, s29, exec_lo
	s_and_b32 s28, s30, exec_lo
	s_or_b32 s23, s22, s23
	s_and_not1_b32 s22, s25, exec_lo
	s_and_b32 s25, s27, exec_lo
	s_or_b32 s24, s24, s28
	s_and_b32 s28, s36, exec_lo
	s_and_b32 s29, s35, exec_lo
	;; [unrolled: 1-line block ×3, first 2 shown]
	s_or_b32 s25, s22, s25
	s_or_b32 exec_lo, exec_lo, s26
	s_mov_b32 s22, 0
	s_and_saveexec_b32 s26, s25
	s_cbranch_execz .LBB46_510
.LBB46_1599:
	s_mov_b32 s22, exec_lo
	s_and_not1_b32 s27, s27, exec_lo
	s_trap 2
	s_or_b32 exec_lo, exec_lo, s26
	s_and_saveexec_b32 s25, s27
	s_delay_alu instid0(SALU_CYCLE_1)
	s_xor_b32 s25, exec_lo, s25
	s_cbranch_execnz .LBB46_511
.LBB46_1600:
	s_or_b32 exec_lo, exec_lo, s25
	s_and_saveexec_b32 s25, s29
	s_cbranch_execz .LBB46_1646
.LBB46_1601:
	s_sext_i32_i16 s26, s0
	s_delay_alu instid0(SALU_CYCLE_1)
	s_cmp_lt_i32 s26, 5
	s_cbranch_scc1 .LBB46_1606
; %bb.1602:
	s_cmp_lt_i32 s26, 8
	s_cbranch_scc1 .LBB46_1607
; %bb.1603:
	;; [unrolled: 3-line block ×3, first 2 shown]
	s_cmp_gt_i32 s26, 9
	s_cbranch_scc0 .LBB46_1609
; %bb.1605:
	s_wait_loadcnt 0x0
	global_load_b64 v[0:1], v[2:3], off
	s_mov_b32 s26, 0
	s_wait_loadcnt 0x0
	v_cvt_i32_f64_e32 v0, v[0:1]
	s_branch .LBB46_1610
.LBB46_1606:
                                        ; implicit-def: $vgpr0
	s_branch .LBB46_1627
.LBB46_1607:
                                        ; implicit-def: $vgpr0
	s_branch .LBB46_1616
.LBB46_1608:
	s_mov_b32 s26, -1
                                        ; implicit-def: $vgpr0
	s_branch .LBB46_1613
.LBB46_1609:
	s_mov_b32 s26, -1
                                        ; implicit-def: $vgpr0
.LBB46_1610:
	s_delay_alu instid0(SALU_CYCLE_1)
	s_and_not1_b32 vcc_lo, exec_lo, s26
	s_cbranch_vccnz .LBB46_1612
; %bb.1611:
	s_wait_loadcnt 0x0
	global_load_b32 v0, v[2:3], off
	s_wait_loadcnt 0x0
	v_cvt_i32_f32_e32 v0, v0
.LBB46_1612:
	s_mov_b32 s26, 0
.LBB46_1613:
	s_delay_alu instid0(SALU_CYCLE_1)
	s_and_not1_b32 vcc_lo, exec_lo, s26
	s_cbranch_vccnz .LBB46_1615
; %bb.1614:
	s_wait_loadcnt 0x0
	global_load_b32 v0, v[2:3], off
	s_wait_loadcnt 0x0
	v_cvt_i16_f16_e32 v0, v0
.LBB46_1615:
	s_cbranch_execnz .LBB46_1626
.LBB46_1616:
	s_sext_i32_i16 s26, s0
	s_delay_alu instid0(SALU_CYCLE_1)
	s_cmp_lt_i32 s26, 6
	s_cbranch_scc1 .LBB46_1619
; %bb.1617:
	s_cmp_gt_i32 s26, 6
	s_cbranch_scc0 .LBB46_1620
; %bb.1618:
	s_wait_loadcnt 0x0
	global_load_b64 v[0:1], v[2:3], off
	s_mov_b32 s26, 0
	s_wait_loadcnt 0x0
	v_cvt_i32_f64_e32 v0, v[0:1]
	s_branch .LBB46_1621
.LBB46_1619:
	s_mov_b32 s26, -1
                                        ; implicit-def: $vgpr0
	s_branch .LBB46_1624
.LBB46_1620:
	s_mov_b32 s26, -1
                                        ; implicit-def: $vgpr0
.LBB46_1621:
	s_delay_alu instid0(SALU_CYCLE_1)
	s_and_not1_b32 vcc_lo, exec_lo, s26
	s_cbranch_vccnz .LBB46_1623
; %bb.1622:
	s_wait_loadcnt 0x0
	global_load_b32 v0, v[2:3], off
	s_wait_loadcnt 0x0
	v_cvt_i32_f32_e32 v0, v0
.LBB46_1623:
	s_mov_b32 s26, 0
.LBB46_1624:
	s_delay_alu instid0(SALU_CYCLE_1)
	s_and_not1_b32 vcc_lo, exec_lo, s26
	s_cbranch_vccnz .LBB46_1626
; %bb.1625:
	s_wait_loadcnt 0x0
	global_load_u16 v0, v[2:3], off
	s_wait_loadcnt 0x0
	v_cvt_i16_f16_e32 v0, v0
.LBB46_1626:
	s_cbranch_execnz .LBB46_1645
.LBB46_1627:
	s_sext_i32_i16 s26, s0
	s_delay_alu instid0(SALU_CYCLE_1)
	s_cmp_lt_i32 s26, 2
	s_cbranch_scc1 .LBB46_1631
; %bb.1628:
	s_cmp_lt_i32 s26, 3
	s_cbranch_scc1 .LBB46_1632
; %bb.1629:
	s_cmp_gt_i32 s26, 3
	s_cbranch_scc0 .LBB46_1633
; %bb.1630:
	s_wait_loadcnt 0x0
	global_load_b64 v[0:1], v[2:3], off
	s_mov_b32 s26, 0
	s_branch .LBB46_1634
.LBB46_1631:
                                        ; implicit-def: $vgpr0
	s_branch .LBB46_1640
.LBB46_1632:
	s_mov_b32 s26, -1
                                        ; implicit-def: $vgpr0
	s_branch .LBB46_1637
.LBB46_1633:
	s_mov_b32 s26, -1
                                        ; implicit-def: $vgpr0
.LBB46_1634:
	s_delay_alu instid0(SALU_CYCLE_1)
	s_and_not1_b32 vcc_lo, exec_lo, s26
	s_cbranch_vccnz .LBB46_1636
; %bb.1635:
	s_wait_loadcnt 0x0
	global_load_b32 v0, v[2:3], off
.LBB46_1636:
	s_mov_b32 s26, 0
.LBB46_1637:
	s_delay_alu instid0(SALU_CYCLE_1)
	s_and_not1_b32 vcc_lo, exec_lo, s26
	s_cbranch_vccnz .LBB46_1639
; %bb.1638:
	s_wait_loadcnt 0x0
	global_load_u16 v0, v[2:3], off
.LBB46_1639:
	s_cbranch_execnz .LBB46_1645
.LBB46_1640:
	s_sext_i32_i16 s0, s0
	s_delay_alu instid0(SALU_CYCLE_1)
	s_cmp_gt_i32 s0, 0
	s_mov_b32 s0, 0
	s_cbranch_scc0 .LBB46_1642
; %bb.1641:
	s_wait_loadcnt 0x0
	global_load_u8 v0, v[2:3], off
	s_branch .LBB46_1643
.LBB46_1642:
	s_mov_b32 s0, -1
                                        ; implicit-def: $vgpr0
.LBB46_1643:
	s_delay_alu instid0(SALU_CYCLE_1)
	s_and_not1_b32 vcc_lo, exec_lo, s0
	s_cbranch_vccnz .LBB46_1645
; %bb.1644:
	s_wait_loadcnt 0x0
	global_load_u8 v0, v[2:3], off
.LBB46_1645:
	s_or_b32 s28, s28, exec_lo
.LBB46_1646:
	s_wait_xcnt 0x0
	s_or_b32 exec_lo, exec_lo, s25
	s_mov_b32 s27, 0
	s_mov_b32 s29, 0
	;; [unrolled: 1-line block ×3, first 2 shown]
                                        ; implicit-def: $sgpr0
                                        ; implicit-def: $vgpr4_vgpr5
                                        ; implicit-def: $vgpr2
	s_and_saveexec_b32 s25, s28
	s_cbranch_execz .LBB46_1654
; %bb.1647:
	s_wait_loadcnt 0x0
	v_mul_lo_u32 v2, v26, s14
	s_and_b32 s0, s3, 0xff
	s_delay_alu instid0(SALU_CYCLE_1) | instskip(NEXT) | instid1(VALU_DEP_1)
	s_cmp_lt_i32 s0, 11
	v_ashrrev_i32_e32 v3, 31, v2
	s_delay_alu instid0(VALU_DEP_1)
	v_add_nc_u64_e32 v[4:5], s[8:9], v[2:3]
	s_cbranch_scc1 .LBB46_1657
; %bb.1648:
	s_and_b32 s26, 0xffff, s0
	s_mov_b32 s28, 0
	s_cmp_gt_i32 s26, 25
	s_cbranch_scc0 .LBB46_1658
; %bb.1649:
	s_cmp_gt_i32 s26, 28
	s_cbranch_scc0 .LBB46_1659
; %bb.1650:
	;; [unrolled: 3-line block ×4, first 2 shown]
	s_cmp_eq_u32 s26, 46
	s_mov_b32 s30, 0
	s_cbranch_scc0 .LBB46_1662
; %bb.1653:
	global_load_b32 v1, v[4:5], off
	s_mov_b32 s29, -1
	s_wait_loadcnt 0x0
	v_lshlrev_b32_e32 v1, 16, v1
	s_delay_alu instid0(VALU_DEP_1)
	v_cvt_i32_f32_e32 v2, v1
	s_branch .LBB46_1664
.LBB46_1654:
	s_or_b32 exec_lo, exec_lo, s25
	s_and_saveexec_b32 s25, s24
	s_cbranch_execnz .LBB46_1723
.LBB46_1655:
	s_or_b32 exec_lo, exec_lo, s25
	s_and_saveexec_b32 s24, s27
	s_delay_alu instid0(SALU_CYCLE_1)
	s_xor_b32 s24, exec_lo, s24
	s_cbranch_execz .LBB46_1724
.LBB46_1656:
	s_wait_loadcnt 0x0
	global_load_u8 v1, v[4:5], off
	s_or_b32 s26, s26, exec_lo
	s_wait_loadcnt 0x0
	v_cmp_ne_u16_e32 vcc_lo, 0, v1
	v_cndmask_b32_e64 v2, 0, 1, vcc_lo
	s_wait_xcnt 0x0
	s_or_b32 exec_lo, exec_lo, s24
	s_and_saveexec_b32 s24, s29
	s_cbranch_execz .LBB46_1770
	s_branch .LBB46_1725
.LBB46_1657:
	s_mov_b32 s30, -1
	s_mov_b32 s28, 0
	s_mov_b32 s27, s24
                                        ; implicit-def: $vgpr2
	s_branch .LBB46_1722
.LBB46_1658:
	s_mov_b32 s27, s24
                                        ; implicit-def: $vgpr2
	s_cbranch_execnz .LBB46_1691
	s_branch .LBB46_1721
.LBB46_1659:
	s_mov_b32 s30, -1
	s_mov_b32 s27, s24
                                        ; implicit-def: $vgpr2
	s_branch .LBB46_1674
.LBB46_1660:
	s_mov_b32 s30, -1
	s_mov_b32 s27, s24
                                        ; implicit-def: $vgpr2
	s_branch .LBB46_1669
.LBB46_1661:
	s_mov_b32 s30, -1
	s_mov_b32 s27, s24
	s_branch .LBB46_1663
.LBB46_1662:
	s_mov_b32 s27, -1
.LBB46_1663:
                                        ; implicit-def: $vgpr2
.LBB46_1664:
	s_and_b32 vcc_lo, exec_lo, s30
	s_cbranch_vccz .LBB46_1668
; %bb.1665:
	s_cmp_eq_u32 s26, 44
	s_cbranch_scc0 .LBB46_1667
; %bb.1666:
	global_load_u8 v1, v[4:5], off
	s_mov_b32 s27, 0
	s_mov_b32 s29, -1
	s_wait_loadcnt 0x0
	v_lshlrev_b32_e32 v2, 23, v1
	v_cmp_ne_u32_e32 vcc_lo, 0, v1
	s_delay_alu instid0(VALU_DEP_2) | instskip(NEXT) | instid1(VALU_DEP_1)
	v_cvt_i32_f32_e32 v2, v2
	v_cndmask_b32_e32 v2, 0, v2, vcc_lo
	s_branch .LBB46_1668
.LBB46_1667:
	s_mov_b32 s27, -1
                                        ; implicit-def: $vgpr2
.LBB46_1668:
	s_mov_b32 s30, 0
.LBB46_1669:
	s_delay_alu instid0(SALU_CYCLE_1)
	s_and_b32 vcc_lo, exec_lo, s30
	s_cbranch_vccz .LBB46_1673
; %bb.1670:
	s_cmp_eq_u32 s26, 29
	s_cbranch_scc0 .LBB46_1672
; %bb.1671:
	global_load_b64 v[2:3], v[4:5], off
	s_mov_b32 s27, 0
	s_mov_b32 s29, -1
	s_branch .LBB46_1673
.LBB46_1672:
	s_mov_b32 s27, -1
                                        ; implicit-def: $vgpr2
.LBB46_1673:
	s_mov_b32 s30, 0
.LBB46_1674:
	s_delay_alu instid0(SALU_CYCLE_1)
	s_and_b32 vcc_lo, exec_lo, s30
	s_cbranch_vccz .LBB46_1690
; %bb.1675:
	s_cmp_lt_i32 s26, 27
	s_cbranch_scc1 .LBB46_1678
; %bb.1676:
	s_cmp_gt_i32 s26, 27
	s_cbranch_scc0 .LBB46_1679
; %bb.1677:
	s_wait_loadcnt 0x0
	global_load_b32 v2, v[4:5], off
	s_mov_b32 s29, 0
	s_branch .LBB46_1680
.LBB46_1678:
	s_mov_b32 s29, -1
                                        ; implicit-def: $vgpr2
	s_branch .LBB46_1683
.LBB46_1679:
	s_mov_b32 s29, -1
                                        ; implicit-def: $vgpr2
.LBB46_1680:
	s_delay_alu instid0(SALU_CYCLE_1)
	s_and_not1_b32 vcc_lo, exec_lo, s29
	s_cbranch_vccnz .LBB46_1682
; %bb.1681:
	s_wait_loadcnt 0x0
	global_load_u16 v2, v[4:5], off
.LBB46_1682:
	s_mov_b32 s29, 0
.LBB46_1683:
	s_delay_alu instid0(SALU_CYCLE_1)
	s_and_not1_b32 vcc_lo, exec_lo, s29
	s_cbranch_vccnz .LBB46_1689
; %bb.1684:
	global_load_u8 v1, v[4:5], off
	s_mov_b32 s30, 0
	s_mov_b32 s29, exec_lo
	s_wait_loadcnt 0x0
	v_cmpx_lt_i16_e32 0x7f, v1
	s_xor_b32 s29, exec_lo, s29
	s_cbranch_execz .LBB46_1700
; %bb.1685:
	v_cmp_ne_u16_e32 vcc_lo, 0x80, v1
	s_and_b32 s30, vcc_lo, exec_lo
	s_and_not1_saveexec_b32 s29, s29
	s_cbranch_execnz .LBB46_1701
.LBB46_1686:
	s_or_b32 exec_lo, exec_lo, s29
	v_mov_b32_e32 v2, 0
	s_and_saveexec_b32 s29, s30
	s_cbranch_execz .LBB46_1688
.LBB46_1687:
	v_and_b32_e32 v2, 0xffff, v1
	s_delay_alu instid0(VALU_DEP_1) | instskip(SKIP_1) | instid1(VALU_DEP_2)
	v_dual_lshlrev_b32 v1, 24, v1 :: v_dual_bitop2_b32 v3, 7, v2 bitop3:0x40
	v_bfe_u32 v8, v2, 3, 4
	v_and_b32_e32 v1, 0x80000000, v1
	s_delay_alu instid0(VALU_DEP_3) | instskip(NEXT) | instid1(VALU_DEP_3)
	v_clz_i32_u32_e32 v6, v3
	v_cmp_eq_u32_e32 vcc_lo, 0, v8
	s_delay_alu instid0(VALU_DEP_2) | instskip(NEXT) | instid1(VALU_DEP_1)
	v_min_u32_e32 v6, 32, v6
	v_subrev_nc_u32_e32 v7, 28, v6
	v_sub_nc_u32_e32 v6, 29, v6
	s_delay_alu instid0(VALU_DEP_2) | instskip(NEXT) | instid1(VALU_DEP_2)
	v_lshlrev_b32_e32 v2, v7, v2
	v_cndmask_b32_e32 v6, v8, v6, vcc_lo
	s_delay_alu instid0(VALU_DEP_2) | instskip(NEXT) | instid1(VALU_DEP_1)
	v_and_b32_e32 v2, 7, v2
	v_cndmask_b32_e32 v2, v3, v2, vcc_lo
	s_delay_alu instid0(VALU_DEP_3) | instskip(NEXT) | instid1(VALU_DEP_2)
	v_lshl_add_u32 v3, v6, 23, 0x3b800000
	v_lshlrev_b32_e32 v2, 20, v2
	s_delay_alu instid0(VALU_DEP_1) | instskip(NEXT) | instid1(VALU_DEP_1)
	v_or3_b32 v1, v1, v3, v2
	v_cvt_i32_f32_e32 v2, v1
.LBB46_1688:
	s_or_b32 exec_lo, exec_lo, s29
.LBB46_1689:
	s_mov_b32 s29, -1
.LBB46_1690:
	s_branch .LBB46_1721
.LBB46_1691:
	s_cmp_gt_i32 s26, 22
	s_cbranch_scc0 .LBB46_1699
; %bb.1692:
	s_cmp_lt_i32 s26, 24
	s_cbranch_scc1 .LBB46_1702
; %bb.1693:
	s_cmp_gt_i32 s26, 24
	s_cbranch_scc0 .LBB46_1703
; %bb.1694:
	global_load_u8 v1, v[4:5], off
	s_mov_b32 s29, 0
	s_mov_b32 s28, exec_lo
	s_wait_loadcnt 0x0
	v_cmpx_lt_i16_e32 0x7f, v1
	s_xor_b32 s28, exec_lo, s28
	s_cbranch_execz .LBB46_1715
; %bb.1695:
	v_cmp_ne_u16_e32 vcc_lo, 0x80, v1
	s_and_b32 s29, vcc_lo, exec_lo
	s_and_not1_saveexec_b32 s28, s28
	s_cbranch_execnz .LBB46_1716
.LBB46_1696:
	s_or_b32 exec_lo, exec_lo, s28
	v_mov_b32_e32 v2, 0
	s_and_saveexec_b32 s28, s29
	s_cbranch_execz .LBB46_1698
.LBB46_1697:
	v_and_b32_e32 v2, 0xffff, v1
	s_delay_alu instid0(VALU_DEP_1) | instskip(SKIP_1) | instid1(VALU_DEP_2)
	v_dual_lshlrev_b32 v1, 24, v1 :: v_dual_bitop2_b32 v3, 3, v2 bitop3:0x40
	v_bfe_u32 v8, v2, 2, 5
	v_and_b32_e32 v1, 0x80000000, v1
	s_delay_alu instid0(VALU_DEP_3) | instskip(NEXT) | instid1(VALU_DEP_3)
	v_clz_i32_u32_e32 v6, v3
	v_cmp_eq_u32_e32 vcc_lo, 0, v8
	s_delay_alu instid0(VALU_DEP_2) | instskip(NEXT) | instid1(VALU_DEP_1)
	v_min_u32_e32 v6, 32, v6
	v_subrev_nc_u32_e32 v7, 29, v6
	v_sub_nc_u32_e32 v6, 30, v6
	s_delay_alu instid0(VALU_DEP_2) | instskip(NEXT) | instid1(VALU_DEP_2)
	v_lshlrev_b32_e32 v2, v7, v2
	v_cndmask_b32_e32 v6, v8, v6, vcc_lo
	s_delay_alu instid0(VALU_DEP_2) | instskip(NEXT) | instid1(VALU_DEP_1)
	v_and_b32_e32 v2, 3, v2
	v_cndmask_b32_e32 v2, v3, v2, vcc_lo
	s_delay_alu instid0(VALU_DEP_3) | instskip(NEXT) | instid1(VALU_DEP_2)
	v_lshl_add_u32 v3, v6, 23, 0x37800000
	v_lshlrev_b32_e32 v2, 21, v2
	s_delay_alu instid0(VALU_DEP_1) | instskip(NEXT) | instid1(VALU_DEP_1)
	v_or3_b32 v1, v1, v3, v2
	v_cvt_i32_f32_e32 v2, v1
.LBB46_1698:
	s_or_b32 exec_lo, exec_lo, s28
	s_mov_b32 s28, 0
	s_branch .LBB46_1704
.LBB46_1699:
	s_mov_b32 s28, -1
                                        ; implicit-def: $vgpr2
	s_branch .LBB46_1710
.LBB46_1700:
	s_and_not1_saveexec_b32 s29, s29
	s_cbranch_execz .LBB46_1686
.LBB46_1701:
	v_cmp_ne_u16_e32 vcc_lo, 0, v1
	s_and_not1_b32 s30, s30, exec_lo
	s_and_b32 s31, vcc_lo, exec_lo
	s_delay_alu instid0(SALU_CYCLE_1)
	s_or_b32 s30, s30, s31
	s_or_b32 exec_lo, exec_lo, s29
	v_mov_b32_e32 v2, 0
	s_and_saveexec_b32 s29, s30
	s_cbranch_execnz .LBB46_1687
	s_branch .LBB46_1688
.LBB46_1702:
	s_mov_b32 s28, -1
                                        ; implicit-def: $vgpr2
	s_branch .LBB46_1707
.LBB46_1703:
	s_mov_b32 s28, -1
                                        ; implicit-def: $vgpr2
.LBB46_1704:
	s_delay_alu instid0(SALU_CYCLE_1)
	s_and_b32 vcc_lo, exec_lo, s28
	s_cbranch_vccz .LBB46_1706
; %bb.1705:
	global_load_u8 v1, v[4:5], off
	s_wait_loadcnt 0x0
	v_lshlrev_b32_e32 v1, 24, v1
	s_delay_alu instid0(VALU_DEP_1) | instskip(NEXT) | instid1(VALU_DEP_1)
	v_and_b32_e32 v2, 0x7f000000, v1
	v_clz_i32_u32_e32 v3, v2
	v_cmp_ne_u32_e32 vcc_lo, 0, v2
	v_add_nc_u32_e32 v7, 0x1000000, v2
	s_delay_alu instid0(VALU_DEP_3) | instskip(NEXT) | instid1(VALU_DEP_1)
	v_min_u32_e32 v3, 32, v3
	v_sub_nc_u32_e64 v3, v3, 4 clamp
	s_delay_alu instid0(VALU_DEP_1) | instskip(NEXT) | instid1(VALU_DEP_1)
	v_dual_lshlrev_b32 v6, v3, v2 :: v_dual_lshlrev_b32 v3, 23, v3
	v_lshrrev_b32_e32 v6, 4, v6
	s_delay_alu instid0(VALU_DEP_1) | instskip(SKIP_1) | instid1(VALU_DEP_2)
	v_sub_nc_u32_e32 v3, v6, v3
	v_ashrrev_i32_e32 v6, 8, v7
	v_add_nc_u32_e32 v3, 0x3c000000, v3
	s_delay_alu instid0(VALU_DEP_1) | instskip(NEXT) | instid1(VALU_DEP_1)
	v_and_or_b32 v3, 0x7f800000, v6, v3
	v_cndmask_b32_e32 v2, 0, v3, vcc_lo
	s_delay_alu instid0(VALU_DEP_1) | instskip(NEXT) | instid1(VALU_DEP_1)
	v_and_or_b32 v1, 0x80000000, v1, v2
	v_cvt_i32_f32_e32 v2, v1
.LBB46_1706:
	s_mov_b32 s28, 0
.LBB46_1707:
	s_delay_alu instid0(SALU_CYCLE_1)
	s_and_not1_b32 vcc_lo, exec_lo, s28
	s_cbranch_vccnz .LBB46_1709
; %bb.1708:
	global_load_u8 v1, v[4:5], off
	s_wait_loadcnt 0x0
	v_lshlrev_b32_e32 v2, 25, v1
	v_lshlrev_b16 v1, 8, v1
	s_delay_alu instid0(VALU_DEP_1) | instskip(SKIP_1) | instid1(VALU_DEP_2)
	v_and_or_b32 v6, 0x7f00, v1, 0.5
	v_bfe_i32 v1, v1, 0, 16
	v_add_f32_e32 v6, -0.5, v6
	v_lshrrev_b32_e32 v3, 4, v2
	v_cmp_gt_u32_e32 vcc_lo, 0x8000000, v2
	s_delay_alu instid0(VALU_DEP_2) | instskip(NEXT) | instid1(VALU_DEP_1)
	v_or_b32_e32 v3, 0x70000000, v3
	v_mul_f32_e32 v3, 0x7800000, v3
	s_delay_alu instid0(VALU_DEP_1) | instskip(NEXT) | instid1(VALU_DEP_1)
	v_cndmask_b32_e32 v2, v3, v6, vcc_lo
	v_and_or_b32 v1, 0x80000000, v1, v2
	s_delay_alu instid0(VALU_DEP_1)
	v_cvt_i32_f32_e32 v2, v1
.LBB46_1709:
	s_mov_b32 s28, 0
	s_mov_b32 s29, -1
.LBB46_1710:
	s_and_not1_b32 vcc_lo, exec_lo, s28
	s_mov_b32 s28, 0
	s_cbranch_vccnz .LBB46_1721
; %bb.1711:
	s_cmp_gt_i32 s26, 14
	s_cbranch_scc0 .LBB46_1714
; %bb.1712:
	s_cmp_eq_u32 s26, 15
	s_cbranch_scc0 .LBB46_1717
; %bb.1713:
	global_load_u16 v1, v[4:5], off
	s_mov_b32 s27, 0
	s_mov_b32 s29, -1
	s_wait_loadcnt 0x0
	v_lshlrev_b32_e32 v1, 16, v1
	s_delay_alu instid0(VALU_DEP_1)
	v_cvt_i32_f32_e32 v2, v1
	s_branch .LBB46_1719
.LBB46_1714:
	s_mov_b32 s28, -1
	s_branch .LBB46_1718
.LBB46_1715:
	s_and_not1_saveexec_b32 s28, s28
	s_cbranch_execz .LBB46_1696
.LBB46_1716:
	v_cmp_ne_u16_e32 vcc_lo, 0, v1
	s_and_not1_b32 s29, s29, exec_lo
	s_and_b32 s30, vcc_lo, exec_lo
	s_delay_alu instid0(SALU_CYCLE_1)
	s_or_b32 s29, s29, s30
	s_or_b32 exec_lo, exec_lo, s28
	v_mov_b32_e32 v2, 0
	s_and_saveexec_b32 s28, s29
	s_cbranch_execnz .LBB46_1697
	s_branch .LBB46_1698
.LBB46_1717:
	s_mov_b32 s27, -1
.LBB46_1718:
                                        ; implicit-def: $vgpr2
.LBB46_1719:
	s_and_b32 vcc_lo, exec_lo, s28
	s_mov_b32 s28, 0
	s_cbranch_vccz .LBB46_1721
; %bb.1720:
	s_cmp_lg_u32 s26, 11
	s_mov_b32 s28, -1
	s_cselect_b32 s26, -1, 0
	s_and_not1_b32 s27, s27, exec_lo
	s_and_b32 s26, s26, exec_lo
	s_delay_alu instid0(SALU_CYCLE_1)
	s_or_b32 s27, s27, s26
.LBB46_1721:
	s_mov_b32 s30, 0
.LBB46_1722:
	s_and_b32 s26, s29, exec_lo
	s_and_b32 s29, s30, exec_lo
	s_and_not1_b32 s24, s24, exec_lo
	s_and_b32 s30, s27, exec_lo
	s_and_b32 s27, s28, exec_lo
	s_or_b32 s24, s24, s30
	s_wait_xcnt 0x0
	s_or_b32 exec_lo, exec_lo, s25
	s_and_saveexec_b32 s25, s24
	s_cbranch_execz .LBB46_1655
.LBB46_1723:
	s_or_b32 s22, s22, exec_lo
	s_and_not1_b32 s27, s27, exec_lo
	s_trap 2
	s_or_b32 exec_lo, exec_lo, s25
	s_and_saveexec_b32 s24, s27
	s_delay_alu instid0(SALU_CYCLE_1)
	s_xor_b32 s24, exec_lo, s24
	s_cbranch_execnz .LBB46_1656
.LBB46_1724:
	s_or_b32 exec_lo, exec_lo, s24
	s_and_saveexec_b32 s24, s29
	s_cbranch_execz .LBB46_1770
.LBB46_1725:
	s_sext_i32_i16 s25, s0
	s_delay_alu instid0(SALU_CYCLE_1)
	s_cmp_lt_i32 s25, 5
	s_cbranch_scc1 .LBB46_1730
; %bb.1726:
	s_cmp_lt_i32 s25, 8
	s_cbranch_scc1 .LBB46_1731
; %bb.1727:
	s_cmp_lt_i32 s25, 9
	s_cbranch_scc1 .LBB46_1732
; %bb.1728:
	s_cmp_gt_i32 s25, 9
	s_cbranch_scc0 .LBB46_1733
; %bb.1729:
	s_wait_loadcnt 0x0
	global_load_b64 v[2:3], v[4:5], off
	s_mov_b32 s25, 0
	s_wait_loadcnt 0x0
	v_cvt_i32_f64_e32 v2, v[2:3]
	s_branch .LBB46_1734
.LBB46_1730:
                                        ; implicit-def: $vgpr2
	s_branch .LBB46_1751
.LBB46_1731:
                                        ; implicit-def: $vgpr2
	s_branch .LBB46_1740
.LBB46_1732:
	s_mov_b32 s25, -1
                                        ; implicit-def: $vgpr2
	s_branch .LBB46_1737
.LBB46_1733:
	s_mov_b32 s25, -1
                                        ; implicit-def: $vgpr2
.LBB46_1734:
	s_delay_alu instid0(SALU_CYCLE_1)
	s_and_not1_b32 vcc_lo, exec_lo, s25
	s_cbranch_vccnz .LBB46_1736
; %bb.1735:
	s_wait_loadcnt 0x0
	global_load_b32 v1, v[4:5], off
	s_wait_loadcnt 0x0
	v_cvt_i32_f32_e32 v2, v1
.LBB46_1736:
	s_mov_b32 s25, 0
.LBB46_1737:
	s_delay_alu instid0(SALU_CYCLE_1)
	s_and_not1_b32 vcc_lo, exec_lo, s25
	s_cbranch_vccnz .LBB46_1739
; %bb.1738:
	s_wait_loadcnt 0x0
	global_load_b32 v1, v[4:5], off
	s_wait_loadcnt 0x0
	v_cvt_i16_f16_e32 v2, v1
.LBB46_1739:
	s_cbranch_execnz .LBB46_1750
.LBB46_1740:
	s_sext_i32_i16 s25, s0
	s_delay_alu instid0(SALU_CYCLE_1)
	s_cmp_lt_i32 s25, 6
	s_cbranch_scc1 .LBB46_1743
; %bb.1741:
	s_cmp_gt_i32 s25, 6
	s_cbranch_scc0 .LBB46_1744
; %bb.1742:
	s_wait_loadcnt 0x0
	global_load_b64 v[2:3], v[4:5], off
	s_mov_b32 s25, 0
	s_wait_loadcnt 0x0
	v_cvt_i32_f64_e32 v2, v[2:3]
	s_branch .LBB46_1745
.LBB46_1743:
	s_mov_b32 s25, -1
                                        ; implicit-def: $vgpr2
	s_branch .LBB46_1748
.LBB46_1744:
	s_mov_b32 s25, -1
                                        ; implicit-def: $vgpr2
.LBB46_1745:
	s_delay_alu instid0(SALU_CYCLE_1)
	s_and_not1_b32 vcc_lo, exec_lo, s25
	s_cbranch_vccnz .LBB46_1747
; %bb.1746:
	s_wait_loadcnt 0x0
	global_load_b32 v1, v[4:5], off
	s_wait_loadcnt 0x0
	v_cvt_i32_f32_e32 v2, v1
.LBB46_1747:
	s_mov_b32 s25, 0
.LBB46_1748:
	s_delay_alu instid0(SALU_CYCLE_1)
	s_and_not1_b32 vcc_lo, exec_lo, s25
	s_cbranch_vccnz .LBB46_1750
; %bb.1749:
	s_wait_loadcnt 0x0
	global_load_u16 v1, v[4:5], off
	s_wait_loadcnt 0x0
	v_cvt_i16_f16_e32 v2, v1
.LBB46_1750:
	s_cbranch_execnz .LBB46_1769
.LBB46_1751:
	s_sext_i32_i16 s25, s0
	s_delay_alu instid0(SALU_CYCLE_1)
	s_cmp_lt_i32 s25, 2
	s_cbranch_scc1 .LBB46_1755
; %bb.1752:
	s_cmp_lt_i32 s25, 3
	s_cbranch_scc1 .LBB46_1756
; %bb.1753:
	s_cmp_gt_i32 s25, 3
	s_cbranch_scc0 .LBB46_1757
; %bb.1754:
	s_wait_loadcnt 0x0
	global_load_b64 v[2:3], v[4:5], off
	s_mov_b32 s25, 0
	s_branch .LBB46_1758
.LBB46_1755:
                                        ; implicit-def: $vgpr2
	s_branch .LBB46_1764
.LBB46_1756:
	s_mov_b32 s25, -1
                                        ; implicit-def: $vgpr2
	s_branch .LBB46_1761
.LBB46_1757:
	s_mov_b32 s25, -1
                                        ; implicit-def: $vgpr2
.LBB46_1758:
	s_delay_alu instid0(SALU_CYCLE_1)
	s_and_not1_b32 vcc_lo, exec_lo, s25
	s_cbranch_vccnz .LBB46_1760
; %bb.1759:
	s_wait_loadcnt 0x0
	global_load_b32 v2, v[4:5], off
.LBB46_1760:
	s_mov_b32 s25, 0
.LBB46_1761:
	s_delay_alu instid0(SALU_CYCLE_1)
	s_and_not1_b32 vcc_lo, exec_lo, s25
	s_cbranch_vccnz .LBB46_1763
; %bb.1762:
	s_wait_loadcnt 0x0
	global_load_u16 v2, v[4:5], off
.LBB46_1763:
	s_cbranch_execnz .LBB46_1769
.LBB46_1764:
	s_sext_i32_i16 s0, s0
	s_delay_alu instid0(SALU_CYCLE_1)
	s_cmp_gt_i32 s0, 0
	s_mov_b32 s0, 0
	s_cbranch_scc0 .LBB46_1766
; %bb.1765:
	s_wait_loadcnt 0x0
	global_load_u8 v2, v[4:5], off
	s_branch .LBB46_1767
.LBB46_1766:
	s_mov_b32 s0, -1
                                        ; implicit-def: $vgpr2
.LBB46_1767:
	s_delay_alu instid0(SALU_CYCLE_1)
	s_and_not1_b32 vcc_lo, exec_lo, s0
	s_cbranch_vccnz .LBB46_1769
; %bb.1768:
	s_wait_loadcnt 0x0
	global_load_u8 v2, v[4:5], off
.LBB46_1769:
	s_or_b32 s26, s26, exec_lo
.LBB46_1770:
	s_wait_xcnt 0x0
	s_or_b32 exec_lo, exec_lo, s24
	s_mov_b32 s27, 0
	s_mov_b32 s28, 0
	;; [unrolled: 1-line block ×3, first 2 shown]
                                        ; implicit-def: $sgpr0
                                        ; implicit-def: $vgpr4_vgpr5
                                        ; implicit-def: $vgpr6
	s_and_saveexec_b32 s24, s26
	s_cbranch_execz .LBB46_1778
; %bb.1771:
	v_mul_lo_u32 v4, v26, s15
	s_and_b32 s0, s17, 0xff
	s_delay_alu instid0(SALU_CYCLE_1) | instskip(NEXT) | instid1(VALU_DEP_1)
	s_cmp_lt_i32 s0, 11
	v_ashrrev_i32_e32 v5, 31, v4
	s_delay_alu instid0(VALU_DEP_1)
	v_add_nc_u64_e32 v[4:5], s[10:11], v[4:5]
	s_cbranch_scc1 .LBB46_1781
; %bb.1772:
	s_and_b32 s25, 0xffff, s0
	s_delay_alu instid0(SALU_CYCLE_1)
	s_cmp_gt_i32 s25, 25
	s_cbranch_scc0 .LBB46_1782
; %bb.1773:
	s_cmp_gt_i32 s25, 28
	s_cbranch_scc0 .LBB46_1783
; %bb.1774:
	;; [unrolled: 3-line block ×4, first 2 shown]
	s_cmp_eq_u32 s25, 46
	s_mov_b32 s29, 0
	s_cbranch_scc0 .LBB46_1786
; %bb.1777:
	s_wait_loadcnt 0x0
	global_load_b32 v1, v[4:5], off
	s_mov_b32 s26, 0
	s_mov_b32 s28, -1
	s_wait_loadcnt 0x0
	v_lshlrev_b32_e32 v1, 16, v1
	s_delay_alu instid0(VALU_DEP_1)
	v_cvt_i32_f32_e32 v6, v1
	s_branch .LBB46_1788
.LBB46_1778:
	s_or_b32 exec_lo, exec_lo, s24
	s_and_saveexec_b32 s24, s23
	s_cbranch_execnz .LBB46_1847
.LBB46_1779:
	s_or_b32 exec_lo, exec_lo, s24
	s_and_saveexec_b32 s23, s27
	s_delay_alu instid0(SALU_CYCLE_1)
	s_xor_b32 s23, exec_lo, s23
	s_cbranch_execz .LBB46_1848
.LBB46_1780:
	s_wait_loadcnt 0x0
	global_load_u8 v1, v[4:5], off
	s_or_b32 s25, s25, exec_lo
	s_wait_loadcnt 0x0
	v_cmp_ne_u16_e32 vcc_lo, 0, v1
	v_cndmask_b32_e64 v6, 0, 1, vcc_lo
	s_wait_xcnt 0x0
	s_or_b32 exec_lo, exec_lo, s23
	s_and_saveexec_b32 s23, s28
	s_cbranch_execz .LBB46_1894
	s_branch .LBB46_1849
.LBB46_1781:
	s_mov_b32 s29, -1
	s_mov_b32 s26, s23
                                        ; implicit-def: $vgpr6
	s_branch .LBB46_1846
.LBB46_1782:
	s_mov_b32 s26, s23
                                        ; implicit-def: $vgpr6
	s_cbranch_execnz .LBB46_1815
	s_branch .LBB46_1845
.LBB46_1783:
	s_mov_b32 s29, -1
	s_mov_b32 s26, s23
                                        ; implicit-def: $vgpr6
	s_branch .LBB46_1798
.LBB46_1784:
	s_mov_b32 s29, -1
	s_mov_b32 s26, s23
                                        ; implicit-def: $vgpr6
	s_branch .LBB46_1793
.LBB46_1785:
	s_mov_b32 s29, -1
	s_mov_b32 s26, s23
	s_branch .LBB46_1787
.LBB46_1786:
	s_mov_b32 s26, -1
.LBB46_1787:
                                        ; implicit-def: $vgpr6
.LBB46_1788:
	s_and_b32 vcc_lo, exec_lo, s29
	s_cbranch_vccz .LBB46_1792
; %bb.1789:
	s_cmp_eq_u32 s25, 44
	s_cbranch_scc0 .LBB46_1791
; %bb.1790:
	s_wait_loadcnt 0x0
	global_load_u8 v1, v[4:5], off
	s_mov_b32 s26, 0
	s_mov_b32 s28, -1
	s_wait_loadcnt 0x0
	v_lshlrev_b32_e32 v3, 23, v1
	v_cmp_ne_u32_e32 vcc_lo, 0, v1
	s_delay_alu instid0(VALU_DEP_2) | instskip(NEXT) | instid1(VALU_DEP_1)
	v_cvt_i32_f32_e32 v3, v3
	v_cndmask_b32_e32 v6, 0, v3, vcc_lo
	s_branch .LBB46_1792
.LBB46_1791:
	s_mov_b32 s26, -1
                                        ; implicit-def: $vgpr6
.LBB46_1792:
	s_mov_b32 s29, 0
.LBB46_1793:
	s_delay_alu instid0(SALU_CYCLE_1)
	s_and_b32 vcc_lo, exec_lo, s29
	s_cbranch_vccz .LBB46_1797
; %bb.1794:
	s_cmp_eq_u32 s25, 29
	s_cbranch_scc0 .LBB46_1796
; %bb.1795:
	s_wait_loadcnt 0x0
	global_load_b64 v[6:7], v[4:5], off
	s_mov_b32 s26, 0
	s_mov_b32 s28, -1
	s_branch .LBB46_1797
.LBB46_1796:
	s_mov_b32 s26, -1
                                        ; implicit-def: $vgpr6
.LBB46_1797:
	s_mov_b32 s29, 0
.LBB46_1798:
	s_delay_alu instid0(SALU_CYCLE_1)
	s_and_b32 vcc_lo, exec_lo, s29
	s_cbranch_vccz .LBB46_1814
; %bb.1799:
	s_cmp_lt_i32 s25, 27
	s_cbranch_scc1 .LBB46_1802
; %bb.1800:
	s_cmp_gt_i32 s25, 27
	s_cbranch_scc0 .LBB46_1803
; %bb.1801:
	s_wait_loadcnt 0x0
	global_load_b32 v6, v[4:5], off
	s_mov_b32 s28, 0
	s_branch .LBB46_1804
.LBB46_1802:
	s_mov_b32 s28, -1
                                        ; implicit-def: $vgpr6
	s_branch .LBB46_1807
.LBB46_1803:
	s_mov_b32 s28, -1
                                        ; implicit-def: $vgpr6
.LBB46_1804:
	s_delay_alu instid0(SALU_CYCLE_1)
	s_and_not1_b32 vcc_lo, exec_lo, s28
	s_cbranch_vccnz .LBB46_1806
; %bb.1805:
	s_wait_loadcnt 0x0
	global_load_u16 v6, v[4:5], off
.LBB46_1806:
	s_mov_b32 s28, 0
.LBB46_1807:
	s_delay_alu instid0(SALU_CYCLE_1)
	s_and_not1_b32 vcc_lo, exec_lo, s28
	s_cbranch_vccnz .LBB46_1813
; %bb.1808:
	s_wait_loadcnt 0x0
	global_load_u8 v1, v[4:5], off
	s_mov_b32 s29, 0
	s_mov_b32 s28, exec_lo
	s_wait_loadcnt 0x0
	v_cmpx_lt_i16_e32 0x7f, v1
	s_xor_b32 s28, exec_lo, s28
	s_cbranch_execz .LBB46_1824
; %bb.1809:
	v_cmp_ne_u16_e32 vcc_lo, 0x80, v1
	s_and_b32 s29, vcc_lo, exec_lo
	s_and_not1_saveexec_b32 s28, s28
	s_cbranch_execnz .LBB46_1825
.LBB46_1810:
	s_or_b32 exec_lo, exec_lo, s28
	v_mov_b32_e32 v6, 0
	s_and_saveexec_b32 s28, s29
	s_cbranch_execz .LBB46_1812
.LBB46_1811:
	v_and_b32_e32 v3, 0xffff, v1
	s_delay_alu instid0(VALU_DEP_1) | instskip(SKIP_1) | instid1(VALU_DEP_2)
	v_dual_lshlrev_b32 v1, 24, v1 :: v_dual_bitop2_b32 v6, 7, v3 bitop3:0x40
	v_bfe_u32 v9, v3, 3, 4
	v_and_b32_e32 v1, 0x80000000, v1
	s_delay_alu instid0(VALU_DEP_3) | instskip(NEXT) | instid1(VALU_DEP_3)
	v_clz_i32_u32_e32 v7, v6
	v_cmp_eq_u32_e32 vcc_lo, 0, v9
	s_delay_alu instid0(VALU_DEP_2) | instskip(NEXT) | instid1(VALU_DEP_1)
	v_min_u32_e32 v7, 32, v7
	v_subrev_nc_u32_e32 v8, 28, v7
	v_sub_nc_u32_e32 v7, 29, v7
	s_delay_alu instid0(VALU_DEP_2) | instskip(NEXT) | instid1(VALU_DEP_2)
	v_lshlrev_b32_e32 v3, v8, v3
	v_cndmask_b32_e32 v7, v9, v7, vcc_lo
	s_delay_alu instid0(VALU_DEP_2) | instskip(NEXT) | instid1(VALU_DEP_1)
	v_and_b32_e32 v3, 7, v3
	v_cndmask_b32_e32 v3, v6, v3, vcc_lo
	s_delay_alu instid0(VALU_DEP_3) | instskip(NEXT) | instid1(VALU_DEP_2)
	v_lshl_add_u32 v6, v7, 23, 0x3b800000
	v_lshlrev_b32_e32 v3, 20, v3
	s_delay_alu instid0(VALU_DEP_1) | instskip(NEXT) | instid1(VALU_DEP_1)
	v_or3_b32 v1, v1, v6, v3
	v_cvt_i32_f32_e32 v6, v1
.LBB46_1812:
	s_or_b32 exec_lo, exec_lo, s28
.LBB46_1813:
	s_mov_b32 s28, -1
.LBB46_1814:
	s_branch .LBB46_1845
.LBB46_1815:
	s_cmp_gt_i32 s25, 22
	s_cbranch_scc0 .LBB46_1823
; %bb.1816:
	s_cmp_lt_i32 s25, 24
	s_cbranch_scc1 .LBB46_1826
; %bb.1817:
	s_cmp_gt_i32 s25, 24
	s_cbranch_scc0 .LBB46_1827
; %bb.1818:
	s_wait_loadcnt 0x0
	global_load_u8 v1, v[4:5], off
	s_mov_b32 s28, 0
	s_mov_b32 s27, exec_lo
	s_wait_loadcnt 0x0
	v_cmpx_lt_i16_e32 0x7f, v1
	s_xor_b32 s27, exec_lo, s27
	s_cbranch_execz .LBB46_1839
; %bb.1819:
	v_cmp_ne_u16_e32 vcc_lo, 0x80, v1
	s_and_b32 s28, vcc_lo, exec_lo
	s_and_not1_saveexec_b32 s27, s27
	s_cbranch_execnz .LBB46_1840
.LBB46_1820:
	s_or_b32 exec_lo, exec_lo, s27
	v_mov_b32_e32 v6, 0
	s_and_saveexec_b32 s27, s28
	s_cbranch_execz .LBB46_1822
.LBB46_1821:
	v_and_b32_e32 v3, 0xffff, v1
	s_delay_alu instid0(VALU_DEP_1) | instskip(SKIP_1) | instid1(VALU_DEP_2)
	v_dual_lshlrev_b32 v1, 24, v1 :: v_dual_bitop2_b32 v6, 3, v3 bitop3:0x40
	v_bfe_u32 v9, v3, 2, 5
	v_and_b32_e32 v1, 0x80000000, v1
	s_delay_alu instid0(VALU_DEP_3) | instskip(NEXT) | instid1(VALU_DEP_3)
	v_clz_i32_u32_e32 v7, v6
	v_cmp_eq_u32_e32 vcc_lo, 0, v9
	s_delay_alu instid0(VALU_DEP_2) | instskip(NEXT) | instid1(VALU_DEP_1)
	v_min_u32_e32 v7, 32, v7
	v_subrev_nc_u32_e32 v8, 29, v7
	v_sub_nc_u32_e32 v7, 30, v7
	s_delay_alu instid0(VALU_DEP_2) | instskip(NEXT) | instid1(VALU_DEP_2)
	v_lshlrev_b32_e32 v3, v8, v3
	v_cndmask_b32_e32 v7, v9, v7, vcc_lo
	s_delay_alu instid0(VALU_DEP_2) | instskip(NEXT) | instid1(VALU_DEP_1)
	v_and_b32_e32 v3, 3, v3
	v_cndmask_b32_e32 v3, v6, v3, vcc_lo
	s_delay_alu instid0(VALU_DEP_3) | instskip(NEXT) | instid1(VALU_DEP_2)
	v_lshl_add_u32 v6, v7, 23, 0x37800000
	v_lshlrev_b32_e32 v3, 21, v3
	s_delay_alu instid0(VALU_DEP_1) | instskip(NEXT) | instid1(VALU_DEP_1)
	v_or3_b32 v1, v1, v6, v3
	v_cvt_i32_f32_e32 v6, v1
.LBB46_1822:
	s_or_b32 exec_lo, exec_lo, s27
	s_mov_b32 s27, 0
	s_branch .LBB46_1828
.LBB46_1823:
	s_mov_b32 s27, -1
                                        ; implicit-def: $vgpr6
	s_branch .LBB46_1834
.LBB46_1824:
	s_and_not1_saveexec_b32 s28, s28
	s_cbranch_execz .LBB46_1810
.LBB46_1825:
	v_cmp_ne_u16_e32 vcc_lo, 0, v1
	s_and_not1_b32 s29, s29, exec_lo
	s_and_b32 s30, vcc_lo, exec_lo
	s_delay_alu instid0(SALU_CYCLE_1)
	s_or_b32 s29, s29, s30
	s_or_b32 exec_lo, exec_lo, s28
	v_mov_b32_e32 v6, 0
	s_and_saveexec_b32 s28, s29
	s_cbranch_execnz .LBB46_1811
	s_branch .LBB46_1812
.LBB46_1826:
	s_mov_b32 s27, -1
                                        ; implicit-def: $vgpr6
	s_branch .LBB46_1831
.LBB46_1827:
	s_mov_b32 s27, -1
                                        ; implicit-def: $vgpr6
.LBB46_1828:
	s_delay_alu instid0(SALU_CYCLE_1)
	s_and_b32 vcc_lo, exec_lo, s27
	s_cbranch_vccz .LBB46_1830
; %bb.1829:
	s_wait_loadcnt 0x0
	global_load_u8 v1, v[4:5], off
	s_wait_loadcnt 0x0
	v_lshlrev_b32_e32 v1, 24, v1
	s_delay_alu instid0(VALU_DEP_1) | instskip(NEXT) | instid1(VALU_DEP_1)
	v_and_b32_e32 v3, 0x7f000000, v1
	v_clz_i32_u32_e32 v6, v3
	v_cmp_ne_u32_e32 vcc_lo, 0, v3
	v_add_nc_u32_e32 v8, 0x1000000, v3
	s_delay_alu instid0(VALU_DEP_3) | instskip(NEXT) | instid1(VALU_DEP_1)
	v_min_u32_e32 v6, 32, v6
	v_sub_nc_u32_e64 v6, v6, 4 clamp
	s_delay_alu instid0(VALU_DEP_1) | instskip(NEXT) | instid1(VALU_DEP_1)
	v_dual_lshlrev_b32 v7, v6, v3 :: v_dual_lshlrev_b32 v6, 23, v6
	v_lshrrev_b32_e32 v7, 4, v7
	s_delay_alu instid0(VALU_DEP_1) | instskip(NEXT) | instid1(VALU_DEP_1)
	v_dual_sub_nc_u32 v6, v7, v6 :: v_dual_ashrrev_i32 v7, 8, v8
	v_add_nc_u32_e32 v6, 0x3c000000, v6
	s_delay_alu instid0(VALU_DEP_1) | instskip(NEXT) | instid1(VALU_DEP_1)
	v_and_or_b32 v6, 0x7f800000, v7, v6
	v_cndmask_b32_e32 v3, 0, v6, vcc_lo
	s_delay_alu instid0(VALU_DEP_1) | instskip(NEXT) | instid1(VALU_DEP_1)
	v_and_or_b32 v1, 0x80000000, v1, v3
	v_cvt_i32_f32_e32 v6, v1
.LBB46_1830:
	s_mov_b32 s27, 0
.LBB46_1831:
	s_delay_alu instid0(SALU_CYCLE_1)
	s_and_not1_b32 vcc_lo, exec_lo, s27
	s_cbranch_vccnz .LBB46_1833
; %bb.1832:
	s_wait_loadcnt 0x0
	global_load_u8 v1, v[4:5], off
	s_wait_loadcnt 0x0
	v_lshlrev_b32_e32 v3, 25, v1
	v_lshlrev_b16 v1, 8, v1
	s_delay_alu instid0(VALU_DEP_1) | instskip(SKIP_1) | instid1(VALU_DEP_2)
	v_and_or_b32 v7, 0x7f00, v1, 0.5
	v_bfe_i32 v1, v1, 0, 16
	v_add_f32_e32 v7, -0.5, v7
	v_lshrrev_b32_e32 v6, 4, v3
	v_cmp_gt_u32_e32 vcc_lo, 0x8000000, v3
	s_delay_alu instid0(VALU_DEP_2) | instskip(NEXT) | instid1(VALU_DEP_1)
	v_or_b32_e32 v6, 0x70000000, v6
	v_mul_f32_e32 v6, 0x7800000, v6
	s_delay_alu instid0(VALU_DEP_1) | instskip(NEXT) | instid1(VALU_DEP_1)
	v_cndmask_b32_e32 v3, v6, v7, vcc_lo
	v_and_or_b32 v1, 0x80000000, v1, v3
	s_delay_alu instid0(VALU_DEP_1)
	v_cvt_i32_f32_e32 v6, v1
.LBB46_1833:
	s_mov_b32 s27, 0
	s_mov_b32 s28, -1
.LBB46_1834:
	s_and_not1_b32 vcc_lo, exec_lo, s27
	s_mov_b32 s27, 0
	s_cbranch_vccnz .LBB46_1845
; %bb.1835:
	s_cmp_gt_i32 s25, 14
	s_cbranch_scc0 .LBB46_1838
; %bb.1836:
	s_cmp_eq_u32 s25, 15
	s_cbranch_scc0 .LBB46_1841
; %bb.1837:
	s_wait_loadcnt 0x0
	global_load_u16 v1, v[4:5], off
	s_mov_b32 s26, 0
	s_mov_b32 s28, -1
	s_wait_loadcnt 0x0
	v_lshlrev_b32_e32 v1, 16, v1
	s_delay_alu instid0(VALU_DEP_1)
	v_cvt_i32_f32_e32 v6, v1
	s_branch .LBB46_1843
.LBB46_1838:
	s_mov_b32 s27, -1
	s_branch .LBB46_1842
.LBB46_1839:
	s_and_not1_saveexec_b32 s27, s27
	s_cbranch_execz .LBB46_1820
.LBB46_1840:
	v_cmp_ne_u16_e32 vcc_lo, 0, v1
	s_and_not1_b32 s28, s28, exec_lo
	s_and_b32 s29, vcc_lo, exec_lo
	s_delay_alu instid0(SALU_CYCLE_1)
	s_or_b32 s28, s28, s29
	s_or_b32 exec_lo, exec_lo, s27
	v_mov_b32_e32 v6, 0
	s_and_saveexec_b32 s27, s28
	s_cbranch_execnz .LBB46_1821
	s_branch .LBB46_1822
.LBB46_1841:
	s_mov_b32 s26, -1
.LBB46_1842:
                                        ; implicit-def: $vgpr6
.LBB46_1843:
	s_and_b32 vcc_lo, exec_lo, s27
	s_mov_b32 s27, 0
	s_cbranch_vccz .LBB46_1845
; %bb.1844:
	s_cmp_lg_u32 s25, 11
	s_mov_b32 s27, -1
	s_cselect_b32 s25, -1, 0
	s_and_not1_b32 s26, s26, exec_lo
	s_and_b32 s25, s25, exec_lo
	s_delay_alu instid0(SALU_CYCLE_1)
	s_or_b32 s26, s26, s25
.LBB46_1845:
	s_mov_b32 s29, 0
.LBB46_1846:
	s_and_not1_b32 s23, s23, exec_lo
	s_and_b32 s26, s26, exec_lo
	s_and_b32 s25, s28, exec_lo
	;; [unrolled: 1-line block ×4, first 2 shown]
	s_or_b32 s23, s23, s26
	s_wait_xcnt 0x0
	s_or_b32 exec_lo, exec_lo, s24
	s_and_saveexec_b32 s24, s23
	s_cbranch_execz .LBB46_1779
.LBB46_1847:
	s_or_b32 s22, s22, exec_lo
	s_and_not1_b32 s27, s27, exec_lo
	s_trap 2
	s_or_b32 exec_lo, exec_lo, s24
	s_and_saveexec_b32 s23, s27
	s_delay_alu instid0(SALU_CYCLE_1)
	s_xor_b32 s23, exec_lo, s23
	s_cbranch_execnz .LBB46_1780
.LBB46_1848:
	s_or_b32 exec_lo, exec_lo, s23
	s_and_saveexec_b32 s23, s28
	s_cbranch_execz .LBB46_1894
.LBB46_1849:
	s_sext_i32_i16 s24, s0
	s_delay_alu instid0(SALU_CYCLE_1)
	s_cmp_lt_i32 s24, 5
	s_cbranch_scc1 .LBB46_1854
; %bb.1850:
	s_cmp_lt_i32 s24, 8
	s_cbranch_scc1 .LBB46_1855
; %bb.1851:
	;; [unrolled: 3-line block ×3, first 2 shown]
	s_cmp_gt_i32 s24, 9
	s_cbranch_scc0 .LBB46_1857
; %bb.1853:
	s_wait_loadcnt 0x0
	global_load_b64 v[6:7], v[4:5], off
	s_mov_b32 s24, 0
	s_wait_loadcnt 0x0
	v_cvt_i32_f64_e32 v6, v[6:7]
	s_branch .LBB46_1858
.LBB46_1854:
                                        ; implicit-def: $vgpr6
	s_branch .LBB46_1875
.LBB46_1855:
                                        ; implicit-def: $vgpr6
	s_branch .LBB46_1864
.LBB46_1856:
	s_mov_b32 s24, -1
                                        ; implicit-def: $vgpr6
	s_branch .LBB46_1861
.LBB46_1857:
	s_mov_b32 s24, -1
                                        ; implicit-def: $vgpr6
.LBB46_1858:
	s_delay_alu instid0(SALU_CYCLE_1)
	s_and_not1_b32 vcc_lo, exec_lo, s24
	s_cbranch_vccnz .LBB46_1860
; %bb.1859:
	s_wait_loadcnt 0x0
	global_load_b32 v1, v[4:5], off
	s_wait_loadcnt 0x0
	v_cvt_i32_f32_e32 v6, v1
.LBB46_1860:
	s_mov_b32 s24, 0
.LBB46_1861:
	s_delay_alu instid0(SALU_CYCLE_1)
	s_and_not1_b32 vcc_lo, exec_lo, s24
	s_cbranch_vccnz .LBB46_1863
; %bb.1862:
	s_wait_loadcnt 0x0
	global_load_b32 v1, v[4:5], off
	s_wait_loadcnt 0x0
	v_cvt_i16_f16_e32 v6, v1
.LBB46_1863:
	s_cbranch_execnz .LBB46_1874
.LBB46_1864:
	s_sext_i32_i16 s24, s0
	s_delay_alu instid0(SALU_CYCLE_1)
	s_cmp_lt_i32 s24, 6
	s_cbranch_scc1 .LBB46_1867
; %bb.1865:
	s_cmp_gt_i32 s24, 6
	s_cbranch_scc0 .LBB46_1868
; %bb.1866:
	s_wait_loadcnt 0x0
	global_load_b64 v[6:7], v[4:5], off
	s_mov_b32 s24, 0
	s_wait_loadcnt 0x0
	v_cvt_i32_f64_e32 v6, v[6:7]
	s_branch .LBB46_1869
.LBB46_1867:
	s_mov_b32 s24, -1
                                        ; implicit-def: $vgpr6
	s_branch .LBB46_1872
.LBB46_1868:
	s_mov_b32 s24, -1
                                        ; implicit-def: $vgpr6
.LBB46_1869:
	s_delay_alu instid0(SALU_CYCLE_1)
	s_and_not1_b32 vcc_lo, exec_lo, s24
	s_cbranch_vccnz .LBB46_1871
; %bb.1870:
	s_wait_loadcnt 0x0
	global_load_b32 v1, v[4:5], off
	s_wait_loadcnt 0x0
	v_cvt_i32_f32_e32 v6, v1
.LBB46_1871:
	s_mov_b32 s24, 0
.LBB46_1872:
	s_delay_alu instid0(SALU_CYCLE_1)
	s_and_not1_b32 vcc_lo, exec_lo, s24
	s_cbranch_vccnz .LBB46_1874
; %bb.1873:
	s_wait_loadcnt 0x0
	global_load_u16 v1, v[4:5], off
	s_wait_loadcnt 0x0
	v_cvt_i16_f16_e32 v6, v1
.LBB46_1874:
	s_cbranch_execnz .LBB46_1893
.LBB46_1875:
	s_sext_i32_i16 s24, s0
	s_delay_alu instid0(SALU_CYCLE_1)
	s_cmp_lt_i32 s24, 2
	s_cbranch_scc1 .LBB46_1879
; %bb.1876:
	s_cmp_lt_i32 s24, 3
	s_cbranch_scc1 .LBB46_1880
; %bb.1877:
	s_cmp_gt_i32 s24, 3
	s_cbranch_scc0 .LBB46_1881
; %bb.1878:
	s_wait_loadcnt 0x0
	global_load_b64 v[6:7], v[4:5], off
	s_mov_b32 s24, 0
	s_branch .LBB46_1882
.LBB46_1879:
                                        ; implicit-def: $vgpr6
	s_branch .LBB46_1888
.LBB46_1880:
	s_mov_b32 s24, -1
                                        ; implicit-def: $vgpr6
	s_branch .LBB46_1885
.LBB46_1881:
	s_mov_b32 s24, -1
                                        ; implicit-def: $vgpr6
.LBB46_1882:
	s_delay_alu instid0(SALU_CYCLE_1)
	s_and_not1_b32 vcc_lo, exec_lo, s24
	s_cbranch_vccnz .LBB46_1884
; %bb.1883:
	s_wait_loadcnt 0x0
	global_load_b32 v6, v[4:5], off
.LBB46_1884:
	s_mov_b32 s24, 0
.LBB46_1885:
	s_delay_alu instid0(SALU_CYCLE_1)
	s_and_not1_b32 vcc_lo, exec_lo, s24
	s_cbranch_vccnz .LBB46_1887
; %bb.1886:
	s_wait_loadcnt 0x0
	global_load_u16 v6, v[4:5], off
.LBB46_1887:
	s_cbranch_execnz .LBB46_1893
.LBB46_1888:
	s_sext_i32_i16 s0, s0
	s_delay_alu instid0(SALU_CYCLE_1)
	s_cmp_gt_i32 s0, 0
	s_mov_b32 s0, 0
	s_cbranch_scc0 .LBB46_1890
; %bb.1889:
	s_wait_loadcnt 0x0
	global_load_u8 v6, v[4:5], off
	s_branch .LBB46_1891
.LBB46_1890:
	s_mov_b32 s0, -1
                                        ; implicit-def: $vgpr6
.LBB46_1891:
	s_delay_alu instid0(SALU_CYCLE_1)
	s_and_not1_b32 vcc_lo, exec_lo, s0
	s_cbranch_vccnz .LBB46_1893
; %bb.1892:
	s_wait_loadcnt 0x0
	global_load_u8 v6, v[4:5], off
.LBB46_1893:
	s_or_b32 s25, s25, exec_lo
.LBB46_1894:
	s_wait_xcnt 0x0
	s_or_b32 exec_lo, exec_lo, s23
	s_mov_b32 s0, 0
	s_mov_b32 s26, 0
                                        ; implicit-def: $sgpr23
                                        ; implicit-def: $vgpr4_vgpr5
                                        ; implicit-def: $vgpr1
	s_and_saveexec_b32 s24, s25
	s_cbranch_execz .LBB46_1902
; %bb.1895:
	v_mul_lo_u32 v4, v26, s12
	s_wait_loadcnt 0x0
	v_mul_lo_u16 v0, v0, s2
	v_mul_lo_u16 v1, v2, s1
	s_and_b32 s23, s18, 0xff
	s_delay_alu instid0(SALU_CYCLE_1) | instskip(NEXT) | instid1(VALU_DEP_1)
	s_cmp_lt_i32 s23, 11
	v_mad_u16 v1, v1, v6, v0
	s_delay_alu instid0(VALU_DEP_4) | instskip(NEXT) | instid1(VALU_DEP_1)
	v_ashrrev_i32_e32 v5, 31, v4
	v_add_nc_u64_e32 v[4:5], s[4:5], v[4:5]
	s_cbranch_scc1 .LBB46_1905
; %bb.1896:
	s_and_b32 s25, 0xffff, s23
	s_mov_b32 s26, -1
	s_cmp_gt_i32 s25, 25
	s_mov_b32 s0, s21
	s_cbranch_scc0 .LBB46_1933
; %bb.1897:
	s_cmp_gt_i32 s25, 28
	s_mov_b32 s0, s21
	s_cbranch_scc0 .LBB46_1917
; %bb.1898:
	;; [unrolled: 4-line block ×4, first 2 shown]
	s_cmp_eq_u32 s25, 46
	s_mov_b32 s0, -1
	s_cbranch_scc0 .LBB46_1906
; %bb.1901:
	v_bfe_i32 v0, v1, 0, 8
	s_mov_b32 s0, 0
	s_mov_b32 s26, 0
	s_delay_alu instid0(VALU_DEP_1) | instskip(NEXT) | instid1(VALU_DEP_1)
	v_bfe_i32 v0, v0, 0, 16
	v_cvt_f32_i32_e32 v0, v0
	s_delay_alu instid0(VALU_DEP_1) | instskip(NEXT) | instid1(VALU_DEP_1)
	v_bfe_u32 v2, v0, 16, 1
	v_add3_u32 v0, v0, v2, 0x7fff
	s_delay_alu instid0(VALU_DEP_1)
	v_lshrrev_b32_e32 v0, 16, v0
	global_store_b32 v[4:5], v0, off
	s_branch .LBB46_1907
.LBB46_1902:
	s_or_b32 exec_lo, exec_lo, s24
	s_and_saveexec_b32 s24, s21
	s_cbranch_execnz .LBB46_1975
.LBB46_1903:
	s_or_b32 exec_lo, exec_lo, s24
	s_and_saveexec_b32 s21, s0
	s_delay_alu instid0(SALU_CYCLE_1)
	s_xor_b32 s0, exec_lo, s21
	s_cbranch_execz .LBB46_1976
.LBB46_1904:
	s_wait_loadcnt 0x0
	v_and_b32_e32 v0, 0xff, v1
	s_delay_alu instid0(VALU_DEP_1)
	v_cmp_ne_u16_e32 vcc_lo, 0, v0
	v_cndmask_b32_e64 v0, 0, 1, vcc_lo
	global_store_b8 v[4:5], v0, off
	s_wait_xcnt 0x0
	s_or_b32 exec_lo, exec_lo, s0
	s_and_saveexec_b32 s0, s26
	s_delay_alu instid0(SALU_CYCLE_1)
	s_xor_b32 s0, exec_lo, s0
	s_cbranch_execz .LBB46_2014
	s_branch .LBB46_1977
.LBB46_1905:
	s_mov_b32 s27, 0
	s_mov_b32 s26, -1
	s_mov_b32 s0, s21
	s_branch .LBB46_1974
.LBB46_1906:
	s_mov_b32 s26, 0
.LBB46_1907:
	s_delay_alu instid0(SALU_CYCLE_1)
	s_and_b32 vcc_lo, exec_lo, s26
	s_cbranch_vccz .LBB46_1912
; %bb.1908:
	s_cmp_eq_u32 s25, 44
	s_mov_b32 s0, -1
	s_cbranch_scc0 .LBB46_1912
; %bb.1909:
	s_wait_xcnt 0x0
	v_bfe_i32 v0, v1, 0, 8
	v_mov_b32_e32 v2, 0xff
	s_mov_b32 s26, exec_lo
	s_delay_alu instid0(VALU_DEP_2) | instskip(NEXT) | instid1(VALU_DEP_1)
	v_bfe_i32 v0, v0, 0, 16
	v_cvt_f32_i32_e32 v0, v0
	s_delay_alu instid0(VALU_DEP_1) | instskip(NEXT) | instid1(VALU_DEP_1)
	v_bfe_u32 v3, v0, 23, 8
	v_cmpx_ne_u32_e32 0xff, v3
	s_cbranch_execz .LBB46_1911
; %bb.1910:
	v_and_b32_e32 v2, 0x400000, v0
	v_and_or_b32 v3, 0x3fffff, v0, v3
	v_lshrrev_b32_e32 v0, 23, v0
	s_delay_alu instid0(VALU_DEP_3) | instskip(NEXT) | instid1(VALU_DEP_3)
	v_cmp_ne_u32_e32 vcc_lo, 0, v2
	v_cmp_ne_u32_e64 s0, 0, v3
	s_and_b32 s0, vcc_lo, s0
	s_delay_alu instid0(SALU_CYCLE_1) | instskip(NEXT) | instid1(VALU_DEP_1)
	v_cndmask_b32_e64 v2, 0, 1, s0
	v_add_nc_u32_e32 v2, v0, v2
.LBB46_1911:
	s_or_b32 exec_lo, exec_lo, s26
	s_mov_b32 s0, 0
	global_store_b8 v[4:5], v2, off
.LBB46_1912:
	s_mov_b32 s26, 0
.LBB46_1913:
	s_delay_alu instid0(SALU_CYCLE_1)
	s_and_b32 vcc_lo, exec_lo, s26
	s_cbranch_vccz .LBB46_1916
; %bb.1914:
	s_cmp_eq_u32 s25, 29
	s_mov_b32 s0, -1
	s_cbranch_scc0 .LBB46_1916
; %bb.1915:
	s_wait_xcnt 0x0
	v_bfe_i32 v2, v1, 0, 8
	s_mov_b32 s0, 0
	s_mov_b32 s26, 0
	s_delay_alu instid0(VALU_DEP_1)
	v_ashrrev_i32_e32 v3, 31, v2
	global_store_b64 v[4:5], v[2:3], off
	s_branch .LBB46_1917
.LBB46_1916:
	s_mov_b32 s26, 0
.LBB46_1917:
	s_delay_alu instid0(SALU_CYCLE_1)
	s_and_b32 vcc_lo, exec_lo, s26
	s_cbranch_vccz .LBB46_1932
; %bb.1918:
	s_cmp_lt_i32 s25, 27
	s_mov_b32 s26, -1
	s_cbranch_scc1 .LBB46_1924
; %bb.1919:
	s_cmp_gt_i32 s25, 27
	s_cbranch_scc0 .LBB46_1921
; %bb.1920:
	s_wait_xcnt 0x0
	v_bfe_i32 v0, v1, 0, 8
	s_mov_b32 s26, 0
	global_store_b32 v[4:5], v0, off
.LBB46_1921:
	s_and_not1_b32 vcc_lo, exec_lo, s26
	s_cbranch_vccnz .LBB46_1923
; %bb.1922:
	s_wait_xcnt 0x0
	v_bfe_i32 v0, v1, 0, 8
	global_store_b16 v[4:5], v0, off
.LBB46_1923:
	s_mov_b32 s26, 0
.LBB46_1924:
	s_delay_alu instid0(SALU_CYCLE_1)
	s_and_not1_b32 vcc_lo, exec_lo, s26
	s_cbranch_vccnz .LBB46_1932
; %bb.1925:
	s_wait_xcnt 0x0
	v_bfe_i32 v0, v1, 0, 8
	v_mov_b32_e32 v3, 0x80
	s_mov_b32 s26, exec_lo
	s_delay_alu instid0(VALU_DEP_2) | instskip(NEXT) | instid1(VALU_DEP_1)
	v_bfe_i32 v0, v0, 0, 16
	v_cvt_f32_i32_e32 v0, v0
	s_delay_alu instid0(VALU_DEP_1) | instskip(NEXT) | instid1(VALU_DEP_1)
	v_and_b32_e32 v2, 0x7fffffff, v0
	v_cmpx_gt_u32_e32 0x43800000, v2
	s_cbranch_execz .LBB46_1931
; %bb.1926:
	v_cmp_lt_u32_e32 vcc_lo, 0x3bffffff, v2
	s_mov_b32 s27, 0
                                        ; implicit-def: $vgpr2
	s_and_saveexec_b32 s28, vcc_lo
	s_delay_alu instid0(SALU_CYCLE_1)
	s_xor_b32 s28, exec_lo, s28
	s_cbranch_execz .LBB46_2029
; %bb.1927:
	v_bfe_u32 v2, v0, 20, 1
	s_mov_b32 s27, exec_lo
	s_delay_alu instid0(VALU_DEP_1) | instskip(NEXT) | instid1(VALU_DEP_1)
	v_add3_u32 v2, v0, v2, 0x487ffff
	v_lshrrev_b32_e32 v2, 20, v2
	s_and_not1_saveexec_b32 s28, s28
	s_cbranch_execnz .LBB46_2030
.LBB46_1928:
	s_or_b32 exec_lo, exec_lo, s28
	v_mov_b32_e32 v3, 0
	s_and_saveexec_b32 s28, s27
.LBB46_1929:
	v_lshrrev_b32_e32 v0, 24, v0
	s_delay_alu instid0(VALU_DEP_1)
	v_and_or_b32 v3, 0x80, v0, v2
.LBB46_1930:
	s_or_b32 exec_lo, exec_lo, s28
.LBB46_1931:
	s_delay_alu instid0(SALU_CYCLE_1)
	s_or_b32 exec_lo, exec_lo, s26
	global_store_b8 v[4:5], v3, off
.LBB46_1932:
	s_mov_b32 s26, 0
.LBB46_1933:
	s_delay_alu instid0(SALU_CYCLE_1)
	s_and_b32 vcc_lo, exec_lo, s26
	s_mov_b32 s26, 0
	s_cbranch_vccz .LBB46_1973
; %bb.1934:
	s_cmp_gt_i32 s25, 22
	s_mov_b32 s27, -1
	s_cbranch_scc0 .LBB46_1966
; %bb.1935:
	s_cmp_lt_i32 s25, 24
	s_cbranch_scc1 .LBB46_1955
; %bb.1936:
	s_cmp_gt_i32 s25, 24
	s_cbranch_scc0 .LBB46_1944
; %bb.1937:
	s_wait_xcnt 0x0
	v_bfe_i32 v0, v1, 0, 8
	v_mov_b32_e32 v3, 0x80
	s_mov_b32 s27, exec_lo
	s_delay_alu instid0(VALU_DEP_2) | instskip(NEXT) | instid1(VALU_DEP_1)
	v_bfe_i32 v0, v0, 0, 16
	v_cvt_f32_i32_e32 v0, v0
	s_delay_alu instid0(VALU_DEP_1) | instskip(NEXT) | instid1(VALU_DEP_1)
	v_and_b32_e32 v2, 0x7fffffff, v0
	v_cmpx_gt_u32_e32 0x47800000, v2
	s_cbranch_execz .LBB46_1943
; %bb.1938:
	v_cmp_lt_u32_e32 vcc_lo, 0x37ffffff, v2
	s_mov_b32 s28, 0
                                        ; implicit-def: $vgpr2
	s_and_saveexec_b32 s29, vcc_lo
	s_delay_alu instid0(SALU_CYCLE_1)
	s_xor_b32 s29, exec_lo, s29
	s_cbranch_execz .LBB46_2150
; %bb.1939:
	v_bfe_u32 v2, v0, 21, 1
	s_mov_b32 s28, exec_lo
	s_delay_alu instid0(VALU_DEP_1) | instskip(NEXT) | instid1(VALU_DEP_1)
	v_add3_u32 v2, v0, v2, 0x88fffff
	v_lshrrev_b32_e32 v2, 21, v2
	s_and_not1_saveexec_b32 s29, s29
	s_cbranch_execnz .LBB46_2151
.LBB46_1940:
	s_or_b32 exec_lo, exec_lo, s29
	v_mov_b32_e32 v3, 0
	s_and_saveexec_b32 s29, s28
.LBB46_1941:
	v_lshrrev_b32_e32 v0, 24, v0
	s_delay_alu instid0(VALU_DEP_1)
	v_and_or_b32 v3, 0x80, v0, v2
.LBB46_1942:
	s_or_b32 exec_lo, exec_lo, s29
.LBB46_1943:
	s_delay_alu instid0(SALU_CYCLE_1)
	s_or_b32 exec_lo, exec_lo, s27
	s_mov_b32 s27, 0
	global_store_b8 v[4:5], v3, off
.LBB46_1944:
	s_and_b32 vcc_lo, exec_lo, s27
	s_cbranch_vccz .LBB46_1954
; %bb.1945:
	s_wait_xcnt 0x0
	v_bfe_i32 v0, v1, 0, 8
	s_mov_b32 s27, exec_lo
                                        ; implicit-def: $vgpr2
	s_delay_alu instid0(VALU_DEP_1) | instskip(NEXT) | instid1(VALU_DEP_1)
	v_bfe_i32 v0, v0, 0, 16
	v_cvt_f32_i32_e32 v0, v0
	s_delay_alu instid0(VALU_DEP_1) | instskip(NEXT) | instid1(VALU_DEP_1)
	v_and_b32_e32 v3, 0x7fffffff, v0
	v_cmpx_gt_u32_e32 0x43f00000, v3
	s_xor_b32 s27, exec_lo, s27
	s_cbranch_execz .LBB46_1951
; %bb.1946:
	s_mov_b32 s28, exec_lo
                                        ; implicit-def: $vgpr2
	v_cmpx_lt_u32_e32 0x3c7fffff, v3
	s_xor_b32 s28, exec_lo, s28
; %bb.1947:
	v_bfe_u32 v2, v0, 20, 1
	s_delay_alu instid0(VALU_DEP_1) | instskip(NEXT) | instid1(VALU_DEP_1)
	v_add3_u32 v2, v0, v2, 0x407ffff
	v_and_b32_e32 v3, 0xff00000, v2
	v_lshrrev_b32_e32 v2, 20, v2
	s_delay_alu instid0(VALU_DEP_2) | instskip(NEXT) | instid1(VALU_DEP_2)
	v_cmp_ne_u32_e32 vcc_lo, 0x7f00000, v3
	v_cndmask_b32_e32 v2, 0x7e, v2, vcc_lo
; %bb.1948:
	s_and_not1_saveexec_b32 s28, s28
; %bb.1949:
	v_add_f32_e64 v2, 0x46800000, |v0|
; %bb.1950:
	s_or_b32 exec_lo, exec_lo, s28
                                        ; implicit-def: $vgpr3
.LBB46_1951:
	s_and_not1_saveexec_b32 s27, s27
; %bb.1952:
	v_mov_b32_e32 v2, 0x7f
	v_cmp_lt_u32_e32 vcc_lo, 0x7f800000, v3
	s_delay_alu instid0(VALU_DEP_2)
	v_cndmask_b32_e32 v2, 0x7e, v2, vcc_lo
; %bb.1953:
	s_or_b32 exec_lo, exec_lo, s27
	v_lshrrev_b32_e32 v0, 24, v0
	s_delay_alu instid0(VALU_DEP_1)
	v_and_or_b32 v0, 0x80, v0, v2
	global_store_b8 v[4:5], v0, off
.LBB46_1954:
	s_mov_b32 s27, 0
.LBB46_1955:
	s_delay_alu instid0(SALU_CYCLE_1)
	s_and_not1_b32 vcc_lo, exec_lo, s27
	s_cbranch_vccnz .LBB46_1965
; %bb.1956:
	s_wait_xcnt 0x0
	v_bfe_i32 v0, v1, 0, 8
	s_mov_b32 s27, exec_lo
                                        ; implicit-def: $vgpr2
	s_delay_alu instid0(VALU_DEP_1) | instskip(NEXT) | instid1(VALU_DEP_1)
	v_bfe_i32 v0, v0, 0, 16
	v_cvt_f32_i32_e32 v0, v0
	s_delay_alu instid0(VALU_DEP_1) | instskip(NEXT) | instid1(VALU_DEP_1)
	v_and_b32_e32 v3, 0x7fffffff, v0
	v_cmpx_gt_u32_e32 0x47800000, v3
	s_xor_b32 s27, exec_lo, s27
	s_cbranch_execz .LBB46_1962
; %bb.1957:
	s_mov_b32 s28, exec_lo
                                        ; implicit-def: $vgpr2
	v_cmpx_lt_u32_e32 0x387fffff, v3
	s_xor_b32 s28, exec_lo, s28
; %bb.1958:
	v_bfe_u32 v2, v0, 21, 1
	s_delay_alu instid0(VALU_DEP_1) | instskip(NEXT) | instid1(VALU_DEP_1)
	v_add3_u32 v2, v0, v2, 0x80fffff
	v_lshrrev_b32_e32 v2, 21, v2
; %bb.1959:
	s_and_not1_saveexec_b32 s28, s28
; %bb.1960:
	v_add_f32_e64 v2, 0x43000000, |v0|
; %bb.1961:
	s_or_b32 exec_lo, exec_lo, s28
                                        ; implicit-def: $vgpr3
.LBB46_1962:
	s_and_not1_saveexec_b32 s27, s27
; %bb.1963:
	v_mov_b32_e32 v2, 0x7f
	v_cmp_lt_u32_e32 vcc_lo, 0x7f800000, v3
	s_delay_alu instid0(VALU_DEP_2)
	v_cndmask_b32_e32 v2, 0x7c, v2, vcc_lo
; %bb.1964:
	s_or_b32 exec_lo, exec_lo, s27
	v_lshrrev_b32_e32 v0, 24, v0
	s_delay_alu instid0(VALU_DEP_1)
	v_and_or_b32 v0, 0x80, v0, v2
	global_store_b8 v[4:5], v0, off
.LBB46_1965:
	s_mov_b32 s27, 0
.LBB46_1966:
	s_delay_alu instid0(SALU_CYCLE_1)
	s_and_not1_b32 vcc_lo, exec_lo, s27
	s_mov_b32 s27, 0
	s_cbranch_vccnz .LBB46_1974
; %bb.1967:
	s_cmp_gt_i32 s25, 14
	s_mov_b32 s27, -1
	s_cbranch_scc0 .LBB46_1971
; %bb.1968:
	s_cmp_eq_u32 s25, 15
	s_mov_b32 s0, -1
	s_cbranch_scc0 .LBB46_1970
; %bb.1969:
	s_wait_xcnt 0x0
	v_bfe_i32 v0, v1, 0, 8
	s_mov_b32 s0, 0
	s_delay_alu instid0(VALU_DEP_1) | instskip(NEXT) | instid1(VALU_DEP_1)
	v_bfe_i32 v0, v0, 0, 16
	v_cvt_f32_i32_e32 v0, v0
	s_delay_alu instid0(VALU_DEP_1) | instskip(NEXT) | instid1(VALU_DEP_1)
	v_bfe_u32 v2, v0, 16, 1
	v_add3_u32 v0, v0, v2, 0x7fff
	global_store_d16_hi_b16 v[4:5], v0, off
.LBB46_1970:
	s_mov_b32 s27, 0
.LBB46_1971:
	s_delay_alu instid0(SALU_CYCLE_1)
	s_and_b32 vcc_lo, exec_lo, s27
	s_mov_b32 s27, 0
	s_cbranch_vccz .LBB46_1974
; %bb.1972:
	s_cmp_lg_u32 s25, 11
	s_mov_b32 s27, -1
	s_cselect_b32 s25, -1, 0
	s_and_not1_b32 s0, s0, exec_lo
	s_and_b32 s25, s25, exec_lo
	s_delay_alu instid0(SALU_CYCLE_1)
	s_or_b32 s0, s0, s25
	s_branch .LBB46_1974
.LBB46_1973:
	s_mov_b32 s27, 0
.LBB46_1974:
	s_and_not1_b32 s21, s21, exec_lo
	s_and_b32 s25, s0, exec_lo
	s_and_b32 s26, s26, exec_lo
	;; [unrolled: 1-line block ×3, first 2 shown]
	s_or_b32 s21, s21, s25
	s_wait_xcnt 0x0
	s_or_b32 exec_lo, exec_lo, s24
	s_and_saveexec_b32 s24, s21
	s_cbranch_execz .LBB46_1903
.LBB46_1975:
	s_or_b32 s22, s22, exec_lo
	s_and_not1_b32 s0, s0, exec_lo
	s_trap 2
	s_or_b32 exec_lo, exec_lo, s24
	s_and_saveexec_b32 s21, s0
	s_delay_alu instid0(SALU_CYCLE_1)
	s_xor_b32 s0, exec_lo, s21
	s_cbranch_execnz .LBB46_1904
.LBB46_1976:
	s_or_b32 exec_lo, exec_lo, s0
	s_and_saveexec_b32 s0, s26
	s_delay_alu instid0(SALU_CYCLE_1)
	s_xor_b32 s0, exec_lo, s0
	s_cbranch_execz .LBB46_2014
.LBB46_1977:
	s_sext_i32_i16 s24, s23
	s_mov_b32 s21, -1
	s_cmp_lt_i32 s24, 5
	s_cbranch_scc1 .LBB46_1998
; %bb.1978:
	s_cmp_lt_i32 s24, 8
	s_cbranch_scc1 .LBB46_1988
; %bb.1979:
	;; [unrolled: 3-line block ×3, first 2 shown]
	s_cmp_gt_i32 s24, 9
	s_cbranch_scc0 .LBB46_1982
; %bb.1981:
	s_wait_loadcnt 0x0
	v_bfe_i32 v0, v1, 0, 8
	v_mov_b32_e32 v8, 0
	s_mov_b32 s21, 0
	s_delay_alu instid0(VALU_DEP_2) | instskip(NEXT) | instid1(VALU_DEP_2)
	v_bfe_i32 v0, v0, 0, 16
	v_mov_b32_e32 v9, v8
	s_delay_alu instid0(VALU_DEP_2)
	v_cvt_f64_i32_e32 v[6:7], v0
	global_store_b128 v[4:5], v[6:9], off
.LBB46_1982:
	s_and_not1_b32 vcc_lo, exec_lo, s21
	s_cbranch_vccnz .LBB46_1984
; %bb.1983:
	s_wait_loadcnt 0x0
	v_bfe_i32 v0, v1, 0, 8
	v_mov_b32_e32 v3, 0
	s_delay_alu instid0(VALU_DEP_2) | instskip(NEXT) | instid1(VALU_DEP_1)
	v_bfe_i32 v0, v0, 0, 16
	v_cvt_f32_i32_e32 v2, v0
	global_store_b64 v[4:5], v[2:3], off
.LBB46_1984:
	s_mov_b32 s21, 0
.LBB46_1985:
	s_delay_alu instid0(SALU_CYCLE_1)
	s_and_not1_b32 vcc_lo, exec_lo, s21
	s_cbranch_vccnz .LBB46_1987
; %bb.1986:
	s_wait_loadcnt 0x0
	v_bfe_i32 v0, v1, 0, 8
	s_delay_alu instid0(VALU_DEP_1) | instskip(NEXT) | instid1(VALU_DEP_1)
	v_cvt_f16_i16_e32 v0, v0
	v_and_b32_e32 v0, 0xffff, v0
	global_store_b32 v[4:5], v0, off
.LBB46_1987:
	s_mov_b32 s21, 0
.LBB46_1988:
	s_delay_alu instid0(SALU_CYCLE_1)
	s_and_not1_b32 vcc_lo, exec_lo, s21
	s_cbranch_vccnz .LBB46_1997
; %bb.1989:
	s_sext_i32_i16 s24, s23
	s_mov_b32 s21, -1
	s_cmp_lt_i32 s24, 6
	s_cbranch_scc1 .LBB46_1995
; %bb.1990:
	s_cmp_gt_i32 s24, 6
	s_cbranch_scc0 .LBB46_1992
; %bb.1991:
	s_wait_loadcnt 0x0
	v_bfe_i32 v0, v1, 0, 8
	s_mov_b32 s21, 0
	s_delay_alu instid0(VALU_DEP_1) | instskip(NEXT) | instid1(VALU_DEP_1)
	v_bfe_i32 v0, v0, 0, 16
	v_cvt_f64_i32_e32 v[2:3], v0
	global_store_b64 v[4:5], v[2:3], off
.LBB46_1992:
	s_and_not1_b32 vcc_lo, exec_lo, s21
	s_cbranch_vccnz .LBB46_1994
; %bb.1993:
	s_wait_loadcnt 0x0
	v_bfe_i32 v0, v1, 0, 8
	s_delay_alu instid0(VALU_DEP_1) | instskip(NEXT) | instid1(VALU_DEP_1)
	v_bfe_i32 v0, v0, 0, 16
	v_cvt_f32_i32_e32 v0, v0
	global_store_b32 v[4:5], v0, off
.LBB46_1994:
	s_mov_b32 s21, 0
.LBB46_1995:
	s_delay_alu instid0(SALU_CYCLE_1)
	s_and_not1_b32 vcc_lo, exec_lo, s21
	s_cbranch_vccnz .LBB46_1997
; %bb.1996:
	s_wait_loadcnt 0x0
	v_bfe_i32 v0, v1, 0, 8
	s_delay_alu instid0(VALU_DEP_1)
	v_cvt_f16_i16_e32 v0, v0
	global_store_b16 v[4:5], v0, off
.LBB46_1997:
	s_mov_b32 s21, 0
.LBB46_1998:
	s_delay_alu instid0(SALU_CYCLE_1)
	s_and_not1_b32 vcc_lo, exec_lo, s21
	s_cbranch_vccnz .LBB46_2014
; %bb.1999:
	s_sext_i32_i16 s24, s23
	s_mov_b32 s21, -1
	s_cmp_lt_i32 s24, 2
	s_cbranch_scc1 .LBB46_2009
; %bb.2000:
	s_cmp_lt_i32 s24, 3
	s_cbranch_scc1 .LBB46_2006
; %bb.2001:
	s_cmp_gt_i32 s24, 3
	s_cbranch_scc0 .LBB46_2003
; %bb.2002:
	s_wait_loadcnt 0x0
	v_bfe_i32 v2, v1, 0, 8
	s_mov_b32 s21, 0
	s_delay_alu instid0(VALU_DEP_1)
	v_ashrrev_i32_e32 v3, 31, v2
	global_store_b64 v[4:5], v[2:3], off
.LBB46_2003:
	s_and_not1_b32 vcc_lo, exec_lo, s21
	s_cbranch_vccnz .LBB46_2005
; %bb.2004:
	s_wait_loadcnt 0x0
	v_bfe_i32 v0, v1, 0, 8
	global_store_b32 v[4:5], v0, off
.LBB46_2005:
	s_mov_b32 s21, 0
.LBB46_2006:
	s_delay_alu instid0(SALU_CYCLE_1)
	s_and_not1_b32 vcc_lo, exec_lo, s21
	s_cbranch_vccnz .LBB46_2008
; %bb.2007:
	s_wait_loadcnt 0x0
	v_bfe_i32 v0, v1, 0, 8
	global_store_b16 v[4:5], v0, off
.LBB46_2008:
	s_mov_b32 s21, 0
.LBB46_2009:
	s_delay_alu instid0(SALU_CYCLE_1)
	s_and_not1_b32 vcc_lo, exec_lo, s21
	s_cbranch_vccnz .LBB46_2014
; %bb.2010:
	s_sext_i32_i16 s21, s23
	s_delay_alu instid0(SALU_CYCLE_1)
	s_cmp_gt_i32 s21, 0
	s_mov_b32 s21, -1
	s_cbranch_scc0 .LBB46_2012
; %bb.2011:
	s_mov_b32 s21, 0
	s_wait_loadcnt 0x0
	global_store_b8 v[4:5], v1, off
.LBB46_2012:
	s_and_not1_b32 vcc_lo, exec_lo, s21
	s_cbranch_vccnz .LBB46_2014
; %bb.2013:
	s_wait_loadcnt 0x0
	global_store_b8 v[4:5], v1, off
.LBB46_2014:
	s_wait_xcnt 0x0
	s_or_b32 exec_lo, exec_lo, s0
	s_delay_alu instid0(SALU_CYCLE_1)
	s_and_b32 s21, s22, exec_lo
                                        ; implicit-def: $vgpr26
.LBB46_2015:
	s_or_saveexec_b32 s20, s20
	s_mov_b32 s0, 0
                                        ; implicit-def: $sgpr22
                                        ; implicit-def: $vgpr0_vgpr1
                                        ; implicit-def: $vgpr4
	s_xor_b32 exec_lo, exec_lo, s20
	s_cbranch_execz .LBB46_3970
; %bb.2016:
	v_mul_lo_u32 v4, s13, v26
	s_and_b32 s0, s16, 0xff
	s_delay_alu instid0(SALU_CYCLE_1) | instskip(NEXT) | instid1(VALU_DEP_1)
	s_cmp_lt_i32 s0, 11
	v_ashrrev_i32_e32 v5, 31, v4
	s_wait_loadcnt 0x0
	s_delay_alu instid0(VALU_DEP_1)
	v_add_nc_u64_e32 v[2:3], s[6:7], v[4:5]
	s_cbranch_scc1 .LBB46_2023
; %bb.2017:
	s_and_b32 s16, 0xffff, s0
	s_mov_b32 s22, 0
	s_cmp_gt_i32 s16, 25
	s_cbranch_scc0 .LBB46_2025
; %bb.2018:
	s_cmp_gt_i32 s16, 28
	s_cbranch_scc0 .LBB46_2026
; %bb.2019:
	s_cmp_gt_i32 s16, 43
	s_cbranch_scc0 .LBB46_2027
; %bb.2020:
	s_cmp_gt_i32 s16, 45
	s_cbranch_scc0 .LBB46_2028
; %bb.2021:
	s_cmp_eq_u32 s16, 46
	s_mov_b32 s24, 0
	s_cbranch_scc0 .LBB46_2031
; %bb.2022:
	global_load_b32 v0, v[2:3], off
	s_mov_b32 s23, -1
	s_wait_loadcnt 0x0
	v_lshlrev_b32_e32 v0, 16, v0
	s_delay_alu instid0(VALU_DEP_1)
	v_cvt_i32_f32_e32 v0, v0
	s_branch .LBB46_2033
.LBB46_2023:
	s_mov_b32 s23, 0
	s_mov_b32 s16, s21
                                        ; implicit-def: $vgpr0
	s_cbranch_execnz .LBB46_2091
.LBB46_2024:
	s_and_not1_b32 vcc_lo, exec_lo, s23
	s_cbranch_vccz .LBB46_2136
	s_branch .LBB46_3968
.LBB46_2025:
	s_mov_b32 s23, 0
                                        ; implicit-def: $vgpr0
	s_cbranch_execnz .LBB46_2058
	s_branch .LBB46_2087
.LBB46_2026:
	s_mov_b32 s23, 0
                                        ; implicit-def: $vgpr0
	s_cbranch_execz .LBB46_2057
	s_branch .LBB46_2042
.LBB46_2027:
	s_mov_b32 s23, 0
                                        ; implicit-def: $vgpr0
	s_cbranch_execnz .LBB46_2038
	s_branch .LBB46_2041
.LBB46_2028:
	s_mov_b32 s24, -1
	s_branch .LBB46_2032
.LBB46_2029:
	s_and_not1_saveexec_b32 s28, s28
	s_cbranch_execz .LBB46_1928
.LBB46_2030:
	v_add_f32_e64 v2, 0x46000000, |v0|
	s_and_not1_b32 s27, s27, exec_lo
	s_delay_alu instid0(VALU_DEP_1) | instskip(NEXT) | instid1(VALU_DEP_1)
	v_and_b32_e32 v2, 0xff, v2
	v_cmp_ne_u32_e32 vcc_lo, 0, v2
	s_and_b32 s29, vcc_lo, exec_lo
	s_delay_alu instid0(SALU_CYCLE_1)
	s_or_b32 s27, s27, s29
	s_or_b32 exec_lo, exec_lo, s28
	v_mov_b32_e32 v3, 0
	s_and_saveexec_b32 s28, s27
	s_cbranch_execnz .LBB46_1929
	s_branch .LBB46_1930
.LBB46_2031:
	s_mov_b32 s19, -1
.LBB46_2032:
	s_mov_b32 s23, 0
                                        ; implicit-def: $vgpr0
.LBB46_2033:
	s_and_b32 vcc_lo, exec_lo, s24
	s_cbranch_vccz .LBB46_2036
; %bb.2034:
	s_cmp_eq_u32 s16, 44
	s_cbranch_scc0 .LBB46_2037
; %bb.2035:
	global_load_u8 v0, v[2:3], off
	s_mov_b32 s19, 0
	s_mov_b32 s23, -1
	s_wait_loadcnt 0x0
	v_lshlrev_b32_e32 v1, 23, v0
	v_cmp_ne_u32_e32 vcc_lo, 0, v0
	s_delay_alu instid0(VALU_DEP_2) | instskip(NEXT) | instid1(VALU_DEP_1)
	v_cvt_i32_f32_e32 v1, v1
	v_cndmask_b32_e32 v0, 0, v1, vcc_lo
.LBB46_2036:
	s_branch .LBB46_2041
.LBB46_2037:
	s_mov_b32 s19, -1
                                        ; implicit-def: $vgpr0
	s_branch .LBB46_2041
.LBB46_2038:
	s_cmp_eq_u32 s16, 29
	s_cbranch_scc0 .LBB46_2040
; %bb.2039:
	global_load_b64 v[0:1], v[2:3], off
	s_mov_b32 s19, 0
	s_mov_b32 s23, -1
	s_branch .LBB46_2041
.LBB46_2040:
	s_mov_b32 s19, -1
                                        ; implicit-def: $vgpr0
.LBB46_2041:
	s_branch .LBB46_2057
.LBB46_2042:
	s_cmp_lt_i32 s16, 27
	s_cbranch_scc1 .LBB46_2045
; %bb.2043:
	s_cmp_gt_i32 s16, 27
	s_cbranch_scc0 .LBB46_2046
; %bb.2044:
	s_wait_loadcnt 0x0
	global_load_b32 v0, v[2:3], off
	s_mov_b32 s23, 0
	s_branch .LBB46_2047
.LBB46_2045:
	s_mov_b32 s23, -1
                                        ; implicit-def: $vgpr0
	s_branch .LBB46_2050
.LBB46_2046:
	s_mov_b32 s23, -1
                                        ; implicit-def: $vgpr0
.LBB46_2047:
	s_delay_alu instid0(SALU_CYCLE_1)
	s_and_not1_b32 vcc_lo, exec_lo, s23
	s_cbranch_vccnz .LBB46_2049
; %bb.2048:
	s_wait_loadcnt 0x0
	global_load_u16 v0, v[2:3], off
.LBB46_2049:
	s_mov_b32 s23, 0
.LBB46_2050:
	s_delay_alu instid0(SALU_CYCLE_1)
	s_and_not1_b32 vcc_lo, exec_lo, s23
	s_cbranch_vccnz .LBB46_2056
; %bb.2051:
	s_wait_loadcnt 0x0
	global_load_u8 v1, v[2:3], off
	s_mov_b32 s24, 0
	s_mov_b32 s23, exec_lo
	s_wait_loadcnt 0x0
	v_cmpx_lt_i16_e32 0x7f, v1
	s_xor_b32 s23, exec_lo, s23
	s_cbranch_execz .LBB46_2067
; %bb.2052:
	v_cmp_ne_u16_e32 vcc_lo, 0x80, v1
	s_and_b32 s24, vcc_lo, exec_lo
	s_and_not1_saveexec_b32 s23, s23
	s_cbranch_execnz .LBB46_2068
.LBB46_2053:
	s_or_b32 exec_lo, exec_lo, s23
	v_mov_b32_e32 v0, 0
	s_and_saveexec_b32 s23, s24
	s_cbranch_execz .LBB46_2055
.LBB46_2054:
	v_and_b32_e32 v0, 0xffff, v1
	s_delay_alu instid0(VALU_DEP_1) | instskip(SKIP_1) | instid1(VALU_DEP_2)
	v_and_b32_e32 v5, 7, v0
	v_bfe_u32 v8, v0, 3, 4
	v_clz_i32_u32_e32 v6, v5
	s_delay_alu instid0(VALU_DEP_2) | instskip(NEXT) | instid1(VALU_DEP_2)
	v_cmp_eq_u32_e32 vcc_lo, 0, v8
	v_min_u32_e32 v6, 32, v6
	s_delay_alu instid0(VALU_DEP_1) | instskip(NEXT) | instid1(VALU_DEP_1)
	v_subrev_nc_u32_e32 v7, 28, v6
	v_dual_lshlrev_b32 v0, v7, v0 :: v_dual_sub_nc_u32 v6, 29, v6
	s_delay_alu instid0(VALU_DEP_1) | instskip(NEXT) | instid1(VALU_DEP_1)
	v_dual_lshlrev_b32 v1, 24, v1 :: v_dual_bitop2_b32 v0, 7, v0 bitop3:0x40
	v_dual_cndmask_b32 v6, v8, v6, vcc_lo :: v_dual_cndmask_b32 v0, v5, v0, vcc_lo
	s_delay_alu instid0(VALU_DEP_2) | instskip(NEXT) | instid1(VALU_DEP_2)
	v_and_b32_e32 v1, 0x80000000, v1
	v_lshl_add_u32 v5, v6, 23, 0x3b800000
	s_delay_alu instid0(VALU_DEP_3) | instskip(NEXT) | instid1(VALU_DEP_1)
	v_lshlrev_b32_e32 v0, 20, v0
	v_or3_b32 v0, v1, v5, v0
	s_delay_alu instid0(VALU_DEP_1)
	v_cvt_i32_f32_e32 v0, v0
.LBB46_2055:
	s_or_b32 exec_lo, exec_lo, s23
.LBB46_2056:
	s_mov_b32 s23, -1
.LBB46_2057:
	s_branch .LBB46_2087
.LBB46_2058:
	s_cmp_gt_i32 s16, 22
	s_cbranch_scc0 .LBB46_2066
; %bb.2059:
	s_cmp_lt_i32 s16, 24
	s_cbranch_scc1 .LBB46_2069
; %bb.2060:
	s_cmp_gt_i32 s16, 24
	s_cbranch_scc0 .LBB46_2070
; %bb.2061:
	s_wait_loadcnt 0x0
	global_load_u8 v1, v[2:3], off
	s_mov_b32 s23, 0
	s_mov_b32 s22, exec_lo
	s_wait_loadcnt 0x0
	v_cmpx_lt_i16_e32 0x7f, v1
	s_xor_b32 s22, exec_lo, s22
	s_cbranch_execz .LBB46_2081
; %bb.2062:
	v_cmp_ne_u16_e32 vcc_lo, 0x80, v1
	s_and_b32 s23, vcc_lo, exec_lo
	s_and_not1_saveexec_b32 s22, s22
	s_cbranch_execnz .LBB46_2082
.LBB46_2063:
	s_or_b32 exec_lo, exec_lo, s22
	v_mov_b32_e32 v0, 0
	s_and_saveexec_b32 s22, s23
	s_cbranch_execz .LBB46_2065
.LBB46_2064:
	v_and_b32_e32 v0, 0xffff, v1
	s_delay_alu instid0(VALU_DEP_1) | instskip(SKIP_1) | instid1(VALU_DEP_2)
	v_and_b32_e32 v5, 3, v0
	v_bfe_u32 v8, v0, 2, 5
	v_clz_i32_u32_e32 v6, v5
	s_delay_alu instid0(VALU_DEP_2) | instskip(NEXT) | instid1(VALU_DEP_2)
	v_cmp_eq_u32_e32 vcc_lo, 0, v8
	v_min_u32_e32 v6, 32, v6
	s_delay_alu instid0(VALU_DEP_1) | instskip(NEXT) | instid1(VALU_DEP_1)
	v_subrev_nc_u32_e32 v7, 29, v6
	v_dual_lshlrev_b32 v0, v7, v0 :: v_dual_sub_nc_u32 v6, 30, v6
	s_delay_alu instid0(VALU_DEP_1) | instskip(NEXT) | instid1(VALU_DEP_1)
	v_dual_lshlrev_b32 v1, 24, v1 :: v_dual_bitop2_b32 v0, 3, v0 bitop3:0x40
	v_dual_cndmask_b32 v6, v8, v6, vcc_lo :: v_dual_cndmask_b32 v0, v5, v0, vcc_lo
	s_delay_alu instid0(VALU_DEP_2) | instskip(NEXT) | instid1(VALU_DEP_2)
	v_and_b32_e32 v1, 0x80000000, v1
	v_lshl_add_u32 v5, v6, 23, 0x37800000
	s_delay_alu instid0(VALU_DEP_3) | instskip(NEXT) | instid1(VALU_DEP_1)
	v_lshlrev_b32_e32 v0, 21, v0
	v_or3_b32 v0, v1, v5, v0
	s_delay_alu instid0(VALU_DEP_1)
	v_cvt_i32_f32_e32 v0, v0
.LBB46_2065:
	s_or_b32 exec_lo, exec_lo, s22
	s_mov_b32 s22, 0
	s_branch .LBB46_2071
.LBB46_2066:
                                        ; implicit-def: $vgpr0
	s_mov_b32 s22, 0
	s_branch .LBB46_2077
.LBB46_2067:
	s_and_not1_saveexec_b32 s23, s23
	s_cbranch_execz .LBB46_2053
.LBB46_2068:
	v_cmp_ne_u16_e32 vcc_lo, 0, v1
	s_and_not1_b32 s24, s24, exec_lo
	s_and_b32 s25, vcc_lo, exec_lo
	s_delay_alu instid0(SALU_CYCLE_1)
	s_or_b32 s24, s24, s25
	s_or_b32 exec_lo, exec_lo, s23
	v_mov_b32_e32 v0, 0
	s_and_saveexec_b32 s23, s24
	s_cbranch_execnz .LBB46_2054
	s_branch .LBB46_2055
.LBB46_2069:
	s_mov_b32 s22, -1
                                        ; implicit-def: $vgpr0
	s_branch .LBB46_2074
.LBB46_2070:
	s_mov_b32 s22, -1
                                        ; implicit-def: $vgpr0
.LBB46_2071:
	s_delay_alu instid0(SALU_CYCLE_1)
	s_and_b32 vcc_lo, exec_lo, s22
	s_cbranch_vccz .LBB46_2073
; %bb.2072:
	s_wait_loadcnt 0x0
	global_load_u8 v0, v[2:3], off
	s_wait_loadcnt 0x0
	v_lshlrev_b32_e32 v0, 24, v0
	s_delay_alu instid0(VALU_DEP_1) | instskip(NEXT) | instid1(VALU_DEP_1)
	v_and_b32_e32 v1, 0x7f000000, v0
	v_clz_i32_u32_e32 v5, v1
	v_add_nc_u32_e32 v7, 0x1000000, v1
	v_cmp_ne_u32_e32 vcc_lo, 0, v1
	s_delay_alu instid0(VALU_DEP_3) | instskip(NEXT) | instid1(VALU_DEP_1)
	v_min_u32_e32 v5, 32, v5
	v_sub_nc_u32_e64 v5, v5, 4 clamp
	s_delay_alu instid0(VALU_DEP_1) | instskip(NEXT) | instid1(VALU_DEP_1)
	v_lshlrev_b32_e32 v6, v5, v1
	v_dual_lshlrev_b32 v5, 23, v5 :: v_dual_lshrrev_b32 v6, 4, v6
	s_delay_alu instid0(VALU_DEP_1) | instskip(NEXT) | instid1(VALU_DEP_1)
	v_dual_sub_nc_u32 v5, v6, v5 :: v_dual_ashrrev_i32 v6, 8, v7
	v_add_nc_u32_e32 v5, 0x3c000000, v5
	s_delay_alu instid0(VALU_DEP_1) | instskip(NEXT) | instid1(VALU_DEP_1)
	v_and_or_b32 v5, 0x7f800000, v6, v5
	v_cndmask_b32_e32 v1, 0, v5, vcc_lo
	s_delay_alu instid0(VALU_DEP_1) | instskip(NEXT) | instid1(VALU_DEP_1)
	v_and_or_b32 v0, 0x80000000, v0, v1
	v_cvt_i32_f32_e32 v0, v0
.LBB46_2073:
	s_mov_b32 s22, 0
.LBB46_2074:
	s_delay_alu instid0(SALU_CYCLE_1)
	s_and_not1_b32 vcc_lo, exec_lo, s22
	s_cbranch_vccnz .LBB46_2076
; %bb.2075:
	s_wait_loadcnt 0x0
	global_load_u8 v0, v[2:3], off
	s_wait_loadcnt 0x0
	v_lshlrev_b32_e32 v1, 25, v0
	v_lshlrev_b16 v0, 8, v0
	s_delay_alu instid0(VALU_DEP_1) | instskip(SKIP_1) | instid1(VALU_DEP_2)
	v_and_or_b32 v6, 0x7f00, v0, 0.5
	v_bfe_i32 v0, v0, 0, 16
	v_dual_add_f32 v6, -0.5, v6 :: v_dual_lshrrev_b32 v5, 4, v1
	v_cmp_gt_u32_e32 vcc_lo, 0x8000000, v1
	s_delay_alu instid0(VALU_DEP_2) | instskip(NEXT) | instid1(VALU_DEP_1)
	v_or_b32_e32 v5, 0x70000000, v5
	v_mul_f32_e32 v5, 0x7800000, v5
	s_delay_alu instid0(VALU_DEP_1) | instskip(NEXT) | instid1(VALU_DEP_1)
	v_cndmask_b32_e32 v1, v5, v6, vcc_lo
	v_and_or_b32 v0, 0x80000000, v0, v1
	s_delay_alu instid0(VALU_DEP_1)
	v_cvt_i32_f32_e32 v0, v0
.LBB46_2076:
	s_mov_b32 s23, -1
	s_mov_b32 s22, 0
	s_cbranch_execnz .LBB46_2087
.LBB46_2077:
	s_cmp_gt_i32 s16, 14
	s_cbranch_scc0 .LBB46_2080
; %bb.2078:
	s_cmp_eq_u32 s16, 15
	s_cbranch_scc0 .LBB46_2083
; %bb.2079:
	s_wait_loadcnt 0x0
	global_load_u16 v0, v[2:3], off
	s_mov_b32 s19, 0
	s_mov_b32 s23, -1
	s_wait_loadcnt 0x0
	v_lshlrev_b32_e32 v0, 16, v0
	s_delay_alu instid0(VALU_DEP_1)
	v_cvt_i32_f32_e32 v0, v0
	s_branch .LBB46_2085
.LBB46_2080:
	s_mov_b32 s22, -1
	s_branch .LBB46_2084
.LBB46_2081:
	s_and_not1_saveexec_b32 s22, s22
	s_cbranch_execz .LBB46_2063
.LBB46_2082:
	v_cmp_ne_u16_e32 vcc_lo, 0, v1
	s_and_not1_b32 s23, s23, exec_lo
	s_and_b32 s24, vcc_lo, exec_lo
	s_delay_alu instid0(SALU_CYCLE_1)
	s_or_b32 s23, s23, s24
	s_or_b32 exec_lo, exec_lo, s22
	v_mov_b32_e32 v0, 0
	s_and_saveexec_b32 s22, s23
	s_cbranch_execnz .LBB46_2064
	s_branch .LBB46_2065
.LBB46_2083:
	s_mov_b32 s19, -1
.LBB46_2084:
                                        ; implicit-def: $vgpr0
.LBB46_2085:
	s_and_b32 vcc_lo, exec_lo, s22
	s_mov_b32 s22, 0
	s_cbranch_vccz .LBB46_2087
; %bb.2086:
	s_cmp_lg_u32 s16, 11
	s_mov_b32 s22, -1
	s_cselect_b32 s19, -1, 0
.LBB46_2087:
	s_delay_alu instid0(SALU_CYCLE_1)
	s_and_b32 vcc_lo, exec_lo, s19
	s_mov_b32 s16, s21
	s_cbranch_vccnz .LBB46_2148
; %bb.2088:
	s_and_not1_b32 vcc_lo, exec_lo, s22
	s_cbranch_vccnz .LBB46_2090
.LBB46_2089:
	s_wait_loadcnt 0x0
	global_load_u8 v0, v[2:3], off
	s_mov_b32 s23, -1
	s_wait_loadcnt 0x0
	v_cmp_ne_u16_e32 vcc_lo, 0, v0
	v_cndmask_b32_e64 v0, 0, 1, vcc_lo
.LBB46_2090:
	s_branch .LBB46_2024
.LBB46_2091:
	s_and_b32 s19, 0xffff, s0
	s_delay_alu instid0(SALU_CYCLE_1)
	s_cmp_lt_i32 s19, 5
	s_cbranch_scc1 .LBB46_2096
; %bb.2092:
	s_cmp_lt_i32 s19, 8
	s_cbranch_scc1 .LBB46_2097
; %bb.2093:
	;; [unrolled: 3-line block ×3, first 2 shown]
	s_cmp_gt_i32 s19, 9
	s_cbranch_scc0 .LBB46_2099
; %bb.2095:
	s_wait_loadcnt 0x0
	global_load_b64 v[0:1], v[2:3], off
	s_mov_b32 s22, 0
	s_wait_loadcnt 0x0
	v_cvt_i32_f64_e32 v0, v[0:1]
	s_branch .LBB46_2100
.LBB46_2096:
                                        ; implicit-def: $vgpr0
	s_branch .LBB46_2117
.LBB46_2097:
                                        ; implicit-def: $vgpr0
	s_branch .LBB46_2106
.LBB46_2098:
	s_mov_b32 s22, -1
                                        ; implicit-def: $vgpr0
	s_branch .LBB46_2103
.LBB46_2099:
	s_mov_b32 s22, -1
                                        ; implicit-def: $vgpr0
.LBB46_2100:
	s_delay_alu instid0(SALU_CYCLE_1)
	s_and_not1_b32 vcc_lo, exec_lo, s22
	s_cbranch_vccnz .LBB46_2102
; %bb.2101:
	s_wait_loadcnt 0x0
	global_load_b32 v0, v[2:3], off
	s_wait_loadcnt 0x0
	v_cvt_i32_f32_e32 v0, v0
.LBB46_2102:
	s_mov_b32 s22, 0
.LBB46_2103:
	s_delay_alu instid0(SALU_CYCLE_1)
	s_and_not1_b32 vcc_lo, exec_lo, s22
	s_cbranch_vccnz .LBB46_2105
; %bb.2104:
	s_wait_loadcnt 0x0
	global_load_b32 v0, v[2:3], off
	s_wait_loadcnt 0x0
	v_cvt_i16_f16_e32 v0, v0
.LBB46_2105:
	s_cbranch_execnz .LBB46_2116
.LBB46_2106:
	s_cmp_lt_i32 s19, 6
	s_cbranch_scc1 .LBB46_2109
; %bb.2107:
	s_cmp_gt_i32 s19, 6
	s_cbranch_scc0 .LBB46_2110
; %bb.2108:
	s_wait_loadcnt 0x0
	global_load_b64 v[0:1], v[2:3], off
	s_mov_b32 s22, 0
	s_wait_loadcnt 0x0
	v_cvt_i32_f64_e32 v0, v[0:1]
	s_branch .LBB46_2111
.LBB46_2109:
	s_mov_b32 s22, -1
                                        ; implicit-def: $vgpr0
	s_branch .LBB46_2114
.LBB46_2110:
	s_mov_b32 s22, -1
                                        ; implicit-def: $vgpr0
.LBB46_2111:
	s_delay_alu instid0(SALU_CYCLE_1)
	s_and_not1_b32 vcc_lo, exec_lo, s22
	s_cbranch_vccnz .LBB46_2113
; %bb.2112:
	s_wait_loadcnt 0x0
	global_load_b32 v0, v[2:3], off
	s_wait_loadcnt 0x0
	v_cvt_i32_f32_e32 v0, v0
.LBB46_2113:
	s_mov_b32 s22, 0
.LBB46_2114:
	s_delay_alu instid0(SALU_CYCLE_1)
	s_and_not1_b32 vcc_lo, exec_lo, s22
	s_cbranch_vccnz .LBB46_2116
; %bb.2115:
	s_wait_loadcnt 0x0
	global_load_u16 v0, v[2:3], off
	s_wait_loadcnt 0x0
	v_cvt_i16_f16_e32 v0, v0
.LBB46_2116:
	s_cbranch_execnz .LBB46_2135
.LBB46_2117:
	s_cmp_lt_i32 s19, 2
	s_cbranch_scc1 .LBB46_2121
; %bb.2118:
	s_cmp_lt_i32 s19, 3
	s_cbranch_scc1 .LBB46_2122
; %bb.2119:
	s_cmp_gt_i32 s19, 3
	s_cbranch_scc0 .LBB46_2123
; %bb.2120:
	s_wait_loadcnt 0x0
	global_load_b64 v[0:1], v[2:3], off
	s_mov_b32 s22, 0
	s_branch .LBB46_2124
.LBB46_2121:
                                        ; implicit-def: $vgpr0
	s_branch .LBB46_2130
.LBB46_2122:
	s_mov_b32 s22, -1
                                        ; implicit-def: $vgpr0
	s_branch .LBB46_2127
.LBB46_2123:
	s_mov_b32 s22, -1
                                        ; implicit-def: $vgpr0
.LBB46_2124:
	s_delay_alu instid0(SALU_CYCLE_1)
	s_and_not1_b32 vcc_lo, exec_lo, s22
	s_cbranch_vccnz .LBB46_2126
; %bb.2125:
	s_wait_loadcnt 0x0
	global_load_b32 v0, v[2:3], off
.LBB46_2126:
	s_mov_b32 s22, 0
.LBB46_2127:
	s_delay_alu instid0(SALU_CYCLE_1)
	s_and_not1_b32 vcc_lo, exec_lo, s22
	s_cbranch_vccnz .LBB46_2129
; %bb.2128:
	s_wait_loadcnt 0x0
	global_load_u16 v0, v[2:3], off
.LBB46_2129:
	s_cbranch_execnz .LBB46_2135
.LBB46_2130:
	s_cmp_gt_i32 s19, 0
	s_mov_b32 s19, 0
	s_cbranch_scc0 .LBB46_2132
; %bb.2131:
	s_wait_loadcnt 0x0
	global_load_u8 v0, v[2:3], off
	s_branch .LBB46_2133
.LBB46_2132:
	s_mov_b32 s19, -1
                                        ; implicit-def: $vgpr0
.LBB46_2133:
	s_delay_alu instid0(SALU_CYCLE_1)
	s_and_not1_b32 vcc_lo, exec_lo, s19
	s_cbranch_vccnz .LBB46_2135
; %bb.2134:
	s_wait_loadcnt 0x0
	global_load_u8 v0, v[2:3], off
.LBB46_2135:
.LBB46_2136:
	v_mul_lo_u32 v8, s14, v26
	s_and_b32 s3, s3, 0xff
	s_delay_alu instid0(SALU_CYCLE_1) | instskip(NEXT) | instid1(VALU_DEP_1)
	s_cmp_lt_i32 s3, 11
	v_ashrrev_i32_e32 v9, 31, v8
	s_delay_alu instid0(VALU_DEP_1)
	v_add_nc_u64_e32 v[6:7], s[8:9], v[8:9]
	s_cbranch_scc1 .LBB46_2143
; %bb.2137:
	s_and_b32 s19, 0xffff, s3
	s_mov_b32 s23, 0
	s_cmp_gt_i32 s19, 25
	s_cbranch_scc0 .LBB46_2145
; %bb.2138:
	s_cmp_gt_i32 s19, 28
	s_cbranch_scc0 .LBB46_2146
; %bb.2139:
	;; [unrolled: 3-line block ×4, first 2 shown]
	s_cmp_eq_u32 s19, 46
	s_mov_b32 s25, 0
	s_cbranch_scc0 .LBB46_2152
; %bb.2142:
	s_wait_loadcnt 0x0
	global_load_b32 v1, v[6:7], off
	s_mov_b32 s22, 0
	s_mov_b32 s24, -1
	s_wait_loadcnt 0x0
	v_lshlrev_b32_e32 v1, 16, v1
	s_wait_xcnt 0x1
	s_delay_alu instid0(VALU_DEP_1)
	v_cvt_i32_f32_e32 v2, v1
	s_branch .LBB46_2154
.LBB46_2143:
	s_mov_b32 s24, 0
                                        ; implicit-def: $vgpr2
	s_cbranch_execnz .LBB46_2215
.LBB46_2144:
	s_and_not1_b32 vcc_lo, exec_lo, s24
	s_cbranch_vccnz .LBB46_3968
	s_branch .LBB46_2262
.LBB46_2145:
	s_mov_b32 s24, 0
	s_mov_b32 s22, 0
                                        ; implicit-def: $vgpr2
	s_cbranch_execnz .LBB46_2181
	s_branch .LBB46_2211
.LBB46_2146:
	s_mov_b32 s25, -1
	s_mov_b32 s24, 0
	s_mov_b32 s22, 0
                                        ; implicit-def: $vgpr2
	s_branch .LBB46_2164
.LBB46_2147:
	s_mov_b32 s25, -1
	s_mov_b32 s24, 0
	s_mov_b32 s22, 0
                                        ; implicit-def: $vgpr2
	s_branch .LBB46_2159
.LBB46_2148:
	s_or_b32 s16, s21, exec_lo
	s_trap 2
	s_cbranch_execz .LBB46_2089
	s_branch .LBB46_2090
.LBB46_2149:
	s_mov_b32 s25, -1
	s_mov_b32 s24, 0
	s_mov_b32 s22, 0
	s_branch .LBB46_2153
.LBB46_2150:
	s_and_not1_saveexec_b32 s29, s29
	s_cbranch_execz .LBB46_1940
.LBB46_2151:
	v_add_f32_e64 v2, 0x42800000, |v0|
	s_and_not1_b32 s28, s28, exec_lo
	s_delay_alu instid0(VALU_DEP_1) | instskip(NEXT) | instid1(VALU_DEP_1)
	v_and_b32_e32 v2, 0xff, v2
	v_cmp_ne_u32_e32 vcc_lo, 0, v2
	s_and_b32 s30, vcc_lo, exec_lo
	s_delay_alu instid0(SALU_CYCLE_1)
	s_or_b32 s28, s28, s30
	s_or_b32 exec_lo, exec_lo, s29
	v_mov_b32_e32 v3, 0
	s_and_saveexec_b32 s29, s28
	s_cbranch_execnz .LBB46_1941
	s_branch .LBB46_1942
.LBB46_2152:
	s_mov_b32 s22, -1
	s_mov_b32 s24, 0
.LBB46_2153:
                                        ; implicit-def: $vgpr2
.LBB46_2154:
	s_and_b32 vcc_lo, exec_lo, s25
	s_cbranch_vccz .LBB46_2158
; %bb.2155:
	s_cmp_eq_u32 s19, 44
	s_cbranch_scc0 .LBB46_2157
; %bb.2156:
	s_wait_loadcnt 0x0
	global_load_u8 v1, v[6:7], off
	s_mov_b32 s22, 0
	s_mov_b32 s24, -1
	s_wait_loadcnt 0x0
	s_wait_xcnt 0x1
	v_lshlrev_b32_e32 v2, 23, v1
	v_cmp_ne_u32_e32 vcc_lo, 0, v1
	s_delay_alu instid0(VALU_DEP_2) | instskip(NEXT) | instid1(VALU_DEP_1)
	v_cvt_i32_f32_e32 v2, v2
	v_cndmask_b32_e32 v2, 0, v2, vcc_lo
	s_branch .LBB46_2158
.LBB46_2157:
	s_mov_b32 s22, -1
                                        ; implicit-def: $vgpr2
.LBB46_2158:
	s_mov_b32 s25, 0
.LBB46_2159:
	s_delay_alu instid0(SALU_CYCLE_1)
	s_and_b32 vcc_lo, exec_lo, s25
	s_cbranch_vccz .LBB46_2163
; %bb.2160:
	s_cmp_eq_u32 s19, 29
	s_cbranch_scc0 .LBB46_2162
; %bb.2161:
	global_load_b64 v[2:3], v[6:7], off
	s_mov_b32 s22, 0
	s_mov_b32 s24, -1
	s_branch .LBB46_2163
.LBB46_2162:
	s_mov_b32 s22, -1
                                        ; implicit-def: $vgpr2
.LBB46_2163:
	s_mov_b32 s25, 0
.LBB46_2164:
	s_delay_alu instid0(SALU_CYCLE_1)
	s_and_b32 vcc_lo, exec_lo, s25
	s_cbranch_vccz .LBB46_2180
; %bb.2165:
	s_cmp_lt_i32 s19, 27
	s_cbranch_scc1 .LBB46_2168
; %bb.2166:
	s_cmp_gt_i32 s19, 27
	s_cbranch_scc0 .LBB46_2169
; %bb.2167:
	s_wait_loadcnt 0x0
	global_load_b32 v2, v[6:7], off
	s_mov_b32 s24, 0
	s_branch .LBB46_2170
.LBB46_2168:
	s_mov_b32 s24, -1
                                        ; implicit-def: $vgpr2
	s_branch .LBB46_2173
.LBB46_2169:
	s_mov_b32 s24, -1
                                        ; implicit-def: $vgpr2
.LBB46_2170:
	s_delay_alu instid0(SALU_CYCLE_1)
	s_and_not1_b32 vcc_lo, exec_lo, s24
	s_cbranch_vccnz .LBB46_2172
; %bb.2171:
	s_wait_loadcnt 0x0
	global_load_u16 v2, v[6:7], off
.LBB46_2172:
	s_mov_b32 s24, 0
.LBB46_2173:
	s_delay_alu instid0(SALU_CYCLE_1)
	s_and_not1_b32 vcc_lo, exec_lo, s24
	s_cbranch_vccnz .LBB46_2179
; %bb.2174:
	s_wait_loadcnt 0x0
	global_load_u8 v1, v[6:7], off
	s_mov_b32 s25, 0
	s_mov_b32 s24, exec_lo
	s_wait_loadcnt 0x0
	v_cmpx_lt_i16_e32 0x7f, v1
	s_xor_b32 s24, exec_lo, s24
	s_cbranch_execz .LBB46_2190
; %bb.2175:
	v_cmp_ne_u16_e32 vcc_lo, 0x80, v1
	s_and_b32 s25, vcc_lo, exec_lo
	s_and_not1_saveexec_b32 s24, s24
	s_cbranch_execnz .LBB46_2191
.LBB46_2176:
	s_or_b32 exec_lo, exec_lo, s24
	v_mov_b32_e32 v2, 0
	s_and_saveexec_b32 s24, s25
	s_cbranch_execz .LBB46_2178
.LBB46_2177:
	v_and_b32_e32 v2, 0xffff, v1
	s_delay_alu instid0(VALU_DEP_1) | instskip(SKIP_1) | instid1(VALU_DEP_2)
	v_and_b32_e32 v3, 7, v2
	v_bfe_u32 v10, v2, 3, 4
	v_clz_i32_u32_e32 v5, v3
	s_delay_alu instid0(VALU_DEP_2) | instskip(NEXT) | instid1(VALU_DEP_2)
	v_cmp_eq_u32_e32 vcc_lo, 0, v10
	v_min_u32_e32 v5, 32, v5
	s_delay_alu instid0(VALU_DEP_1) | instskip(NEXT) | instid1(VALU_DEP_1)
	v_subrev_nc_u32_e32 v9, 28, v5
	v_dual_lshlrev_b32 v2, v9, v2 :: v_dual_sub_nc_u32 v5, 29, v5
	s_delay_alu instid0(VALU_DEP_1) | instskip(NEXT) | instid1(VALU_DEP_1)
	v_dual_lshlrev_b32 v1, 24, v1 :: v_dual_bitop2_b32 v2, 7, v2 bitop3:0x40
	v_dual_cndmask_b32 v2, v3, v2 :: v_dual_cndmask_b32 v5, v10, v5
	s_delay_alu instid0(VALU_DEP_2) | instskip(NEXT) | instid1(VALU_DEP_2)
	v_and_b32_e32 v1, 0x80000000, v1
	v_lshlrev_b32_e32 v2, 20, v2
	s_delay_alu instid0(VALU_DEP_3) | instskip(NEXT) | instid1(VALU_DEP_1)
	v_lshl_add_u32 v3, v5, 23, 0x3b800000
	v_or3_b32 v1, v1, v3, v2
	s_delay_alu instid0(VALU_DEP_1)
	v_cvt_i32_f32_e32 v2, v1
.LBB46_2178:
	s_or_b32 exec_lo, exec_lo, s24
.LBB46_2179:
	s_mov_b32 s24, -1
.LBB46_2180:
	s_branch .LBB46_2211
.LBB46_2181:
	s_cmp_gt_i32 s19, 22
	s_cbranch_scc0 .LBB46_2189
; %bb.2182:
	s_cmp_lt_i32 s19, 24
	s_cbranch_scc1 .LBB46_2192
; %bb.2183:
	s_cmp_gt_i32 s19, 24
	s_cbranch_scc0 .LBB46_2193
; %bb.2184:
	s_wait_loadcnt 0x0
	global_load_u8 v1, v[6:7], off
	s_mov_b32 s24, 0
	s_mov_b32 s23, exec_lo
	s_wait_loadcnt 0x0
	v_cmpx_lt_i16_e32 0x7f, v1
	s_xor_b32 s23, exec_lo, s23
	s_cbranch_execz .LBB46_2205
; %bb.2185:
	v_cmp_ne_u16_e32 vcc_lo, 0x80, v1
	s_and_b32 s24, vcc_lo, exec_lo
	s_and_not1_saveexec_b32 s23, s23
	s_cbranch_execnz .LBB46_2206
.LBB46_2186:
	s_or_b32 exec_lo, exec_lo, s23
	v_mov_b32_e32 v2, 0
	s_and_saveexec_b32 s23, s24
	s_cbranch_execz .LBB46_2188
.LBB46_2187:
	v_and_b32_e32 v2, 0xffff, v1
	s_delay_alu instid0(VALU_DEP_1) | instskip(SKIP_1) | instid1(VALU_DEP_2)
	v_and_b32_e32 v3, 3, v2
	v_bfe_u32 v10, v2, 2, 5
	v_clz_i32_u32_e32 v5, v3
	s_delay_alu instid0(VALU_DEP_2) | instskip(NEXT) | instid1(VALU_DEP_2)
	v_cmp_eq_u32_e32 vcc_lo, 0, v10
	v_min_u32_e32 v5, 32, v5
	s_delay_alu instid0(VALU_DEP_1) | instskip(NEXT) | instid1(VALU_DEP_1)
	v_subrev_nc_u32_e32 v9, 29, v5
	v_dual_lshlrev_b32 v2, v9, v2 :: v_dual_sub_nc_u32 v5, 30, v5
	s_delay_alu instid0(VALU_DEP_1) | instskip(NEXT) | instid1(VALU_DEP_1)
	v_dual_lshlrev_b32 v1, 24, v1 :: v_dual_bitop2_b32 v2, 3, v2 bitop3:0x40
	v_dual_cndmask_b32 v2, v3, v2 :: v_dual_cndmask_b32 v5, v10, v5
	s_delay_alu instid0(VALU_DEP_2) | instskip(NEXT) | instid1(VALU_DEP_2)
	v_and_b32_e32 v1, 0x80000000, v1
	v_lshlrev_b32_e32 v2, 21, v2
	s_delay_alu instid0(VALU_DEP_3) | instskip(NEXT) | instid1(VALU_DEP_1)
	v_lshl_add_u32 v3, v5, 23, 0x37800000
	v_or3_b32 v1, v1, v3, v2
	s_delay_alu instid0(VALU_DEP_1)
	v_cvt_i32_f32_e32 v2, v1
.LBB46_2188:
	s_or_b32 exec_lo, exec_lo, s23
	s_mov_b32 s23, 0
	s_branch .LBB46_2194
.LBB46_2189:
	s_mov_b32 s23, -1
                                        ; implicit-def: $vgpr2
	s_branch .LBB46_2200
.LBB46_2190:
	s_and_not1_saveexec_b32 s24, s24
	s_cbranch_execz .LBB46_2176
.LBB46_2191:
	v_cmp_ne_u16_e32 vcc_lo, 0, v1
	s_and_not1_b32 s25, s25, exec_lo
	s_and_b32 s26, vcc_lo, exec_lo
	s_delay_alu instid0(SALU_CYCLE_1)
	s_or_b32 s25, s25, s26
	s_or_b32 exec_lo, exec_lo, s24
	v_mov_b32_e32 v2, 0
	s_and_saveexec_b32 s24, s25
	s_cbranch_execnz .LBB46_2177
	s_branch .LBB46_2178
.LBB46_2192:
	s_mov_b32 s23, -1
                                        ; implicit-def: $vgpr2
	s_branch .LBB46_2197
.LBB46_2193:
	s_mov_b32 s23, -1
                                        ; implicit-def: $vgpr2
.LBB46_2194:
	s_delay_alu instid0(SALU_CYCLE_1)
	s_and_b32 vcc_lo, exec_lo, s23
	s_cbranch_vccz .LBB46_2196
; %bb.2195:
	s_wait_loadcnt 0x0
	global_load_u8 v1, v[6:7], off
	s_wait_loadcnt 0x0
	v_lshlrev_b32_e32 v1, 24, v1
	s_wait_xcnt 0x1
	s_delay_alu instid0(VALU_DEP_1) | instskip(NEXT) | instid1(VALU_DEP_1)
	v_and_b32_e32 v2, 0x7f000000, v1
	v_clz_i32_u32_e32 v3, v2
	v_cmp_ne_u32_e32 vcc_lo, 0, v2
	v_add_nc_u32_e32 v9, 0x1000000, v2
	s_delay_alu instid0(VALU_DEP_3) | instskip(NEXT) | instid1(VALU_DEP_1)
	v_min_u32_e32 v3, 32, v3
	v_sub_nc_u32_e64 v3, v3, 4 clamp
	s_delay_alu instid0(VALU_DEP_1) | instskip(NEXT) | instid1(VALU_DEP_1)
	v_dual_lshlrev_b32 v5, v3, v2 :: v_dual_lshlrev_b32 v3, 23, v3
	v_lshrrev_b32_e32 v5, 4, v5
	s_delay_alu instid0(VALU_DEP_1) | instskip(NEXT) | instid1(VALU_DEP_1)
	v_dual_sub_nc_u32 v3, v5, v3 :: v_dual_ashrrev_i32 v5, 8, v9
	v_add_nc_u32_e32 v3, 0x3c000000, v3
	s_delay_alu instid0(VALU_DEP_1) | instskip(NEXT) | instid1(VALU_DEP_1)
	v_and_or_b32 v3, 0x7f800000, v5, v3
	v_cndmask_b32_e32 v2, 0, v3, vcc_lo
	s_delay_alu instid0(VALU_DEP_1) | instskip(NEXT) | instid1(VALU_DEP_1)
	v_and_or_b32 v1, 0x80000000, v1, v2
	v_cvt_i32_f32_e32 v2, v1
.LBB46_2196:
	s_mov_b32 s23, 0
.LBB46_2197:
	s_delay_alu instid0(SALU_CYCLE_1)
	s_and_not1_b32 vcc_lo, exec_lo, s23
	s_cbranch_vccnz .LBB46_2199
; %bb.2198:
	s_wait_loadcnt 0x0
	global_load_u8 v1, v[6:7], off
	s_wait_loadcnt 0x0
	s_wait_xcnt 0x1
	v_lshlrev_b32_e32 v2, 25, v1
	v_lshlrev_b16 v1, 8, v1
	s_delay_alu instid0(VALU_DEP_1) | instskip(NEXT) | instid1(VALU_DEP_3)
	v_and_or_b32 v5, 0x7f00, v1, 0.5
	v_lshrrev_b32_e32 v3, 4, v2
	v_bfe_i32 v1, v1, 0, 16
	s_delay_alu instid0(VALU_DEP_3) | instskip(NEXT) | instid1(VALU_DEP_3)
	v_add_f32_e32 v5, -0.5, v5
	v_or_b32_e32 v3, 0x70000000, v3
	s_delay_alu instid0(VALU_DEP_1) | instskip(SKIP_1) | instid1(VALU_DEP_2)
	v_mul_f32_e32 v3, 0x7800000, v3
	v_cmp_gt_u32_e32 vcc_lo, 0x8000000, v2
	v_cndmask_b32_e32 v2, v3, v5, vcc_lo
	s_delay_alu instid0(VALU_DEP_1) | instskip(NEXT) | instid1(VALU_DEP_1)
	v_and_or_b32 v1, 0x80000000, v1, v2
	v_cvt_i32_f32_e32 v2, v1
.LBB46_2199:
	s_mov_b32 s23, 0
	s_mov_b32 s24, -1
.LBB46_2200:
	s_and_not1_b32 vcc_lo, exec_lo, s23
	s_mov_b32 s23, 0
	s_cbranch_vccnz .LBB46_2211
; %bb.2201:
	s_cmp_gt_i32 s19, 14
	s_cbranch_scc0 .LBB46_2204
; %bb.2202:
	s_cmp_eq_u32 s19, 15
	s_cbranch_scc0 .LBB46_2207
; %bb.2203:
	s_wait_loadcnt 0x0
	global_load_u16 v1, v[6:7], off
	s_mov_b32 s22, 0
	s_mov_b32 s24, -1
	s_wait_loadcnt 0x0
	v_lshlrev_b32_e32 v1, 16, v1
	s_wait_xcnt 0x1
	s_delay_alu instid0(VALU_DEP_1)
	v_cvt_i32_f32_e32 v2, v1
	s_branch .LBB46_2209
.LBB46_2204:
	s_mov_b32 s23, -1
	s_branch .LBB46_2208
.LBB46_2205:
	s_and_not1_saveexec_b32 s23, s23
	s_cbranch_execz .LBB46_2186
.LBB46_2206:
	v_cmp_ne_u16_e32 vcc_lo, 0, v1
	s_and_not1_b32 s24, s24, exec_lo
	s_and_b32 s25, vcc_lo, exec_lo
	s_delay_alu instid0(SALU_CYCLE_1)
	s_or_b32 s24, s24, s25
	s_or_b32 exec_lo, exec_lo, s23
	v_mov_b32_e32 v2, 0
	s_and_saveexec_b32 s23, s24
	s_cbranch_execnz .LBB46_2187
	s_branch .LBB46_2188
.LBB46_2207:
	s_mov_b32 s22, -1
.LBB46_2208:
                                        ; implicit-def: $vgpr2
.LBB46_2209:
	s_and_b32 vcc_lo, exec_lo, s23
	s_mov_b32 s23, 0
	s_cbranch_vccz .LBB46_2211
; %bb.2210:
	s_cmp_lg_u32 s19, 11
	s_mov_b32 s23, -1
	s_cselect_b32 s22, -1, 0
.LBB46_2211:
	s_delay_alu instid0(SALU_CYCLE_1)
	s_and_b32 vcc_lo, exec_lo, s22
	s_cbranch_vccnz .LBB46_2274
; %bb.2212:
	s_and_not1_b32 vcc_lo, exec_lo, s23
	s_cbranch_vccnz .LBB46_2214
.LBB46_2213:
	s_wait_loadcnt 0x0
	global_load_u8 v1, v[6:7], off
	s_mov_b32 s24, -1
	s_wait_loadcnt 0x0
	v_cmp_ne_u16_e32 vcc_lo, 0, v1
	s_wait_xcnt 0x1
	v_cndmask_b32_e64 v2, 0, 1, vcc_lo
.LBB46_2214:
	s_branch .LBB46_2144
.LBB46_2215:
	s_and_b32 s19, 0xffff, s3
	s_delay_alu instid0(SALU_CYCLE_1)
	s_cmp_lt_i32 s19, 5
	s_cbranch_scc1 .LBB46_2220
; %bb.2216:
	s_cmp_lt_i32 s19, 8
	s_cbranch_scc1 .LBB46_2221
; %bb.2217:
	;; [unrolled: 3-line block ×3, first 2 shown]
	s_cmp_gt_i32 s19, 9
	s_cbranch_scc0 .LBB46_2223
; %bb.2219:
	s_wait_loadcnt 0x0
	global_load_b64 v[2:3], v[6:7], off
	s_mov_b32 s22, 0
	s_wait_loadcnt 0x0
	v_cvt_i32_f64_e32 v2, v[2:3]
	s_branch .LBB46_2224
.LBB46_2220:
                                        ; implicit-def: $vgpr2
	s_branch .LBB46_2242
.LBB46_2221:
	s_mov_b32 s22, -1
                                        ; implicit-def: $vgpr2
	s_branch .LBB46_2230
.LBB46_2222:
	s_mov_b32 s22, -1
                                        ; implicit-def: $vgpr2
	s_branch .LBB46_2227
.LBB46_2223:
	s_mov_b32 s22, -1
                                        ; implicit-def: $vgpr2
.LBB46_2224:
	s_delay_alu instid0(SALU_CYCLE_1)
	s_and_not1_b32 vcc_lo, exec_lo, s22
	s_cbranch_vccnz .LBB46_2226
; %bb.2225:
	s_wait_loadcnt 0x0
	global_load_b32 v1, v[6:7], off
	s_wait_loadcnt 0x0
	s_wait_xcnt 0x1
	v_cvt_i32_f32_e32 v2, v1
.LBB46_2226:
	s_mov_b32 s22, 0
.LBB46_2227:
	s_delay_alu instid0(SALU_CYCLE_1)
	s_and_not1_b32 vcc_lo, exec_lo, s22
	s_cbranch_vccnz .LBB46_2229
; %bb.2228:
	s_wait_loadcnt 0x0
	global_load_b32 v1, v[6:7], off
	s_wait_loadcnt 0x0
	s_wait_xcnt 0x1
	v_cvt_i16_f16_e32 v2, v1
.LBB46_2229:
	s_mov_b32 s22, 0
.LBB46_2230:
	s_delay_alu instid0(SALU_CYCLE_1)
	s_and_not1_b32 vcc_lo, exec_lo, s22
	s_cbranch_vccnz .LBB46_2241
; %bb.2231:
	s_cmp_lt_i32 s19, 6
	s_cbranch_scc1 .LBB46_2234
; %bb.2232:
	s_cmp_gt_i32 s19, 6
	s_cbranch_scc0 .LBB46_2235
; %bb.2233:
	s_wait_loadcnt 0x0
	global_load_b64 v[2:3], v[6:7], off
	s_mov_b32 s22, 0
	s_wait_loadcnt 0x0
	v_cvt_i32_f64_e32 v2, v[2:3]
	s_branch .LBB46_2236
.LBB46_2234:
	s_mov_b32 s22, -1
                                        ; implicit-def: $vgpr2
	s_branch .LBB46_2239
.LBB46_2235:
	s_mov_b32 s22, -1
                                        ; implicit-def: $vgpr2
.LBB46_2236:
	s_delay_alu instid0(SALU_CYCLE_1)
	s_and_not1_b32 vcc_lo, exec_lo, s22
	s_cbranch_vccnz .LBB46_2238
; %bb.2237:
	s_wait_loadcnt 0x0
	global_load_b32 v1, v[6:7], off
	s_wait_loadcnt 0x0
	s_wait_xcnt 0x1
	v_cvt_i32_f32_e32 v2, v1
.LBB46_2238:
	s_mov_b32 s22, 0
.LBB46_2239:
	s_delay_alu instid0(SALU_CYCLE_1)
	s_and_not1_b32 vcc_lo, exec_lo, s22
	s_cbranch_vccnz .LBB46_2241
; %bb.2240:
	s_wait_loadcnt 0x0
	global_load_u16 v1, v[6:7], off
	s_wait_loadcnt 0x0
	s_wait_xcnt 0x1
	v_cvt_i16_f16_e32 v2, v1
.LBB46_2241:
	s_cbranch_execnz .LBB46_2261
.LBB46_2242:
	s_cmp_lt_i32 s19, 2
	s_cbranch_scc1 .LBB46_2246
; %bb.2243:
	s_cmp_lt_i32 s19, 3
	s_cbranch_scc1 .LBB46_2247
; %bb.2244:
	s_cmp_gt_i32 s19, 3
	s_cbranch_scc0 .LBB46_2248
; %bb.2245:
	s_wait_loadcnt 0x0
	global_load_b64 v[2:3], v[6:7], off
	s_mov_b32 s22, 0
	s_branch .LBB46_2249
.LBB46_2246:
	s_mov_b32 s22, -1
                                        ; implicit-def: $vgpr2
	s_branch .LBB46_2255
.LBB46_2247:
	s_mov_b32 s22, -1
                                        ; implicit-def: $vgpr2
	s_branch .LBB46_2252
.LBB46_2248:
	s_mov_b32 s22, -1
                                        ; implicit-def: $vgpr2
.LBB46_2249:
	s_delay_alu instid0(SALU_CYCLE_1)
	s_and_not1_b32 vcc_lo, exec_lo, s22
	s_cbranch_vccnz .LBB46_2251
; %bb.2250:
	s_wait_loadcnt 0x0
	global_load_b32 v2, v[6:7], off
.LBB46_2251:
	s_mov_b32 s22, 0
.LBB46_2252:
	s_delay_alu instid0(SALU_CYCLE_1)
	s_and_not1_b32 vcc_lo, exec_lo, s22
	s_cbranch_vccnz .LBB46_2254
; %bb.2253:
	s_wait_loadcnt 0x0
	global_load_u16 v2, v[6:7], off
.LBB46_2254:
	s_mov_b32 s22, 0
.LBB46_2255:
	s_delay_alu instid0(SALU_CYCLE_1)
	s_and_not1_b32 vcc_lo, exec_lo, s22
	s_cbranch_vccnz .LBB46_2261
; %bb.2256:
	s_cmp_gt_i32 s19, 0
	s_mov_b32 s19, 0
	s_cbranch_scc0 .LBB46_2258
; %bb.2257:
	s_wait_loadcnt 0x0
	global_load_u8 v2, v[6:7], off
	s_branch .LBB46_2259
.LBB46_2258:
	s_mov_b32 s19, -1
                                        ; implicit-def: $vgpr2
.LBB46_2259:
	s_delay_alu instid0(SALU_CYCLE_1)
	s_and_not1_b32 vcc_lo, exec_lo, s19
	s_cbranch_vccnz .LBB46_2261
; %bb.2260:
	s_wait_loadcnt 0x0
	global_load_u8 v2, v[6:7], off
.LBB46_2261:
.LBB46_2262:
	v_mul_lo_u32 v10, s15, v26
	s_and_b32 s17, s17, 0xff
	s_delay_alu instid0(SALU_CYCLE_1) | instskip(NEXT) | instid1(VALU_DEP_1)
	s_cmp_lt_i32 s17, 11
	v_ashrrev_i32_e32 v11, 31, v10
	s_delay_alu instid0(VALU_DEP_1)
	v_add_nc_u64_e32 v[12:13], s[10:11], v[10:11]
	s_cbranch_scc1 .LBB46_2269
; %bb.2263:
	s_and_b32 s19, 0xffff, s17
	s_mov_b32 s23, 0
	s_cmp_gt_i32 s19, 25
	s_cbranch_scc0 .LBB46_2271
; %bb.2264:
	s_cmp_gt_i32 s19, 28
	s_cbranch_scc0 .LBB46_2272
; %bb.2265:
	;; [unrolled: 3-line block ×4, first 2 shown]
	s_cmp_eq_u32 s19, 46
	s_mov_b32 s25, 0
	s_cbranch_scc0 .LBB46_2276
; %bb.2268:
	s_wait_loadcnt 0x0
	global_load_b32 v1, v[12:13], off
	s_mov_b32 s22, 0
	s_mov_b32 s24, -1
	s_wait_loadcnt 0x0
	v_lshlrev_b32_e32 v1, 16, v1
	s_wait_xcnt 0x1
	s_delay_alu instid0(VALU_DEP_1)
	v_cvt_i32_f32_e32 v6, v1
	s_branch .LBB46_2278
.LBB46_2269:
	s_mov_b32 s24, 0
                                        ; implicit-def: $vgpr6
	s_cbranch_execnz .LBB46_2340
.LBB46_2270:
	s_and_not1_b32 vcc_lo, exec_lo, s24
	s_cbranch_vccnz .LBB46_3968
	s_branch .LBB46_2388
.LBB46_2271:
	s_mov_b32 s25, -1
	s_mov_b32 s24, 0
	s_mov_b32 s22, 0
                                        ; implicit-def: $vgpr6
	s_branch .LBB46_2305
.LBB46_2272:
	s_mov_b32 s25, -1
	s_mov_b32 s24, 0
	s_mov_b32 s22, 0
                                        ; implicit-def: $vgpr6
	s_branch .LBB46_2288
.LBB46_2273:
	s_mov_b32 s25, -1
	s_mov_b32 s24, 0
	s_mov_b32 s22, 0
                                        ; implicit-def: $vgpr6
	s_branch .LBB46_2283
.LBB46_2274:
	s_or_b32 s16, s16, exec_lo
	s_trap 2
	s_cbranch_execz .LBB46_2213
	s_branch .LBB46_2214
.LBB46_2275:
	s_mov_b32 s25, -1
	s_mov_b32 s24, 0
	s_mov_b32 s22, 0
	s_branch .LBB46_2277
.LBB46_2276:
	s_mov_b32 s22, -1
	s_mov_b32 s24, 0
.LBB46_2277:
                                        ; implicit-def: $vgpr6
.LBB46_2278:
	s_and_b32 vcc_lo, exec_lo, s25
	s_cbranch_vccz .LBB46_2282
; %bb.2279:
	s_cmp_eq_u32 s19, 44
	s_cbranch_scc0 .LBB46_2281
; %bb.2280:
	s_wait_loadcnt 0x0
	global_load_u8 v1, v[12:13], off
	s_mov_b32 s22, 0
	s_mov_b32 s24, -1
	s_wait_loadcnt 0x0
	s_wait_xcnt 0x1
	v_lshlrev_b32_e32 v3, 23, v1
	v_cmp_ne_u32_e32 vcc_lo, 0, v1
	s_delay_alu instid0(VALU_DEP_2) | instskip(NEXT) | instid1(VALU_DEP_1)
	v_cvt_i32_f32_e32 v3, v3
	v_cndmask_b32_e32 v6, 0, v3, vcc_lo
	s_branch .LBB46_2282
.LBB46_2281:
	s_mov_b32 s22, -1
                                        ; implicit-def: $vgpr6
.LBB46_2282:
	s_mov_b32 s25, 0
.LBB46_2283:
	s_delay_alu instid0(SALU_CYCLE_1)
	s_and_b32 vcc_lo, exec_lo, s25
	s_cbranch_vccz .LBB46_2287
; %bb.2284:
	s_cmp_eq_u32 s19, 29
	s_cbranch_scc0 .LBB46_2286
; %bb.2285:
	global_load_b64 v[6:7], v[12:13], off
	s_mov_b32 s22, 0
	s_mov_b32 s24, -1
	s_branch .LBB46_2287
.LBB46_2286:
	s_mov_b32 s22, -1
                                        ; implicit-def: $vgpr6
.LBB46_2287:
	s_mov_b32 s25, 0
.LBB46_2288:
	s_delay_alu instid0(SALU_CYCLE_1)
	s_and_b32 vcc_lo, exec_lo, s25
	s_cbranch_vccz .LBB46_2304
; %bb.2289:
	s_cmp_lt_i32 s19, 27
	s_cbranch_scc1 .LBB46_2292
; %bb.2290:
	s_cmp_gt_i32 s19, 27
	s_cbranch_scc0 .LBB46_2293
; %bb.2291:
	s_wait_loadcnt 0x0
	global_load_b32 v6, v[12:13], off
	s_mov_b32 s24, 0
	s_branch .LBB46_2294
.LBB46_2292:
	s_mov_b32 s24, -1
                                        ; implicit-def: $vgpr6
	s_branch .LBB46_2297
.LBB46_2293:
	s_mov_b32 s24, -1
                                        ; implicit-def: $vgpr6
.LBB46_2294:
	s_delay_alu instid0(SALU_CYCLE_1)
	s_and_not1_b32 vcc_lo, exec_lo, s24
	s_cbranch_vccnz .LBB46_2296
; %bb.2295:
	s_wait_loadcnt 0x0
	global_load_u16 v6, v[12:13], off
.LBB46_2296:
	s_mov_b32 s24, 0
.LBB46_2297:
	s_delay_alu instid0(SALU_CYCLE_1)
	s_and_not1_b32 vcc_lo, exec_lo, s24
	s_cbranch_vccnz .LBB46_2303
; %bb.2298:
	s_wait_loadcnt 0x0
	global_load_u8 v1, v[12:13], off
	s_mov_b32 s25, 0
	s_mov_b32 s24, exec_lo
	s_wait_loadcnt 0x0
	v_cmpx_lt_i16_e32 0x7f, v1
	s_xor_b32 s24, exec_lo, s24
	s_cbranch_execz .LBB46_2315
; %bb.2299:
	v_cmp_ne_u16_e32 vcc_lo, 0x80, v1
	s_and_b32 s25, vcc_lo, exec_lo
	s_and_not1_saveexec_b32 s24, s24
	s_cbranch_execnz .LBB46_2316
.LBB46_2300:
	s_or_b32 exec_lo, exec_lo, s24
	v_mov_b32_e32 v6, 0
	s_and_saveexec_b32 s24, s25
	s_cbranch_execz .LBB46_2302
.LBB46_2301:
	v_and_b32_e32 v3, 0xffff, v1
	s_delay_alu instid0(VALU_DEP_1) | instskip(SKIP_1) | instid1(VALU_DEP_2)
	v_and_b32_e32 v5, 7, v3
	v_bfe_u32 v9, v3, 3, 4
	v_clz_i32_u32_e32 v6, v5
	s_delay_alu instid0(VALU_DEP_2) | instskip(NEXT) | instid1(VALU_DEP_2)
	v_cmp_eq_u32_e32 vcc_lo, 0, v9
	v_min_u32_e32 v6, 32, v6
	s_delay_alu instid0(VALU_DEP_1) | instskip(NEXT) | instid1(VALU_DEP_1)
	v_subrev_nc_u32_e32 v7, 28, v6
	v_dual_lshlrev_b32 v3, v7, v3 :: v_dual_sub_nc_u32 v6, 29, v6
	s_delay_alu instid0(VALU_DEP_1) | instskip(NEXT) | instid1(VALU_DEP_2)
	v_dual_lshlrev_b32 v1, 24, v1 :: v_dual_bitop2_b32 v3, 7, v3 bitop3:0x40
	v_cndmask_b32_e32 v6, v9, v6, vcc_lo
	s_delay_alu instid0(VALU_DEP_2) | instskip(NEXT) | instid1(VALU_DEP_3)
	v_cndmask_b32_e32 v3, v5, v3, vcc_lo
	v_and_b32_e32 v1, 0x80000000, v1
	s_delay_alu instid0(VALU_DEP_3) | instskip(NEXT) | instid1(VALU_DEP_3)
	v_lshl_add_u32 v5, v6, 23, 0x3b800000
	v_lshlrev_b32_e32 v3, 20, v3
	s_delay_alu instid0(VALU_DEP_1) | instskip(NEXT) | instid1(VALU_DEP_1)
	v_or3_b32 v1, v1, v5, v3
	v_cvt_i32_f32_e32 v6, v1
.LBB46_2302:
	s_or_b32 exec_lo, exec_lo, s24
.LBB46_2303:
	s_mov_b32 s24, -1
.LBB46_2304:
	s_mov_b32 s25, 0
.LBB46_2305:
	s_delay_alu instid0(SALU_CYCLE_1)
	s_and_b32 vcc_lo, exec_lo, s25
	s_cbranch_vccz .LBB46_2336
; %bb.2306:
	s_cmp_gt_i32 s19, 22
	s_cbranch_scc0 .LBB46_2314
; %bb.2307:
	s_cmp_lt_i32 s19, 24
	s_cbranch_scc1 .LBB46_2317
; %bb.2308:
	s_cmp_gt_i32 s19, 24
	s_cbranch_scc0 .LBB46_2318
; %bb.2309:
	s_wait_loadcnt 0x0
	global_load_u8 v1, v[12:13], off
	s_mov_b32 s24, 0
	s_mov_b32 s23, exec_lo
	s_wait_loadcnt 0x0
	v_cmpx_lt_i16_e32 0x7f, v1
	s_xor_b32 s23, exec_lo, s23
	s_cbranch_execz .LBB46_2330
; %bb.2310:
	v_cmp_ne_u16_e32 vcc_lo, 0x80, v1
	s_and_b32 s24, vcc_lo, exec_lo
	s_and_not1_saveexec_b32 s23, s23
	s_cbranch_execnz .LBB46_2331
.LBB46_2311:
	s_or_b32 exec_lo, exec_lo, s23
	v_mov_b32_e32 v6, 0
	s_and_saveexec_b32 s23, s24
	s_cbranch_execz .LBB46_2313
.LBB46_2312:
	v_and_b32_e32 v3, 0xffff, v1
	s_delay_alu instid0(VALU_DEP_1) | instskip(SKIP_1) | instid1(VALU_DEP_2)
	v_and_b32_e32 v5, 3, v3
	v_bfe_u32 v9, v3, 2, 5
	v_clz_i32_u32_e32 v6, v5
	s_delay_alu instid0(VALU_DEP_2) | instskip(NEXT) | instid1(VALU_DEP_2)
	v_cmp_eq_u32_e32 vcc_lo, 0, v9
	v_min_u32_e32 v6, 32, v6
	s_delay_alu instid0(VALU_DEP_1) | instskip(NEXT) | instid1(VALU_DEP_1)
	v_subrev_nc_u32_e32 v7, 29, v6
	v_dual_lshlrev_b32 v3, v7, v3 :: v_dual_sub_nc_u32 v6, 30, v6
	s_delay_alu instid0(VALU_DEP_1) | instskip(NEXT) | instid1(VALU_DEP_2)
	v_dual_lshlrev_b32 v1, 24, v1 :: v_dual_bitop2_b32 v3, 3, v3 bitop3:0x40
	v_cndmask_b32_e32 v6, v9, v6, vcc_lo
	s_delay_alu instid0(VALU_DEP_2) | instskip(NEXT) | instid1(VALU_DEP_3)
	v_cndmask_b32_e32 v3, v5, v3, vcc_lo
	v_and_b32_e32 v1, 0x80000000, v1
	s_delay_alu instid0(VALU_DEP_3) | instskip(NEXT) | instid1(VALU_DEP_3)
	v_lshl_add_u32 v5, v6, 23, 0x37800000
	v_lshlrev_b32_e32 v3, 21, v3
	s_delay_alu instid0(VALU_DEP_1) | instskip(NEXT) | instid1(VALU_DEP_1)
	v_or3_b32 v1, v1, v5, v3
	v_cvt_i32_f32_e32 v6, v1
.LBB46_2313:
	s_or_b32 exec_lo, exec_lo, s23
	s_mov_b32 s23, 0
	s_branch .LBB46_2319
.LBB46_2314:
	s_mov_b32 s23, -1
                                        ; implicit-def: $vgpr6
	s_branch .LBB46_2325
.LBB46_2315:
	s_and_not1_saveexec_b32 s24, s24
	s_cbranch_execz .LBB46_2300
.LBB46_2316:
	v_cmp_ne_u16_e32 vcc_lo, 0, v1
	s_and_not1_b32 s25, s25, exec_lo
	s_and_b32 s26, vcc_lo, exec_lo
	s_delay_alu instid0(SALU_CYCLE_1)
	s_or_b32 s25, s25, s26
	s_or_b32 exec_lo, exec_lo, s24
	v_mov_b32_e32 v6, 0
	s_and_saveexec_b32 s24, s25
	s_cbranch_execnz .LBB46_2301
	s_branch .LBB46_2302
.LBB46_2317:
	s_mov_b32 s23, -1
                                        ; implicit-def: $vgpr6
	s_branch .LBB46_2322
.LBB46_2318:
	s_mov_b32 s23, -1
                                        ; implicit-def: $vgpr6
.LBB46_2319:
	s_delay_alu instid0(SALU_CYCLE_1)
	s_and_b32 vcc_lo, exec_lo, s23
	s_cbranch_vccz .LBB46_2321
; %bb.2320:
	s_wait_loadcnt 0x0
	global_load_u8 v1, v[12:13], off
	s_wait_loadcnt 0x0
	v_lshlrev_b32_e32 v1, 24, v1
	s_wait_xcnt 0x1
	s_delay_alu instid0(VALU_DEP_1) | instskip(NEXT) | instid1(VALU_DEP_1)
	v_and_b32_e32 v3, 0x7f000000, v1
	v_clz_i32_u32_e32 v5, v3
	v_add_nc_u32_e32 v7, 0x1000000, v3
	v_cmp_ne_u32_e32 vcc_lo, 0, v3
	s_delay_alu instid0(VALU_DEP_3) | instskip(NEXT) | instid1(VALU_DEP_1)
	v_min_u32_e32 v5, 32, v5
	v_sub_nc_u32_e64 v5, v5, 4 clamp
	s_delay_alu instid0(VALU_DEP_1) | instskip(NEXT) | instid1(VALU_DEP_1)
	v_dual_lshlrev_b32 v6, v5, v3 :: v_dual_lshlrev_b32 v5, 23, v5
	v_lshrrev_b32_e32 v6, 4, v6
	s_delay_alu instid0(VALU_DEP_1) | instskip(NEXT) | instid1(VALU_DEP_1)
	v_dual_sub_nc_u32 v5, v6, v5 :: v_dual_ashrrev_i32 v6, 8, v7
	v_add_nc_u32_e32 v5, 0x3c000000, v5
	s_delay_alu instid0(VALU_DEP_1) | instskip(NEXT) | instid1(VALU_DEP_1)
	v_and_or_b32 v5, 0x7f800000, v6, v5
	v_cndmask_b32_e32 v3, 0, v5, vcc_lo
	s_delay_alu instid0(VALU_DEP_1) | instskip(NEXT) | instid1(VALU_DEP_1)
	v_and_or_b32 v1, 0x80000000, v1, v3
	v_cvt_i32_f32_e32 v6, v1
.LBB46_2321:
	s_mov_b32 s23, 0
.LBB46_2322:
	s_delay_alu instid0(SALU_CYCLE_1)
	s_and_not1_b32 vcc_lo, exec_lo, s23
	s_cbranch_vccnz .LBB46_2324
; %bb.2323:
	s_wait_loadcnt 0x0
	global_load_u8 v1, v[12:13], off
	s_wait_loadcnt 0x0
	s_wait_xcnt 0x1
	v_lshlrev_b32_e32 v3, 25, v1
	v_lshlrev_b16 v1, 8, v1
	s_delay_alu instid0(VALU_DEP_1) | instskip(SKIP_1) | instid1(VALU_DEP_2)
	v_and_or_b32 v6, 0x7f00, v1, 0.5
	v_bfe_i32 v1, v1, 0, 16
	v_dual_add_f32 v6, -0.5, v6 :: v_dual_lshrrev_b32 v5, 4, v3
	v_cmp_gt_u32_e32 vcc_lo, 0x8000000, v3
	s_delay_alu instid0(VALU_DEP_2) | instskip(NEXT) | instid1(VALU_DEP_1)
	v_or_b32_e32 v5, 0x70000000, v5
	v_mul_f32_e32 v5, 0x7800000, v5
	s_delay_alu instid0(VALU_DEP_1) | instskip(NEXT) | instid1(VALU_DEP_1)
	v_cndmask_b32_e32 v3, v5, v6, vcc_lo
	v_and_or_b32 v1, 0x80000000, v1, v3
	s_delay_alu instid0(VALU_DEP_1)
	v_cvt_i32_f32_e32 v6, v1
.LBB46_2324:
	s_mov_b32 s23, 0
	s_mov_b32 s24, -1
.LBB46_2325:
	s_and_not1_b32 vcc_lo, exec_lo, s23
	s_mov_b32 s23, 0
	s_cbranch_vccnz .LBB46_2336
; %bb.2326:
	s_cmp_gt_i32 s19, 14
	s_cbranch_scc0 .LBB46_2329
; %bb.2327:
	s_cmp_eq_u32 s19, 15
	s_cbranch_scc0 .LBB46_2332
; %bb.2328:
	s_wait_loadcnt 0x0
	global_load_u16 v1, v[12:13], off
	s_mov_b32 s22, 0
	s_mov_b32 s24, -1
	s_wait_loadcnt 0x0
	v_lshlrev_b32_e32 v1, 16, v1
	s_wait_xcnt 0x1
	s_delay_alu instid0(VALU_DEP_1)
	v_cvt_i32_f32_e32 v6, v1
	s_branch .LBB46_2334
.LBB46_2329:
	s_mov_b32 s23, -1
	s_branch .LBB46_2333
.LBB46_2330:
	s_and_not1_saveexec_b32 s23, s23
	s_cbranch_execz .LBB46_2311
.LBB46_2331:
	v_cmp_ne_u16_e32 vcc_lo, 0, v1
	s_and_not1_b32 s24, s24, exec_lo
	s_and_b32 s25, vcc_lo, exec_lo
	s_delay_alu instid0(SALU_CYCLE_1)
	s_or_b32 s24, s24, s25
	s_or_b32 exec_lo, exec_lo, s23
	v_mov_b32_e32 v6, 0
	s_and_saveexec_b32 s23, s24
	s_cbranch_execnz .LBB46_2312
	s_branch .LBB46_2313
.LBB46_2332:
	s_mov_b32 s22, -1
.LBB46_2333:
                                        ; implicit-def: $vgpr6
.LBB46_2334:
	s_and_b32 vcc_lo, exec_lo, s23
	s_mov_b32 s23, 0
	s_cbranch_vccz .LBB46_2336
; %bb.2335:
	s_cmp_lg_u32 s19, 11
	s_mov_b32 s23, -1
	s_cselect_b32 s22, -1, 0
.LBB46_2336:
	s_delay_alu instid0(SALU_CYCLE_1)
	s_and_b32 vcc_lo, exec_lo, s22
	s_cbranch_vccnz .LBB46_2399
; %bb.2337:
	s_and_not1_b32 vcc_lo, exec_lo, s23
	s_cbranch_vccnz .LBB46_2339
.LBB46_2338:
	s_wait_loadcnt 0x0
	global_load_u8 v1, v[12:13], off
	s_mov_b32 s24, -1
	s_wait_loadcnt 0x0
	v_cmp_ne_u16_e32 vcc_lo, 0, v1
	s_wait_xcnt 0x1
	v_cndmask_b32_e64 v6, 0, 1, vcc_lo
.LBB46_2339:
	s_branch .LBB46_2270
.LBB46_2340:
	s_and_b32 s19, 0xffff, s17
	s_delay_alu instid0(SALU_CYCLE_1)
	s_cmp_lt_i32 s19, 5
	s_cbranch_scc1 .LBB46_2345
; %bb.2341:
	s_cmp_lt_i32 s19, 8
	s_cbranch_scc1 .LBB46_2346
; %bb.2342:
	;; [unrolled: 3-line block ×3, first 2 shown]
	s_cmp_gt_i32 s19, 9
	s_cbranch_scc0 .LBB46_2348
; %bb.2344:
	s_wait_loadcnt 0x0
	global_load_b64 v[6:7], v[12:13], off
	s_mov_b32 s22, 0
	s_wait_loadcnt 0x0
	v_cvt_i32_f64_e32 v6, v[6:7]
	s_branch .LBB46_2349
.LBB46_2345:
	s_mov_b32 s22, -1
                                        ; implicit-def: $vgpr6
	s_branch .LBB46_2367
.LBB46_2346:
	s_mov_b32 s22, -1
                                        ; implicit-def: $vgpr6
	s_branch .LBB46_2355
.LBB46_2347:
	s_mov_b32 s22, -1
                                        ; implicit-def: $vgpr6
	s_branch .LBB46_2352
.LBB46_2348:
	s_mov_b32 s22, -1
                                        ; implicit-def: $vgpr6
.LBB46_2349:
	s_delay_alu instid0(SALU_CYCLE_1)
	s_and_not1_b32 vcc_lo, exec_lo, s22
	s_cbranch_vccnz .LBB46_2351
; %bb.2350:
	s_wait_loadcnt 0x0
	global_load_b32 v1, v[12:13], off
	s_wait_loadcnt 0x0
	s_wait_xcnt 0x1
	v_cvt_i32_f32_e32 v6, v1
.LBB46_2351:
	s_mov_b32 s22, 0
.LBB46_2352:
	s_delay_alu instid0(SALU_CYCLE_1)
	s_and_not1_b32 vcc_lo, exec_lo, s22
	s_cbranch_vccnz .LBB46_2354
; %bb.2353:
	s_wait_loadcnt 0x0
	global_load_b32 v1, v[12:13], off
	s_wait_loadcnt 0x0
	s_wait_xcnt 0x1
	v_cvt_i16_f16_e32 v6, v1
.LBB46_2354:
	s_mov_b32 s22, 0
.LBB46_2355:
	s_delay_alu instid0(SALU_CYCLE_1)
	s_and_not1_b32 vcc_lo, exec_lo, s22
	s_cbranch_vccnz .LBB46_2366
; %bb.2356:
	s_cmp_lt_i32 s19, 6
	s_cbranch_scc1 .LBB46_2359
; %bb.2357:
	s_cmp_gt_i32 s19, 6
	s_cbranch_scc0 .LBB46_2360
; %bb.2358:
	s_wait_loadcnt 0x0
	global_load_b64 v[6:7], v[12:13], off
	s_mov_b32 s22, 0
	s_wait_loadcnt 0x0
	v_cvt_i32_f64_e32 v6, v[6:7]
	s_branch .LBB46_2361
.LBB46_2359:
	s_mov_b32 s22, -1
                                        ; implicit-def: $vgpr6
	s_branch .LBB46_2364
.LBB46_2360:
	s_mov_b32 s22, -1
                                        ; implicit-def: $vgpr6
.LBB46_2361:
	s_delay_alu instid0(SALU_CYCLE_1)
	s_and_not1_b32 vcc_lo, exec_lo, s22
	s_cbranch_vccnz .LBB46_2363
; %bb.2362:
	s_wait_loadcnt 0x0
	global_load_b32 v1, v[12:13], off
	s_wait_loadcnt 0x0
	s_wait_xcnt 0x1
	v_cvt_i32_f32_e32 v6, v1
.LBB46_2363:
	s_mov_b32 s22, 0
.LBB46_2364:
	s_delay_alu instid0(SALU_CYCLE_1)
	s_and_not1_b32 vcc_lo, exec_lo, s22
	s_cbranch_vccnz .LBB46_2366
; %bb.2365:
	s_wait_loadcnt 0x0
	global_load_u16 v1, v[12:13], off
	s_wait_loadcnt 0x0
	s_wait_xcnt 0x1
	v_cvt_i16_f16_e32 v6, v1
.LBB46_2366:
	s_mov_b32 s22, 0
.LBB46_2367:
	s_delay_alu instid0(SALU_CYCLE_1)
	s_and_not1_b32 vcc_lo, exec_lo, s22
	s_cbranch_vccnz .LBB46_2387
; %bb.2368:
	s_cmp_lt_i32 s19, 2
	s_cbranch_scc1 .LBB46_2372
; %bb.2369:
	s_cmp_lt_i32 s19, 3
	s_cbranch_scc1 .LBB46_2373
; %bb.2370:
	s_cmp_gt_i32 s19, 3
	s_cbranch_scc0 .LBB46_2374
; %bb.2371:
	s_wait_loadcnt 0x0
	global_load_b64 v[6:7], v[12:13], off
	s_mov_b32 s22, 0
	s_branch .LBB46_2375
.LBB46_2372:
	s_mov_b32 s22, -1
                                        ; implicit-def: $vgpr6
	s_branch .LBB46_2381
.LBB46_2373:
	s_mov_b32 s22, -1
                                        ; implicit-def: $vgpr6
	s_branch .LBB46_2378
.LBB46_2374:
	s_mov_b32 s22, -1
                                        ; implicit-def: $vgpr6
.LBB46_2375:
	s_delay_alu instid0(SALU_CYCLE_1)
	s_and_not1_b32 vcc_lo, exec_lo, s22
	s_cbranch_vccnz .LBB46_2377
; %bb.2376:
	s_wait_loadcnt 0x0
	global_load_b32 v6, v[12:13], off
.LBB46_2377:
	s_mov_b32 s22, 0
.LBB46_2378:
	s_delay_alu instid0(SALU_CYCLE_1)
	s_and_not1_b32 vcc_lo, exec_lo, s22
	s_cbranch_vccnz .LBB46_2380
; %bb.2379:
	s_wait_loadcnt 0x0
	global_load_u16 v6, v[12:13], off
.LBB46_2380:
	s_mov_b32 s22, 0
.LBB46_2381:
	s_delay_alu instid0(SALU_CYCLE_1)
	s_and_not1_b32 vcc_lo, exec_lo, s22
	s_cbranch_vccnz .LBB46_2387
; %bb.2382:
	s_cmp_gt_i32 s19, 0
	s_mov_b32 s19, 0
	s_cbranch_scc0 .LBB46_2384
; %bb.2383:
	s_wait_loadcnt 0x0
	global_load_u8 v6, v[12:13], off
	s_branch .LBB46_2385
.LBB46_2384:
	s_mov_b32 s19, -1
                                        ; implicit-def: $vgpr6
.LBB46_2385:
	s_delay_alu instid0(SALU_CYCLE_1)
	s_and_not1_b32 vcc_lo, exec_lo, s19
	s_cbranch_vccnz .LBB46_2387
; %bb.2386:
	s_wait_loadcnt 0x0
	global_load_u8 v6, v[12:13], off
.LBB46_2387:
.LBB46_2388:
	s_lshl_b32 s13, s13, 7
	s_cmp_lt_i32 s0, 11
	v_add_nc_u32_e32 v14, s13, v4
	s_delay_alu instid0(VALU_DEP_1) | instskip(SKIP_1) | instid1(VALU_DEP_1)
	v_ashrrev_i32_e32 v15, 31, v14
	s_wait_xcnt 0x0
	v_add_nc_u64_e32 v[12:13], s[6:7], v[14:15]
	s_cbranch_scc1 .LBB46_2395
; %bb.2389:
	s_and_b32 s19, 0xffff, s0
	s_mov_b32 s23, 0
	s_cmp_gt_i32 s19, 25
	s_cbranch_scc0 .LBB46_2396
; %bb.2390:
	s_cmp_gt_i32 s19, 28
	s_cbranch_scc0 .LBB46_2397
; %bb.2391:
	;; [unrolled: 3-line block ×4, first 2 shown]
	s_cmp_eq_u32 s19, 46
	s_mov_b32 s25, 0
	s_cbranch_scc0 .LBB46_2401
; %bb.2394:
	s_wait_loadcnt 0x0
	global_load_b32 v1, v[12:13], off
	s_mov_b32 s22, 0
	s_mov_b32 s24, -1
	s_wait_loadcnt 0x0
	v_lshlrev_b32_e32 v1, 16, v1
	s_delay_alu instid0(VALU_DEP_1)
	v_cvt_i32_f32_e32 v4, v1
	s_branch .LBB46_2403
.LBB46_2395:
	s_mov_b32 s19, -1
	s_mov_b32 s24, 0
                                        ; implicit-def: $vgpr4
	s_branch .LBB46_2465
.LBB46_2396:
	s_mov_b32 s25, -1
	s_mov_b32 s24, 0
	s_mov_b32 s22, 0
                                        ; implicit-def: $vgpr4
	s_branch .LBB46_2430
.LBB46_2397:
	s_mov_b32 s25, -1
	s_mov_b32 s24, 0
	s_mov_b32 s22, 0
                                        ; implicit-def: $vgpr4
	s_branch .LBB46_2413
.LBB46_2398:
	s_mov_b32 s25, -1
	s_mov_b32 s24, 0
	s_mov_b32 s22, 0
                                        ; implicit-def: $vgpr4
	s_branch .LBB46_2408
.LBB46_2399:
	s_or_b32 s16, s16, exec_lo
	s_trap 2
	s_cbranch_execz .LBB46_2338
	s_branch .LBB46_2339
.LBB46_2400:
	s_mov_b32 s25, -1
	s_mov_b32 s24, 0
	s_mov_b32 s22, 0
	s_branch .LBB46_2402
.LBB46_2401:
	s_mov_b32 s22, -1
	s_mov_b32 s24, 0
.LBB46_2402:
                                        ; implicit-def: $vgpr4
.LBB46_2403:
	s_and_b32 vcc_lo, exec_lo, s25
	s_cbranch_vccz .LBB46_2407
; %bb.2404:
	s_cmp_eq_u32 s19, 44
	s_cbranch_scc0 .LBB46_2406
; %bb.2405:
	s_wait_loadcnt 0x0
	global_load_u8 v1, v[12:13], off
	s_mov_b32 s22, 0
	s_mov_b32 s24, -1
	s_wait_loadcnt 0x0
	v_lshlrev_b32_e32 v3, 23, v1
	v_cmp_ne_u32_e32 vcc_lo, 0, v1
	s_delay_alu instid0(VALU_DEP_2) | instskip(NEXT) | instid1(VALU_DEP_1)
	v_cvt_i32_f32_e32 v3, v3
	v_cndmask_b32_e32 v4, 0, v3, vcc_lo
	s_branch .LBB46_2407
.LBB46_2406:
	s_mov_b32 s22, -1
                                        ; implicit-def: $vgpr4
.LBB46_2407:
	s_mov_b32 s25, 0
.LBB46_2408:
	s_delay_alu instid0(SALU_CYCLE_1)
	s_and_b32 vcc_lo, exec_lo, s25
	s_cbranch_vccz .LBB46_2412
; %bb.2409:
	s_cmp_eq_u32 s19, 29
	s_cbranch_scc0 .LBB46_2411
; %bb.2410:
	global_load_b64 v[4:5], v[12:13], off
	s_mov_b32 s22, 0
	s_mov_b32 s24, -1
	s_branch .LBB46_2412
.LBB46_2411:
	s_mov_b32 s22, -1
                                        ; implicit-def: $vgpr4
.LBB46_2412:
	s_mov_b32 s25, 0
.LBB46_2413:
	s_delay_alu instid0(SALU_CYCLE_1)
	s_and_b32 vcc_lo, exec_lo, s25
	s_cbranch_vccz .LBB46_2429
; %bb.2414:
	s_cmp_lt_i32 s19, 27
	s_cbranch_scc1 .LBB46_2417
; %bb.2415:
	s_cmp_gt_i32 s19, 27
	s_cbranch_scc0 .LBB46_2418
; %bb.2416:
	s_wait_loadcnt 0x0
	global_load_b32 v4, v[12:13], off
	s_mov_b32 s24, 0
	s_branch .LBB46_2419
.LBB46_2417:
	s_mov_b32 s24, -1
                                        ; implicit-def: $vgpr4
	s_branch .LBB46_2422
.LBB46_2418:
	s_mov_b32 s24, -1
                                        ; implicit-def: $vgpr4
.LBB46_2419:
	s_delay_alu instid0(SALU_CYCLE_1)
	s_and_not1_b32 vcc_lo, exec_lo, s24
	s_cbranch_vccnz .LBB46_2421
; %bb.2420:
	s_wait_loadcnt 0x0
	global_load_u16 v4, v[12:13], off
.LBB46_2421:
	s_mov_b32 s24, 0
.LBB46_2422:
	s_delay_alu instid0(SALU_CYCLE_1)
	s_and_not1_b32 vcc_lo, exec_lo, s24
	s_cbranch_vccnz .LBB46_2428
; %bb.2423:
	s_wait_loadcnt 0x0
	global_load_u8 v1, v[12:13], off
	s_mov_b32 s25, 0
	s_mov_b32 s24, exec_lo
	s_wait_loadcnt 0x0
	v_cmpx_lt_i16_e32 0x7f, v1
	s_xor_b32 s24, exec_lo, s24
	s_cbranch_execz .LBB46_2440
; %bb.2424:
	v_cmp_ne_u16_e32 vcc_lo, 0x80, v1
	s_and_b32 s25, vcc_lo, exec_lo
	s_and_not1_saveexec_b32 s24, s24
	s_cbranch_execnz .LBB46_2441
.LBB46_2425:
	s_or_b32 exec_lo, exec_lo, s24
	v_mov_b32_e32 v4, 0
	s_and_saveexec_b32 s24, s25
	s_cbranch_execz .LBB46_2427
.LBB46_2426:
	v_and_b32_e32 v3, 0xffff, v1
	s_delay_alu instid0(VALU_DEP_1) | instskip(SKIP_1) | instid1(VALU_DEP_2)
	v_and_b32_e32 v4, 7, v3
	v_bfe_u32 v9, v3, 3, 4
	v_clz_i32_u32_e32 v5, v4
	s_delay_alu instid0(VALU_DEP_2) | instskip(NEXT) | instid1(VALU_DEP_2)
	v_cmp_eq_u32_e32 vcc_lo, 0, v9
	v_min_u32_e32 v5, 32, v5
	s_delay_alu instid0(VALU_DEP_1) | instskip(NEXT) | instid1(VALU_DEP_1)
	v_subrev_nc_u32_e32 v7, 28, v5
	v_dual_lshlrev_b32 v3, v7, v3 :: v_dual_sub_nc_u32 v5, 29, v5
	s_delay_alu instid0(VALU_DEP_1) | instskip(NEXT) | instid1(VALU_DEP_1)
	v_dual_lshlrev_b32 v1, 24, v1 :: v_dual_bitop2_b32 v3, 7, v3 bitop3:0x40
	v_dual_cndmask_b32 v3, v4, v3, vcc_lo :: v_dual_cndmask_b32 v5, v9, v5, vcc_lo
	s_delay_alu instid0(VALU_DEP_2) | instskip(NEXT) | instid1(VALU_DEP_2)
	v_and_b32_e32 v1, 0x80000000, v1
	v_lshlrev_b32_e32 v3, 20, v3
	s_delay_alu instid0(VALU_DEP_3) | instskip(NEXT) | instid1(VALU_DEP_1)
	v_lshl_add_u32 v4, v5, 23, 0x3b800000
	v_or3_b32 v1, v1, v4, v3
	s_delay_alu instid0(VALU_DEP_1)
	v_cvt_i32_f32_e32 v4, v1
.LBB46_2427:
	s_or_b32 exec_lo, exec_lo, s24
.LBB46_2428:
	s_mov_b32 s24, -1
.LBB46_2429:
	s_mov_b32 s25, 0
.LBB46_2430:
	s_delay_alu instid0(SALU_CYCLE_1)
	s_and_b32 vcc_lo, exec_lo, s25
	s_cbranch_vccz .LBB46_2461
; %bb.2431:
	s_cmp_gt_i32 s19, 22
	s_cbranch_scc0 .LBB46_2439
; %bb.2432:
	s_cmp_lt_i32 s19, 24
	s_cbranch_scc1 .LBB46_2442
; %bb.2433:
	s_cmp_gt_i32 s19, 24
	s_cbranch_scc0 .LBB46_2443
; %bb.2434:
	s_wait_loadcnt 0x0
	global_load_u8 v1, v[12:13], off
	s_mov_b32 s24, 0
	s_mov_b32 s23, exec_lo
	s_wait_loadcnt 0x0
	v_cmpx_lt_i16_e32 0x7f, v1
	s_xor_b32 s23, exec_lo, s23
	s_cbranch_execz .LBB46_2455
; %bb.2435:
	v_cmp_ne_u16_e32 vcc_lo, 0x80, v1
	s_and_b32 s24, vcc_lo, exec_lo
	s_and_not1_saveexec_b32 s23, s23
	s_cbranch_execnz .LBB46_2456
.LBB46_2436:
	s_or_b32 exec_lo, exec_lo, s23
	v_mov_b32_e32 v4, 0
	s_and_saveexec_b32 s23, s24
	s_cbranch_execz .LBB46_2438
.LBB46_2437:
	v_and_b32_e32 v3, 0xffff, v1
	s_delay_alu instid0(VALU_DEP_1) | instskip(SKIP_1) | instid1(VALU_DEP_2)
	v_and_b32_e32 v4, 3, v3
	v_bfe_u32 v9, v3, 2, 5
	v_clz_i32_u32_e32 v5, v4
	s_delay_alu instid0(VALU_DEP_2) | instskip(NEXT) | instid1(VALU_DEP_2)
	v_cmp_eq_u32_e32 vcc_lo, 0, v9
	v_min_u32_e32 v5, 32, v5
	s_delay_alu instid0(VALU_DEP_1) | instskip(NEXT) | instid1(VALU_DEP_1)
	v_subrev_nc_u32_e32 v7, 29, v5
	v_dual_lshlrev_b32 v3, v7, v3 :: v_dual_sub_nc_u32 v5, 30, v5
	s_delay_alu instid0(VALU_DEP_1) | instskip(NEXT) | instid1(VALU_DEP_1)
	v_dual_lshlrev_b32 v1, 24, v1 :: v_dual_bitop2_b32 v3, 3, v3 bitop3:0x40
	v_dual_cndmask_b32 v3, v4, v3, vcc_lo :: v_dual_cndmask_b32 v5, v9, v5, vcc_lo
	s_delay_alu instid0(VALU_DEP_2) | instskip(NEXT) | instid1(VALU_DEP_2)
	v_and_b32_e32 v1, 0x80000000, v1
	v_lshlrev_b32_e32 v3, 21, v3
	s_delay_alu instid0(VALU_DEP_3) | instskip(NEXT) | instid1(VALU_DEP_1)
	v_lshl_add_u32 v4, v5, 23, 0x37800000
	v_or3_b32 v1, v1, v4, v3
	s_delay_alu instid0(VALU_DEP_1)
	v_cvt_i32_f32_e32 v4, v1
.LBB46_2438:
	s_or_b32 exec_lo, exec_lo, s23
	s_mov_b32 s23, 0
	s_branch .LBB46_2444
.LBB46_2439:
	s_mov_b32 s23, -1
                                        ; implicit-def: $vgpr4
	s_branch .LBB46_2450
.LBB46_2440:
	s_and_not1_saveexec_b32 s24, s24
	s_cbranch_execz .LBB46_2425
.LBB46_2441:
	v_cmp_ne_u16_e32 vcc_lo, 0, v1
	s_and_not1_b32 s25, s25, exec_lo
	s_and_b32 s26, vcc_lo, exec_lo
	s_delay_alu instid0(SALU_CYCLE_1)
	s_or_b32 s25, s25, s26
	s_or_b32 exec_lo, exec_lo, s24
	v_mov_b32_e32 v4, 0
	s_and_saveexec_b32 s24, s25
	s_cbranch_execnz .LBB46_2426
	s_branch .LBB46_2427
.LBB46_2442:
	s_mov_b32 s23, -1
                                        ; implicit-def: $vgpr4
	s_branch .LBB46_2447
.LBB46_2443:
	s_mov_b32 s23, -1
                                        ; implicit-def: $vgpr4
.LBB46_2444:
	s_delay_alu instid0(SALU_CYCLE_1)
	s_and_b32 vcc_lo, exec_lo, s23
	s_cbranch_vccz .LBB46_2446
; %bb.2445:
	s_wait_loadcnt 0x0
	global_load_u8 v1, v[12:13], off
	s_wait_loadcnt 0x0
	v_lshlrev_b32_e32 v1, 24, v1
	s_delay_alu instid0(VALU_DEP_1) | instskip(NEXT) | instid1(VALU_DEP_1)
	v_and_b32_e32 v3, 0x7f000000, v1
	v_clz_i32_u32_e32 v4, v3
	v_add_nc_u32_e32 v7, 0x1000000, v3
	v_cmp_ne_u32_e32 vcc_lo, 0, v3
	s_delay_alu instid0(VALU_DEP_3) | instskip(NEXT) | instid1(VALU_DEP_1)
	v_min_u32_e32 v4, 32, v4
	v_sub_nc_u32_e64 v4, v4, 4 clamp
	s_delay_alu instid0(VALU_DEP_1) | instskip(NEXT) | instid1(VALU_DEP_1)
	v_dual_lshlrev_b32 v5, v4, v3 :: v_dual_lshlrev_b32 v4, 23, v4
	v_lshrrev_b32_e32 v5, 4, v5
	s_delay_alu instid0(VALU_DEP_1) | instskip(NEXT) | instid1(VALU_DEP_1)
	v_dual_sub_nc_u32 v4, v5, v4 :: v_dual_ashrrev_i32 v5, 8, v7
	v_add_nc_u32_e32 v4, 0x3c000000, v4
	s_delay_alu instid0(VALU_DEP_1) | instskip(NEXT) | instid1(VALU_DEP_1)
	v_and_or_b32 v4, 0x7f800000, v5, v4
	v_cndmask_b32_e32 v3, 0, v4, vcc_lo
	s_delay_alu instid0(VALU_DEP_1) | instskip(NEXT) | instid1(VALU_DEP_1)
	v_and_or_b32 v1, 0x80000000, v1, v3
	v_cvt_i32_f32_e32 v4, v1
.LBB46_2446:
	s_mov_b32 s23, 0
.LBB46_2447:
	s_delay_alu instid0(SALU_CYCLE_1)
	s_and_not1_b32 vcc_lo, exec_lo, s23
	s_cbranch_vccnz .LBB46_2449
; %bb.2448:
	s_wait_loadcnt 0x0
	global_load_u8 v1, v[12:13], off
	s_wait_loadcnt 0x0
	v_lshlrev_b32_e32 v3, 25, v1
	v_lshlrev_b16 v1, 8, v1
	s_delay_alu instid0(VALU_DEP_1) | instskip(NEXT) | instid1(VALU_DEP_3)
	v_and_or_b32 v5, 0x7f00, v1, 0.5
	v_lshrrev_b32_e32 v4, 4, v3
	v_bfe_i32 v1, v1, 0, 16
	s_delay_alu instid0(VALU_DEP_3) | instskip(NEXT) | instid1(VALU_DEP_3)
	v_add_f32_e32 v5, -0.5, v5
	v_or_b32_e32 v4, 0x70000000, v4
	s_delay_alu instid0(VALU_DEP_1) | instskip(SKIP_1) | instid1(VALU_DEP_2)
	v_mul_f32_e32 v4, 0x7800000, v4
	v_cmp_gt_u32_e32 vcc_lo, 0x8000000, v3
	v_cndmask_b32_e32 v3, v4, v5, vcc_lo
	s_delay_alu instid0(VALU_DEP_1) | instskip(NEXT) | instid1(VALU_DEP_1)
	v_and_or_b32 v1, 0x80000000, v1, v3
	v_cvt_i32_f32_e32 v4, v1
.LBB46_2449:
	s_mov_b32 s23, 0
	s_mov_b32 s24, -1
.LBB46_2450:
	s_and_not1_b32 vcc_lo, exec_lo, s23
	s_mov_b32 s23, 0
	s_cbranch_vccnz .LBB46_2461
; %bb.2451:
	s_cmp_gt_i32 s19, 14
	s_cbranch_scc0 .LBB46_2454
; %bb.2452:
	s_cmp_eq_u32 s19, 15
	s_cbranch_scc0 .LBB46_2457
; %bb.2453:
	s_wait_loadcnt 0x0
	global_load_u16 v1, v[12:13], off
	s_mov_b32 s22, 0
	s_mov_b32 s24, -1
	s_wait_loadcnt 0x0
	v_lshlrev_b32_e32 v1, 16, v1
	s_delay_alu instid0(VALU_DEP_1)
	v_cvt_i32_f32_e32 v4, v1
	s_branch .LBB46_2459
.LBB46_2454:
	s_mov_b32 s23, -1
	s_branch .LBB46_2458
.LBB46_2455:
	s_and_not1_saveexec_b32 s23, s23
	s_cbranch_execz .LBB46_2436
.LBB46_2456:
	v_cmp_ne_u16_e32 vcc_lo, 0, v1
	s_and_not1_b32 s24, s24, exec_lo
	s_and_b32 s25, vcc_lo, exec_lo
	s_delay_alu instid0(SALU_CYCLE_1)
	s_or_b32 s24, s24, s25
	s_or_b32 exec_lo, exec_lo, s23
	v_mov_b32_e32 v4, 0
	s_and_saveexec_b32 s23, s24
	s_cbranch_execnz .LBB46_2437
	s_branch .LBB46_2438
.LBB46_2457:
	s_mov_b32 s22, -1
.LBB46_2458:
                                        ; implicit-def: $vgpr4
.LBB46_2459:
	s_and_b32 vcc_lo, exec_lo, s23
	s_mov_b32 s23, 0
	s_cbranch_vccz .LBB46_2461
; %bb.2460:
	s_cmp_lg_u32 s19, 11
	s_mov_b32 s23, -1
	s_cselect_b32 s22, -1, 0
.LBB46_2461:
	s_delay_alu instid0(SALU_CYCLE_1)
	s_and_b32 vcc_lo, exec_lo, s22
	s_cbranch_vccnz .LBB46_2526
; %bb.2462:
	s_and_not1_b32 vcc_lo, exec_lo, s23
	s_cbranch_vccnz .LBB46_2464
.LBB46_2463:
	s_wait_loadcnt 0x0
	global_load_u8 v1, v[12:13], off
	s_mov_b32 s24, -1
	s_wait_loadcnt 0x0
	v_cmp_ne_u16_e32 vcc_lo, 0, v1
	v_cndmask_b32_e64 v4, 0, 1, vcc_lo
.LBB46_2464:
	s_mov_b32 s19, 0
.LBB46_2465:
	s_delay_alu instid0(SALU_CYCLE_1)
	s_and_b32 vcc_lo, exec_lo, s19
	s_cbranch_vccz .LBB46_2514
; %bb.2466:
	s_and_b32 s19, 0xffff, s0
	s_delay_alu instid0(SALU_CYCLE_1)
	s_cmp_lt_i32 s19, 5
	s_cbranch_scc1 .LBB46_2471
; %bb.2467:
	s_cmp_lt_i32 s19, 8
	s_cbranch_scc1 .LBB46_2472
; %bb.2468:
	;; [unrolled: 3-line block ×3, first 2 shown]
	s_cmp_gt_i32 s19, 9
	s_cbranch_scc0 .LBB46_2474
; %bb.2470:
	s_wait_loadcnt 0x0
	global_load_b64 v[4:5], v[12:13], off
	s_mov_b32 s22, 0
	s_wait_loadcnt 0x0
	v_cvt_i32_f64_e32 v4, v[4:5]
	s_branch .LBB46_2475
.LBB46_2471:
	s_mov_b32 s22, -1
                                        ; implicit-def: $vgpr4
	s_branch .LBB46_2493
.LBB46_2472:
	s_mov_b32 s22, -1
                                        ; implicit-def: $vgpr4
	s_branch .LBB46_2481
.LBB46_2473:
	s_mov_b32 s22, -1
                                        ; implicit-def: $vgpr4
	s_branch .LBB46_2478
.LBB46_2474:
	s_mov_b32 s22, -1
                                        ; implicit-def: $vgpr4
.LBB46_2475:
	s_delay_alu instid0(SALU_CYCLE_1)
	s_and_not1_b32 vcc_lo, exec_lo, s22
	s_cbranch_vccnz .LBB46_2477
; %bb.2476:
	s_wait_loadcnt 0x0
	global_load_b32 v1, v[12:13], off
	s_wait_loadcnt 0x0
	v_cvt_i32_f32_e32 v4, v1
.LBB46_2477:
	s_mov_b32 s22, 0
.LBB46_2478:
	s_delay_alu instid0(SALU_CYCLE_1)
	s_and_not1_b32 vcc_lo, exec_lo, s22
	s_cbranch_vccnz .LBB46_2480
; %bb.2479:
	s_wait_loadcnt 0x0
	global_load_b32 v1, v[12:13], off
	s_wait_loadcnt 0x0
	v_cvt_i16_f16_e32 v4, v1
.LBB46_2480:
	s_mov_b32 s22, 0
.LBB46_2481:
	s_delay_alu instid0(SALU_CYCLE_1)
	s_and_not1_b32 vcc_lo, exec_lo, s22
	s_cbranch_vccnz .LBB46_2492
; %bb.2482:
	s_cmp_lt_i32 s19, 6
	s_cbranch_scc1 .LBB46_2485
; %bb.2483:
	s_cmp_gt_i32 s19, 6
	s_cbranch_scc0 .LBB46_2486
; %bb.2484:
	s_wait_loadcnt 0x0
	global_load_b64 v[4:5], v[12:13], off
	s_mov_b32 s22, 0
	s_wait_loadcnt 0x0
	v_cvt_i32_f64_e32 v4, v[4:5]
	s_branch .LBB46_2487
.LBB46_2485:
	s_mov_b32 s22, -1
                                        ; implicit-def: $vgpr4
	s_branch .LBB46_2490
.LBB46_2486:
	s_mov_b32 s22, -1
                                        ; implicit-def: $vgpr4
.LBB46_2487:
	s_delay_alu instid0(SALU_CYCLE_1)
	s_and_not1_b32 vcc_lo, exec_lo, s22
	s_cbranch_vccnz .LBB46_2489
; %bb.2488:
	s_wait_loadcnt 0x0
	global_load_b32 v1, v[12:13], off
	s_wait_loadcnt 0x0
	v_cvt_i32_f32_e32 v4, v1
.LBB46_2489:
	s_mov_b32 s22, 0
.LBB46_2490:
	s_delay_alu instid0(SALU_CYCLE_1)
	s_and_not1_b32 vcc_lo, exec_lo, s22
	s_cbranch_vccnz .LBB46_2492
; %bb.2491:
	s_wait_loadcnt 0x0
	global_load_u16 v1, v[12:13], off
	s_wait_loadcnt 0x0
	v_cvt_i16_f16_e32 v4, v1
.LBB46_2492:
	s_mov_b32 s22, 0
.LBB46_2493:
	s_delay_alu instid0(SALU_CYCLE_1)
	s_and_not1_b32 vcc_lo, exec_lo, s22
	s_cbranch_vccnz .LBB46_2513
; %bb.2494:
	s_cmp_lt_i32 s19, 2
	s_cbranch_scc1 .LBB46_2498
; %bb.2495:
	s_cmp_lt_i32 s19, 3
	s_cbranch_scc1 .LBB46_2499
; %bb.2496:
	s_cmp_gt_i32 s19, 3
	s_cbranch_scc0 .LBB46_2500
; %bb.2497:
	s_wait_loadcnt 0x0
	global_load_b64 v[4:5], v[12:13], off
	s_mov_b32 s22, 0
	s_branch .LBB46_2501
.LBB46_2498:
	s_mov_b32 s22, -1
                                        ; implicit-def: $vgpr4
	s_branch .LBB46_2507
.LBB46_2499:
	s_mov_b32 s22, -1
                                        ; implicit-def: $vgpr4
	s_branch .LBB46_2504
.LBB46_2500:
	s_mov_b32 s22, -1
                                        ; implicit-def: $vgpr4
.LBB46_2501:
	s_delay_alu instid0(SALU_CYCLE_1)
	s_and_not1_b32 vcc_lo, exec_lo, s22
	s_cbranch_vccnz .LBB46_2503
; %bb.2502:
	s_wait_loadcnt 0x0
	global_load_b32 v4, v[12:13], off
.LBB46_2503:
	s_mov_b32 s22, 0
.LBB46_2504:
	s_delay_alu instid0(SALU_CYCLE_1)
	s_and_not1_b32 vcc_lo, exec_lo, s22
	s_cbranch_vccnz .LBB46_2506
; %bb.2505:
	s_wait_loadcnt 0x0
	global_load_u16 v4, v[12:13], off
.LBB46_2506:
	s_mov_b32 s22, 0
.LBB46_2507:
	s_delay_alu instid0(SALU_CYCLE_1)
	s_and_not1_b32 vcc_lo, exec_lo, s22
	s_cbranch_vccnz .LBB46_2513
; %bb.2508:
	s_cmp_gt_i32 s19, 0
	s_mov_b32 s19, 0
	s_cbranch_scc0 .LBB46_2510
; %bb.2509:
	s_wait_loadcnt 0x0
	global_load_u8 v4, v[12:13], off
	s_branch .LBB46_2511
.LBB46_2510:
	s_mov_b32 s19, -1
                                        ; implicit-def: $vgpr4
.LBB46_2511:
	s_delay_alu instid0(SALU_CYCLE_1)
	s_and_not1_b32 vcc_lo, exec_lo, s19
	s_cbranch_vccnz .LBB46_2513
; %bb.2512:
	s_wait_loadcnt 0x0
	global_load_u8 v4, v[12:13], off
.LBB46_2513:
	s_mov_b32 s24, -1
.LBB46_2514:
	s_delay_alu instid0(SALU_CYCLE_1)
	s_and_not1_b32 vcc_lo, exec_lo, s24
	s_cbranch_vccnz .LBB46_3968
; %bb.2515:
	s_lshl_b32 s14, s14, 7
	s_cmp_lt_i32 s3, 11
	v_add_nc_u32_e32 v16, s14, v8
	s_delay_alu instid0(VALU_DEP_1) | instskip(SKIP_1) | instid1(VALU_DEP_1)
	v_ashrrev_i32_e32 v17, 31, v16
	s_wait_xcnt 0x0
	v_add_nc_u64_e32 v[12:13], s[8:9], v[16:17]
	s_cbranch_scc1 .LBB46_2522
; %bb.2516:
	s_and_b32 s19, 0xffff, s3
	s_mov_b32 s23, 0
	s_cmp_gt_i32 s19, 25
	s_cbranch_scc0 .LBB46_2523
; %bb.2517:
	s_cmp_gt_i32 s19, 28
	s_cbranch_scc0 .LBB46_2524
; %bb.2518:
	;; [unrolled: 3-line block ×4, first 2 shown]
	s_cmp_eq_u32 s19, 46
	s_mov_b32 s25, 0
	s_cbranch_scc0 .LBB46_2528
; %bb.2521:
	s_wait_loadcnt 0x0
	global_load_b32 v1, v[12:13], off
	s_mov_b32 s22, 0
	s_mov_b32 s24, -1
	s_wait_loadcnt 0x0
	v_lshlrev_b32_e32 v1, 16, v1
	s_delay_alu instid0(VALU_DEP_1)
	v_cvt_i32_f32_e32 v8, v1
	s_branch .LBB46_2530
.LBB46_2522:
	s_mov_b32 s19, -1
	s_mov_b32 s24, 0
                                        ; implicit-def: $vgpr8
	s_branch .LBB46_2592
.LBB46_2523:
	s_mov_b32 s25, -1
	s_mov_b32 s24, 0
	s_mov_b32 s22, 0
                                        ; implicit-def: $vgpr8
	s_branch .LBB46_2557
.LBB46_2524:
	s_mov_b32 s25, -1
	s_mov_b32 s24, 0
	s_mov_b32 s22, 0
                                        ; implicit-def: $vgpr8
	s_branch .LBB46_2540
.LBB46_2525:
	s_mov_b32 s25, -1
	s_mov_b32 s24, 0
	s_mov_b32 s22, 0
                                        ; implicit-def: $vgpr8
	s_branch .LBB46_2535
.LBB46_2526:
	s_or_b32 s16, s16, exec_lo
	s_trap 2
	s_cbranch_execz .LBB46_2463
	s_branch .LBB46_2464
.LBB46_2527:
	s_mov_b32 s25, -1
	s_mov_b32 s24, 0
	s_mov_b32 s22, 0
	s_branch .LBB46_2529
.LBB46_2528:
	s_mov_b32 s22, -1
	s_mov_b32 s24, 0
.LBB46_2529:
                                        ; implicit-def: $vgpr8
.LBB46_2530:
	s_and_b32 vcc_lo, exec_lo, s25
	s_cbranch_vccz .LBB46_2534
; %bb.2531:
	s_cmp_eq_u32 s19, 44
	s_cbranch_scc0 .LBB46_2533
; %bb.2532:
	s_wait_loadcnt 0x0
	global_load_u8 v1, v[12:13], off
	s_mov_b32 s22, 0
	s_mov_b32 s24, -1
	s_wait_loadcnt 0x0
	v_lshlrev_b32_e32 v3, 23, v1
	v_cmp_ne_u32_e32 vcc_lo, 0, v1
	s_delay_alu instid0(VALU_DEP_2) | instskip(NEXT) | instid1(VALU_DEP_1)
	v_cvt_i32_f32_e32 v3, v3
	v_cndmask_b32_e32 v8, 0, v3, vcc_lo
	s_branch .LBB46_2534
.LBB46_2533:
	s_mov_b32 s22, -1
                                        ; implicit-def: $vgpr8
.LBB46_2534:
	s_mov_b32 s25, 0
.LBB46_2535:
	s_delay_alu instid0(SALU_CYCLE_1)
	s_and_b32 vcc_lo, exec_lo, s25
	s_cbranch_vccz .LBB46_2539
; %bb.2536:
	s_cmp_eq_u32 s19, 29
	s_cbranch_scc0 .LBB46_2538
; %bb.2537:
	global_load_b64 v[8:9], v[12:13], off
	s_mov_b32 s22, 0
	s_mov_b32 s24, -1
	s_branch .LBB46_2539
.LBB46_2538:
	s_mov_b32 s22, -1
                                        ; implicit-def: $vgpr8
.LBB46_2539:
	s_mov_b32 s25, 0
.LBB46_2540:
	s_delay_alu instid0(SALU_CYCLE_1)
	s_and_b32 vcc_lo, exec_lo, s25
	s_cbranch_vccz .LBB46_2556
; %bb.2541:
	s_cmp_lt_i32 s19, 27
	s_cbranch_scc1 .LBB46_2544
; %bb.2542:
	s_cmp_gt_i32 s19, 27
	s_cbranch_scc0 .LBB46_2545
; %bb.2543:
	s_wait_loadcnt 0x0
	global_load_b32 v8, v[12:13], off
	s_mov_b32 s24, 0
	s_branch .LBB46_2546
.LBB46_2544:
	s_mov_b32 s24, -1
                                        ; implicit-def: $vgpr8
	s_branch .LBB46_2549
.LBB46_2545:
	s_mov_b32 s24, -1
                                        ; implicit-def: $vgpr8
.LBB46_2546:
	s_delay_alu instid0(SALU_CYCLE_1)
	s_and_not1_b32 vcc_lo, exec_lo, s24
	s_cbranch_vccnz .LBB46_2548
; %bb.2547:
	s_wait_loadcnt 0x0
	global_load_u16 v8, v[12:13], off
.LBB46_2548:
	s_mov_b32 s24, 0
.LBB46_2549:
	s_delay_alu instid0(SALU_CYCLE_1)
	s_and_not1_b32 vcc_lo, exec_lo, s24
	s_cbranch_vccnz .LBB46_2555
; %bb.2550:
	s_wait_loadcnt 0x0
	global_load_u8 v1, v[12:13], off
	s_mov_b32 s25, 0
	s_mov_b32 s24, exec_lo
	s_wait_loadcnt 0x0
	v_cmpx_lt_i16_e32 0x7f, v1
	s_xor_b32 s24, exec_lo, s24
	s_cbranch_execz .LBB46_2567
; %bb.2551:
	v_cmp_ne_u16_e32 vcc_lo, 0x80, v1
	s_and_b32 s25, vcc_lo, exec_lo
	s_and_not1_saveexec_b32 s24, s24
	s_cbranch_execnz .LBB46_2568
.LBB46_2552:
	s_or_b32 exec_lo, exec_lo, s24
	v_mov_b32_e32 v8, 0
	s_and_saveexec_b32 s24, s25
	s_cbranch_execz .LBB46_2554
.LBB46_2553:
	v_and_b32_e32 v3, 0xffff, v1
	s_delay_alu instid0(VALU_DEP_1) | instskip(SKIP_1) | instid1(VALU_DEP_2)
	v_dual_lshlrev_b32 v1, 24, v1 :: v_dual_bitop2_b32 v5, 7, v3 bitop3:0x40
	v_bfe_u32 v9, v3, 3, 4
	v_and_b32_e32 v1, 0x80000000, v1
	s_delay_alu instid0(VALU_DEP_3) | instskip(NEXT) | instid1(VALU_DEP_3)
	v_clz_i32_u32_e32 v7, v5
	v_cmp_eq_u32_e32 vcc_lo, 0, v9
	s_delay_alu instid0(VALU_DEP_2) | instskip(NEXT) | instid1(VALU_DEP_1)
	v_min_u32_e32 v7, 32, v7
	v_subrev_nc_u32_e32 v8, 28, v7
	v_sub_nc_u32_e32 v7, 29, v7
	s_delay_alu instid0(VALU_DEP_2) | instskip(NEXT) | instid1(VALU_DEP_2)
	v_lshlrev_b32_e32 v3, v8, v3
	v_cndmask_b32_e32 v7, v9, v7, vcc_lo
	s_delay_alu instid0(VALU_DEP_2) | instskip(NEXT) | instid1(VALU_DEP_1)
	v_and_b32_e32 v3, 7, v3
	v_cndmask_b32_e32 v3, v5, v3, vcc_lo
	s_delay_alu instid0(VALU_DEP_3) | instskip(NEXT) | instid1(VALU_DEP_2)
	v_lshl_add_u32 v5, v7, 23, 0x3b800000
	v_lshlrev_b32_e32 v3, 20, v3
	s_delay_alu instid0(VALU_DEP_1) | instskip(NEXT) | instid1(VALU_DEP_1)
	v_or3_b32 v1, v1, v5, v3
	v_cvt_i32_f32_e32 v8, v1
.LBB46_2554:
	s_or_b32 exec_lo, exec_lo, s24
.LBB46_2555:
	s_mov_b32 s24, -1
.LBB46_2556:
	s_mov_b32 s25, 0
.LBB46_2557:
	s_delay_alu instid0(SALU_CYCLE_1)
	s_and_b32 vcc_lo, exec_lo, s25
	s_cbranch_vccz .LBB46_2588
; %bb.2558:
	s_cmp_gt_i32 s19, 22
	s_cbranch_scc0 .LBB46_2566
; %bb.2559:
	s_cmp_lt_i32 s19, 24
	s_cbranch_scc1 .LBB46_2569
; %bb.2560:
	s_cmp_gt_i32 s19, 24
	s_cbranch_scc0 .LBB46_2570
; %bb.2561:
	s_wait_loadcnt 0x0
	global_load_u8 v1, v[12:13], off
	s_mov_b32 s24, 0
	s_mov_b32 s23, exec_lo
	s_wait_loadcnt 0x0
	v_cmpx_lt_i16_e32 0x7f, v1
	s_xor_b32 s23, exec_lo, s23
	s_cbranch_execz .LBB46_2582
; %bb.2562:
	v_cmp_ne_u16_e32 vcc_lo, 0x80, v1
	s_and_b32 s24, vcc_lo, exec_lo
	s_and_not1_saveexec_b32 s23, s23
	s_cbranch_execnz .LBB46_2583
.LBB46_2563:
	s_or_b32 exec_lo, exec_lo, s23
	v_mov_b32_e32 v8, 0
	s_and_saveexec_b32 s23, s24
	s_cbranch_execz .LBB46_2565
.LBB46_2564:
	v_and_b32_e32 v3, 0xffff, v1
	s_delay_alu instid0(VALU_DEP_1) | instskip(SKIP_1) | instid1(VALU_DEP_2)
	v_dual_lshlrev_b32 v1, 24, v1 :: v_dual_bitop2_b32 v5, 3, v3 bitop3:0x40
	v_bfe_u32 v9, v3, 2, 5
	v_and_b32_e32 v1, 0x80000000, v1
	s_delay_alu instid0(VALU_DEP_3) | instskip(NEXT) | instid1(VALU_DEP_3)
	v_clz_i32_u32_e32 v7, v5
	v_cmp_eq_u32_e32 vcc_lo, 0, v9
	s_delay_alu instid0(VALU_DEP_2) | instskip(NEXT) | instid1(VALU_DEP_1)
	v_min_u32_e32 v7, 32, v7
	v_subrev_nc_u32_e32 v8, 29, v7
	v_sub_nc_u32_e32 v7, 30, v7
	s_delay_alu instid0(VALU_DEP_2) | instskip(NEXT) | instid1(VALU_DEP_2)
	v_lshlrev_b32_e32 v3, v8, v3
	v_cndmask_b32_e32 v7, v9, v7, vcc_lo
	s_delay_alu instid0(VALU_DEP_2) | instskip(NEXT) | instid1(VALU_DEP_1)
	v_and_b32_e32 v3, 3, v3
	v_cndmask_b32_e32 v3, v5, v3, vcc_lo
	s_delay_alu instid0(VALU_DEP_3) | instskip(NEXT) | instid1(VALU_DEP_2)
	v_lshl_add_u32 v5, v7, 23, 0x37800000
	v_lshlrev_b32_e32 v3, 21, v3
	s_delay_alu instid0(VALU_DEP_1) | instskip(NEXT) | instid1(VALU_DEP_1)
	v_or3_b32 v1, v1, v5, v3
	v_cvt_i32_f32_e32 v8, v1
.LBB46_2565:
	s_or_b32 exec_lo, exec_lo, s23
	s_mov_b32 s23, 0
	s_branch .LBB46_2571
.LBB46_2566:
	s_mov_b32 s23, -1
                                        ; implicit-def: $vgpr8
	s_branch .LBB46_2577
.LBB46_2567:
	s_and_not1_saveexec_b32 s24, s24
	s_cbranch_execz .LBB46_2552
.LBB46_2568:
	v_cmp_ne_u16_e32 vcc_lo, 0, v1
	s_and_not1_b32 s25, s25, exec_lo
	s_and_b32 s26, vcc_lo, exec_lo
	s_delay_alu instid0(SALU_CYCLE_1)
	s_or_b32 s25, s25, s26
	s_or_b32 exec_lo, exec_lo, s24
	v_mov_b32_e32 v8, 0
	s_and_saveexec_b32 s24, s25
	s_cbranch_execnz .LBB46_2553
	s_branch .LBB46_2554
.LBB46_2569:
	s_mov_b32 s23, -1
                                        ; implicit-def: $vgpr8
	s_branch .LBB46_2574
.LBB46_2570:
	s_mov_b32 s23, -1
                                        ; implicit-def: $vgpr8
.LBB46_2571:
	s_delay_alu instid0(SALU_CYCLE_1)
	s_and_b32 vcc_lo, exec_lo, s23
	s_cbranch_vccz .LBB46_2573
; %bb.2572:
	s_wait_loadcnt 0x0
	global_load_u8 v1, v[12:13], off
	s_wait_loadcnt 0x0
	v_lshlrev_b32_e32 v1, 24, v1
	s_delay_alu instid0(VALU_DEP_1) | instskip(NEXT) | instid1(VALU_DEP_1)
	v_and_b32_e32 v3, 0x7f000000, v1
	v_clz_i32_u32_e32 v5, v3
	v_cmp_ne_u32_e32 vcc_lo, 0, v3
	v_add_nc_u32_e32 v8, 0x1000000, v3
	s_delay_alu instid0(VALU_DEP_3) | instskip(NEXT) | instid1(VALU_DEP_1)
	v_min_u32_e32 v5, 32, v5
	v_sub_nc_u32_e64 v5, v5, 4 clamp
	s_delay_alu instid0(VALU_DEP_1) | instskip(NEXT) | instid1(VALU_DEP_1)
	v_dual_lshlrev_b32 v7, v5, v3 :: v_dual_lshlrev_b32 v5, 23, v5
	v_lshrrev_b32_e32 v7, 4, v7
	s_delay_alu instid0(VALU_DEP_1) | instskip(NEXT) | instid1(VALU_DEP_1)
	v_dual_sub_nc_u32 v5, v7, v5 :: v_dual_ashrrev_i32 v7, 8, v8
	v_add_nc_u32_e32 v5, 0x3c000000, v5
	s_delay_alu instid0(VALU_DEP_1) | instskip(NEXT) | instid1(VALU_DEP_1)
	v_and_or_b32 v5, 0x7f800000, v7, v5
	v_cndmask_b32_e32 v3, 0, v5, vcc_lo
	s_delay_alu instid0(VALU_DEP_1) | instskip(NEXT) | instid1(VALU_DEP_1)
	v_and_or_b32 v1, 0x80000000, v1, v3
	v_cvt_i32_f32_e32 v8, v1
.LBB46_2573:
	s_mov_b32 s23, 0
.LBB46_2574:
	s_delay_alu instid0(SALU_CYCLE_1)
	s_and_not1_b32 vcc_lo, exec_lo, s23
	s_cbranch_vccnz .LBB46_2576
; %bb.2575:
	s_wait_loadcnt 0x0
	global_load_u8 v1, v[12:13], off
	s_wait_loadcnt 0x0
	v_lshlrev_b32_e32 v3, 25, v1
	v_lshlrev_b16 v1, 8, v1
	s_delay_alu instid0(VALU_DEP_1) | instskip(SKIP_1) | instid1(VALU_DEP_2)
	v_and_or_b32 v7, 0x7f00, v1, 0.5
	v_bfe_i32 v1, v1, 0, 16
	v_add_f32_e32 v7, -0.5, v7
	v_lshrrev_b32_e32 v5, 4, v3
	v_cmp_gt_u32_e32 vcc_lo, 0x8000000, v3
	s_delay_alu instid0(VALU_DEP_2) | instskip(NEXT) | instid1(VALU_DEP_1)
	v_or_b32_e32 v5, 0x70000000, v5
	v_mul_f32_e32 v5, 0x7800000, v5
	s_delay_alu instid0(VALU_DEP_1) | instskip(NEXT) | instid1(VALU_DEP_1)
	v_cndmask_b32_e32 v3, v5, v7, vcc_lo
	v_and_or_b32 v1, 0x80000000, v1, v3
	s_delay_alu instid0(VALU_DEP_1)
	v_cvt_i32_f32_e32 v8, v1
.LBB46_2576:
	s_mov_b32 s23, 0
	s_mov_b32 s24, -1
.LBB46_2577:
	s_and_not1_b32 vcc_lo, exec_lo, s23
	s_mov_b32 s23, 0
	s_cbranch_vccnz .LBB46_2588
; %bb.2578:
	s_cmp_gt_i32 s19, 14
	s_cbranch_scc0 .LBB46_2581
; %bb.2579:
	s_cmp_eq_u32 s19, 15
	s_cbranch_scc0 .LBB46_2584
; %bb.2580:
	s_wait_loadcnt 0x0
	global_load_u16 v1, v[12:13], off
	s_mov_b32 s22, 0
	s_mov_b32 s24, -1
	s_wait_loadcnt 0x0
	v_lshlrev_b32_e32 v1, 16, v1
	s_delay_alu instid0(VALU_DEP_1)
	v_cvt_i32_f32_e32 v8, v1
	s_branch .LBB46_2586
.LBB46_2581:
	s_mov_b32 s23, -1
	s_branch .LBB46_2585
.LBB46_2582:
	s_and_not1_saveexec_b32 s23, s23
	s_cbranch_execz .LBB46_2563
.LBB46_2583:
	v_cmp_ne_u16_e32 vcc_lo, 0, v1
	s_and_not1_b32 s24, s24, exec_lo
	s_and_b32 s25, vcc_lo, exec_lo
	s_delay_alu instid0(SALU_CYCLE_1)
	s_or_b32 s24, s24, s25
	s_or_b32 exec_lo, exec_lo, s23
	v_mov_b32_e32 v8, 0
	s_and_saveexec_b32 s23, s24
	s_cbranch_execnz .LBB46_2564
	s_branch .LBB46_2565
.LBB46_2584:
	s_mov_b32 s22, -1
.LBB46_2585:
                                        ; implicit-def: $vgpr8
.LBB46_2586:
	s_and_b32 vcc_lo, exec_lo, s23
	s_mov_b32 s23, 0
	s_cbranch_vccz .LBB46_2588
; %bb.2587:
	s_cmp_lg_u32 s19, 11
	s_mov_b32 s23, -1
	s_cselect_b32 s22, -1, 0
.LBB46_2588:
	s_delay_alu instid0(SALU_CYCLE_1)
	s_and_b32 vcc_lo, exec_lo, s22
	s_cbranch_vccnz .LBB46_2653
; %bb.2589:
	s_and_not1_b32 vcc_lo, exec_lo, s23
	s_cbranch_vccnz .LBB46_2591
.LBB46_2590:
	s_wait_loadcnt 0x0
	global_load_u8 v1, v[12:13], off
	s_mov_b32 s24, -1
	s_wait_loadcnt 0x0
	v_cmp_ne_u16_e32 vcc_lo, 0, v1
	v_cndmask_b32_e64 v8, 0, 1, vcc_lo
.LBB46_2591:
	s_mov_b32 s19, 0
.LBB46_2592:
	s_delay_alu instid0(SALU_CYCLE_1)
	s_and_b32 vcc_lo, exec_lo, s19
	s_cbranch_vccz .LBB46_2641
; %bb.2593:
	s_and_b32 s19, 0xffff, s3
	s_delay_alu instid0(SALU_CYCLE_1)
	s_cmp_lt_i32 s19, 5
	s_cbranch_scc1 .LBB46_2598
; %bb.2594:
	s_cmp_lt_i32 s19, 8
	s_cbranch_scc1 .LBB46_2599
; %bb.2595:
	;; [unrolled: 3-line block ×3, first 2 shown]
	s_cmp_gt_i32 s19, 9
	s_cbranch_scc0 .LBB46_2601
; %bb.2597:
	s_wait_loadcnt 0x0
	global_load_b64 v[8:9], v[12:13], off
	s_mov_b32 s22, 0
	s_wait_loadcnt 0x0
	v_cvt_i32_f64_e32 v8, v[8:9]
	s_branch .LBB46_2602
.LBB46_2598:
	s_mov_b32 s22, -1
                                        ; implicit-def: $vgpr8
	s_branch .LBB46_2620
.LBB46_2599:
	s_mov_b32 s22, -1
                                        ; implicit-def: $vgpr8
	s_branch .LBB46_2608
.LBB46_2600:
	s_mov_b32 s22, -1
                                        ; implicit-def: $vgpr8
	s_branch .LBB46_2605
.LBB46_2601:
	s_mov_b32 s22, -1
                                        ; implicit-def: $vgpr8
.LBB46_2602:
	s_delay_alu instid0(SALU_CYCLE_1)
	s_and_not1_b32 vcc_lo, exec_lo, s22
	s_cbranch_vccnz .LBB46_2604
; %bb.2603:
	s_wait_loadcnt 0x0
	global_load_b32 v1, v[12:13], off
	s_wait_loadcnt 0x0
	v_cvt_i32_f32_e32 v8, v1
.LBB46_2604:
	s_mov_b32 s22, 0
.LBB46_2605:
	s_delay_alu instid0(SALU_CYCLE_1)
	s_and_not1_b32 vcc_lo, exec_lo, s22
	s_cbranch_vccnz .LBB46_2607
; %bb.2606:
	s_wait_loadcnt 0x0
	global_load_b32 v1, v[12:13], off
	s_wait_loadcnt 0x0
	v_cvt_i16_f16_e32 v8, v1
.LBB46_2607:
	s_mov_b32 s22, 0
.LBB46_2608:
	s_delay_alu instid0(SALU_CYCLE_1)
	s_and_not1_b32 vcc_lo, exec_lo, s22
	s_cbranch_vccnz .LBB46_2619
; %bb.2609:
	s_cmp_lt_i32 s19, 6
	s_cbranch_scc1 .LBB46_2612
; %bb.2610:
	s_cmp_gt_i32 s19, 6
	s_cbranch_scc0 .LBB46_2613
; %bb.2611:
	s_wait_loadcnt 0x0
	global_load_b64 v[8:9], v[12:13], off
	s_mov_b32 s22, 0
	s_wait_loadcnt 0x0
	v_cvt_i32_f64_e32 v8, v[8:9]
	s_branch .LBB46_2614
.LBB46_2612:
	s_mov_b32 s22, -1
                                        ; implicit-def: $vgpr8
	s_branch .LBB46_2617
.LBB46_2613:
	s_mov_b32 s22, -1
                                        ; implicit-def: $vgpr8
.LBB46_2614:
	s_delay_alu instid0(SALU_CYCLE_1)
	s_and_not1_b32 vcc_lo, exec_lo, s22
	s_cbranch_vccnz .LBB46_2616
; %bb.2615:
	s_wait_loadcnt 0x0
	global_load_b32 v1, v[12:13], off
	s_wait_loadcnt 0x0
	v_cvt_i32_f32_e32 v8, v1
.LBB46_2616:
	s_mov_b32 s22, 0
.LBB46_2617:
	s_delay_alu instid0(SALU_CYCLE_1)
	s_and_not1_b32 vcc_lo, exec_lo, s22
	s_cbranch_vccnz .LBB46_2619
; %bb.2618:
	s_wait_loadcnt 0x0
	global_load_u16 v1, v[12:13], off
	s_wait_loadcnt 0x0
	v_cvt_i16_f16_e32 v8, v1
.LBB46_2619:
	s_mov_b32 s22, 0
.LBB46_2620:
	s_delay_alu instid0(SALU_CYCLE_1)
	s_and_not1_b32 vcc_lo, exec_lo, s22
	s_cbranch_vccnz .LBB46_2640
; %bb.2621:
	s_cmp_lt_i32 s19, 2
	s_cbranch_scc1 .LBB46_2625
; %bb.2622:
	s_cmp_lt_i32 s19, 3
	s_cbranch_scc1 .LBB46_2626
; %bb.2623:
	s_cmp_gt_i32 s19, 3
	s_cbranch_scc0 .LBB46_2627
; %bb.2624:
	s_wait_loadcnt 0x0
	global_load_b64 v[8:9], v[12:13], off
	s_mov_b32 s22, 0
	s_branch .LBB46_2628
.LBB46_2625:
	s_mov_b32 s22, -1
                                        ; implicit-def: $vgpr8
	s_branch .LBB46_2634
.LBB46_2626:
	s_mov_b32 s22, -1
                                        ; implicit-def: $vgpr8
	s_branch .LBB46_2631
.LBB46_2627:
	s_mov_b32 s22, -1
                                        ; implicit-def: $vgpr8
.LBB46_2628:
	s_delay_alu instid0(SALU_CYCLE_1)
	s_and_not1_b32 vcc_lo, exec_lo, s22
	s_cbranch_vccnz .LBB46_2630
; %bb.2629:
	s_wait_loadcnt 0x0
	global_load_b32 v8, v[12:13], off
.LBB46_2630:
	s_mov_b32 s22, 0
.LBB46_2631:
	s_delay_alu instid0(SALU_CYCLE_1)
	s_and_not1_b32 vcc_lo, exec_lo, s22
	s_cbranch_vccnz .LBB46_2633
; %bb.2632:
	s_wait_loadcnt 0x0
	global_load_u16 v8, v[12:13], off
.LBB46_2633:
	s_mov_b32 s22, 0
.LBB46_2634:
	s_delay_alu instid0(SALU_CYCLE_1)
	s_and_not1_b32 vcc_lo, exec_lo, s22
	s_cbranch_vccnz .LBB46_2640
; %bb.2635:
	s_cmp_gt_i32 s19, 0
	s_mov_b32 s19, 0
	s_cbranch_scc0 .LBB46_2637
; %bb.2636:
	s_wait_loadcnt 0x0
	global_load_u8 v8, v[12:13], off
	s_branch .LBB46_2638
.LBB46_2637:
	s_mov_b32 s19, -1
                                        ; implicit-def: $vgpr8
.LBB46_2638:
	s_delay_alu instid0(SALU_CYCLE_1)
	s_and_not1_b32 vcc_lo, exec_lo, s19
	s_cbranch_vccnz .LBB46_2640
; %bb.2639:
	s_wait_loadcnt 0x0
	global_load_u8 v8, v[12:13], off
.LBB46_2640:
	s_mov_b32 s24, -1
.LBB46_2641:
	s_delay_alu instid0(SALU_CYCLE_1)
	s_and_not1_b32 vcc_lo, exec_lo, s24
	s_cbranch_vccnz .LBB46_3968
; %bb.2642:
	s_lshl_b32 s15, s15, 7
	s_cmp_lt_i32 s17, 11
	v_add_nc_u32_e32 v18, s15, v10
	s_delay_alu instid0(VALU_DEP_1) | instskip(NEXT) | instid1(VALU_DEP_1)
	v_ashrrev_i32_e32 v19, 31, v18
	v_add_nc_u64_e32 v[10:11], s[10:11], v[18:19]
	s_cbranch_scc1 .LBB46_2649
; %bb.2643:
	s_and_b32 s19, 0xffff, s17
	s_mov_b32 s23, 0
	s_cmp_gt_i32 s19, 25
	s_cbranch_scc0 .LBB46_2650
; %bb.2644:
	s_cmp_gt_i32 s19, 28
	s_cbranch_scc0 .LBB46_2651
; %bb.2645:
	;; [unrolled: 3-line block ×4, first 2 shown]
	s_cmp_eq_u32 s19, 46
	s_mov_b32 s25, 0
	s_cbranch_scc0 .LBB46_2657
; %bb.2648:
	s_wait_loadcnt 0x0
	global_load_b32 v1, v[10:11], off
	s_mov_b32 s22, 0
	s_mov_b32 s24, -1
	s_wait_loadcnt 0x0
	v_lshlrev_b32_e32 v1, 16, v1
	s_wait_xcnt 0x1
	s_delay_alu instid0(VALU_DEP_1)
	v_cvt_i32_f32_e32 v12, v1
	s_branch .LBB46_2659
.LBB46_2649:
	s_mov_b32 s19, -1
	s_mov_b32 s24, 0
                                        ; implicit-def: $vgpr12
	s_branch .LBB46_2721
.LBB46_2650:
	s_mov_b32 s25, -1
	s_mov_b32 s24, 0
	s_mov_b32 s22, 0
                                        ; implicit-def: $vgpr12
	s_branch .LBB46_2686
.LBB46_2651:
	s_mov_b32 s25, -1
	s_mov_b32 s24, 0
	s_mov_b32 s22, 0
                                        ; implicit-def: $vgpr12
	s_branch .LBB46_2669
.LBB46_2652:
	s_mov_b32 s25, -1
	s_mov_b32 s24, 0
	s_mov_b32 s22, 0
                                        ; implicit-def: $vgpr12
	s_branch .LBB46_2664
.LBB46_2653:
	s_or_b32 s16, s16, exec_lo
	s_trap 2
	s_cbranch_execz .LBB46_2590
	s_branch .LBB46_2591
.LBB46_2654:
	s_mov_b32 s25, -1
	s_mov_b32 s24, 0
	s_mov_b32 s22, 0
	s_branch .LBB46_2658
.LBB46_2655:
	s_and_not1_saveexec_b32 s41, s41
	s_cbranch_execz .LBB46_1428
.LBB46_2656:
	v_add_f32_e64 v4, 0x46000000, |v3|
	s_and_not1_b32 s40, s40, exec_lo
	s_delay_alu instid0(VALU_DEP_1) | instskip(NEXT) | instid1(VALU_DEP_1)
	v_and_b32_e32 v4, 0xff, v4
	v_cmp_ne_u32_e32 vcc_lo, 0, v4
	s_and_b32 s42, vcc_lo, exec_lo
	s_delay_alu instid0(SALU_CYCLE_1)
	s_or_b32 s40, s40, s42
	s_or_b32 exec_lo, exec_lo, s41
	v_mov_b32_e32 v5, 0
	s_and_saveexec_b32 s41, s40
	s_cbranch_execnz .LBB46_1429
	s_branch .LBB46_1430
.LBB46_2657:
	s_mov_b32 s22, -1
	s_mov_b32 s24, 0
.LBB46_2658:
                                        ; implicit-def: $vgpr12
.LBB46_2659:
	s_and_b32 vcc_lo, exec_lo, s25
	s_cbranch_vccz .LBB46_2663
; %bb.2660:
	s_cmp_eq_u32 s19, 44
	s_cbranch_scc0 .LBB46_2662
; %bb.2661:
	s_wait_loadcnt 0x0
	global_load_u8 v1, v[10:11], off
	s_mov_b32 s22, 0
	s_mov_b32 s24, -1
	s_wait_loadcnt 0x0
	v_lshlrev_b32_e32 v3, 23, v1
	v_cmp_ne_u32_e32 vcc_lo, 0, v1
	s_delay_alu instid0(VALU_DEP_2) | instskip(SKIP_1) | instid1(VALU_DEP_1)
	v_cvt_i32_f32_e32 v3, v3
	s_wait_xcnt 0x1
	v_cndmask_b32_e32 v12, 0, v3, vcc_lo
	s_branch .LBB46_2663
.LBB46_2662:
	s_mov_b32 s22, -1
                                        ; implicit-def: $vgpr12
.LBB46_2663:
	s_mov_b32 s25, 0
.LBB46_2664:
	s_delay_alu instid0(SALU_CYCLE_1)
	s_and_b32 vcc_lo, exec_lo, s25
	s_cbranch_vccz .LBB46_2668
; %bb.2665:
	s_cmp_eq_u32 s19, 29
	s_cbranch_scc0 .LBB46_2667
; %bb.2666:
	global_load_b64 v[12:13], v[10:11], off
	s_mov_b32 s22, 0
	s_mov_b32 s24, -1
	s_branch .LBB46_2668
.LBB46_2667:
	s_mov_b32 s22, -1
                                        ; implicit-def: $vgpr12
.LBB46_2668:
	s_mov_b32 s25, 0
.LBB46_2669:
	s_delay_alu instid0(SALU_CYCLE_1)
	s_and_b32 vcc_lo, exec_lo, s25
	s_cbranch_vccz .LBB46_2685
; %bb.2670:
	s_cmp_lt_i32 s19, 27
	s_cbranch_scc1 .LBB46_2673
; %bb.2671:
	s_cmp_gt_i32 s19, 27
	s_cbranch_scc0 .LBB46_2674
; %bb.2672:
	s_wait_loadcnt 0x0
	global_load_b32 v12, v[10:11], off
	s_mov_b32 s24, 0
	s_branch .LBB46_2675
.LBB46_2673:
	s_mov_b32 s24, -1
                                        ; implicit-def: $vgpr12
	s_branch .LBB46_2678
.LBB46_2674:
	s_mov_b32 s24, -1
                                        ; implicit-def: $vgpr12
.LBB46_2675:
	s_delay_alu instid0(SALU_CYCLE_1)
	s_and_not1_b32 vcc_lo, exec_lo, s24
	s_cbranch_vccnz .LBB46_2677
; %bb.2676:
	s_wait_loadcnt 0x0
	global_load_u16 v12, v[10:11], off
.LBB46_2677:
	s_mov_b32 s24, 0
.LBB46_2678:
	s_delay_alu instid0(SALU_CYCLE_1)
	s_and_not1_b32 vcc_lo, exec_lo, s24
	s_cbranch_vccnz .LBB46_2684
; %bb.2679:
	s_wait_loadcnt 0x0
	global_load_u8 v1, v[10:11], off
	s_mov_b32 s25, 0
	s_mov_b32 s24, exec_lo
	s_wait_loadcnt 0x0
	v_cmpx_lt_i16_e32 0x7f, v1
	s_xor_b32 s24, exec_lo, s24
	s_cbranch_execz .LBB46_2696
; %bb.2680:
	v_cmp_ne_u16_e32 vcc_lo, 0x80, v1
	s_and_b32 s25, vcc_lo, exec_lo
	s_and_not1_saveexec_b32 s24, s24
	s_cbranch_execnz .LBB46_2697
.LBB46_2681:
	s_or_b32 exec_lo, exec_lo, s24
	v_mov_b32_e32 v12, 0
	s_and_saveexec_b32 s24, s25
	s_cbranch_execz .LBB46_2683
.LBB46_2682:
	v_and_b32_e32 v3, 0xffff, v1
	s_delay_alu instid0(VALU_DEP_1) | instskip(SKIP_1) | instid1(VALU_DEP_2)
	v_dual_lshlrev_b32 v1, 24, v1 :: v_dual_bitop2_b32 v5, 7, v3 bitop3:0x40
	v_bfe_u32 v12, v3, 3, 4
	v_and_b32_e32 v1, 0x80000000, v1
	s_delay_alu instid0(VALU_DEP_3) | instskip(NEXT) | instid1(VALU_DEP_3)
	v_clz_i32_u32_e32 v7, v5
	v_cmp_eq_u32_e32 vcc_lo, 0, v12
	s_delay_alu instid0(VALU_DEP_2) | instskip(NEXT) | instid1(VALU_DEP_1)
	v_min_u32_e32 v7, 32, v7
	v_subrev_nc_u32_e32 v9, 28, v7
	v_sub_nc_u32_e32 v7, 29, v7
	s_delay_alu instid0(VALU_DEP_2) | instskip(NEXT) | instid1(VALU_DEP_2)
	v_lshlrev_b32_e32 v3, v9, v3
	v_cndmask_b32_e32 v7, v12, v7, vcc_lo
	s_delay_alu instid0(VALU_DEP_2) | instskip(NEXT) | instid1(VALU_DEP_1)
	v_and_b32_e32 v3, 7, v3
	v_cndmask_b32_e32 v3, v5, v3, vcc_lo
	s_delay_alu instid0(VALU_DEP_3) | instskip(NEXT) | instid1(VALU_DEP_2)
	v_lshl_add_u32 v5, v7, 23, 0x3b800000
	v_lshlrev_b32_e32 v3, 20, v3
	s_delay_alu instid0(VALU_DEP_1) | instskip(NEXT) | instid1(VALU_DEP_1)
	v_or3_b32 v1, v1, v5, v3
	v_cvt_i32_f32_e32 v12, v1
.LBB46_2683:
	s_or_b32 exec_lo, exec_lo, s24
.LBB46_2684:
	s_mov_b32 s24, -1
.LBB46_2685:
	s_mov_b32 s25, 0
.LBB46_2686:
	s_delay_alu instid0(SALU_CYCLE_1)
	s_and_b32 vcc_lo, exec_lo, s25
	s_cbranch_vccz .LBB46_2717
; %bb.2687:
	s_cmp_gt_i32 s19, 22
	s_cbranch_scc0 .LBB46_2695
; %bb.2688:
	s_cmp_lt_i32 s19, 24
	s_cbranch_scc1 .LBB46_2698
; %bb.2689:
	s_cmp_gt_i32 s19, 24
	s_cbranch_scc0 .LBB46_2699
; %bb.2690:
	s_wait_loadcnt 0x0
	global_load_u8 v1, v[10:11], off
	s_mov_b32 s24, 0
	s_mov_b32 s23, exec_lo
	s_wait_loadcnt 0x0
	v_cmpx_lt_i16_e32 0x7f, v1
	s_xor_b32 s23, exec_lo, s23
	s_cbranch_execz .LBB46_2711
; %bb.2691:
	v_cmp_ne_u16_e32 vcc_lo, 0x80, v1
	s_and_b32 s24, vcc_lo, exec_lo
	s_and_not1_saveexec_b32 s23, s23
	s_cbranch_execnz .LBB46_2712
.LBB46_2692:
	s_or_b32 exec_lo, exec_lo, s23
	v_mov_b32_e32 v12, 0
	s_and_saveexec_b32 s23, s24
	s_cbranch_execz .LBB46_2694
.LBB46_2693:
	v_and_b32_e32 v3, 0xffff, v1
	s_delay_alu instid0(VALU_DEP_1) | instskip(SKIP_1) | instid1(VALU_DEP_2)
	v_dual_lshlrev_b32 v1, 24, v1 :: v_dual_bitop2_b32 v5, 3, v3 bitop3:0x40
	v_bfe_u32 v12, v3, 2, 5
	v_and_b32_e32 v1, 0x80000000, v1
	s_delay_alu instid0(VALU_DEP_3) | instskip(NEXT) | instid1(VALU_DEP_3)
	v_clz_i32_u32_e32 v7, v5
	v_cmp_eq_u32_e32 vcc_lo, 0, v12
	s_delay_alu instid0(VALU_DEP_2) | instskip(NEXT) | instid1(VALU_DEP_1)
	v_min_u32_e32 v7, 32, v7
	v_subrev_nc_u32_e32 v9, 29, v7
	v_sub_nc_u32_e32 v7, 30, v7
	s_delay_alu instid0(VALU_DEP_2) | instskip(NEXT) | instid1(VALU_DEP_2)
	v_lshlrev_b32_e32 v3, v9, v3
	v_cndmask_b32_e32 v7, v12, v7, vcc_lo
	s_delay_alu instid0(VALU_DEP_2) | instskip(NEXT) | instid1(VALU_DEP_1)
	v_and_b32_e32 v3, 3, v3
	v_cndmask_b32_e32 v3, v5, v3, vcc_lo
	s_delay_alu instid0(VALU_DEP_3) | instskip(NEXT) | instid1(VALU_DEP_2)
	v_lshl_add_u32 v5, v7, 23, 0x37800000
	v_lshlrev_b32_e32 v3, 21, v3
	s_delay_alu instid0(VALU_DEP_1) | instskip(NEXT) | instid1(VALU_DEP_1)
	v_or3_b32 v1, v1, v5, v3
	v_cvt_i32_f32_e32 v12, v1
.LBB46_2694:
	s_or_b32 exec_lo, exec_lo, s23
	s_mov_b32 s23, 0
	s_branch .LBB46_2700
.LBB46_2695:
	s_mov_b32 s23, -1
                                        ; implicit-def: $vgpr12
	s_branch .LBB46_2706
.LBB46_2696:
	s_and_not1_saveexec_b32 s24, s24
	s_cbranch_execz .LBB46_2681
.LBB46_2697:
	v_cmp_ne_u16_e32 vcc_lo, 0, v1
	s_and_not1_b32 s25, s25, exec_lo
	s_and_b32 s26, vcc_lo, exec_lo
	s_delay_alu instid0(SALU_CYCLE_1)
	s_or_b32 s25, s25, s26
	s_or_b32 exec_lo, exec_lo, s24
	v_mov_b32_e32 v12, 0
	s_and_saveexec_b32 s24, s25
	s_cbranch_execnz .LBB46_2682
	s_branch .LBB46_2683
.LBB46_2698:
	s_mov_b32 s23, -1
                                        ; implicit-def: $vgpr12
	s_branch .LBB46_2703
.LBB46_2699:
	s_mov_b32 s23, -1
                                        ; implicit-def: $vgpr12
.LBB46_2700:
	s_delay_alu instid0(SALU_CYCLE_1)
	s_and_b32 vcc_lo, exec_lo, s23
	s_cbranch_vccz .LBB46_2702
; %bb.2701:
	s_wait_loadcnt 0x0
	global_load_u8 v1, v[10:11], off
	s_wait_loadcnt 0x0
	v_lshlrev_b32_e32 v1, 24, v1
	s_delay_alu instid0(VALU_DEP_1) | instskip(NEXT) | instid1(VALU_DEP_1)
	v_and_b32_e32 v3, 0x7f000000, v1
	v_clz_i32_u32_e32 v5, v3
	v_add_nc_u32_e32 v9, 0x1000000, v3
	v_cmp_ne_u32_e32 vcc_lo, 0, v3
	s_delay_alu instid0(VALU_DEP_3) | instskip(NEXT) | instid1(VALU_DEP_1)
	v_min_u32_e32 v5, 32, v5
	v_sub_nc_u32_e64 v5, v5, 4 clamp
	s_delay_alu instid0(VALU_DEP_1) | instskip(NEXT) | instid1(VALU_DEP_1)
	v_dual_lshlrev_b32 v7, v5, v3 :: v_dual_lshlrev_b32 v5, 23, v5
	v_lshrrev_b32_e32 v7, 4, v7
	s_delay_alu instid0(VALU_DEP_1) | instskip(SKIP_1) | instid1(VALU_DEP_2)
	v_sub_nc_u32_e32 v5, v7, v5
	v_ashrrev_i32_e32 v7, 8, v9
	v_add_nc_u32_e32 v5, 0x3c000000, v5
	s_delay_alu instid0(VALU_DEP_1) | instskip(NEXT) | instid1(VALU_DEP_1)
	v_and_or_b32 v5, 0x7f800000, v7, v5
	v_cndmask_b32_e32 v3, 0, v5, vcc_lo
	s_delay_alu instid0(VALU_DEP_1) | instskip(SKIP_1) | instid1(VALU_DEP_1)
	v_and_or_b32 v1, 0x80000000, v1, v3
	s_wait_xcnt 0x1
	v_cvt_i32_f32_e32 v12, v1
.LBB46_2702:
	s_mov_b32 s23, 0
.LBB46_2703:
	s_delay_alu instid0(SALU_CYCLE_1)
	s_and_not1_b32 vcc_lo, exec_lo, s23
	s_cbranch_vccnz .LBB46_2705
; %bb.2704:
	s_wait_loadcnt 0x0
	global_load_u8 v1, v[10:11], off
	s_wait_loadcnt 0x0
	v_lshlrev_b32_e32 v3, 25, v1
	v_lshlrev_b16 v1, 8, v1
	s_delay_alu instid0(VALU_DEP_1) | instskip(SKIP_1) | instid1(VALU_DEP_2)
	v_and_or_b32 v7, 0x7f00, v1, 0.5
	v_bfe_i32 v1, v1, 0, 16
	v_add_f32_e32 v7, -0.5, v7
	v_lshrrev_b32_e32 v5, 4, v3
	v_cmp_gt_u32_e32 vcc_lo, 0x8000000, v3
	s_delay_alu instid0(VALU_DEP_2) | instskip(NEXT) | instid1(VALU_DEP_1)
	v_or_b32_e32 v5, 0x70000000, v5
	v_mul_f32_e32 v5, 0x7800000, v5
	s_delay_alu instid0(VALU_DEP_1) | instskip(NEXT) | instid1(VALU_DEP_1)
	v_cndmask_b32_e32 v3, v5, v7, vcc_lo
	v_and_or_b32 v1, 0x80000000, v1, v3
	s_wait_xcnt 0x1
	s_delay_alu instid0(VALU_DEP_1)
	v_cvt_i32_f32_e32 v12, v1
.LBB46_2705:
	s_mov_b32 s23, 0
	s_mov_b32 s24, -1
.LBB46_2706:
	s_and_not1_b32 vcc_lo, exec_lo, s23
	s_mov_b32 s23, 0
	s_cbranch_vccnz .LBB46_2717
; %bb.2707:
	s_cmp_gt_i32 s19, 14
	s_cbranch_scc0 .LBB46_2710
; %bb.2708:
	s_cmp_eq_u32 s19, 15
	s_cbranch_scc0 .LBB46_2713
; %bb.2709:
	s_wait_loadcnt 0x0
	global_load_u16 v1, v[10:11], off
	s_mov_b32 s22, 0
	s_mov_b32 s24, -1
	s_wait_loadcnt 0x0
	v_lshlrev_b32_e32 v1, 16, v1
	s_wait_xcnt 0x1
	s_delay_alu instid0(VALU_DEP_1)
	v_cvt_i32_f32_e32 v12, v1
	s_branch .LBB46_2715
.LBB46_2710:
	s_mov_b32 s23, -1
	s_branch .LBB46_2714
.LBB46_2711:
	s_and_not1_saveexec_b32 s23, s23
	s_cbranch_execz .LBB46_2692
.LBB46_2712:
	v_cmp_ne_u16_e32 vcc_lo, 0, v1
	s_and_not1_b32 s24, s24, exec_lo
	s_and_b32 s25, vcc_lo, exec_lo
	s_delay_alu instid0(SALU_CYCLE_1)
	s_or_b32 s24, s24, s25
	s_or_b32 exec_lo, exec_lo, s23
	v_mov_b32_e32 v12, 0
	s_and_saveexec_b32 s23, s24
	s_cbranch_execnz .LBB46_2693
	s_branch .LBB46_2694
.LBB46_2713:
	s_mov_b32 s22, -1
.LBB46_2714:
                                        ; implicit-def: $vgpr12
.LBB46_2715:
	s_and_b32 vcc_lo, exec_lo, s23
	s_mov_b32 s23, 0
	s_cbranch_vccz .LBB46_2717
; %bb.2716:
	s_cmp_lg_u32 s19, 11
	s_mov_b32 s23, -1
	s_cselect_b32 s22, -1, 0
.LBB46_2717:
	s_delay_alu instid0(SALU_CYCLE_1)
	s_and_b32 vcc_lo, exec_lo, s22
	s_cbranch_vccnz .LBB46_2782
; %bb.2718:
	s_and_not1_b32 vcc_lo, exec_lo, s23
	s_cbranch_vccnz .LBB46_2720
.LBB46_2719:
	s_wait_loadcnt 0x0
	global_load_u8 v1, v[10:11], off
	s_mov_b32 s24, -1
	s_wait_loadcnt 0x0
	v_cmp_ne_u16_e32 vcc_lo, 0, v1
	s_wait_xcnt 0x1
	v_cndmask_b32_e64 v12, 0, 1, vcc_lo
.LBB46_2720:
	s_mov_b32 s19, 0
.LBB46_2721:
	s_delay_alu instid0(SALU_CYCLE_1)
	s_and_b32 vcc_lo, exec_lo, s19
	s_cbranch_vccz .LBB46_2770
; %bb.2722:
	s_and_b32 s19, 0xffff, s17
	s_delay_alu instid0(SALU_CYCLE_1)
	s_cmp_lt_i32 s19, 5
	s_cbranch_scc1 .LBB46_2727
; %bb.2723:
	s_cmp_lt_i32 s19, 8
	s_cbranch_scc1 .LBB46_2728
; %bb.2724:
	;; [unrolled: 3-line block ×3, first 2 shown]
	s_cmp_gt_i32 s19, 9
	s_cbranch_scc0 .LBB46_2730
; %bb.2726:
	s_wait_loadcnt 0x0
	global_load_b64 v[12:13], v[10:11], off
	s_mov_b32 s22, 0
	s_wait_loadcnt 0x0
	v_cvt_i32_f64_e32 v12, v[12:13]
	s_branch .LBB46_2731
.LBB46_2727:
	s_mov_b32 s22, -1
                                        ; implicit-def: $vgpr12
	s_branch .LBB46_2749
.LBB46_2728:
	s_mov_b32 s22, -1
                                        ; implicit-def: $vgpr12
	s_branch .LBB46_2737
.LBB46_2729:
	s_mov_b32 s22, -1
                                        ; implicit-def: $vgpr12
	s_branch .LBB46_2734
.LBB46_2730:
	s_mov_b32 s22, -1
                                        ; implicit-def: $vgpr12
.LBB46_2731:
	s_delay_alu instid0(SALU_CYCLE_1)
	s_and_not1_b32 vcc_lo, exec_lo, s22
	s_cbranch_vccnz .LBB46_2733
; %bb.2732:
	s_wait_loadcnt 0x0
	global_load_b32 v1, v[10:11], off
	s_wait_loadcnt 0x0
	s_wait_xcnt 0x1
	v_cvt_i32_f32_e32 v12, v1
.LBB46_2733:
	s_mov_b32 s22, 0
.LBB46_2734:
	s_delay_alu instid0(SALU_CYCLE_1)
	s_and_not1_b32 vcc_lo, exec_lo, s22
	s_cbranch_vccnz .LBB46_2736
; %bb.2735:
	s_wait_loadcnt 0x0
	global_load_b32 v1, v[10:11], off
	s_wait_loadcnt 0x0
	s_wait_xcnt 0x1
	v_cvt_i16_f16_e32 v12, v1
.LBB46_2736:
	s_mov_b32 s22, 0
.LBB46_2737:
	s_delay_alu instid0(SALU_CYCLE_1)
	s_and_not1_b32 vcc_lo, exec_lo, s22
	s_cbranch_vccnz .LBB46_2748
; %bb.2738:
	s_cmp_lt_i32 s19, 6
	s_cbranch_scc1 .LBB46_2741
; %bb.2739:
	s_cmp_gt_i32 s19, 6
	s_cbranch_scc0 .LBB46_2742
; %bb.2740:
	s_wait_loadcnt 0x0
	global_load_b64 v[12:13], v[10:11], off
	s_mov_b32 s22, 0
	s_wait_loadcnt 0x0
	v_cvt_i32_f64_e32 v12, v[12:13]
	s_branch .LBB46_2743
.LBB46_2741:
	s_mov_b32 s22, -1
                                        ; implicit-def: $vgpr12
	s_branch .LBB46_2746
.LBB46_2742:
	s_mov_b32 s22, -1
                                        ; implicit-def: $vgpr12
.LBB46_2743:
	s_delay_alu instid0(SALU_CYCLE_1)
	s_and_not1_b32 vcc_lo, exec_lo, s22
	s_cbranch_vccnz .LBB46_2745
; %bb.2744:
	s_wait_loadcnt 0x0
	global_load_b32 v1, v[10:11], off
	s_wait_loadcnt 0x0
	s_wait_xcnt 0x1
	v_cvt_i32_f32_e32 v12, v1
.LBB46_2745:
	s_mov_b32 s22, 0
.LBB46_2746:
	s_delay_alu instid0(SALU_CYCLE_1)
	s_and_not1_b32 vcc_lo, exec_lo, s22
	s_cbranch_vccnz .LBB46_2748
; %bb.2747:
	s_wait_loadcnt 0x0
	global_load_u16 v1, v[10:11], off
	s_wait_loadcnt 0x0
	s_wait_xcnt 0x1
	v_cvt_i16_f16_e32 v12, v1
.LBB46_2748:
	s_mov_b32 s22, 0
.LBB46_2749:
	s_delay_alu instid0(SALU_CYCLE_1)
	s_and_not1_b32 vcc_lo, exec_lo, s22
	s_cbranch_vccnz .LBB46_2769
; %bb.2750:
	s_cmp_lt_i32 s19, 2
	s_cbranch_scc1 .LBB46_2754
; %bb.2751:
	s_cmp_lt_i32 s19, 3
	s_cbranch_scc1 .LBB46_2755
; %bb.2752:
	s_cmp_gt_i32 s19, 3
	s_cbranch_scc0 .LBB46_2756
; %bb.2753:
	s_wait_loadcnt 0x0
	global_load_b64 v[12:13], v[10:11], off
	s_mov_b32 s22, 0
	s_branch .LBB46_2757
.LBB46_2754:
	s_mov_b32 s22, -1
                                        ; implicit-def: $vgpr12
	s_branch .LBB46_2763
.LBB46_2755:
	s_mov_b32 s22, -1
                                        ; implicit-def: $vgpr12
	s_branch .LBB46_2760
.LBB46_2756:
	s_mov_b32 s22, -1
                                        ; implicit-def: $vgpr12
.LBB46_2757:
	s_delay_alu instid0(SALU_CYCLE_1)
	s_and_not1_b32 vcc_lo, exec_lo, s22
	s_cbranch_vccnz .LBB46_2759
; %bb.2758:
	s_wait_loadcnt 0x0
	global_load_b32 v12, v[10:11], off
.LBB46_2759:
	s_mov_b32 s22, 0
.LBB46_2760:
	s_delay_alu instid0(SALU_CYCLE_1)
	s_and_not1_b32 vcc_lo, exec_lo, s22
	s_cbranch_vccnz .LBB46_2762
; %bb.2761:
	s_wait_loadcnt 0x0
	global_load_u16 v12, v[10:11], off
.LBB46_2762:
	s_mov_b32 s22, 0
.LBB46_2763:
	s_delay_alu instid0(SALU_CYCLE_1)
	s_and_not1_b32 vcc_lo, exec_lo, s22
	s_cbranch_vccnz .LBB46_2769
; %bb.2764:
	s_cmp_gt_i32 s19, 0
	s_mov_b32 s19, 0
	s_cbranch_scc0 .LBB46_2766
; %bb.2765:
	s_wait_loadcnt 0x0
	global_load_u8 v12, v[10:11], off
	s_branch .LBB46_2767
.LBB46_2766:
	s_mov_b32 s19, -1
                                        ; implicit-def: $vgpr12
.LBB46_2767:
	s_delay_alu instid0(SALU_CYCLE_1)
	s_and_not1_b32 vcc_lo, exec_lo, s19
	s_cbranch_vccnz .LBB46_2769
; %bb.2768:
	s_wait_loadcnt 0x0
	global_load_u8 v12, v[10:11], off
.LBB46_2769:
	s_mov_b32 s24, -1
.LBB46_2770:
	s_delay_alu instid0(SALU_CYCLE_1)
	s_and_not1_b32 vcc_lo, exec_lo, s24
	s_cbranch_vccnz .LBB46_3968
; %bb.2771:
	v_add_nc_u32_e32 v20, s13, v14
	s_cmp_lt_i32 s0, 11
	s_delay_alu instid0(VALU_DEP_1) | instskip(NEXT) | instid1(VALU_DEP_1)
	v_ashrrev_i32_e32 v21, 31, v20
	v_add_nc_u64_e32 v[14:15], s[6:7], v[20:21]
	s_cbranch_scc1 .LBB46_2778
; %bb.2772:
	s_and_b32 s19, 0xffff, s0
	s_mov_b32 s23, 0
	s_cmp_gt_i32 s19, 25
	s_cbranch_scc0 .LBB46_2779
; %bb.2773:
	s_cmp_gt_i32 s19, 28
	s_cbranch_scc0 .LBB46_2780
; %bb.2774:
	;; [unrolled: 3-line block ×4, first 2 shown]
	s_cmp_eq_u32 s19, 46
	s_mov_b32 s25, 0
	s_cbranch_scc0 .LBB46_2786
; %bb.2777:
	s_wait_loadcnt 0x0
	global_load_b32 v1, v[14:15], off
	s_mov_b32 s22, 0
	s_mov_b32 s24, -1
	s_wait_loadcnt 0x0
	v_lshlrev_b32_e32 v1, 16, v1
	s_wait_xcnt 0x1
	s_delay_alu instid0(VALU_DEP_1)
	v_cvt_i32_f32_e32 v10, v1
	s_branch .LBB46_2788
.LBB46_2778:
	s_mov_b32 s19, -1
	s_mov_b32 s24, 0
                                        ; implicit-def: $vgpr10
	s_branch .LBB46_2850
.LBB46_2779:
	s_mov_b32 s25, -1
	s_mov_b32 s24, 0
	s_mov_b32 s22, 0
                                        ; implicit-def: $vgpr10
	s_branch .LBB46_2815
.LBB46_2780:
	s_mov_b32 s25, -1
	s_mov_b32 s24, 0
	s_mov_b32 s22, 0
                                        ; implicit-def: $vgpr10
	s_branch .LBB46_2798
.LBB46_2781:
	s_mov_b32 s25, -1
	s_mov_b32 s24, 0
	s_mov_b32 s22, 0
                                        ; implicit-def: $vgpr10
	s_branch .LBB46_2793
.LBB46_2782:
	s_or_b32 s16, s16, exec_lo
	s_trap 2
	s_cbranch_execz .LBB46_2719
	s_branch .LBB46_2720
.LBB46_2783:
	s_mov_b32 s25, -1
	s_mov_b32 s24, 0
	s_mov_b32 s22, 0
	s_branch .LBB46_2787
.LBB46_2784:
	s_and_not1_saveexec_b32 s41, s41
	s_cbranch_execz .LBB46_1441
.LBB46_2785:
	v_add_f32_e64 v4, 0x42800000, |v3|
	s_and_not1_b32 s40, s40, exec_lo
	s_delay_alu instid0(VALU_DEP_1) | instskip(NEXT) | instid1(VALU_DEP_1)
	v_and_b32_e32 v4, 0xff, v4
	v_cmp_ne_u32_e32 vcc_lo, 0, v4
	s_and_b32 s42, vcc_lo, exec_lo
	s_delay_alu instid0(SALU_CYCLE_1)
	s_or_b32 s40, s40, s42
	s_or_b32 exec_lo, exec_lo, s41
	v_mov_b32_e32 v5, 0
	s_and_saveexec_b32 s41, s40
	s_cbranch_execnz .LBB46_1442
	s_branch .LBB46_1443
.LBB46_2786:
	s_mov_b32 s22, -1
	s_mov_b32 s24, 0
.LBB46_2787:
                                        ; implicit-def: $vgpr10
.LBB46_2788:
	s_and_b32 vcc_lo, exec_lo, s25
	s_cbranch_vccz .LBB46_2792
; %bb.2789:
	s_cmp_eq_u32 s19, 44
	s_cbranch_scc0 .LBB46_2791
; %bb.2790:
	s_wait_loadcnt 0x0
	global_load_u8 v1, v[14:15], off
	s_mov_b32 s22, 0
	s_mov_b32 s24, -1
	s_wait_loadcnt 0x0
	v_lshlrev_b32_e32 v3, 23, v1
	v_cmp_ne_u32_e32 vcc_lo, 0, v1
	s_delay_alu instid0(VALU_DEP_2) | instskip(SKIP_1) | instid1(VALU_DEP_1)
	v_cvt_i32_f32_e32 v3, v3
	s_wait_xcnt 0x1
	v_cndmask_b32_e32 v10, 0, v3, vcc_lo
	s_branch .LBB46_2792
.LBB46_2791:
	s_mov_b32 s22, -1
                                        ; implicit-def: $vgpr10
.LBB46_2792:
	s_mov_b32 s25, 0
.LBB46_2793:
	s_delay_alu instid0(SALU_CYCLE_1)
	s_and_b32 vcc_lo, exec_lo, s25
	s_cbranch_vccz .LBB46_2797
; %bb.2794:
	s_cmp_eq_u32 s19, 29
	s_cbranch_scc0 .LBB46_2796
; %bb.2795:
	global_load_b64 v[10:11], v[14:15], off
	s_mov_b32 s22, 0
	s_mov_b32 s24, -1
	s_branch .LBB46_2797
.LBB46_2796:
	s_mov_b32 s22, -1
                                        ; implicit-def: $vgpr10
.LBB46_2797:
	s_mov_b32 s25, 0
.LBB46_2798:
	s_delay_alu instid0(SALU_CYCLE_1)
	s_and_b32 vcc_lo, exec_lo, s25
	s_cbranch_vccz .LBB46_2814
; %bb.2799:
	s_cmp_lt_i32 s19, 27
	s_cbranch_scc1 .LBB46_2802
; %bb.2800:
	s_cmp_gt_i32 s19, 27
	s_cbranch_scc0 .LBB46_2803
; %bb.2801:
	s_wait_loadcnt 0x0
	global_load_b32 v10, v[14:15], off
	s_mov_b32 s24, 0
	s_branch .LBB46_2804
.LBB46_2802:
	s_mov_b32 s24, -1
                                        ; implicit-def: $vgpr10
	s_branch .LBB46_2807
.LBB46_2803:
	s_mov_b32 s24, -1
                                        ; implicit-def: $vgpr10
.LBB46_2804:
	s_delay_alu instid0(SALU_CYCLE_1)
	s_and_not1_b32 vcc_lo, exec_lo, s24
	s_cbranch_vccnz .LBB46_2806
; %bb.2805:
	s_wait_loadcnt 0x0
	global_load_u16 v10, v[14:15], off
.LBB46_2806:
	s_mov_b32 s24, 0
.LBB46_2807:
	s_delay_alu instid0(SALU_CYCLE_1)
	s_and_not1_b32 vcc_lo, exec_lo, s24
	s_cbranch_vccnz .LBB46_2813
; %bb.2808:
	s_wait_loadcnt 0x0
	global_load_u8 v1, v[14:15], off
	s_mov_b32 s25, 0
	s_mov_b32 s24, exec_lo
	s_wait_loadcnt 0x0
	v_cmpx_lt_i16_e32 0x7f, v1
	s_xor_b32 s24, exec_lo, s24
	s_cbranch_execz .LBB46_2825
; %bb.2809:
	v_cmp_ne_u16_e32 vcc_lo, 0x80, v1
	s_and_b32 s25, vcc_lo, exec_lo
	s_and_not1_saveexec_b32 s24, s24
	s_cbranch_execnz .LBB46_2826
.LBB46_2810:
	s_or_b32 exec_lo, exec_lo, s24
	v_mov_b32_e32 v10, 0
	s_and_saveexec_b32 s24, s25
	s_cbranch_execz .LBB46_2812
.LBB46_2811:
	v_and_b32_e32 v3, 0xffff, v1
	s_delay_alu instid0(VALU_DEP_1) | instskip(SKIP_1) | instid1(VALU_DEP_2)
	v_dual_lshlrev_b32 v1, 24, v1 :: v_dual_bitop2_b32 v5, 7, v3 bitop3:0x40
	v_bfe_u32 v10, v3, 3, 4
	v_and_b32_e32 v1, 0x80000000, v1
	s_delay_alu instid0(VALU_DEP_3) | instskip(NEXT) | instid1(VALU_DEP_3)
	v_clz_i32_u32_e32 v7, v5
	v_cmp_eq_u32_e32 vcc_lo, 0, v10
	s_delay_alu instid0(VALU_DEP_2) | instskip(NEXT) | instid1(VALU_DEP_1)
	v_min_u32_e32 v7, 32, v7
	v_subrev_nc_u32_e32 v9, 28, v7
	v_sub_nc_u32_e32 v7, 29, v7
	s_delay_alu instid0(VALU_DEP_2) | instskip(NEXT) | instid1(VALU_DEP_2)
	v_lshlrev_b32_e32 v3, v9, v3
	v_cndmask_b32_e32 v7, v10, v7, vcc_lo
	s_delay_alu instid0(VALU_DEP_2) | instskip(NEXT) | instid1(VALU_DEP_1)
	v_and_b32_e32 v3, 7, v3
	v_cndmask_b32_e32 v3, v5, v3, vcc_lo
	s_delay_alu instid0(VALU_DEP_3) | instskip(NEXT) | instid1(VALU_DEP_2)
	v_lshl_add_u32 v5, v7, 23, 0x3b800000
	v_lshlrev_b32_e32 v3, 20, v3
	s_delay_alu instid0(VALU_DEP_1) | instskip(NEXT) | instid1(VALU_DEP_1)
	v_or3_b32 v1, v1, v5, v3
	v_cvt_i32_f32_e32 v10, v1
.LBB46_2812:
	s_or_b32 exec_lo, exec_lo, s24
.LBB46_2813:
	s_mov_b32 s24, -1
.LBB46_2814:
	s_mov_b32 s25, 0
.LBB46_2815:
	s_delay_alu instid0(SALU_CYCLE_1)
	s_and_b32 vcc_lo, exec_lo, s25
	s_cbranch_vccz .LBB46_2846
; %bb.2816:
	s_cmp_gt_i32 s19, 22
	s_cbranch_scc0 .LBB46_2824
; %bb.2817:
	s_cmp_lt_i32 s19, 24
	s_cbranch_scc1 .LBB46_2827
; %bb.2818:
	s_cmp_gt_i32 s19, 24
	s_cbranch_scc0 .LBB46_2828
; %bb.2819:
	s_wait_loadcnt 0x0
	global_load_u8 v1, v[14:15], off
	s_mov_b32 s24, 0
	s_mov_b32 s23, exec_lo
	s_wait_loadcnt 0x0
	v_cmpx_lt_i16_e32 0x7f, v1
	s_xor_b32 s23, exec_lo, s23
	s_cbranch_execz .LBB46_2840
; %bb.2820:
	v_cmp_ne_u16_e32 vcc_lo, 0x80, v1
	s_and_b32 s24, vcc_lo, exec_lo
	s_and_not1_saveexec_b32 s23, s23
	s_cbranch_execnz .LBB46_2841
.LBB46_2821:
	s_or_b32 exec_lo, exec_lo, s23
	v_mov_b32_e32 v10, 0
	s_and_saveexec_b32 s23, s24
	s_cbranch_execz .LBB46_2823
.LBB46_2822:
	v_and_b32_e32 v3, 0xffff, v1
	s_delay_alu instid0(VALU_DEP_1) | instskip(SKIP_1) | instid1(VALU_DEP_2)
	v_dual_lshlrev_b32 v1, 24, v1 :: v_dual_bitop2_b32 v5, 3, v3 bitop3:0x40
	v_bfe_u32 v10, v3, 2, 5
	v_and_b32_e32 v1, 0x80000000, v1
	s_delay_alu instid0(VALU_DEP_3) | instskip(NEXT) | instid1(VALU_DEP_3)
	v_clz_i32_u32_e32 v7, v5
	v_cmp_eq_u32_e32 vcc_lo, 0, v10
	s_delay_alu instid0(VALU_DEP_2) | instskip(NEXT) | instid1(VALU_DEP_1)
	v_min_u32_e32 v7, 32, v7
	v_subrev_nc_u32_e32 v9, 29, v7
	v_sub_nc_u32_e32 v7, 30, v7
	s_delay_alu instid0(VALU_DEP_2) | instskip(NEXT) | instid1(VALU_DEP_2)
	v_lshlrev_b32_e32 v3, v9, v3
	v_cndmask_b32_e32 v7, v10, v7, vcc_lo
	s_delay_alu instid0(VALU_DEP_2) | instskip(NEXT) | instid1(VALU_DEP_1)
	v_and_b32_e32 v3, 3, v3
	v_cndmask_b32_e32 v3, v5, v3, vcc_lo
	s_delay_alu instid0(VALU_DEP_3) | instskip(NEXT) | instid1(VALU_DEP_2)
	v_lshl_add_u32 v5, v7, 23, 0x37800000
	v_lshlrev_b32_e32 v3, 21, v3
	s_delay_alu instid0(VALU_DEP_1) | instskip(NEXT) | instid1(VALU_DEP_1)
	v_or3_b32 v1, v1, v5, v3
	v_cvt_i32_f32_e32 v10, v1
.LBB46_2823:
	s_or_b32 exec_lo, exec_lo, s23
	s_mov_b32 s23, 0
	s_branch .LBB46_2829
.LBB46_2824:
	s_mov_b32 s23, -1
                                        ; implicit-def: $vgpr10
	s_branch .LBB46_2835
.LBB46_2825:
	s_and_not1_saveexec_b32 s24, s24
	s_cbranch_execz .LBB46_2810
.LBB46_2826:
	v_cmp_ne_u16_e32 vcc_lo, 0, v1
	s_and_not1_b32 s25, s25, exec_lo
	s_and_b32 s26, vcc_lo, exec_lo
	s_delay_alu instid0(SALU_CYCLE_1)
	s_or_b32 s25, s25, s26
	s_or_b32 exec_lo, exec_lo, s24
	v_mov_b32_e32 v10, 0
	s_and_saveexec_b32 s24, s25
	s_cbranch_execnz .LBB46_2811
	s_branch .LBB46_2812
.LBB46_2827:
	s_mov_b32 s23, -1
                                        ; implicit-def: $vgpr10
	s_branch .LBB46_2832
.LBB46_2828:
	s_mov_b32 s23, -1
                                        ; implicit-def: $vgpr10
.LBB46_2829:
	s_delay_alu instid0(SALU_CYCLE_1)
	s_and_b32 vcc_lo, exec_lo, s23
	s_cbranch_vccz .LBB46_2831
; %bb.2830:
	s_wait_loadcnt 0x0
	global_load_u8 v1, v[14:15], off
	s_wait_loadcnt 0x0
	v_lshlrev_b32_e32 v1, 24, v1
	s_delay_alu instid0(VALU_DEP_1) | instskip(NEXT) | instid1(VALU_DEP_1)
	v_and_b32_e32 v3, 0x7f000000, v1
	v_clz_i32_u32_e32 v5, v3
	v_add_nc_u32_e32 v9, 0x1000000, v3
	v_cmp_ne_u32_e32 vcc_lo, 0, v3
	s_delay_alu instid0(VALU_DEP_3) | instskip(NEXT) | instid1(VALU_DEP_1)
	v_min_u32_e32 v5, 32, v5
	v_sub_nc_u32_e64 v5, v5, 4 clamp
	s_delay_alu instid0(VALU_DEP_1) | instskip(NEXT) | instid1(VALU_DEP_1)
	v_dual_lshlrev_b32 v7, v5, v3 :: v_dual_lshlrev_b32 v5, 23, v5
	v_lshrrev_b32_e32 v7, 4, v7
	s_delay_alu instid0(VALU_DEP_1) | instskip(SKIP_1) | instid1(VALU_DEP_2)
	v_sub_nc_u32_e32 v5, v7, v5
	v_ashrrev_i32_e32 v7, 8, v9
	v_add_nc_u32_e32 v5, 0x3c000000, v5
	s_delay_alu instid0(VALU_DEP_1) | instskip(NEXT) | instid1(VALU_DEP_1)
	v_and_or_b32 v5, 0x7f800000, v7, v5
	v_cndmask_b32_e32 v3, 0, v5, vcc_lo
	s_delay_alu instid0(VALU_DEP_1) | instskip(SKIP_1) | instid1(VALU_DEP_1)
	v_and_or_b32 v1, 0x80000000, v1, v3
	s_wait_xcnt 0x1
	v_cvt_i32_f32_e32 v10, v1
.LBB46_2831:
	s_mov_b32 s23, 0
.LBB46_2832:
	s_delay_alu instid0(SALU_CYCLE_1)
	s_and_not1_b32 vcc_lo, exec_lo, s23
	s_cbranch_vccnz .LBB46_2834
; %bb.2833:
	s_wait_loadcnt 0x0
	global_load_u8 v1, v[14:15], off
	s_wait_loadcnt 0x0
	v_lshlrev_b32_e32 v3, 25, v1
	v_lshlrev_b16 v1, 8, v1
	s_delay_alu instid0(VALU_DEP_1) | instskip(SKIP_1) | instid1(VALU_DEP_2)
	v_and_or_b32 v7, 0x7f00, v1, 0.5
	v_bfe_i32 v1, v1, 0, 16
	v_add_f32_e32 v7, -0.5, v7
	v_lshrrev_b32_e32 v5, 4, v3
	v_cmp_gt_u32_e32 vcc_lo, 0x8000000, v3
	s_delay_alu instid0(VALU_DEP_2) | instskip(NEXT) | instid1(VALU_DEP_1)
	v_or_b32_e32 v5, 0x70000000, v5
	v_mul_f32_e32 v5, 0x7800000, v5
	s_delay_alu instid0(VALU_DEP_1) | instskip(NEXT) | instid1(VALU_DEP_1)
	v_cndmask_b32_e32 v3, v5, v7, vcc_lo
	v_and_or_b32 v1, 0x80000000, v1, v3
	s_wait_xcnt 0x1
	s_delay_alu instid0(VALU_DEP_1)
	v_cvt_i32_f32_e32 v10, v1
.LBB46_2834:
	s_mov_b32 s23, 0
	s_mov_b32 s24, -1
.LBB46_2835:
	s_and_not1_b32 vcc_lo, exec_lo, s23
	s_mov_b32 s23, 0
	s_cbranch_vccnz .LBB46_2846
; %bb.2836:
	s_cmp_gt_i32 s19, 14
	s_cbranch_scc0 .LBB46_2839
; %bb.2837:
	s_cmp_eq_u32 s19, 15
	s_cbranch_scc0 .LBB46_2842
; %bb.2838:
	s_wait_loadcnt 0x0
	global_load_u16 v1, v[14:15], off
	s_mov_b32 s22, 0
	s_mov_b32 s24, -1
	s_wait_loadcnt 0x0
	v_lshlrev_b32_e32 v1, 16, v1
	s_wait_xcnt 0x1
	s_delay_alu instid0(VALU_DEP_1)
	v_cvt_i32_f32_e32 v10, v1
	s_branch .LBB46_2844
.LBB46_2839:
	s_mov_b32 s23, -1
	s_branch .LBB46_2843
.LBB46_2840:
	s_and_not1_saveexec_b32 s23, s23
	s_cbranch_execz .LBB46_2821
.LBB46_2841:
	v_cmp_ne_u16_e32 vcc_lo, 0, v1
	s_and_not1_b32 s24, s24, exec_lo
	s_and_b32 s25, vcc_lo, exec_lo
	s_delay_alu instid0(SALU_CYCLE_1)
	s_or_b32 s24, s24, s25
	s_or_b32 exec_lo, exec_lo, s23
	v_mov_b32_e32 v10, 0
	s_and_saveexec_b32 s23, s24
	s_cbranch_execnz .LBB46_2822
	s_branch .LBB46_2823
.LBB46_2842:
	s_mov_b32 s22, -1
.LBB46_2843:
                                        ; implicit-def: $vgpr10
.LBB46_2844:
	s_and_b32 vcc_lo, exec_lo, s23
	s_mov_b32 s23, 0
	s_cbranch_vccz .LBB46_2846
; %bb.2845:
	s_cmp_lg_u32 s19, 11
	s_mov_b32 s23, -1
	s_cselect_b32 s22, -1, 0
.LBB46_2846:
	s_delay_alu instid0(SALU_CYCLE_1)
	s_and_b32 vcc_lo, exec_lo, s22
	s_cbranch_vccnz .LBB46_2911
; %bb.2847:
	s_and_not1_b32 vcc_lo, exec_lo, s23
	s_cbranch_vccnz .LBB46_2849
.LBB46_2848:
	s_wait_loadcnt 0x0
	global_load_u8 v1, v[14:15], off
	s_mov_b32 s24, -1
	s_wait_loadcnt 0x0
	v_cmp_ne_u16_e32 vcc_lo, 0, v1
	s_wait_xcnt 0x1
	v_cndmask_b32_e64 v10, 0, 1, vcc_lo
.LBB46_2849:
	s_mov_b32 s19, 0
.LBB46_2850:
	s_delay_alu instid0(SALU_CYCLE_1)
	s_and_b32 vcc_lo, exec_lo, s19
	s_cbranch_vccz .LBB46_2899
; %bb.2851:
	s_and_b32 s19, 0xffff, s0
	s_delay_alu instid0(SALU_CYCLE_1)
	s_cmp_lt_i32 s19, 5
	s_cbranch_scc1 .LBB46_2856
; %bb.2852:
	s_cmp_lt_i32 s19, 8
	s_cbranch_scc1 .LBB46_2857
; %bb.2853:
	;; [unrolled: 3-line block ×3, first 2 shown]
	s_cmp_gt_i32 s19, 9
	s_cbranch_scc0 .LBB46_2859
; %bb.2855:
	s_wait_loadcnt 0x0
	global_load_b64 v[10:11], v[14:15], off
	s_mov_b32 s22, 0
	s_wait_loadcnt 0x0
	v_cvt_i32_f64_e32 v10, v[10:11]
	s_branch .LBB46_2860
.LBB46_2856:
	s_mov_b32 s22, -1
                                        ; implicit-def: $vgpr10
	s_branch .LBB46_2878
.LBB46_2857:
	s_mov_b32 s22, -1
                                        ; implicit-def: $vgpr10
	s_branch .LBB46_2866
.LBB46_2858:
	s_mov_b32 s22, -1
                                        ; implicit-def: $vgpr10
	s_branch .LBB46_2863
.LBB46_2859:
	s_mov_b32 s22, -1
                                        ; implicit-def: $vgpr10
.LBB46_2860:
	s_delay_alu instid0(SALU_CYCLE_1)
	s_and_not1_b32 vcc_lo, exec_lo, s22
	s_cbranch_vccnz .LBB46_2862
; %bb.2861:
	s_wait_loadcnt 0x0
	global_load_b32 v1, v[14:15], off
	s_wait_loadcnt 0x0
	s_wait_xcnt 0x1
	v_cvt_i32_f32_e32 v10, v1
.LBB46_2862:
	s_mov_b32 s22, 0
.LBB46_2863:
	s_delay_alu instid0(SALU_CYCLE_1)
	s_and_not1_b32 vcc_lo, exec_lo, s22
	s_cbranch_vccnz .LBB46_2865
; %bb.2864:
	s_wait_loadcnt 0x0
	global_load_b32 v1, v[14:15], off
	s_wait_loadcnt 0x0
	s_wait_xcnt 0x1
	v_cvt_i16_f16_e32 v10, v1
.LBB46_2865:
	s_mov_b32 s22, 0
.LBB46_2866:
	s_delay_alu instid0(SALU_CYCLE_1)
	s_and_not1_b32 vcc_lo, exec_lo, s22
	s_cbranch_vccnz .LBB46_2877
; %bb.2867:
	s_cmp_lt_i32 s19, 6
	s_cbranch_scc1 .LBB46_2870
; %bb.2868:
	s_cmp_gt_i32 s19, 6
	s_cbranch_scc0 .LBB46_2871
; %bb.2869:
	s_wait_loadcnt 0x0
	global_load_b64 v[10:11], v[14:15], off
	s_mov_b32 s22, 0
	s_wait_loadcnt 0x0
	v_cvt_i32_f64_e32 v10, v[10:11]
	s_branch .LBB46_2872
.LBB46_2870:
	s_mov_b32 s22, -1
                                        ; implicit-def: $vgpr10
	s_branch .LBB46_2875
.LBB46_2871:
	s_mov_b32 s22, -1
                                        ; implicit-def: $vgpr10
.LBB46_2872:
	s_delay_alu instid0(SALU_CYCLE_1)
	s_and_not1_b32 vcc_lo, exec_lo, s22
	s_cbranch_vccnz .LBB46_2874
; %bb.2873:
	s_wait_loadcnt 0x0
	global_load_b32 v1, v[14:15], off
	s_wait_loadcnt 0x0
	s_wait_xcnt 0x1
	v_cvt_i32_f32_e32 v10, v1
.LBB46_2874:
	s_mov_b32 s22, 0
.LBB46_2875:
	s_delay_alu instid0(SALU_CYCLE_1)
	s_and_not1_b32 vcc_lo, exec_lo, s22
	s_cbranch_vccnz .LBB46_2877
; %bb.2876:
	s_wait_loadcnt 0x0
	global_load_u16 v1, v[14:15], off
	s_wait_loadcnt 0x0
	s_wait_xcnt 0x1
	v_cvt_i16_f16_e32 v10, v1
.LBB46_2877:
	s_mov_b32 s22, 0
.LBB46_2878:
	s_delay_alu instid0(SALU_CYCLE_1)
	s_and_not1_b32 vcc_lo, exec_lo, s22
	s_cbranch_vccnz .LBB46_2898
; %bb.2879:
	s_cmp_lt_i32 s19, 2
	s_cbranch_scc1 .LBB46_2883
; %bb.2880:
	s_cmp_lt_i32 s19, 3
	s_cbranch_scc1 .LBB46_2884
; %bb.2881:
	s_cmp_gt_i32 s19, 3
	s_cbranch_scc0 .LBB46_2885
; %bb.2882:
	s_wait_loadcnt 0x0
	global_load_b64 v[10:11], v[14:15], off
	s_mov_b32 s22, 0
	s_branch .LBB46_2886
.LBB46_2883:
	s_mov_b32 s22, -1
                                        ; implicit-def: $vgpr10
	s_branch .LBB46_2892
.LBB46_2884:
	s_mov_b32 s22, -1
                                        ; implicit-def: $vgpr10
	s_branch .LBB46_2889
.LBB46_2885:
	s_mov_b32 s22, -1
                                        ; implicit-def: $vgpr10
.LBB46_2886:
	s_delay_alu instid0(SALU_CYCLE_1)
	s_and_not1_b32 vcc_lo, exec_lo, s22
	s_cbranch_vccnz .LBB46_2888
; %bb.2887:
	s_wait_loadcnt 0x0
	global_load_b32 v10, v[14:15], off
.LBB46_2888:
	s_mov_b32 s22, 0
.LBB46_2889:
	s_delay_alu instid0(SALU_CYCLE_1)
	s_and_not1_b32 vcc_lo, exec_lo, s22
	s_cbranch_vccnz .LBB46_2891
; %bb.2890:
	s_wait_loadcnt 0x0
	global_load_u16 v10, v[14:15], off
.LBB46_2891:
	s_mov_b32 s22, 0
.LBB46_2892:
	s_delay_alu instid0(SALU_CYCLE_1)
	s_and_not1_b32 vcc_lo, exec_lo, s22
	s_cbranch_vccnz .LBB46_2898
; %bb.2893:
	s_cmp_gt_i32 s19, 0
	s_mov_b32 s19, 0
	s_cbranch_scc0 .LBB46_2895
; %bb.2894:
	s_wait_loadcnt 0x0
	global_load_u8 v10, v[14:15], off
	s_branch .LBB46_2896
.LBB46_2895:
	s_mov_b32 s19, -1
                                        ; implicit-def: $vgpr10
.LBB46_2896:
	s_delay_alu instid0(SALU_CYCLE_1)
	s_and_not1_b32 vcc_lo, exec_lo, s19
	s_cbranch_vccnz .LBB46_2898
; %bb.2897:
	s_wait_loadcnt 0x0
	global_load_u8 v10, v[14:15], off
.LBB46_2898:
	s_mov_b32 s24, -1
.LBB46_2899:
	s_delay_alu instid0(SALU_CYCLE_1)
	s_and_not1_b32 vcc_lo, exec_lo, s24
	s_cbranch_vccnz .LBB46_3968
; %bb.2900:
	v_add_nc_u32_e32 v22, s14, v16
	s_cmp_lt_i32 s3, 11
	s_delay_alu instid0(VALU_DEP_1) | instskip(NEXT) | instid1(VALU_DEP_1)
	v_ashrrev_i32_e32 v23, 31, v22
	v_add_nc_u64_e32 v[16:17], s[8:9], v[22:23]
	s_cbranch_scc1 .LBB46_2907
; %bb.2901:
	s_and_b32 s19, 0xffff, s3
	s_mov_b32 s23, 0
	s_cmp_gt_i32 s19, 25
	s_cbranch_scc0 .LBB46_2908
; %bb.2902:
	s_cmp_gt_i32 s19, 28
	s_cbranch_scc0 .LBB46_2909
; %bb.2903:
	;; [unrolled: 3-line block ×4, first 2 shown]
	s_cmp_eq_u32 s19, 46
	s_mov_b32 s25, 0
	s_cbranch_scc0 .LBB46_2913
; %bb.2906:
	s_wait_loadcnt 0x0
	global_load_b32 v1, v[16:17], off
	s_mov_b32 s22, 0
	s_mov_b32 s24, -1
	s_wait_loadcnt 0x0
	v_lshlrev_b32_e32 v1, 16, v1
	s_wait_xcnt 0x1
	s_delay_alu instid0(VALU_DEP_1)
	v_cvt_i32_f32_e32 v14, v1
	s_branch .LBB46_2915
.LBB46_2907:
	s_mov_b32 s19, -1
	s_mov_b32 s24, 0
                                        ; implicit-def: $vgpr14
	s_branch .LBB46_2977
.LBB46_2908:
	s_mov_b32 s25, -1
	s_mov_b32 s24, 0
	s_mov_b32 s22, 0
                                        ; implicit-def: $vgpr14
	s_branch .LBB46_2942
.LBB46_2909:
	s_mov_b32 s25, -1
	s_mov_b32 s24, 0
	s_mov_b32 s22, 0
                                        ; implicit-def: $vgpr14
	s_branch .LBB46_2925
.LBB46_2910:
	s_mov_b32 s25, -1
	s_mov_b32 s24, 0
	s_mov_b32 s22, 0
                                        ; implicit-def: $vgpr14
	s_branch .LBB46_2920
.LBB46_2911:
	s_or_b32 s16, s16, exec_lo
	s_trap 2
	s_cbranch_execz .LBB46_2848
	s_branch .LBB46_2849
.LBB46_2912:
	s_mov_b32 s25, -1
	s_mov_b32 s24, 0
	s_mov_b32 s22, 0
	s_branch .LBB46_2914
.LBB46_2913:
	s_mov_b32 s22, -1
	s_mov_b32 s24, 0
.LBB46_2914:
                                        ; implicit-def: $vgpr14
.LBB46_2915:
	s_and_b32 vcc_lo, exec_lo, s25
	s_cbranch_vccz .LBB46_2919
; %bb.2916:
	s_cmp_eq_u32 s19, 44
	s_cbranch_scc0 .LBB46_2918
; %bb.2917:
	s_wait_loadcnt 0x0
	global_load_u8 v1, v[16:17], off
	s_mov_b32 s22, 0
	s_mov_b32 s24, -1
	s_wait_loadcnt 0x0
	v_lshlrev_b32_e32 v3, 23, v1
	v_cmp_ne_u32_e32 vcc_lo, 0, v1
	s_delay_alu instid0(VALU_DEP_2) | instskip(SKIP_1) | instid1(VALU_DEP_1)
	v_cvt_i32_f32_e32 v3, v3
	s_wait_xcnt 0x1
	v_cndmask_b32_e32 v14, 0, v3, vcc_lo
	s_branch .LBB46_2919
.LBB46_2918:
	s_mov_b32 s22, -1
                                        ; implicit-def: $vgpr14
.LBB46_2919:
	s_mov_b32 s25, 0
.LBB46_2920:
	s_delay_alu instid0(SALU_CYCLE_1)
	s_and_b32 vcc_lo, exec_lo, s25
	s_cbranch_vccz .LBB46_2924
; %bb.2921:
	s_cmp_eq_u32 s19, 29
	s_cbranch_scc0 .LBB46_2923
; %bb.2922:
	global_load_b64 v[14:15], v[16:17], off
	s_mov_b32 s22, 0
	s_mov_b32 s24, -1
	s_branch .LBB46_2924
.LBB46_2923:
	s_mov_b32 s22, -1
                                        ; implicit-def: $vgpr14
.LBB46_2924:
	s_mov_b32 s25, 0
.LBB46_2925:
	s_delay_alu instid0(SALU_CYCLE_1)
	s_and_b32 vcc_lo, exec_lo, s25
	s_cbranch_vccz .LBB46_2941
; %bb.2926:
	s_cmp_lt_i32 s19, 27
	s_cbranch_scc1 .LBB46_2929
; %bb.2927:
	s_cmp_gt_i32 s19, 27
	s_cbranch_scc0 .LBB46_2930
; %bb.2928:
	s_wait_loadcnt 0x0
	global_load_b32 v14, v[16:17], off
	s_mov_b32 s24, 0
	s_branch .LBB46_2931
.LBB46_2929:
	s_mov_b32 s24, -1
                                        ; implicit-def: $vgpr14
	s_branch .LBB46_2934
.LBB46_2930:
	s_mov_b32 s24, -1
                                        ; implicit-def: $vgpr14
.LBB46_2931:
	s_delay_alu instid0(SALU_CYCLE_1)
	s_and_not1_b32 vcc_lo, exec_lo, s24
	s_cbranch_vccnz .LBB46_2933
; %bb.2932:
	s_wait_loadcnt 0x0
	global_load_u16 v14, v[16:17], off
.LBB46_2933:
	s_mov_b32 s24, 0
.LBB46_2934:
	s_delay_alu instid0(SALU_CYCLE_1)
	s_and_not1_b32 vcc_lo, exec_lo, s24
	s_cbranch_vccnz .LBB46_2940
; %bb.2935:
	s_wait_loadcnt 0x0
	global_load_u8 v1, v[16:17], off
	s_mov_b32 s25, 0
	s_mov_b32 s24, exec_lo
	s_wait_loadcnt 0x0
	v_cmpx_lt_i16_e32 0x7f, v1
	s_xor_b32 s24, exec_lo, s24
	s_cbranch_execz .LBB46_2952
; %bb.2936:
	v_cmp_ne_u16_e32 vcc_lo, 0x80, v1
	s_and_b32 s25, vcc_lo, exec_lo
	s_and_not1_saveexec_b32 s24, s24
	s_cbranch_execnz .LBB46_2953
.LBB46_2937:
	s_or_b32 exec_lo, exec_lo, s24
	v_mov_b32_e32 v14, 0
	s_and_saveexec_b32 s24, s25
	s_cbranch_execz .LBB46_2939
.LBB46_2938:
	v_and_b32_e32 v3, 0xffff, v1
	s_delay_alu instid0(VALU_DEP_1) | instskip(SKIP_1) | instid1(VALU_DEP_2)
	v_dual_lshlrev_b32 v1, 24, v1 :: v_dual_bitop2_b32 v5, 7, v3 bitop3:0x40
	v_bfe_u32 v11, v3, 3, 4
	v_and_b32_e32 v1, 0x80000000, v1
	s_delay_alu instid0(VALU_DEP_3) | instskip(NEXT) | instid1(VALU_DEP_3)
	v_clz_i32_u32_e32 v7, v5
	v_cmp_eq_u32_e32 vcc_lo, 0, v11
	s_delay_alu instid0(VALU_DEP_2) | instskip(NEXT) | instid1(VALU_DEP_1)
	v_min_u32_e32 v7, 32, v7
	v_subrev_nc_u32_e32 v9, 28, v7
	v_sub_nc_u32_e32 v7, 29, v7
	s_delay_alu instid0(VALU_DEP_2) | instskip(NEXT) | instid1(VALU_DEP_2)
	v_lshlrev_b32_e32 v3, v9, v3
	v_cndmask_b32_e32 v7, v11, v7, vcc_lo
	s_delay_alu instid0(VALU_DEP_2) | instskip(NEXT) | instid1(VALU_DEP_1)
	v_and_b32_e32 v3, 7, v3
	v_cndmask_b32_e32 v3, v5, v3, vcc_lo
	s_delay_alu instid0(VALU_DEP_3) | instskip(NEXT) | instid1(VALU_DEP_2)
	v_lshl_add_u32 v5, v7, 23, 0x3b800000
	v_lshlrev_b32_e32 v3, 20, v3
	s_delay_alu instid0(VALU_DEP_1) | instskip(NEXT) | instid1(VALU_DEP_1)
	v_or3_b32 v1, v1, v5, v3
	v_cvt_i32_f32_e32 v14, v1
.LBB46_2939:
	s_or_b32 exec_lo, exec_lo, s24
.LBB46_2940:
	s_mov_b32 s24, -1
.LBB46_2941:
	s_mov_b32 s25, 0
.LBB46_2942:
	s_delay_alu instid0(SALU_CYCLE_1)
	s_and_b32 vcc_lo, exec_lo, s25
	s_cbranch_vccz .LBB46_2973
; %bb.2943:
	s_cmp_gt_i32 s19, 22
	s_cbranch_scc0 .LBB46_2951
; %bb.2944:
	s_cmp_lt_i32 s19, 24
	s_cbranch_scc1 .LBB46_2954
; %bb.2945:
	s_cmp_gt_i32 s19, 24
	s_cbranch_scc0 .LBB46_2955
; %bb.2946:
	s_wait_loadcnt 0x0
	global_load_u8 v1, v[16:17], off
	s_mov_b32 s24, 0
	s_mov_b32 s23, exec_lo
	s_wait_loadcnt 0x0
	v_cmpx_lt_i16_e32 0x7f, v1
	s_xor_b32 s23, exec_lo, s23
	s_cbranch_execz .LBB46_2967
; %bb.2947:
	v_cmp_ne_u16_e32 vcc_lo, 0x80, v1
	s_and_b32 s24, vcc_lo, exec_lo
	s_and_not1_saveexec_b32 s23, s23
	s_cbranch_execnz .LBB46_2968
.LBB46_2948:
	s_or_b32 exec_lo, exec_lo, s23
	v_mov_b32_e32 v14, 0
	s_and_saveexec_b32 s23, s24
	s_cbranch_execz .LBB46_2950
.LBB46_2949:
	v_and_b32_e32 v3, 0xffff, v1
	s_delay_alu instid0(VALU_DEP_1) | instskip(SKIP_1) | instid1(VALU_DEP_2)
	v_dual_lshlrev_b32 v1, 24, v1 :: v_dual_bitop2_b32 v5, 3, v3 bitop3:0x40
	v_bfe_u32 v11, v3, 2, 5
	v_and_b32_e32 v1, 0x80000000, v1
	s_delay_alu instid0(VALU_DEP_3) | instskip(NEXT) | instid1(VALU_DEP_3)
	v_clz_i32_u32_e32 v7, v5
	v_cmp_eq_u32_e32 vcc_lo, 0, v11
	s_delay_alu instid0(VALU_DEP_2) | instskip(NEXT) | instid1(VALU_DEP_1)
	v_min_u32_e32 v7, 32, v7
	v_subrev_nc_u32_e32 v9, 29, v7
	v_sub_nc_u32_e32 v7, 30, v7
	s_delay_alu instid0(VALU_DEP_2) | instskip(NEXT) | instid1(VALU_DEP_2)
	v_lshlrev_b32_e32 v3, v9, v3
	v_cndmask_b32_e32 v7, v11, v7, vcc_lo
	s_delay_alu instid0(VALU_DEP_2) | instskip(NEXT) | instid1(VALU_DEP_1)
	v_and_b32_e32 v3, 3, v3
	v_cndmask_b32_e32 v3, v5, v3, vcc_lo
	s_delay_alu instid0(VALU_DEP_3) | instskip(NEXT) | instid1(VALU_DEP_2)
	v_lshl_add_u32 v5, v7, 23, 0x37800000
	v_lshlrev_b32_e32 v3, 21, v3
	s_delay_alu instid0(VALU_DEP_1) | instskip(NEXT) | instid1(VALU_DEP_1)
	v_or3_b32 v1, v1, v5, v3
	v_cvt_i32_f32_e32 v14, v1
.LBB46_2950:
	s_or_b32 exec_lo, exec_lo, s23
	s_mov_b32 s23, 0
	s_branch .LBB46_2956
.LBB46_2951:
	s_mov_b32 s23, -1
                                        ; implicit-def: $vgpr14
	s_branch .LBB46_2962
.LBB46_2952:
	s_and_not1_saveexec_b32 s24, s24
	s_cbranch_execz .LBB46_2937
.LBB46_2953:
	v_cmp_ne_u16_e32 vcc_lo, 0, v1
	s_and_not1_b32 s25, s25, exec_lo
	s_and_b32 s26, vcc_lo, exec_lo
	s_delay_alu instid0(SALU_CYCLE_1)
	s_or_b32 s25, s25, s26
	s_or_b32 exec_lo, exec_lo, s24
	v_mov_b32_e32 v14, 0
	s_and_saveexec_b32 s24, s25
	s_cbranch_execnz .LBB46_2938
	s_branch .LBB46_2939
.LBB46_2954:
	s_mov_b32 s23, -1
                                        ; implicit-def: $vgpr14
	s_branch .LBB46_2959
.LBB46_2955:
	s_mov_b32 s23, -1
                                        ; implicit-def: $vgpr14
.LBB46_2956:
	s_delay_alu instid0(SALU_CYCLE_1)
	s_and_b32 vcc_lo, exec_lo, s23
	s_cbranch_vccz .LBB46_2958
; %bb.2957:
	s_wait_loadcnt 0x0
	global_load_u8 v1, v[16:17], off
	s_wait_loadcnt 0x0
	v_lshlrev_b32_e32 v1, 24, v1
	s_delay_alu instid0(VALU_DEP_1) | instskip(NEXT) | instid1(VALU_DEP_1)
	v_and_b32_e32 v3, 0x7f000000, v1
	v_clz_i32_u32_e32 v5, v3
	v_add_nc_u32_e32 v9, 0x1000000, v3
	v_cmp_ne_u32_e32 vcc_lo, 0, v3
	s_delay_alu instid0(VALU_DEP_3) | instskip(NEXT) | instid1(VALU_DEP_1)
	v_min_u32_e32 v5, 32, v5
	v_sub_nc_u32_e64 v5, v5, 4 clamp
	s_delay_alu instid0(VALU_DEP_1) | instskip(NEXT) | instid1(VALU_DEP_1)
	v_dual_lshlrev_b32 v7, v5, v3 :: v_dual_lshlrev_b32 v5, 23, v5
	v_lshrrev_b32_e32 v7, 4, v7
	s_delay_alu instid0(VALU_DEP_1) | instskip(SKIP_1) | instid1(VALU_DEP_2)
	v_sub_nc_u32_e32 v5, v7, v5
	v_ashrrev_i32_e32 v7, 8, v9
	v_add_nc_u32_e32 v5, 0x3c000000, v5
	s_delay_alu instid0(VALU_DEP_1) | instskip(NEXT) | instid1(VALU_DEP_1)
	v_and_or_b32 v5, 0x7f800000, v7, v5
	v_cndmask_b32_e32 v3, 0, v5, vcc_lo
	s_delay_alu instid0(VALU_DEP_1) | instskip(SKIP_1) | instid1(VALU_DEP_1)
	v_and_or_b32 v1, 0x80000000, v1, v3
	s_wait_xcnt 0x1
	v_cvt_i32_f32_e32 v14, v1
.LBB46_2958:
	s_mov_b32 s23, 0
.LBB46_2959:
	s_delay_alu instid0(SALU_CYCLE_1)
	s_and_not1_b32 vcc_lo, exec_lo, s23
	s_cbranch_vccnz .LBB46_2961
; %bb.2960:
	s_wait_loadcnt 0x0
	global_load_u8 v1, v[16:17], off
	s_wait_loadcnt 0x0
	v_lshlrev_b32_e32 v3, 25, v1
	v_lshlrev_b16 v1, 8, v1
	s_delay_alu instid0(VALU_DEP_1) | instskip(SKIP_1) | instid1(VALU_DEP_2)
	v_and_or_b32 v7, 0x7f00, v1, 0.5
	v_bfe_i32 v1, v1, 0, 16
	v_add_f32_e32 v7, -0.5, v7
	v_lshrrev_b32_e32 v5, 4, v3
	v_cmp_gt_u32_e32 vcc_lo, 0x8000000, v3
	s_delay_alu instid0(VALU_DEP_2) | instskip(NEXT) | instid1(VALU_DEP_1)
	v_or_b32_e32 v5, 0x70000000, v5
	v_mul_f32_e32 v5, 0x7800000, v5
	s_delay_alu instid0(VALU_DEP_1) | instskip(NEXT) | instid1(VALU_DEP_1)
	v_cndmask_b32_e32 v3, v5, v7, vcc_lo
	v_and_or_b32 v1, 0x80000000, v1, v3
	s_wait_xcnt 0x1
	s_delay_alu instid0(VALU_DEP_1)
	v_cvt_i32_f32_e32 v14, v1
.LBB46_2961:
	s_mov_b32 s23, 0
	s_mov_b32 s24, -1
.LBB46_2962:
	s_and_not1_b32 vcc_lo, exec_lo, s23
	s_mov_b32 s23, 0
	s_cbranch_vccnz .LBB46_2973
; %bb.2963:
	s_cmp_gt_i32 s19, 14
	s_cbranch_scc0 .LBB46_2966
; %bb.2964:
	s_cmp_eq_u32 s19, 15
	s_cbranch_scc0 .LBB46_2969
; %bb.2965:
	s_wait_loadcnt 0x0
	global_load_u16 v1, v[16:17], off
	s_mov_b32 s22, 0
	s_mov_b32 s24, -1
	s_wait_loadcnt 0x0
	v_lshlrev_b32_e32 v1, 16, v1
	s_wait_xcnt 0x1
	s_delay_alu instid0(VALU_DEP_1)
	v_cvt_i32_f32_e32 v14, v1
	s_branch .LBB46_2971
.LBB46_2966:
	s_mov_b32 s23, -1
	s_branch .LBB46_2970
.LBB46_2967:
	s_and_not1_saveexec_b32 s23, s23
	s_cbranch_execz .LBB46_2948
.LBB46_2968:
	v_cmp_ne_u16_e32 vcc_lo, 0, v1
	s_and_not1_b32 s24, s24, exec_lo
	s_and_b32 s25, vcc_lo, exec_lo
	s_delay_alu instid0(SALU_CYCLE_1)
	s_or_b32 s24, s24, s25
	s_or_b32 exec_lo, exec_lo, s23
	v_mov_b32_e32 v14, 0
	s_and_saveexec_b32 s23, s24
	s_cbranch_execnz .LBB46_2949
	s_branch .LBB46_2950
.LBB46_2969:
	s_mov_b32 s22, -1
.LBB46_2970:
                                        ; implicit-def: $vgpr14
.LBB46_2971:
	s_and_b32 vcc_lo, exec_lo, s23
	s_mov_b32 s23, 0
	s_cbranch_vccz .LBB46_2973
; %bb.2972:
	s_cmp_lg_u32 s19, 11
	s_mov_b32 s23, -1
	s_cselect_b32 s22, -1, 0
.LBB46_2973:
	s_delay_alu instid0(SALU_CYCLE_1)
	s_and_b32 vcc_lo, exec_lo, s22
	s_cbranch_vccnz .LBB46_3038
; %bb.2974:
	s_and_not1_b32 vcc_lo, exec_lo, s23
	s_cbranch_vccnz .LBB46_2976
.LBB46_2975:
	s_wait_loadcnt 0x0
	global_load_u8 v1, v[16:17], off
	s_mov_b32 s24, -1
	s_wait_loadcnt 0x0
	v_cmp_ne_u16_e32 vcc_lo, 0, v1
	s_wait_xcnt 0x1
	v_cndmask_b32_e64 v14, 0, 1, vcc_lo
.LBB46_2976:
	s_mov_b32 s19, 0
.LBB46_2977:
	s_delay_alu instid0(SALU_CYCLE_1)
	s_and_b32 vcc_lo, exec_lo, s19
	s_cbranch_vccz .LBB46_3026
; %bb.2978:
	s_and_b32 s19, 0xffff, s3
	s_delay_alu instid0(SALU_CYCLE_1)
	s_cmp_lt_i32 s19, 5
	s_cbranch_scc1 .LBB46_2983
; %bb.2979:
	s_cmp_lt_i32 s19, 8
	s_cbranch_scc1 .LBB46_2984
; %bb.2980:
	;; [unrolled: 3-line block ×3, first 2 shown]
	s_cmp_gt_i32 s19, 9
	s_cbranch_scc0 .LBB46_2986
; %bb.2982:
	s_wait_loadcnt 0x0
	global_load_b64 v[14:15], v[16:17], off
	s_mov_b32 s22, 0
	s_wait_loadcnt 0x0
	v_cvt_i32_f64_e32 v14, v[14:15]
	s_branch .LBB46_2987
.LBB46_2983:
	s_mov_b32 s22, -1
                                        ; implicit-def: $vgpr14
	s_branch .LBB46_3005
.LBB46_2984:
	s_mov_b32 s22, -1
                                        ; implicit-def: $vgpr14
	s_branch .LBB46_2993
.LBB46_2985:
	s_mov_b32 s22, -1
                                        ; implicit-def: $vgpr14
	s_branch .LBB46_2990
.LBB46_2986:
	s_mov_b32 s22, -1
                                        ; implicit-def: $vgpr14
.LBB46_2987:
	s_delay_alu instid0(SALU_CYCLE_1)
	s_and_not1_b32 vcc_lo, exec_lo, s22
	s_cbranch_vccnz .LBB46_2989
; %bb.2988:
	s_wait_loadcnt 0x0
	global_load_b32 v1, v[16:17], off
	s_wait_loadcnt 0x0
	s_wait_xcnt 0x1
	v_cvt_i32_f32_e32 v14, v1
.LBB46_2989:
	s_mov_b32 s22, 0
.LBB46_2990:
	s_delay_alu instid0(SALU_CYCLE_1)
	s_and_not1_b32 vcc_lo, exec_lo, s22
	s_cbranch_vccnz .LBB46_2992
; %bb.2991:
	s_wait_loadcnt 0x0
	global_load_b32 v1, v[16:17], off
	s_wait_loadcnt 0x0
	s_wait_xcnt 0x1
	v_cvt_i16_f16_e32 v14, v1
.LBB46_2992:
	s_mov_b32 s22, 0
.LBB46_2993:
	s_delay_alu instid0(SALU_CYCLE_1)
	s_and_not1_b32 vcc_lo, exec_lo, s22
	s_cbranch_vccnz .LBB46_3004
; %bb.2994:
	s_cmp_lt_i32 s19, 6
	s_cbranch_scc1 .LBB46_2997
; %bb.2995:
	s_cmp_gt_i32 s19, 6
	s_cbranch_scc0 .LBB46_2998
; %bb.2996:
	s_wait_loadcnt 0x0
	global_load_b64 v[14:15], v[16:17], off
	s_mov_b32 s22, 0
	s_wait_loadcnt 0x0
	v_cvt_i32_f64_e32 v14, v[14:15]
	s_branch .LBB46_2999
.LBB46_2997:
	s_mov_b32 s22, -1
                                        ; implicit-def: $vgpr14
	s_branch .LBB46_3002
.LBB46_2998:
	s_mov_b32 s22, -1
                                        ; implicit-def: $vgpr14
.LBB46_2999:
	s_delay_alu instid0(SALU_CYCLE_1)
	s_and_not1_b32 vcc_lo, exec_lo, s22
	s_cbranch_vccnz .LBB46_3001
; %bb.3000:
	s_wait_loadcnt 0x0
	global_load_b32 v1, v[16:17], off
	s_wait_loadcnt 0x0
	s_wait_xcnt 0x1
	v_cvt_i32_f32_e32 v14, v1
.LBB46_3001:
	s_mov_b32 s22, 0
.LBB46_3002:
	s_delay_alu instid0(SALU_CYCLE_1)
	s_and_not1_b32 vcc_lo, exec_lo, s22
	s_cbranch_vccnz .LBB46_3004
; %bb.3003:
	s_wait_loadcnt 0x0
	global_load_u16 v1, v[16:17], off
	s_wait_loadcnt 0x0
	s_wait_xcnt 0x1
	v_cvt_i16_f16_e32 v14, v1
.LBB46_3004:
	s_mov_b32 s22, 0
.LBB46_3005:
	s_delay_alu instid0(SALU_CYCLE_1)
	s_and_not1_b32 vcc_lo, exec_lo, s22
	s_cbranch_vccnz .LBB46_3025
; %bb.3006:
	s_cmp_lt_i32 s19, 2
	s_cbranch_scc1 .LBB46_3010
; %bb.3007:
	s_cmp_lt_i32 s19, 3
	s_cbranch_scc1 .LBB46_3011
; %bb.3008:
	s_cmp_gt_i32 s19, 3
	s_cbranch_scc0 .LBB46_3012
; %bb.3009:
	s_wait_loadcnt 0x0
	global_load_b64 v[14:15], v[16:17], off
	s_mov_b32 s22, 0
	s_branch .LBB46_3013
.LBB46_3010:
	s_mov_b32 s22, -1
                                        ; implicit-def: $vgpr14
	s_branch .LBB46_3019
.LBB46_3011:
	s_mov_b32 s22, -1
                                        ; implicit-def: $vgpr14
	s_branch .LBB46_3016
.LBB46_3012:
	s_mov_b32 s22, -1
                                        ; implicit-def: $vgpr14
.LBB46_3013:
	s_delay_alu instid0(SALU_CYCLE_1)
	s_and_not1_b32 vcc_lo, exec_lo, s22
	s_cbranch_vccnz .LBB46_3015
; %bb.3014:
	s_wait_loadcnt 0x0
	global_load_b32 v14, v[16:17], off
.LBB46_3015:
	s_mov_b32 s22, 0
.LBB46_3016:
	s_delay_alu instid0(SALU_CYCLE_1)
	s_and_not1_b32 vcc_lo, exec_lo, s22
	s_cbranch_vccnz .LBB46_3018
; %bb.3017:
	s_wait_loadcnt 0x0
	global_load_u16 v14, v[16:17], off
.LBB46_3018:
	s_mov_b32 s22, 0
.LBB46_3019:
	s_delay_alu instid0(SALU_CYCLE_1)
	s_and_not1_b32 vcc_lo, exec_lo, s22
	s_cbranch_vccnz .LBB46_3025
; %bb.3020:
	s_cmp_gt_i32 s19, 0
	s_mov_b32 s19, 0
	s_cbranch_scc0 .LBB46_3022
; %bb.3021:
	s_wait_loadcnt 0x0
	global_load_u8 v14, v[16:17], off
	s_branch .LBB46_3023
.LBB46_3022:
	s_mov_b32 s19, -1
                                        ; implicit-def: $vgpr14
.LBB46_3023:
	s_delay_alu instid0(SALU_CYCLE_1)
	s_and_not1_b32 vcc_lo, exec_lo, s19
	s_cbranch_vccnz .LBB46_3025
; %bb.3024:
	s_wait_loadcnt 0x0
	global_load_u8 v14, v[16:17], off
.LBB46_3025:
	s_mov_b32 s24, -1
.LBB46_3026:
	s_delay_alu instid0(SALU_CYCLE_1)
	s_and_not1_b32 vcc_lo, exec_lo, s24
	s_cbranch_vccnz .LBB46_3968
; %bb.3027:
	v_add_nc_u32_e32 v24, s15, v18
	s_cmp_lt_i32 s17, 11
	s_delay_alu instid0(VALU_DEP_1) | instskip(SKIP_1) | instid1(VALU_DEP_1)
	v_ashrrev_i32_e32 v25, 31, v24
	s_wait_xcnt 0x0
	v_add_nc_u64_e32 v[16:17], s[10:11], v[24:25]
	s_cbranch_scc1 .LBB46_3034
; %bb.3028:
	s_and_b32 s19, 0xffff, s17
	s_mov_b32 s23, 0
	s_cmp_gt_i32 s19, 25
	s_cbranch_scc0 .LBB46_3035
; %bb.3029:
	s_cmp_gt_i32 s19, 28
	s_cbranch_scc0 .LBB46_3036
; %bb.3030:
	;; [unrolled: 3-line block ×4, first 2 shown]
	s_cmp_eq_u32 s19, 46
	s_mov_b32 s25, 0
	s_cbranch_scc0 .LBB46_3040
; %bb.3033:
	s_wait_loadcnt 0x0
	global_load_b32 v1, v[16:17], off
	s_mov_b32 s22, 0
	s_mov_b32 s24, -1
	s_wait_loadcnt 0x0
	v_lshlrev_b32_e32 v1, 16, v1
	s_delay_alu instid0(VALU_DEP_1)
	v_cvt_i32_f32_e32 v18, v1
	s_branch .LBB46_3042
.LBB46_3034:
	s_mov_b32 s19, -1
	s_mov_b32 s24, 0
                                        ; implicit-def: $vgpr18
	s_branch .LBB46_3104
.LBB46_3035:
	s_mov_b32 s25, -1
	s_mov_b32 s24, 0
	s_mov_b32 s22, 0
                                        ; implicit-def: $vgpr18
	s_branch .LBB46_3069
.LBB46_3036:
	s_mov_b32 s25, -1
	s_mov_b32 s24, 0
	s_mov_b32 s22, 0
                                        ; implicit-def: $vgpr18
	s_branch .LBB46_3052
.LBB46_3037:
	s_mov_b32 s25, -1
	s_mov_b32 s24, 0
	s_mov_b32 s22, 0
                                        ; implicit-def: $vgpr18
	s_branch .LBB46_3047
.LBB46_3038:
	s_or_b32 s16, s16, exec_lo
	s_trap 2
	s_cbranch_execz .LBB46_2975
	s_branch .LBB46_2976
.LBB46_3039:
	s_mov_b32 s25, -1
	s_mov_b32 s24, 0
	s_mov_b32 s22, 0
	s_branch .LBB46_3041
.LBB46_3040:
	s_mov_b32 s22, -1
	s_mov_b32 s24, 0
.LBB46_3041:
                                        ; implicit-def: $vgpr18
.LBB46_3042:
	s_and_b32 vcc_lo, exec_lo, s25
	s_cbranch_vccz .LBB46_3046
; %bb.3043:
	s_cmp_eq_u32 s19, 44
	s_cbranch_scc0 .LBB46_3045
; %bb.3044:
	s_wait_loadcnt 0x0
	global_load_u8 v1, v[16:17], off
	s_mov_b32 s22, 0
	s_mov_b32 s24, -1
	s_wait_loadcnt 0x0
	v_lshlrev_b32_e32 v3, 23, v1
	v_cmp_ne_u32_e32 vcc_lo, 0, v1
	s_delay_alu instid0(VALU_DEP_2) | instskip(NEXT) | instid1(VALU_DEP_1)
	v_cvt_i32_f32_e32 v3, v3
	v_cndmask_b32_e32 v18, 0, v3, vcc_lo
	s_branch .LBB46_3046
.LBB46_3045:
	s_mov_b32 s22, -1
                                        ; implicit-def: $vgpr18
.LBB46_3046:
	s_mov_b32 s25, 0
.LBB46_3047:
	s_delay_alu instid0(SALU_CYCLE_1)
	s_and_b32 vcc_lo, exec_lo, s25
	s_cbranch_vccz .LBB46_3051
; %bb.3048:
	s_cmp_eq_u32 s19, 29
	s_cbranch_scc0 .LBB46_3050
; %bb.3049:
	global_load_b64 v[18:19], v[16:17], off
	s_mov_b32 s22, 0
	s_mov_b32 s24, -1
	s_branch .LBB46_3051
.LBB46_3050:
	s_mov_b32 s22, -1
                                        ; implicit-def: $vgpr18
.LBB46_3051:
	s_mov_b32 s25, 0
.LBB46_3052:
	s_delay_alu instid0(SALU_CYCLE_1)
	s_and_b32 vcc_lo, exec_lo, s25
	s_cbranch_vccz .LBB46_3068
; %bb.3053:
	s_cmp_lt_i32 s19, 27
	s_cbranch_scc1 .LBB46_3056
; %bb.3054:
	s_cmp_gt_i32 s19, 27
	s_cbranch_scc0 .LBB46_3057
; %bb.3055:
	s_wait_loadcnt 0x0
	global_load_b32 v18, v[16:17], off
	s_mov_b32 s24, 0
	s_branch .LBB46_3058
.LBB46_3056:
	s_mov_b32 s24, -1
                                        ; implicit-def: $vgpr18
	s_branch .LBB46_3061
.LBB46_3057:
	s_mov_b32 s24, -1
                                        ; implicit-def: $vgpr18
.LBB46_3058:
	s_delay_alu instid0(SALU_CYCLE_1)
	s_and_not1_b32 vcc_lo, exec_lo, s24
	s_cbranch_vccnz .LBB46_3060
; %bb.3059:
	s_wait_loadcnt 0x0
	global_load_u16 v18, v[16:17], off
.LBB46_3060:
	s_mov_b32 s24, 0
.LBB46_3061:
	s_delay_alu instid0(SALU_CYCLE_1)
	s_and_not1_b32 vcc_lo, exec_lo, s24
	s_cbranch_vccnz .LBB46_3067
; %bb.3062:
	s_wait_loadcnt 0x0
	global_load_u8 v1, v[16:17], off
	s_mov_b32 s25, 0
	s_mov_b32 s24, exec_lo
	s_wait_loadcnt 0x0
	v_cmpx_lt_i16_e32 0x7f, v1
	s_xor_b32 s24, exec_lo, s24
	s_cbranch_execz .LBB46_3079
; %bb.3063:
	v_cmp_ne_u16_e32 vcc_lo, 0x80, v1
	s_and_b32 s25, vcc_lo, exec_lo
	s_and_not1_saveexec_b32 s24, s24
	s_cbranch_execnz .LBB46_3080
.LBB46_3064:
	s_or_b32 exec_lo, exec_lo, s24
	v_mov_b32_e32 v18, 0
	s_and_saveexec_b32 s24, s25
	s_cbranch_execz .LBB46_3066
.LBB46_3065:
	v_and_b32_e32 v3, 0xffff, v1
	s_delay_alu instid0(VALU_DEP_1) | instskip(SKIP_1) | instid1(VALU_DEP_2)
	v_dual_lshlrev_b32 v1, 24, v1 :: v_dual_bitop2_b32 v5, 7, v3 bitop3:0x40
	v_bfe_u32 v11, v3, 3, 4
	v_and_b32_e32 v1, 0x80000000, v1
	s_delay_alu instid0(VALU_DEP_3) | instskip(NEXT) | instid1(VALU_DEP_3)
	v_clz_i32_u32_e32 v7, v5
	v_cmp_eq_u32_e32 vcc_lo, 0, v11
	s_delay_alu instid0(VALU_DEP_2) | instskip(NEXT) | instid1(VALU_DEP_1)
	v_min_u32_e32 v7, 32, v7
	v_subrev_nc_u32_e32 v9, 28, v7
	v_sub_nc_u32_e32 v7, 29, v7
	s_delay_alu instid0(VALU_DEP_2) | instskip(NEXT) | instid1(VALU_DEP_2)
	v_lshlrev_b32_e32 v3, v9, v3
	v_cndmask_b32_e32 v7, v11, v7, vcc_lo
	s_delay_alu instid0(VALU_DEP_2) | instskip(NEXT) | instid1(VALU_DEP_1)
	v_and_b32_e32 v3, 7, v3
	v_cndmask_b32_e32 v3, v5, v3, vcc_lo
	s_delay_alu instid0(VALU_DEP_3) | instskip(NEXT) | instid1(VALU_DEP_2)
	v_lshl_add_u32 v5, v7, 23, 0x3b800000
	v_lshlrev_b32_e32 v3, 20, v3
	s_delay_alu instid0(VALU_DEP_1) | instskip(NEXT) | instid1(VALU_DEP_1)
	v_or3_b32 v1, v1, v5, v3
	v_cvt_i32_f32_e32 v18, v1
.LBB46_3066:
	s_or_b32 exec_lo, exec_lo, s24
.LBB46_3067:
	s_mov_b32 s24, -1
.LBB46_3068:
	s_mov_b32 s25, 0
.LBB46_3069:
	s_delay_alu instid0(SALU_CYCLE_1)
	s_and_b32 vcc_lo, exec_lo, s25
	s_cbranch_vccz .LBB46_3100
; %bb.3070:
	s_cmp_gt_i32 s19, 22
	s_cbranch_scc0 .LBB46_3078
; %bb.3071:
	s_cmp_lt_i32 s19, 24
	s_cbranch_scc1 .LBB46_3081
; %bb.3072:
	s_cmp_gt_i32 s19, 24
	s_cbranch_scc0 .LBB46_3082
; %bb.3073:
	s_wait_loadcnt 0x0
	global_load_u8 v1, v[16:17], off
	s_mov_b32 s24, 0
	s_mov_b32 s23, exec_lo
	s_wait_loadcnt 0x0
	v_cmpx_lt_i16_e32 0x7f, v1
	s_xor_b32 s23, exec_lo, s23
	s_cbranch_execz .LBB46_3094
; %bb.3074:
	v_cmp_ne_u16_e32 vcc_lo, 0x80, v1
	s_and_b32 s24, vcc_lo, exec_lo
	s_and_not1_saveexec_b32 s23, s23
	s_cbranch_execnz .LBB46_3095
.LBB46_3075:
	s_or_b32 exec_lo, exec_lo, s23
	v_mov_b32_e32 v18, 0
	s_and_saveexec_b32 s23, s24
	s_cbranch_execz .LBB46_3077
.LBB46_3076:
	v_and_b32_e32 v3, 0xffff, v1
	s_delay_alu instid0(VALU_DEP_1) | instskip(SKIP_1) | instid1(VALU_DEP_2)
	v_dual_lshlrev_b32 v1, 24, v1 :: v_dual_bitop2_b32 v5, 3, v3 bitop3:0x40
	v_bfe_u32 v11, v3, 2, 5
	v_and_b32_e32 v1, 0x80000000, v1
	s_delay_alu instid0(VALU_DEP_3) | instskip(NEXT) | instid1(VALU_DEP_3)
	v_clz_i32_u32_e32 v7, v5
	v_cmp_eq_u32_e32 vcc_lo, 0, v11
	s_delay_alu instid0(VALU_DEP_2) | instskip(NEXT) | instid1(VALU_DEP_1)
	v_min_u32_e32 v7, 32, v7
	v_subrev_nc_u32_e32 v9, 29, v7
	v_sub_nc_u32_e32 v7, 30, v7
	s_delay_alu instid0(VALU_DEP_2) | instskip(NEXT) | instid1(VALU_DEP_2)
	v_lshlrev_b32_e32 v3, v9, v3
	v_cndmask_b32_e32 v7, v11, v7, vcc_lo
	s_delay_alu instid0(VALU_DEP_2) | instskip(NEXT) | instid1(VALU_DEP_1)
	v_and_b32_e32 v3, 3, v3
	v_cndmask_b32_e32 v3, v5, v3, vcc_lo
	s_delay_alu instid0(VALU_DEP_3) | instskip(NEXT) | instid1(VALU_DEP_2)
	v_lshl_add_u32 v5, v7, 23, 0x37800000
	v_lshlrev_b32_e32 v3, 21, v3
	s_delay_alu instid0(VALU_DEP_1) | instskip(NEXT) | instid1(VALU_DEP_1)
	v_or3_b32 v1, v1, v5, v3
	v_cvt_i32_f32_e32 v18, v1
.LBB46_3077:
	s_or_b32 exec_lo, exec_lo, s23
	s_mov_b32 s23, 0
	s_branch .LBB46_3083
.LBB46_3078:
	s_mov_b32 s23, -1
                                        ; implicit-def: $vgpr18
	s_branch .LBB46_3089
.LBB46_3079:
	s_and_not1_saveexec_b32 s24, s24
	s_cbranch_execz .LBB46_3064
.LBB46_3080:
	v_cmp_ne_u16_e32 vcc_lo, 0, v1
	s_and_not1_b32 s25, s25, exec_lo
	s_and_b32 s26, vcc_lo, exec_lo
	s_delay_alu instid0(SALU_CYCLE_1)
	s_or_b32 s25, s25, s26
	s_or_b32 exec_lo, exec_lo, s24
	v_mov_b32_e32 v18, 0
	s_and_saveexec_b32 s24, s25
	s_cbranch_execnz .LBB46_3065
	s_branch .LBB46_3066
.LBB46_3081:
	s_mov_b32 s23, -1
                                        ; implicit-def: $vgpr18
	s_branch .LBB46_3086
.LBB46_3082:
	s_mov_b32 s23, -1
                                        ; implicit-def: $vgpr18
.LBB46_3083:
	s_delay_alu instid0(SALU_CYCLE_1)
	s_and_b32 vcc_lo, exec_lo, s23
	s_cbranch_vccz .LBB46_3085
; %bb.3084:
	s_wait_loadcnt 0x0
	global_load_u8 v1, v[16:17], off
	s_wait_loadcnt 0x0
	v_lshlrev_b32_e32 v1, 24, v1
	s_delay_alu instid0(VALU_DEP_1) | instskip(NEXT) | instid1(VALU_DEP_1)
	v_and_b32_e32 v3, 0x7f000000, v1
	v_clz_i32_u32_e32 v5, v3
	v_add_nc_u32_e32 v9, 0x1000000, v3
	v_cmp_ne_u32_e32 vcc_lo, 0, v3
	s_delay_alu instid0(VALU_DEP_3) | instskip(NEXT) | instid1(VALU_DEP_1)
	v_min_u32_e32 v5, 32, v5
	v_sub_nc_u32_e64 v5, v5, 4 clamp
	s_delay_alu instid0(VALU_DEP_1) | instskip(NEXT) | instid1(VALU_DEP_1)
	v_dual_lshlrev_b32 v7, v5, v3 :: v_dual_lshlrev_b32 v5, 23, v5
	v_lshrrev_b32_e32 v7, 4, v7
	s_delay_alu instid0(VALU_DEP_1) | instskip(SKIP_1) | instid1(VALU_DEP_2)
	v_sub_nc_u32_e32 v5, v7, v5
	v_ashrrev_i32_e32 v7, 8, v9
	v_add_nc_u32_e32 v5, 0x3c000000, v5
	s_delay_alu instid0(VALU_DEP_1) | instskip(NEXT) | instid1(VALU_DEP_1)
	v_and_or_b32 v5, 0x7f800000, v7, v5
	v_cndmask_b32_e32 v3, 0, v5, vcc_lo
	s_delay_alu instid0(VALU_DEP_1) | instskip(NEXT) | instid1(VALU_DEP_1)
	v_and_or_b32 v1, 0x80000000, v1, v3
	v_cvt_i32_f32_e32 v18, v1
.LBB46_3085:
	s_mov_b32 s23, 0
.LBB46_3086:
	s_delay_alu instid0(SALU_CYCLE_1)
	s_and_not1_b32 vcc_lo, exec_lo, s23
	s_cbranch_vccnz .LBB46_3088
; %bb.3087:
	s_wait_loadcnt 0x0
	global_load_u8 v1, v[16:17], off
	s_wait_loadcnt 0x0
	v_lshlrev_b32_e32 v3, 25, v1
	v_lshlrev_b16 v1, 8, v1
	s_delay_alu instid0(VALU_DEP_1) | instskip(SKIP_1) | instid1(VALU_DEP_2)
	v_and_or_b32 v7, 0x7f00, v1, 0.5
	v_bfe_i32 v1, v1, 0, 16
	v_add_f32_e32 v7, -0.5, v7
	v_lshrrev_b32_e32 v5, 4, v3
	v_cmp_gt_u32_e32 vcc_lo, 0x8000000, v3
	s_delay_alu instid0(VALU_DEP_2) | instskip(NEXT) | instid1(VALU_DEP_1)
	v_or_b32_e32 v5, 0x70000000, v5
	v_mul_f32_e32 v5, 0x7800000, v5
	s_delay_alu instid0(VALU_DEP_1) | instskip(NEXT) | instid1(VALU_DEP_1)
	v_cndmask_b32_e32 v3, v5, v7, vcc_lo
	v_and_or_b32 v1, 0x80000000, v1, v3
	s_delay_alu instid0(VALU_DEP_1)
	v_cvt_i32_f32_e32 v18, v1
.LBB46_3088:
	s_mov_b32 s23, 0
	s_mov_b32 s24, -1
.LBB46_3089:
	s_and_not1_b32 vcc_lo, exec_lo, s23
	s_mov_b32 s23, 0
	s_cbranch_vccnz .LBB46_3100
; %bb.3090:
	s_cmp_gt_i32 s19, 14
	s_cbranch_scc0 .LBB46_3093
; %bb.3091:
	s_cmp_eq_u32 s19, 15
	s_cbranch_scc0 .LBB46_3096
; %bb.3092:
	s_wait_loadcnt 0x0
	global_load_u16 v1, v[16:17], off
	s_mov_b32 s22, 0
	s_mov_b32 s24, -1
	s_wait_loadcnt 0x0
	v_lshlrev_b32_e32 v1, 16, v1
	s_delay_alu instid0(VALU_DEP_1)
	v_cvt_i32_f32_e32 v18, v1
	s_branch .LBB46_3098
.LBB46_3093:
	s_mov_b32 s23, -1
	s_branch .LBB46_3097
.LBB46_3094:
	s_and_not1_saveexec_b32 s23, s23
	s_cbranch_execz .LBB46_3075
.LBB46_3095:
	v_cmp_ne_u16_e32 vcc_lo, 0, v1
	s_and_not1_b32 s24, s24, exec_lo
	s_and_b32 s25, vcc_lo, exec_lo
	s_delay_alu instid0(SALU_CYCLE_1)
	s_or_b32 s24, s24, s25
	s_or_b32 exec_lo, exec_lo, s23
	v_mov_b32_e32 v18, 0
	s_and_saveexec_b32 s23, s24
	s_cbranch_execnz .LBB46_3076
	s_branch .LBB46_3077
.LBB46_3096:
	s_mov_b32 s22, -1
.LBB46_3097:
                                        ; implicit-def: $vgpr18
.LBB46_3098:
	s_and_b32 vcc_lo, exec_lo, s23
	s_mov_b32 s23, 0
	s_cbranch_vccz .LBB46_3100
; %bb.3099:
	s_cmp_lg_u32 s19, 11
	s_mov_b32 s23, -1
	s_cselect_b32 s22, -1, 0
.LBB46_3100:
	s_delay_alu instid0(SALU_CYCLE_1)
	s_and_b32 vcc_lo, exec_lo, s22
	s_cbranch_vccnz .LBB46_3165
; %bb.3101:
	s_and_not1_b32 vcc_lo, exec_lo, s23
	s_cbranch_vccnz .LBB46_3103
.LBB46_3102:
	s_wait_loadcnt 0x0
	global_load_u8 v1, v[16:17], off
	s_mov_b32 s24, -1
	s_wait_loadcnt 0x0
	v_cmp_ne_u16_e32 vcc_lo, 0, v1
	v_cndmask_b32_e64 v18, 0, 1, vcc_lo
.LBB46_3103:
	s_mov_b32 s19, 0
.LBB46_3104:
	s_delay_alu instid0(SALU_CYCLE_1)
	s_and_b32 vcc_lo, exec_lo, s19
	s_cbranch_vccz .LBB46_3153
; %bb.3105:
	s_and_b32 s19, 0xffff, s17
	s_delay_alu instid0(SALU_CYCLE_1)
	s_cmp_lt_i32 s19, 5
	s_cbranch_scc1 .LBB46_3110
; %bb.3106:
	s_cmp_lt_i32 s19, 8
	s_cbranch_scc1 .LBB46_3111
; %bb.3107:
	;; [unrolled: 3-line block ×3, first 2 shown]
	s_cmp_gt_i32 s19, 9
	s_cbranch_scc0 .LBB46_3113
; %bb.3109:
	s_wait_loadcnt 0x0
	global_load_b64 v[18:19], v[16:17], off
	s_mov_b32 s22, 0
	s_wait_loadcnt 0x0
	v_cvt_i32_f64_e32 v18, v[18:19]
	s_branch .LBB46_3114
.LBB46_3110:
	s_mov_b32 s22, -1
                                        ; implicit-def: $vgpr18
	s_branch .LBB46_3132
.LBB46_3111:
	s_mov_b32 s22, -1
                                        ; implicit-def: $vgpr18
	s_branch .LBB46_3120
.LBB46_3112:
	s_mov_b32 s22, -1
                                        ; implicit-def: $vgpr18
	s_branch .LBB46_3117
.LBB46_3113:
	s_mov_b32 s22, -1
                                        ; implicit-def: $vgpr18
.LBB46_3114:
	s_delay_alu instid0(SALU_CYCLE_1)
	s_and_not1_b32 vcc_lo, exec_lo, s22
	s_cbranch_vccnz .LBB46_3116
; %bb.3115:
	s_wait_loadcnt 0x0
	global_load_b32 v1, v[16:17], off
	s_wait_loadcnt 0x0
	v_cvt_i32_f32_e32 v18, v1
.LBB46_3116:
	s_mov_b32 s22, 0
.LBB46_3117:
	s_delay_alu instid0(SALU_CYCLE_1)
	s_and_not1_b32 vcc_lo, exec_lo, s22
	s_cbranch_vccnz .LBB46_3119
; %bb.3118:
	s_wait_loadcnt 0x0
	global_load_b32 v1, v[16:17], off
	s_wait_loadcnt 0x0
	v_cvt_i16_f16_e32 v18, v1
.LBB46_3119:
	s_mov_b32 s22, 0
.LBB46_3120:
	s_delay_alu instid0(SALU_CYCLE_1)
	s_and_not1_b32 vcc_lo, exec_lo, s22
	s_cbranch_vccnz .LBB46_3131
; %bb.3121:
	s_cmp_lt_i32 s19, 6
	s_cbranch_scc1 .LBB46_3124
; %bb.3122:
	s_cmp_gt_i32 s19, 6
	s_cbranch_scc0 .LBB46_3125
; %bb.3123:
	s_wait_loadcnt 0x0
	global_load_b64 v[18:19], v[16:17], off
	s_mov_b32 s22, 0
	s_wait_loadcnt 0x0
	v_cvt_i32_f64_e32 v18, v[18:19]
	s_branch .LBB46_3126
.LBB46_3124:
	s_mov_b32 s22, -1
                                        ; implicit-def: $vgpr18
	s_branch .LBB46_3129
.LBB46_3125:
	s_mov_b32 s22, -1
                                        ; implicit-def: $vgpr18
.LBB46_3126:
	s_delay_alu instid0(SALU_CYCLE_1)
	s_and_not1_b32 vcc_lo, exec_lo, s22
	s_cbranch_vccnz .LBB46_3128
; %bb.3127:
	s_wait_loadcnt 0x0
	global_load_b32 v1, v[16:17], off
	s_wait_loadcnt 0x0
	v_cvt_i32_f32_e32 v18, v1
.LBB46_3128:
	s_mov_b32 s22, 0
.LBB46_3129:
	s_delay_alu instid0(SALU_CYCLE_1)
	s_and_not1_b32 vcc_lo, exec_lo, s22
	s_cbranch_vccnz .LBB46_3131
; %bb.3130:
	s_wait_loadcnt 0x0
	global_load_u16 v1, v[16:17], off
	s_wait_loadcnt 0x0
	v_cvt_i16_f16_e32 v18, v1
.LBB46_3131:
	s_mov_b32 s22, 0
.LBB46_3132:
	s_delay_alu instid0(SALU_CYCLE_1)
	s_and_not1_b32 vcc_lo, exec_lo, s22
	s_cbranch_vccnz .LBB46_3152
; %bb.3133:
	s_cmp_lt_i32 s19, 2
	s_cbranch_scc1 .LBB46_3137
; %bb.3134:
	s_cmp_lt_i32 s19, 3
	s_cbranch_scc1 .LBB46_3138
; %bb.3135:
	s_cmp_gt_i32 s19, 3
	s_cbranch_scc0 .LBB46_3139
; %bb.3136:
	s_wait_loadcnt 0x0
	global_load_b64 v[18:19], v[16:17], off
	s_mov_b32 s22, 0
	s_branch .LBB46_3140
.LBB46_3137:
	s_mov_b32 s22, -1
                                        ; implicit-def: $vgpr18
	s_branch .LBB46_3146
.LBB46_3138:
	s_mov_b32 s22, -1
                                        ; implicit-def: $vgpr18
	s_branch .LBB46_3143
.LBB46_3139:
	s_mov_b32 s22, -1
                                        ; implicit-def: $vgpr18
.LBB46_3140:
	s_delay_alu instid0(SALU_CYCLE_1)
	s_and_not1_b32 vcc_lo, exec_lo, s22
	s_cbranch_vccnz .LBB46_3142
; %bb.3141:
	s_wait_loadcnt 0x0
	global_load_b32 v18, v[16:17], off
.LBB46_3142:
	s_mov_b32 s22, 0
.LBB46_3143:
	s_delay_alu instid0(SALU_CYCLE_1)
	s_and_not1_b32 vcc_lo, exec_lo, s22
	s_cbranch_vccnz .LBB46_3145
; %bb.3144:
	s_wait_loadcnt 0x0
	global_load_u16 v18, v[16:17], off
.LBB46_3145:
	s_mov_b32 s22, 0
.LBB46_3146:
	s_delay_alu instid0(SALU_CYCLE_1)
	s_and_not1_b32 vcc_lo, exec_lo, s22
	s_cbranch_vccnz .LBB46_3152
; %bb.3147:
	s_cmp_gt_i32 s19, 0
	s_mov_b32 s19, 0
	s_cbranch_scc0 .LBB46_3149
; %bb.3148:
	s_wait_loadcnt 0x0
	global_load_u8 v18, v[16:17], off
	s_branch .LBB46_3150
.LBB46_3149:
	s_mov_b32 s19, -1
                                        ; implicit-def: $vgpr18
.LBB46_3150:
	s_delay_alu instid0(SALU_CYCLE_1)
	s_and_not1_b32 vcc_lo, exec_lo, s19
	s_cbranch_vccnz .LBB46_3152
; %bb.3151:
	s_wait_loadcnt 0x0
	global_load_u8 v18, v[16:17], off
.LBB46_3152:
	s_mov_b32 s24, -1
.LBB46_3153:
	s_delay_alu instid0(SALU_CYCLE_1)
	s_and_not1_b32 vcc_lo, exec_lo, s24
	s_cbranch_vccnz .LBB46_3968
; %bb.3154:
	s_wait_xcnt 0x0
	v_add_nc_u32_e32 v16, s13, v20
	s_cmp_lt_i32 s0, 11
	s_delay_alu instid0(VALU_DEP_1) | instskip(NEXT) | instid1(VALU_DEP_1)
	v_ashrrev_i32_e32 v17, 31, v16
	v_add_nc_u64_e32 v[20:21], s[6:7], v[16:17]
	s_cbranch_scc1 .LBB46_3161
; %bb.3155:
	s_and_b32 s6, 0xffff, s0
	s_mov_b32 s13, 0
	s_cmp_gt_i32 s6, 25
	s_cbranch_scc0 .LBB46_3162
; %bb.3156:
	s_cmp_gt_i32 s6, 28
	s_cbranch_scc0 .LBB46_3163
; %bb.3157:
	;; [unrolled: 3-line block ×4, first 2 shown]
	s_cmp_eq_u32 s6, 46
	s_mov_b32 s22, 0
	s_cbranch_scc0 .LBB46_3167
; %bb.3160:
	s_wait_loadcnt 0x0
	global_load_b32 v1, v[20:21], off
	s_mov_b32 s7, 0
	s_mov_b32 s19, -1
	s_wait_loadcnt 0x0
	v_lshlrev_b32_e32 v1, 16, v1
	s_delay_alu instid0(VALU_DEP_1)
	v_cvt_i32_f32_e32 v16, v1
	s_branch .LBB46_3169
.LBB46_3161:
	s_mov_b32 s6, -1
	s_mov_b32 s19, 0
                                        ; implicit-def: $vgpr16
	s_branch .LBB46_3231
.LBB46_3162:
	s_mov_b32 s22, -1
	s_mov_b32 s19, 0
	s_mov_b32 s7, 0
                                        ; implicit-def: $vgpr16
	s_branch .LBB46_3196
.LBB46_3163:
	s_mov_b32 s22, -1
	s_mov_b32 s19, 0
	s_mov_b32 s7, 0
                                        ; implicit-def: $vgpr16
	s_branch .LBB46_3179
.LBB46_3164:
	s_mov_b32 s22, -1
	s_mov_b32 s19, 0
	s_mov_b32 s7, 0
                                        ; implicit-def: $vgpr16
	s_branch .LBB46_3174
.LBB46_3165:
	s_or_b32 s16, s16, exec_lo
	s_trap 2
	s_cbranch_execz .LBB46_3102
	s_branch .LBB46_3103
.LBB46_3166:
	s_mov_b32 s22, -1
	s_mov_b32 s19, 0
	s_mov_b32 s7, 0
	s_branch .LBB46_3168
.LBB46_3167:
	s_mov_b32 s7, -1
	s_mov_b32 s19, 0
.LBB46_3168:
                                        ; implicit-def: $vgpr16
.LBB46_3169:
	s_and_b32 vcc_lo, exec_lo, s22
	s_cbranch_vccz .LBB46_3173
; %bb.3170:
	s_cmp_eq_u32 s6, 44
	s_cbranch_scc0 .LBB46_3172
; %bb.3171:
	s_wait_loadcnt 0x0
	global_load_u8 v1, v[20:21], off
	s_mov_b32 s7, 0
	s_mov_b32 s19, -1
	s_wait_loadcnt 0x0
	v_lshlrev_b32_e32 v3, 23, v1
	v_cmp_ne_u32_e32 vcc_lo, 0, v1
	s_delay_alu instid0(VALU_DEP_2) | instskip(NEXT) | instid1(VALU_DEP_1)
	v_cvt_i32_f32_e32 v3, v3
	v_cndmask_b32_e32 v16, 0, v3, vcc_lo
	s_branch .LBB46_3173
.LBB46_3172:
	s_mov_b32 s7, -1
                                        ; implicit-def: $vgpr16
.LBB46_3173:
	s_mov_b32 s22, 0
.LBB46_3174:
	s_delay_alu instid0(SALU_CYCLE_1)
	s_and_b32 vcc_lo, exec_lo, s22
	s_cbranch_vccz .LBB46_3178
; %bb.3175:
	s_cmp_eq_u32 s6, 29
	s_cbranch_scc0 .LBB46_3177
; %bb.3176:
	global_load_b64 v[16:17], v[20:21], off
	s_mov_b32 s7, 0
	s_mov_b32 s19, -1
	s_branch .LBB46_3178
.LBB46_3177:
	s_mov_b32 s7, -1
                                        ; implicit-def: $vgpr16
.LBB46_3178:
	s_mov_b32 s22, 0
.LBB46_3179:
	s_delay_alu instid0(SALU_CYCLE_1)
	s_and_b32 vcc_lo, exec_lo, s22
	s_cbranch_vccz .LBB46_3195
; %bb.3180:
	s_cmp_lt_i32 s6, 27
	s_cbranch_scc1 .LBB46_3183
; %bb.3181:
	s_cmp_gt_i32 s6, 27
	s_cbranch_scc0 .LBB46_3184
; %bb.3182:
	s_wait_loadcnt 0x0
	global_load_b32 v16, v[20:21], off
	s_mov_b32 s19, 0
	s_branch .LBB46_3185
.LBB46_3183:
	s_mov_b32 s19, -1
                                        ; implicit-def: $vgpr16
	s_branch .LBB46_3188
.LBB46_3184:
	s_mov_b32 s19, -1
                                        ; implicit-def: $vgpr16
.LBB46_3185:
	s_delay_alu instid0(SALU_CYCLE_1)
	s_and_not1_b32 vcc_lo, exec_lo, s19
	s_cbranch_vccnz .LBB46_3187
; %bb.3186:
	s_wait_loadcnt 0x0
	global_load_u16 v16, v[20:21], off
.LBB46_3187:
	s_mov_b32 s19, 0
.LBB46_3188:
	s_delay_alu instid0(SALU_CYCLE_1)
	s_and_not1_b32 vcc_lo, exec_lo, s19
	s_cbranch_vccnz .LBB46_3194
; %bb.3189:
	s_wait_loadcnt 0x0
	global_load_u8 v1, v[20:21], off
	s_mov_b32 s22, 0
	s_mov_b32 s19, exec_lo
	s_wait_loadcnt 0x0
	v_cmpx_lt_i16_e32 0x7f, v1
	s_xor_b32 s19, exec_lo, s19
	s_cbranch_execz .LBB46_3206
; %bb.3190:
	v_cmp_ne_u16_e32 vcc_lo, 0x80, v1
	s_and_b32 s22, vcc_lo, exec_lo
	s_and_not1_saveexec_b32 s19, s19
	s_cbranch_execnz .LBB46_3207
.LBB46_3191:
	s_or_b32 exec_lo, exec_lo, s19
	v_mov_b32_e32 v16, 0
	s_and_saveexec_b32 s19, s22
	s_cbranch_execz .LBB46_3193
.LBB46_3192:
	v_and_b32_e32 v3, 0xffff, v1
	s_delay_alu instid0(VALU_DEP_1) | instskip(SKIP_1) | instid1(VALU_DEP_2)
	v_dual_lshlrev_b32 v1, 24, v1 :: v_dual_bitop2_b32 v5, 7, v3 bitop3:0x40
	v_bfe_u32 v11, v3, 3, 4
	v_and_b32_e32 v1, 0x80000000, v1
	s_delay_alu instid0(VALU_DEP_3) | instskip(NEXT) | instid1(VALU_DEP_3)
	v_clz_i32_u32_e32 v7, v5
	v_cmp_eq_u32_e32 vcc_lo, 0, v11
	s_delay_alu instid0(VALU_DEP_2) | instskip(NEXT) | instid1(VALU_DEP_1)
	v_min_u32_e32 v7, 32, v7
	v_subrev_nc_u32_e32 v9, 28, v7
	v_sub_nc_u32_e32 v7, 29, v7
	s_delay_alu instid0(VALU_DEP_2) | instskip(NEXT) | instid1(VALU_DEP_2)
	v_lshlrev_b32_e32 v3, v9, v3
	v_cndmask_b32_e32 v7, v11, v7, vcc_lo
	s_delay_alu instid0(VALU_DEP_2) | instskip(NEXT) | instid1(VALU_DEP_1)
	v_and_b32_e32 v3, 7, v3
	v_cndmask_b32_e32 v3, v5, v3, vcc_lo
	s_delay_alu instid0(VALU_DEP_3) | instskip(NEXT) | instid1(VALU_DEP_2)
	v_lshl_add_u32 v5, v7, 23, 0x3b800000
	v_lshlrev_b32_e32 v3, 20, v3
	s_delay_alu instid0(VALU_DEP_1) | instskip(NEXT) | instid1(VALU_DEP_1)
	v_or3_b32 v1, v1, v5, v3
	v_cvt_i32_f32_e32 v16, v1
.LBB46_3193:
	s_or_b32 exec_lo, exec_lo, s19
.LBB46_3194:
	s_mov_b32 s19, -1
.LBB46_3195:
	s_mov_b32 s22, 0
.LBB46_3196:
	s_delay_alu instid0(SALU_CYCLE_1)
	s_and_b32 vcc_lo, exec_lo, s22
	s_cbranch_vccz .LBB46_3227
; %bb.3197:
	s_cmp_gt_i32 s6, 22
	s_cbranch_scc0 .LBB46_3205
; %bb.3198:
	s_cmp_lt_i32 s6, 24
	s_cbranch_scc1 .LBB46_3208
; %bb.3199:
	s_cmp_gt_i32 s6, 24
	s_cbranch_scc0 .LBB46_3209
; %bb.3200:
	s_wait_loadcnt 0x0
	global_load_u8 v1, v[20:21], off
	s_mov_b32 s19, 0
	s_mov_b32 s13, exec_lo
	s_wait_loadcnt 0x0
	v_cmpx_lt_i16_e32 0x7f, v1
	s_xor_b32 s13, exec_lo, s13
	s_cbranch_execz .LBB46_3221
; %bb.3201:
	v_cmp_ne_u16_e32 vcc_lo, 0x80, v1
	s_and_b32 s19, vcc_lo, exec_lo
	s_and_not1_saveexec_b32 s13, s13
	s_cbranch_execnz .LBB46_3222
.LBB46_3202:
	s_or_b32 exec_lo, exec_lo, s13
	v_mov_b32_e32 v16, 0
	s_and_saveexec_b32 s13, s19
	s_cbranch_execz .LBB46_3204
.LBB46_3203:
	v_and_b32_e32 v3, 0xffff, v1
	s_delay_alu instid0(VALU_DEP_1) | instskip(SKIP_1) | instid1(VALU_DEP_2)
	v_dual_lshlrev_b32 v1, 24, v1 :: v_dual_bitop2_b32 v5, 3, v3 bitop3:0x40
	v_bfe_u32 v11, v3, 2, 5
	v_and_b32_e32 v1, 0x80000000, v1
	s_delay_alu instid0(VALU_DEP_3) | instskip(NEXT) | instid1(VALU_DEP_3)
	v_clz_i32_u32_e32 v7, v5
	v_cmp_eq_u32_e32 vcc_lo, 0, v11
	s_delay_alu instid0(VALU_DEP_2) | instskip(NEXT) | instid1(VALU_DEP_1)
	v_min_u32_e32 v7, 32, v7
	v_subrev_nc_u32_e32 v9, 29, v7
	v_sub_nc_u32_e32 v7, 30, v7
	s_delay_alu instid0(VALU_DEP_2) | instskip(NEXT) | instid1(VALU_DEP_2)
	v_lshlrev_b32_e32 v3, v9, v3
	v_cndmask_b32_e32 v7, v11, v7, vcc_lo
	s_delay_alu instid0(VALU_DEP_2) | instskip(NEXT) | instid1(VALU_DEP_1)
	v_and_b32_e32 v3, 3, v3
	v_cndmask_b32_e32 v3, v5, v3, vcc_lo
	s_delay_alu instid0(VALU_DEP_3) | instskip(NEXT) | instid1(VALU_DEP_2)
	v_lshl_add_u32 v5, v7, 23, 0x37800000
	v_lshlrev_b32_e32 v3, 21, v3
	s_delay_alu instid0(VALU_DEP_1) | instskip(NEXT) | instid1(VALU_DEP_1)
	v_or3_b32 v1, v1, v5, v3
	v_cvt_i32_f32_e32 v16, v1
.LBB46_3204:
	s_or_b32 exec_lo, exec_lo, s13
	s_mov_b32 s13, 0
	s_branch .LBB46_3210
.LBB46_3205:
	s_mov_b32 s13, -1
                                        ; implicit-def: $vgpr16
	s_branch .LBB46_3216
.LBB46_3206:
	s_and_not1_saveexec_b32 s19, s19
	s_cbranch_execz .LBB46_3191
.LBB46_3207:
	v_cmp_ne_u16_e32 vcc_lo, 0, v1
	s_and_not1_b32 s22, s22, exec_lo
	s_and_b32 s23, vcc_lo, exec_lo
	s_delay_alu instid0(SALU_CYCLE_1)
	s_or_b32 s22, s22, s23
	s_or_b32 exec_lo, exec_lo, s19
	v_mov_b32_e32 v16, 0
	s_and_saveexec_b32 s19, s22
	s_cbranch_execnz .LBB46_3192
	s_branch .LBB46_3193
.LBB46_3208:
	s_mov_b32 s13, -1
                                        ; implicit-def: $vgpr16
	s_branch .LBB46_3213
.LBB46_3209:
	s_mov_b32 s13, -1
                                        ; implicit-def: $vgpr16
.LBB46_3210:
	s_delay_alu instid0(SALU_CYCLE_1)
	s_and_b32 vcc_lo, exec_lo, s13
	s_cbranch_vccz .LBB46_3212
; %bb.3211:
	s_wait_loadcnt 0x0
	global_load_u8 v1, v[20:21], off
	s_wait_loadcnt 0x0
	v_lshlrev_b32_e32 v1, 24, v1
	s_delay_alu instid0(VALU_DEP_1) | instskip(NEXT) | instid1(VALU_DEP_1)
	v_and_b32_e32 v3, 0x7f000000, v1
	v_clz_i32_u32_e32 v5, v3
	v_add_nc_u32_e32 v9, 0x1000000, v3
	v_cmp_ne_u32_e32 vcc_lo, 0, v3
	s_delay_alu instid0(VALU_DEP_3) | instskip(NEXT) | instid1(VALU_DEP_1)
	v_min_u32_e32 v5, 32, v5
	v_sub_nc_u32_e64 v5, v5, 4 clamp
	s_delay_alu instid0(VALU_DEP_1) | instskip(NEXT) | instid1(VALU_DEP_1)
	v_dual_lshlrev_b32 v7, v5, v3 :: v_dual_lshlrev_b32 v5, 23, v5
	v_lshrrev_b32_e32 v7, 4, v7
	s_delay_alu instid0(VALU_DEP_1) | instskip(SKIP_1) | instid1(VALU_DEP_2)
	v_sub_nc_u32_e32 v5, v7, v5
	v_ashrrev_i32_e32 v7, 8, v9
	v_add_nc_u32_e32 v5, 0x3c000000, v5
	s_delay_alu instid0(VALU_DEP_1) | instskip(NEXT) | instid1(VALU_DEP_1)
	v_and_or_b32 v5, 0x7f800000, v7, v5
	v_cndmask_b32_e32 v3, 0, v5, vcc_lo
	s_delay_alu instid0(VALU_DEP_1) | instskip(NEXT) | instid1(VALU_DEP_1)
	v_and_or_b32 v1, 0x80000000, v1, v3
	v_cvt_i32_f32_e32 v16, v1
.LBB46_3212:
	s_mov_b32 s13, 0
.LBB46_3213:
	s_delay_alu instid0(SALU_CYCLE_1)
	s_and_not1_b32 vcc_lo, exec_lo, s13
	s_cbranch_vccnz .LBB46_3215
; %bb.3214:
	s_wait_loadcnt 0x0
	global_load_u8 v1, v[20:21], off
	s_wait_loadcnt 0x0
	v_lshlrev_b32_e32 v3, 25, v1
	v_lshlrev_b16 v1, 8, v1
	s_delay_alu instid0(VALU_DEP_1) | instskip(SKIP_1) | instid1(VALU_DEP_2)
	v_and_or_b32 v7, 0x7f00, v1, 0.5
	v_bfe_i32 v1, v1, 0, 16
	v_add_f32_e32 v7, -0.5, v7
	v_lshrrev_b32_e32 v5, 4, v3
	v_cmp_gt_u32_e32 vcc_lo, 0x8000000, v3
	s_delay_alu instid0(VALU_DEP_2) | instskip(NEXT) | instid1(VALU_DEP_1)
	v_or_b32_e32 v5, 0x70000000, v5
	v_mul_f32_e32 v5, 0x7800000, v5
	s_delay_alu instid0(VALU_DEP_1) | instskip(NEXT) | instid1(VALU_DEP_1)
	v_cndmask_b32_e32 v3, v5, v7, vcc_lo
	v_and_or_b32 v1, 0x80000000, v1, v3
	s_delay_alu instid0(VALU_DEP_1)
	v_cvt_i32_f32_e32 v16, v1
.LBB46_3215:
	s_mov_b32 s13, 0
	s_mov_b32 s19, -1
.LBB46_3216:
	s_and_not1_b32 vcc_lo, exec_lo, s13
	s_mov_b32 s13, 0
	s_cbranch_vccnz .LBB46_3227
; %bb.3217:
	s_cmp_gt_i32 s6, 14
	s_cbranch_scc0 .LBB46_3220
; %bb.3218:
	s_cmp_eq_u32 s6, 15
	s_cbranch_scc0 .LBB46_3223
; %bb.3219:
	s_wait_loadcnt 0x0
	global_load_u16 v1, v[20:21], off
	s_mov_b32 s7, 0
	s_mov_b32 s19, -1
	s_wait_loadcnt 0x0
	v_lshlrev_b32_e32 v1, 16, v1
	s_delay_alu instid0(VALU_DEP_1)
	v_cvt_i32_f32_e32 v16, v1
	s_branch .LBB46_3225
.LBB46_3220:
	s_mov_b32 s13, -1
	s_branch .LBB46_3224
.LBB46_3221:
	s_and_not1_saveexec_b32 s13, s13
	s_cbranch_execz .LBB46_3202
.LBB46_3222:
	v_cmp_ne_u16_e32 vcc_lo, 0, v1
	s_and_not1_b32 s19, s19, exec_lo
	s_and_b32 s22, vcc_lo, exec_lo
	s_delay_alu instid0(SALU_CYCLE_1)
	s_or_b32 s19, s19, s22
	s_or_b32 exec_lo, exec_lo, s13
	v_mov_b32_e32 v16, 0
	s_and_saveexec_b32 s13, s19
	s_cbranch_execnz .LBB46_3203
	s_branch .LBB46_3204
.LBB46_3223:
	s_mov_b32 s7, -1
.LBB46_3224:
                                        ; implicit-def: $vgpr16
.LBB46_3225:
	s_and_b32 vcc_lo, exec_lo, s13
	s_mov_b32 s13, 0
	s_cbranch_vccz .LBB46_3227
; %bb.3226:
	s_cmp_lg_u32 s6, 11
	s_mov_b32 s13, -1
	s_cselect_b32 s7, -1, 0
.LBB46_3227:
	s_delay_alu instid0(SALU_CYCLE_1)
	s_and_b32 vcc_lo, exec_lo, s7
	s_cbranch_vccnz .LBB46_3292
; %bb.3228:
	s_and_not1_b32 vcc_lo, exec_lo, s13
	s_cbranch_vccnz .LBB46_3230
.LBB46_3229:
	s_wait_loadcnt 0x0
	global_load_u8 v1, v[20:21], off
	s_mov_b32 s19, -1
	s_wait_loadcnt 0x0
	v_cmp_ne_u16_e32 vcc_lo, 0, v1
	v_cndmask_b32_e64 v16, 0, 1, vcc_lo
.LBB46_3230:
	s_mov_b32 s6, 0
.LBB46_3231:
	s_delay_alu instid0(SALU_CYCLE_1)
	s_and_b32 vcc_lo, exec_lo, s6
	s_cbranch_vccz .LBB46_3280
; %bb.3232:
	s_and_b32 s0, 0xffff, s0
	s_delay_alu instid0(SALU_CYCLE_1)
	s_cmp_lt_i32 s0, 5
	s_cbranch_scc1 .LBB46_3237
; %bb.3233:
	s_cmp_lt_i32 s0, 8
	s_cbranch_scc1 .LBB46_3238
; %bb.3234:
	;; [unrolled: 3-line block ×3, first 2 shown]
	s_cmp_gt_i32 s0, 9
	s_cbranch_scc0 .LBB46_3240
; %bb.3236:
	s_wait_loadcnt 0x0
	global_load_b64 v[16:17], v[20:21], off
	s_mov_b32 s6, 0
	s_wait_loadcnt 0x0
	v_cvt_i32_f64_e32 v16, v[16:17]
	s_branch .LBB46_3241
.LBB46_3237:
	s_mov_b32 s6, -1
                                        ; implicit-def: $vgpr16
	s_branch .LBB46_3259
.LBB46_3238:
	s_mov_b32 s6, -1
                                        ; implicit-def: $vgpr16
	s_branch .LBB46_3247
.LBB46_3239:
	s_mov_b32 s6, -1
                                        ; implicit-def: $vgpr16
	s_branch .LBB46_3244
.LBB46_3240:
	s_mov_b32 s6, -1
                                        ; implicit-def: $vgpr16
.LBB46_3241:
	s_delay_alu instid0(SALU_CYCLE_1)
	s_and_not1_b32 vcc_lo, exec_lo, s6
	s_cbranch_vccnz .LBB46_3243
; %bb.3242:
	s_wait_loadcnt 0x0
	global_load_b32 v1, v[20:21], off
	s_wait_loadcnt 0x0
	v_cvt_i32_f32_e32 v16, v1
.LBB46_3243:
	s_mov_b32 s6, 0
.LBB46_3244:
	s_delay_alu instid0(SALU_CYCLE_1)
	s_and_not1_b32 vcc_lo, exec_lo, s6
	s_cbranch_vccnz .LBB46_3246
; %bb.3245:
	s_wait_loadcnt 0x0
	global_load_b32 v1, v[20:21], off
	s_wait_loadcnt 0x0
	v_cvt_i16_f16_e32 v16, v1
.LBB46_3246:
	s_mov_b32 s6, 0
.LBB46_3247:
	s_delay_alu instid0(SALU_CYCLE_1)
	s_and_not1_b32 vcc_lo, exec_lo, s6
	s_cbranch_vccnz .LBB46_3258
; %bb.3248:
	s_cmp_lt_i32 s0, 6
	s_cbranch_scc1 .LBB46_3251
; %bb.3249:
	s_cmp_gt_i32 s0, 6
	s_cbranch_scc0 .LBB46_3252
; %bb.3250:
	s_wait_loadcnt 0x0
	global_load_b64 v[16:17], v[20:21], off
	s_mov_b32 s6, 0
	s_wait_loadcnt 0x0
	v_cvt_i32_f64_e32 v16, v[16:17]
	s_branch .LBB46_3253
.LBB46_3251:
	s_mov_b32 s6, -1
                                        ; implicit-def: $vgpr16
	s_branch .LBB46_3256
.LBB46_3252:
	s_mov_b32 s6, -1
                                        ; implicit-def: $vgpr16
.LBB46_3253:
	s_delay_alu instid0(SALU_CYCLE_1)
	s_and_not1_b32 vcc_lo, exec_lo, s6
	s_cbranch_vccnz .LBB46_3255
; %bb.3254:
	s_wait_loadcnt 0x0
	global_load_b32 v1, v[20:21], off
	s_wait_loadcnt 0x0
	v_cvt_i32_f32_e32 v16, v1
.LBB46_3255:
	s_mov_b32 s6, 0
.LBB46_3256:
	s_delay_alu instid0(SALU_CYCLE_1)
	s_and_not1_b32 vcc_lo, exec_lo, s6
	s_cbranch_vccnz .LBB46_3258
; %bb.3257:
	s_wait_loadcnt 0x0
	global_load_u16 v1, v[20:21], off
	s_wait_loadcnt 0x0
	v_cvt_i16_f16_e32 v16, v1
.LBB46_3258:
	s_mov_b32 s6, 0
.LBB46_3259:
	s_delay_alu instid0(SALU_CYCLE_1)
	s_and_not1_b32 vcc_lo, exec_lo, s6
	s_cbranch_vccnz .LBB46_3279
; %bb.3260:
	s_cmp_lt_i32 s0, 2
	s_cbranch_scc1 .LBB46_3264
; %bb.3261:
	s_cmp_lt_i32 s0, 3
	s_cbranch_scc1 .LBB46_3265
; %bb.3262:
	s_cmp_gt_i32 s0, 3
	s_cbranch_scc0 .LBB46_3266
; %bb.3263:
	s_wait_loadcnt 0x0
	global_load_b64 v[16:17], v[20:21], off
	s_mov_b32 s6, 0
	s_branch .LBB46_3267
.LBB46_3264:
	s_mov_b32 s6, -1
                                        ; implicit-def: $vgpr16
	s_branch .LBB46_3273
.LBB46_3265:
	s_mov_b32 s6, -1
                                        ; implicit-def: $vgpr16
	s_branch .LBB46_3270
.LBB46_3266:
	s_mov_b32 s6, -1
                                        ; implicit-def: $vgpr16
.LBB46_3267:
	s_delay_alu instid0(SALU_CYCLE_1)
	s_and_not1_b32 vcc_lo, exec_lo, s6
	s_cbranch_vccnz .LBB46_3269
; %bb.3268:
	s_wait_loadcnt 0x0
	global_load_b32 v16, v[20:21], off
.LBB46_3269:
	s_mov_b32 s6, 0
.LBB46_3270:
	s_delay_alu instid0(SALU_CYCLE_1)
	s_and_not1_b32 vcc_lo, exec_lo, s6
	s_cbranch_vccnz .LBB46_3272
; %bb.3271:
	s_wait_loadcnt 0x0
	global_load_u16 v16, v[20:21], off
.LBB46_3272:
	s_mov_b32 s6, 0
.LBB46_3273:
	s_delay_alu instid0(SALU_CYCLE_1)
	s_and_not1_b32 vcc_lo, exec_lo, s6
	s_cbranch_vccnz .LBB46_3279
; %bb.3274:
	s_cmp_gt_i32 s0, 0
	s_mov_b32 s0, 0
	s_cbranch_scc0 .LBB46_3276
; %bb.3275:
	s_wait_loadcnt 0x0
	global_load_u8 v16, v[20:21], off
	s_branch .LBB46_3277
.LBB46_3276:
	s_mov_b32 s0, -1
                                        ; implicit-def: $vgpr16
.LBB46_3277:
	s_delay_alu instid0(SALU_CYCLE_1)
	s_and_not1_b32 vcc_lo, exec_lo, s0
	s_cbranch_vccnz .LBB46_3279
; %bb.3278:
	s_wait_loadcnt 0x0
	global_load_u8 v16, v[20:21], off
.LBB46_3279:
	s_mov_b32 s19, -1
.LBB46_3280:
	s_delay_alu instid0(SALU_CYCLE_1)
	s_and_not1_b32 vcc_lo, exec_lo, s19
	s_cbranch_vccnz .LBB46_3968
; %bb.3281:
	s_wait_xcnt 0x0
	v_add_nc_u32_e32 v20, s14, v22
	s_cmp_lt_i32 s3, 11
	s_delay_alu instid0(VALU_DEP_1) | instskip(NEXT) | instid1(VALU_DEP_1)
	v_ashrrev_i32_e32 v21, 31, v20
	v_add_nc_u64_e32 v[22:23], s[8:9], v[20:21]
	s_cbranch_scc1 .LBB46_3288
; %bb.3282:
	s_and_b32 s0, 0xffff, s3
	s_mov_b32 s7, 0
	s_cmp_gt_i32 s0, 25
	s_cbranch_scc0 .LBB46_3289
; %bb.3283:
	s_cmp_gt_i32 s0, 28
	s_cbranch_scc0 .LBB46_3290
; %bb.3284:
	;; [unrolled: 3-line block ×4, first 2 shown]
	s_cmp_eq_u32 s0, 46
	s_mov_b32 s9, 0
	s_cbranch_scc0 .LBB46_3294
; %bb.3287:
	s_wait_loadcnt 0x0
	global_load_b32 v1, v[22:23], off
	s_mov_b32 s6, 0
	s_mov_b32 s8, -1
	s_wait_loadcnt 0x0
	v_lshlrev_b32_e32 v1, 16, v1
	s_delay_alu instid0(VALU_DEP_1)
	v_cvt_i32_f32_e32 v20, v1
	s_branch .LBB46_3296
.LBB46_3288:
	s_mov_b32 s0, -1
	s_mov_b32 s8, 0
                                        ; implicit-def: $vgpr20
	s_branch .LBB46_3358
.LBB46_3289:
	s_mov_b32 s9, -1
	s_mov_b32 s8, 0
	s_mov_b32 s6, 0
                                        ; implicit-def: $vgpr20
	s_branch .LBB46_3323
.LBB46_3290:
	s_mov_b32 s9, -1
	s_mov_b32 s8, 0
	s_mov_b32 s6, 0
                                        ; implicit-def: $vgpr20
	s_branch .LBB46_3306
.LBB46_3291:
	s_mov_b32 s9, -1
	s_mov_b32 s8, 0
	s_mov_b32 s6, 0
                                        ; implicit-def: $vgpr20
	s_branch .LBB46_3301
.LBB46_3292:
	s_or_b32 s16, s16, exec_lo
	s_trap 2
	s_cbranch_execz .LBB46_3229
	s_branch .LBB46_3230
.LBB46_3293:
	s_mov_b32 s9, -1
	s_mov_b32 s8, 0
	s_mov_b32 s6, 0
	s_branch .LBB46_3295
.LBB46_3294:
	s_mov_b32 s6, -1
	s_mov_b32 s8, 0
.LBB46_3295:
                                        ; implicit-def: $vgpr20
.LBB46_3296:
	s_and_b32 vcc_lo, exec_lo, s9
	s_cbranch_vccz .LBB46_3300
; %bb.3297:
	s_cmp_eq_u32 s0, 44
	s_cbranch_scc0 .LBB46_3299
; %bb.3298:
	s_wait_loadcnt 0x0
	global_load_u8 v1, v[22:23], off
	s_mov_b32 s6, 0
	s_mov_b32 s8, -1
	s_wait_loadcnt 0x0
	v_lshlrev_b32_e32 v3, 23, v1
	v_cmp_ne_u32_e32 vcc_lo, 0, v1
	s_delay_alu instid0(VALU_DEP_2) | instskip(NEXT) | instid1(VALU_DEP_1)
	v_cvt_i32_f32_e32 v3, v3
	v_cndmask_b32_e32 v20, 0, v3, vcc_lo
	s_branch .LBB46_3300
.LBB46_3299:
	s_mov_b32 s6, -1
                                        ; implicit-def: $vgpr20
.LBB46_3300:
	s_mov_b32 s9, 0
.LBB46_3301:
	s_delay_alu instid0(SALU_CYCLE_1)
	s_and_b32 vcc_lo, exec_lo, s9
	s_cbranch_vccz .LBB46_3305
; %bb.3302:
	s_cmp_eq_u32 s0, 29
	s_cbranch_scc0 .LBB46_3304
; %bb.3303:
	global_load_b64 v[20:21], v[22:23], off
	s_mov_b32 s6, 0
	s_mov_b32 s8, -1
	s_branch .LBB46_3305
.LBB46_3304:
	s_mov_b32 s6, -1
                                        ; implicit-def: $vgpr20
.LBB46_3305:
	s_mov_b32 s9, 0
.LBB46_3306:
	s_delay_alu instid0(SALU_CYCLE_1)
	s_and_b32 vcc_lo, exec_lo, s9
	s_cbranch_vccz .LBB46_3322
; %bb.3307:
	s_cmp_lt_i32 s0, 27
	s_cbranch_scc1 .LBB46_3310
; %bb.3308:
	s_cmp_gt_i32 s0, 27
	s_cbranch_scc0 .LBB46_3311
; %bb.3309:
	s_wait_loadcnt 0x0
	global_load_b32 v20, v[22:23], off
	s_mov_b32 s8, 0
	s_branch .LBB46_3312
.LBB46_3310:
	s_mov_b32 s8, -1
                                        ; implicit-def: $vgpr20
	s_branch .LBB46_3315
.LBB46_3311:
	s_mov_b32 s8, -1
                                        ; implicit-def: $vgpr20
.LBB46_3312:
	s_delay_alu instid0(SALU_CYCLE_1)
	s_and_not1_b32 vcc_lo, exec_lo, s8
	s_cbranch_vccnz .LBB46_3314
; %bb.3313:
	s_wait_loadcnt 0x0
	global_load_u16 v20, v[22:23], off
.LBB46_3314:
	s_mov_b32 s8, 0
.LBB46_3315:
	s_delay_alu instid0(SALU_CYCLE_1)
	s_and_not1_b32 vcc_lo, exec_lo, s8
	s_cbranch_vccnz .LBB46_3321
; %bb.3316:
	s_wait_loadcnt 0x0
	global_load_u8 v1, v[22:23], off
	s_mov_b32 s9, 0
	s_mov_b32 s8, exec_lo
	s_wait_loadcnt 0x0
	v_cmpx_lt_i16_e32 0x7f, v1
	s_xor_b32 s8, exec_lo, s8
	s_cbranch_execz .LBB46_3333
; %bb.3317:
	v_cmp_ne_u16_e32 vcc_lo, 0x80, v1
	s_and_b32 s9, vcc_lo, exec_lo
	s_and_not1_saveexec_b32 s8, s8
	s_cbranch_execnz .LBB46_3334
.LBB46_3318:
	s_or_b32 exec_lo, exec_lo, s8
	v_mov_b32_e32 v20, 0
	s_and_saveexec_b32 s8, s9
	s_cbranch_execz .LBB46_3320
.LBB46_3319:
	v_and_b32_e32 v3, 0xffff, v1
	s_delay_alu instid0(VALU_DEP_1) | instskip(SKIP_1) | instid1(VALU_DEP_2)
	v_dual_lshlrev_b32 v1, 24, v1 :: v_dual_bitop2_b32 v5, 7, v3 bitop3:0x40
	v_bfe_u32 v11, v3, 3, 4
	v_and_b32_e32 v1, 0x80000000, v1
	s_delay_alu instid0(VALU_DEP_3) | instskip(NEXT) | instid1(VALU_DEP_3)
	v_clz_i32_u32_e32 v7, v5
	v_cmp_eq_u32_e32 vcc_lo, 0, v11
	s_delay_alu instid0(VALU_DEP_2) | instskip(NEXT) | instid1(VALU_DEP_1)
	v_min_u32_e32 v7, 32, v7
	v_subrev_nc_u32_e32 v9, 28, v7
	v_sub_nc_u32_e32 v7, 29, v7
	s_delay_alu instid0(VALU_DEP_2) | instskip(NEXT) | instid1(VALU_DEP_2)
	v_lshlrev_b32_e32 v3, v9, v3
	v_cndmask_b32_e32 v7, v11, v7, vcc_lo
	s_delay_alu instid0(VALU_DEP_2) | instskip(NEXT) | instid1(VALU_DEP_1)
	v_and_b32_e32 v3, 7, v3
	v_cndmask_b32_e32 v3, v5, v3, vcc_lo
	s_delay_alu instid0(VALU_DEP_3) | instskip(NEXT) | instid1(VALU_DEP_2)
	v_lshl_add_u32 v5, v7, 23, 0x3b800000
	v_lshlrev_b32_e32 v3, 20, v3
	s_delay_alu instid0(VALU_DEP_1) | instskip(NEXT) | instid1(VALU_DEP_1)
	v_or3_b32 v1, v1, v5, v3
	v_cvt_i32_f32_e32 v20, v1
.LBB46_3320:
	s_or_b32 exec_lo, exec_lo, s8
.LBB46_3321:
	s_mov_b32 s8, -1
.LBB46_3322:
	s_mov_b32 s9, 0
.LBB46_3323:
	s_delay_alu instid0(SALU_CYCLE_1)
	s_and_b32 vcc_lo, exec_lo, s9
	s_cbranch_vccz .LBB46_3354
; %bb.3324:
	s_cmp_gt_i32 s0, 22
	s_cbranch_scc0 .LBB46_3332
; %bb.3325:
	s_cmp_lt_i32 s0, 24
	s_cbranch_scc1 .LBB46_3335
; %bb.3326:
	s_cmp_gt_i32 s0, 24
	s_cbranch_scc0 .LBB46_3336
; %bb.3327:
	s_wait_loadcnt 0x0
	global_load_u8 v1, v[22:23], off
	s_mov_b32 s8, 0
	s_mov_b32 s7, exec_lo
	s_wait_loadcnt 0x0
	v_cmpx_lt_i16_e32 0x7f, v1
	s_xor_b32 s7, exec_lo, s7
	s_cbranch_execz .LBB46_3348
; %bb.3328:
	v_cmp_ne_u16_e32 vcc_lo, 0x80, v1
	s_and_b32 s8, vcc_lo, exec_lo
	s_and_not1_saveexec_b32 s7, s7
	s_cbranch_execnz .LBB46_3349
.LBB46_3329:
	s_or_b32 exec_lo, exec_lo, s7
	v_mov_b32_e32 v20, 0
	s_and_saveexec_b32 s7, s8
	s_cbranch_execz .LBB46_3331
.LBB46_3330:
	v_and_b32_e32 v3, 0xffff, v1
	s_delay_alu instid0(VALU_DEP_1) | instskip(SKIP_1) | instid1(VALU_DEP_2)
	v_dual_lshlrev_b32 v1, 24, v1 :: v_dual_bitop2_b32 v5, 3, v3 bitop3:0x40
	v_bfe_u32 v11, v3, 2, 5
	v_and_b32_e32 v1, 0x80000000, v1
	s_delay_alu instid0(VALU_DEP_3) | instskip(NEXT) | instid1(VALU_DEP_3)
	v_clz_i32_u32_e32 v7, v5
	v_cmp_eq_u32_e32 vcc_lo, 0, v11
	s_delay_alu instid0(VALU_DEP_2) | instskip(NEXT) | instid1(VALU_DEP_1)
	v_min_u32_e32 v7, 32, v7
	v_subrev_nc_u32_e32 v9, 29, v7
	v_sub_nc_u32_e32 v7, 30, v7
	s_delay_alu instid0(VALU_DEP_2) | instskip(NEXT) | instid1(VALU_DEP_2)
	v_lshlrev_b32_e32 v3, v9, v3
	v_cndmask_b32_e32 v7, v11, v7, vcc_lo
	s_delay_alu instid0(VALU_DEP_2) | instskip(NEXT) | instid1(VALU_DEP_1)
	v_and_b32_e32 v3, 3, v3
	v_cndmask_b32_e32 v3, v5, v3, vcc_lo
	s_delay_alu instid0(VALU_DEP_3) | instskip(NEXT) | instid1(VALU_DEP_2)
	v_lshl_add_u32 v5, v7, 23, 0x37800000
	v_lshlrev_b32_e32 v3, 21, v3
	s_delay_alu instid0(VALU_DEP_1) | instskip(NEXT) | instid1(VALU_DEP_1)
	v_or3_b32 v1, v1, v5, v3
	v_cvt_i32_f32_e32 v20, v1
.LBB46_3331:
	s_or_b32 exec_lo, exec_lo, s7
	s_mov_b32 s7, 0
	s_branch .LBB46_3337
.LBB46_3332:
	s_mov_b32 s7, -1
                                        ; implicit-def: $vgpr20
	s_branch .LBB46_3343
.LBB46_3333:
	s_and_not1_saveexec_b32 s8, s8
	s_cbranch_execz .LBB46_3318
.LBB46_3334:
	v_cmp_ne_u16_e32 vcc_lo, 0, v1
	s_and_not1_b32 s9, s9, exec_lo
	s_and_b32 s13, vcc_lo, exec_lo
	s_delay_alu instid0(SALU_CYCLE_1)
	s_or_b32 s9, s9, s13
	s_or_b32 exec_lo, exec_lo, s8
	v_mov_b32_e32 v20, 0
	s_and_saveexec_b32 s8, s9
	s_cbranch_execnz .LBB46_3319
	s_branch .LBB46_3320
.LBB46_3335:
	s_mov_b32 s7, -1
                                        ; implicit-def: $vgpr20
	s_branch .LBB46_3340
.LBB46_3336:
	s_mov_b32 s7, -1
                                        ; implicit-def: $vgpr20
.LBB46_3337:
	s_delay_alu instid0(SALU_CYCLE_1)
	s_and_b32 vcc_lo, exec_lo, s7
	s_cbranch_vccz .LBB46_3339
; %bb.3338:
	s_wait_loadcnt 0x0
	global_load_u8 v1, v[22:23], off
	s_wait_loadcnt 0x0
	v_lshlrev_b32_e32 v1, 24, v1
	s_delay_alu instid0(VALU_DEP_1) | instskip(NEXT) | instid1(VALU_DEP_1)
	v_and_b32_e32 v3, 0x7f000000, v1
	v_clz_i32_u32_e32 v5, v3
	v_add_nc_u32_e32 v9, 0x1000000, v3
	v_cmp_ne_u32_e32 vcc_lo, 0, v3
	s_delay_alu instid0(VALU_DEP_3) | instskip(NEXT) | instid1(VALU_DEP_1)
	v_min_u32_e32 v5, 32, v5
	v_sub_nc_u32_e64 v5, v5, 4 clamp
	s_delay_alu instid0(VALU_DEP_1) | instskip(NEXT) | instid1(VALU_DEP_1)
	v_dual_lshlrev_b32 v7, v5, v3 :: v_dual_lshlrev_b32 v5, 23, v5
	v_lshrrev_b32_e32 v7, 4, v7
	s_delay_alu instid0(VALU_DEP_1) | instskip(SKIP_1) | instid1(VALU_DEP_2)
	v_sub_nc_u32_e32 v5, v7, v5
	v_ashrrev_i32_e32 v7, 8, v9
	v_add_nc_u32_e32 v5, 0x3c000000, v5
	s_delay_alu instid0(VALU_DEP_1) | instskip(NEXT) | instid1(VALU_DEP_1)
	v_and_or_b32 v5, 0x7f800000, v7, v5
	v_cndmask_b32_e32 v3, 0, v5, vcc_lo
	s_delay_alu instid0(VALU_DEP_1) | instskip(NEXT) | instid1(VALU_DEP_1)
	v_and_or_b32 v1, 0x80000000, v1, v3
	v_cvt_i32_f32_e32 v20, v1
.LBB46_3339:
	s_mov_b32 s7, 0
.LBB46_3340:
	s_delay_alu instid0(SALU_CYCLE_1)
	s_and_not1_b32 vcc_lo, exec_lo, s7
	s_cbranch_vccnz .LBB46_3342
; %bb.3341:
	s_wait_loadcnt 0x0
	global_load_u8 v1, v[22:23], off
	s_wait_loadcnt 0x0
	v_lshlrev_b32_e32 v3, 25, v1
	v_lshlrev_b16 v1, 8, v1
	s_delay_alu instid0(VALU_DEP_1) | instskip(SKIP_1) | instid1(VALU_DEP_2)
	v_and_or_b32 v7, 0x7f00, v1, 0.5
	v_bfe_i32 v1, v1, 0, 16
	v_add_f32_e32 v7, -0.5, v7
	v_lshrrev_b32_e32 v5, 4, v3
	v_cmp_gt_u32_e32 vcc_lo, 0x8000000, v3
	s_delay_alu instid0(VALU_DEP_2) | instskip(NEXT) | instid1(VALU_DEP_1)
	v_or_b32_e32 v5, 0x70000000, v5
	v_mul_f32_e32 v5, 0x7800000, v5
	s_delay_alu instid0(VALU_DEP_1) | instskip(NEXT) | instid1(VALU_DEP_1)
	v_cndmask_b32_e32 v3, v5, v7, vcc_lo
	v_and_or_b32 v1, 0x80000000, v1, v3
	s_delay_alu instid0(VALU_DEP_1)
	v_cvt_i32_f32_e32 v20, v1
.LBB46_3342:
	s_mov_b32 s7, 0
	s_mov_b32 s8, -1
.LBB46_3343:
	s_and_not1_b32 vcc_lo, exec_lo, s7
	s_mov_b32 s7, 0
	s_cbranch_vccnz .LBB46_3354
; %bb.3344:
	s_cmp_gt_i32 s0, 14
	s_cbranch_scc0 .LBB46_3347
; %bb.3345:
	s_cmp_eq_u32 s0, 15
	s_cbranch_scc0 .LBB46_3350
; %bb.3346:
	s_wait_loadcnt 0x0
	global_load_u16 v1, v[22:23], off
	s_mov_b32 s6, 0
	s_mov_b32 s8, -1
	s_wait_loadcnt 0x0
	v_lshlrev_b32_e32 v1, 16, v1
	s_delay_alu instid0(VALU_DEP_1)
	v_cvt_i32_f32_e32 v20, v1
	s_branch .LBB46_3352
.LBB46_3347:
	s_mov_b32 s7, -1
	s_branch .LBB46_3351
.LBB46_3348:
	s_and_not1_saveexec_b32 s7, s7
	s_cbranch_execz .LBB46_3329
.LBB46_3349:
	v_cmp_ne_u16_e32 vcc_lo, 0, v1
	s_and_not1_b32 s8, s8, exec_lo
	s_and_b32 s9, vcc_lo, exec_lo
	s_delay_alu instid0(SALU_CYCLE_1)
	s_or_b32 s8, s8, s9
	s_or_b32 exec_lo, exec_lo, s7
	v_mov_b32_e32 v20, 0
	s_and_saveexec_b32 s7, s8
	s_cbranch_execnz .LBB46_3330
	s_branch .LBB46_3331
.LBB46_3350:
	s_mov_b32 s6, -1
.LBB46_3351:
                                        ; implicit-def: $vgpr20
.LBB46_3352:
	s_and_b32 vcc_lo, exec_lo, s7
	s_mov_b32 s7, 0
	s_cbranch_vccz .LBB46_3354
; %bb.3353:
	s_cmp_lg_u32 s0, 11
	s_mov_b32 s7, -1
	s_cselect_b32 s6, -1, 0
.LBB46_3354:
	s_delay_alu instid0(SALU_CYCLE_1)
	s_and_b32 vcc_lo, exec_lo, s6
	s_cbranch_vccnz .LBB46_3419
; %bb.3355:
	s_and_not1_b32 vcc_lo, exec_lo, s7
	s_cbranch_vccnz .LBB46_3357
.LBB46_3356:
	s_wait_loadcnt 0x0
	global_load_u8 v1, v[22:23], off
	s_mov_b32 s8, -1
	s_wait_loadcnt 0x0
	v_cmp_ne_u16_e32 vcc_lo, 0, v1
	v_cndmask_b32_e64 v20, 0, 1, vcc_lo
.LBB46_3357:
	s_mov_b32 s0, 0
.LBB46_3358:
	s_delay_alu instid0(SALU_CYCLE_1)
	s_and_b32 vcc_lo, exec_lo, s0
	s_cbranch_vccz .LBB46_3407
; %bb.3359:
	s_and_b32 s0, 0xffff, s3
	s_delay_alu instid0(SALU_CYCLE_1)
	s_cmp_lt_i32 s0, 5
	s_cbranch_scc1 .LBB46_3364
; %bb.3360:
	s_cmp_lt_i32 s0, 8
	s_cbranch_scc1 .LBB46_3365
; %bb.3361:
	;; [unrolled: 3-line block ×3, first 2 shown]
	s_cmp_gt_i32 s0, 9
	s_cbranch_scc0 .LBB46_3367
; %bb.3363:
	s_wait_loadcnt 0x0
	global_load_b64 v[20:21], v[22:23], off
	s_mov_b32 s3, 0
	s_wait_loadcnt 0x0
	v_cvt_i32_f64_e32 v20, v[20:21]
	s_branch .LBB46_3368
.LBB46_3364:
	s_mov_b32 s3, -1
                                        ; implicit-def: $vgpr20
	s_branch .LBB46_3386
.LBB46_3365:
	s_mov_b32 s3, -1
                                        ; implicit-def: $vgpr20
	s_branch .LBB46_3374
.LBB46_3366:
	s_mov_b32 s3, -1
                                        ; implicit-def: $vgpr20
	s_branch .LBB46_3371
.LBB46_3367:
	s_mov_b32 s3, -1
                                        ; implicit-def: $vgpr20
.LBB46_3368:
	s_delay_alu instid0(SALU_CYCLE_1)
	s_and_not1_b32 vcc_lo, exec_lo, s3
	s_cbranch_vccnz .LBB46_3370
; %bb.3369:
	s_wait_loadcnt 0x0
	global_load_b32 v1, v[22:23], off
	s_wait_loadcnt 0x0
	v_cvt_i32_f32_e32 v20, v1
.LBB46_3370:
	s_mov_b32 s3, 0
.LBB46_3371:
	s_delay_alu instid0(SALU_CYCLE_1)
	s_and_not1_b32 vcc_lo, exec_lo, s3
	s_cbranch_vccnz .LBB46_3373
; %bb.3372:
	s_wait_loadcnt 0x0
	global_load_b32 v1, v[22:23], off
	s_wait_loadcnt 0x0
	v_cvt_i16_f16_e32 v20, v1
.LBB46_3373:
	s_mov_b32 s3, 0
.LBB46_3374:
	s_delay_alu instid0(SALU_CYCLE_1)
	s_and_not1_b32 vcc_lo, exec_lo, s3
	s_cbranch_vccnz .LBB46_3385
; %bb.3375:
	s_cmp_lt_i32 s0, 6
	s_cbranch_scc1 .LBB46_3378
; %bb.3376:
	s_cmp_gt_i32 s0, 6
	s_cbranch_scc0 .LBB46_3379
; %bb.3377:
	s_wait_loadcnt 0x0
	global_load_b64 v[20:21], v[22:23], off
	s_mov_b32 s3, 0
	s_wait_loadcnt 0x0
	v_cvt_i32_f64_e32 v20, v[20:21]
	s_branch .LBB46_3380
.LBB46_3378:
	s_mov_b32 s3, -1
                                        ; implicit-def: $vgpr20
	s_branch .LBB46_3383
.LBB46_3379:
	s_mov_b32 s3, -1
                                        ; implicit-def: $vgpr20
.LBB46_3380:
	s_delay_alu instid0(SALU_CYCLE_1)
	s_and_not1_b32 vcc_lo, exec_lo, s3
	s_cbranch_vccnz .LBB46_3382
; %bb.3381:
	s_wait_loadcnt 0x0
	global_load_b32 v1, v[22:23], off
	s_wait_loadcnt 0x0
	v_cvt_i32_f32_e32 v20, v1
.LBB46_3382:
	s_mov_b32 s3, 0
.LBB46_3383:
	s_delay_alu instid0(SALU_CYCLE_1)
	s_and_not1_b32 vcc_lo, exec_lo, s3
	s_cbranch_vccnz .LBB46_3385
; %bb.3384:
	s_wait_loadcnt 0x0
	global_load_u16 v1, v[22:23], off
	s_wait_loadcnt 0x0
	v_cvt_i16_f16_e32 v20, v1
.LBB46_3385:
	s_mov_b32 s3, 0
.LBB46_3386:
	s_delay_alu instid0(SALU_CYCLE_1)
	s_and_not1_b32 vcc_lo, exec_lo, s3
	s_cbranch_vccnz .LBB46_3406
; %bb.3387:
	s_cmp_lt_i32 s0, 2
	s_cbranch_scc1 .LBB46_3391
; %bb.3388:
	s_cmp_lt_i32 s0, 3
	s_cbranch_scc1 .LBB46_3392
; %bb.3389:
	s_cmp_gt_i32 s0, 3
	s_cbranch_scc0 .LBB46_3393
; %bb.3390:
	s_wait_loadcnt 0x0
	global_load_b64 v[20:21], v[22:23], off
	s_mov_b32 s3, 0
	s_branch .LBB46_3394
.LBB46_3391:
	s_mov_b32 s3, -1
                                        ; implicit-def: $vgpr20
	s_branch .LBB46_3400
.LBB46_3392:
	s_mov_b32 s3, -1
                                        ; implicit-def: $vgpr20
	s_branch .LBB46_3397
.LBB46_3393:
	s_mov_b32 s3, -1
                                        ; implicit-def: $vgpr20
.LBB46_3394:
	s_delay_alu instid0(SALU_CYCLE_1)
	s_and_not1_b32 vcc_lo, exec_lo, s3
	s_cbranch_vccnz .LBB46_3396
; %bb.3395:
	s_wait_loadcnt 0x0
	global_load_b32 v20, v[22:23], off
.LBB46_3396:
	s_mov_b32 s3, 0
.LBB46_3397:
	s_delay_alu instid0(SALU_CYCLE_1)
	s_and_not1_b32 vcc_lo, exec_lo, s3
	s_cbranch_vccnz .LBB46_3399
; %bb.3398:
	s_wait_loadcnt 0x0
	global_load_u16 v20, v[22:23], off
.LBB46_3399:
	s_mov_b32 s3, 0
.LBB46_3400:
	s_delay_alu instid0(SALU_CYCLE_1)
	s_and_not1_b32 vcc_lo, exec_lo, s3
	s_cbranch_vccnz .LBB46_3406
; %bb.3401:
	s_cmp_gt_i32 s0, 0
	s_mov_b32 s0, 0
	s_cbranch_scc0 .LBB46_3403
; %bb.3402:
	s_wait_loadcnt 0x0
	global_load_u8 v20, v[22:23], off
	s_branch .LBB46_3404
.LBB46_3403:
	s_mov_b32 s0, -1
                                        ; implicit-def: $vgpr20
.LBB46_3404:
	s_delay_alu instid0(SALU_CYCLE_1)
	s_and_not1_b32 vcc_lo, exec_lo, s0
	s_cbranch_vccnz .LBB46_3406
; %bb.3405:
	s_wait_loadcnt 0x0
	global_load_u8 v20, v[22:23], off
.LBB46_3406:
	s_mov_b32 s8, -1
.LBB46_3407:
	s_delay_alu instid0(SALU_CYCLE_1)
	s_and_not1_b32 vcc_lo, exec_lo, s8
	s_cbranch_vccnz .LBB46_3968
; %bb.3408:
	s_wait_xcnt 0x0
	v_add_nc_u32_e32 v22, s15, v24
	s_cmp_lt_i32 s17, 11
	s_delay_alu instid0(VALU_DEP_1) | instskip(NEXT) | instid1(VALU_DEP_1)
	v_ashrrev_i32_e32 v23, 31, v22
	v_add_nc_u64_e32 v[24:25], s[10:11], v[22:23]
	s_cbranch_scc1 .LBB46_3415
; %bb.3409:
	s_and_b32 s0, 0xffff, s17
	s_mov_b32 s6, 0
	s_cmp_gt_i32 s0, 25
	s_cbranch_scc0 .LBB46_3416
; %bb.3410:
	s_cmp_gt_i32 s0, 28
	s_cbranch_scc0 .LBB46_3417
; %bb.3411:
	;; [unrolled: 3-line block ×4, first 2 shown]
	s_cmp_eq_u32 s0, 46
	s_mov_b32 s8, 0
	s_cbranch_scc0 .LBB46_3421
; %bb.3414:
	s_wait_loadcnt 0x0
	global_load_b32 v1, v[24:25], off
	s_mov_b32 s3, 0
	s_mov_b32 s7, -1
	s_wait_loadcnt 0x0
	v_lshlrev_b32_e32 v1, 16, v1
	s_delay_alu instid0(VALU_DEP_1)
	v_cvt_i32_f32_e32 v22, v1
	s_branch .LBB46_3423
.LBB46_3415:
	s_mov_b32 s0, -1
	s_mov_b32 s7, 0
                                        ; implicit-def: $vgpr22
	s_branch .LBB46_3485
.LBB46_3416:
	s_mov_b32 s8, -1
	s_mov_b32 s7, 0
	s_mov_b32 s3, 0
                                        ; implicit-def: $vgpr22
	s_branch .LBB46_3450
.LBB46_3417:
	s_mov_b32 s8, -1
	s_mov_b32 s7, 0
	s_mov_b32 s3, 0
                                        ; implicit-def: $vgpr22
	s_branch .LBB46_3433
.LBB46_3418:
	s_mov_b32 s8, -1
	s_mov_b32 s7, 0
	s_mov_b32 s3, 0
                                        ; implicit-def: $vgpr22
	s_branch .LBB46_3428
.LBB46_3419:
	s_or_b32 s16, s16, exec_lo
	s_trap 2
	s_cbranch_execz .LBB46_3356
	s_branch .LBB46_3357
.LBB46_3420:
	s_mov_b32 s8, -1
	s_mov_b32 s7, 0
	s_mov_b32 s3, 0
	s_branch .LBB46_3422
.LBB46_3421:
	s_mov_b32 s3, -1
	s_mov_b32 s7, 0
.LBB46_3422:
                                        ; implicit-def: $vgpr22
.LBB46_3423:
	s_and_b32 vcc_lo, exec_lo, s8
	s_cbranch_vccz .LBB46_3427
; %bb.3424:
	s_cmp_eq_u32 s0, 44
	s_cbranch_scc0 .LBB46_3426
; %bb.3425:
	s_wait_loadcnt 0x0
	global_load_u8 v1, v[24:25], off
	s_mov_b32 s3, 0
	s_mov_b32 s7, -1
	s_wait_loadcnt 0x0
	v_lshlrev_b32_e32 v3, 23, v1
	v_cmp_ne_u32_e32 vcc_lo, 0, v1
	s_delay_alu instid0(VALU_DEP_2) | instskip(NEXT) | instid1(VALU_DEP_1)
	v_cvt_i32_f32_e32 v3, v3
	v_cndmask_b32_e32 v22, 0, v3, vcc_lo
	s_branch .LBB46_3427
.LBB46_3426:
	s_mov_b32 s3, -1
                                        ; implicit-def: $vgpr22
.LBB46_3427:
	s_mov_b32 s8, 0
.LBB46_3428:
	s_delay_alu instid0(SALU_CYCLE_1)
	s_and_b32 vcc_lo, exec_lo, s8
	s_cbranch_vccz .LBB46_3432
; %bb.3429:
	s_cmp_eq_u32 s0, 29
	s_cbranch_scc0 .LBB46_3431
; %bb.3430:
	global_load_b64 v[22:23], v[24:25], off
	s_mov_b32 s3, 0
	s_mov_b32 s7, -1
	s_branch .LBB46_3432
.LBB46_3431:
	s_mov_b32 s3, -1
                                        ; implicit-def: $vgpr22
.LBB46_3432:
	s_mov_b32 s8, 0
.LBB46_3433:
	s_delay_alu instid0(SALU_CYCLE_1)
	s_and_b32 vcc_lo, exec_lo, s8
	s_cbranch_vccz .LBB46_3449
; %bb.3434:
	s_cmp_lt_i32 s0, 27
	s_cbranch_scc1 .LBB46_3437
; %bb.3435:
	s_cmp_gt_i32 s0, 27
	s_cbranch_scc0 .LBB46_3438
; %bb.3436:
	s_wait_loadcnt 0x0
	global_load_b32 v22, v[24:25], off
	s_mov_b32 s7, 0
	s_branch .LBB46_3439
.LBB46_3437:
	s_mov_b32 s7, -1
                                        ; implicit-def: $vgpr22
	s_branch .LBB46_3442
.LBB46_3438:
	s_mov_b32 s7, -1
                                        ; implicit-def: $vgpr22
.LBB46_3439:
	s_delay_alu instid0(SALU_CYCLE_1)
	s_and_not1_b32 vcc_lo, exec_lo, s7
	s_cbranch_vccnz .LBB46_3441
; %bb.3440:
	s_wait_loadcnt 0x0
	global_load_u16 v22, v[24:25], off
.LBB46_3441:
	s_mov_b32 s7, 0
.LBB46_3442:
	s_delay_alu instid0(SALU_CYCLE_1)
	s_and_not1_b32 vcc_lo, exec_lo, s7
	s_cbranch_vccnz .LBB46_3448
; %bb.3443:
	s_wait_loadcnt 0x0
	global_load_u8 v1, v[24:25], off
	s_mov_b32 s8, 0
	s_mov_b32 s7, exec_lo
	s_wait_loadcnt 0x0
	v_cmpx_lt_i16_e32 0x7f, v1
	s_xor_b32 s7, exec_lo, s7
	s_cbranch_execz .LBB46_3460
; %bb.3444:
	v_cmp_ne_u16_e32 vcc_lo, 0x80, v1
	s_and_b32 s8, vcc_lo, exec_lo
	s_and_not1_saveexec_b32 s7, s7
	s_cbranch_execnz .LBB46_3461
.LBB46_3445:
	s_or_b32 exec_lo, exec_lo, s7
	v_mov_b32_e32 v22, 0
	s_and_saveexec_b32 s7, s8
	s_cbranch_execz .LBB46_3447
.LBB46_3446:
	v_and_b32_e32 v3, 0xffff, v1
	s_delay_alu instid0(VALU_DEP_1) | instskip(SKIP_1) | instid1(VALU_DEP_2)
	v_dual_lshlrev_b32 v1, 24, v1 :: v_dual_bitop2_b32 v5, 7, v3 bitop3:0x40
	v_bfe_u32 v11, v3, 3, 4
	v_and_b32_e32 v1, 0x80000000, v1
	s_delay_alu instid0(VALU_DEP_3) | instskip(NEXT) | instid1(VALU_DEP_3)
	v_clz_i32_u32_e32 v7, v5
	v_cmp_eq_u32_e32 vcc_lo, 0, v11
	s_delay_alu instid0(VALU_DEP_2) | instskip(NEXT) | instid1(VALU_DEP_1)
	v_min_u32_e32 v7, 32, v7
	v_subrev_nc_u32_e32 v9, 28, v7
	v_sub_nc_u32_e32 v7, 29, v7
	s_delay_alu instid0(VALU_DEP_2) | instskip(NEXT) | instid1(VALU_DEP_2)
	v_lshlrev_b32_e32 v3, v9, v3
	v_cndmask_b32_e32 v7, v11, v7, vcc_lo
	s_delay_alu instid0(VALU_DEP_2) | instskip(NEXT) | instid1(VALU_DEP_1)
	v_and_b32_e32 v3, 7, v3
	v_cndmask_b32_e32 v3, v5, v3, vcc_lo
	s_delay_alu instid0(VALU_DEP_3) | instskip(NEXT) | instid1(VALU_DEP_2)
	v_lshl_add_u32 v5, v7, 23, 0x3b800000
	v_lshlrev_b32_e32 v3, 20, v3
	s_delay_alu instid0(VALU_DEP_1) | instskip(NEXT) | instid1(VALU_DEP_1)
	v_or3_b32 v1, v1, v5, v3
	v_cvt_i32_f32_e32 v22, v1
.LBB46_3447:
	s_or_b32 exec_lo, exec_lo, s7
.LBB46_3448:
	s_mov_b32 s7, -1
.LBB46_3449:
	s_mov_b32 s8, 0
.LBB46_3450:
	s_delay_alu instid0(SALU_CYCLE_1)
	s_and_b32 vcc_lo, exec_lo, s8
	s_cbranch_vccz .LBB46_3481
; %bb.3451:
	s_cmp_gt_i32 s0, 22
	s_cbranch_scc0 .LBB46_3459
; %bb.3452:
	s_cmp_lt_i32 s0, 24
	s_cbranch_scc1 .LBB46_3462
; %bb.3453:
	s_cmp_gt_i32 s0, 24
	s_cbranch_scc0 .LBB46_3463
; %bb.3454:
	s_wait_loadcnt 0x0
	global_load_u8 v1, v[24:25], off
	s_mov_b32 s7, 0
	s_mov_b32 s6, exec_lo
	s_wait_loadcnt 0x0
	v_cmpx_lt_i16_e32 0x7f, v1
	s_xor_b32 s6, exec_lo, s6
	s_cbranch_execz .LBB46_3475
; %bb.3455:
	v_cmp_ne_u16_e32 vcc_lo, 0x80, v1
	s_and_b32 s7, vcc_lo, exec_lo
	s_and_not1_saveexec_b32 s6, s6
	s_cbranch_execnz .LBB46_3476
.LBB46_3456:
	s_or_b32 exec_lo, exec_lo, s6
	v_mov_b32_e32 v22, 0
	s_and_saveexec_b32 s6, s7
	s_cbranch_execz .LBB46_3458
.LBB46_3457:
	v_and_b32_e32 v3, 0xffff, v1
	s_delay_alu instid0(VALU_DEP_1) | instskip(SKIP_1) | instid1(VALU_DEP_2)
	v_dual_lshlrev_b32 v1, 24, v1 :: v_dual_bitop2_b32 v5, 3, v3 bitop3:0x40
	v_bfe_u32 v11, v3, 2, 5
	v_and_b32_e32 v1, 0x80000000, v1
	s_delay_alu instid0(VALU_DEP_3) | instskip(NEXT) | instid1(VALU_DEP_3)
	v_clz_i32_u32_e32 v7, v5
	v_cmp_eq_u32_e32 vcc_lo, 0, v11
	s_delay_alu instid0(VALU_DEP_2) | instskip(NEXT) | instid1(VALU_DEP_1)
	v_min_u32_e32 v7, 32, v7
	v_subrev_nc_u32_e32 v9, 29, v7
	v_sub_nc_u32_e32 v7, 30, v7
	s_delay_alu instid0(VALU_DEP_2) | instskip(NEXT) | instid1(VALU_DEP_2)
	v_lshlrev_b32_e32 v3, v9, v3
	v_cndmask_b32_e32 v7, v11, v7, vcc_lo
	s_delay_alu instid0(VALU_DEP_2) | instskip(NEXT) | instid1(VALU_DEP_1)
	v_and_b32_e32 v3, 3, v3
	v_cndmask_b32_e32 v3, v5, v3, vcc_lo
	s_delay_alu instid0(VALU_DEP_3) | instskip(NEXT) | instid1(VALU_DEP_2)
	v_lshl_add_u32 v5, v7, 23, 0x37800000
	v_lshlrev_b32_e32 v3, 21, v3
	s_delay_alu instid0(VALU_DEP_1) | instskip(NEXT) | instid1(VALU_DEP_1)
	v_or3_b32 v1, v1, v5, v3
	v_cvt_i32_f32_e32 v22, v1
.LBB46_3458:
	s_or_b32 exec_lo, exec_lo, s6
	s_mov_b32 s6, 0
	s_branch .LBB46_3464
.LBB46_3459:
	s_mov_b32 s6, -1
                                        ; implicit-def: $vgpr22
	s_branch .LBB46_3470
.LBB46_3460:
	s_and_not1_saveexec_b32 s7, s7
	s_cbranch_execz .LBB46_3445
.LBB46_3461:
	v_cmp_ne_u16_e32 vcc_lo, 0, v1
	s_and_not1_b32 s8, s8, exec_lo
	s_and_b32 s9, vcc_lo, exec_lo
	s_delay_alu instid0(SALU_CYCLE_1)
	s_or_b32 s8, s8, s9
	s_or_b32 exec_lo, exec_lo, s7
	v_mov_b32_e32 v22, 0
	s_and_saveexec_b32 s7, s8
	s_cbranch_execnz .LBB46_3446
	s_branch .LBB46_3447
.LBB46_3462:
	s_mov_b32 s6, -1
                                        ; implicit-def: $vgpr22
	s_branch .LBB46_3467
.LBB46_3463:
	s_mov_b32 s6, -1
                                        ; implicit-def: $vgpr22
.LBB46_3464:
	s_delay_alu instid0(SALU_CYCLE_1)
	s_and_b32 vcc_lo, exec_lo, s6
	s_cbranch_vccz .LBB46_3466
; %bb.3465:
	s_wait_loadcnt 0x0
	global_load_u8 v1, v[24:25], off
	s_wait_loadcnt 0x0
	v_lshlrev_b32_e32 v1, 24, v1
	s_delay_alu instid0(VALU_DEP_1) | instskip(NEXT) | instid1(VALU_DEP_1)
	v_and_b32_e32 v3, 0x7f000000, v1
	v_clz_i32_u32_e32 v5, v3
	v_add_nc_u32_e32 v9, 0x1000000, v3
	v_cmp_ne_u32_e32 vcc_lo, 0, v3
	s_delay_alu instid0(VALU_DEP_3) | instskip(NEXT) | instid1(VALU_DEP_1)
	v_min_u32_e32 v5, 32, v5
	v_sub_nc_u32_e64 v5, v5, 4 clamp
	s_delay_alu instid0(VALU_DEP_1) | instskip(NEXT) | instid1(VALU_DEP_1)
	v_dual_lshlrev_b32 v7, v5, v3 :: v_dual_lshlrev_b32 v5, 23, v5
	v_lshrrev_b32_e32 v7, 4, v7
	s_delay_alu instid0(VALU_DEP_1) | instskip(SKIP_1) | instid1(VALU_DEP_2)
	v_sub_nc_u32_e32 v5, v7, v5
	v_ashrrev_i32_e32 v7, 8, v9
	v_add_nc_u32_e32 v5, 0x3c000000, v5
	s_delay_alu instid0(VALU_DEP_1) | instskip(NEXT) | instid1(VALU_DEP_1)
	v_and_or_b32 v5, 0x7f800000, v7, v5
	v_cndmask_b32_e32 v3, 0, v5, vcc_lo
	s_delay_alu instid0(VALU_DEP_1) | instskip(NEXT) | instid1(VALU_DEP_1)
	v_and_or_b32 v1, 0x80000000, v1, v3
	v_cvt_i32_f32_e32 v22, v1
.LBB46_3466:
	s_mov_b32 s6, 0
.LBB46_3467:
	s_delay_alu instid0(SALU_CYCLE_1)
	s_and_not1_b32 vcc_lo, exec_lo, s6
	s_cbranch_vccnz .LBB46_3469
; %bb.3468:
	s_wait_loadcnt 0x0
	global_load_u8 v1, v[24:25], off
	s_wait_loadcnt 0x0
	v_lshlrev_b32_e32 v3, 25, v1
	v_lshlrev_b16 v1, 8, v1
	s_delay_alu instid0(VALU_DEP_1) | instskip(SKIP_1) | instid1(VALU_DEP_2)
	v_and_or_b32 v7, 0x7f00, v1, 0.5
	v_bfe_i32 v1, v1, 0, 16
	v_add_f32_e32 v7, -0.5, v7
	v_lshrrev_b32_e32 v5, 4, v3
	v_cmp_gt_u32_e32 vcc_lo, 0x8000000, v3
	s_delay_alu instid0(VALU_DEP_2) | instskip(NEXT) | instid1(VALU_DEP_1)
	v_or_b32_e32 v5, 0x70000000, v5
	v_mul_f32_e32 v5, 0x7800000, v5
	s_delay_alu instid0(VALU_DEP_1) | instskip(NEXT) | instid1(VALU_DEP_1)
	v_cndmask_b32_e32 v3, v5, v7, vcc_lo
	v_and_or_b32 v1, 0x80000000, v1, v3
	s_delay_alu instid0(VALU_DEP_1)
	v_cvt_i32_f32_e32 v22, v1
.LBB46_3469:
	s_mov_b32 s6, 0
	s_mov_b32 s7, -1
.LBB46_3470:
	s_and_not1_b32 vcc_lo, exec_lo, s6
	s_mov_b32 s6, 0
	s_cbranch_vccnz .LBB46_3481
; %bb.3471:
	s_cmp_gt_i32 s0, 14
	s_cbranch_scc0 .LBB46_3474
; %bb.3472:
	s_cmp_eq_u32 s0, 15
	s_cbranch_scc0 .LBB46_3477
; %bb.3473:
	s_wait_loadcnt 0x0
	global_load_u16 v1, v[24:25], off
	s_mov_b32 s3, 0
	s_mov_b32 s7, -1
	s_wait_loadcnt 0x0
	v_lshlrev_b32_e32 v1, 16, v1
	s_delay_alu instid0(VALU_DEP_1)
	v_cvt_i32_f32_e32 v22, v1
	s_branch .LBB46_3479
.LBB46_3474:
	s_mov_b32 s6, -1
	s_branch .LBB46_3478
.LBB46_3475:
	s_and_not1_saveexec_b32 s6, s6
	s_cbranch_execz .LBB46_3456
.LBB46_3476:
	v_cmp_ne_u16_e32 vcc_lo, 0, v1
	s_and_not1_b32 s7, s7, exec_lo
	s_and_b32 s8, vcc_lo, exec_lo
	s_delay_alu instid0(SALU_CYCLE_1)
	s_or_b32 s7, s7, s8
	s_or_b32 exec_lo, exec_lo, s6
	v_mov_b32_e32 v22, 0
	s_and_saveexec_b32 s6, s7
	s_cbranch_execnz .LBB46_3457
	s_branch .LBB46_3458
.LBB46_3477:
	s_mov_b32 s3, -1
.LBB46_3478:
                                        ; implicit-def: $vgpr22
.LBB46_3479:
	s_and_b32 vcc_lo, exec_lo, s6
	s_mov_b32 s6, 0
	s_cbranch_vccz .LBB46_3481
; %bb.3480:
	s_cmp_lg_u32 s0, 11
	s_mov_b32 s6, -1
	s_cselect_b32 s3, -1, 0
.LBB46_3481:
	s_delay_alu instid0(SALU_CYCLE_1)
	s_and_b32 vcc_lo, exec_lo, s3
	s_cbranch_vccnz .LBB46_4014
; %bb.3482:
	s_and_not1_b32 vcc_lo, exec_lo, s6
	s_cbranch_vccnz .LBB46_3484
.LBB46_3483:
	s_wait_loadcnt 0x0
	global_load_u8 v1, v[24:25], off
	s_mov_b32 s7, -1
	s_wait_loadcnt 0x0
	v_cmp_ne_u16_e32 vcc_lo, 0, v1
	v_cndmask_b32_e64 v22, 0, 1, vcc_lo
.LBB46_3484:
	s_mov_b32 s0, 0
.LBB46_3485:
	s_delay_alu instid0(SALU_CYCLE_1)
	s_and_b32 vcc_lo, exec_lo, s0
	s_cbranch_vccz .LBB46_3534
; %bb.3486:
	s_and_b32 s0, 0xffff, s17
	s_delay_alu instid0(SALU_CYCLE_1)
	s_cmp_lt_i32 s0, 5
	s_cbranch_scc1 .LBB46_3491
; %bb.3487:
	s_cmp_lt_i32 s0, 8
	s_cbranch_scc1 .LBB46_3492
; %bb.3488:
	;; [unrolled: 3-line block ×3, first 2 shown]
	s_cmp_gt_i32 s0, 9
	s_cbranch_scc0 .LBB46_3494
; %bb.3490:
	s_wait_loadcnt 0x0
	global_load_b64 v[22:23], v[24:25], off
	s_mov_b32 s3, 0
	s_wait_loadcnt 0x0
	v_cvt_i32_f64_e32 v22, v[22:23]
	s_branch .LBB46_3495
.LBB46_3491:
	s_mov_b32 s3, -1
                                        ; implicit-def: $vgpr22
	s_branch .LBB46_3513
.LBB46_3492:
	s_mov_b32 s3, -1
                                        ; implicit-def: $vgpr22
	s_branch .LBB46_3501
.LBB46_3493:
	s_mov_b32 s3, -1
                                        ; implicit-def: $vgpr22
	s_branch .LBB46_3498
.LBB46_3494:
	s_mov_b32 s3, -1
                                        ; implicit-def: $vgpr22
.LBB46_3495:
	s_delay_alu instid0(SALU_CYCLE_1)
	s_and_not1_b32 vcc_lo, exec_lo, s3
	s_cbranch_vccnz .LBB46_3497
; %bb.3496:
	s_wait_loadcnt 0x0
	global_load_b32 v1, v[24:25], off
	s_wait_loadcnt 0x0
	v_cvt_i32_f32_e32 v22, v1
.LBB46_3497:
	s_mov_b32 s3, 0
.LBB46_3498:
	s_delay_alu instid0(SALU_CYCLE_1)
	s_and_not1_b32 vcc_lo, exec_lo, s3
	s_cbranch_vccnz .LBB46_3500
; %bb.3499:
	s_wait_loadcnt 0x0
	global_load_b32 v1, v[24:25], off
	s_wait_loadcnt 0x0
	v_cvt_i16_f16_e32 v22, v1
.LBB46_3500:
	s_mov_b32 s3, 0
.LBB46_3501:
	s_delay_alu instid0(SALU_CYCLE_1)
	s_and_not1_b32 vcc_lo, exec_lo, s3
	s_cbranch_vccnz .LBB46_3512
; %bb.3502:
	s_cmp_lt_i32 s0, 6
	s_cbranch_scc1 .LBB46_3505
; %bb.3503:
	s_cmp_gt_i32 s0, 6
	s_cbranch_scc0 .LBB46_3506
; %bb.3504:
	s_wait_loadcnt 0x0
	global_load_b64 v[22:23], v[24:25], off
	s_mov_b32 s3, 0
	s_wait_loadcnt 0x0
	v_cvt_i32_f64_e32 v22, v[22:23]
	s_branch .LBB46_3507
.LBB46_3505:
	s_mov_b32 s3, -1
                                        ; implicit-def: $vgpr22
	s_branch .LBB46_3510
.LBB46_3506:
	s_mov_b32 s3, -1
                                        ; implicit-def: $vgpr22
.LBB46_3507:
	s_delay_alu instid0(SALU_CYCLE_1)
	s_and_not1_b32 vcc_lo, exec_lo, s3
	s_cbranch_vccnz .LBB46_3509
; %bb.3508:
	s_wait_loadcnt 0x0
	global_load_b32 v1, v[24:25], off
	s_wait_loadcnt 0x0
	v_cvt_i32_f32_e32 v22, v1
.LBB46_3509:
	s_mov_b32 s3, 0
.LBB46_3510:
	s_delay_alu instid0(SALU_CYCLE_1)
	s_and_not1_b32 vcc_lo, exec_lo, s3
	s_cbranch_vccnz .LBB46_3512
; %bb.3511:
	s_wait_loadcnt 0x0
	global_load_u16 v1, v[24:25], off
	s_wait_loadcnt 0x0
	v_cvt_i16_f16_e32 v22, v1
.LBB46_3512:
	s_mov_b32 s3, 0
.LBB46_3513:
	s_delay_alu instid0(SALU_CYCLE_1)
	s_and_not1_b32 vcc_lo, exec_lo, s3
	s_cbranch_vccnz .LBB46_3533
; %bb.3514:
	s_cmp_lt_i32 s0, 2
	s_cbranch_scc1 .LBB46_3518
; %bb.3515:
	s_cmp_lt_i32 s0, 3
	s_cbranch_scc1 .LBB46_3519
; %bb.3516:
	s_cmp_gt_i32 s0, 3
	s_cbranch_scc0 .LBB46_3520
; %bb.3517:
	s_wait_loadcnt 0x0
	global_load_b64 v[22:23], v[24:25], off
	s_mov_b32 s3, 0
	s_branch .LBB46_3521
.LBB46_3518:
	s_mov_b32 s3, -1
                                        ; implicit-def: $vgpr22
	s_branch .LBB46_3527
.LBB46_3519:
	s_mov_b32 s3, -1
                                        ; implicit-def: $vgpr22
	s_branch .LBB46_3524
.LBB46_3520:
	s_mov_b32 s3, -1
                                        ; implicit-def: $vgpr22
.LBB46_3521:
	s_delay_alu instid0(SALU_CYCLE_1)
	s_and_not1_b32 vcc_lo, exec_lo, s3
	s_cbranch_vccnz .LBB46_3523
; %bb.3522:
	s_wait_loadcnt 0x0
	global_load_b32 v22, v[24:25], off
.LBB46_3523:
	s_mov_b32 s3, 0
.LBB46_3524:
	s_delay_alu instid0(SALU_CYCLE_1)
	s_and_not1_b32 vcc_lo, exec_lo, s3
	s_cbranch_vccnz .LBB46_3526
; %bb.3525:
	s_wait_loadcnt 0x0
	global_load_u16 v22, v[24:25], off
.LBB46_3526:
	s_mov_b32 s3, 0
.LBB46_3527:
	s_delay_alu instid0(SALU_CYCLE_1)
	s_and_not1_b32 vcc_lo, exec_lo, s3
	s_cbranch_vccnz .LBB46_3533
; %bb.3528:
	s_cmp_gt_i32 s0, 0
	s_mov_b32 s0, 0
	s_cbranch_scc0 .LBB46_3530
; %bb.3529:
	s_wait_loadcnt 0x0
	global_load_u8 v22, v[24:25], off
	s_branch .LBB46_3531
.LBB46_3530:
	s_mov_b32 s0, -1
                                        ; implicit-def: $vgpr22
.LBB46_3531:
	s_delay_alu instid0(SALU_CYCLE_1)
	s_and_not1_b32 vcc_lo, exec_lo, s0
	s_cbranch_vccnz .LBB46_3533
; %bb.3532:
	s_wait_loadcnt 0x0
	global_load_u8 v22, v[24:25], off
.LBB46_3533:
	s_mov_b32 s7, -1
.LBB46_3534:
	s_delay_alu instid0(SALU_CYCLE_1)
	s_and_not1_b32 vcc_lo, exec_lo, s7
	s_cbranch_vccnz .LBB46_3968
; %bb.3535:
	s_wait_xcnt 0x0
	v_mul_lo_u32 v24, s12, v26
	s_wait_loadcnt 0x0
	v_mul_lo_u16 v3, v0, s2
	v_mul_lo_u16 v2, v2, s1
	s_and_b32 s22, s18, 0xff
	s_delay_alu instid0(SALU_CYCLE_1) | instskip(NEXT) | instid1(VALU_DEP_1)
	s_cmp_lt_i32 s22, 11
	v_mad_u16 v2, v2, v6, v3
	s_delay_alu instid0(VALU_DEP_4) | instskip(NEXT) | instid1(VALU_DEP_1)
	v_ashrrev_i32_e32 v25, 31, v24
	v_add_nc_u64_e32 v[0:1], s[4:5], v[24:25]
	s_cbranch_scc1 .LBB46_3613
; %bb.3536:
	s_and_b32 s3, 0xffff, s22
	s_mov_b32 s8, -1
	s_mov_b32 s6, 0
	s_cmp_gt_i32 s3, 25
	s_mov_b32 s7, 0
	s_mov_b32 s0, 0
	s_cbranch_scc0 .LBB46_3569
; %bb.3537:
	s_cmp_gt_i32 s3, 28
	s_cbranch_scc0 .LBB46_3552
; %bb.3538:
	s_cmp_gt_i32 s3, 43
	;; [unrolled: 3-line block ×3, first 2 shown]
	s_cbranch_scc0 .LBB46_3542
; %bb.3540:
	s_mov_b32 s0, -1
	s_mov_b32 s8, 0
	s_cmp_eq_u32 s3, 46
	s_cbranch_scc0 .LBB46_3542
; %bb.3541:
	v_bfe_i32 v3, v2, 0, 8
	s_mov_b32 s0, 0
	s_mov_b32 s7, -1
	s_delay_alu instid0(VALU_DEP_1) | instskip(NEXT) | instid1(VALU_DEP_1)
	v_bfe_i32 v3, v3, 0, 16
	v_cvt_f32_i32_e32 v3, v3
	s_delay_alu instid0(VALU_DEP_1) | instskip(NEXT) | instid1(VALU_DEP_1)
	v_bfe_u32 v5, v3, 16, 1
	v_add3_u32 v3, v3, v5, 0x7fff
	s_delay_alu instid0(VALU_DEP_1)
	v_lshrrev_b32_e32 v3, 16, v3
	global_store_b32 v[0:1], v3, off
.LBB46_3542:
	s_and_b32 vcc_lo, exec_lo, s8
	s_cbranch_vccz .LBB46_3547
; %bb.3543:
	s_cmp_eq_u32 s3, 44
	s_mov_b32 s0, -1
	s_cbranch_scc0 .LBB46_3547
; %bb.3544:
	s_wait_xcnt 0x0
	v_bfe_i32 v3, v2, 0, 8
	v_mov_b32_e32 v5, 0xff
	s_mov_b32 s7, exec_lo
	s_delay_alu instid0(VALU_DEP_2) | instskip(NEXT) | instid1(VALU_DEP_1)
	v_bfe_i32 v3, v3, 0, 16
	v_cvt_f32_i32_e32 v3, v3
	s_delay_alu instid0(VALU_DEP_1) | instskip(NEXT) | instid1(VALU_DEP_1)
	v_bfe_u32 v6, v3, 23, 8
	v_cmpx_ne_u32_e32 0xff, v6
	s_cbranch_execz .LBB46_3546
; %bb.3545:
	v_and_b32_e32 v5, 0x400000, v3
	v_and_or_b32 v6, 0x3fffff, v3, v6
	v_lshrrev_b32_e32 v3, 23, v3
	s_delay_alu instid0(VALU_DEP_3) | instskip(NEXT) | instid1(VALU_DEP_3)
	v_cmp_ne_u32_e32 vcc_lo, 0, v5
	v_cmp_ne_u32_e64 s0, 0, v6
	s_and_b32 s0, vcc_lo, s0
	s_delay_alu instid0(SALU_CYCLE_1) | instskip(NEXT) | instid1(VALU_DEP_1)
	v_cndmask_b32_e64 v5, 0, 1, s0
	v_add_nc_u32_e32 v5, v3, v5
.LBB46_3546:
	s_or_b32 exec_lo, exec_lo, s7
	s_mov_b32 s0, 0
	s_mov_b32 s7, -1
	global_store_b8 v[0:1], v5, off
.LBB46_3547:
	s_mov_b32 s8, 0
.LBB46_3548:
	s_delay_alu instid0(SALU_CYCLE_1)
	s_and_b32 vcc_lo, exec_lo, s8
	s_cbranch_vccz .LBB46_3551
; %bb.3549:
	s_cmp_eq_u32 s3, 29
	s_mov_b32 s0, -1
	s_cbranch_scc0 .LBB46_3551
; %bb.3550:
	v_bfe_i32 v6, v2, 0, 8
	s_mov_b32 s0, 0
	s_mov_b32 s7, -1
	s_delay_alu instid0(VALU_DEP_1)
	v_ashrrev_i32_e32 v7, 31, v6
	global_store_b64 v[0:1], v[6:7], off
.LBB46_3551:
	s_mov_b32 s8, 0
.LBB46_3552:
	s_delay_alu instid0(SALU_CYCLE_1)
	s_and_b32 vcc_lo, exec_lo, s8
	s_cbranch_vccz .LBB46_3568
; %bb.3553:
	s_cmp_lt_i32 s3, 27
	s_mov_b32 s7, -1
	s_cbranch_scc1 .LBB46_3559
; %bb.3554:
	s_cmp_gt_i32 s3, 27
	s_cbranch_scc0 .LBB46_3556
; %bb.3555:
	s_wait_xcnt 0x0
	v_bfe_i32 v3, v2, 0, 8
	s_mov_b32 s7, 0
	global_store_b32 v[0:1], v3, off
.LBB46_3556:
	s_and_not1_b32 vcc_lo, exec_lo, s7
	s_cbranch_vccnz .LBB46_3558
; %bb.3557:
	s_wait_xcnt 0x0
	v_bfe_i32 v3, v2, 0, 8
	global_store_b16 v[0:1], v3, off
.LBB46_3558:
	s_mov_b32 s7, 0
.LBB46_3559:
	s_delay_alu instid0(SALU_CYCLE_1)
	s_and_not1_b32 vcc_lo, exec_lo, s7
	s_cbranch_vccnz .LBB46_3567
; %bb.3560:
	s_wait_xcnt 0x0
	v_bfe_i32 v3, v2, 0, 8
	v_mov_b32_e32 v6, 0x80
	s_mov_b32 s7, exec_lo
	s_delay_alu instid0(VALU_DEP_2) | instskip(NEXT) | instid1(VALU_DEP_1)
	v_bfe_i32 v3, v3, 0, 16
	v_cvt_f32_i32_e32 v3, v3
	s_delay_alu instid0(VALU_DEP_1) | instskip(NEXT) | instid1(VALU_DEP_1)
	v_and_b32_e32 v5, 0x7fffffff, v3
	v_cmpx_gt_u32_e32 0x43800000, v5
	s_cbranch_execz .LBB46_3566
; %bb.3561:
	v_cmp_lt_u32_e32 vcc_lo, 0x3bffffff, v5
	s_mov_b32 s8, 0
                                        ; implicit-def: $vgpr5
	s_and_saveexec_b32 s9, vcc_lo
	s_delay_alu instid0(SALU_CYCLE_1)
	s_xor_b32 s9, exec_lo, s9
	s_cbranch_execz .LBB46_4015
; %bb.3562:
	v_bfe_u32 v5, v3, 20, 1
	s_mov_b32 s8, exec_lo
	s_delay_alu instid0(VALU_DEP_1) | instskip(NEXT) | instid1(VALU_DEP_1)
	v_add3_u32 v5, v3, v5, 0x487ffff
	v_lshrrev_b32_e32 v5, 20, v5
	s_and_not1_saveexec_b32 s9, s9
	s_cbranch_execnz .LBB46_4016
.LBB46_3563:
	s_or_b32 exec_lo, exec_lo, s9
	v_mov_b32_e32 v6, 0
	s_and_saveexec_b32 s9, s8
.LBB46_3564:
	v_lshrrev_b32_e32 v3, 24, v3
	s_delay_alu instid0(VALU_DEP_1)
	v_and_or_b32 v6, 0x80, v3, v5
.LBB46_3565:
	s_or_b32 exec_lo, exec_lo, s9
.LBB46_3566:
	s_delay_alu instid0(SALU_CYCLE_1)
	s_or_b32 exec_lo, exec_lo, s7
	global_store_b8 v[0:1], v6, off
.LBB46_3567:
	s_mov_b32 s7, -1
.LBB46_3568:
	s_mov_b32 s8, 0
.LBB46_3569:
	s_delay_alu instid0(SALU_CYCLE_1)
	s_and_b32 vcc_lo, exec_lo, s8
	s_cbranch_vccz .LBB46_3609
; %bb.3570:
	s_cmp_gt_i32 s3, 22
	s_mov_b32 s6, -1
	s_cbranch_scc0 .LBB46_3602
; %bb.3571:
	s_cmp_lt_i32 s3, 24
	s_cbranch_scc1 .LBB46_3591
; %bb.3572:
	s_cmp_gt_i32 s3, 24
	s_cbranch_scc0 .LBB46_3580
; %bb.3573:
	s_wait_xcnt 0x0
	v_bfe_i32 v3, v2, 0, 8
	v_mov_b32_e32 v6, 0x80
	s_mov_b32 s6, exec_lo
	s_delay_alu instid0(VALU_DEP_2) | instskip(NEXT) | instid1(VALU_DEP_1)
	v_bfe_i32 v3, v3, 0, 16
	v_cvt_f32_i32_e32 v3, v3
	s_delay_alu instid0(VALU_DEP_1) | instskip(NEXT) | instid1(VALU_DEP_1)
	v_and_b32_e32 v5, 0x7fffffff, v3
	v_cmpx_gt_u32_e32 0x47800000, v5
	s_cbranch_execz .LBB46_3579
; %bb.3574:
	v_cmp_lt_u32_e32 vcc_lo, 0x37ffffff, v5
	s_mov_b32 s7, 0
                                        ; implicit-def: $vgpr5
	s_and_saveexec_b32 s8, vcc_lo
	s_delay_alu instid0(SALU_CYCLE_1)
	s_xor_b32 s8, exec_lo, s8
	s_cbranch_execz .LBB46_4018
; %bb.3575:
	v_bfe_u32 v5, v3, 21, 1
	s_mov_b32 s7, exec_lo
	s_delay_alu instid0(VALU_DEP_1) | instskip(NEXT) | instid1(VALU_DEP_1)
	v_add3_u32 v5, v3, v5, 0x88fffff
	v_lshrrev_b32_e32 v5, 21, v5
	s_and_not1_saveexec_b32 s8, s8
	s_cbranch_execnz .LBB46_4019
.LBB46_3576:
	s_or_b32 exec_lo, exec_lo, s8
	v_mov_b32_e32 v6, 0
	s_and_saveexec_b32 s8, s7
.LBB46_3577:
	v_lshrrev_b32_e32 v3, 24, v3
	s_delay_alu instid0(VALU_DEP_1)
	v_and_or_b32 v6, 0x80, v3, v5
.LBB46_3578:
	s_or_b32 exec_lo, exec_lo, s8
.LBB46_3579:
	s_delay_alu instid0(SALU_CYCLE_1)
	s_or_b32 exec_lo, exec_lo, s6
	s_mov_b32 s6, 0
	global_store_b8 v[0:1], v6, off
.LBB46_3580:
	s_and_b32 vcc_lo, exec_lo, s6
	s_cbranch_vccz .LBB46_3590
; %bb.3581:
	s_wait_xcnt 0x0
	v_bfe_i32 v3, v2, 0, 8
	s_mov_b32 s6, exec_lo
                                        ; implicit-def: $vgpr5
	s_delay_alu instid0(VALU_DEP_1) | instskip(NEXT) | instid1(VALU_DEP_1)
	v_bfe_i32 v3, v3, 0, 16
	v_cvt_f32_i32_e32 v3, v3
	s_delay_alu instid0(VALU_DEP_1) | instskip(NEXT) | instid1(VALU_DEP_1)
	v_and_b32_e32 v6, 0x7fffffff, v3
	v_cmpx_gt_u32_e32 0x43f00000, v6
	s_xor_b32 s6, exec_lo, s6
	s_cbranch_execz .LBB46_3587
; %bb.3582:
	s_mov_b32 s7, exec_lo
                                        ; implicit-def: $vgpr5
	v_cmpx_lt_u32_e32 0x3c7fffff, v6
	s_xor_b32 s7, exec_lo, s7
; %bb.3583:
	v_bfe_u32 v5, v3, 20, 1
	s_delay_alu instid0(VALU_DEP_1) | instskip(NEXT) | instid1(VALU_DEP_1)
	v_add3_u32 v5, v3, v5, 0x407ffff
	v_and_b32_e32 v6, 0xff00000, v5
	v_lshrrev_b32_e32 v5, 20, v5
	s_delay_alu instid0(VALU_DEP_2) | instskip(NEXT) | instid1(VALU_DEP_2)
	v_cmp_ne_u32_e32 vcc_lo, 0x7f00000, v6
	v_cndmask_b32_e32 v5, 0x7e, v5, vcc_lo
; %bb.3584:
	s_and_not1_saveexec_b32 s7, s7
; %bb.3585:
	v_add_f32_e64 v5, 0x46800000, |v3|
; %bb.3586:
	s_or_b32 exec_lo, exec_lo, s7
                                        ; implicit-def: $vgpr6
.LBB46_3587:
	s_and_not1_saveexec_b32 s6, s6
; %bb.3588:
	v_mov_b32_e32 v5, 0x7f
	v_cmp_lt_u32_e32 vcc_lo, 0x7f800000, v6
	s_delay_alu instid0(VALU_DEP_2)
	v_cndmask_b32_e32 v5, 0x7e, v5, vcc_lo
; %bb.3589:
	s_or_b32 exec_lo, exec_lo, s6
	v_lshrrev_b32_e32 v3, 24, v3
	s_delay_alu instid0(VALU_DEP_1)
	v_and_or_b32 v3, 0x80, v3, v5
	global_store_b8 v[0:1], v3, off
.LBB46_3590:
	s_mov_b32 s6, 0
.LBB46_3591:
	s_delay_alu instid0(SALU_CYCLE_1)
	s_and_not1_b32 vcc_lo, exec_lo, s6
	s_cbranch_vccnz .LBB46_3601
; %bb.3592:
	s_wait_xcnt 0x0
	v_bfe_i32 v3, v2, 0, 8
	s_mov_b32 s6, exec_lo
                                        ; implicit-def: $vgpr5
	s_delay_alu instid0(VALU_DEP_1) | instskip(NEXT) | instid1(VALU_DEP_1)
	v_bfe_i32 v3, v3, 0, 16
	v_cvt_f32_i32_e32 v3, v3
	s_delay_alu instid0(VALU_DEP_1) | instskip(NEXT) | instid1(VALU_DEP_1)
	v_and_b32_e32 v6, 0x7fffffff, v3
	v_cmpx_gt_u32_e32 0x47800000, v6
	s_xor_b32 s6, exec_lo, s6
	s_cbranch_execz .LBB46_3598
; %bb.3593:
	s_mov_b32 s7, exec_lo
                                        ; implicit-def: $vgpr5
	v_cmpx_lt_u32_e32 0x387fffff, v6
	s_xor_b32 s7, exec_lo, s7
; %bb.3594:
	v_bfe_u32 v5, v3, 21, 1
	s_delay_alu instid0(VALU_DEP_1) | instskip(NEXT) | instid1(VALU_DEP_1)
	v_add3_u32 v5, v3, v5, 0x80fffff
	v_lshrrev_b32_e32 v5, 21, v5
; %bb.3595:
	s_and_not1_saveexec_b32 s7, s7
; %bb.3596:
	v_add_f32_e64 v5, 0x43000000, |v3|
; %bb.3597:
	s_or_b32 exec_lo, exec_lo, s7
                                        ; implicit-def: $vgpr6
.LBB46_3598:
	s_and_not1_saveexec_b32 s6, s6
; %bb.3599:
	v_mov_b32_e32 v5, 0x7f
	v_cmp_lt_u32_e32 vcc_lo, 0x7f800000, v6
	s_delay_alu instid0(VALU_DEP_2)
	v_cndmask_b32_e32 v5, 0x7c, v5, vcc_lo
; %bb.3600:
	s_or_b32 exec_lo, exec_lo, s6
	v_lshrrev_b32_e32 v3, 24, v3
	s_delay_alu instid0(VALU_DEP_1)
	v_and_or_b32 v3, 0x80, v3, v5
	global_store_b8 v[0:1], v3, off
.LBB46_3601:
	s_mov_b32 s6, 0
	s_mov_b32 s7, -1
.LBB46_3602:
	s_and_not1_b32 vcc_lo, exec_lo, s6
	s_mov_b32 s6, 0
	s_cbranch_vccnz .LBB46_3609
; %bb.3603:
	s_cmp_gt_i32 s3, 14
	s_mov_b32 s6, -1
	s_cbranch_scc0 .LBB46_3607
; %bb.3604:
	s_cmp_eq_u32 s3, 15
	s_mov_b32 s0, -1
	s_cbranch_scc0 .LBB46_3606
; %bb.3605:
	s_wait_xcnt 0x0
	v_bfe_i32 v3, v2, 0, 8
	s_mov_b32 s0, 0
	s_mov_b32 s7, -1
	s_delay_alu instid0(VALU_DEP_1) | instskip(NEXT) | instid1(VALU_DEP_1)
	v_bfe_i32 v3, v3, 0, 16
	v_cvt_f32_i32_e32 v3, v3
	s_delay_alu instid0(VALU_DEP_1) | instskip(NEXT) | instid1(VALU_DEP_1)
	v_bfe_u32 v5, v3, 16, 1
	v_add3_u32 v3, v3, v5, 0x7fff
	global_store_d16_hi_b16 v[0:1], v3, off
.LBB46_3606:
	s_mov_b32 s6, 0
.LBB46_3607:
	s_delay_alu instid0(SALU_CYCLE_1)
	s_and_b32 vcc_lo, exec_lo, s6
	s_mov_b32 s6, 0
	s_cbranch_vccz .LBB46_3609
; %bb.3608:
	s_cmp_lg_u32 s3, 11
	s_mov_b32 s6, -1
	s_cselect_b32 s0, -1, 0
.LBB46_3609:
	s_delay_alu instid0(SALU_CYCLE_1)
	s_and_b32 vcc_lo, exec_lo, s0
	s_cbranch_vccnz .LBB46_4017
; %bb.3610:
	s_and_not1_b32 vcc_lo, exec_lo, s6
	s_cbranch_vccnz .LBB46_3612
.LBB46_3611:
	s_wait_xcnt 0x0
	v_and_b32_e32 v3, 0xff, v2
	s_mov_b32 s7, -1
	s_delay_alu instid0(VALU_DEP_1)
	v_cmp_ne_u16_e32 vcc_lo, 0, v3
	v_cndmask_b32_e64 v3, 0, 1, vcc_lo
	global_store_b8 v[0:1], v3, off
.LBB46_3612:
	s_mov_b32 s0, 0
	s_branch .LBB46_3614
.LBB46_3613:
	s_mov_b32 s0, -1
	s_mov_b32 s7, 0
.LBB46_3614:
	s_and_b32 vcc_lo, exec_lo, s0
	s_cbranch_vccz .LBB46_3653
; %bb.3615:
	s_and_b32 s0, 0xffff, s22
	s_mov_b32 s3, -1
	s_cmp_lt_i32 s0, 5
	s_cbranch_scc1 .LBB46_3636
; %bb.3616:
	s_cmp_lt_i32 s0, 8
	s_cbranch_scc1 .LBB46_3626
; %bb.3617:
	;; [unrolled: 3-line block ×3, first 2 shown]
	s_cmp_gt_i32 s0, 9
	s_cbranch_scc0 .LBB46_3620
; %bb.3619:
	s_wait_xcnt 0x0
	v_bfe_i32 v3, v2, 0, 8
	v_mov_b32_e32 v28, 0
	s_mov_b32 s3, 0
	s_delay_alu instid0(VALU_DEP_2) | instskip(NEXT) | instid1(VALU_DEP_2)
	v_bfe_i32 v3, v3, 0, 16
	v_mov_b32_e32 v29, v28
	s_delay_alu instid0(VALU_DEP_2)
	v_cvt_f64_i32_e32 v[26:27], v3
	global_store_b128 v[0:1], v[26:29], off
.LBB46_3620:
	s_and_not1_b32 vcc_lo, exec_lo, s3
	s_cbranch_vccnz .LBB46_3622
; %bb.3621:
	s_wait_xcnt 0x0
	v_bfe_i32 v3, v2, 0, 8
	v_mov_b32_e32 v7, 0
	s_delay_alu instid0(VALU_DEP_2) | instskip(NEXT) | instid1(VALU_DEP_1)
	v_bfe_i32 v3, v3, 0, 16
	v_cvt_f32_i32_e32 v6, v3
	global_store_b64 v[0:1], v[6:7], off
.LBB46_3622:
	s_mov_b32 s3, 0
.LBB46_3623:
	s_delay_alu instid0(SALU_CYCLE_1)
	s_and_not1_b32 vcc_lo, exec_lo, s3
	s_cbranch_vccnz .LBB46_3625
; %bb.3624:
	s_wait_xcnt 0x0
	v_bfe_i32 v3, v2, 0, 8
	s_delay_alu instid0(VALU_DEP_1) | instskip(NEXT) | instid1(VALU_DEP_1)
	v_cvt_f16_i16_e32 v3, v3
	v_and_b32_e32 v3, 0xffff, v3
	global_store_b32 v[0:1], v3, off
.LBB46_3625:
	s_mov_b32 s3, 0
.LBB46_3626:
	s_delay_alu instid0(SALU_CYCLE_1)
	s_and_not1_b32 vcc_lo, exec_lo, s3
	s_cbranch_vccnz .LBB46_3635
; %bb.3627:
	s_cmp_lt_i32 s0, 6
	s_mov_b32 s3, -1
	s_cbranch_scc1 .LBB46_3633
; %bb.3628:
	s_cmp_gt_i32 s0, 6
	s_cbranch_scc0 .LBB46_3630
; %bb.3629:
	s_wait_xcnt 0x0
	v_bfe_i32 v3, v2, 0, 8
	s_mov_b32 s3, 0
	s_delay_alu instid0(VALU_DEP_1) | instskip(NEXT) | instid1(VALU_DEP_1)
	v_bfe_i32 v3, v3, 0, 16
	v_cvt_f64_i32_e32 v[6:7], v3
	global_store_b64 v[0:1], v[6:7], off
.LBB46_3630:
	s_and_not1_b32 vcc_lo, exec_lo, s3
	s_cbranch_vccnz .LBB46_3632
; %bb.3631:
	s_wait_xcnt 0x0
	v_bfe_i32 v3, v2, 0, 8
	s_delay_alu instid0(VALU_DEP_1) | instskip(NEXT) | instid1(VALU_DEP_1)
	v_bfe_i32 v3, v3, 0, 16
	v_cvt_f32_i32_e32 v3, v3
	global_store_b32 v[0:1], v3, off
.LBB46_3632:
	s_mov_b32 s3, 0
.LBB46_3633:
	s_delay_alu instid0(SALU_CYCLE_1)
	s_and_not1_b32 vcc_lo, exec_lo, s3
	s_cbranch_vccnz .LBB46_3635
; %bb.3634:
	s_wait_xcnt 0x0
	v_bfe_i32 v3, v2, 0, 8
	s_delay_alu instid0(VALU_DEP_1)
	v_cvt_f16_i16_e32 v3, v3
	global_store_b16 v[0:1], v3, off
.LBB46_3635:
	s_mov_b32 s3, 0
.LBB46_3636:
	s_delay_alu instid0(SALU_CYCLE_1)
	s_and_not1_b32 vcc_lo, exec_lo, s3
	s_cbranch_vccnz .LBB46_3652
; %bb.3637:
	s_cmp_lt_i32 s0, 2
	s_mov_b32 s3, -1
	s_cbranch_scc1 .LBB46_3647
; %bb.3638:
	s_cmp_lt_i32 s0, 3
	s_cbranch_scc1 .LBB46_3644
; %bb.3639:
	s_cmp_gt_i32 s0, 3
	s_cbranch_scc0 .LBB46_3641
; %bb.3640:
	s_wait_xcnt 0x0
	v_bfe_i32 v6, v2, 0, 8
	s_mov_b32 s3, 0
	s_delay_alu instid0(VALU_DEP_1)
	v_ashrrev_i32_e32 v7, 31, v6
	global_store_b64 v[0:1], v[6:7], off
.LBB46_3641:
	s_and_not1_b32 vcc_lo, exec_lo, s3
	s_cbranch_vccnz .LBB46_3643
; %bb.3642:
	s_wait_xcnt 0x0
	v_bfe_i32 v3, v2, 0, 8
	global_store_b32 v[0:1], v3, off
.LBB46_3643:
	s_mov_b32 s3, 0
.LBB46_3644:
	s_delay_alu instid0(SALU_CYCLE_1)
	s_and_not1_b32 vcc_lo, exec_lo, s3
	s_cbranch_vccnz .LBB46_3646
; %bb.3645:
	s_wait_xcnt 0x0
	v_bfe_i32 v3, v2, 0, 8
	global_store_b16 v[0:1], v3, off
.LBB46_3646:
	s_mov_b32 s3, 0
.LBB46_3647:
	s_delay_alu instid0(SALU_CYCLE_1)
	s_and_not1_b32 vcc_lo, exec_lo, s3
	s_cbranch_vccnz .LBB46_3652
; %bb.3648:
	s_cmp_gt_i32 s0, 0
	s_mov_b32 s0, -1
	s_cbranch_scc0 .LBB46_3650
; %bb.3649:
	s_mov_b32 s0, 0
	global_store_b8 v[0:1], v2, off
.LBB46_3650:
	s_and_not1_b32 vcc_lo, exec_lo, s0
	s_cbranch_vccnz .LBB46_3652
; %bb.3651:
	global_store_b8 v[0:1], v2, off
.LBB46_3652:
	s_mov_b32 s7, -1
.LBB46_3653:
	s_delay_alu instid0(SALU_CYCLE_1)
	s_and_not1_b32 vcc_lo, exec_lo, s7
	s_cbranch_vccnz .LBB46_3968
; %bb.3654:
	s_lshl_b32 s3, s12, 7
	v_mul_lo_u16 v4, v4, s2
	s_wait_xcnt 0x0
	v_add_nc_u32_e32 v0, s3, v24
	v_mul_lo_u16 v5, v8, s1
	s_cmp_lt_i32 s22, 11
	s_delay_alu instid0(VALU_DEP_2) | instskip(NEXT) | instid1(VALU_DEP_1)
	v_ashrrev_i32_e32 v1, 31, v0
	v_add_nc_u64_e32 v[2:3], s[4:5], v[0:1]
	s_delay_alu instid0(VALU_DEP_3)
	v_mad_u16 v1, v5, v12, v4
	s_cbranch_scc1 .LBB46_3732
; %bb.3655:
	s_and_b32 s6, 0xffff, s22
	s_mov_b32 s9, -1
	s_mov_b32 s7, 0
	s_cmp_gt_i32 s6, 25
	s_mov_b32 s8, 0
	s_mov_b32 s0, 0
	s_cbranch_scc0 .LBB46_3688
; %bb.3656:
	s_cmp_gt_i32 s6, 28
	s_cbranch_scc0 .LBB46_3671
; %bb.3657:
	s_cmp_gt_i32 s6, 43
	;; [unrolled: 3-line block ×3, first 2 shown]
	s_cbranch_scc0 .LBB46_3661
; %bb.3659:
	s_mov_b32 s0, -1
	s_mov_b32 s9, 0
	s_cmp_eq_u32 s6, 46
	s_cbranch_scc0 .LBB46_3661
; %bb.3660:
	v_bfe_i32 v4, v1, 0, 8
	s_mov_b32 s0, 0
	s_mov_b32 s8, -1
	s_delay_alu instid0(VALU_DEP_1) | instskip(NEXT) | instid1(VALU_DEP_1)
	v_bfe_i32 v4, v4, 0, 16
	v_cvt_f32_i32_e32 v4, v4
	s_delay_alu instid0(VALU_DEP_1) | instskip(NEXT) | instid1(VALU_DEP_1)
	v_bfe_u32 v5, v4, 16, 1
	v_add3_u32 v4, v4, v5, 0x7fff
	s_delay_alu instid0(VALU_DEP_1)
	v_lshrrev_b32_e32 v4, 16, v4
	global_store_b32 v[2:3], v4, off
.LBB46_3661:
	s_and_b32 vcc_lo, exec_lo, s9
	s_cbranch_vccz .LBB46_3666
; %bb.3662:
	s_cmp_eq_u32 s6, 44
	s_mov_b32 s0, -1
	s_cbranch_scc0 .LBB46_3666
; %bb.3663:
	s_wait_xcnt 0x0
	v_bfe_i32 v4, v1, 0, 8
	v_mov_b32_e32 v5, 0xff
	s_mov_b32 s8, exec_lo
	s_delay_alu instid0(VALU_DEP_2) | instskip(NEXT) | instid1(VALU_DEP_1)
	v_bfe_i32 v4, v4, 0, 16
	v_cvt_f32_i32_e32 v4, v4
	s_delay_alu instid0(VALU_DEP_1) | instskip(NEXT) | instid1(VALU_DEP_1)
	v_bfe_u32 v6, v4, 23, 8
	v_cmpx_ne_u32_e32 0xff, v6
	s_cbranch_execz .LBB46_3665
; %bb.3664:
	v_and_b32_e32 v5, 0x400000, v4
	v_and_or_b32 v6, 0x3fffff, v4, v6
	v_lshrrev_b32_e32 v4, 23, v4
	s_delay_alu instid0(VALU_DEP_3) | instskip(NEXT) | instid1(VALU_DEP_3)
	v_cmp_ne_u32_e32 vcc_lo, 0, v5
	v_cmp_ne_u32_e64 s0, 0, v6
	s_and_b32 s0, vcc_lo, s0
	s_delay_alu instid0(SALU_CYCLE_1) | instskip(NEXT) | instid1(VALU_DEP_1)
	v_cndmask_b32_e64 v5, 0, 1, s0
	v_add_nc_u32_e32 v5, v4, v5
.LBB46_3665:
	s_or_b32 exec_lo, exec_lo, s8
	s_mov_b32 s0, 0
	s_mov_b32 s8, -1
	global_store_b8 v[2:3], v5, off
.LBB46_3666:
	s_mov_b32 s9, 0
.LBB46_3667:
	s_delay_alu instid0(SALU_CYCLE_1)
	s_and_b32 vcc_lo, exec_lo, s9
	s_cbranch_vccz .LBB46_3670
; %bb.3668:
	s_cmp_eq_u32 s6, 29
	s_mov_b32 s0, -1
	s_cbranch_scc0 .LBB46_3670
; %bb.3669:
	s_wait_xcnt 0x0
	v_bfe_i32 v4, v1, 0, 8
	s_mov_b32 s0, 0
	s_mov_b32 s8, -1
	s_delay_alu instid0(VALU_DEP_1)
	v_ashrrev_i32_e32 v5, 31, v4
	global_store_b64 v[2:3], v[4:5], off
.LBB46_3670:
	s_mov_b32 s9, 0
.LBB46_3671:
	s_delay_alu instid0(SALU_CYCLE_1)
	s_and_b32 vcc_lo, exec_lo, s9
	s_cbranch_vccz .LBB46_3687
; %bb.3672:
	s_cmp_lt_i32 s6, 27
	s_mov_b32 s8, -1
	s_cbranch_scc1 .LBB46_3678
; %bb.3673:
	s_cmp_gt_i32 s6, 27
	s_cbranch_scc0 .LBB46_3675
; %bb.3674:
	s_wait_xcnt 0x0
	v_bfe_i32 v4, v1, 0, 8
	s_mov_b32 s8, 0
	global_store_b32 v[2:3], v4, off
.LBB46_3675:
	s_and_not1_b32 vcc_lo, exec_lo, s8
	s_cbranch_vccnz .LBB46_3677
; %bb.3676:
	s_wait_xcnt 0x0
	v_bfe_i32 v4, v1, 0, 8
	global_store_b16 v[2:3], v4, off
.LBB46_3677:
	s_mov_b32 s8, 0
.LBB46_3678:
	s_delay_alu instid0(SALU_CYCLE_1)
	s_and_not1_b32 vcc_lo, exec_lo, s8
	s_cbranch_vccnz .LBB46_3686
; %bb.3679:
	s_wait_xcnt 0x0
	v_bfe_i32 v4, v1, 0, 8
	v_mov_b32_e32 v6, 0x80
	s_mov_b32 s8, exec_lo
	s_delay_alu instid0(VALU_DEP_2) | instskip(NEXT) | instid1(VALU_DEP_1)
	v_bfe_i32 v4, v4, 0, 16
	v_cvt_f32_i32_e32 v4, v4
	s_delay_alu instid0(VALU_DEP_1) | instskip(NEXT) | instid1(VALU_DEP_1)
	v_and_b32_e32 v5, 0x7fffffff, v4
	v_cmpx_gt_u32_e32 0x43800000, v5
	s_cbranch_execz .LBB46_3685
; %bb.3680:
	v_cmp_lt_u32_e32 vcc_lo, 0x3bffffff, v5
	s_mov_b32 s9, 0
                                        ; implicit-def: $vgpr5
	s_and_saveexec_b32 s10, vcc_lo
	s_delay_alu instid0(SALU_CYCLE_1)
	s_xor_b32 s10, exec_lo, s10
	s_cbranch_execz .LBB46_4020
; %bb.3681:
	v_bfe_u32 v5, v4, 20, 1
	s_mov_b32 s9, exec_lo
	s_delay_alu instid0(VALU_DEP_1) | instskip(NEXT) | instid1(VALU_DEP_1)
	v_add3_u32 v5, v4, v5, 0x487ffff
	v_lshrrev_b32_e32 v5, 20, v5
	s_and_not1_saveexec_b32 s10, s10
	s_cbranch_execnz .LBB46_4021
.LBB46_3682:
	s_or_b32 exec_lo, exec_lo, s10
	v_mov_b32_e32 v6, 0
	s_and_saveexec_b32 s10, s9
.LBB46_3683:
	v_lshrrev_b32_e32 v4, 24, v4
	s_delay_alu instid0(VALU_DEP_1)
	v_and_or_b32 v6, 0x80, v4, v5
.LBB46_3684:
	s_or_b32 exec_lo, exec_lo, s10
.LBB46_3685:
	s_delay_alu instid0(SALU_CYCLE_1)
	s_or_b32 exec_lo, exec_lo, s8
	global_store_b8 v[2:3], v6, off
.LBB46_3686:
	s_mov_b32 s8, -1
.LBB46_3687:
	s_mov_b32 s9, 0
.LBB46_3688:
	s_delay_alu instid0(SALU_CYCLE_1)
	s_and_b32 vcc_lo, exec_lo, s9
	s_cbranch_vccz .LBB46_3728
; %bb.3689:
	s_cmp_gt_i32 s6, 22
	s_mov_b32 s7, -1
	s_cbranch_scc0 .LBB46_3721
; %bb.3690:
	s_cmp_lt_i32 s6, 24
	s_cbranch_scc1 .LBB46_3710
; %bb.3691:
	s_cmp_gt_i32 s6, 24
	s_cbranch_scc0 .LBB46_3699
; %bb.3692:
	s_wait_xcnt 0x0
	v_bfe_i32 v4, v1, 0, 8
	v_mov_b32_e32 v6, 0x80
	s_mov_b32 s7, exec_lo
	s_delay_alu instid0(VALU_DEP_2) | instskip(NEXT) | instid1(VALU_DEP_1)
	v_bfe_i32 v4, v4, 0, 16
	v_cvt_f32_i32_e32 v4, v4
	s_delay_alu instid0(VALU_DEP_1) | instskip(NEXT) | instid1(VALU_DEP_1)
	v_and_b32_e32 v5, 0x7fffffff, v4
	v_cmpx_gt_u32_e32 0x47800000, v5
	s_cbranch_execz .LBB46_3698
; %bb.3693:
	v_cmp_lt_u32_e32 vcc_lo, 0x37ffffff, v5
	s_mov_b32 s8, 0
                                        ; implicit-def: $vgpr5
	s_and_saveexec_b32 s9, vcc_lo
	s_delay_alu instid0(SALU_CYCLE_1)
	s_xor_b32 s9, exec_lo, s9
	s_cbranch_execz .LBB46_4023
; %bb.3694:
	v_bfe_u32 v5, v4, 21, 1
	s_mov_b32 s8, exec_lo
	s_delay_alu instid0(VALU_DEP_1) | instskip(NEXT) | instid1(VALU_DEP_1)
	v_add3_u32 v5, v4, v5, 0x88fffff
	v_lshrrev_b32_e32 v5, 21, v5
	s_and_not1_saveexec_b32 s9, s9
	s_cbranch_execnz .LBB46_4024
.LBB46_3695:
	s_or_b32 exec_lo, exec_lo, s9
	v_mov_b32_e32 v6, 0
	s_and_saveexec_b32 s9, s8
.LBB46_3696:
	v_lshrrev_b32_e32 v4, 24, v4
	s_delay_alu instid0(VALU_DEP_1)
	v_and_or_b32 v6, 0x80, v4, v5
.LBB46_3697:
	s_or_b32 exec_lo, exec_lo, s9
.LBB46_3698:
	s_delay_alu instid0(SALU_CYCLE_1)
	s_or_b32 exec_lo, exec_lo, s7
	s_mov_b32 s7, 0
	global_store_b8 v[2:3], v6, off
.LBB46_3699:
	s_and_b32 vcc_lo, exec_lo, s7
	s_cbranch_vccz .LBB46_3709
; %bb.3700:
	s_wait_xcnt 0x0
	v_bfe_i32 v4, v1, 0, 8
	s_mov_b32 s7, exec_lo
                                        ; implicit-def: $vgpr5
	s_delay_alu instid0(VALU_DEP_1) | instskip(NEXT) | instid1(VALU_DEP_1)
	v_bfe_i32 v4, v4, 0, 16
	v_cvt_f32_i32_e32 v4, v4
	s_delay_alu instid0(VALU_DEP_1) | instskip(NEXT) | instid1(VALU_DEP_1)
	v_and_b32_e32 v6, 0x7fffffff, v4
	v_cmpx_gt_u32_e32 0x43f00000, v6
	s_xor_b32 s7, exec_lo, s7
	s_cbranch_execz .LBB46_3706
; %bb.3701:
	s_mov_b32 s8, exec_lo
                                        ; implicit-def: $vgpr5
	v_cmpx_lt_u32_e32 0x3c7fffff, v6
	s_xor_b32 s8, exec_lo, s8
; %bb.3702:
	v_bfe_u32 v5, v4, 20, 1
	s_delay_alu instid0(VALU_DEP_1) | instskip(NEXT) | instid1(VALU_DEP_1)
	v_add3_u32 v5, v4, v5, 0x407ffff
	v_and_b32_e32 v6, 0xff00000, v5
	v_lshrrev_b32_e32 v5, 20, v5
	s_delay_alu instid0(VALU_DEP_2) | instskip(NEXT) | instid1(VALU_DEP_2)
	v_cmp_ne_u32_e32 vcc_lo, 0x7f00000, v6
	v_cndmask_b32_e32 v5, 0x7e, v5, vcc_lo
; %bb.3703:
	s_and_not1_saveexec_b32 s8, s8
; %bb.3704:
	v_add_f32_e64 v5, 0x46800000, |v4|
; %bb.3705:
	s_or_b32 exec_lo, exec_lo, s8
                                        ; implicit-def: $vgpr6
.LBB46_3706:
	s_and_not1_saveexec_b32 s7, s7
; %bb.3707:
	v_mov_b32_e32 v5, 0x7f
	v_cmp_lt_u32_e32 vcc_lo, 0x7f800000, v6
	s_delay_alu instid0(VALU_DEP_2)
	v_cndmask_b32_e32 v5, 0x7e, v5, vcc_lo
; %bb.3708:
	s_or_b32 exec_lo, exec_lo, s7
	v_lshrrev_b32_e32 v4, 24, v4
	s_delay_alu instid0(VALU_DEP_1)
	v_and_or_b32 v4, 0x80, v4, v5
	global_store_b8 v[2:3], v4, off
.LBB46_3709:
	s_mov_b32 s7, 0
.LBB46_3710:
	s_delay_alu instid0(SALU_CYCLE_1)
	s_and_not1_b32 vcc_lo, exec_lo, s7
	s_cbranch_vccnz .LBB46_3720
; %bb.3711:
	s_wait_xcnt 0x0
	v_bfe_i32 v4, v1, 0, 8
	s_mov_b32 s7, exec_lo
                                        ; implicit-def: $vgpr5
	s_delay_alu instid0(VALU_DEP_1) | instskip(NEXT) | instid1(VALU_DEP_1)
	v_bfe_i32 v4, v4, 0, 16
	v_cvt_f32_i32_e32 v4, v4
	s_delay_alu instid0(VALU_DEP_1) | instskip(NEXT) | instid1(VALU_DEP_1)
	v_and_b32_e32 v6, 0x7fffffff, v4
	v_cmpx_gt_u32_e32 0x47800000, v6
	s_xor_b32 s7, exec_lo, s7
	s_cbranch_execz .LBB46_3717
; %bb.3712:
	s_mov_b32 s8, exec_lo
                                        ; implicit-def: $vgpr5
	v_cmpx_lt_u32_e32 0x387fffff, v6
	s_xor_b32 s8, exec_lo, s8
; %bb.3713:
	v_bfe_u32 v5, v4, 21, 1
	s_delay_alu instid0(VALU_DEP_1) | instskip(NEXT) | instid1(VALU_DEP_1)
	v_add3_u32 v5, v4, v5, 0x80fffff
	v_lshrrev_b32_e32 v5, 21, v5
; %bb.3714:
	s_and_not1_saveexec_b32 s8, s8
; %bb.3715:
	v_add_f32_e64 v5, 0x43000000, |v4|
; %bb.3716:
	s_or_b32 exec_lo, exec_lo, s8
                                        ; implicit-def: $vgpr6
.LBB46_3717:
	s_and_not1_saveexec_b32 s7, s7
; %bb.3718:
	v_mov_b32_e32 v5, 0x7f
	v_cmp_lt_u32_e32 vcc_lo, 0x7f800000, v6
	s_delay_alu instid0(VALU_DEP_2)
	v_cndmask_b32_e32 v5, 0x7c, v5, vcc_lo
; %bb.3719:
	s_or_b32 exec_lo, exec_lo, s7
	v_lshrrev_b32_e32 v4, 24, v4
	s_delay_alu instid0(VALU_DEP_1)
	v_and_or_b32 v4, 0x80, v4, v5
	global_store_b8 v[2:3], v4, off
.LBB46_3720:
	s_mov_b32 s7, 0
	s_mov_b32 s8, -1
.LBB46_3721:
	s_and_not1_b32 vcc_lo, exec_lo, s7
	s_mov_b32 s7, 0
	s_cbranch_vccnz .LBB46_3728
; %bb.3722:
	s_cmp_gt_i32 s6, 14
	s_mov_b32 s7, -1
	s_cbranch_scc0 .LBB46_3726
; %bb.3723:
	s_cmp_eq_u32 s6, 15
	s_mov_b32 s0, -1
	s_cbranch_scc0 .LBB46_3725
; %bb.3724:
	s_wait_xcnt 0x0
	v_bfe_i32 v4, v1, 0, 8
	s_mov_b32 s0, 0
	s_mov_b32 s8, -1
	s_delay_alu instid0(VALU_DEP_1) | instskip(NEXT) | instid1(VALU_DEP_1)
	v_bfe_i32 v4, v4, 0, 16
	v_cvt_f32_i32_e32 v4, v4
	s_delay_alu instid0(VALU_DEP_1) | instskip(NEXT) | instid1(VALU_DEP_1)
	v_bfe_u32 v5, v4, 16, 1
	v_add3_u32 v4, v4, v5, 0x7fff
	global_store_d16_hi_b16 v[2:3], v4, off
.LBB46_3725:
	s_mov_b32 s7, 0
.LBB46_3726:
	s_delay_alu instid0(SALU_CYCLE_1)
	s_and_b32 vcc_lo, exec_lo, s7
	s_mov_b32 s7, 0
	s_cbranch_vccz .LBB46_3728
; %bb.3727:
	s_cmp_lg_u32 s6, 11
	s_mov_b32 s7, -1
	s_cselect_b32 s0, -1, 0
.LBB46_3728:
	s_delay_alu instid0(SALU_CYCLE_1)
	s_and_b32 vcc_lo, exec_lo, s0
	s_cbranch_vccnz .LBB46_4022
; %bb.3729:
	s_and_not1_b32 vcc_lo, exec_lo, s7
	s_cbranch_vccnz .LBB46_3731
.LBB46_3730:
	s_wait_xcnt 0x0
	v_and_b32_e32 v4, 0xff, v1
	s_mov_b32 s8, -1
	s_delay_alu instid0(VALU_DEP_1)
	v_cmp_ne_u16_e32 vcc_lo, 0, v4
	v_cndmask_b32_e64 v4, 0, 1, vcc_lo
	global_store_b8 v[2:3], v4, off
.LBB46_3731:
	s_mov_b32 s0, 0
	s_branch .LBB46_3733
.LBB46_3732:
	s_mov_b32 s0, -1
	s_mov_b32 s8, 0
.LBB46_3733:
	s_and_b32 vcc_lo, exec_lo, s0
	s_cbranch_vccz .LBB46_3772
; %bb.3734:
	s_and_b32 s0, 0xffff, s22
	s_mov_b32 s6, -1
	s_cmp_lt_i32 s0, 5
	s_cbranch_scc1 .LBB46_3755
; %bb.3735:
	s_cmp_lt_i32 s0, 8
	s_cbranch_scc1 .LBB46_3745
; %bb.3736:
	;; [unrolled: 3-line block ×3, first 2 shown]
	s_cmp_gt_i32 s0, 9
	s_cbranch_scc0 .LBB46_3739
; %bb.3738:
	s_wait_xcnt 0x0
	v_bfe_i32 v4, v1, 0, 8
	v_mov_b32_e32 v6, 0
	s_mov_b32 s6, 0
	s_delay_alu instid0(VALU_DEP_2) | instskip(NEXT) | instid1(VALU_DEP_2)
	v_bfe_i32 v4, v4, 0, 16
	v_mov_b32_e32 v7, v6
	s_delay_alu instid0(VALU_DEP_2)
	v_cvt_f64_i32_e32 v[4:5], v4
	global_store_b128 v[2:3], v[4:7], off
.LBB46_3739:
	s_and_not1_b32 vcc_lo, exec_lo, s6
	s_cbranch_vccnz .LBB46_3741
; %bb.3740:
	s_wait_xcnt 0x0
	v_bfe_i32 v4, v1, 0, 8
	v_mov_b32_e32 v5, 0
	s_delay_alu instid0(VALU_DEP_2) | instskip(NEXT) | instid1(VALU_DEP_1)
	v_bfe_i32 v4, v4, 0, 16
	v_cvt_f32_i32_e32 v4, v4
	global_store_b64 v[2:3], v[4:5], off
.LBB46_3741:
	s_mov_b32 s6, 0
.LBB46_3742:
	s_delay_alu instid0(SALU_CYCLE_1)
	s_and_not1_b32 vcc_lo, exec_lo, s6
	s_cbranch_vccnz .LBB46_3744
; %bb.3743:
	s_wait_xcnt 0x0
	v_bfe_i32 v4, v1, 0, 8
	s_delay_alu instid0(VALU_DEP_1) | instskip(NEXT) | instid1(VALU_DEP_1)
	v_cvt_f16_i16_e32 v4, v4
	v_and_b32_e32 v4, 0xffff, v4
	global_store_b32 v[2:3], v4, off
.LBB46_3744:
	s_mov_b32 s6, 0
.LBB46_3745:
	s_delay_alu instid0(SALU_CYCLE_1)
	s_and_not1_b32 vcc_lo, exec_lo, s6
	s_cbranch_vccnz .LBB46_3754
; %bb.3746:
	s_cmp_lt_i32 s0, 6
	s_mov_b32 s6, -1
	s_cbranch_scc1 .LBB46_3752
; %bb.3747:
	s_cmp_gt_i32 s0, 6
	s_cbranch_scc0 .LBB46_3749
; %bb.3748:
	s_wait_xcnt 0x0
	v_bfe_i32 v4, v1, 0, 8
	s_mov_b32 s6, 0
	s_delay_alu instid0(VALU_DEP_1) | instskip(NEXT) | instid1(VALU_DEP_1)
	v_bfe_i32 v4, v4, 0, 16
	v_cvt_f64_i32_e32 v[4:5], v4
	global_store_b64 v[2:3], v[4:5], off
.LBB46_3749:
	s_and_not1_b32 vcc_lo, exec_lo, s6
	s_cbranch_vccnz .LBB46_3751
; %bb.3750:
	s_wait_xcnt 0x0
	v_bfe_i32 v4, v1, 0, 8
	s_delay_alu instid0(VALU_DEP_1) | instskip(NEXT) | instid1(VALU_DEP_1)
	v_bfe_i32 v4, v4, 0, 16
	v_cvt_f32_i32_e32 v4, v4
	global_store_b32 v[2:3], v4, off
.LBB46_3751:
	s_mov_b32 s6, 0
.LBB46_3752:
	s_delay_alu instid0(SALU_CYCLE_1)
	s_and_not1_b32 vcc_lo, exec_lo, s6
	s_cbranch_vccnz .LBB46_3754
; %bb.3753:
	s_wait_xcnt 0x0
	v_bfe_i32 v4, v1, 0, 8
	s_delay_alu instid0(VALU_DEP_1)
	v_cvt_f16_i16_e32 v4, v4
	global_store_b16 v[2:3], v4, off
.LBB46_3754:
	s_mov_b32 s6, 0
.LBB46_3755:
	s_delay_alu instid0(SALU_CYCLE_1)
	s_and_not1_b32 vcc_lo, exec_lo, s6
	s_cbranch_vccnz .LBB46_3771
; %bb.3756:
	s_cmp_lt_i32 s0, 2
	s_mov_b32 s6, -1
	s_cbranch_scc1 .LBB46_3766
; %bb.3757:
	s_cmp_lt_i32 s0, 3
	s_cbranch_scc1 .LBB46_3763
; %bb.3758:
	s_cmp_gt_i32 s0, 3
	s_cbranch_scc0 .LBB46_3760
; %bb.3759:
	s_wait_xcnt 0x0
	v_bfe_i32 v4, v1, 0, 8
	s_mov_b32 s6, 0
	s_delay_alu instid0(VALU_DEP_1)
	v_ashrrev_i32_e32 v5, 31, v4
	global_store_b64 v[2:3], v[4:5], off
.LBB46_3760:
	s_and_not1_b32 vcc_lo, exec_lo, s6
	s_cbranch_vccnz .LBB46_3762
; %bb.3761:
	s_wait_xcnt 0x0
	v_bfe_i32 v4, v1, 0, 8
	global_store_b32 v[2:3], v4, off
.LBB46_3762:
	s_mov_b32 s6, 0
.LBB46_3763:
	s_delay_alu instid0(SALU_CYCLE_1)
	s_and_not1_b32 vcc_lo, exec_lo, s6
	s_cbranch_vccnz .LBB46_3765
; %bb.3764:
	s_wait_xcnt 0x0
	v_bfe_i32 v4, v1, 0, 8
	global_store_b16 v[2:3], v4, off
.LBB46_3765:
	s_mov_b32 s6, 0
.LBB46_3766:
	s_delay_alu instid0(SALU_CYCLE_1)
	s_and_not1_b32 vcc_lo, exec_lo, s6
	s_cbranch_vccnz .LBB46_3771
; %bb.3767:
	s_cmp_gt_i32 s0, 0
	s_mov_b32 s0, -1
	s_cbranch_scc0 .LBB46_3769
; %bb.3768:
	s_mov_b32 s0, 0
	global_store_b8 v[2:3], v1, off
.LBB46_3769:
	s_and_not1_b32 vcc_lo, exec_lo, s0
	s_cbranch_vccnz .LBB46_3771
; %bb.3770:
	global_store_b8 v[2:3], v1, off
.LBB46_3771:
	s_mov_b32 s8, -1
.LBB46_3772:
	s_delay_alu instid0(SALU_CYCLE_1)
	s_and_not1_b32 vcc_lo, exec_lo, s8
	s_cbranch_vccnz .LBB46_3968
; %bb.3773:
	v_add_nc_u32_e32 v0, s3, v0
	s_wait_xcnt 0x0
	v_mul_lo_u16 v4, v10, s2
	v_mul_lo_u16 v5, v14, s1
	s_cmp_lt_i32 s22, 11
	v_ashrrev_i32_e32 v1, 31, v0
	s_delay_alu instid0(VALU_DEP_1) | instskip(NEXT) | instid1(VALU_DEP_3)
	v_add_nc_u64_e32 v[2:3], s[4:5], v[0:1]
	v_mad_u16 v1, v5, v18, v4
	s_cbranch_scc1 .LBB46_3851
; %bb.3774:
	s_and_b32 s6, 0xffff, s22
	s_mov_b32 s9, -1
	s_mov_b32 s7, 0
	s_cmp_gt_i32 s6, 25
	s_mov_b32 s8, 0
	s_mov_b32 s0, 0
	s_cbranch_scc0 .LBB46_3807
; %bb.3775:
	s_cmp_gt_i32 s6, 28
	s_cbranch_scc0 .LBB46_3790
; %bb.3776:
	s_cmp_gt_i32 s6, 43
	s_cbranch_scc0 .LBB46_3786
; %bb.3777:
	s_cmp_gt_i32 s6, 45
	s_cbranch_scc0 .LBB46_3780
; %bb.3778:
	s_mov_b32 s0, -1
	s_mov_b32 s9, 0
	s_cmp_eq_u32 s6, 46
	s_cbranch_scc0 .LBB46_3780
; %bb.3779:
	v_bfe_i32 v4, v1, 0, 8
	s_mov_b32 s0, 0
	s_mov_b32 s8, -1
	s_delay_alu instid0(VALU_DEP_1) | instskip(NEXT) | instid1(VALU_DEP_1)
	v_bfe_i32 v4, v4, 0, 16
	v_cvt_f32_i32_e32 v4, v4
	s_delay_alu instid0(VALU_DEP_1) | instskip(NEXT) | instid1(VALU_DEP_1)
	v_bfe_u32 v5, v4, 16, 1
	v_add3_u32 v4, v4, v5, 0x7fff
	s_delay_alu instid0(VALU_DEP_1)
	v_lshrrev_b32_e32 v4, 16, v4
	global_store_b32 v[2:3], v4, off
.LBB46_3780:
	s_and_b32 vcc_lo, exec_lo, s9
	s_cbranch_vccz .LBB46_3785
; %bb.3781:
	s_cmp_eq_u32 s6, 44
	s_mov_b32 s0, -1
	s_cbranch_scc0 .LBB46_3785
; %bb.3782:
	s_wait_xcnt 0x0
	v_bfe_i32 v4, v1, 0, 8
	v_mov_b32_e32 v5, 0xff
	s_mov_b32 s8, exec_lo
	s_delay_alu instid0(VALU_DEP_2) | instskip(NEXT) | instid1(VALU_DEP_1)
	v_bfe_i32 v4, v4, 0, 16
	v_cvt_f32_i32_e32 v4, v4
	s_delay_alu instid0(VALU_DEP_1) | instskip(NEXT) | instid1(VALU_DEP_1)
	v_bfe_u32 v6, v4, 23, 8
	v_cmpx_ne_u32_e32 0xff, v6
	s_cbranch_execz .LBB46_3784
; %bb.3783:
	v_and_b32_e32 v5, 0x400000, v4
	v_and_or_b32 v6, 0x3fffff, v4, v6
	v_lshrrev_b32_e32 v4, 23, v4
	s_delay_alu instid0(VALU_DEP_3) | instskip(NEXT) | instid1(VALU_DEP_3)
	v_cmp_ne_u32_e32 vcc_lo, 0, v5
	v_cmp_ne_u32_e64 s0, 0, v6
	s_and_b32 s0, vcc_lo, s0
	s_delay_alu instid0(SALU_CYCLE_1) | instskip(NEXT) | instid1(VALU_DEP_1)
	v_cndmask_b32_e64 v5, 0, 1, s0
	v_add_nc_u32_e32 v5, v4, v5
.LBB46_3784:
	s_or_b32 exec_lo, exec_lo, s8
	s_mov_b32 s0, 0
	s_mov_b32 s8, -1
	global_store_b8 v[2:3], v5, off
.LBB46_3785:
	s_mov_b32 s9, 0
.LBB46_3786:
	s_delay_alu instid0(SALU_CYCLE_1)
	s_and_b32 vcc_lo, exec_lo, s9
	s_cbranch_vccz .LBB46_3789
; %bb.3787:
	s_cmp_eq_u32 s6, 29
	s_mov_b32 s0, -1
	s_cbranch_scc0 .LBB46_3789
; %bb.3788:
	s_wait_xcnt 0x0
	v_bfe_i32 v4, v1, 0, 8
	s_mov_b32 s0, 0
	s_mov_b32 s8, -1
	s_delay_alu instid0(VALU_DEP_1)
	v_ashrrev_i32_e32 v5, 31, v4
	global_store_b64 v[2:3], v[4:5], off
.LBB46_3789:
	s_mov_b32 s9, 0
.LBB46_3790:
	s_delay_alu instid0(SALU_CYCLE_1)
	s_and_b32 vcc_lo, exec_lo, s9
	s_cbranch_vccz .LBB46_3806
; %bb.3791:
	s_cmp_lt_i32 s6, 27
	s_mov_b32 s8, -1
	s_cbranch_scc1 .LBB46_3797
; %bb.3792:
	s_cmp_gt_i32 s6, 27
	s_cbranch_scc0 .LBB46_3794
; %bb.3793:
	s_wait_xcnt 0x0
	v_bfe_i32 v4, v1, 0, 8
	s_mov_b32 s8, 0
	global_store_b32 v[2:3], v4, off
.LBB46_3794:
	s_and_not1_b32 vcc_lo, exec_lo, s8
	s_cbranch_vccnz .LBB46_3796
; %bb.3795:
	s_wait_xcnt 0x0
	v_bfe_i32 v4, v1, 0, 8
	global_store_b16 v[2:3], v4, off
.LBB46_3796:
	s_mov_b32 s8, 0
.LBB46_3797:
	s_delay_alu instid0(SALU_CYCLE_1)
	s_and_not1_b32 vcc_lo, exec_lo, s8
	s_cbranch_vccnz .LBB46_3805
; %bb.3798:
	s_wait_xcnt 0x0
	v_bfe_i32 v4, v1, 0, 8
	v_mov_b32_e32 v6, 0x80
	s_mov_b32 s8, exec_lo
	s_delay_alu instid0(VALU_DEP_2) | instskip(NEXT) | instid1(VALU_DEP_1)
	v_bfe_i32 v4, v4, 0, 16
	v_cvt_f32_i32_e32 v4, v4
	s_delay_alu instid0(VALU_DEP_1) | instskip(NEXT) | instid1(VALU_DEP_1)
	v_and_b32_e32 v5, 0x7fffffff, v4
	v_cmpx_gt_u32_e32 0x43800000, v5
	s_cbranch_execz .LBB46_3804
; %bb.3799:
	v_cmp_lt_u32_e32 vcc_lo, 0x3bffffff, v5
	s_mov_b32 s9, 0
                                        ; implicit-def: $vgpr5
	s_and_saveexec_b32 s10, vcc_lo
	s_delay_alu instid0(SALU_CYCLE_1)
	s_xor_b32 s10, exec_lo, s10
	s_cbranch_execz .LBB46_4025
; %bb.3800:
	v_bfe_u32 v5, v4, 20, 1
	s_mov_b32 s9, exec_lo
	s_delay_alu instid0(VALU_DEP_1) | instskip(NEXT) | instid1(VALU_DEP_1)
	v_add3_u32 v5, v4, v5, 0x487ffff
	v_lshrrev_b32_e32 v5, 20, v5
	s_and_not1_saveexec_b32 s10, s10
	s_cbranch_execnz .LBB46_4026
.LBB46_3801:
	s_or_b32 exec_lo, exec_lo, s10
	v_mov_b32_e32 v6, 0
	s_and_saveexec_b32 s10, s9
.LBB46_3802:
	v_lshrrev_b32_e32 v4, 24, v4
	s_delay_alu instid0(VALU_DEP_1)
	v_and_or_b32 v6, 0x80, v4, v5
.LBB46_3803:
	s_or_b32 exec_lo, exec_lo, s10
.LBB46_3804:
	s_delay_alu instid0(SALU_CYCLE_1)
	s_or_b32 exec_lo, exec_lo, s8
	global_store_b8 v[2:3], v6, off
.LBB46_3805:
	s_mov_b32 s8, -1
.LBB46_3806:
	s_mov_b32 s9, 0
.LBB46_3807:
	s_delay_alu instid0(SALU_CYCLE_1)
	s_and_b32 vcc_lo, exec_lo, s9
	s_cbranch_vccz .LBB46_3847
; %bb.3808:
	s_cmp_gt_i32 s6, 22
	s_mov_b32 s7, -1
	s_cbranch_scc0 .LBB46_3840
; %bb.3809:
	s_cmp_lt_i32 s6, 24
	s_cbranch_scc1 .LBB46_3829
; %bb.3810:
	s_cmp_gt_i32 s6, 24
	s_cbranch_scc0 .LBB46_3818
; %bb.3811:
	s_wait_xcnt 0x0
	v_bfe_i32 v4, v1, 0, 8
	v_mov_b32_e32 v6, 0x80
	s_mov_b32 s7, exec_lo
	s_delay_alu instid0(VALU_DEP_2) | instskip(NEXT) | instid1(VALU_DEP_1)
	v_bfe_i32 v4, v4, 0, 16
	v_cvt_f32_i32_e32 v4, v4
	s_delay_alu instid0(VALU_DEP_1) | instskip(NEXT) | instid1(VALU_DEP_1)
	v_and_b32_e32 v5, 0x7fffffff, v4
	v_cmpx_gt_u32_e32 0x47800000, v5
	s_cbranch_execz .LBB46_3817
; %bb.3812:
	v_cmp_lt_u32_e32 vcc_lo, 0x37ffffff, v5
	s_mov_b32 s8, 0
                                        ; implicit-def: $vgpr5
	s_and_saveexec_b32 s9, vcc_lo
	s_delay_alu instid0(SALU_CYCLE_1)
	s_xor_b32 s9, exec_lo, s9
	s_cbranch_execz .LBB46_4028
; %bb.3813:
	v_bfe_u32 v5, v4, 21, 1
	s_mov_b32 s8, exec_lo
	s_delay_alu instid0(VALU_DEP_1) | instskip(NEXT) | instid1(VALU_DEP_1)
	v_add3_u32 v5, v4, v5, 0x88fffff
	v_lshrrev_b32_e32 v5, 21, v5
	s_and_not1_saveexec_b32 s9, s9
	s_cbranch_execnz .LBB46_4029
.LBB46_3814:
	s_or_b32 exec_lo, exec_lo, s9
	v_mov_b32_e32 v6, 0
	s_and_saveexec_b32 s9, s8
.LBB46_3815:
	v_lshrrev_b32_e32 v4, 24, v4
	s_delay_alu instid0(VALU_DEP_1)
	v_and_or_b32 v6, 0x80, v4, v5
.LBB46_3816:
	s_or_b32 exec_lo, exec_lo, s9
.LBB46_3817:
	s_delay_alu instid0(SALU_CYCLE_1)
	s_or_b32 exec_lo, exec_lo, s7
	s_mov_b32 s7, 0
	global_store_b8 v[2:3], v6, off
.LBB46_3818:
	s_and_b32 vcc_lo, exec_lo, s7
	s_cbranch_vccz .LBB46_3828
; %bb.3819:
	s_wait_xcnt 0x0
	v_bfe_i32 v4, v1, 0, 8
	s_mov_b32 s7, exec_lo
                                        ; implicit-def: $vgpr5
	s_delay_alu instid0(VALU_DEP_1) | instskip(NEXT) | instid1(VALU_DEP_1)
	v_bfe_i32 v4, v4, 0, 16
	v_cvt_f32_i32_e32 v4, v4
	s_delay_alu instid0(VALU_DEP_1) | instskip(NEXT) | instid1(VALU_DEP_1)
	v_and_b32_e32 v6, 0x7fffffff, v4
	v_cmpx_gt_u32_e32 0x43f00000, v6
	s_xor_b32 s7, exec_lo, s7
	s_cbranch_execz .LBB46_3825
; %bb.3820:
	s_mov_b32 s8, exec_lo
                                        ; implicit-def: $vgpr5
	v_cmpx_lt_u32_e32 0x3c7fffff, v6
	s_xor_b32 s8, exec_lo, s8
; %bb.3821:
	v_bfe_u32 v5, v4, 20, 1
	s_delay_alu instid0(VALU_DEP_1) | instskip(NEXT) | instid1(VALU_DEP_1)
	v_add3_u32 v5, v4, v5, 0x407ffff
	v_and_b32_e32 v6, 0xff00000, v5
	v_lshrrev_b32_e32 v5, 20, v5
	s_delay_alu instid0(VALU_DEP_2) | instskip(NEXT) | instid1(VALU_DEP_2)
	v_cmp_ne_u32_e32 vcc_lo, 0x7f00000, v6
	v_cndmask_b32_e32 v5, 0x7e, v5, vcc_lo
; %bb.3822:
	s_and_not1_saveexec_b32 s8, s8
; %bb.3823:
	v_add_f32_e64 v5, 0x46800000, |v4|
; %bb.3824:
	s_or_b32 exec_lo, exec_lo, s8
                                        ; implicit-def: $vgpr6
.LBB46_3825:
	s_and_not1_saveexec_b32 s7, s7
; %bb.3826:
	v_mov_b32_e32 v5, 0x7f
	v_cmp_lt_u32_e32 vcc_lo, 0x7f800000, v6
	s_delay_alu instid0(VALU_DEP_2)
	v_cndmask_b32_e32 v5, 0x7e, v5, vcc_lo
; %bb.3827:
	s_or_b32 exec_lo, exec_lo, s7
	v_lshrrev_b32_e32 v4, 24, v4
	s_delay_alu instid0(VALU_DEP_1)
	v_and_or_b32 v4, 0x80, v4, v5
	global_store_b8 v[2:3], v4, off
.LBB46_3828:
	s_mov_b32 s7, 0
.LBB46_3829:
	s_delay_alu instid0(SALU_CYCLE_1)
	s_and_not1_b32 vcc_lo, exec_lo, s7
	s_cbranch_vccnz .LBB46_3839
; %bb.3830:
	s_wait_xcnt 0x0
	v_bfe_i32 v4, v1, 0, 8
	s_mov_b32 s7, exec_lo
                                        ; implicit-def: $vgpr5
	s_delay_alu instid0(VALU_DEP_1) | instskip(NEXT) | instid1(VALU_DEP_1)
	v_bfe_i32 v4, v4, 0, 16
	v_cvt_f32_i32_e32 v4, v4
	s_delay_alu instid0(VALU_DEP_1) | instskip(NEXT) | instid1(VALU_DEP_1)
	v_and_b32_e32 v6, 0x7fffffff, v4
	v_cmpx_gt_u32_e32 0x47800000, v6
	s_xor_b32 s7, exec_lo, s7
	s_cbranch_execz .LBB46_3836
; %bb.3831:
	s_mov_b32 s8, exec_lo
                                        ; implicit-def: $vgpr5
	v_cmpx_lt_u32_e32 0x387fffff, v6
	s_xor_b32 s8, exec_lo, s8
; %bb.3832:
	v_bfe_u32 v5, v4, 21, 1
	s_delay_alu instid0(VALU_DEP_1) | instskip(NEXT) | instid1(VALU_DEP_1)
	v_add3_u32 v5, v4, v5, 0x80fffff
	v_lshrrev_b32_e32 v5, 21, v5
; %bb.3833:
	s_and_not1_saveexec_b32 s8, s8
; %bb.3834:
	v_add_f32_e64 v5, 0x43000000, |v4|
; %bb.3835:
	s_or_b32 exec_lo, exec_lo, s8
                                        ; implicit-def: $vgpr6
.LBB46_3836:
	s_and_not1_saveexec_b32 s7, s7
; %bb.3837:
	v_mov_b32_e32 v5, 0x7f
	v_cmp_lt_u32_e32 vcc_lo, 0x7f800000, v6
	s_delay_alu instid0(VALU_DEP_2)
	v_cndmask_b32_e32 v5, 0x7c, v5, vcc_lo
; %bb.3838:
	s_or_b32 exec_lo, exec_lo, s7
	v_lshrrev_b32_e32 v4, 24, v4
	s_delay_alu instid0(VALU_DEP_1)
	v_and_or_b32 v4, 0x80, v4, v5
	global_store_b8 v[2:3], v4, off
.LBB46_3839:
	s_mov_b32 s7, 0
	s_mov_b32 s8, -1
.LBB46_3840:
	s_and_not1_b32 vcc_lo, exec_lo, s7
	s_mov_b32 s7, 0
	s_cbranch_vccnz .LBB46_3847
; %bb.3841:
	s_cmp_gt_i32 s6, 14
	s_mov_b32 s7, -1
	s_cbranch_scc0 .LBB46_3845
; %bb.3842:
	s_cmp_eq_u32 s6, 15
	s_mov_b32 s0, -1
	s_cbranch_scc0 .LBB46_3844
; %bb.3843:
	s_wait_xcnt 0x0
	v_bfe_i32 v4, v1, 0, 8
	s_mov_b32 s0, 0
	s_mov_b32 s8, -1
	s_delay_alu instid0(VALU_DEP_1) | instskip(NEXT) | instid1(VALU_DEP_1)
	v_bfe_i32 v4, v4, 0, 16
	v_cvt_f32_i32_e32 v4, v4
	s_delay_alu instid0(VALU_DEP_1) | instskip(NEXT) | instid1(VALU_DEP_1)
	v_bfe_u32 v5, v4, 16, 1
	v_add3_u32 v4, v4, v5, 0x7fff
	global_store_d16_hi_b16 v[2:3], v4, off
.LBB46_3844:
	s_mov_b32 s7, 0
.LBB46_3845:
	s_delay_alu instid0(SALU_CYCLE_1)
	s_and_b32 vcc_lo, exec_lo, s7
	s_mov_b32 s7, 0
	s_cbranch_vccz .LBB46_3847
; %bb.3846:
	s_cmp_lg_u32 s6, 11
	s_mov_b32 s7, -1
	s_cselect_b32 s0, -1, 0
.LBB46_3847:
	s_delay_alu instid0(SALU_CYCLE_1)
	s_and_b32 vcc_lo, exec_lo, s0
	s_cbranch_vccnz .LBB46_4027
; %bb.3848:
	s_and_not1_b32 vcc_lo, exec_lo, s7
	s_cbranch_vccnz .LBB46_3850
.LBB46_3849:
	s_wait_xcnt 0x0
	v_and_b32_e32 v4, 0xff, v1
	s_mov_b32 s8, -1
	s_delay_alu instid0(VALU_DEP_1)
	v_cmp_ne_u16_e32 vcc_lo, 0, v4
	v_cndmask_b32_e64 v4, 0, 1, vcc_lo
	global_store_b8 v[2:3], v4, off
.LBB46_3850:
	s_mov_b32 s0, 0
	s_branch .LBB46_3852
.LBB46_3851:
	s_mov_b32 s0, -1
	s_mov_b32 s8, 0
.LBB46_3852:
	s_and_b32 vcc_lo, exec_lo, s0
	s_cbranch_vccz .LBB46_3891
; %bb.3853:
	s_and_b32 s0, 0xffff, s22
	s_mov_b32 s6, -1
	s_cmp_lt_i32 s0, 5
	s_cbranch_scc1 .LBB46_3874
; %bb.3854:
	s_cmp_lt_i32 s0, 8
	s_cbranch_scc1 .LBB46_3864
; %bb.3855:
	;; [unrolled: 3-line block ×3, first 2 shown]
	s_cmp_gt_i32 s0, 9
	s_cbranch_scc0 .LBB46_3858
; %bb.3857:
	s_wait_xcnt 0x0
	v_bfe_i32 v4, v1, 0, 8
	v_mov_b32_e32 v6, 0
	s_mov_b32 s6, 0
	s_delay_alu instid0(VALU_DEP_2) | instskip(NEXT) | instid1(VALU_DEP_2)
	v_bfe_i32 v4, v4, 0, 16
	v_mov_b32_e32 v7, v6
	s_delay_alu instid0(VALU_DEP_2)
	v_cvt_f64_i32_e32 v[4:5], v4
	global_store_b128 v[2:3], v[4:7], off
.LBB46_3858:
	s_and_not1_b32 vcc_lo, exec_lo, s6
	s_cbranch_vccnz .LBB46_3860
; %bb.3859:
	s_wait_xcnt 0x0
	v_bfe_i32 v4, v1, 0, 8
	v_mov_b32_e32 v5, 0
	s_delay_alu instid0(VALU_DEP_2) | instskip(NEXT) | instid1(VALU_DEP_1)
	v_bfe_i32 v4, v4, 0, 16
	v_cvt_f32_i32_e32 v4, v4
	global_store_b64 v[2:3], v[4:5], off
.LBB46_3860:
	s_mov_b32 s6, 0
.LBB46_3861:
	s_delay_alu instid0(SALU_CYCLE_1)
	s_and_not1_b32 vcc_lo, exec_lo, s6
	s_cbranch_vccnz .LBB46_3863
; %bb.3862:
	s_wait_xcnt 0x0
	v_bfe_i32 v4, v1, 0, 8
	s_delay_alu instid0(VALU_DEP_1) | instskip(NEXT) | instid1(VALU_DEP_1)
	v_cvt_f16_i16_e32 v4, v4
	v_and_b32_e32 v4, 0xffff, v4
	global_store_b32 v[2:3], v4, off
.LBB46_3863:
	s_mov_b32 s6, 0
.LBB46_3864:
	s_delay_alu instid0(SALU_CYCLE_1)
	s_and_not1_b32 vcc_lo, exec_lo, s6
	s_cbranch_vccnz .LBB46_3873
; %bb.3865:
	s_cmp_lt_i32 s0, 6
	s_mov_b32 s6, -1
	s_cbranch_scc1 .LBB46_3871
; %bb.3866:
	s_cmp_gt_i32 s0, 6
	s_cbranch_scc0 .LBB46_3868
; %bb.3867:
	s_wait_xcnt 0x0
	v_bfe_i32 v4, v1, 0, 8
	s_mov_b32 s6, 0
	s_delay_alu instid0(VALU_DEP_1) | instskip(NEXT) | instid1(VALU_DEP_1)
	v_bfe_i32 v4, v4, 0, 16
	v_cvt_f64_i32_e32 v[4:5], v4
	global_store_b64 v[2:3], v[4:5], off
.LBB46_3868:
	s_and_not1_b32 vcc_lo, exec_lo, s6
	s_cbranch_vccnz .LBB46_3870
; %bb.3869:
	s_wait_xcnt 0x0
	v_bfe_i32 v4, v1, 0, 8
	s_delay_alu instid0(VALU_DEP_1) | instskip(NEXT) | instid1(VALU_DEP_1)
	v_bfe_i32 v4, v4, 0, 16
	v_cvt_f32_i32_e32 v4, v4
	global_store_b32 v[2:3], v4, off
.LBB46_3870:
	s_mov_b32 s6, 0
.LBB46_3871:
	s_delay_alu instid0(SALU_CYCLE_1)
	s_and_not1_b32 vcc_lo, exec_lo, s6
	s_cbranch_vccnz .LBB46_3873
; %bb.3872:
	s_wait_xcnt 0x0
	v_bfe_i32 v4, v1, 0, 8
	s_delay_alu instid0(VALU_DEP_1)
	v_cvt_f16_i16_e32 v4, v4
	global_store_b16 v[2:3], v4, off
.LBB46_3873:
	s_mov_b32 s6, 0
.LBB46_3874:
	s_delay_alu instid0(SALU_CYCLE_1)
	s_and_not1_b32 vcc_lo, exec_lo, s6
	s_cbranch_vccnz .LBB46_3890
; %bb.3875:
	s_cmp_lt_i32 s0, 2
	s_mov_b32 s6, -1
	s_cbranch_scc1 .LBB46_3885
; %bb.3876:
	s_cmp_lt_i32 s0, 3
	s_cbranch_scc1 .LBB46_3882
; %bb.3877:
	s_cmp_gt_i32 s0, 3
	s_cbranch_scc0 .LBB46_3879
; %bb.3878:
	s_wait_xcnt 0x0
	v_bfe_i32 v4, v1, 0, 8
	s_mov_b32 s6, 0
	s_delay_alu instid0(VALU_DEP_1)
	v_ashrrev_i32_e32 v5, 31, v4
	global_store_b64 v[2:3], v[4:5], off
.LBB46_3879:
	s_and_not1_b32 vcc_lo, exec_lo, s6
	s_cbranch_vccnz .LBB46_3881
; %bb.3880:
	s_wait_xcnt 0x0
	v_bfe_i32 v4, v1, 0, 8
	global_store_b32 v[2:3], v4, off
.LBB46_3881:
	s_mov_b32 s6, 0
.LBB46_3882:
	s_delay_alu instid0(SALU_CYCLE_1)
	s_and_not1_b32 vcc_lo, exec_lo, s6
	s_cbranch_vccnz .LBB46_3884
; %bb.3883:
	s_wait_xcnt 0x0
	v_bfe_i32 v4, v1, 0, 8
	global_store_b16 v[2:3], v4, off
.LBB46_3884:
	s_mov_b32 s6, 0
.LBB46_3885:
	s_delay_alu instid0(SALU_CYCLE_1)
	s_and_not1_b32 vcc_lo, exec_lo, s6
	s_cbranch_vccnz .LBB46_3890
; %bb.3886:
	s_cmp_gt_i32 s0, 0
	s_mov_b32 s0, -1
	s_cbranch_scc0 .LBB46_3888
; %bb.3887:
	s_mov_b32 s0, 0
	global_store_b8 v[2:3], v1, off
.LBB46_3888:
	s_and_not1_b32 vcc_lo, exec_lo, s0
	s_cbranch_vccnz .LBB46_3890
; %bb.3889:
	global_store_b8 v[2:3], v1, off
.LBB46_3890:
	s_mov_b32 s8, -1
.LBB46_3891:
	s_delay_alu instid0(SALU_CYCLE_1)
	s_and_not1_b32 vcc_lo, exec_lo, s8
	s_cbranch_vccnz .LBB46_3968
; %bb.3892:
	v_add_nc_u32_e32 v0, s3, v0
	s_wait_xcnt 0x0
	v_mul_lo_u16 v2, v16, s2
	v_mul_lo_u16 v3, v20, s1
	s_cmp_lt_i32 s22, 11
	v_ashrrev_i32_e32 v1, 31, v0
	s_delay_alu instid0(VALU_DEP_2) | instskip(NEXT) | instid1(VALU_DEP_2)
	v_mad_u16 v4, v3, v22, v2
	v_add_nc_u64_e32 v[0:1], s[4:5], v[0:1]
	s_cbranch_scc1 .LBB46_4013
; %bb.3893:
	s_and_b32 s2, 0xffff, s22
	s_mov_b32 s3, -1
	s_mov_b32 s1, 0
	s_cmp_gt_i32 s2, 25
	s_mov_b32 s0, 0
	s_cbranch_scc0 .LBB46_3926
; %bb.3894:
	s_cmp_gt_i32 s2, 28
	s_cbranch_scc0 .LBB46_3910
; %bb.3895:
	s_cmp_gt_i32 s2, 43
	;; [unrolled: 3-line block ×3, first 2 shown]
	s_cbranch_scc0 .LBB46_3900
; %bb.3897:
	s_cmp_eq_u32 s2, 46
	s_mov_b32 s0, -1
	s_cbranch_scc0 .LBB46_3899
; %bb.3898:
	v_bfe_i32 v2, v4, 0, 8
	s_mov_b32 s0, 0
	s_delay_alu instid0(VALU_DEP_1) | instskip(NEXT) | instid1(VALU_DEP_1)
	v_bfe_i32 v2, v2, 0, 16
	v_cvt_f32_i32_e32 v2, v2
	s_delay_alu instid0(VALU_DEP_1) | instskip(NEXT) | instid1(VALU_DEP_1)
	v_bfe_u32 v3, v2, 16, 1
	v_add3_u32 v2, v2, v3, 0x7fff
	s_delay_alu instid0(VALU_DEP_1)
	v_lshrrev_b32_e32 v2, 16, v2
	global_store_b32 v[0:1], v2, off
.LBB46_3899:
	s_mov_b32 s3, 0
.LBB46_3900:
	s_delay_alu instid0(SALU_CYCLE_1)
	s_and_b32 vcc_lo, exec_lo, s3
	s_cbranch_vccz .LBB46_3905
; %bb.3901:
	s_cmp_eq_u32 s2, 44
	s_mov_b32 s0, -1
	s_cbranch_scc0 .LBB46_3905
; %bb.3902:
	s_wait_xcnt 0x0
	v_bfe_i32 v2, v4, 0, 8
	v_mov_b32_e32 v3, 0xff
	s_mov_b32 s3, exec_lo
	s_delay_alu instid0(VALU_DEP_2) | instskip(NEXT) | instid1(VALU_DEP_1)
	v_bfe_i32 v2, v2, 0, 16
	v_cvt_f32_i32_e32 v2, v2
	s_delay_alu instid0(VALU_DEP_1) | instskip(NEXT) | instid1(VALU_DEP_1)
	v_bfe_u32 v5, v2, 23, 8
	v_cmpx_ne_u32_e32 0xff, v5
	s_cbranch_execz .LBB46_3904
; %bb.3903:
	v_and_b32_e32 v3, 0x400000, v2
	v_and_or_b32 v5, 0x3fffff, v2, v5
	v_lshrrev_b32_e32 v2, 23, v2
	s_delay_alu instid0(VALU_DEP_3) | instskip(NEXT) | instid1(VALU_DEP_3)
	v_cmp_ne_u32_e32 vcc_lo, 0, v3
	v_cmp_ne_u32_e64 s0, 0, v5
	s_and_b32 s0, vcc_lo, s0
	s_delay_alu instid0(SALU_CYCLE_1) | instskip(NEXT) | instid1(VALU_DEP_1)
	v_cndmask_b32_e64 v3, 0, 1, s0
	v_add_nc_u32_e32 v3, v2, v3
.LBB46_3904:
	s_or_b32 exec_lo, exec_lo, s3
	s_mov_b32 s0, 0
	global_store_b8 v[0:1], v3, off
.LBB46_3905:
	s_mov_b32 s3, 0
.LBB46_3906:
	s_delay_alu instid0(SALU_CYCLE_1)
	s_and_b32 vcc_lo, exec_lo, s3
	s_cbranch_vccz .LBB46_3909
; %bb.3907:
	s_cmp_eq_u32 s2, 29
	s_mov_b32 s0, -1
	s_cbranch_scc0 .LBB46_3909
; %bb.3908:
	s_wait_xcnt 0x0
	v_bfe_i32 v2, v4, 0, 8
	s_mov_b32 s0, 0
	s_delay_alu instid0(VALU_DEP_1)
	v_ashrrev_i32_e32 v3, 31, v2
	global_store_b64 v[0:1], v[2:3], off
.LBB46_3909:
	s_mov_b32 s3, 0
.LBB46_3910:
	s_delay_alu instid0(SALU_CYCLE_1)
	s_and_b32 vcc_lo, exec_lo, s3
	s_cbranch_vccz .LBB46_3925
; %bb.3911:
	s_cmp_lt_i32 s2, 27
	s_mov_b32 s3, -1
	s_cbranch_scc1 .LBB46_3917
; %bb.3912:
	s_cmp_gt_i32 s2, 27
	s_cbranch_scc0 .LBB46_3914
; %bb.3913:
	s_wait_xcnt 0x0
	v_bfe_i32 v2, v4, 0, 8
	s_mov_b32 s3, 0
	global_store_b32 v[0:1], v2, off
.LBB46_3914:
	s_and_not1_b32 vcc_lo, exec_lo, s3
	s_cbranch_vccnz .LBB46_3916
; %bb.3915:
	s_wait_xcnt 0x0
	v_bfe_i32 v2, v4, 0, 8
	global_store_b16 v[0:1], v2, off
.LBB46_3916:
	s_mov_b32 s3, 0
.LBB46_3917:
	s_delay_alu instid0(SALU_CYCLE_1)
	s_and_not1_b32 vcc_lo, exec_lo, s3
	s_cbranch_vccnz .LBB46_3925
; %bb.3918:
	s_wait_xcnt 0x0
	v_bfe_i32 v2, v4, 0, 8
	v_mov_b32_e32 v5, 0x80
	s_mov_b32 s3, exec_lo
	s_delay_alu instid0(VALU_DEP_2) | instskip(NEXT) | instid1(VALU_DEP_1)
	v_bfe_i32 v2, v2, 0, 16
	v_cvt_f32_i32_e32 v2, v2
	s_delay_alu instid0(VALU_DEP_1) | instskip(NEXT) | instid1(VALU_DEP_1)
	v_and_b32_e32 v3, 0x7fffffff, v2
	v_cmpx_gt_u32_e32 0x43800000, v3
	s_cbranch_execz .LBB46_3924
; %bb.3919:
	v_cmp_lt_u32_e32 vcc_lo, 0x3bffffff, v3
	s_mov_b32 s4, 0
                                        ; implicit-def: $vgpr3
	s_and_saveexec_b32 s5, vcc_lo
	s_delay_alu instid0(SALU_CYCLE_1)
	s_xor_b32 s5, exec_lo, s5
	s_cbranch_execz .LBB46_4030
; %bb.3920:
	v_bfe_u32 v3, v2, 20, 1
	s_mov_b32 s4, exec_lo
	s_delay_alu instid0(VALU_DEP_1) | instskip(NEXT) | instid1(VALU_DEP_1)
	v_add3_u32 v3, v2, v3, 0x487ffff
	v_lshrrev_b32_e32 v3, 20, v3
	s_and_not1_saveexec_b32 s5, s5
	s_cbranch_execnz .LBB46_4031
.LBB46_3921:
	s_or_b32 exec_lo, exec_lo, s5
	v_mov_b32_e32 v5, 0
	s_and_saveexec_b32 s5, s4
.LBB46_3922:
	v_lshrrev_b32_e32 v2, 24, v2
	s_delay_alu instid0(VALU_DEP_1)
	v_and_or_b32 v5, 0x80, v2, v3
.LBB46_3923:
	s_or_b32 exec_lo, exec_lo, s5
.LBB46_3924:
	s_delay_alu instid0(SALU_CYCLE_1)
	s_or_b32 exec_lo, exec_lo, s3
	global_store_b8 v[0:1], v5, off
.LBB46_3925:
	s_mov_b32 s3, 0
.LBB46_3926:
	s_delay_alu instid0(SALU_CYCLE_1)
	s_and_b32 vcc_lo, exec_lo, s3
	s_cbranch_vccz .LBB46_3966
; %bb.3927:
	s_cmp_gt_i32 s2, 22
	s_mov_b32 s1, -1
	s_cbranch_scc0 .LBB46_3959
; %bb.3928:
	s_cmp_lt_i32 s2, 24
	s_cbranch_scc1 .LBB46_3948
; %bb.3929:
	s_cmp_gt_i32 s2, 24
	s_cbranch_scc0 .LBB46_3937
; %bb.3930:
	s_wait_xcnt 0x0
	v_bfe_i32 v2, v4, 0, 8
	v_mov_b32_e32 v5, 0x80
	s_mov_b32 s1, exec_lo
	s_delay_alu instid0(VALU_DEP_2) | instskip(NEXT) | instid1(VALU_DEP_1)
	v_bfe_i32 v2, v2, 0, 16
	v_cvt_f32_i32_e32 v2, v2
	s_delay_alu instid0(VALU_DEP_1) | instskip(NEXT) | instid1(VALU_DEP_1)
	v_and_b32_e32 v3, 0x7fffffff, v2
	v_cmpx_gt_u32_e32 0x47800000, v3
	s_cbranch_execz .LBB46_3936
; %bb.3931:
	v_cmp_lt_u32_e32 vcc_lo, 0x37ffffff, v3
	s_mov_b32 s3, 0
                                        ; implicit-def: $vgpr3
	s_and_saveexec_b32 s4, vcc_lo
	s_delay_alu instid0(SALU_CYCLE_1)
	s_xor_b32 s4, exec_lo, s4
	s_cbranch_execz .LBB46_4033
; %bb.3932:
	v_bfe_u32 v3, v2, 21, 1
	s_mov_b32 s3, exec_lo
	s_delay_alu instid0(VALU_DEP_1) | instskip(NEXT) | instid1(VALU_DEP_1)
	v_add3_u32 v3, v2, v3, 0x88fffff
	v_lshrrev_b32_e32 v3, 21, v3
	s_and_not1_saveexec_b32 s4, s4
	s_cbranch_execnz .LBB46_4034
.LBB46_3933:
	s_or_b32 exec_lo, exec_lo, s4
	v_mov_b32_e32 v5, 0
	s_and_saveexec_b32 s4, s3
.LBB46_3934:
	v_lshrrev_b32_e32 v2, 24, v2
	s_delay_alu instid0(VALU_DEP_1)
	v_and_or_b32 v5, 0x80, v2, v3
.LBB46_3935:
	s_or_b32 exec_lo, exec_lo, s4
.LBB46_3936:
	s_delay_alu instid0(SALU_CYCLE_1)
	s_or_b32 exec_lo, exec_lo, s1
	s_mov_b32 s1, 0
	global_store_b8 v[0:1], v5, off
.LBB46_3937:
	s_and_b32 vcc_lo, exec_lo, s1
	s_cbranch_vccz .LBB46_3947
; %bb.3938:
	s_wait_xcnt 0x0
	v_bfe_i32 v2, v4, 0, 8
	s_mov_b32 s1, exec_lo
                                        ; implicit-def: $vgpr3
	s_delay_alu instid0(VALU_DEP_1) | instskip(NEXT) | instid1(VALU_DEP_1)
	v_bfe_i32 v2, v2, 0, 16
	v_cvt_f32_i32_e32 v2, v2
	s_delay_alu instid0(VALU_DEP_1) | instskip(NEXT) | instid1(VALU_DEP_1)
	v_and_b32_e32 v5, 0x7fffffff, v2
	v_cmpx_gt_u32_e32 0x43f00000, v5
	s_xor_b32 s1, exec_lo, s1
	s_cbranch_execz .LBB46_3944
; %bb.3939:
	s_mov_b32 s3, exec_lo
                                        ; implicit-def: $vgpr3
	v_cmpx_lt_u32_e32 0x3c7fffff, v5
	s_xor_b32 s3, exec_lo, s3
; %bb.3940:
	v_bfe_u32 v3, v2, 20, 1
	s_delay_alu instid0(VALU_DEP_1) | instskip(NEXT) | instid1(VALU_DEP_1)
	v_add3_u32 v3, v2, v3, 0x407ffff
	v_and_b32_e32 v5, 0xff00000, v3
	v_lshrrev_b32_e32 v3, 20, v3
	s_delay_alu instid0(VALU_DEP_2) | instskip(NEXT) | instid1(VALU_DEP_2)
	v_cmp_ne_u32_e32 vcc_lo, 0x7f00000, v5
	v_cndmask_b32_e32 v3, 0x7e, v3, vcc_lo
; %bb.3941:
	s_and_not1_saveexec_b32 s3, s3
; %bb.3942:
	v_add_f32_e64 v3, 0x46800000, |v2|
; %bb.3943:
	s_or_b32 exec_lo, exec_lo, s3
                                        ; implicit-def: $vgpr5
.LBB46_3944:
	s_and_not1_saveexec_b32 s1, s1
; %bb.3945:
	v_mov_b32_e32 v3, 0x7f
	v_cmp_lt_u32_e32 vcc_lo, 0x7f800000, v5
	s_delay_alu instid0(VALU_DEP_2)
	v_cndmask_b32_e32 v3, 0x7e, v3, vcc_lo
; %bb.3946:
	s_or_b32 exec_lo, exec_lo, s1
	v_lshrrev_b32_e32 v2, 24, v2
	s_delay_alu instid0(VALU_DEP_1)
	v_and_or_b32 v2, 0x80, v2, v3
	global_store_b8 v[0:1], v2, off
.LBB46_3947:
	s_mov_b32 s1, 0
.LBB46_3948:
	s_delay_alu instid0(SALU_CYCLE_1)
	s_and_not1_b32 vcc_lo, exec_lo, s1
	s_cbranch_vccnz .LBB46_3958
; %bb.3949:
	s_wait_xcnt 0x0
	v_bfe_i32 v2, v4, 0, 8
	s_mov_b32 s1, exec_lo
                                        ; implicit-def: $vgpr3
	s_delay_alu instid0(VALU_DEP_1) | instskip(NEXT) | instid1(VALU_DEP_1)
	v_bfe_i32 v2, v2, 0, 16
	v_cvt_f32_i32_e32 v2, v2
	s_delay_alu instid0(VALU_DEP_1) | instskip(NEXT) | instid1(VALU_DEP_1)
	v_and_b32_e32 v5, 0x7fffffff, v2
	v_cmpx_gt_u32_e32 0x47800000, v5
	s_xor_b32 s1, exec_lo, s1
	s_cbranch_execz .LBB46_3955
; %bb.3950:
	s_mov_b32 s3, exec_lo
                                        ; implicit-def: $vgpr3
	v_cmpx_lt_u32_e32 0x387fffff, v5
	s_xor_b32 s3, exec_lo, s3
; %bb.3951:
	v_bfe_u32 v3, v2, 21, 1
	s_delay_alu instid0(VALU_DEP_1) | instskip(NEXT) | instid1(VALU_DEP_1)
	v_add3_u32 v3, v2, v3, 0x80fffff
	v_lshrrev_b32_e32 v3, 21, v3
; %bb.3952:
	s_and_not1_saveexec_b32 s3, s3
; %bb.3953:
	v_add_f32_e64 v3, 0x43000000, |v2|
; %bb.3954:
	s_or_b32 exec_lo, exec_lo, s3
                                        ; implicit-def: $vgpr5
.LBB46_3955:
	s_and_not1_saveexec_b32 s1, s1
; %bb.3956:
	v_mov_b32_e32 v3, 0x7f
	v_cmp_lt_u32_e32 vcc_lo, 0x7f800000, v5
	s_delay_alu instid0(VALU_DEP_2)
	v_cndmask_b32_e32 v3, 0x7c, v3, vcc_lo
; %bb.3957:
	s_or_b32 exec_lo, exec_lo, s1
	v_lshrrev_b32_e32 v2, 24, v2
	s_delay_alu instid0(VALU_DEP_1)
	v_and_or_b32 v2, 0x80, v2, v3
	global_store_b8 v[0:1], v2, off
.LBB46_3958:
	s_mov_b32 s1, 0
.LBB46_3959:
	s_delay_alu instid0(SALU_CYCLE_1)
	s_and_not1_b32 vcc_lo, exec_lo, s1
	s_mov_b32 s1, 0
	s_cbranch_vccnz .LBB46_3966
; %bb.3960:
	s_cmp_gt_i32 s2, 14
	s_mov_b32 s1, -1
	s_cbranch_scc0 .LBB46_3964
; %bb.3961:
	s_cmp_eq_u32 s2, 15
	s_mov_b32 s0, -1
	s_cbranch_scc0 .LBB46_3963
; %bb.3962:
	s_wait_xcnt 0x0
	v_bfe_i32 v2, v4, 0, 8
	s_mov_b32 s0, 0
	s_delay_alu instid0(VALU_DEP_1) | instskip(NEXT) | instid1(VALU_DEP_1)
	v_bfe_i32 v2, v2, 0, 16
	v_cvt_f32_i32_e32 v2, v2
	s_delay_alu instid0(VALU_DEP_1) | instskip(NEXT) | instid1(VALU_DEP_1)
	v_bfe_u32 v3, v2, 16, 1
	v_add3_u32 v2, v2, v3, 0x7fff
	global_store_d16_hi_b16 v[0:1], v2, off
.LBB46_3963:
	s_mov_b32 s1, 0
.LBB46_3964:
	s_delay_alu instid0(SALU_CYCLE_1)
	s_and_b32 vcc_lo, exec_lo, s1
	s_mov_b32 s1, 0
	s_cbranch_vccz .LBB46_3966
; %bb.3965:
	s_cmp_lg_u32 s2, 11
	s_mov_b32 s1, -1
	s_cselect_b32 s0, -1, 0
.LBB46_3966:
	s_delay_alu instid0(SALU_CYCLE_1)
	s_and_b32 vcc_lo, exec_lo, s0
	s_cbranch_vccnz .LBB46_4032
.LBB46_3967:
	s_mov_b32 s0, 0
	s_branch .LBB46_3969
.LBB46_3968:
	s_mov_b32 s0, 0
	s_mov_b32 s1, 0
                                        ; implicit-def: $sgpr22
                                        ; implicit-def: $vgpr0_vgpr1
                                        ; implicit-def: $vgpr4
.LBB46_3969:
	s_and_not1_b32 s2, s21, exec_lo
	s_and_b32 s3, s16, exec_lo
	s_and_b32 s0, s0, exec_lo
	s_and_b32 s19, s1, exec_lo
	s_or_b32 s21, s2, s3
.LBB46_3970:
	s_wait_xcnt 0x0
	s_or_b32 exec_lo, exec_lo, s20
	s_and_saveexec_b32 s1, s21
	s_cbranch_execz .LBB46_3973
; %bb.3971:
	; divergent unreachable
	s_or_b32 exec_lo, exec_lo, s1
	s_and_saveexec_b32 s1, s19
	s_delay_alu instid0(SALU_CYCLE_1)
	s_xor_b32 s1, exec_lo, s1
	s_cbranch_execnz .LBB46_3974
.LBB46_3972:
	s_or_b32 exec_lo, exec_lo, s1
	s_and_saveexec_b32 s1, s0
	s_cbranch_execnz .LBB46_3975
	s_branch .LBB46_4012
.LBB46_3973:
	s_or_b32 exec_lo, exec_lo, s1
	s_and_saveexec_b32 s1, s19
	s_delay_alu instid0(SALU_CYCLE_1)
	s_xor_b32 s1, exec_lo, s1
	s_cbranch_execz .LBB46_3972
.LBB46_3974:
	s_wait_loadcnt 0x0
	s_delay_alu instid0(VALU_DEP_1) | instskip(NEXT) | instid1(VALU_DEP_1)
	v_and_b32_e32 v2, 0xff, v4
	v_cmp_ne_u16_e32 vcc_lo, 0, v2
	v_cndmask_b32_e64 v2, 0, 1, vcc_lo
	global_store_b8 v[0:1], v2, off
	s_wait_xcnt 0x0
	s_or_b32 exec_lo, exec_lo, s1
	s_and_saveexec_b32 s1, s0
	s_cbranch_execz .LBB46_4012
.LBB46_3975:
	s_sext_i32_i16 s1, s22
	s_mov_b32 s0, -1
	s_cmp_lt_i32 s1, 5
	s_cbranch_scc1 .LBB46_3996
; %bb.3976:
	s_cmp_lt_i32 s1, 8
	s_cbranch_scc1 .LBB46_3986
; %bb.3977:
	s_cmp_lt_i32 s1, 9
	s_cbranch_scc1 .LBB46_3983
; %bb.3978:
	s_wait_loadcnt 0x0
	v_bfe_i32 v2, v4, 0, 8
	s_cmp_gt_i32 s1, 9
	s_delay_alu instid0(VALU_DEP_1)
	v_bfe_i32 v2, v2, 0, 16
	s_cbranch_scc0 .LBB46_3980
; %bb.3979:
	s_delay_alu instid0(VALU_DEP_1) | instskip(SKIP_2) | instid1(VALU_DEP_1)
	v_cvt_f64_i32_e32 v[6:7], v2
	v_mov_b32_e32 v8, 0
	s_mov_b32 s0, 0
	v_mov_b32_e32 v9, v8
	global_store_b128 v[0:1], v[6:9], off
.LBB46_3980:
	s_and_not1_b32 vcc_lo, exec_lo, s0
	s_cbranch_vccnz .LBB46_3982
; %bb.3981:
	s_delay_alu instid0(VALU_DEP_1)
	v_cvt_f32_i32_e32 v2, v2
	v_mov_b32_e32 v3, 0
	global_store_b64 v[0:1], v[2:3], off
.LBB46_3982:
	s_mov_b32 s0, 0
.LBB46_3983:
	s_delay_alu instid0(SALU_CYCLE_1)
	s_and_not1_b32 vcc_lo, exec_lo, s0
	s_cbranch_vccnz .LBB46_3985
; %bb.3984:
	s_wait_loadcnt 0x0
	v_bfe_i32 v2, v4, 0, 8
	s_delay_alu instid0(VALU_DEP_1) | instskip(NEXT) | instid1(VALU_DEP_1)
	v_cvt_f16_i16_e32 v2, v2
	v_and_b32_e32 v2, 0xffff, v2
	global_store_b32 v[0:1], v2, off
.LBB46_3985:
	s_mov_b32 s0, 0
.LBB46_3986:
	s_delay_alu instid0(SALU_CYCLE_1)
	s_and_not1_b32 vcc_lo, exec_lo, s0
	s_cbranch_vccnz .LBB46_3995
; %bb.3987:
	s_sext_i32_i16 s1, s22
	s_mov_b32 s0, -1
	s_cmp_lt_i32 s1, 6
	s_cbranch_scc1 .LBB46_3993
; %bb.3988:
	s_wait_loadcnt 0x0
	v_bfe_i32 v2, v4, 0, 8
	s_cmp_gt_i32 s1, 6
	s_delay_alu instid0(VALU_DEP_1)
	v_bfe_i32 v2, v2, 0, 16
	s_cbranch_scc0 .LBB46_3990
; %bb.3989:
	s_delay_alu instid0(VALU_DEP_1)
	v_cvt_f64_i32_e32 v[6:7], v2
	s_mov_b32 s0, 0
	global_store_b64 v[0:1], v[6:7], off
.LBB46_3990:
	s_and_not1_b32 vcc_lo, exec_lo, s0
	s_cbranch_vccnz .LBB46_3992
; %bb.3991:
	s_delay_alu instid0(VALU_DEP_1)
	v_cvt_f32_i32_e32 v2, v2
	global_store_b32 v[0:1], v2, off
.LBB46_3992:
	s_mov_b32 s0, 0
.LBB46_3993:
	s_delay_alu instid0(SALU_CYCLE_1)
	s_and_not1_b32 vcc_lo, exec_lo, s0
	s_cbranch_vccnz .LBB46_3995
; %bb.3994:
	s_wait_loadcnt 0x0
	v_bfe_i32 v2, v4, 0, 8
	s_delay_alu instid0(VALU_DEP_1)
	v_cvt_f16_i16_e32 v2, v2
	global_store_b16 v[0:1], v2, off
.LBB46_3995:
	s_mov_b32 s0, 0
.LBB46_3996:
	s_delay_alu instid0(SALU_CYCLE_1)
	s_and_not1_b32 vcc_lo, exec_lo, s0
	s_cbranch_vccnz .LBB46_4012
; %bb.3997:
	s_sext_i32_i16 s1, s22
	s_mov_b32 s0, -1
	s_cmp_lt_i32 s1, 2
	s_cbranch_scc1 .LBB46_4007
; %bb.3998:
	s_cmp_lt_i32 s1, 3
	s_cbranch_scc1 .LBB46_4004
; %bb.3999:
	s_wait_loadcnt 0x0
	v_bfe_i32 v2, v4, 0, 8
	s_cmp_gt_i32 s1, 3
	s_cbranch_scc0 .LBB46_4001
; %bb.4000:
	s_delay_alu instid0(VALU_DEP_1)
	v_ashrrev_i32_e32 v3, 31, v2
	s_mov_b32 s0, 0
	global_store_b64 v[0:1], v[2:3], off
.LBB46_4001:
	s_and_not1_b32 vcc_lo, exec_lo, s0
	s_cbranch_vccnz .LBB46_4003
; %bb.4002:
	global_store_b32 v[0:1], v2, off
.LBB46_4003:
	s_mov_b32 s0, 0
.LBB46_4004:
	s_delay_alu instid0(SALU_CYCLE_1)
	s_and_not1_b32 vcc_lo, exec_lo, s0
	s_cbranch_vccnz .LBB46_4006
; %bb.4005:
	s_wait_loadcnt 0x0
	v_bfe_i32 v2, v4, 0, 8
	global_store_b16 v[0:1], v2, off
.LBB46_4006:
	s_mov_b32 s0, 0
.LBB46_4007:
	s_delay_alu instid0(SALU_CYCLE_1)
	s_and_not1_b32 vcc_lo, exec_lo, s0
	s_cbranch_vccnz .LBB46_4012
; %bb.4008:
	s_sext_i32_i16 s0, s22
	s_delay_alu instid0(SALU_CYCLE_1)
	s_cmp_gt_i32 s0, 0
	s_mov_b32 s0, -1
	s_cbranch_scc0 .LBB46_4010
; %bb.4009:
	s_mov_b32 s0, 0
	s_wait_loadcnt 0x0
	global_store_b8 v[0:1], v4, off
.LBB46_4010:
	s_and_not1_b32 vcc_lo, exec_lo, s0
	s_cbranch_vccnz .LBB46_4012
; %bb.4011:
	s_wait_loadcnt 0x0
	global_store_b8 v[0:1], v4, off
	s_endpgm
.LBB46_4012:
	s_endpgm
.LBB46_4013:
	s_mov_b32 s1, 0
	s_mov_b32 s0, -1
	s_branch .LBB46_3969
.LBB46_4014:
	s_or_b32 s16, s16, exec_lo
	s_trap 2
	s_cbranch_execz .LBB46_3483
	s_branch .LBB46_3484
.LBB46_4015:
	s_and_not1_saveexec_b32 s9, s9
	s_cbranch_execz .LBB46_3563
.LBB46_4016:
	v_add_f32_e64 v5, 0x46000000, |v3|
	s_and_not1_b32 s8, s8, exec_lo
	s_delay_alu instid0(VALU_DEP_1) | instskip(NEXT) | instid1(VALU_DEP_1)
	v_and_b32_e32 v5, 0xff, v5
	v_cmp_ne_u32_e32 vcc_lo, 0, v5
	s_and_b32 s10, vcc_lo, exec_lo
	s_delay_alu instid0(SALU_CYCLE_1)
	s_or_b32 s8, s8, s10
	s_or_b32 exec_lo, exec_lo, s9
	v_mov_b32_e32 v6, 0
	s_and_saveexec_b32 s9, s8
	s_cbranch_execnz .LBB46_3564
	s_branch .LBB46_3565
.LBB46_4017:
	s_or_b32 s16, s16, exec_lo
	s_trap 2
	s_cbranch_execz .LBB46_3611
	s_branch .LBB46_3612
.LBB46_4018:
	s_and_not1_saveexec_b32 s8, s8
	s_cbranch_execz .LBB46_3576
.LBB46_4019:
	v_add_f32_e64 v5, 0x42800000, |v3|
	s_and_not1_b32 s7, s7, exec_lo
	s_delay_alu instid0(VALU_DEP_1) | instskip(NEXT) | instid1(VALU_DEP_1)
	v_and_b32_e32 v5, 0xff, v5
	v_cmp_ne_u32_e32 vcc_lo, 0, v5
	s_and_b32 s9, vcc_lo, exec_lo
	s_delay_alu instid0(SALU_CYCLE_1)
	s_or_b32 s7, s7, s9
	s_or_b32 exec_lo, exec_lo, s8
	v_mov_b32_e32 v6, 0
	s_and_saveexec_b32 s8, s7
	s_cbranch_execnz .LBB46_3577
	s_branch .LBB46_3578
.LBB46_4020:
	s_and_not1_saveexec_b32 s10, s10
	s_cbranch_execz .LBB46_3682
.LBB46_4021:
	v_add_f32_e64 v5, 0x46000000, |v4|
	s_and_not1_b32 s9, s9, exec_lo
	s_delay_alu instid0(VALU_DEP_1) | instskip(NEXT) | instid1(VALU_DEP_1)
	v_and_b32_e32 v5, 0xff, v5
	v_cmp_ne_u32_e32 vcc_lo, 0, v5
	s_and_b32 s11, vcc_lo, exec_lo
	s_delay_alu instid0(SALU_CYCLE_1)
	s_or_b32 s9, s9, s11
	s_or_b32 exec_lo, exec_lo, s10
	v_mov_b32_e32 v6, 0
	s_and_saveexec_b32 s10, s9
	s_cbranch_execnz .LBB46_3683
	s_branch .LBB46_3684
.LBB46_4022:
	s_or_b32 s16, s16, exec_lo
	s_trap 2
	s_cbranch_execz .LBB46_3730
	s_branch .LBB46_3731
.LBB46_4023:
	s_and_not1_saveexec_b32 s9, s9
	s_cbranch_execz .LBB46_3695
.LBB46_4024:
	v_add_f32_e64 v5, 0x42800000, |v4|
	s_and_not1_b32 s8, s8, exec_lo
	s_delay_alu instid0(VALU_DEP_1) | instskip(NEXT) | instid1(VALU_DEP_1)
	v_and_b32_e32 v5, 0xff, v5
	v_cmp_ne_u32_e32 vcc_lo, 0, v5
	s_and_b32 s10, vcc_lo, exec_lo
	s_delay_alu instid0(SALU_CYCLE_1)
	s_or_b32 s8, s8, s10
	s_or_b32 exec_lo, exec_lo, s9
	v_mov_b32_e32 v6, 0
	s_and_saveexec_b32 s9, s8
	s_cbranch_execnz .LBB46_3696
	s_branch .LBB46_3697
.LBB46_4025:
	s_and_not1_saveexec_b32 s10, s10
	s_cbranch_execz .LBB46_3801
.LBB46_4026:
	v_add_f32_e64 v5, 0x46000000, |v4|
	s_and_not1_b32 s9, s9, exec_lo
	s_delay_alu instid0(VALU_DEP_1) | instskip(NEXT) | instid1(VALU_DEP_1)
	v_and_b32_e32 v5, 0xff, v5
	v_cmp_ne_u32_e32 vcc_lo, 0, v5
	s_and_b32 s11, vcc_lo, exec_lo
	s_delay_alu instid0(SALU_CYCLE_1)
	s_or_b32 s9, s9, s11
	s_or_b32 exec_lo, exec_lo, s10
	v_mov_b32_e32 v6, 0
	s_and_saveexec_b32 s10, s9
	s_cbranch_execnz .LBB46_3802
	s_branch .LBB46_3803
.LBB46_4027:
	s_or_b32 s16, s16, exec_lo
	s_trap 2
	s_cbranch_execz .LBB46_3849
	s_branch .LBB46_3850
.LBB46_4028:
	s_and_not1_saveexec_b32 s9, s9
	s_cbranch_execz .LBB46_3814
.LBB46_4029:
	v_add_f32_e64 v5, 0x42800000, |v4|
	s_and_not1_b32 s8, s8, exec_lo
	s_delay_alu instid0(VALU_DEP_1) | instskip(NEXT) | instid1(VALU_DEP_1)
	v_and_b32_e32 v5, 0xff, v5
	v_cmp_ne_u32_e32 vcc_lo, 0, v5
	s_and_b32 s10, vcc_lo, exec_lo
	s_delay_alu instid0(SALU_CYCLE_1)
	s_or_b32 s8, s8, s10
	s_or_b32 exec_lo, exec_lo, s9
	v_mov_b32_e32 v6, 0
	s_and_saveexec_b32 s9, s8
	s_cbranch_execnz .LBB46_3815
	s_branch .LBB46_3816
.LBB46_4030:
	s_and_not1_saveexec_b32 s5, s5
	s_cbranch_execz .LBB46_3921
.LBB46_4031:
	v_add_f32_e64 v3, 0x46000000, |v2|
	s_and_not1_b32 s4, s4, exec_lo
	s_delay_alu instid0(VALU_DEP_1) | instskip(NEXT) | instid1(VALU_DEP_1)
	v_and_b32_e32 v3, 0xff, v3
	v_cmp_ne_u32_e32 vcc_lo, 0, v3
	s_and_b32 s6, vcc_lo, exec_lo
	s_delay_alu instid0(SALU_CYCLE_1)
	s_or_b32 s4, s4, s6
	s_or_b32 exec_lo, exec_lo, s5
	v_mov_b32_e32 v5, 0
	s_and_saveexec_b32 s5, s4
	s_cbranch_execnz .LBB46_3922
	s_branch .LBB46_3923
.LBB46_4032:
	s_mov_b32 s1, 0
	s_or_b32 s16, s16, exec_lo
	s_trap 2
	s_branch .LBB46_3967
.LBB46_4033:
	s_and_not1_saveexec_b32 s4, s4
	s_cbranch_execz .LBB46_3933
.LBB46_4034:
	v_add_f32_e64 v3, 0x42800000, |v2|
	s_and_not1_b32 s3, s3, exec_lo
	s_delay_alu instid0(VALU_DEP_1) | instskip(NEXT) | instid1(VALU_DEP_1)
	v_and_b32_e32 v3, 0xff, v3
	v_cmp_ne_u32_e32 vcc_lo, 0, v3
	s_and_b32 s5, vcc_lo, exec_lo
	s_delay_alu instid0(SALU_CYCLE_1)
	s_or_b32 s3, s3, s5
	s_or_b32 exec_lo, exec_lo, s4
	v_mov_b32_e32 v5, 0
	s_and_saveexec_b32 s4, s3
	s_cbranch_execnz .LBB46_3934
	s_branch .LBB46_3935
	.section	.rodata,"a",@progbits
	.p2align	6, 0x0
	.amdhsa_kernel _ZN2at6native32elementwise_kernel_manual_unrollILi128ELi4EZNS0_15gpu_kernel_implIZZZNS0_12_GLOBAL__N_116addr_kernel_cudaERNS_14TensorIteratorERKN3c106ScalarES9_ENKUlvE_clEvENKUlvE0_clEvEUlaaaE0_EEvRNS_18TensorIteratorBaseERKT_EUlibE_EEviT1_
		.amdhsa_group_segment_fixed_size 0
		.amdhsa_private_segment_fixed_size 0
		.amdhsa_kernarg_size 64
		.amdhsa_user_sgpr_count 2
		.amdhsa_user_sgpr_dispatch_ptr 0
		.amdhsa_user_sgpr_queue_ptr 0
		.amdhsa_user_sgpr_kernarg_segment_ptr 1
		.amdhsa_user_sgpr_dispatch_id 0
		.amdhsa_user_sgpr_kernarg_preload_length 0
		.amdhsa_user_sgpr_kernarg_preload_offset 0
		.amdhsa_user_sgpr_private_segment_size 0
		.amdhsa_wavefront_size32 1
		.amdhsa_uses_dynamic_stack 0
		.amdhsa_enable_private_segment 0
		.amdhsa_system_sgpr_workgroup_id_x 1
		.amdhsa_system_sgpr_workgroup_id_y 0
		.amdhsa_system_sgpr_workgroup_id_z 0
		.amdhsa_system_sgpr_workgroup_info 0
		.amdhsa_system_vgpr_workitem_id 0
		.amdhsa_next_free_vgpr 30
		.amdhsa_next_free_sgpr 44
		.amdhsa_named_barrier_count 0
		.amdhsa_reserve_vcc 1
		.amdhsa_float_round_mode_32 0
		.amdhsa_float_round_mode_16_64 0
		.amdhsa_float_denorm_mode_32 3
		.amdhsa_float_denorm_mode_16_64 3
		.amdhsa_fp16_overflow 0
		.amdhsa_memory_ordered 1
		.amdhsa_forward_progress 1
		.amdhsa_inst_pref_size 255
		.amdhsa_round_robin_scheduling 0
		.amdhsa_exception_fp_ieee_invalid_op 0
		.amdhsa_exception_fp_denorm_src 0
		.amdhsa_exception_fp_ieee_div_zero 0
		.amdhsa_exception_fp_ieee_overflow 0
		.amdhsa_exception_fp_ieee_underflow 0
		.amdhsa_exception_fp_ieee_inexact 0
		.amdhsa_exception_int_div_zero 0
	.end_amdhsa_kernel
	.section	.text._ZN2at6native32elementwise_kernel_manual_unrollILi128ELi4EZNS0_15gpu_kernel_implIZZZNS0_12_GLOBAL__N_116addr_kernel_cudaERNS_14TensorIteratorERKN3c106ScalarES9_ENKUlvE_clEvENKUlvE0_clEvEUlaaaE0_EEvRNS_18TensorIteratorBaseERKT_EUlibE_EEviT1_,"axG",@progbits,_ZN2at6native32elementwise_kernel_manual_unrollILi128ELi4EZNS0_15gpu_kernel_implIZZZNS0_12_GLOBAL__N_116addr_kernel_cudaERNS_14TensorIteratorERKN3c106ScalarES9_ENKUlvE_clEvENKUlvE0_clEvEUlaaaE0_EEvRNS_18TensorIteratorBaseERKT_EUlibE_EEviT1_,comdat
.Lfunc_end46:
	.size	_ZN2at6native32elementwise_kernel_manual_unrollILi128ELi4EZNS0_15gpu_kernel_implIZZZNS0_12_GLOBAL__N_116addr_kernel_cudaERNS_14TensorIteratorERKN3c106ScalarES9_ENKUlvE_clEvENKUlvE0_clEvEUlaaaE0_EEvRNS_18TensorIteratorBaseERKT_EUlibE_EEviT1_, .Lfunc_end46-_ZN2at6native32elementwise_kernel_manual_unrollILi128ELi4EZNS0_15gpu_kernel_implIZZZNS0_12_GLOBAL__N_116addr_kernel_cudaERNS_14TensorIteratorERKN3c106ScalarES9_ENKUlvE_clEvENKUlvE0_clEvEUlaaaE0_EEvRNS_18TensorIteratorBaseERKT_EUlibE_EEviT1_
                                        ; -- End function
	.set _ZN2at6native32elementwise_kernel_manual_unrollILi128ELi4EZNS0_15gpu_kernel_implIZZZNS0_12_GLOBAL__N_116addr_kernel_cudaERNS_14TensorIteratorERKN3c106ScalarES9_ENKUlvE_clEvENKUlvE0_clEvEUlaaaE0_EEvRNS_18TensorIteratorBaseERKT_EUlibE_EEviT1_.num_vgpr, 30
	.set _ZN2at6native32elementwise_kernel_manual_unrollILi128ELi4EZNS0_15gpu_kernel_implIZZZNS0_12_GLOBAL__N_116addr_kernel_cudaERNS_14TensorIteratorERKN3c106ScalarES9_ENKUlvE_clEvENKUlvE0_clEvEUlaaaE0_EEvRNS_18TensorIteratorBaseERKT_EUlibE_EEviT1_.num_agpr, 0
	.set _ZN2at6native32elementwise_kernel_manual_unrollILi128ELi4EZNS0_15gpu_kernel_implIZZZNS0_12_GLOBAL__N_116addr_kernel_cudaERNS_14TensorIteratorERKN3c106ScalarES9_ENKUlvE_clEvENKUlvE0_clEvEUlaaaE0_EEvRNS_18TensorIteratorBaseERKT_EUlibE_EEviT1_.numbered_sgpr, 44
	.set _ZN2at6native32elementwise_kernel_manual_unrollILi128ELi4EZNS0_15gpu_kernel_implIZZZNS0_12_GLOBAL__N_116addr_kernel_cudaERNS_14TensorIteratorERKN3c106ScalarES9_ENKUlvE_clEvENKUlvE0_clEvEUlaaaE0_EEvRNS_18TensorIteratorBaseERKT_EUlibE_EEviT1_.num_named_barrier, 0
	.set _ZN2at6native32elementwise_kernel_manual_unrollILi128ELi4EZNS0_15gpu_kernel_implIZZZNS0_12_GLOBAL__N_116addr_kernel_cudaERNS_14TensorIteratorERKN3c106ScalarES9_ENKUlvE_clEvENKUlvE0_clEvEUlaaaE0_EEvRNS_18TensorIteratorBaseERKT_EUlibE_EEviT1_.private_seg_size, 0
	.set _ZN2at6native32elementwise_kernel_manual_unrollILi128ELi4EZNS0_15gpu_kernel_implIZZZNS0_12_GLOBAL__N_116addr_kernel_cudaERNS_14TensorIteratorERKN3c106ScalarES9_ENKUlvE_clEvENKUlvE0_clEvEUlaaaE0_EEvRNS_18TensorIteratorBaseERKT_EUlibE_EEviT1_.uses_vcc, 1
	.set _ZN2at6native32elementwise_kernel_manual_unrollILi128ELi4EZNS0_15gpu_kernel_implIZZZNS0_12_GLOBAL__N_116addr_kernel_cudaERNS_14TensorIteratorERKN3c106ScalarES9_ENKUlvE_clEvENKUlvE0_clEvEUlaaaE0_EEvRNS_18TensorIteratorBaseERKT_EUlibE_EEviT1_.uses_flat_scratch, 0
	.set _ZN2at6native32elementwise_kernel_manual_unrollILi128ELi4EZNS0_15gpu_kernel_implIZZZNS0_12_GLOBAL__N_116addr_kernel_cudaERNS_14TensorIteratorERKN3c106ScalarES9_ENKUlvE_clEvENKUlvE0_clEvEUlaaaE0_EEvRNS_18TensorIteratorBaseERKT_EUlibE_EEviT1_.has_dyn_sized_stack, 0
	.set _ZN2at6native32elementwise_kernel_manual_unrollILi128ELi4EZNS0_15gpu_kernel_implIZZZNS0_12_GLOBAL__N_116addr_kernel_cudaERNS_14TensorIteratorERKN3c106ScalarES9_ENKUlvE_clEvENKUlvE0_clEvEUlaaaE0_EEvRNS_18TensorIteratorBaseERKT_EUlibE_EEviT1_.has_recursion, 0
	.set _ZN2at6native32elementwise_kernel_manual_unrollILi128ELi4EZNS0_15gpu_kernel_implIZZZNS0_12_GLOBAL__N_116addr_kernel_cudaERNS_14TensorIteratorERKN3c106ScalarES9_ENKUlvE_clEvENKUlvE0_clEvEUlaaaE0_EEvRNS_18TensorIteratorBaseERKT_EUlibE_EEviT1_.has_indirect_call, 0
	.section	.AMDGPU.csdata,"",@progbits
; Kernel info:
; codeLenInByte = 71464
; TotalNumSgprs: 46
; NumVgprs: 30
; ScratchSize: 0
; MemoryBound: 1
; FloatMode: 240
; IeeeMode: 1
; LDSByteSize: 0 bytes/workgroup (compile time only)
; SGPRBlocks: 0
; VGPRBlocks: 1
; NumSGPRsForWavesPerEU: 46
; NumVGPRsForWavesPerEU: 30
; NamedBarCnt: 0
; Occupancy: 16
; WaveLimiterHint : 0
; COMPUTE_PGM_RSRC2:SCRATCH_EN: 0
; COMPUTE_PGM_RSRC2:USER_SGPR: 2
; COMPUTE_PGM_RSRC2:TRAP_HANDLER: 0
; COMPUTE_PGM_RSRC2:TGID_X_EN: 1
; COMPUTE_PGM_RSRC2:TGID_Y_EN: 0
; COMPUTE_PGM_RSRC2:TGID_Z_EN: 0
; COMPUTE_PGM_RSRC2:TIDIG_COMP_CNT: 0
	.section	.text._ZN2at6native32elementwise_kernel_manual_unrollILi128ELi4EZNS0_15gpu_kernel_implIZZZNS0_12_GLOBAL__N_116addr_kernel_cudaERNS_14TensorIteratorERKN3c106ScalarES9_ENKUlvE_clEvENKUlvE0_clEvEUlaaaE0_EEvRNS_18TensorIteratorBaseERKT_EUlibE0_EEviT1_,"axG",@progbits,_ZN2at6native32elementwise_kernel_manual_unrollILi128ELi4EZNS0_15gpu_kernel_implIZZZNS0_12_GLOBAL__N_116addr_kernel_cudaERNS_14TensorIteratorERKN3c106ScalarES9_ENKUlvE_clEvENKUlvE0_clEvEUlaaaE0_EEvRNS_18TensorIteratorBaseERKT_EUlibE0_EEviT1_,comdat
	.globl	_ZN2at6native32elementwise_kernel_manual_unrollILi128ELi4EZNS0_15gpu_kernel_implIZZZNS0_12_GLOBAL__N_116addr_kernel_cudaERNS_14TensorIteratorERKN3c106ScalarES9_ENKUlvE_clEvENKUlvE0_clEvEUlaaaE0_EEvRNS_18TensorIteratorBaseERKT_EUlibE0_EEviT1_ ; -- Begin function _ZN2at6native32elementwise_kernel_manual_unrollILi128ELi4EZNS0_15gpu_kernel_implIZZZNS0_12_GLOBAL__N_116addr_kernel_cudaERNS_14TensorIteratorERKN3c106ScalarES9_ENKUlvE_clEvENKUlvE0_clEvEUlaaaE0_EEvRNS_18TensorIteratorBaseERKT_EUlibE0_EEviT1_
	.p2align	8
	.type	_ZN2at6native32elementwise_kernel_manual_unrollILi128ELi4EZNS0_15gpu_kernel_implIZZZNS0_12_GLOBAL__N_116addr_kernel_cudaERNS_14TensorIteratorERKN3c106ScalarES9_ENKUlvE_clEvENKUlvE0_clEvEUlaaaE0_EEvRNS_18TensorIteratorBaseERKT_EUlibE0_EEviT1_,@function
_ZN2at6native32elementwise_kernel_manual_unrollILi128ELi4EZNS0_15gpu_kernel_implIZZZNS0_12_GLOBAL__N_116addr_kernel_cudaERNS_14TensorIteratorERKN3c106ScalarES9_ENKUlvE_clEvENKUlvE0_clEvEUlaaaE0_EEvRNS_18TensorIteratorBaseERKT_EUlibE0_EEviT1_: ; @_ZN2at6native32elementwise_kernel_manual_unrollILi128ELi4EZNS0_15gpu_kernel_implIZZZNS0_12_GLOBAL__N_116addr_kernel_cudaERNS_14TensorIteratorERKN3c106ScalarES9_ENKUlvE_clEvENKUlvE0_clEvEUlaaaE0_EEvRNS_18TensorIteratorBaseERKT_EUlibE0_EEviT1_
; %bb.0:
	s_clause 0x1
	s_load_b32 s33, s[0:1], 0x8
	s_load_b32 s46, s[0:1], 0x0
	s_bfe_u32 s2, ttmp6, 0x4000c
	s_and_b32 s3, ttmp6, 15
	s_add_co_i32 s2, s2, 1
	s_getreg_b32 s4, hwreg(HW_REG_IB_STS2, 6, 4)
	s_mul_i32 s2, ttmp9, s2
	s_mov_b32 s39, 0
	s_add_co_i32 s3, s3, s2
	s_cmp_eq_u32 s4, 0
	s_mov_b32 s35, -1
	s_cselect_b32 s2, ttmp9, s3
	s_mov_b32 s10, 0
	v_lshl_or_b32 v0, s2, 9, v0
	s_add_nc_u64 s[2:3], s[0:1], 8
	s_wait_xcnt 0x0
	s_mov_b32 s0, exec_lo
	s_delay_alu instid0(VALU_DEP_1) | instskip(SKIP_2) | instid1(SALU_CYCLE_1)
	v_or_b32_e32 v5, 0x180, v0
	s_wait_kmcnt 0x0
	s_add_co_i32 s38, s33, -1
	s_cmp_gt_u32 s38, 1
	s_cselect_b32 s40, -1, 0
	v_cmpx_le_i32_e64 s46, v5
	s_xor_b32 s41, exec_lo, s0
	s_cbranch_execz .LBB47_2061
; %bb.1:
	s_clause 0x4
	s_load_b128 s[20:23], s[2:3], 0x4
	s_load_b64 s[0:1], s[2:3], 0x14
	s_load_b64 s[24:25], s[2:3], 0x1e8
	s_load_b256 s[12:19], s[2:3], 0xc4
	s_load_b256 s[4:11], s[2:3], 0x1c8
	s_cmp_lg_u32 s33, 0
	s_mov_b32 s27, 0
	s_cselect_b32 s47, -1, 0
	s_min_u32 s44, s38, 15
	s_cmp_gt_u32 s33, 1
	s_mov_b32 s31, s27
	s_cselect_b32 s43, -1, 0
	s_mov_b32 s50, s27
	s_mov_b32 s49, s27
	s_mov_b32 s48, s27
	s_mov_b32 s45, s27
	s_mov_b32 s51, exec_lo
	s_wait_kmcnt 0x0
	s_mov_b32 s26, s21
	s_mov_b32 s30, s0
	s_lshr_b64 s[28:29], s[24:25], 24
	s_lshr_b32 s42, s24, 8
	s_lshr_b32 s21, s24, 16
	;; [unrolled: 1-line block ×3, first 2 shown]
	v_cmpx_gt_i32_e64 s46, v0
	s_cbranch_execz .LBB47_511
; %bb.2:
	s_and_not1_b32 vcc_lo, exec_lo, s40
	s_cbranch_vccnz .LBB47_8
; %bb.3:
	s_and_not1_b32 vcc_lo, exec_lo, s47
	s_cbranch_vccnz .LBB47_9
; %bb.4:
	v_dual_mov_b32 v8, 0 :: v_dual_mov_b32 v1, v0
	v_dual_mov_b32 v6, 0 :: v_dual_mov_b32 v2, 0
	v_mov_b32_e32 v4, 0
	s_add_co_i32 s0, s44, 1
	s_mov_b64 s[34:35], 0xffffffffffffffe0
	s_and_b32 s0, s0, 30
	s_add_nc_u64 s[34:35], s[2:3], s[34:35]
	s_mov_b64 s[36:37], s[2:3]
.LBB47_5:                               ; =>This Inner Loop Header: Depth=1
	s_clause 0x1
	s_load_b128 s[60:63], s[36:37], 0x4
	s_load_b64 s[48:49], s[36:37], 0x14
	s_load_b256 s[52:59], s[34:35], 0xe4
	s_add_co_i32 s0, s0, -2
	s_wait_xcnt 0x0
	s_add_nc_u64 s[36:37], s[36:37], 24
	s_cmp_lg_u32 s0, 0
	s_add_nc_u64 s[34:35], s[34:35], 32
	s_wait_kmcnt 0x0
	v_mul_hi_u32 v3, s61, v1
	s_delay_alu instid0(VALU_DEP_1) | instskip(NEXT) | instid1(VALU_DEP_1)
	v_add_nc_u32_e32 v3, v1, v3
	v_lshrrev_b32_e32 v3, s62, v3
	s_delay_alu instid0(VALU_DEP_1) | instskip(SKIP_1) | instid1(VALU_DEP_1)
	v_mul_hi_u32 v5, s48, v3
	v_mul_lo_u32 v7, v3, s60
	v_dual_add_nc_u32 v5, v3, v5 :: v_dual_sub_nc_u32 v7, v1, v7
	s_delay_alu instid0(VALU_DEP_1) | instskip(NEXT) | instid1(VALU_DEP_2)
	v_lshrrev_b32_e32 v1, s49, v5
	v_mad_u32 v4, v7, s53, v4
	v_mad_u32 v2, v7, s52, v2
	;; [unrolled: 1-line block ×4, first 2 shown]
	v_mul_lo_u32 v5, v1, s63
	s_delay_alu instid0(VALU_DEP_1) | instskip(NEXT) | instid1(VALU_DEP_1)
	v_sub_nc_u32_e32 v3, v3, v5
	v_mad_u32 v4, v3, s57, v4
	v_mad_u32 v2, v3, s56, v2
	;; [unrolled: 1-line block ×4, first 2 shown]
	s_cbranch_scc1 .LBB47_5
; %bb.6:
	s_bitcmp1_b32 s44, 0
	s_cselect_b32 s0, -1, 0
	s_delay_alu instid0(SALU_CYCLE_1)
	s_and_b32 vcc_lo, exec_lo, s0
	s_cbranch_vccnz .LBB47_10
; %bb.7:
	s_load_b96 s[48:50], s[36:37], 0x4
	s_load_b128 s[52:55], s[34:35], 0xe4
	s_wait_kmcnt 0x0
	v_mul_hi_u32 v3, s49, v1
	s_delay_alu instid0(VALU_DEP_1) | instskip(NEXT) | instid1(VALU_DEP_1)
	v_add_nc_u32_e32 v3, v1, v3
	v_lshrrev_b32_e32 v3, s50, v3
	s_delay_alu instid0(VALU_DEP_1) | instskip(NEXT) | instid1(VALU_DEP_1)
	v_mul_lo_u32 v3, v3, s48
	v_sub_nc_u32_e32 v1, v1, v3
	s_delay_alu instid0(VALU_DEP_1)
	v_mad_u32 v2, v1, s52, v2
	v_mad_u32 v4, v1, s53, v4
	;; [unrolled: 1-line block ×4, first 2 shown]
	s_cbranch_execz .LBB47_11
	s_branch .LBB47_13
.LBB47_8:
                                        ; implicit-def: $vgpr4
                                        ; implicit-def: $vgpr2
                                        ; implicit-def: $vgpr6
                                        ; implicit-def: $vgpr8
	s_branch .LBB47_11
.LBB47_9:
	v_dual_mov_b32 v4, 0 :: v_dual_mov_b32 v2, 0
	v_dual_mov_b32 v6, 0 :: v_dual_mov_b32 v8, 0
.LBB47_10:
	s_cbranch_execnz .LBB47_13
.LBB47_11:
	v_mov_b32_e32 v1, 0
	s_and_not1_b32 vcc_lo, exec_lo, s43
	s_delay_alu instid0(VALU_DEP_1) | instskip(NEXT) | instid1(VALU_DEP_1)
	v_mul_u64_e32 v[2:3], s[26:27], v[0:1]
	v_add_nc_u32_e32 v2, v0, v3
	s_delay_alu instid0(VALU_DEP_1) | instskip(NEXT) | instid1(VALU_DEP_1)
	v_lshrrev_b32_e32 v10, s22, v2
	v_mul_lo_u32 v2, v10, s20
	s_delay_alu instid0(VALU_DEP_1) | instskip(NEXT) | instid1(VALU_DEP_1)
	v_sub_nc_u32_e32 v3, v0, v2
	v_mul_lo_u32 v4, v3, s13
	v_mul_lo_u32 v2, v3, s12
	;; [unrolled: 1-line block ×4, first 2 shown]
	s_cbranch_vccnz .LBB47_13
; %bb.12:
	v_mov_b32_e32 v11, v1
	s_delay_alu instid0(VALU_DEP_1) | instskip(NEXT) | instid1(VALU_DEP_1)
	v_mul_u64_e32 v[12:13], s[30:31], v[10:11]
	v_add_nc_u32_e32 v1, v10, v13
	s_delay_alu instid0(VALU_DEP_1) | instskip(NEXT) | instid1(VALU_DEP_1)
	v_lshrrev_b32_e32 v1, s1, v1
	v_mul_lo_u32 v1, v1, s23
	s_delay_alu instid0(VALU_DEP_1) | instskip(NEXT) | instid1(VALU_DEP_1)
	v_sub_nc_u32_e32 v1, v10, v1
	v_mad_u32 v2, v1, s16, v2
	v_mad_u32 v4, v1, s17, v4
	;; [unrolled: 1-line block ×4, first 2 shown]
.LBB47_13:
	v_mov_b32_e32 v5, 0
	s_and_b32 s0, s28, 0xff
	s_delay_alu instid0(SALU_CYCLE_1) | instskip(NEXT) | instid1(VALU_DEP_1)
	s_cmp_lt_i32 s0, 11
	v_add_nc_u64_e32 v[10:11], s[6:7], v[4:5]
	s_cbranch_scc1 .LBB47_20
; %bb.14:
	s_and_b32 s35, 0xffff, s0
	s_delay_alu instid0(SALU_CYCLE_1)
	s_cmp_gt_i32 s35, 25
	s_cbranch_scc0 .LBB47_29
; %bb.15:
	s_cmp_gt_i32 s35, 28
	s_cbranch_scc0 .LBB47_39
; %bb.16:
	;; [unrolled: 3-line block ×4, first 2 shown]
	s_cmp_eq_u32 s35, 46
	s_mov_b32 s37, 0
	s_cbranch_scc0 .LBB47_48
; %bb.19:
	global_load_b32 v1, v[10:11], off
	s_mov_b32 s36, -1
	s_mov_b32 s34, 0
	s_wait_loadcnt 0x0
	v_lshlrev_b32_e32 v1, 16, v1
	s_delay_alu instid0(VALU_DEP_1)
	v_cvt_i32_f32_e32 v4, v1
	s_branch .LBB47_50
.LBB47_20:
	s_mov_b32 s34, 0
	s_mov_b32 s36, 0
                                        ; implicit-def: $vgpr4
	s_cbranch_execnz .LBB47_112
.LBB47_21:
	s_and_not1_b32 vcc_lo, exec_lo, s36
	s_cbranch_vccnz .LBB47_159
.LBB47_22:
	v_mov_b32_e32 v9, 0
	s_and_b32 s0, s25, 0xff
	s_delay_alu instid0(SALU_CYCLE_1) | instskip(SKIP_1) | instid1(VALU_DEP_1)
	s_cmp_lt_i32 s0, 11
	s_wait_xcnt 0x0
	v_add_nc_u64_e32 v[10:11], s[8:9], v[8:9]
	s_cbranch_scc1 .LBB47_30
; %bb.23:
	s_and_b32 s36, 0xffff, s0
	s_delay_alu instid0(SALU_CYCLE_1)
	s_cmp_gt_i32 s36, 25
	s_cbranch_scc0 .LBB47_40
; %bb.24:
	s_cmp_gt_i32 s36, 28
	s_cbranch_scc0 .LBB47_43
; %bb.25:
	;; [unrolled: 3-line block ×4, first 2 shown]
	s_cmp_eq_u32 s36, 46
	s_mov_b32 s45, 0
	s_cbranch_scc0 .LBB47_160
; %bb.28:
	global_load_b32 v1, v[10:11], off
	s_mov_b32 s37, -1
	s_mov_b32 s35, 0
	s_wait_loadcnt 0x0
	v_lshlrev_b32_e32 v1, 16, v1
	s_delay_alu instid0(VALU_DEP_1)
	v_cvt_i32_f32_e32 v8, v1
	s_branch .LBB47_162
.LBB47_29:
	s_mov_b32 s34, 0
	s_mov_b32 s36, 0
                                        ; implicit-def: $vgpr4
	s_cbranch_execnz .LBB47_79
	s_branch .LBB47_111
.LBB47_30:
	s_mov_b32 s35, 0
	s_mov_b32 s37, 0
                                        ; implicit-def: $vgpr8
	s_cbranch_execnz .LBB47_224
.LBB47_31:
	s_and_not1_b32 vcc_lo, exec_lo, s37
	s_cbranch_vccnz .LBB47_272
.LBB47_32:
	v_mov_b32_e32 v7, 0
	s_and_b32 s0, s29, 0xff
	s_delay_alu instid0(SALU_CYCLE_1) | instskip(NEXT) | instid1(VALU_DEP_1)
	s_cmp_lt_i32 s0, 11
	v_add_nc_u64_e32 v[6:7], s[10:11], v[6:7]
	s_cbranch_scc1 .LBB47_41
; %bb.33:
	s_and_b32 s37, 0xffff, s0
	s_delay_alu instid0(SALU_CYCLE_1)
	s_cmp_gt_i32 s37, 25
	s_cbranch_scc0 .LBB47_44
; %bb.34:
	s_cmp_gt_i32 s37, 28
	s_cbranch_scc0 .LBB47_47
; %bb.35:
	;; [unrolled: 3-line block ×4, first 2 shown]
	s_cmp_eq_u32 s37, 46
	s_mov_b32 s48, 0
	s_cbranch_scc0 .LBB47_273
; %bb.38:
	global_load_b32 v1, v[6:7], off
	s_mov_b32 s45, -1
	s_mov_b32 s36, 0
	s_wait_loadcnt 0x0
	v_lshlrev_b32_e32 v1, 16, v1
	s_delay_alu instid0(VALU_DEP_1)
	v_cvt_i32_f32_e32 v10, v1
	s_branch .LBB47_275
.LBB47_39:
	s_mov_b32 s37, -1
	s_mov_b32 s34, 0
	s_mov_b32 s36, 0
                                        ; implicit-def: $vgpr4
	s_branch .LBB47_62
.LBB47_40:
	s_mov_b32 s45, -1
	s_mov_b32 s35, 0
	s_mov_b32 s37, 0
                                        ; implicit-def: $vgpr8
	s_branch .LBB47_190
.LBB47_41:
	s_mov_b32 s37, -1
	s_mov_b32 s36, 0
	s_mov_b32 s45, 0
                                        ; implicit-def: $vgpr10
	s_branch .LBB47_336
.LBB47_42:
	s_mov_b32 s37, -1
	s_mov_b32 s34, 0
	s_mov_b32 s36, 0
                                        ; implicit-def: $vgpr4
	s_branch .LBB47_57
.LBB47_43:
	s_mov_b32 s45, -1
	s_mov_b32 s35, 0
	s_mov_b32 s37, 0
                                        ; implicit-def: $vgpr8
	s_branch .LBB47_173
.LBB47_44:
	s_mov_b32 s48, -1
	s_mov_b32 s36, 0
	s_mov_b32 s45, 0
                                        ; implicit-def: $vgpr10
	s_branch .LBB47_302
.LBB47_45:
	s_mov_b32 s37, -1
	s_mov_b32 s34, 0
	s_branch .LBB47_49
.LBB47_46:
	s_mov_b32 s45, -1
	s_mov_b32 s35, 0
	s_mov_b32 s37, 0
                                        ; implicit-def: $vgpr8
	s_branch .LBB47_168
.LBB47_47:
	s_mov_b32 s48, -1
	s_mov_b32 s36, 0
	s_mov_b32 s45, 0
                                        ; implicit-def: $vgpr10
	s_branch .LBB47_285
.LBB47_48:
	s_mov_b32 s34, -1
.LBB47_49:
	s_mov_b32 s36, 0
                                        ; implicit-def: $vgpr4
.LBB47_50:
	s_and_b32 vcc_lo, exec_lo, s37
	s_cbranch_vccz .LBB47_56
; %bb.51:
	s_cmp_eq_u32 s35, 44
	s_cbranch_scc0 .LBB47_55
; %bb.52:
	global_load_u8 v1, v[10:11], off
	s_mov_b32 s34, 0
	s_mov_b32 s36, -1
	s_wait_loadcnt 0x0
	v_lshlrev_b32_e32 v3, 23, v1
	v_cmp_ne_u32_e32 vcc_lo, 0, v1
	s_delay_alu instid0(VALU_DEP_2) | instskip(NEXT) | instid1(VALU_DEP_1)
	v_cvt_i32_f32_e32 v3, v3
	v_cndmask_b32_e32 v4, 0, v3, vcc_lo
	s_branch .LBB47_56
.LBB47_53:
	s_mov_b32 s45, -1
	s_mov_b32 s35, 0
	s_branch .LBB47_161
.LBB47_54:
	s_mov_b32 s48, -1
	s_mov_b32 s36, 0
	s_mov_b32 s45, 0
                                        ; implicit-def: $vgpr10
	s_branch .LBB47_280
.LBB47_55:
	s_mov_b32 s34, -1
                                        ; implicit-def: $vgpr4
.LBB47_56:
	s_mov_b32 s37, 0
.LBB47_57:
	s_delay_alu instid0(SALU_CYCLE_1)
	s_and_b32 vcc_lo, exec_lo, s37
	s_cbranch_vccz .LBB47_61
; %bb.58:
	s_cmp_eq_u32 s35, 29
	s_cbranch_scc0 .LBB47_60
; %bb.59:
	global_load_b64 v[4:5], v[10:11], off
	s_mov_b32 s36, -1
	s_mov_b32 s34, 0
	s_branch .LBB47_61
.LBB47_60:
	s_mov_b32 s34, -1
                                        ; implicit-def: $vgpr4
.LBB47_61:
	s_mov_b32 s37, 0
.LBB47_62:
	s_delay_alu instid0(SALU_CYCLE_1)
	s_and_b32 vcc_lo, exec_lo, s37
	s_cbranch_vccz .LBB47_78
; %bb.63:
	s_cmp_lt_i32 s35, 27
	s_cbranch_scc1 .LBB47_66
; %bb.64:
	s_cmp_gt_i32 s35, 27
	s_cbranch_scc0 .LBB47_67
; %bb.65:
	s_wait_loadcnt 0x0
	global_load_b32 v4, v[10:11], off
	s_mov_b32 s36, 0
	s_branch .LBB47_68
.LBB47_66:
	s_mov_b32 s36, -1
                                        ; implicit-def: $vgpr4
	s_branch .LBB47_71
.LBB47_67:
	s_mov_b32 s36, -1
                                        ; implicit-def: $vgpr4
.LBB47_68:
	s_delay_alu instid0(SALU_CYCLE_1)
	s_and_not1_b32 vcc_lo, exec_lo, s36
	s_cbranch_vccnz .LBB47_70
; %bb.69:
	s_wait_loadcnt 0x0
	global_load_u16 v4, v[10:11], off
.LBB47_70:
	s_mov_b32 s36, 0
.LBB47_71:
	s_delay_alu instid0(SALU_CYCLE_1)
	s_and_not1_b32 vcc_lo, exec_lo, s36
	s_cbranch_vccnz .LBB47_77
; %bb.72:
	global_load_u8 v1, v[10:11], off
	s_mov_b32 s37, 0
	s_mov_b32 s36, exec_lo
	s_wait_loadcnt 0x0
	v_cmpx_lt_i16_e32 0x7f, v1
	s_xor_b32 s36, exec_lo, s36
	s_cbranch_execz .LBB47_88
; %bb.73:
	v_cmp_ne_u16_e32 vcc_lo, 0x80, v1
	s_and_b32 s37, vcc_lo, exec_lo
	s_and_not1_saveexec_b32 s36, s36
	s_cbranch_execnz .LBB47_89
.LBB47_74:
	s_or_b32 exec_lo, exec_lo, s36
	v_mov_b32_e32 v4, 0
	s_and_saveexec_b32 s36, s37
	s_cbranch_execz .LBB47_76
.LBB47_75:
	v_and_b32_e32 v3, 0xffff, v1
	s_delay_alu instid0(VALU_DEP_1) | instskip(SKIP_1) | instid1(VALU_DEP_2)
	v_and_b32_e32 v4, 7, v3
	v_bfe_u32 v9, v3, 3, 4
	v_clz_i32_u32_e32 v5, v4
	s_delay_alu instid0(VALU_DEP_2) | instskip(NEXT) | instid1(VALU_DEP_2)
	v_cmp_eq_u32_e32 vcc_lo, 0, v9
	v_min_u32_e32 v5, 32, v5
	s_delay_alu instid0(VALU_DEP_1) | instskip(NEXT) | instid1(VALU_DEP_1)
	v_subrev_nc_u32_e32 v7, 28, v5
	v_dual_lshlrev_b32 v3, v7, v3 :: v_dual_sub_nc_u32 v5, 29, v5
	s_delay_alu instid0(VALU_DEP_1) | instskip(NEXT) | instid1(VALU_DEP_1)
	v_dual_lshlrev_b32 v1, 24, v1 :: v_dual_bitop2_b32 v3, 7, v3 bitop3:0x40
	v_dual_cndmask_b32 v3, v4, v3, vcc_lo :: v_dual_cndmask_b32 v5, v9, v5, vcc_lo
	s_delay_alu instid0(VALU_DEP_2) | instskip(NEXT) | instid1(VALU_DEP_2)
	v_and_b32_e32 v1, 0x80000000, v1
	v_lshlrev_b32_e32 v3, 20, v3
	s_delay_alu instid0(VALU_DEP_3) | instskip(NEXT) | instid1(VALU_DEP_1)
	v_lshl_add_u32 v4, v5, 23, 0x3b800000
	v_or3_b32 v1, v1, v4, v3
	s_delay_alu instid0(VALU_DEP_1)
	v_cvt_i32_f32_e32 v4, v1
.LBB47_76:
	s_or_b32 exec_lo, exec_lo, s36
.LBB47_77:
	s_mov_b32 s36, -1
.LBB47_78:
	s_branch .LBB47_111
.LBB47_79:
	s_cmp_gt_i32 s35, 22
	s_cbranch_scc0 .LBB47_87
; %bb.80:
	s_cmp_lt_i32 s35, 24
	s_cbranch_scc1 .LBB47_90
; %bb.81:
	s_cmp_gt_i32 s35, 24
	s_cbranch_scc0 .LBB47_91
; %bb.82:
	global_load_u8 v1, v[10:11], off
	s_mov_b32 s37, 0
	s_mov_b32 s36, exec_lo
	s_wait_loadcnt 0x0
	v_cmpx_lt_i16_e32 0x7f, v1
	s_xor_b32 s36, exec_lo, s36
	s_cbranch_execz .LBB47_103
; %bb.83:
	v_cmp_ne_u16_e32 vcc_lo, 0x80, v1
	s_and_b32 s37, vcc_lo, exec_lo
	s_and_not1_saveexec_b32 s36, s36
	s_cbranch_execnz .LBB47_104
.LBB47_84:
	s_or_b32 exec_lo, exec_lo, s36
	v_mov_b32_e32 v4, 0
	s_and_saveexec_b32 s36, s37
	s_cbranch_execz .LBB47_86
.LBB47_85:
	v_and_b32_e32 v3, 0xffff, v1
	s_delay_alu instid0(VALU_DEP_1) | instskip(SKIP_1) | instid1(VALU_DEP_2)
	v_and_b32_e32 v4, 3, v3
	v_bfe_u32 v9, v3, 2, 5
	v_clz_i32_u32_e32 v5, v4
	s_delay_alu instid0(VALU_DEP_2) | instskip(NEXT) | instid1(VALU_DEP_2)
	v_cmp_eq_u32_e32 vcc_lo, 0, v9
	v_min_u32_e32 v5, 32, v5
	s_delay_alu instid0(VALU_DEP_1) | instskip(NEXT) | instid1(VALU_DEP_1)
	v_subrev_nc_u32_e32 v7, 29, v5
	v_dual_lshlrev_b32 v3, v7, v3 :: v_dual_sub_nc_u32 v5, 30, v5
	s_delay_alu instid0(VALU_DEP_1) | instskip(NEXT) | instid1(VALU_DEP_1)
	v_dual_lshlrev_b32 v1, 24, v1 :: v_dual_bitop2_b32 v3, 3, v3 bitop3:0x40
	v_dual_cndmask_b32 v3, v4, v3, vcc_lo :: v_dual_cndmask_b32 v5, v9, v5, vcc_lo
	s_delay_alu instid0(VALU_DEP_2) | instskip(NEXT) | instid1(VALU_DEP_2)
	v_and_b32_e32 v1, 0x80000000, v1
	v_lshlrev_b32_e32 v3, 21, v3
	s_delay_alu instid0(VALU_DEP_3) | instskip(NEXT) | instid1(VALU_DEP_1)
	v_lshl_add_u32 v4, v5, 23, 0x37800000
	v_or3_b32 v1, v1, v4, v3
	s_delay_alu instid0(VALU_DEP_1)
	v_cvt_i32_f32_e32 v4, v1
.LBB47_86:
	s_or_b32 exec_lo, exec_lo, s36
	s_mov_b32 s36, 0
	s_branch .LBB47_92
.LBB47_87:
	s_mov_b32 s37, -1
                                        ; implicit-def: $vgpr4
	s_branch .LBB47_98
.LBB47_88:
	s_and_not1_saveexec_b32 s36, s36
	s_cbranch_execz .LBB47_74
.LBB47_89:
	v_cmp_ne_u16_e32 vcc_lo, 0, v1
	s_and_not1_b32 s37, s37, exec_lo
	s_and_b32 s45, vcc_lo, exec_lo
	s_delay_alu instid0(SALU_CYCLE_1)
	s_or_b32 s37, s37, s45
	s_or_b32 exec_lo, exec_lo, s36
	v_mov_b32_e32 v4, 0
	s_and_saveexec_b32 s36, s37
	s_cbranch_execnz .LBB47_75
	s_branch .LBB47_76
.LBB47_90:
	s_mov_b32 s36, -1
                                        ; implicit-def: $vgpr4
	s_branch .LBB47_95
.LBB47_91:
	s_mov_b32 s36, -1
                                        ; implicit-def: $vgpr4
.LBB47_92:
	s_delay_alu instid0(SALU_CYCLE_1)
	s_and_b32 vcc_lo, exec_lo, s36
	s_cbranch_vccz .LBB47_94
; %bb.93:
	global_load_u8 v1, v[10:11], off
	s_wait_loadcnt 0x0
	v_lshlrev_b32_e32 v1, 24, v1
	s_delay_alu instid0(VALU_DEP_1) | instskip(NEXT) | instid1(VALU_DEP_1)
	v_and_b32_e32 v3, 0x7f000000, v1
	v_clz_i32_u32_e32 v4, v3
	v_add_nc_u32_e32 v7, 0x1000000, v3
	v_cmp_ne_u32_e32 vcc_lo, 0, v3
	s_delay_alu instid0(VALU_DEP_3) | instskip(NEXT) | instid1(VALU_DEP_1)
	v_min_u32_e32 v4, 32, v4
	v_sub_nc_u32_e64 v4, v4, 4 clamp
	s_delay_alu instid0(VALU_DEP_1) | instskip(NEXT) | instid1(VALU_DEP_1)
	v_dual_lshlrev_b32 v5, v4, v3 :: v_dual_lshlrev_b32 v4, 23, v4
	v_lshrrev_b32_e32 v5, 4, v5
	s_delay_alu instid0(VALU_DEP_1) | instskip(NEXT) | instid1(VALU_DEP_1)
	v_dual_sub_nc_u32 v4, v5, v4 :: v_dual_ashrrev_i32 v5, 8, v7
	v_add_nc_u32_e32 v4, 0x3c000000, v4
	s_delay_alu instid0(VALU_DEP_1) | instskip(NEXT) | instid1(VALU_DEP_1)
	v_and_or_b32 v4, 0x7f800000, v5, v4
	v_cndmask_b32_e32 v3, 0, v4, vcc_lo
	s_delay_alu instid0(VALU_DEP_1) | instskip(NEXT) | instid1(VALU_DEP_1)
	v_and_or_b32 v1, 0x80000000, v1, v3
	v_cvt_i32_f32_e32 v4, v1
.LBB47_94:
	s_mov_b32 s36, 0
.LBB47_95:
	s_delay_alu instid0(SALU_CYCLE_1)
	s_and_not1_b32 vcc_lo, exec_lo, s36
	s_cbranch_vccnz .LBB47_97
; %bb.96:
	global_load_u8 v1, v[10:11], off
	s_wait_loadcnt 0x0
	v_lshlrev_b32_e32 v3, 25, v1
	v_lshlrev_b16 v1, 8, v1
	s_delay_alu instid0(VALU_DEP_1) | instskip(NEXT) | instid1(VALU_DEP_3)
	v_and_or_b32 v5, 0x7f00, v1, 0.5
	v_lshrrev_b32_e32 v4, 4, v3
	v_bfe_i32 v1, v1, 0, 16
	s_delay_alu instid0(VALU_DEP_3) | instskip(NEXT) | instid1(VALU_DEP_3)
	v_add_f32_e32 v5, -0.5, v5
	v_or_b32_e32 v4, 0x70000000, v4
	s_delay_alu instid0(VALU_DEP_1) | instskip(SKIP_1) | instid1(VALU_DEP_2)
	v_mul_f32_e32 v4, 0x7800000, v4
	v_cmp_gt_u32_e32 vcc_lo, 0x8000000, v3
	v_cndmask_b32_e32 v3, v4, v5, vcc_lo
	s_delay_alu instid0(VALU_DEP_1) | instskip(NEXT) | instid1(VALU_DEP_1)
	v_and_or_b32 v1, 0x80000000, v1, v3
	v_cvt_i32_f32_e32 v4, v1
.LBB47_97:
	s_mov_b32 s37, 0
	s_mov_b32 s36, -1
.LBB47_98:
	s_and_not1_b32 vcc_lo, exec_lo, s37
	s_cbranch_vccnz .LBB47_111
; %bb.99:
	s_cmp_gt_i32 s35, 14
	s_cbranch_scc0 .LBB47_102
; %bb.100:
	s_cmp_eq_u32 s35, 15
	s_cbranch_scc0 .LBB47_105
; %bb.101:
	global_load_u16 v1, v[10:11], off
	s_mov_b32 s36, -1
	s_mov_b32 s34, 0
	s_wait_loadcnt 0x0
	v_lshlrev_b32_e32 v1, 16, v1
	s_delay_alu instid0(VALU_DEP_1)
	v_cvt_i32_f32_e32 v4, v1
	s_branch .LBB47_106
.LBB47_102:
	s_mov_b32 s37, -1
                                        ; implicit-def: $vgpr4
	s_branch .LBB47_107
.LBB47_103:
	s_and_not1_saveexec_b32 s36, s36
	s_cbranch_execz .LBB47_84
.LBB47_104:
	v_cmp_ne_u16_e32 vcc_lo, 0, v1
	s_and_not1_b32 s37, s37, exec_lo
	s_and_b32 s45, vcc_lo, exec_lo
	s_delay_alu instid0(SALU_CYCLE_1)
	s_or_b32 s37, s37, s45
	s_or_b32 exec_lo, exec_lo, s36
	v_mov_b32_e32 v4, 0
	s_and_saveexec_b32 s36, s37
	s_cbranch_execnz .LBB47_85
	s_branch .LBB47_86
.LBB47_105:
	s_mov_b32 s34, -1
                                        ; implicit-def: $vgpr4
.LBB47_106:
	s_mov_b32 s37, 0
.LBB47_107:
	s_delay_alu instid0(SALU_CYCLE_1)
	s_and_b32 vcc_lo, exec_lo, s37
	s_cbranch_vccz .LBB47_111
; %bb.108:
	s_cmp_eq_u32 s35, 11
	s_cbranch_scc0 .LBB47_110
; %bb.109:
	global_load_u8 v1, v[10:11], off
	s_mov_b32 s34, 0
	s_mov_b32 s36, -1
	s_wait_loadcnt 0x0
	v_cmp_ne_u16_e32 vcc_lo, 0, v1
	v_cndmask_b32_e64 v4, 0, 1, vcc_lo
	s_branch .LBB47_111
.LBB47_110:
	s_mov_b32 s34, -1
                                        ; implicit-def: $vgpr4
.LBB47_111:
	s_branch .LBB47_21
.LBB47_112:
	s_and_b32 s0, 0xffff, s0
	s_delay_alu instid0(SALU_CYCLE_1)
	s_cmp_lt_i32 s0, 5
	s_cbranch_scc1 .LBB47_117
; %bb.113:
	s_cmp_lt_i32 s0, 8
	s_cbranch_scc1 .LBB47_118
; %bb.114:
	;; [unrolled: 3-line block ×3, first 2 shown]
	s_cmp_gt_i32 s0, 9
	s_cbranch_scc0 .LBB47_120
; %bb.116:
	s_wait_loadcnt 0x0
	global_load_b64 v[4:5], v[10:11], off
	s_mov_b32 s35, 0
	s_wait_loadcnt 0x0
	v_cvt_i32_f64_e32 v4, v[4:5]
	s_branch .LBB47_121
.LBB47_117:
                                        ; implicit-def: $vgpr4
	s_branch .LBB47_139
.LBB47_118:
	s_mov_b32 s35, -1
                                        ; implicit-def: $vgpr4
	s_branch .LBB47_127
.LBB47_119:
	s_mov_b32 s35, -1
                                        ; implicit-def: $vgpr4
	s_branch .LBB47_124
.LBB47_120:
	s_mov_b32 s35, -1
                                        ; implicit-def: $vgpr4
.LBB47_121:
	s_delay_alu instid0(SALU_CYCLE_1)
	s_and_not1_b32 vcc_lo, exec_lo, s35
	s_cbranch_vccnz .LBB47_123
; %bb.122:
	global_load_b32 v1, v[10:11], off
	s_wait_loadcnt 0x0
	v_cvt_i32_f32_e32 v4, v1
.LBB47_123:
	s_mov_b32 s35, 0
.LBB47_124:
	s_delay_alu instid0(SALU_CYCLE_1)
	s_and_not1_b32 vcc_lo, exec_lo, s35
	s_cbranch_vccnz .LBB47_126
; %bb.125:
	global_load_b32 v1, v[10:11], off
	s_wait_loadcnt 0x0
	v_cvt_i16_f16_e32 v4, v1
.LBB47_126:
	s_mov_b32 s35, 0
.LBB47_127:
	s_delay_alu instid0(SALU_CYCLE_1)
	s_and_not1_b32 vcc_lo, exec_lo, s35
	s_cbranch_vccnz .LBB47_138
; %bb.128:
	s_cmp_lt_i32 s0, 6
	s_cbranch_scc1 .LBB47_131
; %bb.129:
	s_cmp_gt_i32 s0, 6
	s_cbranch_scc0 .LBB47_132
; %bb.130:
	s_wait_loadcnt 0x0
	global_load_b64 v[4:5], v[10:11], off
	s_mov_b32 s35, 0
	s_wait_loadcnt 0x0
	v_cvt_i32_f64_e32 v4, v[4:5]
	s_branch .LBB47_133
.LBB47_131:
	s_mov_b32 s35, -1
                                        ; implicit-def: $vgpr4
	s_branch .LBB47_136
.LBB47_132:
	s_mov_b32 s35, -1
                                        ; implicit-def: $vgpr4
.LBB47_133:
	s_delay_alu instid0(SALU_CYCLE_1)
	s_and_not1_b32 vcc_lo, exec_lo, s35
	s_cbranch_vccnz .LBB47_135
; %bb.134:
	global_load_b32 v1, v[10:11], off
	s_wait_loadcnt 0x0
	v_cvt_i32_f32_e32 v4, v1
.LBB47_135:
	s_mov_b32 s35, 0
.LBB47_136:
	s_delay_alu instid0(SALU_CYCLE_1)
	s_and_not1_b32 vcc_lo, exec_lo, s35
	s_cbranch_vccnz .LBB47_138
; %bb.137:
	global_load_u16 v1, v[10:11], off
	s_wait_loadcnt 0x0
	v_cvt_i16_f16_e32 v4, v1
.LBB47_138:
	s_cbranch_execnz .LBB47_158
.LBB47_139:
	s_cmp_lt_i32 s0, 2
	s_cbranch_scc1 .LBB47_143
; %bb.140:
	s_cmp_lt_i32 s0, 3
	s_cbranch_scc1 .LBB47_144
; %bb.141:
	s_cmp_gt_i32 s0, 3
	s_cbranch_scc0 .LBB47_145
; %bb.142:
	s_wait_loadcnt 0x0
	global_load_b64 v[4:5], v[10:11], off
	s_mov_b32 s35, 0
	s_branch .LBB47_146
.LBB47_143:
	s_mov_b32 s35, -1
                                        ; implicit-def: $vgpr4
	s_branch .LBB47_152
.LBB47_144:
	s_mov_b32 s35, -1
                                        ; implicit-def: $vgpr4
	s_branch .LBB47_149
.LBB47_145:
	s_mov_b32 s35, -1
                                        ; implicit-def: $vgpr4
.LBB47_146:
	s_delay_alu instid0(SALU_CYCLE_1)
	s_and_not1_b32 vcc_lo, exec_lo, s35
	s_cbranch_vccnz .LBB47_148
; %bb.147:
	s_wait_loadcnt 0x0
	global_load_b32 v4, v[10:11], off
.LBB47_148:
	s_mov_b32 s35, 0
.LBB47_149:
	s_delay_alu instid0(SALU_CYCLE_1)
	s_and_not1_b32 vcc_lo, exec_lo, s35
	s_cbranch_vccnz .LBB47_151
; %bb.150:
	s_wait_loadcnt 0x0
	global_load_u16 v4, v[10:11], off
.LBB47_151:
	s_mov_b32 s35, 0
.LBB47_152:
	s_delay_alu instid0(SALU_CYCLE_1)
	s_and_not1_b32 vcc_lo, exec_lo, s35
	s_cbranch_vccnz .LBB47_158
; %bb.153:
	s_cmp_gt_i32 s0, 0
	s_mov_b32 s0, 0
	s_cbranch_scc0 .LBB47_155
; %bb.154:
	s_wait_loadcnt 0x0
	global_load_u8 v4, v[10:11], off
	s_branch .LBB47_156
.LBB47_155:
	s_mov_b32 s0, -1
                                        ; implicit-def: $vgpr4
.LBB47_156:
	s_delay_alu instid0(SALU_CYCLE_1)
	s_and_not1_b32 vcc_lo, exec_lo, s0
	s_cbranch_vccnz .LBB47_158
; %bb.157:
	s_wait_loadcnt 0x0
	global_load_u8 v4, v[10:11], off
.LBB47_158:
	s_branch .LBB47_22
.LBB47_159:
	s_mov_b32 s0, 0
	s_mov_b32 s36, 0
	s_mov_b32 s35, 0
	s_branch .LBB47_509
.LBB47_160:
	s_mov_b32 s35, -1
.LBB47_161:
	s_mov_b32 s37, 0
                                        ; implicit-def: $vgpr8
.LBB47_162:
	s_and_b32 vcc_lo, exec_lo, s45
	s_cbranch_vccz .LBB47_167
; %bb.163:
	s_cmp_eq_u32 s36, 44
	s_cbranch_scc0 .LBB47_166
; %bb.164:
	global_load_u8 v1, v[10:11], off
	s_mov_b32 s35, 0
	s_mov_b32 s37, -1
	s_wait_loadcnt 0x0
	v_lshlrev_b32_e32 v3, 23, v1
	v_cmp_ne_u32_e32 vcc_lo, 0, v1
	s_delay_alu instid0(VALU_DEP_2) | instskip(NEXT) | instid1(VALU_DEP_1)
	v_cvt_i32_f32_e32 v3, v3
	v_cndmask_b32_e32 v8, 0, v3, vcc_lo
	s_branch .LBB47_167
.LBB47_165:
	s_mov_b32 s48, -1
	s_mov_b32 s36, 0
	s_branch .LBB47_274
.LBB47_166:
	s_mov_b32 s35, -1
                                        ; implicit-def: $vgpr8
.LBB47_167:
	s_mov_b32 s45, 0
.LBB47_168:
	s_delay_alu instid0(SALU_CYCLE_1)
	s_and_b32 vcc_lo, exec_lo, s45
	s_cbranch_vccz .LBB47_172
; %bb.169:
	s_cmp_eq_u32 s36, 29
	s_cbranch_scc0 .LBB47_171
; %bb.170:
	global_load_b64 v[8:9], v[10:11], off
	s_mov_b32 s37, -1
	s_mov_b32 s35, 0
	s_branch .LBB47_172
.LBB47_171:
	s_mov_b32 s35, -1
                                        ; implicit-def: $vgpr8
.LBB47_172:
	s_mov_b32 s45, 0
.LBB47_173:
	s_delay_alu instid0(SALU_CYCLE_1)
	s_and_b32 vcc_lo, exec_lo, s45
	s_cbranch_vccz .LBB47_189
; %bb.174:
	s_cmp_lt_i32 s36, 27
	s_cbranch_scc1 .LBB47_177
; %bb.175:
	s_cmp_gt_i32 s36, 27
	s_cbranch_scc0 .LBB47_178
; %bb.176:
	s_wait_loadcnt 0x0
	global_load_b32 v8, v[10:11], off
	s_mov_b32 s37, 0
	s_branch .LBB47_179
.LBB47_177:
	s_mov_b32 s37, -1
                                        ; implicit-def: $vgpr8
	s_branch .LBB47_182
.LBB47_178:
	s_mov_b32 s37, -1
                                        ; implicit-def: $vgpr8
.LBB47_179:
	s_delay_alu instid0(SALU_CYCLE_1)
	s_and_not1_b32 vcc_lo, exec_lo, s37
	s_cbranch_vccnz .LBB47_181
; %bb.180:
	s_wait_loadcnt 0x0
	global_load_u16 v8, v[10:11], off
.LBB47_181:
	s_mov_b32 s37, 0
.LBB47_182:
	s_delay_alu instid0(SALU_CYCLE_1)
	s_and_not1_b32 vcc_lo, exec_lo, s37
	s_cbranch_vccnz .LBB47_188
; %bb.183:
	global_load_u8 v1, v[10:11], off
	s_mov_b32 s45, 0
	s_mov_b32 s37, exec_lo
	s_wait_loadcnt 0x0
	v_cmpx_lt_i16_e32 0x7f, v1
	s_xor_b32 s37, exec_lo, s37
	s_cbranch_execz .LBB47_200
; %bb.184:
	v_cmp_ne_u16_e32 vcc_lo, 0x80, v1
	s_and_b32 s45, vcc_lo, exec_lo
	s_and_not1_saveexec_b32 s37, s37
	s_cbranch_execnz .LBB47_201
.LBB47_185:
	s_or_b32 exec_lo, exec_lo, s37
	v_mov_b32_e32 v8, 0
	s_and_saveexec_b32 s37, s45
	s_cbranch_execz .LBB47_187
.LBB47_186:
	v_and_b32_e32 v3, 0xffff, v1
	s_delay_alu instid0(VALU_DEP_1) | instskip(SKIP_1) | instid1(VALU_DEP_2)
	v_dual_lshlrev_b32 v1, 24, v1 :: v_dual_bitop2_b32 v5, 7, v3 bitop3:0x40
	v_bfe_u32 v9, v3, 3, 4
	v_and_b32_e32 v1, 0x80000000, v1
	s_delay_alu instid0(VALU_DEP_3) | instskip(NEXT) | instid1(VALU_DEP_3)
	v_clz_i32_u32_e32 v7, v5
	v_cmp_eq_u32_e32 vcc_lo, 0, v9
	s_delay_alu instid0(VALU_DEP_2) | instskip(NEXT) | instid1(VALU_DEP_1)
	v_min_u32_e32 v7, 32, v7
	v_subrev_nc_u32_e32 v8, 28, v7
	v_sub_nc_u32_e32 v7, 29, v7
	s_delay_alu instid0(VALU_DEP_2) | instskip(NEXT) | instid1(VALU_DEP_2)
	v_lshlrev_b32_e32 v3, v8, v3
	v_cndmask_b32_e32 v7, v9, v7, vcc_lo
	s_delay_alu instid0(VALU_DEP_2) | instskip(NEXT) | instid1(VALU_DEP_1)
	v_and_b32_e32 v3, 7, v3
	v_cndmask_b32_e32 v3, v5, v3, vcc_lo
	s_delay_alu instid0(VALU_DEP_3) | instskip(NEXT) | instid1(VALU_DEP_2)
	v_lshl_add_u32 v5, v7, 23, 0x3b800000
	v_lshlrev_b32_e32 v3, 20, v3
	s_delay_alu instid0(VALU_DEP_1) | instskip(NEXT) | instid1(VALU_DEP_1)
	v_or3_b32 v1, v1, v5, v3
	v_cvt_i32_f32_e32 v8, v1
.LBB47_187:
	s_or_b32 exec_lo, exec_lo, s37
.LBB47_188:
	s_mov_b32 s37, -1
.LBB47_189:
	s_mov_b32 s45, 0
.LBB47_190:
	s_delay_alu instid0(SALU_CYCLE_1)
	s_and_b32 vcc_lo, exec_lo, s45
	s_cbranch_vccz .LBB47_223
; %bb.191:
	s_cmp_gt_i32 s36, 22
	s_cbranch_scc0 .LBB47_199
; %bb.192:
	s_cmp_lt_i32 s36, 24
	s_cbranch_scc1 .LBB47_202
; %bb.193:
	s_cmp_gt_i32 s36, 24
	s_cbranch_scc0 .LBB47_203
; %bb.194:
	global_load_u8 v1, v[10:11], off
	s_mov_b32 s45, 0
	s_mov_b32 s37, exec_lo
	s_wait_loadcnt 0x0
	v_cmpx_lt_i16_e32 0x7f, v1
	s_xor_b32 s37, exec_lo, s37
	s_cbranch_execz .LBB47_215
; %bb.195:
	v_cmp_ne_u16_e32 vcc_lo, 0x80, v1
	s_and_b32 s45, vcc_lo, exec_lo
	s_and_not1_saveexec_b32 s37, s37
	s_cbranch_execnz .LBB47_216
.LBB47_196:
	s_or_b32 exec_lo, exec_lo, s37
	v_mov_b32_e32 v8, 0
	s_and_saveexec_b32 s37, s45
	s_cbranch_execz .LBB47_198
.LBB47_197:
	v_and_b32_e32 v3, 0xffff, v1
	s_delay_alu instid0(VALU_DEP_1) | instskip(SKIP_1) | instid1(VALU_DEP_2)
	v_dual_lshlrev_b32 v1, 24, v1 :: v_dual_bitop2_b32 v5, 3, v3 bitop3:0x40
	v_bfe_u32 v9, v3, 2, 5
	v_and_b32_e32 v1, 0x80000000, v1
	s_delay_alu instid0(VALU_DEP_3) | instskip(NEXT) | instid1(VALU_DEP_3)
	v_clz_i32_u32_e32 v7, v5
	v_cmp_eq_u32_e32 vcc_lo, 0, v9
	s_delay_alu instid0(VALU_DEP_2) | instskip(NEXT) | instid1(VALU_DEP_1)
	v_min_u32_e32 v7, 32, v7
	v_subrev_nc_u32_e32 v8, 29, v7
	v_sub_nc_u32_e32 v7, 30, v7
	s_delay_alu instid0(VALU_DEP_2) | instskip(NEXT) | instid1(VALU_DEP_2)
	v_lshlrev_b32_e32 v3, v8, v3
	v_cndmask_b32_e32 v7, v9, v7, vcc_lo
	s_delay_alu instid0(VALU_DEP_2) | instskip(NEXT) | instid1(VALU_DEP_1)
	v_and_b32_e32 v3, 3, v3
	v_cndmask_b32_e32 v3, v5, v3, vcc_lo
	s_delay_alu instid0(VALU_DEP_3) | instskip(NEXT) | instid1(VALU_DEP_2)
	v_lshl_add_u32 v5, v7, 23, 0x37800000
	v_lshlrev_b32_e32 v3, 21, v3
	s_delay_alu instid0(VALU_DEP_1) | instskip(NEXT) | instid1(VALU_DEP_1)
	v_or3_b32 v1, v1, v5, v3
	v_cvt_i32_f32_e32 v8, v1
.LBB47_198:
	s_or_b32 exec_lo, exec_lo, s37
	s_mov_b32 s37, 0
	s_branch .LBB47_204
.LBB47_199:
	s_mov_b32 s45, -1
                                        ; implicit-def: $vgpr8
	s_branch .LBB47_210
.LBB47_200:
	s_and_not1_saveexec_b32 s37, s37
	s_cbranch_execz .LBB47_185
.LBB47_201:
	v_cmp_ne_u16_e32 vcc_lo, 0, v1
	s_and_not1_b32 s45, s45, exec_lo
	s_and_b32 s48, vcc_lo, exec_lo
	s_delay_alu instid0(SALU_CYCLE_1)
	s_or_b32 s45, s45, s48
	s_or_b32 exec_lo, exec_lo, s37
	v_mov_b32_e32 v8, 0
	s_and_saveexec_b32 s37, s45
	s_cbranch_execnz .LBB47_186
	s_branch .LBB47_187
.LBB47_202:
	s_mov_b32 s37, -1
                                        ; implicit-def: $vgpr8
	s_branch .LBB47_207
.LBB47_203:
	s_mov_b32 s37, -1
                                        ; implicit-def: $vgpr8
.LBB47_204:
	s_delay_alu instid0(SALU_CYCLE_1)
	s_and_b32 vcc_lo, exec_lo, s37
	s_cbranch_vccz .LBB47_206
; %bb.205:
	global_load_u8 v1, v[10:11], off
	s_wait_loadcnt 0x0
	v_lshlrev_b32_e32 v1, 24, v1
	s_delay_alu instid0(VALU_DEP_1) | instskip(NEXT) | instid1(VALU_DEP_1)
	v_and_b32_e32 v3, 0x7f000000, v1
	v_clz_i32_u32_e32 v5, v3
	v_cmp_ne_u32_e32 vcc_lo, 0, v3
	v_add_nc_u32_e32 v8, 0x1000000, v3
	s_delay_alu instid0(VALU_DEP_3) | instskip(NEXT) | instid1(VALU_DEP_1)
	v_min_u32_e32 v5, 32, v5
	v_sub_nc_u32_e64 v5, v5, 4 clamp
	s_delay_alu instid0(VALU_DEP_1) | instskip(NEXT) | instid1(VALU_DEP_1)
	v_dual_lshlrev_b32 v7, v5, v3 :: v_dual_lshlrev_b32 v5, 23, v5
	v_lshrrev_b32_e32 v7, 4, v7
	s_delay_alu instid0(VALU_DEP_1) | instskip(NEXT) | instid1(VALU_DEP_1)
	v_dual_sub_nc_u32 v5, v7, v5 :: v_dual_ashrrev_i32 v7, 8, v8
	v_add_nc_u32_e32 v5, 0x3c000000, v5
	s_delay_alu instid0(VALU_DEP_1) | instskip(NEXT) | instid1(VALU_DEP_1)
	v_and_or_b32 v5, 0x7f800000, v7, v5
	v_cndmask_b32_e32 v3, 0, v5, vcc_lo
	s_delay_alu instid0(VALU_DEP_1) | instskip(NEXT) | instid1(VALU_DEP_1)
	v_and_or_b32 v1, 0x80000000, v1, v3
	v_cvt_i32_f32_e32 v8, v1
.LBB47_206:
	s_mov_b32 s37, 0
.LBB47_207:
	s_delay_alu instid0(SALU_CYCLE_1)
	s_and_not1_b32 vcc_lo, exec_lo, s37
	s_cbranch_vccnz .LBB47_209
; %bb.208:
	global_load_u8 v1, v[10:11], off
	s_wait_loadcnt 0x0
	v_lshlrev_b32_e32 v3, 25, v1
	v_lshlrev_b16 v1, 8, v1
	s_delay_alu instid0(VALU_DEP_1) | instskip(SKIP_1) | instid1(VALU_DEP_2)
	v_and_or_b32 v7, 0x7f00, v1, 0.5
	v_bfe_i32 v1, v1, 0, 16
	v_add_f32_e32 v7, -0.5, v7
	v_lshrrev_b32_e32 v5, 4, v3
	v_cmp_gt_u32_e32 vcc_lo, 0x8000000, v3
	s_delay_alu instid0(VALU_DEP_2) | instskip(NEXT) | instid1(VALU_DEP_1)
	v_or_b32_e32 v5, 0x70000000, v5
	v_mul_f32_e32 v5, 0x7800000, v5
	s_delay_alu instid0(VALU_DEP_1) | instskip(NEXT) | instid1(VALU_DEP_1)
	v_cndmask_b32_e32 v3, v5, v7, vcc_lo
	v_and_or_b32 v1, 0x80000000, v1, v3
	s_delay_alu instid0(VALU_DEP_1)
	v_cvt_i32_f32_e32 v8, v1
.LBB47_209:
	s_mov_b32 s45, 0
	s_mov_b32 s37, -1
.LBB47_210:
	s_and_not1_b32 vcc_lo, exec_lo, s45
	s_cbranch_vccnz .LBB47_223
; %bb.211:
	s_cmp_gt_i32 s36, 14
	s_cbranch_scc0 .LBB47_214
; %bb.212:
	s_cmp_eq_u32 s36, 15
	s_cbranch_scc0 .LBB47_217
; %bb.213:
	global_load_u16 v1, v[10:11], off
	s_mov_b32 s37, -1
	s_mov_b32 s35, 0
	s_wait_loadcnt 0x0
	v_lshlrev_b32_e32 v1, 16, v1
	s_delay_alu instid0(VALU_DEP_1)
	v_cvt_i32_f32_e32 v8, v1
	s_branch .LBB47_218
.LBB47_214:
	s_mov_b32 s45, -1
                                        ; implicit-def: $vgpr8
	s_branch .LBB47_219
.LBB47_215:
	s_and_not1_saveexec_b32 s37, s37
	s_cbranch_execz .LBB47_196
.LBB47_216:
	v_cmp_ne_u16_e32 vcc_lo, 0, v1
	s_and_not1_b32 s45, s45, exec_lo
	s_and_b32 s48, vcc_lo, exec_lo
	s_delay_alu instid0(SALU_CYCLE_1)
	s_or_b32 s45, s45, s48
	s_or_b32 exec_lo, exec_lo, s37
	v_mov_b32_e32 v8, 0
	s_and_saveexec_b32 s37, s45
	s_cbranch_execnz .LBB47_197
	s_branch .LBB47_198
.LBB47_217:
	s_mov_b32 s35, -1
                                        ; implicit-def: $vgpr8
.LBB47_218:
	s_mov_b32 s45, 0
.LBB47_219:
	s_delay_alu instid0(SALU_CYCLE_1)
	s_and_b32 vcc_lo, exec_lo, s45
	s_cbranch_vccz .LBB47_223
; %bb.220:
	s_cmp_eq_u32 s36, 11
	s_cbranch_scc0 .LBB47_222
; %bb.221:
	global_load_u8 v1, v[10:11], off
	s_mov_b32 s35, 0
	s_mov_b32 s37, -1
	s_wait_loadcnt 0x0
	v_cmp_ne_u16_e32 vcc_lo, 0, v1
	v_cndmask_b32_e64 v8, 0, 1, vcc_lo
	s_branch .LBB47_223
.LBB47_222:
	s_mov_b32 s35, -1
                                        ; implicit-def: $vgpr8
.LBB47_223:
	s_branch .LBB47_31
.LBB47_224:
	s_and_b32 s0, 0xffff, s0
	s_delay_alu instid0(SALU_CYCLE_1)
	s_cmp_lt_i32 s0, 5
	s_cbranch_scc1 .LBB47_229
; %bb.225:
	s_cmp_lt_i32 s0, 8
	s_cbranch_scc1 .LBB47_230
; %bb.226:
	;; [unrolled: 3-line block ×3, first 2 shown]
	s_cmp_gt_i32 s0, 9
	s_cbranch_scc0 .LBB47_232
; %bb.228:
	s_wait_loadcnt 0x0
	global_load_b64 v[8:9], v[10:11], off
	s_mov_b32 s36, 0
	s_wait_loadcnt 0x0
	v_cvt_i32_f64_e32 v8, v[8:9]
	s_branch .LBB47_233
.LBB47_229:
	s_mov_b32 s36, -1
                                        ; implicit-def: $vgpr8
	s_branch .LBB47_251
.LBB47_230:
	s_mov_b32 s36, -1
                                        ; implicit-def: $vgpr8
	s_branch .LBB47_239
.LBB47_231:
	s_mov_b32 s36, -1
                                        ; implicit-def: $vgpr8
	s_branch .LBB47_236
.LBB47_232:
	s_mov_b32 s36, -1
                                        ; implicit-def: $vgpr8
.LBB47_233:
	s_delay_alu instid0(SALU_CYCLE_1)
	s_and_not1_b32 vcc_lo, exec_lo, s36
	s_cbranch_vccnz .LBB47_235
; %bb.234:
	global_load_b32 v1, v[10:11], off
	s_wait_loadcnt 0x0
	v_cvt_i32_f32_e32 v8, v1
.LBB47_235:
	s_mov_b32 s36, 0
.LBB47_236:
	s_delay_alu instid0(SALU_CYCLE_1)
	s_and_not1_b32 vcc_lo, exec_lo, s36
	s_cbranch_vccnz .LBB47_238
; %bb.237:
	global_load_b32 v1, v[10:11], off
	s_wait_loadcnt 0x0
	v_cvt_i16_f16_e32 v8, v1
.LBB47_238:
	s_mov_b32 s36, 0
.LBB47_239:
	s_delay_alu instid0(SALU_CYCLE_1)
	s_and_not1_b32 vcc_lo, exec_lo, s36
	s_cbranch_vccnz .LBB47_250
; %bb.240:
	s_cmp_lt_i32 s0, 6
	s_cbranch_scc1 .LBB47_243
; %bb.241:
	s_cmp_gt_i32 s0, 6
	s_cbranch_scc0 .LBB47_244
; %bb.242:
	s_wait_loadcnt 0x0
	global_load_b64 v[8:9], v[10:11], off
	s_mov_b32 s36, 0
	s_wait_loadcnt 0x0
	v_cvt_i32_f64_e32 v8, v[8:9]
	s_branch .LBB47_245
.LBB47_243:
	s_mov_b32 s36, -1
                                        ; implicit-def: $vgpr8
	s_branch .LBB47_248
.LBB47_244:
	s_mov_b32 s36, -1
                                        ; implicit-def: $vgpr8
.LBB47_245:
	s_delay_alu instid0(SALU_CYCLE_1)
	s_and_not1_b32 vcc_lo, exec_lo, s36
	s_cbranch_vccnz .LBB47_247
; %bb.246:
	global_load_b32 v1, v[10:11], off
	s_wait_loadcnt 0x0
	v_cvt_i32_f32_e32 v8, v1
.LBB47_247:
	s_mov_b32 s36, 0
.LBB47_248:
	s_delay_alu instid0(SALU_CYCLE_1)
	s_and_not1_b32 vcc_lo, exec_lo, s36
	s_cbranch_vccnz .LBB47_250
; %bb.249:
	global_load_u16 v1, v[10:11], off
	s_wait_loadcnt 0x0
	v_cvt_i16_f16_e32 v8, v1
.LBB47_250:
	s_mov_b32 s36, 0
.LBB47_251:
	s_delay_alu instid0(SALU_CYCLE_1)
	s_and_not1_b32 vcc_lo, exec_lo, s36
	s_cbranch_vccnz .LBB47_271
; %bb.252:
	s_cmp_lt_i32 s0, 2
	s_cbranch_scc1 .LBB47_256
; %bb.253:
	s_cmp_lt_i32 s0, 3
	s_cbranch_scc1 .LBB47_257
; %bb.254:
	s_cmp_gt_i32 s0, 3
	s_cbranch_scc0 .LBB47_258
; %bb.255:
	s_wait_loadcnt 0x0
	global_load_b64 v[8:9], v[10:11], off
	s_mov_b32 s36, 0
	s_branch .LBB47_259
.LBB47_256:
	s_mov_b32 s36, -1
                                        ; implicit-def: $vgpr8
	s_branch .LBB47_265
.LBB47_257:
	s_mov_b32 s36, -1
                                        ; implicit-def: $vgpr8
	s_branch .LBB47_262
.LBB47_258:
	s_mov_b32 s36, -1
                                        ; implicit-def: $vgpr8
.LBB47_259:
	s_delay_alu instid0(SALU_CYCLE_1)
	s_and_not1_b32 vcc_lo, exec_lo, s36
	s_cbranch_vccnz .LBB47_261
; %bb.260:
	s_wait_loadcnt 0x0
	global_load_b32 v8, v[10:11], off
.LBB47_261:
	s_mov_b32 s36, 0
.LBB47_262:
	s_delay_alu instid0(SALU_CYCLE_1)
	s_and_not1_b32 vcc_lo, exec_lo, s36
	s_cbranch_vccnz .LBB47_264
; %bb.263:
	s_wait_loadcnt 0x0
	global_load_u16 v8, v[10:11], off
.LBB47_264:
	s_mov_b32 s36, 0
.LBB47_265:
	s_delay_alu instid0(SALU_CYCLE_1)
	s_and_not1_b32 vcc_lo, exec_lo, s36
	s_cbranch_vccnz .LBB47_271
; %bb.266:
	s_cmp_gt_i32 s0, 0
	s_mov_b32 s0, 0
	s_cbranch_scc0 .LBB47_268
; %bb.267:
	s_wait_loadcnt 0x0
	global_load_u8 v8, v[10:11], off
	s_branch .LBB47_269
.LBB47_268:
	s_mov_b32 s0, -1
                                        ; implicit-def: $vgpr8
.LBB47_269:
	s_delay_alu instid0(SALU_CYCLE_1)
	s_and_not1_b32 vcc_lo, exec_lo, s0
	s_cbranch_vccnz .LBB47_271
; %bb.270:
	s_wait_loadcnt 0x0
	global_load_u8 v8, v[10:11], off
.LBB47_271:
	s_branch .LBB47_32
.LBB47_272:
	s_mov_b32 s0, 0
	s_mov_b32 s36, 0
	s_branch .LBB47_509
.LBB47_273:
	s_mov_b32 s36, -1
.LBB47_274:
	s_mov_b32 s45, 0
                                        ; implicit-def: $vgpr10
.LBB47_275:
	s_and_b32 vcc_lo, exec_lo, s48
	s_cbranch_vccz .LBB47_279
; %bb.276:
	s_cmp_eq_u32 s37, 44
	s_cbranch_scc0 .LBB47_278
; %bb.277:
	global_load_u8 v1, v[6:7], off
	s_mov_b32 s36, 0
	s_mov_b32 s45, -1
	s_wait_loadcnt 0x0
	v_lshlrev_b32_e32 v3, 23, v1
	v_cmp_ne_u32_e32 vcc_lo, 0, v1
	s_delay_alu instid0(VALU_DEP_2) | instskip(NEXT) | instid1(VALU_DEP_1)
	v_cvt_i32_f32_e32 v3, v3
	v_cndmask_b32_e32 v10, 0, v3, vcc_lo
	s_branch .LBB47_279
.LBB47_278:
	s_mov_b32 s36, -1
                                        ; implicit-def: $vgpr10
.LBB47_279:
	s_mov_b32 s48, 0
.LBB47_280:
	s_delay_alu instid0(SALU_CYCLE_1)
	s_and_b32 vcc_lo, exec_lo, s48
	s_cbranch_vccz .LBB47_284
; %bb.281:
	s_cmp_eq_u32 s37, 29
	s_cbranch_scc0 .LBB47_283
; %bb.282:
	global_load_b64 v[10:11], v[6:7], off
	s_mov_b32 s45, -1
	s_mov_b32 s36, 0
	s_branch .LBB47_284
.LBB47_283:
	s_mov_b32 s36, -1
                                        ; implicit-def: $vgpr10
.LBB47_284:
	s_mov_b32 s48, 0
.LBB47_285:
	s_delay_alu instid0(SALU_CYCLE_1)
	s_and_b32 vcc_lo, exec_lo, s48
	s_cbranch_vccz .LBB47_301
; %bb.286:
	s_cmp_lt_i32 s37, 27
	s_cbranch_scc1 .LBB47_289
; %bb.287:
	s_cmp_gt_i32 s37, 27
	s_cbranch_scc0 .LBB47_290
; %bb.288:
	s_wait_loadcnt 0x0
	global_load_b32 v10, v[6:7], off
	s_mov_b32 s45, 0
	s_branch .LBB47_291
.LBB47_289:
	s_mov_b32 s45, -1
                                        ; implicit-def: $vgpr10
	s_branch .LBB47_294
.LBB47_290:
	s_mov_b32 s45, -1
                                        ; implicit-def: $vgpr10
.LBB47_291:
	s_delay_alu instid0(SALU_CYCLE_1)
	s_and_not1_b32 vcc_lo, exec_lo, s45
	s_cbranch_vccnz .LBB47_293
; %bb.292:
	s_wait_loadcnt 0x0
	global_load_u16 v10, v[6:7], off
.LBB47_293:
	s_mov_b32 s45, 0
.LBB47_294:
	s_delay_alu instid0(SALU_CYCLE_1)
	s_and_not1_b32 vcc_lo, exec_lo, s45
	s_cbranch_vccnz .LBB47_300
; %bb.295:
	global_load_u8 v1, v[6:7], off
	s_mov_b32 s48, 0
	s_mov_b32 s45, exec_lo
	s_wait_loadcnt 0x0
	v_cmpx_lt_i16_e32 0x7f, v1
	s_xor_b32 s45, exec_lo, s45
	s_cbranch_execz .LBB47_312
; %bb.296:
	v_cmp_ne_u16_e32 vcc_lo, 0x80, v1
	s_and_b32 s48, vcc_lo, exec_lo
	s_and_not1_saveexec_b32 s45, s45
	s_cbranch_execnz .LBB47_313
.LBB47_297:
	s_or_b32 exec_lo, exec_lo, s45
	v_mov_b32_e32 v10, 0
	s_and_saveexec_b32 s45, s48
	s_cbranch_execz .LBB47_299
.LBB47_298:
	v_and_b32_e32 v3, 0xffff, v1
	s_delay_alu instid0(VALU_DEP_1) | instskip(SKIP_1) | instid1(VALU_DEP_2)
	v_and_b32_e32 v5, 7, v3
	v_bfe_u32 v11, v3, 3, 4
	v_clz_i32_u32_e32 v9, v5
	s_delay_alu instid0(VALU_DEP_2) | instskip(NEXT) | instid1(VALU_DEP_2)
	v_cmp_eq_u32_e32 vcc_lo, 0, v11
	v_min_u32_e32 v9, 32, v9
	s_delay_alu instid0(VALU_DEP_1) | instskip(NEXT) | instid1(VALU_DEP_1)
	v_subrev_nc_u32_e32 v10, 28, v9
	v_dual_lshlrev_b32 v3, v10, v3 :: v_dual_sub_nc_u32 v9, 29, v9
	s_delay_alu instid0(VALU_DEP_1) | instskip(NEXT) | instid1(VALU_DEP_1)
	v_dual_lshlrev_b32 v1, 24, v1 :: v_dual_bitop2_b32 v3, 7, v3 bitop3:0x40
	v_dual_cndmask_b32 v3, v5, v3, vcc_lo :: v_dual_cndmask_b32 v9, v11, v9, vcc_lo
	s_delay_alu instid0(VALU_DEP_2) | instskip(NEXT) | instid1(VALU_DEP_2)
	v_and_b32_e32 v1, 0x80000000, v1
	v_lshlrev_b32_e32 v3, 20, v3
	s_delay_alu instid0(VALU_DEP_3) | instskip(NEXT) | instid1(VALU_DEP_1)
	v_lshl_add_u32 v5, v9, 23, 0x3b800000
	v_or3_b32 v1, v1, v5, v3
	s_delay_alu instid0(VALU_DEP_1)
	v_cvt_i32_f32_e32 v10, v1
.LBB47_299:
	s_or_b32 exec_lo, exec_lo, s45
.LBB47_300:
	s_mov_b32 s45, -1
.LBB47_301:
	s_mov_b32 s48, 0
.LBB47_302:
	s_delay_alu instid0(SALU_CYCLE_1)
	s_and_b32 vcc_lo, exec_lo, s48
	s_cbranch_vccz .LBB47_335
; %bb.303:
	s_cmp_gt_i32 s37, 22
	s_cbranch_scc0 .LBB47_311
; %bb.304:
	s_cmp_lt_i32 s37, 24
	s_cbranch_scc1 .LBB47_314
; %bb.305:
	s_cmp_gt_i32 s37, 24
	s_cbranch_scc0 .LBB47_315
; %bb.306:
	global_load_u8 v1, v[6:7], off
	s_mov_b32 s48, 0
	s_mov_b32 s45, exec_lo
	s_wait_loadcnt 0x0
	v_cmpx_lt_i16_e32 0x7f, v1
	s_xor_b32 s45, exec_lo, s45
	s_cbranch_execz .LBB47_327
; %bb.307:
	v_cmp_ne_u16_e32 vcc_lo, 0x80, v1
	s_and_b32 s48, vcc_lo, exec_lo
	s_and_not1_saveexec_b32 s45, s45
	s_cbranch_execnz .LBB47_328
.LBB47_308:
	s_or_b32 exec_lo, exec_lo, s45
	v_mov_b32_e32 v10, 0
	s_and_saveexec_b32 s45, s48
	s_cbranch_execz .LBB47_310
.LBB47_309:
	v_and_b32_e32 v3, 0xffff, v1
	s_delay_alu instid0(VALU_DEP_1) | instskip(SKIP_1) | instid1(VALU_DEP_2)
	v_and_b32_e32 v5, 3, v3
	v_bfe_u32 v11, v3, 2, 5
	v_clz_i32_u32_e32 v9, v5
	s_delay_alu instid0(VALU_DEP_2) | instskip(NEXT) | instid1(VALU_DEP_2)
	v_cmp_eq_u32_e32 vcc_lo, 0, v11
	v_min_u32_e32 v9, 32, v9
	s_delay_alu instid0(VALU_DEP_1) | instskip(NEXT) | instid1(VALU_DEP_1)
	v_subrev_nc_u32_e32 v10, 29, v9
	v_dual_lshlrev_b32 v3, v10, v3 :: v_dual_sub_nc_u32 v9, 30, v9
	s_delay_alu instid0(VALU_DEP_1) | instskip(NEXT) | instid1(VALU_DEP_1)
	v_dual_lshlrev_b32 v1, 24, v1 :: v_dual_bitop2_b32 v3, 3, v3 bitop3:0x40
	v_dual_cndmask_b32 v3, v5, v3, vcc_lo :: v_dual_cndmask_b32 v9, v11, v9, vcc_lo
	s_delay_alu instid0(VALU_DEP_2) | instskip(NEXT) | instid1(VALU_DEP_2)
	v_and_b32_e32 v1, 0x80000000, v1
	v_lshlrev_b32_e32 v3, 21, v3
	s_delay_alu instid0(VALU_DEP_3) | instskip(NEXT) | instid1(VALU_DEP_1)
	v_lshl_add_u32 v5, v9, 23, 0x37800000
	v_or3_b32 v1, v1, v5, v3
	s_delay_alu instid0(VALU_DEP_1)
	v_cvt_i32_f32_e32 v10, v1
.LBB47_310:
	s_or_b32 exec_lo, exec_lo, s45
	s_mov_b32 s45, 0
	s_branch .LBB47_316
.LBB47_311:
	s_mov_b32 s48, -1
                                        ; implicit-def: $vgpr10
	s_branch .LBB47_322
.LBB47_312:
	s_and_not1_saveexec_b32 s45, s45
	s_cbranch_execz .LBB47_297
.LBB47_313:
	v_cmp_ne_u16_e32 vcc_lo, 0, v1
	s_and_not1_b32 s48, s48, exec_lo
	s_and_b32 s49, vcc_lo, exec_lo
	s_delay_alu instid0(SALU_CYCLE_1)
	s_or_b32 s48, s48, s49
	s_or_b32 exec_lo, exec_lo, s45
	v_mov_b32_e32 v10, 0
	s_and_saveexec_b32 s45, s48
	s_cbranch_execnz .LBB47_298
	s_branch .LBB47_299
.LBB47_314:
	s_mov_b32 s45, -1
                                        ; implicit-def: $vgpr10
	s_branch .LBB47_319
.LBB47_315:
	s_mov_b32 s45, -1
                                        ; implicit-def: $vgpr10
.LBB47_316:
	s_delay_alu instid0(SALU_CYCLE_1)
	s_and_b32 vcc_lo, exec_lo, s45
	s_cbranch_vccz .LBB47_318
; %bb.317:
	global_load_u8 v1, v[6:7], off
	s_wait_loadcnt 0x0
	v_lshlrev_b32_e32 v1, 24, v1
	s_delay_alu instid0(VALU_DEP_1) | instskip(NEXT) | instid1(VALU_DEP_1)
	v_and_b32_e32 v3, 0x7f000000, v1
	v_clz_i32_u32_e32 v5, v3
	v_cmp_ne_u32_e32 vcc_lo, 0, v3
	v_add_nc_u32_e32 v10, 0x1000000, v3
	s_delay_alu instid0(VALU_DEP_3) | instskip(NEXT) | instid1(VALU_DEP_1)
	v_min_u32_e32 v5, 32, v5
	v_sub_nc_u32_e64 v5, v5, 4 clamp
	s_delay_alu instid0(VALU_DEP_1) | instskip(NEXT) | instid1(VALU_DEP_1)
	v_dual_lshlrev_b32 v9, v5, v3 :: v_dual_lshlrev_b32 v5, 23, v5
	v_lshrrev_b32_e32 v9, 4, v9
	s_delay_alu instid0(VALU_DEP_1) | instskip(NEXT) | instid1(VALU_DEP_1)
	v_dual_sub_nc_u32 v5, v9, v5 :: v_dual_ashrrev_i32 v9, 8, v10
	v_add_nc_u32_e32 v5, 0x3c000000, v5
	s_delay_alu instid0(VALU_DEP_1) | instskip(NEXT) | instid1(VALU_DEP_1)
	v_and_or_b32 v5, 0x7f800000, v9, v5
	v_cndmask_b32_e32 v3, 0, v5, vcc_lo
	s_delay_alu instid0(VALU_DEP_1) | instskip(NEXT) | instid1(VALU_DEP_1)
	v_and_or_b32 v1, 0x80000000, v1, v3
	v_cvt_i32_f32_e32 v10, v1
.LBB47_318:
	s_mov_b32 s45, 0
.LBB47_319:
	s_delay_alu instid0(SALU_CYCLE_1)
	s_and_not1_b32 vcc_lo, exec_lo, s45
	s_cbranch_vccnz .LBB47_321
; %bb.320:
	global_load_u8 v1, v[6:7], off
	s_wait_loadcnt 0x0
	v_lshlrev_b32_e32 v3, 25, v1
	v_lshlrev_b16 v1, 8, v1
	s_delay_alu instid0(VALU_DEP_2) | instskip(NEXT) | instid1(VALU_DEP_2)
	v_cmp_gt_u32_e32 vcc_lo, 0x8000000, v3
	v_and_or_b32 v9, 0x7f00, v1, 0.5
	v_lshrrev_b32_e32 v5, 4, v3
	v_bfe_i32 v1, v1, 0, 16
	s_delay_alu instid0(VALU_DEP_3) | instskip(NEXT) | instid1(VALU_DEP_3)
	v_add_f32_e32 v9, -0.5, v9
	v_or_b32_e32 v5, 0x70000000, v5
	s_delay_alu instid0(VALU_DEP_1) | instskip(NEXT) | instid1(VALU_DEP_1)
	v_mul_f32_e32 v5, 0x7800000, v5
	v_cndmask_b32_e32 v3, v5, v9, vcc_lo
	s_delay_alu instid0(VALU_DEP_1) | instskip(NEXT) | instid1(VALU_DEP_1)
	v_and_or_b32 v1, 0x80000000, v1, v3
	v_cvt_i32_f32_e32 v10, v1
.LBB47_321:
	s_mov_b32 s48, 0
	s_mov_b32 s45, -1
.LBB47_322:
	s_and_not1_b32 vcc_lo, exec_lo, s48
	s_cbranch_vccnz .LBB47_335
; %bb.323:
	s_cmp_gt_i32 s37, 14
	s_cbranch_scc0 .LBB47_326
; %bb.324:
	s_cmp_eq_u32 s37, 15
	s_cbranch_scc0 .LBB47_329
; %bb.325:
	global_load_u16 v1, v[6:7], off
	s_mov_b32 s45, -1
	s_mov_b32 s36, 0
	s_wait_loadcnt 0x0
	v_lshlrev_b32_e32 v1, 16, v1
	s_delay_alu instid0(VALU_DEP_1)
	v_cvt_i32_f32_e32 v10, v1
	s_branch .LBB47_330
.LBB47_326:
	s_mov_b32 s48, -1
                                        ; implicit-def: $vgpr10
	s_branch .LBB47_331
.LBB47_327:
	s_and_not1_saveexec_b32 s45, s45
	s_cbranch_execz .LBB47_308
.LBB47_328:
	v_cmp_ne_u16_e32 vcc_lo, 0, v1
	s_and_not1_b32 s48, s48, exec_lo
	s_and_b32 s49, vcc_lo, exec_lo
	s_delay_alu instid0(SALU_CYCLE_1)
	s_or_b32 s48, s48, s49
	s_or_b32 exec_lo, exec_lo, s45
	v_mov_b32_e32 v10, 0
	s_and_saveexec_b32 s45, s48
	s_cbranch_execnz .LBB47_309
	s_branch .LBB47_310
.LBB47_329:
	s_mov_b32 s36, -1
                                        ; implicit-def: $vgpr10
.LBB47_330:
	s_mov_b32 s48, 0
.LBB47_331:
	s_delay_alu instid0(SALU_CYCLE_1)
	s_and_b32 vcc_lo, exec_lo, s48
	s_cbranch_vccz .LBB47_335
; %bb.332:
	s_cmp_eq_u32 s37, 11
	s_cbranch_scc0 .LBB47_334
; %bb.333:
	global_load_u8 v1, v[6:7], off
	s_mov_b32 s36, 0
	s_mov_b32 s45, -1
	s_wait_loadcnt 0x0
	v_cmp_ne_u16_e32 vcc_lo, 0, v1
	v_cndmask_b32_e64 v10, 0, 1, vcc_lo
	s_branch .LBB47_335
.LBB47_334:
	s_mov_b32 s36, -1
                                        ; implicit-def: $vgpr10
.LBB47_335:
	s_mov_b32 s37, 0
.LBB47_336:
	s_delay_alu instid0(SALU_CYCLE_1)
	s_and_b32 vcc_lo, exec_lo, s37
	s_cbranch_vccz .LBB47_385
; %bb.337:
	s_and_b32 s0, 0xffff, s0
	s_delay_alu instid0(SALU_CYCLE_1)
	s_cmp_lt_i32 s0, 5
	s_cbranch_scc1 .LBB47_342
; %bb.338:
	s_cmp_lt_i32 s0, 8
	s_cbranch_scc1 .LBB47_343
; %bb.339:
	;; [unrolled: 3-line block ×3, first 2 shown]
	s_cmp_gt_i32 s0, 9
	s_cbranch_scc0 .LBB47_345
; %bb.341:
	s_wait_loadcnt 0x0
	global_load_b64 v[10:11], v[6:7], off
	s_mov_b32 s37, 0
	s_wait_loadcnt 0x0
	v_cvt_i32_f64_e32 v10, v[10:11]
	s_branch .LBB47_346
.LBB47_342:
	s_mov_b32 s37, -1
                                        ; implicit-def: $vgpr10
	s_branch .LBB47_364
.LBB47_343:
	s_mov_b32 s37, -1
                                        ; implicit-def: $vgpr10
	s_branch .LBB47_352
.LBB47_344:
	s_mov_b32 s37, -1
                                        ; implicit-def: $vgpr10
	s_branch .LBB47_349
.LBB47_345:
	s_mov_b32 s37, -1
                                        ; implicit-def: $vgpr10
.LBB47_346:
	s_delay_alu instid0(SALU_CYCLE_1)
	s_and_not1_b32 vcc_lo, exec_lo, s37
	s_cbranch_vccnz .LBB47_348
; %bb.347:
	global_load_b32 v1, v[6:7], off
	s_wait_loadcnt 0x0
	v_cvt_i32_f32_e32 v10, v1
.LBB47_348:
	s_mov_b32 s37, 0
.LBB47_349:
	s_delay_alu instid0(SALU_CYCLE_1)
	s_and_not1_b32 vcc_lo, exec_lo, s37
	s_cbranch_vccnz .LBB47_351
; %bb.350:
	global_load_b32 v1, v[6:7], off
	s_wait_loadcnt 0x0
	v_cvt_i16_f16_e32 v10, v1
.LBB47_351:
	s_mov_b32 s37, 0
.LBB47_352:
	s_delay_alu instid0(SALU_CYCLE_1)
	s_and_not1_b32 vcc_lo, exec_lo, s37
	s_cbranch_vccnz .LBB47_363
; %bb.353:
	s_cmp_lt_i32 s0, 6
	s_cbranch_scc1 .LBB47_356
; %bb.354:
	s_cmp_gt_i32 s0, 6
	s_cbranch_scc0 .LBB47_357
; %bb.355:
	s_wait_loadcnt 0x0
	global_load_b64 v[10:11], v[6:7], off
	s_mov_b32 s37, 0
	s_wait_loadcnt 0x0
	v_cvt_i32_f64_e32 v10, v[10:11]
	s_branch .LBB47_358
.LBB47_356:
	s_mov_b32 s37, -1
                                        ; implicit-def: $vgpr10
	s_branch .LBB47_361
.LBB47_357:
	s_mov_b32 s37, -1
                                        ; implicit-def: $vgpr10
.LBB47_358:
	s_delay_alu instid0(SALU_CYCLE_1)
	s_and_not1_b32 vcc_lo, exec_lo, s37
	s_cbranch_vccnz .LBB47_360
; %bb.359:
	global_load_b32 v1, v[6:7], off
	s_wait_loadcnt 0x0
	v_cvt_i32_f32_e32 v10, v1
.LBB47_360:
	s_mov_b32 s37, 0
.LBB47_361:
	s_delay_alu instid0(SALU_CYCLE_1)
	s_and_not1_b32 vcc_lo, exec_lo, s37
	s_cbranch_vccnz .LBB47_363
; %bb.362:
	global_load_u16 v1, v[6:7], off
	s_wait_loadcnt 0x0
	v_cvt_i16_f16_e32 v10, v1
.LBB47_363:
	s_mov_b32 s37, 0
.LBB47_364:
	s_delay_alu instid0(SALU_CYCLE_1)
	s_and_not1_b32 vcc_lo, exec_lo, s37
	s_cbranch_vccnz .LBB47_384
; %bb.365:
	s_cmp_lt_i32 s0, 2
	s_cbranch_scc1 .LBB47_369
; %bb.366:
	s_cmp_lt_i32 s0, 3
	s_cbranch_scc1 .LBB47_370
; %bb.367:
	s_cmp_gt_i32 s0, 3
	s_cbranch_scc0 .LBB47_371
; %bb.368:
	s_wait_loadcnt 0x0
	global_load_b64 v[10:11], v[6:7], off
	s_mov_b32 s37, 0
	s_branch .LBB47_372
.LBB47_369:
	s_mov_b32 s37, -1
                                        ; implicit-def: $vgpr10
	s_branch .LBB47_378
.LBB47_370:
	s_mov_b32 s37, -1
                                        ; implicit-def: $vgpr10
	s_branch .LBB47_375
.LBB47_371:
	s_mov_b32 s37, -1
                                        ; implicit-def: $vgpr10
.LBB47_372:
	s_delay_alu instid0(SALU_CYCLE_1)
	s_and_not1_b32 vcc_lo, exec_lo, s37
	s_cbranch_vccnz .LBB47_374
; %bb.373:
	s_wait_loadcnt 0x0
	global_load_b32 v10, v[6:7], off
.LBB47_374:
	s_mov_b32 s37, 0
.LBB47_375:
	s_delay_alu instid0(SALU_CYCLE_1)
	s_and_not1_b32 vcc_lo, exec_lo, s37
	s_cbranch_vccnz .LBB47_377
; %bb.376:
	s_wait_loadcnt 0x0
	global_load_u16 v10, v[6:7], off
.LBB47_377:
	s_mov_b32 s37, 0
.LBB47_378:
	s_delay_alu instid0(SALU_CYCLE_1)
	s_and_not1_b32 vcc_lo, exec_lo, s37
	s_cbranch_vccnz .LBB47_384
; %bb.379:
	s_cmp_gt_i32 s0, 0
	s_mov_b32 s0, 0
	s_cbranch_scc0 .LBB47_381
; %bb.380:
	s_wait_loadcnt 0x0
	global_load_u8 v10, v[6:7], off
	s_branch .LBB47_382
.LBB47_381:
	s_mov_b32 s0, -1
                                        ; implicit-def: $vgpr10
.LBB47_382:
	s_delay_alu instid0(SALU_CYCLE_1)
	s_and_not1_b32 vcc_lo, exec_lo, s0
	s_cbranch_vccnz .LBB47_384
; %bb.383:
	s_wait_loadcnt 0x0
	global_load_u8 v10, v[6:7], off
.LBB47_384:
	s_mov_b32 s45, -1
.LBB47_385:
	s_delay_alu instid0(SALU_CYCLE_1)
	s_and_not1_b32 vcc_lo, exec_lo, s45
	s_cbranch_vccnz .LBB47_393
; %bb.386:
	v_mov_b32_e32 v3, 0
	s_wait_loadcnt 0x0
	v_mul_lo_u16 v1, v4, s24
	v_mul_lo_u16 v4, v8, s42
	s_and_b32 s37, s21, 0xff
	s_delay_alu instid0(SALU_CYCLE_1) | instskip(SKIP_1) | instid1(VALU_DEP_2)
	s_cmp_lt_i32 s37, 11
	v_add_nc_u64_e32 v[2:3], s[4:5], v[2:3]
	v_mad_u16 v1, v4, v10, v1
	s_cbranch_scc1 .LBB47_394
; %bb.387:
	s_and_b32 s45, 0xffff, s37
	s_delay_alu instid0(SALU_CYCLE_1)
	s_cmp_gt_i32 s45, 25
	s_cbranch_scc0 .LBB47_395
; %bb.388:
	s_cmp_gt_i32 s45, 28
	s_cbranch_scc0 .LBB47_396
; %bb.389:
	;; [unrolled: 3-line block ×4, first 2 shown]
	s_mov_b32 s49, 0
	s_mov_b32 s0, -1
	s_cmp_eq_u32 s45, 46
	s_mov_b32 s48, 0
	s_cbranch_scc0 .LBB47_399
; %bb.392:
	v_bfe_i32 v4, v1, 0, 8
	s_mov_b32 s48, -1
	s_mov_b32 s0, 0
	s_delay_alu instid0(VALU_DEP_1) | instskip(NEXT) | instid1(VALU_DEP_1)
	v_bfe_i32 v4, v4, 0, 16
	v_cvt_f32_i32_e32 v4, v4
	s_delay_alu instid0(VALU_DEP_1) | instskip(NEXT) | instid1(VALU_DEP_1)
	v_bfe_u32 v5, v4, 16, 1
	v_add3_u32 v4, v4, v5, 0x7fff
	s_delay_alu instid0(VALU_DEP_1)
	v_lshrrev_b32_e32 v4, 16, v4
	global_store_b32 v[2:3], v4, off
	s_branch .LBB47_399
.LBB47_393:
	s_mov_b32 s0, 0
	s_branch .LBB47_509
.LBB47_394:
	s_mov_b32 s45, -1
	s_mov_b32 s0, 0
	s_mov_b32 s48, 0
	s_branch .LBB47_468
.LBB47_395:
	s_mov_b32 s49, -1
	s_mov_b32 s0, 0
	s_mov_b32 s48, 0
	s_branch .LBB47_426
.LBB47_396:
	s_mov_b32 s49, -1
	s_mov_b32 s0, 0
	s_mov_b32 s48, 0
	s_branch .LBB47_409
.LBB47_397:
	s_mov_b32 s49, -1
	s_mov_b32 s0, 0
	s_mov_b32 s48, 0
	s_branch .LBB47_405
.LBB47_398:
	s_mov_b32 s49, -1
	s_mov_b32 s0, 0
	s_mov_b32 s48, 0
.LBB47_399:
	s_and_b32 vcc_lo, exec_lo, s49
	s_cbranch_vccz .LBB47_404
; %bb.400:
	s_cmp_eq_u32 s45, 44
	s_mov_b32 s0, -1
	s_cbranch_scc0 .LBB47_404
; %bb.401:
	s_wait_xcnt 0x0
	v_bfe_i32 v4, v1, 0, 8
	v_mov_b32_e32 v5, 0xff
	s_mov_b32 s48, exec_lo
	s_delay_alu instid0(VALU_DEP_2) | instskip(NEXT) | instid1(VALU_DEP_1)
	v_bfe_i32 v4, v4, 0, 16
	v_cvt_f32_i32_e32 v4, v4
	s_delay_alu instid0(VALU_DEP_1) | instskip(NEXT) | instid1(VALU_DEP_1)
	v_bfe_u32 v6, v4, 23, 8
	v_cmpx_ne_u32_e32 0xff, v6
	s_cbranch_execz .LBB47_403
; %bb.402:
	v_and_b32_e32 v5, 0x400000, v4
	v_and_or_b32 v6, 0x3fffff, v4, v6
	v_lshrrev_b32_e32 v4, 23, v4
	s_delay_alu instid0(VALU_DEP_3) | instskip(NEXT) | instid1(VALU_DEP_3)
	v_cmp_ne_u32_e32 vcc_lo, 0, v5
	v_cmp_ne_u32_e64 s0, 0, v6
	s_and_b32 s0, vcc_lo, s0
	s_delay_alu instid0(SALU_CYCLE_1) | instskip(NEXT) | instid1(VALU_DEP_1)
	v_cndmask_b32_e64 v5, 0, 1, s0
	v_add_nc_u32_e32 v5, v4, v5
.LBB47_403:
	s_or_b32 exec_lo, exec_lo, s48
	s_mov_b32 s48, -1
	s_mov_b32 s0, 0
	global_store_b8 v[2:3], v5, off
.LBB47_404:
	s_mov_b32 s49, 0
.LBB47_405:
	s_delay_alu instid0(SALU_CYCLE_1)
	s_and_b32 vcc_lo, exec_lo, s49
	s_cbranch_vccz .LBB47_408
; %bb.406:
	s_cmp_eq_u32 s45, 29
	s_mov_b32 s0, -1
	s_cbranch_scc0 .LBB47_408
; %bb.407:
	s_wait_xcnt 0x0
	v_bfe_i32 v4, v1, 0, 8
	s_mov_b32 s48, -1
	s_mov_b32 s0, 0
	s_mov_b32 s49, 0
	s_delay_alu instid0(VALU_DEP_1)
	v_ashrrev_i32_e32 v5, 31, v4
	global_store_b64 v[2:3], v[4:5], off
	s_branch .LBB47_409
.LBB47_408:
	s_mov_b32 s49, 0
.LBB47_409:
	s_delay_alu instid0(SALU_CYCLE_1)
	s_and_b32 vcc_lo, exec_lo, s49
	s_cbranch_vccz .LBB47_425
; %bb.410:
	s_cmp_lt_i32 s45, 27
	s_mov_b32 s48, -1
	s_cbranch_scc1 .LBB47_416
; %bb.411:
	s_cmp_gt_i32 s45, 27
	s_cbranch_scc0 .LBB47_413
; %bb.412:
	s_wait_xcnt 0x0
	v_bfe_i32 v4, v1, 0, 8
	s_mov_b32 s48, 0
	global_store_b32 v[2:3], v4, off
.LBB47_413:
	s_and_not1_b32 vcc_lo, exec_lo, s48
	s_cbranch_vccnz .LBB47_415
; %bb.414:
	s_wait_xcnt 0x0
	v_bfe_i32 v4, v1, 0, 8
	global_store_b16 v[2:3], v4, off
.LBB47_415:
	s_mov_b32 s48, 0
.LBB47_416:
	s_delay_alu instid0(SALU_CYCLE_1)
	s_and_not1_b32 vcc_lo, exec_lo, s48
	s_cbranch_vccnz .LBB47_424
; %bb.417:
	s_wait_xcnt 0x0
	v_bfe_i32 v4, v1, 0, 8
	v_mov_b32_e32 v6, 0x80
	s_mov_b32 s48, exec_lo
	s_delay_alu instid0(VALU_DEP_2) | instskip(NEXT) | instid1(VALU_DEP_1)
	v_bfe_i32 v4, v4, 0, 16
	v_cvt_f32_i32_e32 v4, v4
	s_delay_alu instid0(VALU_DEP_1) | instskip(NEXT) | instid1(VALU_DEP_1)
	v_and_b32_e32 v5, 0x7fffffff, v4
	v_cmpx_gt_u32_e32 0x43800000, v5
	s_cbranch_execz .LBB47_423
; %bb.418:
	v_cmp_lt_u32_e32 vcc_lo, 0x3bffffff, v5
	s_mov_b32 s49, 0
                                        ; implicit-def: $vgpr5
	s_and_saveexec_b32 s50, vcc_lo
	s_delay_alu instid0(SALU_CYCLE_1)
	s_xor_b32 s50, exec_lo, s50
	s_cbranch_execz .LBB47_664
; %bb.419:
	v_bfe_u32 v5, v4, 20, 1
	s_mov_b32 s49, exec_lo
	s_delay_alu instid0(VALU_DEP_1) | instskip(NEXT) | instid1(VALU_DEP_1)
	v_add3_u32 v5, v4, v5, 0x487ffff
	v_lshrrev_b32_e32 v5, 20, v5
	s_and_not1_saveexec_b32 s50, s50
	s_cbranch_execnz .LBB47_665
.LBB47_420:
	s_or_b32 exec_lo, exec_lo, s50
	v_mov_b32_e32 v6, 0
	s_and_saveexec_b32 s50, s49
.LBB47_421:
	v_lshrrev_b32_e32 v4, 24, v4
	s_delay_alu instid0(VALU_DEP_1)
	v_and_or_b32 v6, 0x80, v4, v5
.LBB47_422:
	s_or_b32 exec_lo, exec_lo, s50
.LBB47_423:
	s_delay_alu instid0(SALU_CYCLE_1)
	s_or_b32 exec_lo, exec_lo, s48
	global_store_b8 v[2:3], v6, off
.LBB47_424:
	s_mov_b32 s48, -1
.LBB47_425:
	s_mov_b32 s49, 0
.LBB47_426:
	s_delay_alu instid0(SALU_CYCLE_1)
	s_and_b32 vcc_lo, exec_lo, s49
	s_cbranch_vccz .LBB47_467
; %bb.427:
	s_cmp_gt_i32 s45, 22
	s_mov_b32 s49, -1
	s_cbranch_scc0 .LBB47_459
; %bb.428:
	s_cmp_lt_i32 s45, 24
	s_mov_b32 s48, -1
	s_cbranch_scc1 .LBB47_448
; %bb.429:
	s_cmp_gt_i32 s45, 24
	s_cbranch_scc0 .LBB47_437
; %bb.430:
	s_wait_xcnt 0x0
	v_bfe_i32 v4, v1, 0, 8
	v_mov_b32_e32 v6, 0x80
	s_mov_b32 s48, exec_lo
	s_delay_alu instid0(VALU_DEP_2) | instskip(NEXT) | instid1(VALU_DEP_1)
	v_bfe_i32 v4, v4, 0, 16
	v_cvt_f32_i32_e32 v4, v4
	s_delay_alu instid0(VALU_DEP_1) | instskip(NEXT) | instid1(VALU_DEP_1)
	v_and_b32_e32 v5, 0x7fffffff, v4
	v_cmpx_gt_u32_e32 0x47800000, v5
	s_cbranch_execz .LBB47_436
; %bb.431:
	v_cmp_lt_u32_e32 vcc_lo, 0x37ffffff, v5
	s_mov_b32 s49, 0
                                        ; implicit-def: $vgpr5
	s_and_saveexec_b32 s50, vcc_lo
	s_delay_alu instid0(SALU_CYCLE_1)
	s_xor_b32 s50, exec_lo, s50
	s_cbranch_execz .LBB47_792
; %bb.432:
	v_bfe_u32 v5, v4, 21, 1
	s_mov_b32 s49, exec_lo
	s_delay_alu instid0(VALU_DEP_1) | instskip(NEXT) | instid1(VALU_DEP_1)
	v_add3_u32 v5, v4, v5, 0x88fffff
	v_lshrrev_b32_e32 v5, 21, v5
	s_and_not1_saveexec_b32 s50, s50
	s_cbranch_execnz .LBB47_793
.LBB47_433:
	s_or_b32 exec_lo, exec_lo, s50
	v_mov_b32_e32 v6, 0
	s_and_saveexec_b32 s50, s49
.LBB47_434:
	v_lshrrev_b32_e32 v4, 24, v4
	s_delay_alu instid0(VALU_DEP_1)
	v_and_or_b32 v6, 0x80, v4, v5
.LBB47_435:
	s_or_b32 exec_lo, exec_lo, s50
.LBB47_436:
	s_delay_alu instid0(SALU_CYCLE_1)
	s_or_b32 exec_lo, exec_lo, s48
	s_mov_b32 s48, 0
	global_store_b8 v[2:3], v6, off
.LBB47_437:
	s_and_b32 vcc_lo, exec_lo, s48
	s_cbranch_vccz .LBB47_447
; %bb.438:
	s_wait_xcnt 0x0
	v_bfe_i32 v4, v1, 0, 8
	s_mov_b32 s48, exec_lo
                                        ; implicit-def: $vgpr5
	s_delay_alu instid0(VALU_DEP_1) | instskip(NEXT) | instid1(VALU_DEP_1)
	v_bfe_i32 v4, v4, 0, 16
	v_cvt_f32_i32_e32 v4, v4
	s_delay_alu instid0(VALU_DEP_1) | instskip(NEXT) | instid1(VALU_DEP_1)
	v_and_b32_e32 v6, 0x7fffffff, v4
	v_cmpx_gt_u32_e32 0x43f00000, v6
	s_xor_b32 s48, exec_lo, s48
	s_cbranch_execz .LBB47_444
; %bb.439:
	s_mov_b32 s49, exec_lo
                                        ; implicit-def: $vgpr5
	v_cmpx_lt_u32_e32 0x3c7fffff, v6
	s_xor_b32 s49, exec_lo, s49
; %bb.440:
	v_bfe_u32 v5, v4, 20, 1
	s_delay_alu instid0(VALU_DEP_1) | instskip(NEXT) | instid1(VALU_DEP_1)
	v_add3_u32 v5, v4, v5, 0x407ffff
	v_and_b32_e32 v6, 0xff00000, v5
	v_lshrrev_b32_e32 v5, 20, v5
	s_delay_alu instid0(VALU_DEP_2) | instskip(NEXT) | instid1(VALU_DEP_2)
	v_cmp_ne_u32_e32 vcc_lo, 0x7f00000, v6
	v_cndmask_b32_e32 v5, 0x7e, v5, vcc_lo
; %bb.441:
	s_and_not1_saveexec_b32 s49, s49
; %bb.442:
	v_add_f32_e64 v5, 0x46800000, |v4|
; %bb.443:
	s_or_b32 exec_lo, exec_lo, s49
                                        ; implicit-def: $vgpr6
.LBB47_444:
	s_and_not1_saveexec_b32 s48, s48
; %bb.445:
	v_mov_b32_e32 v5, 0x7f
	v_cmp_lt_u32_e32 vcc_lo, 0x7f800000, v6
	s_delay_alu instid0(VALU_DEP_2)
	v_cndmask_b32_e32 v5, 0x7e, v5, vcc_lo
; %bb.446:
	s_or_b32 exec_lo, exec_lo, s48
	v_lshrrev_b32_e32 v4, 24, v4
	s_delay_alu instid0(VALU_DEP_1)
	v_and_or_b32 v4, 0x80, v4, v5
	global_store_b8 v[2:3], v4, off
.LBB47_447:
	s_mov_b32 s48, 0
.LBB47_448:
	s_delay_alu instid0(SALU_CYCLE_1)
	s_and_not1_b32 vcc_lo, exec_lo, s48
	s_cbranch_vccnz .LBB47_458
; %bb.449:
	s_wait_xcnt 0x0
	v_bfe_i32 v4, v1, 0, 8
	s_mov_b32 s48, exec_lo
                                        ; implicit-def: $vgpr5
	s_delay_alu instid0(VALU_DEP_1) | instskip(NEXT) | instid1(VALU_DEP_1)
	v_bfe_i32 v4, v4, 0, 16
	v_cvt_f32_i32_e32 v4, v4
	s_delay_alu instid0(VALU_DEP_1) | instskip(NEXT) | instid1(VALU_DEP_1)
	v_and_b32_e32 v6, 0x7fffffff, v4
	v_cmpx_gt_u32_e32 0x47800000, v6
	s_xor_b32 s48, exec_lo, s48
	s_cbranch_execz .LBB47_455
; %bb.450:
	s_mov_b32 s49, exec_lo
                                        ; implicit-def: $vgpr5
	v_cmpx_lt_u32_e32 0x387fffff, v6
	s_xor_b32 s49, exec_lo, s49
; %bb.451:
	v_bfe_u32 v5, v4, 21, 1
	s_delay_alu instid0(VALU_DEP_1) | instskip(NEXT) | instid1(VALU_DEP_1)
	v_add3_u32 v5, v4, v5, 0x80fffff
	v_lshrrev_b32_e32 v5, 21, v5
; %bb.452:
	s_and_not1_saveexec_b32 s49, s49
; %bb.453:
	v_add_f32_e64 v5, 0x43000000, |v4|
; %bb.454:
	s_or_b32 exec_lo, exec_lo, s49
                                        ; implicit-def: $vgpr6
.LBB47_455:
	s_and_not1_saveexec_b32 s48, s48
; %bb.456:
	v_mov_b32_e32 v5, 0x7f
	v_cmp_lt_u32_e32 vcc_lo, 0x7f800000, v6
	s_delay_alu instid0(VALU_DEP_2)
	v_cndmask_b32_e32 v5, 0x7c, v5, vcc_lo
; %bb.457:
	s_or_b32 exec_lo, exec_lo, s48
	v_lshrrev_b32_e32 v4, 24, v4
	s_delay_alu instid0(VALU_DEP_1)
	v_and_or_b32 v4, 0x80, v4, v5
	global_store_b8 v[2:3], v4, off
.LBB47_458:
	s_mov_b32 s49, 0
	s_mov_b32 s48, -1
.LBB47_459:
	s_and_not1_b32 vcc_lo, exec_lo, s49
	s_cbranch_vccnz .LBB47_467
; %bb.460:
	s_cmp_gt_i32 s45, 14
	s_mov_b32 s49, -1
	s_cbranch_scc0 .LBB47_464
; %bb.461:
	s_cmp_eq_u32 s45, 15
	s_mov_b32 s0, -1
	s_cbranch_scc0 .LBB47_463
; %bb.462:
	s_wait_xcnt 0x0
	v_bfe_i32 v4, v1, 0, 8
	s_mov_b32 s48, -1
	s_mov_b32 s0, 0
	s_delay_alu instid0(VALU_DEP_1) | instskip(NEXT) | instid1(VALU_DEP_1)
	v_bfe_i32 v4, v4, 0, 16
	v_cvt_f32_i32_e32 v4, v4
	s_delay_alu instid0(VALU_DEP_1) | instskip(NEXT) | instid1(VALU_DEP_1)
	v_bfe_u32 v5, v4, 16, 1
	v_add3_u32 v4, v4, v5, 0x7fff
	global_store_d16_hi_b16 v[2:3], v4, off
.LBB47_463:
	s_mov_b32 s49, 0
.LBB47_464:
	s_delay_alu instid0(SALU_CYCLE_1)
	s_and_b32 vcc_lo, exec_lo, s49
	s_cbranch_vccz .LBB47_467
; %bb.465:
	s_cmp_eq_u32 s45, 11
	s_mov_b32 s0, -1
	s_cbranch_scc0 .LBB47_467
; %bb.466:
	s_wait_xcnt 0x0
	v_and_b32_e32 v4, 0xff, v1
	s_mov_b32 s0, 0
	s_mov_b32 s48, -1
	s_delay_alu instid0(VALU_DEP_1)
	v_cmp_ne_u16_e32 vcc_lo, 0, v4
	v_cndmask_b32_e64 v4, 0, 1, vcc_lo
	global_store_b8 v[2:3], v4, off
.LBB47_467:
	s_mov_b32 s45, 0
.LBB47_468:
	s_delay_alu instid0(SALU_CYCLE_1)
	s_and_b32 vcc_lo, exec_lo, s45
	s_cbranch_vccz .LBB47_507
; %bb.469:
	s_and_b32 s37, 0xffff, s37
	s_mov_b32 s45, -1
	s_cmp_lt_i32 s37, 5
	s_cbranch_scc1 .LBB47_490
; %bb.470:
	s_cmp_lt_i32 s37, 8
	s_cbranch_scc1 .LBB47_480
; %bb.471:
	s_cmp_lt_i32 s37, 9
	s_cbranch_scc1 .LBB47_477
; %bb.472:
	s_cmp_gt_i32 s37, 9
	s_cbranch_scc0 .LBB47_474
; %bb.473:
	s_wait_xcnt 0x0
	v_bfe_i32 v4, v1, 0, 8
	v_mov_b32_e32 v6, 0
	s_mov_b32 s45, 0
	s_delay_alu instid0(VALU_DEP_2) | instskip(NEXT) | instid1(VALU_DEP_2)
	v_bfe_i32 v4, v4, 0, 16
	v_mov_b32_e32 v7, v6
	s_delay_alu instid0(VALU_DEP_2)
	v_cvt_f64_i32_e32 v[4:5], v4
	global_store_b128 v[2:3], v[4:7], off
.LBB47_474:
	s_and_not1_b32 vcc_lo, exec_lo, s45
	s_cbranch_vccnz .LBB47_476
; %bb.475:
	s_wait_xcnt 0x0
	v_bfe_i32 v4, v1, 0, 8
	v_mov_b32_e32 v5, 0
	s_delay_alu instid0(VALU_DEP_2) | instskip(NEXT) | instid1(VALU_DEP_1)
	v_bfe_i32 v4, v4, 0, 16
	v_cvt_f32_i32_e32 v4, v4
	global_store_b64 v[2:3], v[4:5], off
.LBB47_476:
	s_mov_b32 s45, 0
.LBB47_477:
	s_delay_alu instid0(SALU_CYCLE_1)
	s_and_not1_b32 vcc_lo, exec_lo, s45
	s_cbranch_vccnz .LBB47_479
; %bb.478:
	s_wait_xcnt 0x0
	v_bfe_i32 v4, v1, 0, 8
	s_delay_alu instid0(VALU_DEP_1) | instskip(NEXT) | instid1(VALU_DEP_1)
	v_cvt_f16_i16_e32 v4, v4
	v_and_b32_e32 v4, 0xffff, v4
	global_store_b32 v[2:3], v4, off
.LBB47_479:
	s_mov_b32 s45, 0
.LBB47_480:
	s_delay_alu instid0(SALU_CYCLE_1)
	s_and_not1_b32 vcc_lo, exec_lo, s45
	s_cbranch_vccnz .LBB47_489
; %bb.481:
	s_cmp_lt_i32 s37, 6
	s_mov_b32 s45, -1
	s_cbranch_scc1 .LBB47_487
; %bb.482:
	s_cmp_gt_i32 s37, 6
	s_cbranch_scc0 .LBB47_484
; %bb.483:
	s_wait_xcnt 0x0
	v_bfe_i32 v4, v1, 0, 8
	s_mov_b32 s45, 0
	s_delay_alu instid0(VALU_DEP_1) | instskip(NEXT) | instid1(VALU_DEP_1)
	v_bfe_i32 v4, v4, 0, 16
	v_cvt_f64_i32_e32 v[4:5], v4
	global_store_b64 v[2:3], v[4:5], off
.LBB47_484:
	s_and_not1_b32 vcc_lo, exec_lo, s45
	s_cbranch_vccnz .LBB47_486
; %bb.485:
	s_wait_xcnt 0x0
	v_bfe_i32 v4, v1, 0, 8
	s_delay_alu instid0(VALU_DEP_1) | instskip(NEXT) | instid1(VALU_DEP_1)
	v_bfe_i32 v4, v4, 0, 16
	v_cvt_f32_i32_e32 v4, v4
	global_store_b32 v[2:3], v4, off
.LBB47_486:
	s_mov_b32 s45, 0
.LBB47_487:
	s_delay_alu instid0(SALU_CYCLE_1)
	s_and_not1_b32 vcc_lo, exec_lo, s45
	s_cbranch_vccnz .LBB47_489
; %bb.488:
	s_wait_xcnt 0x0
	v_bfe_i32 v4, v1, 0, 8
	s_delay_alu instid0(VALU_DEP_1)
	v_cvt_f16_i16_e32 v4, v4
	global_store_b16 v[2:3], v4, off
.LBB47_489:
	s_mov_b32 s45, 0
.LBB47_490:
	s_delay_alu instid0(SALU_CYCLE_1)
	s_and_not1_b32 vcc_lo, exec_lo, s45
	s_cbranch_vccnz .LBB47_506
; %bb.491:
	s_cmp_lt_i32 s37, 2
	s_mov_b32 s45, -1
	s_cbranch_scc1 .LBB47_501
; %bb.492:
	s_cmp_lt_i32 s37, 3
	s_cbranch_scc1 .LBB47_498
; %bb.493:
	s_cmp_gt_i32 s37, 3
	s_cbranch_scc0 .LBB47_495
; %bb.494:
	s_wait_xcnt 0x0
	v_bfe_i32 v4, v1, 0, 8
	s_mov_b32 s45, 0
	s_delay_alu instid0(VALU_DEP_1)
	v_ashrrev_i32_e32 v5, 31, v4
	global_store_b64 v[2:3], v[4:5], off
.LBB47_495:
	s_and_not1_b32 vcc_lo, exec_lo, s45
	s_cbranch_vccnz .LBB47_497
; %bb.496:
	s_wait_xcnt 0x0
	v_bfe_i32 v4, v1, 0, 8
	global_store_b32 v[2:3], v4, off
.LBB47_497:
	s_mov_b32 s45, 0
.LBB47_498:
	s_delay_alu instid0(SALU_CYCLE_1)
	s_and_not1_b32 vcc_lo, exec_lo, s45
	s_cbranch_vccnz .LBB47_500
; %bb.499:
	s_wait_xcnt 0x0
	v_bfe_i32 v4, v1, 0, 8
	global_store_b16 v[2:3], v4, off
.LBB47_500:
	s_mov_b32 s45, 0
.LBB47_501:
	s_delay_alu instid0(SALU_CYCLE_1)
	s_and_not1_b32 vcc_lo, exec_lo, s45
	s_cbranch_vccnz .LBB47_506
; %bb.502:
	s_cmp_gt_i32 s37, 0
	s_mov_b32 s37, -1
	s_cbranch_scc0 .LBB47_504
; %bb.503:
	s_mov_b32 s37, 0
	global_store_b8 v[2:3], v1, off
.LBB47_504:
	s_and_not1_b32 vcc_lo, exec_lo, s37
	s_cbranch_vccnz .LBB47_506
; %bb.505:
	global_store_b8 v[2:3], v1, off
.LBB47_506:
	s_mov_b32 s48, -1
.LBB47_507:
	s_delay_alu instid0(SALU_CYCLE_1)
	s_and_not1_b32 vcc_lo, exec_lo, s48
	s_cbranch_vccnz .LBB47_509
; %bb.508:
	v_add_nc_u32_e32 v0, 0x80, v0
	s_mov_b32 s37, -1
	s_branch .LBB47_510
.LBB47_509:
	s_mov_b32 s37, 0
                                        ; implicit-def: $vgpr0
.LBB47_510:
	s_and_b32 s45, s0, exec_lo
	s_and_b32 s48, s36, exec_lo
	;; [unrolled: 1-line block ×4, first 2 shown]
	s_or_not1_b32 s35, s37, exec_lo
.LBB47_511:
	s_wait_xcnt 0x0
	s_or_b32 exec_lo, exec_lo, s51
	s_mov_b32 s36, 0
	s_mov_b32 s34, 0
                                        ; implicit-def: $sgpr0
                                        ; implicit-def: $vgpr10_vgpr11
                                        ; implicit-def: $vgpr2
                                        ; implicit-def: $vgpr6
                                        ; implicit-def: $vgpr8
                                        ; implicit-def: $vgpr4
	s_and_saveexec_b32 s51, s35
	s_cbranch_execz .LBB47_519
; %bb.512:
	s_mov_b32 s37, -1
	s_mov_b32 s52, s50
	s_mov_b32 s55, s49
	;; [unrolled: 1-line block ×4, first 2 shown]
	s_mov_b32 s56, exec_lo
	v_cmpx_gt_i32_e64 s46, v0
	s_cbranch_execz .LBB47_1033
; %bb.513:
	s_and_not1_b32 vcc_lo, exec_lo, s40
	s_cbranch_vccnz .LBB47_522
; %bb.514:
	s_and_not1_b32 vcc_lo, exec_lo, s47
	s_cbranch_vccnz .LBB47_523
; %bb.515:
	s_wait_loadcnt 0x0
	v_dual_mov_b32 v8, 0 :: v_dual_mov_b32 v1, v0
	v_dual_mov_b32 v6, 0 :: v_dual_mov_b32 v2, 0
	v_mov_b32_e32 v4, 0
	s_add_co_i32 s0, s44, 1
	s_mov_b64 s[34:35], 0xffffffffffffffe0
	s_and_b32 s0, s0, 30
	s_add_nc_u64 s[34:35], s[2:3], s[34:35]
	s_mov_b64 s[36:37], s[2:3]
.LBB47_516:                             ; =>This Inner Loop Header: Depth=1
	s_clause 0x1
	s_load_b128 s[52:55], s[36:37], 0x4
	s_load_b64 s[58:59], s[36:37], 0x14
	s_load_b256 s[60:67], s[34:35], 0xe4
	s_add_co_i32 s0, s0, -2
	s_wait_xcnt 0x0
	s_add_nc_u64 s[36:37], s[36:37], 24
	s_cmp_eq_u32 s0, 0
	s_add_nc_u64 s[34:35], s[34:35], 32
	s_wait_kmcnt 0x0
	v_mul_hi_u32 v3, s53, v1
	s_delay_alu instid0(VALU_DEP_1) | instskip(NEXT) | instid1(VALU_DEP_1)
	v_add_nc_u32_e32 v3, v1, v3
	v_lshrrev_b32_e32 v3, s54, v3
	s_delay_alu instid0(VALU_DEP_1) | instskip(SKIP_1) | instid1(VALU_DEP_1)
	v_mul_hi_u32 v5, s58, v3
	v_mul_lo_u32 v7, v3, s52
	v_dual_add_nc_u32 v5, v3, v5 :: v_dual_sub_nc_u32 v7, v1, v7
	s_delay_alu instid0(VALU_DEP_1) | instskip(NEXT) | instid1(VALU_DEP_2)
	v_lshrrev_b32_e32 v1, s59, v5
	v_mad_u32 v4, v7, s61, v4
	v_mad_u32 v2, v7, s60, v2
	v_mad_u32 v6, v7, s63, v6
	v_mad_u32 v7, v7, s62, v8
	v_mul_lo_u32 v5, v1, s55
	s_delay_alu instid0(VALU_DEP_1) | instskip(NEXT) | instid1(VALU_DEP_1)
	v_sub_nc_u32_e32 v3, v3, v5
	v_mad_u32 v4, v3, s65, v4
	v_mad_u32 v2, v3, s64, v2
	v_mad_u32 v6, v3, s67, v6
	v_mad_u32 v8, v3, s66, v7
	s_cbranch_scc0 .LBB47_516
; %bb.517:
	s_bitcmp1_b32 s44, 0
	s_cselect_b32 s0, -1, 0
	s_delay_alu instid0(SALU_CYCLE_1)
	s_and_b32 vcc_lo, exec_lo, s0
	s_cbranch_vccnz .LBB47_524
; %bb.518:
	s_load_b96 s[60:62], s[36:37], 0x4
	s_load_b128 s[52:55], s[34:35], 0xe4
	s_wait_kmcnt 0x0
	v_mul_hi_u32 v3, s61, v1
	s_delay_alu instid0(VALU_DEP_1) | instskip(NEXT) | instid1(VALU_DEP_1)
	v_add_nc_u32_e32 v3, v1, v3
	v_lshrrev_b32_e32 v3, s62, v3
	s_delay_alu instid0(VALU_DEP_1) | instskip(NEXT) | instid1(VALU_DEP_1)
	v_mul_lo_u32 v3, v3, s60
	v_sub_nc_u32_e32 v1, v1, v3
	s_delay_alu instid0(VALU_DEP_1)
	v_mad_u32 v2, v1, s52, v2
	v_mad_u32 v4, v1, s53, v4
	;; [unrolled: 1-line block ×4, first 2 shown]
	s_branch .LBB47_524
.LBB47_519:
	s_or_b32 exec_lo, exec_lo, s51
	s_mov_b32 s1, 0
	s_and_saveexec_b32 s6, s50
	s_cbranch_execnz .LBB47_1645
.LBB47_520:
	s_or_b32 exec_lo, exec_lo, s6
	s_and_saveexec_b32 s6, s27
	s_delay_alu instid0(SALU_CYCLE_1)
	s_xor_b32 s6, exec_lo, s6
	s_cbranch_execz .LBB47_1646
.LBB47_521:
	s_wait_loadcnt 0x0
	global_load_u8 v0, v[10:11], off
	s_or_b32 s34, s34, exec_lo
	s_wait_loadcnt 0x0
	v_cmp_ne_u16_e32 vcc_lo, 0, v0
	v_cndmask_b32_e64 v4, 0, 1, vcc_lo
	s_wait_xcnt 0x0
	s_or_b32 exec_lo, exec_lo, s6
	s_and_saveexec_b32 s6, s36
	s_cbranch_execz .LBB47_1692
	s_branch .LBB47_1647
.LBB47_522:
                                        ; implicit-def: $vgpr4
                                        ; implicit-def: $vgpr2
                                        ; implicit-def: $vgpr6
                                        ; implicit-def: $vgpr8
	s_branch .LBB47_525
.LBB47_523:
	s_wait_loadcnt 0x0
	v_dual_mov_b32 v4, 0 :: v_dual_mov_b32 v2, 0
	v_dual_mov_b32 v6, 0 :: v_dual_mov_b32 v8, 0
.LBB47_524:
	s_cbranch_execnz .LBB47_527
.LBB47_525:
	v_mov_b32_e32 v1, 0
	s_and_not1_b32 vcc_lo, exec_lo, s43
	s_delay_alu instid0(VALU_DEP_1) | instskip(NEXT) | instid1(VALU_DEP_1)
	v_mul_u64_e32 v[2:3], s[26:27], v[0:1]
	v_add_nc_u32_e32 v2, v0, v3
	s_wait_loadcnt 0x0
	s_delay_alu instid0(VALU_DEP_1) | instskip(NEXT) | instid1(VALU_DEP_1)
	v_lshrrev_b32_e32 v10, s22, v2
	v_mul_lo_u32 v2, v10, s20
	s_delay_alu instid0(VALU_DEP_1) | instskip(NEXT) | instid1(VALU_DEP_1)
	v_sub_nc_u32_e32 v3, v0, v2
	v_mul_lo_u32 v4, v3, s13
	v_mul_lo_u32 v2, v3, s12
	;; [unrolled: 1-line block ×4, first 2 shown]
	s_cbranch_vccnz .LBB47_527
; %bb.526:
	v_mov_b32_e32 v11, v1
	s_delay_alu instid0(VALU_DEP_1) | instskip(NEXT) | instid1(VALU_DEP_1)
	v_mul_u64_e32 v[12:13], s[30:31], v[10:11]
	v_add_nc_u32_e32 v1, v10, v13
	s_delay_alu instid0(VALU_DEP_1) | instskip(NEXT) | instid1(VALU_DEP_1)
	v_lshrrev_b32_e32 v1, s1, v1
	v_mul_lo_u32 v1, v1, s23
	s_delay_alu instid0(VALU_DEP_1) | instskip(NEXT) | instid1(VALU_DEP_1)
	v_sub_nc_u32_e32 v1, v10, v1
	v_mad_u32 v2, v1, s16, v2
	v_mad_u32 v4, v1, s17, v4
	;; [unrolled: 1-line block ×4, first 2 shown]
.LBB47_527:
	s_wait_loadcnt 0x0
	v_mov_b32_e32 v5, 0
	s_and_b32 s0, s28, 0xff
	s_delay_alu instid0(SALU_CYCLE_1) | instskip(NEXT) | instid1(VALU_DEP_1)
	s_cmp_lt_i32 s0, 11
	v_add_nc_u64_e32 v[10:11], s[6:7], v[4:5]
	s_cbranch_scc1 .LBB47_534
; %bb.528:
	s_and_b32 s35, 0xffff, s0
	s_delay_alu instid0(SALU_CYCLE_1)
	s_cmp_gt_i32 s35, 25
	s_cbranch_scc0 .LBB47_543
; %bb.529:
	s_cmp_gt_i32 s35, 28
	s_cbranch_scc0 .LBB47_545
; %bb.530:
	;; [unrolled: 3-line block ×4, first 2 shown]
	s_cmp_eq_u32 s35, 46
	s_mov_b32 s37, 0
	s_cbranch_scc0 .LBB47_551
; %bb.533:
	global_load_b32 v1, v[10:11], off
	s_mov_b32 s36, -1
	s_mov_b32 s34, 0
	s_wait_loadcnt 0x0
	v_lshlrev_b32_e32 v1, 16, v1
	s_delay_alu instid0(VALU_DEP_1)
	v_cvt_i32_f32_e32 v4, v1
	s_branch .LBB47_553
.LBB47_534:
	s_mov_b32 s36, 0
	s_mov_b32 s34, s50
                                        ; implicit-def: $vgpr4
	s_cbranch_execnz .LBB47_615
.LBB47_535:
	s_and_not1_b32 vcc_lo, exec_lo, s36
	s_cbranch_vccnz .LBB47_663
.LBB47_536:
	v_mov_b32_e32 v9, 0
	s_and_b32 s0, s25, 0xff
	s_delay_alu instid0(SALU_CYCLE_1) | instskip(SKIP_1) | instid1(VALU_DEP_1)
	s_cmp_lt_i32 s0, 11
	s_wait_xcnt 0x0
	v_add_nc_u64_e32 v[10:11], s[8:9], v[8:9]
	s_cbranch_scc1 .LBB47_544
; %bb.537:
	s_and_b32 s36, 0xffff, s0
	s_delay_alu instid0(SALU_CYCLE_1)
	s_cmp_gt_i32 s36, 25
	s_cbranch_scc0 .LBB47_546
; %bb.538:
	s_cmp_gt_i32 s36, 28
	s_cbranch_scc0 .LBB47_548
; %bb.539:
	;; [unrolled: 3-line block ×4, first 2 shown]
	s_cmp_eq_u32 s36, 46
	s_mov_b32 s52, 0
	s_cbranch_scc0 .LBB47_666
; %bb.542:
	global_load_b32 v1, v[10:11], off
	s_mov_b32 s37, -1
	s_mov_b32 s35, 0
	s_wait_loadcnt 0x0
	v_lshlrev_b32_e32 v1, 16, v1
	s_delay_alu instid0(VALU_DEP_1)
	v_cvt_i32_f32_e32 v8, v1
	s_branch .LBB47_668
.LBB47_543:
	s_mov_b32 s37, -1
	s_mov_b32 s36, 0
	s_mov_b32 s34, s50
                                        ; implicit-def: $vgpr4
	s_branch .LBB47_581
.LBB47_544:
	s_mov_b32 s36, -1
	s_mov_b32 s37, 0
	s_mov_b32 s35, s49
                                        ; implicit-def: $vgpr8
	s_branch .LBB47_729
.LBB47_545:
	s_mov_b32 s37, -1
	s_mov_b32 s36, 0
	s_mov_b32 s34, s50
                                        ; implicit-def: $vgpr4
	s_branch .LBB47_564
.LBB47_546:
	s_mov_b32 s52, -1
	s_mov_b32 s37, 0
	s_mov_b32 s35, s49
                                        ; implicit-def: $vgpr8
	s_branch .LBB47_695
.LBB47_547:
	s_mov_b32 s37, -1
	s_mov_b32 s36, 0
	s_mov_b32 s34, s50
                                        ; implicit-def: $vgpr4
	s_branch .LBB47_559
.LBB47_548:
	s_mov_b32 s52, -1
	s_mov_b32 s37, 0
	s_mov_b32 s35, s49
                                        ; implicit-def: $vgpr8
	s_branch .LBB47_678
.LBB47_549:
	s_mov_b32 s37, -1
	s_mov_b32 s36, 0
	s_mov_b32 s34, s50
	s_branch .LBB47_552
.LBB47_550:
	s_mov_b32 s52, -1
	s_mov_b32 s37, 0
	s_mov_b32 s35, s49
                                        ; implicit-def: $vgpr8
	s_branch .LBB47_673
.LBB47_551:
	s_mov_b32 s34, -1
	s_mov_b32 s36, 0
.LBB47_552:
                                        ; implicit-def: $vgpr4
.LBB47_553:
	s_and_b32 vcc_lo, exec_lo, s37
	s_cbranch_vccz .LBB47_558
; %bb.554:
	s_cmp_eq_u32 s35, 44
	s_cbranch_scc0 .LBB47_557
; %bb.555:
	global_load_u8 v1, v[10:11], off
	s_mov_b32 s34, 0
	s_mov_b32 s36, -1
	s_wait_loadcnt 0x0
	v_lshlrev_b32_e32 v3, 23, v1
	v_cmp_ne_u32_e32 vcc_lo, 0, v1
	s_delay_alu instid0(VALU_DEP_2) | instskip(NEXT) | instid1(VALU_DEP_1)
	v_cvt_i32_f32_e32 v3, v3
	v_cndmask_b32_e32 v4, 0, v3, vcc_lo
	s_branch .LBB47_558
.LBB47_556:
	s_mov_b32 s52, -1
	s_mov_b32 s37, 0
	s_mov_b32 s35, s49
	s_branch .LBB47_667
.LBB47_557:
	s_mov_b32 s34, -1
                                        ; implicit-def: $vgpr4
.LBB47_558:
	s_mov_b32 s37, 0
.LBB47_559:
	s_delay_alu instid0(SALU_CYCLE_1)
	s_and_b32 vcc_lo, exec_lo, s37
	s_cbranch_vccz .LBB47_563
; %bb.560:
	s_cmp_eq_u32 s35, 29
	s_cbranch_scc0 .LBB47_562
; %bb.561:
	global_load_b64 v[4:5], v[10:11], off
	s_mov_b32 s36, -1
	s_mov_b32 s34, 0
	s_branch .LBB47_563
.LBB47_562:
	s_mov_b32 s34, -1
                                        ; implicit-def: $vgpr4
.LBB47_563:
	s_mov_b32 s37, 0
.LBB47_564:
	s_delay_alu instid0(SALU_CYCLE_1)
	s_and_b32 vcc_lo, exec_lo, s37
	s_cbranch_vccz .LBB47_580
; %bb.565:
	s_cmp_lt_i32 s35, 27
	s_cbranch_scc1 .LBB47_568
; %bb.566:
	s_cmp_gt_i32 s35, 27
	s_cbranch_scc0 .LBB47_569
; %bb.567:
	s_wait_loadcnt 0x0
	global_load_b32 v4, v[10:11], off
	s_mov_b32 s36, 0
	s_branch .LBB47_570
.LBB47_568:
	s_mov_b32 s36, -1
                                        ; implicit-def: $vgpr4
	s_branch .LBB47_573
.LBB47_569:
	s_mov_b32 s36, -1
                                        ; implicit-def: $vgpr4
.LBB47_570:
	s_delay_alu instid0(SALU_CYCLE_1)
	s_and_not1_b32 vcc_lo, exec_lo, s36
	s_cbranch_vccnz .LBB47_572
; %bb.571:
	s_wait_loadcnt 0x0
	global_load_u16 v4, v[10:11], off
.LBB47_572:
	s_mov_b32 s36, 0
.LBB47_573:
	s_delay_alu instid0(SALU_CYCLE_1)
	s_and_not1_b32 vcc_lo, exec_lo, s36
	s_cbranch_vccnz .LBB47_579
; %bb.574:
	global_load_u8 v1, v[10:11], off
	s_mov_b32 s37, 0
	s_mov_b32 s36, exec_lo
	s_wait_loadcnt 0x0
	v_cmpx_lt_i16_e32 0x7f, v1
	s_xor_b32 s36, exec_lo, s36
	s_cbranch_execz .LBB47_591
; %bb.575:
	v_cmp_ne_u16_e32 vcc_lo, 0x80, v1
	s_and_b32 s37, vcc_lo, exec_lo
	s_and_not1_saveexec_b32 s36, s36
	s_cbranch_execnz .LBB47_592
.LBB47_576:
	s_or_b32 exec_lo, exec_lo, s36
	v_mov_b32_e32 v4, 0
	s_and_saveexec_b32 s36, s37
	s_cbranch_execz .LBB47_578
.LBB47_577:
	v_and_b32_e32 v3, 0xffff, v1
	s_delay_alu instid0(VALU_DEP_1) | instskip(SKIP_1) | instid1(VALU_DEP_2)
	v_and_b32_e32 v4, 7, v3
	v_bfe_u32 v9, v3, 3, 4
	v_clz_i32_u32_e32 v5, v4
	s_delay_alu instid0(VALU_DEP_2) | instskip(NEXT) | instid1(VALU_DEP_2)
	v_cmp_eq_u32_e32 vcc_lo, 0, v9
	v_min_u32_e32 v5, 32, v5
	s_delay_alu instid0(VALU_DEP_1) | instskip(NEXT) | instid1(VALU_DEP_1)
	v_subrev_nc_u32_e32 v7, 28, v5
	v_dual_lshlrev_b32 v3, v7, v3 :: v_dual_sub_nc_u32 v5, 29, v5
	s_delay_alu instid0(VALU_DEP_1) | instskip(NEXT) | instid1(VALU_DEP_1)
	v_dual_lshlrev_b32 v1, 24, v1 :: v_dual_bitop2_b32 v3, 7, v3 bitop3:0x40
	v_dual_cndmask_b32 v3, v4, v3, vcc_lo :: v_dual_cndmask_b32 v5, v9, v5, vcc_lo
	s_delay_alu instid0(VALU_DEP_2) | instskip(NEXT) | instid1(VALU_DEP_2)
	v_and_b32_e32 v1, 0x80000000, v1
	v_lshlrev_b32_e32 v3, 20, v3
	s_delay_alu instid0(VALU_DEP_3) | instskip(NEXT) | instid1(VALU_DEP_1)
	v_lshl_add_u32 v4, v5, 23, 0x3b800000
	v_or3_b32 v1, v1, v4, v3
	s_delay_alu instid0(VALU_DEP_1)
	v_cvt_i32_f32_e32 v4, v1
.LBB47_578:
	s_or_b32 exec_lo, exec_lo, s36
.LBB47_579:
	s_mov_b32 s36, -1
.LBB47_580:
	s_mov_b32 s37, 0
.LBB47_581:
	s_delay_alu instid0(SALU_CYCLE_1)
	s_and_b32 vcc_lo, exec_lo, s37
	s_cbranch_vccz .LBB47_614
; %bb.582:
	s_cmp_gt_i32 s35, 22
	s_cbranch_scc0 .LBB47_590
; %bb.583:
	s_cmp_lt_i32 s35, 24
	s_cbranch_scc1 .LBB47_593
; %bb.584:
	s_cmp_gt_i32 s35, 24
	s_cbranch_scc0 .LBB47_594
; %bb.585:
	global_load_u8 v1, v[10:11], off
	s_mov_b32 s37, 0
	s_mov_b32 s36, exec_lo
	s_wait_loadcnt 0x0
	v_cmpx_lt_i16_e32 0x7f, v1
	s_xor_b32 s36, exec_lo, s36
	s_cbranch_execz .LBB47_606
; %bb.586:
	v_cmp_ne_u16_e32 vcc_lo, 0x80, v1
	s_and_b32 s37, vcc_lo, exec_lo
	s_and_not1_saveexec_b32 s36, s36
	s_cbranch_execnz .LBB47_607
.LBB47_587:
	s_or_b32 exec_lo, exec_lo, s36
	v_mov_b32_e32 v4, 0
	s_and_saveexec_b32 s36, s37
	s_cbranch_execz .LBB47_589
.LBB47_588:
	v_and_b32_e32 v3, 0xffff, v1
	s_delay_alu instid0(VALU_DEP_1) | instskip(SKIP_1) | instid1(VALU_DEP_2)
	v_and_b32_e32 v4, 3, v3
	v_bfe_u32 v9, v3, 2, 5
	v_clz_i32_u32_e32 v5, v4
	s_delay_alu instid0(VALU_DEP_2) | instskip(NEXT) | instid1(VALU_DEP_2)
	v_cmp_eq_u32_e32 vcc_lo, 0, v9
	v_min_u32_e32 v5, 32, v5
	s_delay_alu instid0(VALU_DEP_1) | instskip(NEXT) | instid1(VALU_DEP_1)
	v_subrev_nc_u32_e32 v7, 29, v5
	v_dual_lshlrev_b32 v3, v7, v3 :: v_dual_sub_nc_u32 v5, 30, v5
	s_delay_alu instid0(VALU_DEP_1) | instskip(NEXT) | instid1(VALU_DEP_1)
	v_dual_lshlrev_b32 v1, 24, v1 :: v_dual_bitop2_b32 v3, 3, v3 bitop3:0x40
	v_dual_cndmask_b32 v3, v4, v3, vcc_lo :: v_dual_cndmask_b32 v5, v9, v5, vcc_lo
	s_delay_alu instid0(VALU_DEP_2) | instskip(NEXT) | instid1(VALU_DEP_2)
	v_and_b32_e32 v1, 0x80000000, v1
	v_lshlrev_b32_e32 v3, 21, v3
	s_delay_alu instid0(VALU_DEP_3) | instskip(NEXT) | instid1(VALU_DEP_1)
	v_lshl_add_u32 v4, v5, 23, 0x37800000
	v_or3_b32 v1, v1, v4, v3
	s_delay_alu instid0(VALU_DEP_1)
	v_cvt_i32_f32_e32 v4, v1
.LBB47_589:
	s_or_b32 exec_lo, exec_lo, s36
	s_mov_b32 s36, 0
	s_branch .LBB47_595
.LBB47_590:
	s_mov_b32 s37, -1
                                        ; implicit-def: $vgpr4
	s_branch .LBB47_601
.LBB47_591:
	s_and_not1_saveexec_b32 s36, s36
	s_cbranch_execz .LBB47_576
.LBB47_592:
	v_cmp_ne_u16_e32 vcc_lo, 0, v1
	s_and_not1_b32 s37, s37, exec_lo
	s_and_b32 s52, vcc_lo, exec_lo
	s_delay_alu instid0(SALU_CYCLE_1)
	s_or_b32 s37, s37, s52
	s_or_b32 exec_lo, exec_lo, s36
	v_mov_b32_e32 v4, 0
	s_and_saveexec_b32 s36, s37
	s_cbranch_execnz .LBB47_577
	s_branch .LBB47_578
.LBB47_593:
	s_mov_b32 s36, -1
                                        ; implicit-def: $vgpr4
	s_branch .LBB47_598
.LBB47_594:
	s_mov_b32 s36, -1
                                        ; implicit-def: $vgpr4
.LBB47_595:
	s_delay_alu instid0(SALU_CYCLE_1)
	s_and_b32 vcc_lo, exec_lo, s36
	s_cbranch_vccz .LBB47_597
; %bb.596:
	global_load_u8 v1, v[10:11], off
	s_wait_loadcnt 0x0
	v_lshlrev_b32_e32 v1, 24, v1
	s_delay_alu instid0(VALU_DEP_1) | instskip(NEXT) | instid1(VALU_DEP_1)
	v_and_b32_e32 v3, 0x7f000000, v1
	v_clz_i32_u32_e32 v4, v3
	v_add_nc_u32_e32 v7, 0x1000000, v3
	v_cmp_ne_u32_e32 vcc_lo, 0, v3
	s_delay_alu instid0(VALU_DEP_3) | instskip(NEXT) | instid1(VALU_DEP_1)
	v_min_u32_e32 v4, 32, v4
	v_sub_nc_u32_e64 v4, v4, 4 clamp
	s_delay_alu instid0(VALU_DEP_1) | instskip(NEXT) | instid1(VALU_DEP_1)
	v_dual_lshlrev_b32 v5, v4, v3 :: v_dual_lshlrev_b32 v4, 23, v4
	v_lshrrev_b32_e32 v5, 4, v5
	s_delay_alu instid0(VALU_DEP_1) | instskip(NEXT) | instid1(VALU_DEP_1)
	v_dual_sub_nc_u32 v4, v5, v4 :: v_dual_ashrrev_i32 v5, 8, v7
	v_add_nc_u32_e32 v4, 0x3c000000, v4
	s_delay_alu instid0(VALU_DEP_1) | instskip(NEXT) | instid1(VALU_DEP_1)
	v_and_or_b32 v4, 0x7f800000, v5, v4
	v_cndmask_b32_e32 v3, 0, v4, vcc_lo
	s_delay_alu instid0(VALU_DEP_1) | instskip(NEXT) | instid1(VALU_DEP_1)
	v_and_or_b32 v1, 0x80000000, v1, v3
	v_cvt_i32_f32_e32 v4, v1
.LBB47_597:
	s_mov_b32 s36, 0
.LBB47_598:
	s_delay_alu instid0(SALU_CYCLE_1)
	s_and_not1_b32 vcc_lo, exec_lo, s36
	s_cbranch_vccnz .LBB47_600
; %bb.599:
	global_load_u8 v1, v[10:11], off
	s_wait_loadcnt 0x0
	v_lshlrev_b32_e32 v3, 25, v1
	v_lshlrev_b16 v1, 8, v1
	s_delay_alu instid0(VALU_DEP_1) | instskip(NEXT) | instid1(VALU_DEP_3)
	v_and_or_b32 v5, 0x7f00, v1, 0.5
	v_lshrrev_b32_e32 v4, 4, v3
	v_bfe_i32 v1, v1, 0, 16
	s_delay_alu instid0(VALU_DEP_3) | instskip(NEXT) | instid1(VALU_DEP_3)
	v_add_f32_e32 v5, -0.5, v5
	v_or_b32_e32 v4, 0x70000000, v4
	s_delay_alu instid0(VALU_DEP_1) | instskip(SKIP_1) | instid1(VALU_DEP_2)
	v_mul_f32_e32 v4, 0x7800000, v4
	v_cmp_gt_u32_e32 vcc_lo, 0x8000000, v3
	v_cndmask_b32_e32 v3, v4, v5, vcc_lo
	s_delay_alu instid0(VALU_DEP_1) | instskip(NEXT) | instid1(VALU_DEP_1)
	v_and_or_b32 v1, 0x80000000, v1, v3
	v_cvt_i32_f32_e32 v4, v1
.LBB47_600:
	s_mov_b32 s37, 0
	s_mov_b32 s36, -1
.LBB47_601:
	s_and_not1_b32 vcc_lo, exec_lo, s37
	s_cbranch_vccnz .LBB47_614
; %bb.602:
	s_cmp_gt_i32 s35, 14
	s_cbranch_scc0 .LBB47_605
; %bb.603:
	s_cmp_eq_u32 s35, 15
	s_cbranch_scc0 .LBB47_608
; %bb.604:
	global_load_u16 v1, v[10:11], off
	s_mov_b32 s36, -1
	s_mov_b32 s34, 0
	s_wait_loadcnt 0x0
	v_lshlrev_b32_e32 v1, 16, v1
	s_delay_alu instid0(VALU_DEP_1)
	v_cvt_i32_f32_e32 v4, v1
	s_branch .LBB47_609
.LBB47_605:
	s_mov_b32 s37, -1
                                        ; implicit-def: $vgpr4
	s_branch .LBB47_610
.LBB47_606:
	s_and_not1_saveexec_b32 s36, s36
	s_cbranch_execz .LBB47_587
.LBB47_607:
	v_cmp_ne_u16_e32 vcc_lo, 0, v1
	s_and_not1_b32 s37, s37, exec_lo
	s_and_b32 s52, vcc_lo, exec_lo
	s_delay_alu instid0(SALU_CYCLE_1)
	s_or_b32 s37, s37, s52
	s_or_b32 exec_lo, exec_lo, s36
	v_mov_b32_e32 v4, 0
	s_and_saveexec_b32 s36, s37
	s_cbranch_execnz .LBB47_588
	s_branch .LBB47_589
.LBB47_608:
	s_mov_b32 s34, -1
                                        ; implicit-def: $vgpr4
.LBB47_609:
	s_mov_b32 s37, 0
.LBB47_610:
	s_delay_alu instid0(SALU_CYCLE_1)
	s_and_b32 vcc_lo, exec_lo, s37
	s_cbranch_vccz .LBB47_614
; %bb.611:
	s_cmp_eq_u32 s35, 11
	s_cbranch_scc0 .LBB47_613
; %bb.612:
	global_load_u8 v1, v[10:11], off
	s_mov_b32 s34, 0
	s_mov_b32 s36, -1
	s_wait_loadcnt 0x0
	v_cmp_ne_u16_e32 vcc_lo, 0, v1
	v_cndmask_b32_e64 v4, 0, 1, vcc_lo
	s_branch .LBB47_614
.LBB47_613:
	s_mov_b32 s34, -1
                                        ; implicit-def: $vgpr4
.LBB47_614:
	s_branch .LBB47_535
.LBB47_615:
	s_and_b32 s0, 0xffff, s0
	s_delay_alu instid0(SALU_CYCLE_1)
	s_cmp_lt_i32 s0, 5
	s_cbranch_scc1 .LBB47_620
; %bb.616:
	s_cmp_lt_i32 s0, 8
	s_cbranch_scc1 .LBB47_621
; %bb.617:
	;; [unrolled: 3-line block ×3, first 2 shown]
	s_cmp_gt_i32 s0, 9
	s_cbranch_scc0 .LBB47_623
; %bb.619:
	s_wait_loadcnt 0x0
	global_load_b64 v[4:5], v[10:11], off
	s_mov_b32 s35, 0
	s_wait_loadcnt 0x0
	v_cvt_i32_f64_e32 v4, v[4:5]
	s_branch .LBB47_624
.LBB47_620:
	s_mov_b32 s35, -1
                                        ; implicit-def: $vgpr4
	s_branch .LBB47_642
.LBB47_621:
	s_mov_b32 s35, -1
                                        ; implicit-def: $vgpr4
	s_branch .LBB47_630
.LBB47_622:
	s_mov_b32 s35, -1
                                        ; implicit-def: $vgpr4
	s_branch .LBB47_627
.LBB47_623:
	s_mov_b32 s35, -1
                                        ; implicit-def: $vgpr4
.LBB47_624:
	s_delay_alu instid0(SALU_CYCLE_1)
	s_and_not1_b32 vcc_lo, exec_lo, s35
	s_cbranch_vccnz .LBB47_626
; %bb.625:
	global_load_b32 v1, v[10:11], off
	s_wait_loadcnt 0x0
	v_cvt_i32_f32_e32 v4, v1
.LBB47_626:
	s_mov_b32 s35, 0
.LBB47_627:
	s_delay_alu instid0(SALU_CYCLE_1)
	s_and_not1_b32 vcc_lo, exec_lo, s35
	s_cbranch_vccnz .LBB47_629
; %bb.628:
	global_load_b32 v1, v[10:11], off
	s_wait_loadcnt 0x0
	v_cvt_i16_f16_e32 v4, v1
.LBB47_629:
	s_mov_b32 s35, 0
.LBB47_630:
	s_delay_alu instid0(SALU_CYCLE_1)
	s_and_not1_b32 vcc_lo, exec_lo, s35
	s_cbranch_vccnz .LBB47_641
; %bb.631:
	s_cmp_lt_i32 s0, 6
	s_cbranch_scc1 .LBB47_634
; %bb.632:
	s_cmp_gt_i32 s0, 6
	s_cbranch_scc0 .LBB47_635
; %bb.633:
	s_wait_loadcnt 0x0
	global_load_b64 v[4:5], v[10:11], off
	s_mov_b32 s35, 0
	s_wait_loadcnt 0x0
	v_cvt_i32_f64_e32 v4, v[4:5]
	s_branch .LBB47_636
.LBB47_634:
	s_mov_b32 s35, -1
                                        ; implicit-def: $vgpr4
	s_branch .LBB47_639
.LBB47_635:
	s_mov_b32 s35, -1
                                        ; implicit-def: $vgpr4
.LBB47_636:
	s_delay_alu instid0(SALU_CYCLE_1)
	s_and_not1_b32 vcc_lo, exec_lo, s35
	s_cbranch_vccnz .LBB47_638
; %bb.637:
	global_load_b32 v1, v[10:11], off
	s_wait_loadcnt 0x0
	v_cvt_i32_f32_e32 v4, v1
.LBB47_638:
	s_mov_b32 s35, 0
.LBB47_639:
	s_delay_alu instid0(SALU_CYCLE_1)
	s_and_not1_b32 vcc_lo, exec_lo, s35
	s_cbranch_vccnz .LBB47_641
; %bb.640:
	global_load_u16 v1, v[10:11], off
	s_wait_loadcnt 0x0
	v_cvt_i16_f16_e32 v4, v1
.LBB47_641:
	s_mov_b32 s35, 0
.LBB47_642:
	s_delay_alu instid0(SALU_CYCLE_1)
	s_and_not1_b32 vcc_lo, exec_lo, s35
	s_cbranch_vccnz .LBB47_662
; %bb.643:
	s_cmp_lt_i32 s0, 2
	s_cbranch_scc1 .LBB47_647
; %bb.644:
	s_cmp_lt_i32 s0, 3
	s_cbranch_scc1 .LBB47_648
; %bb.645:
	s_cmp_gt_i32 s0, 3
	s_cbranch_scc0 .LBB47_649
; %bb.646:
	s_wait_loadcnt 0x0
	global_load_b64 v[4:5], v[10:11], off
	s_mov_b32 s35, 0
	s_branch .LBB47_650
.LBB47_647:
	s_mov_b32 s35, -1
                                        ; implicit-def: $vgpr4
	s_branch .LBB47_656
.LBB47_648:
	s_mov_b32 s35, -1
                                        ; implicit-def: $vgpr4
	s_branch .LBB47_653
.LBB47_649:
	s_mov_b32 s35, -1
                                        ; implicit-def: $vgpr4
.LBB47_650:
	s_delay_alu instid0(SALU_CYCLE_1)
	s_and_not1_b32 vcc_lo, exec_lo, s35
	s_cbranch_vccnz .LBB47_652
; %bb.651:
	s_wait_loadcnt 0x0
	global_load_b32 v4, v[10:11], off
.LBB47_652:
	s_mov_b32 s35, 0
.LBB47_653:
	s_delay_alu instid0(SALU_CYCLE_1)
	s_and_not1_b32 vcc_lo, exec_lo, s35
	s_cbranch_vccnz .LBB47_655
; %bb.654:
	s_wait_loadcnt 0x0
	global_load_u16 v4, v[10:11], off
.LBB47_655:
	s_mov_b32 s35, 0
.LBB47_656:
	s_delay_alu instid0(SALU_CYCLE_1)
	s_and_not1_b32 vcc_lo, exec_lo, s35
	s_cbranch_vccnz .LBB47_662
; %bb.657:
	s_cmp_gt_i32 s0, 0
	s_mov_b32 s0, 0
	s_cbranch_scc0 .LBB47_659
; %bb.658:
	s_wait_loadcnt 0x0
	global_load_u8 v4, v[10:11], off
	s_branch .LBB47_660
.LBB47_659:
	s_mov_b32 s0, -1
                                        ; implicit-def: $vgpr4
.LBB47_660:
	s_delay_alu instid0(SALU_CYCLE_1)
	s_and_not1_b32 vcc_lo, exec_lo, s0
	s_cbranch_vccnz .LBB47_662
; %bb.661:
	s_wait_loadcnt 0x0
	global_load_u8 v4, v[10:11], off
.LBB47_662:
	s_branch .LBB47_536
.LBB47_663:
	s_mov_b32 s37, 0
	s_mov_b32 s0, s45
	;; [unrolled: 1-line block ×4, first 2 shown]
	s_branch .LBB47_1031
.LBB47_664:
	s_and_not1_saveexec_b32 s50, s50
	s_cbranch_execz .LBB47_420
.LBB47_665:
	v_add_f32_e64 v5, 0x46000000, |v4|
	s_and_not1_b32 s49, s49, exec_lo
	s_delay_alu instid0(VALU_DEP_1) | instskip(NEXT) | instid1(VALU_DEP_1)
	v_and_b32_e32 v5, 0xff, v5
	v_cmp_ne_u32_e32 vcc_lo, 0, v5
	s_and_b32 s52, vcc_lo, exec_lo
	s_delay_alu instid0(SALU_CYCLE_1)
	s_or_b32 s49, s49, s52
	s_or_b32 exec_lo, exec_lo, s50
	v_mov_b32_e32 v6, 0
	s_and_saveexec_b32 s50, s49
	s_cbranch_execnz .LBB47_421
	s_branch .LBB47_422
.LBB47_666:
	s_mov_b32 s35, -1
	s_mov_b32 s37, 0
.LBB47_667:
                                        ; implicit-def: $vgpr8
.LBB47_668:
	s_and_b32 vcc_lo, exec_lo, s52
	s_cbranch_vccz .LBB47_672
; %bb.669:
	s_cmp_eq_u32 s36, 44
	s_cbranch_scc0 .LBB47_671
; %bb.670:
	global_load_u8 v1, v[10:11], off
	s_mov_b32 s35, 0
	s_mov_b32 s37, -1
	s_wait_loadcnt 0x0
	v_lshlrev_b32_e32 v3, 23, v1
	v_cmp_ne_u32_e32 vcc_lo, 0, v1
	s_delay_alu instid0(VALU_DEP_2) | instskip(NEXT) | instid1(VALU_DEP_1)
	v_cvt_i32_f32_e32 v3, v3
	v_cndmask_b32_e32 v8, 0, v3, vcc_lo
	s_branch .LBB47_672
.LBB47_671:
	s_mov_b32 s35, -1
                                        ; implicit-def: $vgpr8
.LBB47_672:
	s_mov_b32 s52, 0
.LBB47_673:
	s_delay_alu instid0(SALU_CYCLE_1)
	s_and_b32 vcc_lo, exec_lo, s52
	s_cbranch_vccz .LBB47_677
; %bb.674:
	s_cmp_eq_u32 s36, 29
	s_cbranch_scc0 .LBB47_676
; %bb.675:
	global_load_b64 v[8:9], v[10:11], off
	s_mov_b32 s37, -1
	s_mov_b32 s35, 0
	s_branch .LBB47_677
.LBB47_676:
	s_mov_b32 s35, -1
                                        ; implicit-def: $vgpr8
.LBB47_677:
	s_mov_b32 s52, 0
.LBB47_678:
	s_delay_alu instid0(SALU_CYCLE_1)
	s_and_b32 vcc_lo, exec_lo, s52
	s_cbranch_vccz .LBB47_694
; %bb.679:
	s_cmp_lt_i32 s36, 27
	s_cbranch_scc1 .LBB47_682
; %bb.680:
	s_cmp_gt_i32 s36, 27
	s_cbranch_scc0 .LBB47_683
; %bb.681:
	s_wait_loadcnt 0x0
	global_load_b32 v8, v[10:11], off
	s_mov_b32 s37, 0
	s_branch .LBB47_684
.LBB47_682:
	s_mov_b32 s37, -1
                                        ; implicit-def: $vgpr8
	s_branch .LBB47_687
.LBB47_683:
	s_mov_b32 s37, -1
                                        ; implicit-def: $vgpr8
.LBB47_684:
	s_delay_alu instid0(SALU_CYCLE_1)
	s_and_not1_b32 vcc_lo, exec_lo, s37
	s_cbranch_vccnz .LBB47_686
; %bb.685:
	s_wait_loadcnt 0x0
	global_load_u16 v8, v[10:11], off
.LBB47_686:
	s_mov_b32 s37, 0
.LBB47_687:
	s_delay_alu instid0(SALU_CYCLE_1)
	s_and_not1_b32 vcc_lo, exec_lo, s37
	s_cbranch_vccnz .LBB47_693
; %bb.688:
	global_load_u8 v1, v[10:11], off
	s_mov_b32 s52, 0
	s_mov_b32 s37, exec_lo
	s_wait_loadcnt 0x0
	v_cmpx_lt_i16_e32 0x7f, v1
	s_xor_b32 s37, exec_lo, s37
	s_cbranch_execz .LBB47_705
; %bb.689:
	v_cmp_ne_u16_e32 vcc_lo, 0x80, v1
	s_and_b32 s52, vcc_lo, exec_lo
	s_and_not1_saveexec_b32 s37, s37
	s_cbranch_execnz .LBB47_706
.LBB47_690:
	s_or_b32 exec_lo, exec_lo, s37
	v_mov_b32_e32 v8, 0
	s_and_saveexec_b32 s37, s52
	s_cbranch_execz .LBB47_692
.LBB47_691:
	v_and_b32_e32 v3, 0xffff, v1
	s_delay_alu instid0(VALU_DEP_1) | instskip(SKIP_1) | instid1(VALU_DEP_2)
	v_dual_lshlrev_b32 v1, 24, v1 :: v_dual_bitop2_b32 v5, 7, v3 bitop3:0x40
	v_bfe_u32 v9, v3, 3, 4
	v_and_b32_e32 v1, 0x80000000, v1
	s_delay_alu instid0(VALU_DEP_3) | instskip(NEXT) | instid1(VALU_DEP_3)
	v_clz_i32_u32_e32 v7, v5
	v_cmp_eq_u32_e32 vcc_lo, 0, v9
	s_delay_alu instid0(VALU_DEP_2) | instskip(NEXT) | instid1(VALU_DEP_1)
	v_min_u32_e32 v7, 32, v7
	v_subrev_nc_u32_e32 v8, 28, v7
	v_sub_nc_u32_e32 v7, 29, v7
	s_delay_alu instid0(VALU_DEP_2) | instskip(NEXT) | instid1(VALU_DEP_2)
	v_lshlrev_b32_e32 v3, v8, v3
	v_cndmask_b32_e32 v7, v9, v7, vcc_lo
	s_delay_alu instid0(VALU_DEP_2) | instskip(NEXT) | instid1(VALU_DEP_1)
	v_and_b32_e32 v3, 7, v3
	v_cndmask_b32_e32 v3, v5, v3, vcc_lo
	s_delay_alu instid0(VALU_DEP_3) | instskip(NEXT) | instid1(VALU_DEP_2)
	v_lshl_add_u32 v5, v7, 23, 0x3b800000
	v_lshlrev_b32_e32 v3, 20, v3
	s_delay_alu instid0(VALU_DEP_1) | instskip(NEXT) | instid1(VALU_DEP_1)
	v_or3_b32 v1, v1, v5, v3
	v_cvt_i32_f32_e32 v8, v1
.LBB47_692:
	s_or_b32 exec_lo, exec_lo, s37
.LBB47_693:
	s_mov_b32 s37, -1
.LBB47_694:
	s_mov_b32 s52, 0
.LBB47_695:
	s_delay_alu instid0(SALU_CYCLE_1)
	s_and_b32 vcc_lo, exec_lo, s52
	s_cbranch_vccz .LBB47_728
; %bb.696:
	s_cmp_gt_i32 s36, 22
	s_cbranch_scc0 .LBB47_704
; %bb.697:
	s_cmp_lt_i32 s36, 24
	s_cbranch_scc1 .LBB47_707
; %bb.698:
	s_cmp_gt_i32 s36, 24
	s_cbranch_scc0 .LBB47_708
; %bb.699:
	global_load_u8 v1, v[10:11], off
	s_mov_b32 s52, 0
	s_mov_b32 s37, exec_lo
	s_wait_loadcnt 0x0
	v_cmpx_lt_i16_e32 0x7f, v1
	s_xor_b32 s37, exec_lo, s37
	s_cbranch_execz .LBB47_720
; %bb.700:
	v_cmp_ne_u16_e32 vcc_lo, 0x80, v1
	s_and_b32 s52, vcc_lo, exec_lo
	s_and_not1_saveexec_b32 s37, s37
	s_cbranch_execnz .LBB47_721
.LBB47_701:
	s_or_b32 exec_lo, exec_lo, s37
	v_mov_b32_e32 v8, 0
	s_and_saveexec_b32 s37, s52
	s_cbranch_execz .LBB47_703
.LBB47_702:
	v_and_b32_e32 v3, 0xffff, v1
	s_delay_alu instid0(VALU_DEP_1) | instskip(SKIP_1) | instid1(VALU_DEP_2)
	v_dual_lshlrev_b32 v1, 24, v1 :: v_dual_bitop2_b32 v5, 3, v3 bitop3:0x40
	v_bfe_u32 v9, v3, 2, 5
	v_and_b32_e32 v1, 0x80000000, v1
	s_delay_alu instid0(VALU_DEP_3) | instskip(NEXT) | instid1(VALU_DEP_3)
	v_clz_i32_u32_e32 v7, v5
	v_cmp_eq_u32_e32 vcc_lo, 0, v9
	s_delay_alu instid0(VALU_DEP_2) | instskip(NEXT) | instid1(VALU_DEP_1)
	v_min_u32_e32 v7, 32, v7
	v_subrev_nc_u32_e32 v8, 29, v7
	v_sub_nc_u32_e32 v7, 30, v7
	s_delay_alu instid0(VALU_DEP_2) | instskip(NEXT) | instid1(VALU_DEP_2)
	v_lshlrev_b32_e32 v3, v8, v3
	v_cndmask_b32_e32 v7, v9, v7, vcc_lo
	s_delay_alu instid0(VALU_DEP_2) | instskip(NEXT) | instid1(VALU_DEP_1)
	v_and_b32_e32 v3, 3, v3
	v_cndmask_b32_e32 v3, v5, v3, vcc_lo
	s_delay_alu instid0(VALU_DEP_3) | instskip(NEXT) | instid1(VALU_DEP_2)
	v_lshl_add_u32 v5, v7, 23, 0x37800000
	v_lshlrev_b32_e32 v3, 21, v3
	s_delay_alu instid0(VALU_DEP_1) | instskip(NEXT) | instid1(VALU_DEP_1)
	v_or3_b32 v1, v1, v5, v3
	v_cvt_i32_f32_e32 v8, v1
.LBB47_703:
	s_or_b32 exec_lo, exec_lo, s37
	s_mov_b32 s37, 0
	s_branch .LBB47_709
.LBB47_704:
	s_mov_b32 s52, -1
                                        ; implicit-def: $vgpr8
	s_branch .LBB47_715
.LBB47_705:
	s_and_not1_saveexec_b32 s37, s37
	s_cbranch_execz .LBB47_690
.LBB47_706:
	v_cmp_ne_u16_e32 vcc_lo, 0, v1
	s_and_not1_b32 s52, s52, exec_lo
	s_and_b32 s53, vcc_lo, exec_lo
	s_delay_alu instid0(SALU_CYCLE_1)
	s_or_b32 s52, s52, s53
	s_or_b32 exec_lo, exec_lo, s37
	v_mov_b32_e32 v8, 0
	s_and_saveexec_b32 s37, s52
	s_cbranch_execnz .LBB47_691
	s_branch .LBB47_692
.LBB47_707:
	s_mov_b32 s37, -1
                                        ; implicit-def: $vgpr8
	s_branch .LBB47_712
.LBB47_708:
	s_mov_b32 s37, -1
                                        ; implicit-def: $vgpr8
.LBB47_709:
	s_delay_alu instid0(SALU_CYCLE_1)
	s_and_b32 vcc_lo, exec_lo, s37
	s_cbranch_vccz .LBB47_711
; %bb.710:
	global_load_u8 v1, v[10:11], off
	s_wait_loadcnt 0x0
	v_lshlrev_b32_e32 v1, 24, v1
	s_delay_alu instid0(VALU_DEP_1) | instskip(NEXT) | instid1(VALU_DEP_1)
	v_and_b32_e32 v3, 0x7f000000, v1
	v_clz_i32_u32_e32 v5, v3
	v_cmp_ne_u32_e32 vcc_lo, 0, v3
	v_add_nc_u32_e32 v8, 0x1000000, v3
	s_delay_alu instid0(VALU_DEP_3) | instskip(NEXT) | instid1(VALU_DEP_1)
	v_min_u32_e32 v5, 32, v5
	v_sub_nc_u32_e64 v5, v5, 4 clamp
	s_delay_alu instid0(VALU_DEP_1) | instskip(NEXT) | instid1(VALU_DEP_1)
	v_dual_lshlrev_b32 v7, v5, v3 :: v_dual_lshlrev_b32 v5, 23, v5
	v_lshrrev_b32_e32 v7, 4, v7
	s_delay_alu instid0(VALU_DEP_1) | instskip(NEXT) | instid1(VALU_DEP_1)
	v_dual_sub_nc_u32 v5, v7, v5 :: v_dual_ashrrev_i32 v7, 8, v8
	v_add_nc_u32_e32 v5, 0x3c000000, v5
	s_delay_alu instid0(VALU_DEP_1) | instskip(NEXT) | instid1(VALU_DEP_1)
	v_and_or_b32 v5, 0x7f800000, v7, v5
	v_cndmask_b32_e32 v3, 0, v5, vcc_lo
	s_delay_alu instid0(VALU_DEP_1) | instskip(NEXT) | instid1(VALU_DEP_1)
	v_and_or_b32 v1, 0x80000000, v1, v3
	v_cvt_i32_f32_e32 v8, v1
.LBB47_711:
	s_mov_b32 s37, 0
.LBB47_712:
	s_delay_alu instid0(SALU_CYCLE_1)
	s_and_not1_b32 vcc_lo, exec_lo, s37
	s_cbranch_vccnz .LBB47_714
; %bb.713:
	global_load_u8 v1, v[10:11], off
	s_wait_loadcnt 0x0
	v_lshlrev_b32_e32 v3, 25, v1
	v_lshlrev_b16 v1, 8, v1
	s_delay_alu instid0(VALU_DEP_1) | instskip(SKIP_1) | instid1(VALU_DEP_2)
	v_and_or_b32 v7, 0x7f00, v1, 0.5
	v_bfe_i32 v1, v1, 0, 16
	v_add_f32_e32 v7, -0.5, v7
	v_lshrrev_b32_e32 v5, 4, v3
	v_cmp_gt_u32_e32 vcc_lo, 0x8000000, v3
	s_delay_alu instid0(VALU_DEP_2) | instskip(NEXT) | instid1(VALU_DEP_1)
	v_or_b32_e32 v5, 0x70000000, v5
	v_mul_f32_e32 v5, 0x7800000, v5
	s_delay_alu instid0(VALU_DEP_1) | instskip(NEXT) | instid1(VALU_DEP_1)
	v_cndmask_b32_e32 v3, v5, v7, vcc_lo
	v_and_or_b32 v1, 0x80000000, v1, v3
	s_delay_alu instid0(VALU_DEP_1)
	v_cvt_i32_f32_e32 v8, v1
.LBB47_714:
	s_mov_b32 s52, 0
	s_mov_b32 s37, -1
.LBB47_715:
	s_and_not1_b32 vcc_lo, exec_lo, s52
	s_cbranch_vccnz .LBB47_728
; %bb.716:
	s_cmp_gt_i32 s36, 14
	s_cbranch_scc0 .LBB47_719
; %bb.717:
	s_cmp_eq_u32 s36, 15
	s_cbranch_scc0 .LBB47_722
; %bb.718:
	global_load_u16 v1, v[10:11], off
	s_mov_b32 s37, -1
	s_mov_b32 s35, 0
	s_wait_loadcnt 0x0
	v_lshlrev_b32_e32 v1, 16, v1
	s_delay_alu instid0(VALU_DEP_1)
	v_cvt_i32_f32_e32 v8, v1
	s_branch .LBB47_723
.LBB47_719:
	s_mov_b32 s52, -1
                                        ; implicit-def: $vgpr8
	s_branch .LBB47_724
.LBB47_720:
	s_and_not1_saveexec_b32 s37, s37
	s_cbranch_execz .LBB47_701
.LBB47_721:
	v_cmp_ne_u16_e32 vcc_lo, 0, v1
	s_and_not1_b32 s52, s52, exec_lo
	s_and_b32 s53, vcc_lo, exec_lo
	s_delay_alu instid0(SALU_CYCLE_1)
	s_or_b32 s52, s52, s53
	s_or_b32 exec_lo, exec_lo, s37
	v_mov_b32_e32 v8, 0
	s_and_saveexec_b32 s37, s52
	s_cbranch_execnz .LBB47_702
	s_branch .LBB47_703
.LBB47_722:
	s_mov_b32 s35, -1
                                        ; implicit-def: $vgpr8
.LBB47_723:
	s_mov_b32 s52, 0
.LBB47_724:
	s_delay_alu instid0(SALU_CYCLE_1)
	s_and_b32 vcc_lo, exec_lo, s52
	s_cbranch_vccz .LBB47_728
; %bb.725:
	s_cmp_eq_u32 s36, 11
	s_cbranch_scc0 .LBB47_727
; %bb.726:
	global_load_u8 v1, v[10:11], off
	s_mov_b32 s35, 0
	s_mov_b32 s37, -1
	s_wait_loadcnt 0x0
	v_cmp_ne_u16_e32 vcc_lo, 0, v1
	v_cndmask_b32_e64 v8, 0, 1, vcc_lo
	s_branch .LBB47_728
.LBB47_727:
	s_mov_b32 s35, -1
                                        ; implicit-def: $vgpr8
.LBB47_728:
	s_mov_b32 s36, 0
.LBB47_729:
	s_delay_alu instid0(SALU_CYCLE_1)
	s_and_b32 vcc_lo, exec_lo, s36
	s_cbranch_vccz .LBB47_778
; %bb.730:
	s_and_b32 s0, 0xffff, s0
	s_delay_alu instid0(SALU_CYCLE_1)
	s_cmp_lt_i32 s0, 5
	s_cbranch_scc1 .LBB47_735
; %bb.731:
	s_cmp_lt_i32 s0, 8
	s_cbranch_scc1 .LBB47_736
; %bb.732:
	s_cmp_lt_i32 s0, 9
	s_cbranch_scc1 .LBB47_737
; %bb.733:
	s_cmp_gt_i32 s0, 9
	s_cbranch_scc0 .LBB47_738
; %bb.734:
	s_wait_loadcnt 0x0
	global_load_b64 v[8:9], v[10:11], off
	s_mov_b32 s36, 0
	s_wait_loadcnt 0x0
	v_cvt_i32_f64_e32 v8, v[8:9]
	s_branch .LBB47_739
.LBB47_735:
	s_mov_b32 s36, -1
                                        ; implicit-def: $vgpr8
	s_branch .LBB47_757
.LBB47_736:
	s_mov_b32 s36, -1
                                        ; implicit-def: $vgpr8
	s_branch .LBB47_745
.LBB47_737:
	s_mov_b32 s36, -1
                                        ; implicit-def: $vgpr8
	s_branch .LBB47_742
.LBB47_738:
	s_mov_b32 s36, -1
                                        ; implicit-def: $vgpr8
.LBB47_739:
	s_delay_alu instid0(SALU_CYCLE_1)
	s_and_not1_b32 vcc_lo, exec_lo, s36
	s_cbranch_vccnz .LBB47_741
; %bb.740:
	global_load_b32 v1, v[10:11], off
	s_wait_loadcnt 0x0
	v_cvt_i32_f32_e32 v8, v1
.LBB47_741:
	s_mov_b32 s36, 0
.LBB47_742:
	s_delay_alu instid0(SALU_CYCLE_1)
	s_and_not1_b32 vcc_lo, exec_lo, s36
	s_cbranch_vccnz .LBB47_744
; %bb.743:
	global_load_b32 v1, v[10:11], off
	s_wait_loadcnt 0x0
	v_cvt_i16_f16_e32 v8, v1
.LBB47_744:
	s_mov_b32 s36, 0
.LBB47_745:
	s_delay_alu instid0(SALU_CYCLE_1)
	s_and_not1_b32 vcc_lo, exec_lo, s36
	s_cbranch_vccnz .LBB47_756
; %bb.746:
	s_cmp_lt_i32 s0, 6
	s_cbranch_scc1 .LBB47_749
; %bb.747:
	s_cmp_gt_i32 s0, 6
	s_cbranch_scc0 .LBB47_750
; %bb.748:
	s_wait_loadcnt 0x0
	global_load_b64 v[8:9], v[10:11], off
	s_mov_b32 s36, 0
	s_wait_loadcnt 0x0
	v_cvt_i32_f64_e32 v8, v[8:9]
	s_branch .LBB47_751
.LBB47_749:
	s_mov_b32 s36, -1
                                        ; implicit-def: $vgpr8
	s_branch .LBB47_754
.LBB47_750:
	s_mov_b32 s36, -1
                                        ; implicit-def: $vgpr8
.LBB47_751:
	s_delay_alu instid0(SALU_CYCLE_1)
	s_and_not1_b32 vcc_lo, exec_lo, s36
	s_cbranch_vccnz .LBB47_753
; %bb.752:
	global_load_b32 v1, v[10:11], off
	s_wait_loadcnt 0x0
	v_cvt_i32_f32_e32 v8, v1
.LBB47_753:
	s_mov_b32 s36, 0
.LBB47_754:
	s_delay_alu instid0(SALU_CYCLE_1)
	s_and_not1_b32 vcc_lo, exec_lo, s36
	s_cbranch_vccnz .LBB47_756
; %bb.755:
	global_load_u16 v1, v[10:11], off
	s_wait_loadcnt 0x0
	v_cvt_i16_f16_e32 v8, v1
.LBB47_756:
	s_mov_b32 s36, 0
.LBB47_757:
	s_delay_alu instid0(SALU_CYCLE_1)
	s_and_not1_b32 vcc_lo, exec_lo, s36
	s_cbranch_vccnz .LBB47_777
; %bb.758:
	s_cmp_lt_i32 s0, 2
	s_cbranch_scc1 .LBB47_762
; %bb.759:
	s_cmp_lt_i32 s0, 3
	s_cbranch_scc1 .LBB47_763
; %bb.760:
	s_cmp_gt_i32 s0, 3
	s_cbranch_scc0 .LBB47_764
; %bb.761:
	s_wait_loadcnt 0x0
	global_load_b64 v[8:9], v[10:11], off
	s_mov_b32 s36, 0
	s_branch .LBB47_765
.LBB47_762:
	s_mov_b32 s36, -1
                                        ; implicit-def: $vgpr8
	s_branch .LBB47_771
.LBB47_763:
	s_mov_b32 s36, -1
                                        ; implicit-def: $vgpr8
	s_branch .LBB47_768
.LBB47_764:
	s_mov_b32 s36, -1
                                        ; implicit-def: $vgpr8
.LBB47_765:
	s_delay_alu instid0(SALU_CYCLE_1)
	s_and_not1_b32 vcc_lo, exec_lo, s36
	s_cbranch_vccnz .LBB47_767
; %bb.766:
	s_wait_loadcnt 0x0
	global_load_b32 v8, v[10:11], off
.LBB47_767:
	s_mov_b32 s36, 0
.LBB47_768:
	s_delay_alu instid0(SALU_CYCLE_1)
	s_and_not1_b32 vcc_lo, exec_lo, s36
	s_cbranch_vccnz .LBB47_770
; %bb.769:
	s_wait_loadcnt 0x0
	global_load_u16 v8, v[10:11], off
.LBB47_770:
	s_mov_b32 s36, 0
.LBB47_771:
	s_delay_alu instid0(SALU_CYCLE_1)
	s_and_not1_b32 vcc_lo, exec_lo, s36
	s_cbranch_vccnz .LBB47_777
; %bb.772:
	s_cmp_gt_i32 s0, 0
	s_mov_b32 s0, 0
	s_cbranch_scc0 .LBB47_774
; %bb.773:
	s_wait_loadcnt 0x0
	global_load_u8 v8, v[10:11], off
	s_branch .LBB47_775
.LBB47_774:
	s_mov_b32 s0, -1
                                        ; implicit-def: $vgpr8
.LBB47_775:
	s_delay_alu instid0(SALU_CYCLE_1)
	s_and_not1_b32 vcc_lo, exec_lo, s0
	s_cbranch_vccnz .LBB47_777
; %bb.776:
	s_wait_loadcnt 0x0
	global_load_u8 v8, v[10:11], off
.LBB47_777:
	s_mov_b32 s37, -1
.LBB47_778:
	s_delay_alu instid0(SALU_CYCLE_1)
	s_and_not1_b32 vcc_lo, exec_lo, s37
	s_cbranch_vccnz .LBB47_786
; %bb.779:
	v_mov_b32_e32 v7, 0
	s_and_b32 s0, s29, 0xff
	s_delay_alu instid0(SALU_CYCLE_1) | instskip(NEXT) | instid1(VALU_DEP_1)
	s_cmp_lt_i32 s0, 11
	v_add_nc_u64_e32 v[6:7], s[10:11], v[6:7]
	s_cbranch_scc1 .LBB47_787
; %bb.780:
	s_and_b32 s37, 0xffff, s0
	s_delay_alu instid0(SALU_CYCLE_1)
	s_cmp_gt_i32 s37, 25
	s_cbranch_scc0 .LBB47_788
; %bb.781:
	s_cmp_gt_i32 s37, 28
	s_cbranch_scc0 .LBB47_789
; %bb.782:
	;; [unrolled: 3-line block ×4, first 2 shown]
	s_cmp_eq_u32 s37, 46
	s_mov_b32 s53, 0
	s_cbranch_scc0 .LBB47_794
; %bb.785:
	global_load_b32 v1, v[6:7], off
	s_mov_b32 s52, -1
	s_mov_b32 s36, 0
	s_wait_loadcnt 0x0
	v_lshlrev_b32_e32 v1, 16, v1
	s_wait_xcnt 0x1
	s_delay_alu instid0(VALU_DEP_1)
	v_cvt_i32_f32_e32 v10, v1
	s_branch .LBB47_796
.LBB47_786:
	s_mov_b32 s37, 0
	s_mov_b32 s0, s45
	;; [unrolled: 1-line block ×3, first 2 shown]
	s_branch .LBB47_1031
.LBB47_787:
	s_mov_b32 s37, -1
	s_mov_b32 s52, 0
	s_mov_b32 s36, s48
                                        ; implicit-def: $vgpr10
	s_branch .LBB47_857
.LBB47_788:
	s_mov_b32 s53, -1
	s_mov_b32 s52, 0
	s_mov_b32 s36, s48
                                        ; implicit-def: $vgpr10
	s_branch .LBB47_823
.LBB47_789:
	s_mov_b32 s53, -1
	s_mov_b32 s52, 0
	s_mov_b32 s36, s48
                                        ; implicit-def: $vgpr10
	s_branch .LBB47_806
.LBB47_790:
	s_mov_b32 s53, -1
	s_mov_b32 s52, 0
	s_mov_b32 s36, s48
                                        ; implicit-def: $vgpr10
	s_branch .LBB47_801
.LBB47_791:
	s_mov_b32 s53, -1
	s_mov_b32 s52, 0
	s_mov_b32 s36, s48
	s_branch .LBB47_795
.LBB47_792:
	s_and_not1_saveexec_b32 s50, s50
	s_cbranch_execz .LBB47_433
.LBB47_793:
	v_add_f32_e64 v5, 0x42800000, |v4|
	s_and_not1_b32 s49, s49, exec_lo
	s_delay_alu instid0(VALU_DEP_1) | instskip(NEXT) | instid1(VALU_DEP_1)
	v_and_b32_e32 v5, 0xff, v5
	v_cmp_ne_u32_e32 vcc_lo, 0, v5
	s_and_b32 s52, vcc_lo, exec_lo
	s_delay_alu instid0(SALU_CYCLE_1)
	s_or_b32 s49, s49, s52
	s_or_b32 exec_lo, exec_lo, s50
	v_mov_b32_e32 v6, 0
	s_and_saveexec_b32 s50, s49
	s_cbranch_execnz .LBB47_434
	s_branch .LBB47_435
.LBB47_794:
	s_mov_b32 s36, -1
	s_mov_b32 s52, 0
.LBB47_795:
                                        ; implicit-def: $vgpr10
.LBB47_796:
	s_and_b32 vcc_lo, exec_lo, s53
	s_cbranch_vccz .LBB47_800
; %bb.797:
	s_cmp_eq_u32 s37, 44
	s_cbranch_scc0 .LBB47_799
; %bb.798:
	global_load_u8 v1, v[6:7], off
	s_mov_b32 s36, 0
	s_mov_b32 s52, -1
	s_wait_loadcnt 0x0
	v_lshlrev_b32_e32 v3, 23, v1
	v_cmp_ne_u32_e32 vcc_lo, 0, v1
	s_delay_alu instid0(VALU_DEP_2) | instskip(SKIP_1) | instid1(VALU_DEP_1)
	v_cvt_i32_f32_e32 v3, v3
	s_wait_xcnt 0x1
	v_cndmask_b32_e32 v10, 0, v3, vcc_lo
	s_branch .LBB47_800
.LBB47_799:
	s_mov_b32 s36, -1
                                        ; implicit-def: $vgpr10
.LBB47_800:
	s_mov_b32 s53, 0
.LBB47_801:
	s_delay_alu instid0(SALU_CYCLE_1)
	s_and_b32 vcc_lo, exec_lo, s53
	s_cbranch_vccz .LBB47_805
; %bb.802:
	s_cmp_eq_u32 s37, 29
	s_cbranch_scc0 .LBB47_804
; %bb.803:
	global_load_b64 v[10:11], v[6:7], off
	s_mov_b32 s52, -1
	s_mov_b32 s36, 0
	s_branch .LBB47_805
.LBB47_804:
	s_mov_b32 s36, -1
                                        ; implicit-def: $vgpr10
.LBB47_805:
	s_mov_b32 s53, 0
.LBB47_806:
	s_delay_alu instid0(SALU_CYCLE_1)
	s_and_b32 vcc_lo, exec_lo, s53
	s_cbranch_vccz .LBB47_822
; %bb.807:
	s_cmp_lt_i32 s37, 27
	s_cbranch_scc1 .LBB47_810
; %bb.808:
	s_cmp_gt_i32 s37, 27
	s_cbranch_scc0 .LBB47_811
; %bb.809:
	s_wait_loadcnt 0x0
	global_load_b32 v10, v[6:7], off
	s_mov_b32 s52, 0
	s_branch .LBB47_812
.LBB47_810:
	s_mov_b32 s52, -1
                                        ; implicit-def: $vgpr10
	s_branch .LBB47_815
.LBB47_811:
	s_mov_b32 s52, -1
                                        ; implicit-def: $vgpr10
.LBB47_812:
	s_delay_alu instid0(SALU_CYCLE_1)
	s_and_not1_b32 vcc_lo, exec_lo, s52
	s_cbranch_vccnz .LBB47_814
; %bb.813:
	s_wait_loadcnt 0x0
	global_load_u16 v10, v[6:7], off
.LBB47_814:
	s_mov_b32 s52, 0
.LBB47_815:
	s_delay_alu instid0(SALU_CYCLE_1)
	s_and_not1_b32 vcc_lo, exec_lo, s52
	s_cbranch_vccnz .LBB47_821
; %bb.816:
	global_load_u8 v1, v[6:7], off
	s_mov_b32 s53, 0
	s_mov_b32 s52, exec_lo
	s_wait_loadcnt 0x0
	v_cmpx_lt_i16_e32 0x7f, v1
	s_xor_b32 s52, exec_lo, s52
	s_cbranch_execz .LBB47_833
; %bb.817:
	v_cmp_ne_u16_e32 vcc_lo, 0x80, v1
	s_and_b32 s53, vcc_lo, exec_lo
	s_and_not1_saveexec_b32 s52, s52
	s_cbranch_execnz .LBB47_834
.LBB47_818:
	s_or_b32 exec_lo, exec_lo, s52
	v_mov_b32_e32 v10, 0
	s_and_saveexec_b32 s52, s53
	s_cbranch_execz .LBB47_820
.LBB47_819:
	v_and_b32_e32 v3, 0xffff, v1
	s_delay_alu instid0(VALU_DEP_1) | instskip(SKIP_1) | instid1(VALU_DEP_2)
	v_and_b32_e32 v5, 7, v3
	v_bfe_u32 v11, v3, 3, 4
	v_clz_i32_u32_e32 v9, v5
	s_delay_alu instid0(VALU_DEP_2) | instskip(NEXT) | instid1(VALU_DEP_2)
	v_cmp_eq_u32_e32 vcc_lo, 0, v11
	v_min_u32_e32 v9, 32, v9
	s_delay_alu instid0(VALU_DEP_1) | instskip(NEXT) | instid1(VALU_DEP_1)
	v_subrev_nc_u32_e32 v10, 28, v9
	v_dual_lshlrev_b32 v3, v10, v3 :: v_dual_sub_nc_u32 v9, 29, v9
	s_delay_alu instid0(VALU_DEP_1) | instskip(NEXT) | instid1(VALU_DEP_1)
	v_dual_lshlrev_b32 v1, 24, v1 :: v_dual_bitop2_b32 v3, 7, v3 bitop3:0x40
	v_dual_cndmask_b32 v3, v5, v3, vcc_lo :: v_dual_cndmask_b32 v9, v11, v9, vcc_lo
	s_delay_alu instid0(VALU_DEP_2) | instskip(NEXT) | instid1(VALU_DEP_2)
	v_and_b32_e32 v1, 0x80000000, v1
	v_lshlrev_b32_e32 v3, 20, v3
	s_delay_alu instid0(VALU_DEP_3) | instskip(NEXT) | instid1(VALU_DEP_1)
	v_lshl_add_u32 v5, v9, 23, 0x3b800000
	v_or3_b32 v1, v1, v5, v3
	s_delay_alu instid0(VALU_DEP_1)
	v_cvt_i32_f32_e32 v10, v1
.LBB47_820:
	s_or_b32 exec_lo, exec_lo, s52
.LBB47_821:
	s_mov_b32 s52, -1
.LBB47_822:
	s_mov_b32 s53, 0
.LBB47_823:
	s_delay_alu instid0(SALU_CYCLE_1)
	s_and_b32 vcc_lo, exec_lo, s53
	s_cbranch_vccz .LBB47_856
; %bb.824:
	s_cmp_gt_i32 s37, 22
	s_cbranch_scc0 .LBB47_832
; %bb.825:
	s_cmp_lt_i32 s37, 24
	s_cbranch_scc1 .LBB47_835
; %bb.826:
	s_cmp_gt_i32 s37, 24
	s_cbranch_scc0 .LBB47_836
; %bb.827:
	global_load_u8 v1, v[6:7], off
	s_mov_b32 s53, 0
	s_mov_b32 s52, exec_lo
	s_wait_loadcnt 0x0
	v_cmpx_lt_i16_e32 0x7f, v1
	s_xor_b32 s52, exec_lo, s52
	s_cbranch_execz .LBB47_848
; %bb.828:
	v_cmp_ne_u16_e32 vcc_lo, 0x80, v1
	s_and_b32 s53, vcc_lo, exec_lo
	s_and_not1_saveexec_b32 s52, s52
	s_cbranch_execnz .LBB47_849
.LBB47_829:
	s_or_b32 exec_lo, exec_lo, s52
	v_mov_b32_e32 v10, 0
	s_and_saveexec_b32 s52, s53
	s_cbranch_execz .LBB47_831
.LBB47_830:
	v_and_b32_e32 v3, 0xffff, v1
	s_delay_alu instid0(VALU_DEP_1) | instskip(SKIP_1) | instid1(VALU_DEP_2)
	v_and_b32_e32 v5, 3, v3
	v_bfe_u32 v11, v3, 2, 5
	v_clz_i32_u32_e32 v9, v5
	s_delay_alu instid0(VALU_DEP_2) | instskip(NEXT) | instid1(VALU_DEP_2)
	v_cmp_eq_u32_e32 vcc_lo, 0, v11
	v_min_u32_e32 v9, 32, v9
	s_delay_alu instid0(VALU_DEP_1) | instskip(NEXT) | instid1(VALU_DEP_1)
	v_subrev_nc_u32_e32 v10, 29, v9
	v_dual_lshlrev_b32 v3, v10, v3 :: v_dual_sub_nc_u32 v9, 30, v9
	s_delay_alu instid0(VALU_DEP_1) | instskip(NEXT) | instid1(VALU_DEP_1)
	v_dual_lshlrev_b32 v1, 24, v1 :: v_dual_bitop2_b32 v3, 3, v3 bitop3:0x40
	v_dual_cndmask_b32 v3, v5, v3, vcc_lo :: v_dual_cndmask_b32 v9, v11, v9, vcc_lo
	s_delay_alu instid0(VALU_DEP_2) | instskip(NEXT) | instid1(VALU_DEP_2)
	v_and_b32_e32 v1, 0x80000000, v1
	v_lshlrev_b32_e32 v3, 21, v3
	s_delay_alu instid0(VALU_DEP_3) | instskip(NEXT) | instid1(VALU_DEP_1)
	v_lshl_add_u32 v5, v9, 23, 0x37800000
	v_or3_b32 v1, v1, v5, v3
	s_delay_alu instid0(VALU_DEP_1)
	v_cvt_i32_f32_e32 v10, v1
.LBB47_831:
	s_or_b32 exec_lo, exec_lo, s52
	s_mov_b32 s52, 0
	s_branch .LBB47_837
.LBB47_832:
	s_mov_b32 s53, -1
                                        ; implicit-def: $vgpr10
	s_branch .LBB47_843
.LBB47_833:
	s_and_not1_saveexec_b32 s52, s52
	s_cbranch_execz .LBB47_818
.LBB47_834:
	v_cmp_ne_u16_e32 vcc_lo, 0, v1
	s_and_not1_b32 s53, s53, exec_lo
	s_and_b32 s54, vcc_lo, exec_lo
	s_delay_alu instid0(SALU_CYCLE_1)
	s_or_b32 s53, s53, s54
	s_or_b32 exec_lo, exec_lo, s52
	v_mov_b32_e32 v10, 0
	s_and_saveexec_b32 s52, s53
	s_cbranch_execnz .LBB47_819
	s_branch .LBB47_820
.LBB47_835:
	s_mov_b32 s52, -1
                                        ; implicit-def: $vgpr10
	s_branch .LBB47_840
.LBB47_836:
	s_mov_b32 s52, -1
                                        ; implicit-def: $vgpr10
.LBB47_837:
	s_delay_alu instid0(SALU_CYCLE_1)
	s_and_b32 vcc_lo, exec_lo, s52
	s_cbranch_vccz .LBB47_839
; %bb.838:
	global_load_u8 v1, v[6:7], off
	s_wait_loadcnt 0x0
	v_lshlrev_b32_e32 v1, 24, v1
	s_delay_alu instid0(VALU_DEP_1) | instskip(NEXT) | instid1(VALU_DEP_1)
	v_and_b32_e32 v3, 0x7f000000, v1
	v_clz_i32_u32_e32 v5, v3
	v_cmp_ne_u32_e32 vcc_lo, 0, v3
	s_wait_xcnt 0x1
	v_add_nc_u32_e32 v10, 0x1000000, v3
	s_delay_alu instid0(VALU_DEP_3) | instskip(NEXT) | instid1(VALU_DEP_1)
	v_min_u32_e32 v5, 32, v5
	v_sub_nc_u32_e64 v5, v5, 4 clamp
	s_delay_alu instid0(VALU_DEP_1) | instskip(NEXT) | instid1(VALU_DEP_1)
	v_dual_lshlrev_b32 v9, v5, v3 :: v_dual_lshlrev_b32 v5, 23, v5
	v_lshrrev_b32_e32 v9, 4, v9
	s_delay_alu instid0(VALU_DEP_1) | instskip(NEXT) | instid1(VALU_DEP_1)
	v_dual_sub_nc_u32 v5, v9, v5 :: v_dual_ashrrev_i32 v9, 8, v10
	v_add_nc_u32_e32 v5, 0x3c000000, v5
	s_delay_alu instid0(VALU_DEP_1) | instskip(NEXT) | instid1(VALU_DEP_1)
	v_and_or_b32 v5, 0x7f800000, v9, v5
	v_cndmask_b32_e32 v3, 0, v5, vcc_lo
	s_delay_alu instid0(VALU_DEP_1) | instskip(NEXT) | instid1(VALU_DEP_1)
	v_and_or_b32 v1, 0x80000000, v1, v3
	v_cvt_i32_f32_e32 v10, v1
.LBB47_839:
	s_mov_b32 s52, 0
.LBB47_840:
	s_delay_alu instid0(SALU_CYCLE_1)
	s_and_not1_b32 vcc_lo, exec_lo, s52
	s_cbranch_vccnz .LBB47_842
; %bb.841:
	global_load_u8 v1, v[6:7], off
	s_wait_loadcnt 0x0
	v_lshlrev_b32_e32 v3, 25, v1
	v_lshlrev_b16 v1, 8, v1
	s_delay_alu instid0(VALU_DEP_2) | instskip(NEXT) | instid1(VALU_DEP_2)
	v_cmp_gt_u32_e32 vcc_lo, 0x8000000, v3
	v_and_or_b32 v9, 0x7f00, v1, 0.5
	v_lshrrev_b32_e32 v5, 4, v3
	v_bfe_i32 v1, v1, 0, 16
	s_delay_alu instid0(VALU_DEP_3) | instskip(NEXT) | instid1(VALU_DEP_3)
	v_add_f32_e32 v9, -0.5, v9
	v_or_b32_e32 v5, 0x70000000, v5
	s_delay_alu instid0(VALU_DEP_1) | instskip(NEXT) | instid1(VALU_DEP_1)
	v_mul_f32_e32 v5, 0x7800000, v5
	v_cndmask_b32_e32 v3, v5, v9, vcc_lo
	s_delay_alu instid0(VALU_DEP_1) | instskip(SKIP_1) | instid1(VALU_DEP_1)
	v_and_or_b32 v1, 0x80000000, v1, v3
	s_wait_xcnt 0x1
	v_cvt_i32_f32_e32 v10, v1
.LBB47_842:
	s_mov_b32 s53, 0
	s_mov_b32 s52, -1
.LBB47_843:
	s_and_not1_b32 vcc_lo, exec_lo, s53
	s_cbranch_vccnz .LBB47_856
; %bb.844:
	s_cmp_gt_i32 s37, 14
	s_cbranch_scc0 .LBB47_847
; %bb.845:
	s_cmp_eq_u32 s37, 15
	s_cbranch_scc0 .LBB47_850
; %bb.846:
	global_load_u16 v1, v[6:7], off
	s_mov_b32 s52, -1
	s_mov_b32 s36, 0
	s_wait_loadcnt 0x0
	v_lshlrev_b32_e32 v1, 16, v1
	s_wait_xcnt 0x1
	s_delay_alu instid0(VALU_DEP_1)
	v_cvt_i32_f32_e32 v10, v1
	s_branch .LBB47_851
.LBB47_847:
	s_mov_b32 s53, -1
                                        ; implicit-def: $vgpr10
	s_branch .LBB47_852
.LBB47_848:
	s_and_not1_saveexec_b32 s52, s52
	s_cbranch_execz .LBB47_829
.LBB47_849:
	v_cmp_ne_u16_e32 vcc_lo, 0, v1
	s_and_not1_b32 s53, s53, exec_lo
	s_and_b32 s54, vcc_lo, exec_lo
	s_delay_alu instid0(SALU_CYCLE_1)
	s_or_b32 s53, s53, s54
	s_or_b32 exec_lo, exec_lo, s52
	v_mov_b32_e32 v10, 0
	s_and_saveexec_b32 s52, s53
	s_cbranch_execnz .LBB47_830
	s_branch .LBB47_831
.LBB47_850:
	s_mov_b32 s36, -1
                                        ; implicit-def: $vgpr10
.LBB47_851:
	s_mov_b32 s53, 0
.LBB47_852:
	s_delay_alu instid0(SALU_CYCLE_1)
	s_and_b32 vcc_lo, exec_lo, s53
	s_cbranch_vccz .LBB47_856
; %bb.853:
	s_cmp_eq_u32 s37, 11
	s_cbranch_scc0 .LBB47_855
; %bb.854:
	global_load_u8 v1, v[6:7], off
	s_mov_b32 s36, 0
	s_mov_b32 s52, -1
	s_wait_loadcnt 0x0
	v_cmp_ne_u16_e32 vcc_lo, 0, v1
	s_wait_xcnt 0x1
	v_cndmask_b32_e64 v10, 0, 1, vcc_lo
	s_branch .LBB47_856
.LBB47_855:
	s_mov_b32 s36, -1
                                        ; implicit-def: $vgpr10
.LBB47_856:
	s_mov_b32 s37, 0
.LBB47_857:
	s_delay_alu instid0(SALU_CYCLE_1)
	s_and_b32 vcc_lo, exec_lo, s37
	s_cbranch_vccz .LBB47_906
; %bb.858:
	s_and_b32 s0, 0xffff, s0
	s_delay_alu instid0(SALU_CYCLE_1)
	s_cmp_lt_i32 s0, 5
	s_cbranch_scc1 .LBB47_863
; %bb.859:
	s_cmp_lt_i32 s0, 8
	s_cbranch_scc1 .LBB47_864
; %bb.860:
	;; [unrolled: 3-line block ×3, first 2 shown]
	s_cmp_gt_i32 s0, 9
	s_cbranch_scc0 .LBB47_866
; %bb.862:
	s_wait_loadcnt 0x0
	global_load_b64 v[10:11], v[6:7], off
	s_mov_b32 s37, 0
	s_wait_loadcnt 0x0
	v_cvt_i32_f64_e32 v10, v[10:11]
	s_branch .LBB47_867
.LBB47_863:
	s_mov_b32 s37, -1
                                        ; implicit-def: $vgpr10
	s_branch .LBB47_885
.LBB47_864:
	s_mov_b32 s37, -1
                                        ; implicit-def: $vgpr10
	s_branch .LBB47_873
.LBB47_865:
	s_mov_b32 s37, -1
                                        ; implicit-def: $vgpr10
	s_branch .LBB47_870
.LBB47_866:
	s_mov_b32 s37, -1
                                        ; implicit-def: $vgpr10
.LBB47_867:
	s_delay_alu instid0(SALU_CYCLE_1)
	s_and_not1_b32 vcc_lo, exec_lo, s37
	s_cbranch_vccnz .LBB47_869
; %bb.868:
	global_load_b32 v1, v[6:7], off
	s_wait_loadcnt 0x0
	s_wait_xcnt 0x1
	v_cvt_i32_f32_e32 v10, v1
.LBB47_869:
	s_mov_b32 s37, 0
.LBB47_870:
	s_delay_alu instid0(SALU_CYCLE_1)
	s_and_not1_b32 vcc_lo, exec_lo, s37
	s_cbranch_vccnz .LBB47_872
; %bb.871:
	global_load_b32 v1, v[6:7], off
	s_wait_loadcnt 0x0
	s_wait_xcnt 0x1
	v_cvt_i16_f16_e32 v10, v1
.LBB47_872:
	s_mov_b32 s37, 0
.LBB47_873:
	s_delay_alu instid0(SALU_CYCLE_1)
	s_and_not1_b32 vcc_lo, exec_lo, s37
	s_cbranch_vccnz .LBB47_884
; %bb.874:
	s_cmp_lt_i32 s0, 6
	s_cbranch_scc1 .LBB47_877
; %bb.875:
	s_cmp_gt_i32 s0, 6
	s_cbranch_scc0 .LBB47_878
; %bb.876:
	s_wait_loadcnt 0x0
	global_load_b64 v[10:11], v[6:7], off
	s_mov_b32 s37, 0
	s_wait_loadcnt 0x0
	v_cvt_i32_f64_e32 v10, v[10:11]
	s_branch .LBB47_879
.LBB47_877:
	s_mov_b32 s37, -1
                                        ; implicit-def: $vgpr10
	s_branch .LBB47_882
.LBB47_878:
	s_mov_b32 s37, -1
                                        ; implicit-def: $vgpr10
.LBB47_879:
	s_delay_alu instid0(SALU_CYCLE_1)
	s_and_not1_b32 vcc_lo, exec_lo, s37
	s_cbranch_vccnz .LBB47_881
; %bb.880:
	global_load_b32 v1, v[6:7], off
	s_wait_loadcnt 0x0
	s_wait_xcnt 0x1
	v_cvt_i32_f32_e32 v10, v1
.LBB47_881:
	s_mov_b32 s37, 0
.LBB47_882:
	s_delay_alu instid0(SALU_CYCLE_1)
	s_and_not1_b32 vcc_lo, exec_lo, s37
	s_cbranch_vccnz .LBB47_884
; %bb.883:
	global_load_u16 v1, v[6:7], off
	s_wait_loadcnt 0x0
	s_wait_xcnt 0x1
	v_cvt_i16_f16_e32 v10, v1
.LBB47_884:
	s_mov_b32 s37, 0
.LBB47_885:
	s_delay_alu instid0(SALU_CYCLE_1)
	s_and_not1_b32 vcc_lo, exec_lo, s37
	s_cbranch_vccnz .LBB47_905
; %bb.886:
	s_cmp_lt_i32 s0, 2
	s_cbranch_scc1 .LBB47_890
; %bb.887:
	s_cmp_lt_i32 s0, 3
	s_cbranch_scc1 .LBB47_891
; %bb.888:
	s_cmp_gt_i32 s0, 3
	s_cbranch_scc0 .LBB47_892
; %bb.889:
	s_wait_loadcnt 0x0
	global_load_b64 v[10:11], v[6:7], off
	s_mov_b32 s37, 0
	s_branch .LBB47_893
.LBB47_890:
	s_mov_b32 s37, -1
                                        ; implicit-def: $vgpr10
	s_branch .LBB47_899
.LBB47_891:
	s_mov_b32 s37, -1
                                        ; implicit-def: $vgpr10
	s_branch .LBB47_896
.LBB47_892:
	s_mov_b32 s37, -1
                                        ; implicit-def: $vgpr10
.LBB47_893:
	s_delay_alu instid0(SALU_CYCLE_1)
	s_and_not1_b32 vcc_lo, exec_lo, s37
	s_cbranch_vccnz .LBB47_895
; %bb.894:
	s_wait_loadcnt 0x0
	global_load_b32 v10, v[6:7], off
.LBB47_895:
	s_mov_b32 s37, 0
.LBB47_896:
	s_delay_alu instid0(SALU_CYCLE_1)
	s_and_not1_b32 vcc_lo, exec_lo, s37
	s_cbranch_vccnz .LBB47_898
; %bb.897:
	s_wait_loadcnt 0x0
	global_load_u16 v10, v[6:7], off
.LBB47_898:
	s_mov_b32 s37, 0
.LBB47_899:
	s_delay_alu instid0(SALU_CYCLE_1)
	s_and_not1_b32 vcc_lo, exec_lo, s37
	s_cbranch_vccnz .LBB47_905
; %bb.900:
	s_cmp_gt_i32 s0, 0
	s_mov_b32 s0, 0
	s_cbranch_scc0 .LBB47_902
; %bb.901:
	s_wait_loadcnt 0x0
	global_load_u8 v10, v[6:7], off
	s_branch .LBB47_903
.LBB47_902:
	s_mov_b32 s0, -1
                                        ; implicit-def: $vgpr10
.LBB47_903:
	s_delay_alu instid0(SALU_CYCLE_1)
	s_and_not1_b32 vcc_lo, exec_lo, s0
	s_cbranch_vccnz .LBB47_905
; %bb.904:
	s_wait_loadcnt 0x0
	global_load_u8 v10, v[6:7], off
.LBB47_905:
	s_mov_b32 s52, -1
.LBB47_906:
	s_delay_alu instid0(SALU_CYCLE_1)
	s_and_not1_b32 vcc_lo, exec_lo, s52
	s_cbranch_vccnz .LBB47_914
; %bb.907:
	v_mov_b32_e32 v3, 0
	s_wait_loadcnt 0x0
	v_mul_lo_u16 v1, v4, s24
	v_mul_lo_u16 v4, v8, s42
	s_and_b32 s37, s21, 0xff
	s_delay_alu instid0(SALU_CYCLE_1) | instskip(SKIP_1) | instid1(VALU_DEP_2)
	s_cmp_lt_i32 s37, 11
	v_add_nc_u64_e32 v[2:3], s[4:5], v[2:3]
	v_mad_u16 v1, v4, v10, v1
	s_cbranch_scc1 .LBB47_915
; %bb.908:
	s_and_b32 s52, 0xffff, s37
	s_delay_alu instid0(SALU_CYCLE_1)
	s_cmp_gt_i32 s52, 25
	s_cbranch_scc0 .LBB47_916
; %bb.909:
	s_cmp_gt_i32 s52, 28
	s_cbranch_scc0 .LBB47_917
; %bb.910:
	s_cmp_gt_i32 s52, 43
	s_cbranch_scc0 .LBB47_918
; %bb.911:
	s_cmp_gt_i32 s52, 45
	s_cbranch_scc0 .LBB47_919
; %bb.912:
	s_mov_b32 s54, 0
	s_mov_b32 s0, -1
	s_cmp_eq_u32 s52, 46
	s_mov_b32 s53, 0
	s_cbranch_scc0 .LBB47_920
; %bb.913:
	v_bfe_i32 v4, v1, 0, 8
	s_mov_b32 s53, -1
	s_mov_b32 s0, 0
	s_delay_alu instid0(VALU_DEP_1) | instskip(NEXT) | instid1(VALU_DEP_1)
	v_bfe_i32 v4, v4, 0, 16
	v_cvt_f32_i32_e32 v4, v4
	s_delay_alu instid0(VALU_DEP_1) | instskip(NEXT) | instid1(VALU_DEP_1)
	v_bfe_u32 v5, v4, 16, 1
	v_add3_u32 v4, v4, v5, 0x7fff
	s_delay_alu instid0(VALU_DEP_1)
	v_lshrrev_b32_e32 v4, 16, v4
	global_store_b32 v[2:3], v4, off
	s_branch .LBB47_920
.LBB47_914:
	s_mov_b32 s37, 0
	s_mov_b32 s0, s45
	s_branch .LBB47_1031
.LBB47_915:
	s_mov_b32 s52, -1
	s_mov_b32 s53, 0
	s_mov_b32 s0, s45
	s_branch .LBB47_989
.LBB47_916:
	s_mov_b32 s54, -1
	s_mov_b32 s53, 0
	s_mov_b32 s0, s45
	s_branch .LBB47_947
.LBB47_917:
	s_mov_b32 s54, -1
	s_mov_b32 s53, 0
	s_mov_b32 s0, s45
	s_branch .LBB47_930
.LBB47_918:
	s_mov_b32 s54, -1
	s_mov_b32 s53, 0
	s_mov_b32 s0, s45
	s_branch .LBB47_926
.LBB47_919:
	s_mov_b32 s54, -1
	s_mov_b32 s53, 0
	s_mov_b32 s0, s45
.LBB47_920:
	s_and_b32 vcc_lo, exec_lo, s54
	s_cbranch_vccz .LBB47_925
; %bb.921:
	s_cmp_eq_u32 s52, 44
	s_mov_b32 s0, -1
	s_cbranch_scc0 .LBB47_925
; %bb.922:
	s_wait_xcnt 0x0
	v_bfe_i32 v4, v1, 0, 8
	v_mov_b32_e32 v5, 0xff
	s_mov_b32 s53, exec_lo
	s_delay_alu instid0(VALU_DEP_2) | instskip(NEXT) | instid1(VALU_DEP_1)
	v_bfe_i32 v4, v4, 0, 16
	v_cvt_f32_i32_e32 v4, v4
	s_delay_alu instid0(VALU_DEP_1) | instskip(NEXT) | instid1(VALU_DEP_1)
	v_bfe_u32 v6, v4, 23, 8
	v_cmpx_ne_u32_e32 0xff, v6
	s_cbranch_execz .LBB47_924
; %bb.923:
	v_and_b32_e32 v5, 0x400000, v4
	v_and_or_b32 v6, 0x3fffff, v4, v6
	v_lshrrev_b32_e32 v4, 23, v4
	s_delay_alu instid0(VALU_DEP_3) | instskip(NEXT) | instid1(VALU_DEP_3)
	v_cmp_ne_u32_e32 vcc_lo, 0, v5
	v_cmp_ne_u32_e64 s0, 0, v6
	s_and_b32 s0, vcc_lo, s0
	s_delay_alu instid0(SALU_CYCLE_1) | instskip(NEXT) | instid1(VALU_DEP_1)
	v_cndmask_b32_e64 v5, 0, 1, s0
	v_add_nc_u32_e32 v5, v4, v5
.LBB47_924:
	s_or_b32 exec_lo, exec_lo, s53
	s_mov_b32 s53, -1
	s_mov_b32 s0, 0
	global_store_b8 v[2:3], v5, off
.LBB47_925:
	s_mov_b32 s54, 0
.LBB47_926:
	s_delay_alu instid0(SALU_CYCLE_1)
	s_and_b32 vcc_lo, exec_lo, s54
	s_cbranch_vccz .LBB47_929
; %bb.927:
	s_cmp_eq_u32 s52, 29
	s_mov_b32 s0, -1
	s_cbranch_scc0 .LBB47_929
; %bb.928:
	s_wait_xcnt 0x0
	v_bfe_i32 v4, v1, 0, 8
	s_mov_b32 s53, -1
	s_mov_b32 s0, 0
	s_mov_b32 s54, 0
	s_delay_alu instid0(VALU_DEP_1)
	v_ashrrev_i32_e32 v5, 31, v4
	global_store_b64 v[2:3], v[4:5], off
	s_branch .LBB47_930
.LBB47_929:
	s_mov_b32 s54, 0
.LBB47_930:
	s_delay_alu instid0(SALU_CYCLE_1)
	s_and_b32 vcc_lo, exec_lo, s54
	s_cbranch_vccz .LBB47_946
; %bb.931:
	s_cmp_lt_i32 s52, 27
	s_mov_b32 s53, -1
	s_cbranch_scc1 .LBB47_937
; %bb.932:
	s_cmp_gt_i32 s52, 27
	s_cbranch_scc0 .LBB47_934
; %bb.933:
	s_wait_xcnt 0x0
	v_bfe_i32 v4, v1, 0, 8
	s_mov_b32 s53, 0
	global_store_b32 v[2:3], v4, off
.LBB47_934:
	s_and_not1_b32 vcc_lo, exec_lo, s53
	s_cbranch_vccnz .LBB47_936
; %bb.935:
	s_wait_xcnt 0x0
	v_bfe_i32 v4, v1, 0, 8
	global_store_b16 v[2:3], v4, off
.LBB47_936:
	s_mov_b32 s53, 0
.LBB47_937:
	s_delay_alu instid0(SALU_CYCLE_1)
	s_and_not1_b32 vcc_lo, exec_lo, s53
	s_cbranch_vccnz .LBB47_945
; %bb.938:
	s_wait_xcnt 0x0
	v_bfe_i32 v4, v1, 0, 8
	v_mov_b32_e32 v6, 0x80
	s_mov_b32 s53, exec_lo
	s_delay_alu instid0(VALU_DEP_2) | instskip(NEXT) | instid1(VALU_DEP_1)
	v_bfe_i32 v4, v4, 0, 16
	v_cvt_f32_i32_e32 v4, v4
	s_delay_alu instid0(VALU_DEP_1) | instskip(NEXT) | instid1(VALU_DEP_1)
	v_and_b32_e32 v5, 0x7fffffff, v4
	v_cmpx_gt_u32_e32 0x43800000, v5
	s_cbranch_execz .LBB47_944
; %bb.939:
	v_cmp_lt_u32_e32 vcc_lo, 0x3bffffff, v5
	s_mov_b32 s54, 0
                                        ; implicit-def: $vgpr5
	s_and_saveexec_b32 s55, vcc_lo
	s_delay_alu instid0(SALU_CYCLE_1)
	s_xor_b32 s55, exec_lo, s55
	s_cbranch_execz .LBB47_1185
; %bb.940:
	v_bfe_u32 v5, v4, 20, 1
	s_mov_b32 s54, exec_lo
	s_delay_alu instid0(VALU_DEP_1) | instskip(NEXT) | instid1(VALU_DEP_1)
	v_add3_u32 v5, v4, v5, 0x487ffff
	v_lshrrev_b32_e32 v5, 20, v5
	s_and_not1_saveexec_b32 s55, s55
	s_cbranch_execnz .LBB47_1186
.LBB47_941:
	s_or_b32 exec_lo, exec_lo, s55
	v_mov_b32_e32 v6, 0
	s_and_saveexec_b32 s55, s54
.LBB47_942:
	v_lshrrev_b32_e32 v4, 24, v4
	s_delay_alu instid0(VALU_DEP_1)
	v_and_or_b32 v6, 0x80, v4, v5
.LBB47_943:
	s_or_b32 exec_lo, exec_lo, s55
.LBB47_944:
	s_delay_alu instid0(SALU_CYCLE_1)
	s_or_b32 exec_lo, exec_lo, s53
	global_store_b8 v[2:3], v6, off
.LBB47_945:
	s_mov_b32 s53, -1
.LBB47_946:
	s_mov_b32 s54, 0
.LBB47_947:
	s_delay_alu instid0(SALU_CYCLE_1)
	s_and_b32 vcc_lo, exec_lo, s54
	s_cbranch_vccz .LBB47_988
; %bb.948:
	s_cmp_gt_i32 s52, 22
	s_mov_b32 s54, -1
	s_cbranch_scc0 .LBB47_980
; %bb.949:
	s_cmp_lt_i32 s52, 24
	s_mov_b32 s53, -1
	s_cbranch_scc1 .LBB47_969
; %bb.950:
	s_cmp_gt_i32 s52, 24
	s_cbranch_scc0 .LBB47_958
; %bb.951:
	s_wait_xcnt 0x0
	v_bfe_i32 v4, v1, 0, 8
	v_mov_b32_e32 v6, 0x80
	s_mov_b32 s53, exec_lo
	s_delay_alu instid0(VALU_DEP_2) | instskip(NEXT) | instid1(VALU_DEP_1)
	v_bfe_i32 v4, v4, 0, 16
	v_cvt_f32_i32_e32 v4, v4
	s_delay_alu instid0(VALU_DEP_1) | instskip(NEXT) | instid1(VALU_DEP_1)
	v_and_b32_e32 v5, 0x7fffffff, v4
	v_cmpx_gt_u32_e32 0x47800000, v5
	s_cbranch_execz .LBB47_957
; %bb.952:
	v_cmp_lt_u32_e32 vcc_lo, 0x37ffffff, v5
	s_mov_b32 s54, 0
                                        ; implicit-def: $vgpr5
	s_and_saveexec_b32 s55, vcc_lo
	s_delay_alu instid0(SALU_CYCLE_1)
	s_xor_b32 s55, exec_lo, s55
	s_cbranch_execz .LBB47_1313
; %bb.953:
	v_bfe_u32 v5, v4, 21, 1
	s_mov_b32 s54, exec_lo
	s_delay_alu instid0(VALU_DEP_1) | instskip(NEXT) | instid1(VALU_DEP_1)
	v_add3_u32 v5, v4, v5, 0x88fffff
	v_lshrrev_b32_e32 v5, 21, v5
	s_and_not1_saveexec_b32 s55, s55
	s_cbranch_execnz .LBB47_1314
.LBB47_954:
	s_or_b32 exec_lo, exec_lo, s55
	v_mov_b32_e32 v6, 0
	s_and_saveexec_b32 s55, s54
.LBB47_955:
	v_lshrrev_b32_e32 v4, 24, v4
	s_delay_alu instid0(VALU_DEP_1)
	v_and_or_b32 v6, 0x80, v4, v5
.LBB47_956:
	s_or_b32 exec_lo, exec_lo, s55
.LBB47_957:
	s_delay_alu instid0(SALU_CYCLE_1)
	s_or_b32 exec_lo, exec_lo, s53
	s_mov_b32 s53, 0
	global_store_b8 v[2:3], v6, off
.LBB47_958:
	s_and_b32 vcc_lo, exec_lo, s53
	s_cbranch_vccz .LBB47_968
; %bb.959:
	s_wait_xcnt 0x0
	v_bfe_i32 v4, v1, 0, 8
	s_mov_b32 s53, exec_lo
                                        ; implicit-def: $vgpr5
	s_delay_alu instid0(VALU_DEP_1) | instskip(NEXT) | instid1(VALU_DEP_1)
	v_bfe_i32 v4, v4, 0, 16
	v_cvt_f32_i32_e32 v4, v4
	s_delay_alu instid0(VALU_DEP_1) | instskip(NEXT) | instid1(VALU_DEP_1)
	v_and_b32_e32 v6, 0x7fffffff, v4
	v_cmpx_gt_u32_e32 0x43f00000, v6
	s_xor_b32 s53, exec_lo, s53
	s_cbranch_execz .LBB47_965
; %bb.960:
	s_mov_b32 s54, exec_lo
                                        ; implicit-def: $vgpr5
	v_cmpx_lt_u32_e32 0x3c7fffff, v6
	s_xor_b32 s54, exec_lo, s54
; %bb.961:
	v_bfe_u32 v5, v4, 20, 1
	s_delay_alu instid0(VALU_DEP_1) | instskip(NEXT) | instid1(VALU_DEP_1)
	v_add3_u32 v5, v4, v5, 0x407ffff
	v_and_b32_e32 v6, 0xff00000, v5
	v_lshrrev_b32_e32 v5, 20, v5
	s_delay_alu instid0(VALU_DEP_2) | instskip(NEXT) | instid1(VALU_DEP_2)
	v_cmp_ne_u32_e32 vcc_lo, 0x7f00000, v6
	v_cndmask_b32_e32 v5, 0x7e, v5, vcc_lo
; %bb.962:
	s_and_not1_saveexec_b32 s54, s54
; %bb.963:
	v_add_f32_e64 v5, 0x46800000, |v4|
; %bb.964:
	s_or_b32 exec_lo, exec_lo, s54
                                        ; implicit-def: $vgpr6
.LBB47_965:
	s_and_not1_saveexec_b32 s53, s53
; %bb.966:
	v_mov_b32_e32 v5, 0x7f
	v_cmp_lt_u32_e32 vcc_lo, 0x7f800000, v6
	s_delay_alu instid0(VALU_DEP_2)
	v_cndmask_b32_e32 v5, 0x7e, v5, vcc_lo
; %bb.967:
	s_or_b32 exec_lo, exec_lo, s53
	v_lshrrev_b32_e32 v4, 24, v4
	s_delay_alu instid0(VALU_DEP_1)
	v_and_or_b32 v4, 0x80, v4, v5
	global_store_b8 v[2:3], v4, off
.LBB47_968:
	s_mov_b32 s53, 0
.LBB47_969:
	s_delay_alu instid0(SALU_CYCLE_1)
	s_and_not1_b32 vcc_lo, exec_lo, s53
	s_cbranch_vccnz .LBB47_979
; %bb.970:
	s_wait_xcnt 0x0
	v_bfe_i32 v4, v1, 0, 8
	s_mov_b32 s53, exec_lo
                                        ; implicit-def: $vgpr5
	s_delay_alu instid0(VALU_DEP_1) | instskip(NEXT) | instid1(VALU_DEP_1)
	v_bfe_i32 v4, v4, 0, 16
	v_cvt_f32_i32_e32 v4, v4
	s_delay_alu instid0(VALU_DEP_1) | instskip(NEXT) | instid1(VALU_DEP_1)
	v_and_b32_e32 v6, 0x7fffffff, v4
	v_cmpx_gt_u32_e32 0x47800000, v6
	s_xor_b32 s53, exec_lo, s53
	s_cbranch_execz .LBB47_976
; %bb.971:
	s_mov_b32 s54, exec_lo
                                        ; implicit-def: $vgpr5
	v_cmpx_lt_u32_e32 0x387fffff, v6
	s_xor_b32 s54, exec_lo, s54
; %bb.972:
	v_bfe_u32 v5, v4, 21, 1
	s_delay_alu instid0(VALU_DEP_1) | instskip(NEXT) | instid1(VALU_DEP_1)
	v_add3_u32 v5, v4, v5, 0x80fffff
	v_lshrrev_b32_e32 v5, 21, v5
; %bb.973:
	s_and_not1_saveexec_b32 s54, s54
; %bb.974:
	v_add_f32_e64 v5, 0x43000000, |v4|
; %bb.975:
	s_or_b32 exec_lo, exec_lo, s54
                                        ; implicit-def: $vgpr6
.LBB47_976:
	s_and_not1_saveexec_b32 s53, s53
; %bb.977:
	v_mov_b32_e32 v5, 0x7f
	v_cmp_lt_u32_e32 vcc_lo, 0x7f800000, v6
	s_delay_alu instid0(VALU_DEP_2)
	v_cndmask_b32_e32 v5, 0x7c, v5, vcc_lo
; %bb.978:
	s_or_b32 exec_lo, exec_lo, s53
	v_lshrrev_b32_e32 v4, 24, v4
	s_delay_alu instid0(VALU_DEP_1)
	v_and_or_b32 v4, 0x80, v4, v5
	global_store_b8 v[2:3], v4, off
.LBB47_979:
	s_mov_b32 s54, 0
	s_mov_b32 s53, -1
.LBB47_980:
	s_and_not1_b32 vcc_lo, exec_lo, s54
	s_cbranch_vccnz .LBB47_988
; %bb.981:
	s_cmp_gt_i32 s52, 14
	s_mov_b32 s54, -1
	s_cbranch_scc0 .LBB47_985
; %bb.982:
	s_cmp_eq_u32 s52, 15
	s_mov_b32 s0, -1
	s_cbranch_scc0 .LBB47_984
; %bb.983:
	s_wait_xcnt 0x0
	v_bfe_i32 v4, v1, 0, 8
	s_mov_b32 s53, -1
	s_mov_b32 s0, 0
	s_delay_alu instid0(VALU_DEP_1) | instskip(NEXT) | instid1(VALU_DEP_1)
	v_bfe_i32 v4, v4, 0, 16
	v_cvt_f32_i32_e32 v4, v4
	s_delay_alu instid0(VALU_DEP_1) | instskip(NEXT) | instid1(VALU_DEP_1)
	v_bfe_u32 v5, v4, 16, 1
	v_add3_u32 v4, v4, v5, 0x7fff
	global_store_d16_hi_b16 v[2:3], v4, off
.LBB47_984:
	s_mov_b32 s54, 0
.LBB47_985:
	s_delay_alu instid0(SALU_CYCLE_1)
	s_and_b32 vcc_lo, exec_lo, s54
	s_cbranch_vccz .LBB47_988
; %bb.986:
	s_cmp_eq_u32 s52, 11
	s_mov_b32 s0, -1
	s_cbranch_scc0 .LBB47_988
; %bb.987:
	s_wait_xcnt 0x0
	v_and_b32_e32 v4, 0xff, v1
	s_mov_b32 s0, 0
	s_mov_b32 s53, -1
	s_delay_alu instid0(VALU_DEP_1)
	v_cmp_ne_u16_e32 vcc_lo, 0, v4
	v_cndmask_b32_e64 v4, 0, 1, vcc_lo
	global_store_b8 v[2:3], v4, off
.LBB47_988:
	s_mov_b32 s52, 0
.LBB47_989:
	s_delay_alu instid0(SALU_CYCLE_1)
	s_and_b32 vcc_lo, exec_lo, s52
	s_cbranch_vccz .LBB47_1028
; %bb.990:
	s_and_b32 s37, 0xffff, s37
	s_mov_b32 s52, -1
	s_cmp_lt_i32 s37, 5
	s_cbranch_scc1 .LBB47_1011
; %bb.991:
	s_cmp_lt_i32 s37, 8
	s_cbranch_scc1 .LBB47_1001
; %bb.992:
	;; [unrolled: 3-line block ×3, first 2 shown]
	s_cmp_gt_i32 s37, 9
	s_cbranch_scc0 .LBB47_995
; %bb.994:
	s_wait_xcnt 0x0
	v_bfe_i32 v4, v1, 0, 8
	v_mov_b32_e32 v6, 0
	s_mov_b32 s52, 0
	s_delay_alu instid0(VALU_DEP_2) | instskip(NEXT) | instid1(VALU_DEP_2)
	v_bfe_i32 v4, v4, 0, 16
	v_mov_b32_e32 v7, v6
	s_delay_alu instid0(VALU_DEP_2)
	v_cvt_f64_i32_e32 v[4:5], v4
	global_store_b128 v[2:3], v[4:7], off
.LBB47_995:
	s_and_not1_b32 vcc_lo, exec_lo, s52
	s_cbranch_vccnz .LBB47_997
; %bb.996:
	s_wait_xcnt 0x0
	v_bfe_i32 v4, v1, 0, 8
	v_mov_b32_e32 v5, 0
	s_delay_alu instid0(VALU_DEP_2) | instskip(NEXT) | instid1(VALU_DEP_1)
	v_bfe_i32 v4, v4, 0, 16
	v_cvt_f32_i32_e32 v4, v4
	global_store_b64 v[2:3], v[4:5], off
.LBB47_997:
	s_mov_b32 s52, 0
.LBB47_998:
	s_delay_alu instid0(SALU_CYCLE_1)
	s_and_not1_b32 vcc_lo, exec_lo, s52
	s_cbranch_vccnz .LBB47_1000
; %bb.999:
	s_wait_xcnt 0x0
	v_bfe_i32 v4, v1, 0, 8
	s_delay_alu instid0(VALU_DEP_1) | instskip(NEXT) | instid1(VALU_DEP_1)
	v_cvt_f16_i16_e32 v4, v4
	v_and_b32_e32 v4, 0xffff, v4
	global_store_b32 v[2:3], v4, off
.LBB47_1000:
	s_mov_b32 s52, 0
.LBB47_1001:
	s_delay_alu instid0(SALU_CYCLE_1)
	s_and_not1_b32 vcc_lo, exec_lo, s52
	s_cbranch_vccnz .LBB47_1010
; %bb.1002:
	s_cmp_lt_i32 s37, 6
	s_mov_b32 s52, -1
	s_cbranch_scc1 .LBB47_1008
; %bb.1003:
	s_cmp_gt_i32 s37, 6
	s_cbranch_scc0 .LBB47_1005
; %bb.1004:
	s_wait_xcnt 0x0
	v_bfe_i32 v4, v1, 0, 8
	s_mov_b32 s52, 0
	s_delay_alu instid0(VALU_DEP_1) | instskip(NEXT) | instid1(VALU_DEP_1)
	v_bfe_i32 v4, v4, 0, 16
	v_cvt_f64_i32_e32 v[4:5], v4
	global_store_b64 v[2:3], v[4:5], off
.LBB47_1005:
	s_and_not1_b32 vcc_lo, exec_lo, s52
	s_cbranch_vccnz .LBB47_1007
; %bb.1006:
	s_wait_xcnt 0x0
	v_bfe_i32 v4, v1, 0, 8
	s_delay_alu instid0(VALU_DEP_1) | instskip(NEXT) | instid1(VALU_DEP_1)
	v_bfe_i32 v4, v4, 0, 16
	v_cvt_f32_i32_e32 v4, v4
	global_store_b32 v[2:3], v4, off
.LBB47_1007:
	s_mov_b32 s52, 0
.LBB47_1008:
	s_delay_alu instid0(SALU_CYCLE_1)
	s_and_not1_b32 vcc_lo, exec_lo, s52
	s_cbranch_vccnz .LBB47_1010
; %bb.1009:
	s_wait_xcnt 0x0
	v_bfe_i32 v4, v1, 0, 8
	s_delay_alu instid0(VALU_DEP_1)
	v_cvt_f16_i16_e32 v4, v4
	global_store_b16 v[2:3], v4, off
.LBB47_1010:
	s_mov_b32 s52, 0
.LBB47_1011:
	s_delay_alu instid0(SALU_CYCLE_1)
	s_and_not1_b32 vcc_lo, exec_lo, s52
	s_cbranch_vccnz .LBB47_1027
; %bb.1012:
	s_cmp_lt_i32 s37, 2
	s_mov_b32 s52, -1
	s_cbranch_scc1 .LBB47_1022
; %bb.1013:
	s_cmp_lt_i32 s37, 3
	s_cbranch_scc1 .LBB47_1019
; %bb.1014:
	s_cmp_gt_i32 s37, 3
	s_cbranch_scc0 .LBB47_1016
; %bb.1015:
	s_wait_xcnt 0x0
	v_bfe_i32 v4, v1, 0, 8
	s_mov_b32 s52, 0
	s_delay_alu instid0(VALU_DEP_1)
	v_ashrrev_i32_e32 v5, 31, v4
	global_store_b64 v[2:3], v[4:5], off
.LBB47_1016:
	s_and_not1_b32 vcc_lo, exec_lo, s52
	s_cbranch_vccnz .LBB47_1018
; %bb.1017:
	s_wait_xcnt 0x0
	v_bfe_i32 v4, v1, 0, 8
	global_store_b32 v[2:3], v4, off
.LBB47_1018:
	s_mov_b32 s52, 0
.LBB47_1019:
	s_delay_alu instid0(SALU_CYCLE_1)
	s_and_not1_b32 vcc_lo, exec_lo, s52
	s_cbranch_vccnz .LBB47_1021
; %bb.1020:
	s_wait_xcnt 0x0
	v_bfe_i32 v4, v1, 0, 8
	global_store_b16 v[2:3], v4, off
.LBB47_1021:
	s_mov_b32 s52, 0
.LBB47_1022:
	s_delay_alu instid0(SALU_CYCLE_1)
	s_and_not1_b32 vcc_lo, exec_lo, s52
	s_cbranch_vccnz .LBB47_1027
; %bb.1023:
	s_cmp_gt_i32 s37, 0
	s_mov_b32 s37, -1
	s_cbranch_scc0 .LBB47_1025
; %bb.1024:
	s_mov_b32 s37, 0
	global_store_b8 v[2:3], v1, off
.LBB47_1025:
	s_and_not1_b32 vcc_lo, exec_lo, s37
	s_cbranch_vccnz .LBB47_1027
; %bb.1026:
	global_store_b8 v[2:3], v1, off
.LBB47_1027:
	s_mov_b32 s53, -1
.LBB47_1028:
	s_delay_alu instid0(SALU_CYCLE_1)
	s_and_not1_b32 vcc_lo, exec_lo, s53
	s_cbranch_vccnz .LBB47_1030
; %bb.1029:
	v_add_nc_u32_e32 v0, 0x80, v0
	s_mov_b32 s37, -1
	s_branch .LBB47_1032
.LBB47_1030:
	s_mov_b32 s37, 0
.LBB47_1031:
                                        ; implicit-def: $vgpr0
.LBB47_1032:
	s_and_not1_b32 s52, s45, exec_lo
	s_and_b32 s0, s0, exec_lo
	s_and_not1_b32 s54, s48, exec_lo
	s_and_b32 s36, s36, exec_lo
	s_or_b32 s53, s52, s0
	s_or_b32 s54, s54, s36
	s_and_not1_b32 s0, s49, exec_lo
	s_and_b32 s35, s35, exec_lo
	s_and_not1_b32 s36, s50, exec_lo
	s_and_b32 s34, s34, exec_lo
	s_or_b32 s55, s0, s35
	s_or_b32 s52, s36, s34
	s_or_not1_b32 s37, s37, exec_lo
.LBB47_1033:
	s_wait_xcnt 0x0
	s_or_b32 exec_lo, exec_lo, s56
	s_mov_b32 s35, 0
	s_mov_b32 s36, 0
	;; [unrolled: 1-line block ×3, first 2 shown]
                                        ; implicit-def: $sgpr0
                                        ; implicit-def: $vgpr10_vgpr11
                                        ; implicit-def: $vgpr2
                                        ; implicit-def: $vgpr6
                                        ; implicit-def: $vgpr8
                                        ; implicit-def: $vgpr4
	s_and_saveexec_b32 s56, s37
	s_cbranch_execz .LBB47_1644
; %bb.1034:
	s_mov_b32 s37, -1
	s_mov_b32 s58, s52
	s_mov_b32 s60, s55
	s_mov_b32 s59, s54
	s_mov_b32 s61, s53
	s_mov_b32 s57, exec_lo
	v_cmpx_gt_i32_e64 s46, v0
	s_cbranch_execz .LBB47_1554
; %bb.1035:
	s_and_not1_b32 vcc_lo, exec_lo, s40
	s_cbranch_vccnz .LBB47_1041
; %bb.1036:
	s_and_not1_b32 vcc_lo, exec_lo, s47
	s_cbranch_vccnz .LBB47_1042
; %bb.1037:
	s_wait_loadcnt 0x0
	v_dual_mov_b32 v8, 0 :: v_dual_mov_b32 v1, v0
	v_dual_mov_b32 v6, 0 :: v_dual_mov_b32 v2, 0
	v_mov_b32_e32 v4, 0
	s_add_co_i32 s0, s44, 1
	s_mov_b64 s[34:35], 0xffffffffffffffe0
	s_and_b32 s0, s0, 30
	s_add_nc_u64 s[34:35], s[2:3], s[34:35]
	s_mov_b64 s[36:37], s[2:3]
.LBB47_1038:                            ; =>This Inner Loop Header: Depth=1
	s_clause 0x1
	s_load_b128 s[68:71], s[36:37], 0x4
	s_load_b64 s[58:59], s[36:37], 0x14
	s_load_b256 s[60:67], s[34:35], 0xe4
	s_add_co_i32 s0, s0, -2
	s_wait_xcnt 0x0
	s_add_nc_u64 s[36:37], s[36:37], 24
	s_cmp_eq_u32 s0, 0
	s_add_nc_u64 s[34:35], s[34:35], 32
	s_wait_kmcnt 0x0
	v_mul_hi_u32 v3, s69, v1
	s_delay_alu instid0(VALU_DEP_1) | instskip(NEXT) | instid1(VALU_DEP_1)
	v_add_nc_u32_e32 v3, v1, v3
	v_lshrrev_b32_e32 v3, s70, v3
	s_delay_alu instid0(VALU_DEP_1) | instskip(SKIP_1) | instid1(VALU_DEP_1)
	v_mul_hi_u32 v5, s58, v3
	v_mul_lo_u32 v7, v3, s68
	v_dual_add_nc_u32 v5, v3, v5 :: v_dual_sub_nc_u32 v7, v1, v7
	s_delay_alu instid0(VALU_DEP_1) | instskip(NEXT) | instid1(VALU_DEP_2)
	v_lshrrev_b32_e32 v1, s59, v5
	v_mad_u32 v4, v7, s61, v4
	v_mad_u32 v2, v7, s60, v2
	;; [unrolled: 1-line block ×4, first 2 shown]
	v_mul_lo_u32 v5, v1, s71
	s_delay_alu instid0(VALU_DEP_1) | instskip(NEXT) | instid1(VALU_DEP_1)
	v_sub_nc_u32_e32 v3, v3, v5
	v_mad_u32 v4, v3, s65, v4
	v_mad_u32 v2, v3, s64, v2
	;; [unrolled: 1-line block ×4, first 2 shown]
	s_cbranch_scc0 .LBB47_1038
; %bb.1039:
	s_bitcmp1_b32 s44, 0
	s_cselect_b32 s0, -1, 0
	s_delay_alu instid0(SALU_CYCLE_1)
	s_and_b32 vcc_lo, exec_lo, s0
	s_cbranch_vccnz .LBB47_1043
; %bb.1040:
	s_load_b96 s[64:66], s[36:37], 0x4
	s_load_b128 s[60:63], s[34:35], 0xe4
	s_wait_kmcnt 0x0
	v_mul_hi_u32 v3, s65, v1
	s_delay_alu instid0(VALU_DEP_1) | instskip(NEXT) | instid1(VALU_DEP_1)
	v_add_nc_u32_e32 v3, v1, v3
	v_lshrrev_b32_e32 v3, s66, v3
	s_delay_alu instid0(VALU_DEP_1) | instskip(NEXT) | instid1(VALU_DEP_1)
	v_mul_lo_u32 v3, v3, s64
	v_sub_nc_u32_e32 v1, v1, v3
	s_delay_alu instid0(VALU_DEP_1)
	v_mad_u32 v2, v1, s60, v2
	v_mad_u32 v4, v1, s61, v4
	;; [unrolled: 1-line block ×4, first 2 shown]
	s_branch .LBB47_1043
.LBB47_1041:
	s_mov_b32 s0, -1
                                        ; implicit-def: $vgpr4
                                        ; implicit-def: $vgpr2
                                        ; implicit-def: $vgpr6
                                        ; implicit-def: $vgpr8
	s_branch .LBB47_1044
.LBB47_1042:
	s_wait_loadcnt 0x0
	v_dual_mov_b32 v4, 0 :: v_dual_mov_b32 v2, 0
	v_dual_mov_b32 v6, 0 :: v_dual_mov_b32 v8, 0
.LBB47_1043:
	s_mov_b32 s0, 0
.LBB47_1044:
	s_delay_alu instid0(SALU_CYCLE_1)
	s_and_not1_b32 vcc_lo, exec_lo, s0
	s_cbranch_vccnz .LBB47_1047
; %bb.1045:
	v_mov_b32_e32 v1, 0
	s_and_not1_b32 vcc_lo, exec_lo, s43
	s_delay_alu instid0(VALU_DEP_1) | instskip(NEXT) | instid1(VALU_DEP_1)
	v_mul_u64_e32 v[2:3], s[26:27], v[0:1]
	v_add_nc_u32_e32 v2, v0, v3
	s_wait_loadcnt 0x0
	s_delay_alu instid0(VALU_DEP_1) | instskip(NEXT) | instid1(VALU_DEP_1)
	v_lshrrev_b32_e32 v10, s22, v2
	v_mul_lo_u32 v2, v10, s20
	s_delay_alu instid0(VALU_DEP_1) | instskip(NEXT) | instid1(VALU_DEP_1)
	v_sub_nc_u32_e32 v3, v0, v2
	v_mul_lo_u32 v4, v3, s13
	v_mul_lo_u32 v2, v3, s12
	v_mul_lo_u32 v6, v3, s15
	v_mul_lo_u32 v8, v3, s14
	s_cbranch_vccnz .LBB47_1047
; %bb.1046:
	v_mov_b32_e32 v11, v1
	s_delay_alu instid0(VALU_DEP_1) | instskip(NEXT) | instid1(VALU_DEP_1)
	v_mul_u64_e32 v[12:13], s[30:31], v[10:11]
	v_add_nc_u32_e32 v1, v10, v13
	s_delay_alu instid0(VALU_DEP_1) | instskip(NEXT) | instid1(VALU_DEP_1)
	v_lshrrev_b32_e32 v1, s1, v1
	v_mul_lo_u32 v1, v1, s23
	s_delay_alu instid0(VALU_DEP_1) | instskip(NEXT) | instid1(VALU_DEP_1)
	v_sub_nc_u32_e32 v1, v10, v1
	v_mad_u32 v2, v1, s16, v2
	v_mad_u32 v4, v1, s17, v4
	;; [unrolled: 1-line block ×4, first 2 shown]
.LBB47_1047:
	s_wait_loadcnt 0x0
	v_mov_b32_e32 v5, 0
	s_and_b32 s0, s28, 0xff
	s_delay_alu instid0(SALU_CYCLE_1) | instskip(NEXT) | instid1(VALU_DEP_1)
	s_cmp_lt_i32 s0, 11
	v_add_nc_u64_e32 v[10:11], s[6:7], v[4:5]
	s_cbranch_scc1 .LBB47_1054
; %bb.1048:
	s_and_b32 s35, 0xffff, s0
	s_delay_alu instid0(SALU_CYCLE_1)
	s_cmp_gt_i32 s35, 25
	s_cbranch_scc0 .LBB47_1055
; %bb.1049:
	s_cmp_gt_i32 s35, 28
	s_cbranch_scc0 .LBB47_1056
; %bb.1050:
	;; [unrolled: 3-line block ×4, first 2 shown]
	s_cmp_eq_u32 s35, 46
	s_mov_b32 s37, 0
	s_cbranch_scc0 .LBB47_1059
; %bb.1053:
	global_load_b32 v1, v[10:11], off
	s_mov_b32 s36, -1
	s_mov_b32 s34, 0
	s_wait_loadcnt 0x0
	v_lshlrev_b32_e32 v1, 16, v1
	s_delay_alu instid0(VALU_DEP_1)
	v_cvt_i32_f32_e32 v4, v1
	s_branch .LBB47_1061
.LBB47_1054:
	s_mov_b32 s35, -1
	s_mov_b32 s36, 0
	s_mov_b32 s34, s52
                                        ; implicit-def: $vgpr4
	s_branch .LBB47_1122
.LBB47_1055:
	s_mov_b32 s37, -1
	s_mov_b32 s36, 0
	s_mov_b32 s34, s52
                                        ; implicit-def: $vgpr4
	s_branch .LBB47_1088
.LBB47_1056:
	s_mov_b32 s37, -1
	s_mov_b32 s36, 0
	s_mov_b32 s34, s52
                                        ; implicit-def: $vgpr4
	s_branch .LBB47_1071
.LBB47_1057:
	s_mov_b32 s37, -1
	s_mov_b32 s36, 0
	s_mov_b32 s34, s52
                                        ; implicit-def: $vgpr4
	s_branch .LBB47_1066
.LBB47_1058:
	s_mov_b32 s37, -1
	s_mov_b32 s36, 0
	s_mov_b32 s34, s52
	s_branch .LBB47_1060
.LBB47_1059:
	s_mov_b32 s34, -1
	s_mov_b32 s36, 0
.LBB47_1060:
                                        ; implicit-def: $vgpr4
.LBB47_1061:
	s_and_b32 vcc_lo, exec_lo, s37
	s_cbranch_vccz .LBB47_1065
; %bb.1062:
	s_cmp_eq_u32 s35, 44
	s_cbranch_scc0 .LBB47_1064
; %bb.1063:
	global_load_u8 v1, v[10:11], off
	s_mov_b32 s34, 0
	s_mov_b32 s36, -1
	s_wait_loadcnt 0x0
	v_lshlrev_b32_e32 v3, 23, v1
	v_cmp_ne_u32_e32 vcc_lo, 0, v1
	s_delay_alu instid0(VALU_DEP_2) | instskip(NEXT) | instid1(VALU_DEP_1)
	v_cvt_i32_f32_e32 v3, v3
	v_cndmask_b32_e32 v4, 0, v3, vcc_lo
	s_branch .LBB47_1065
.LBB47_1064:
	s_mov_b32 s34, -1
                                        ; implicit-def: $vgpr4
.LBB47_1065:
	s_mov_b32 s37, 0
.LBB47_1066:
	s_delay_alu instid0(SALU_CYCLE_1)
	s_and_b32 vcc_lo, exec_lo, s37
	s_cbranch_vccz .LBB47_1070
; %bb.1067:
	s_cmp_eq_u32 s35, 29
	s_cbranch_scc0 .LBB47_1069
; %bb.1068:
	global_load_b64 v[4:5], v[10:11], off
	s_mov_b32 s36, -1
	s_mov_b32 s34, 0
	s_branch .LBB47_1070
.LBB47_1069:
	s_mov_b32 s34, -1
                                        ; implicit-def: $vgpr4
.LBB47_1070:
	s_mov_b32 s37, 0
.LBB47_1071:
	s_delay_alu instid0(SALU_CYCLE_1)
	s_and_b32 vcc_lo, exec_lo, s37
	s_cbranch_vccz .LBB47_1087
; %bb.1072:
	s_cmp_lt_i32 s35, 27
	s_cbranch_scc1 .LBB47_1075
; %bb.1073:
	s_cmp_gt_i32 s35, 27
	s_cbranch_scc0 .LBB47_1076
; %bb.1074:
	s_wait_loadcnt 0x0
	global_load_b32 v4, v[10:11], off
	s_mov_b32 s36, 0
	s_branch .LBB47_1077
.LBB47_1075:
	s_mov_b32 s36, -1
                                        ; implicit-def: $vgpr4
	s_branch .LBB47_1080
.LBB47_1076:
	s_mov_b32 s36, -1
                                        ; implicit-def: $vgpr4
.LBB47_1077:
	s_delay_alu instid0(SALU_CYCLE_1)
	s_and_not1_b32 vcc_lo, exec_lo, s36
	s_cbranch_vccnz .LBB47_1079
; %bb.1078:
	s_wait_loadcnt 0x0
	global_load_u16 v4, v[10:11], off
.LBB47_1079:
	s_mov_b32 s36, 0
.LBB47_1080:
	s_delay_alu instid0(SALU_CYCLE_1)
	s_and_not1_b32 vcc_lo, exec_lo, s36
	s_cbranch_vccnz .LBB47_1086
; %bb.1081:
	global_load_u8 v1, v[10:11], off
	s_mov_b32 s37, 0
	s_mov_b32 s36, exec_lo
	s_wait_loadcnt 0x0
	v_cmpx_lt_i16_e32 0x7f, v1
	s_xor_b32 s36, exec_lo, s36
	s_cbranch_execz .LBB47_1098
; %bb.1082:
	v_cmp_ne_u16_e32 vcc_lo, 0x80, v1
	s_and_b32 s37, vcc_lo, exec_lo
	s_and_not1_saveexec_b32 s36, s36
	s_cbranch_execnz .LBB47_1099
.LBB47_1083:
	s_or_b32 exec_lo, exec_lo, s36
	v_mov_b32_e32 v4, 0
	s_and_saveexec_b32 s36, s37
	s_cbranch_execz .LBB47_1085
.LBB47_1084:
	v_and_b32_e32 v3, 0xffff, v1
	s_delay_alu instid0(VALU_DEP_1) | instskip(SKIP_1) | instid1(VALU_DEP_2)
	v_and_b32_e32 v4, 7, v3
	v_bfe_u32 v9, v3, 3, 4
	v_clz_i32_u32_e32 v5, v4
	s_delay_alu instid0(VALU_DEP_2) | instskip(NEXT) | instid1(VALU_DEP_2)
	v_cmp_eq_u32_e32 vcc_lo, 0, v9
	v_min_u32_e32 v5, 32, v5
	s_delay_alu instid0(VALU_DEP_1) | instskip(NEXT) | instid1(VALU_DEP_1)
	v_subrev_nc_u32_e32 v7, 28, v5
	v_dual_lshlrev_b32 v3, v7, v3 :: v_dual_sub_nc_u32 v5, 29, v5
	s_delay_alu instid0(VALU_DEP_1) | instskip(NEXT) | instid1(VALU_DEP_1)
	v_dual_lshlrev_b32 v1, 24, v1 :: v_dual_bitop2_b32 v3, 7, v3 bitop3:0x40
	v_dual_cndmask_b32 v3, v4, v3, vcc_lo :: v_dual_cndmask_b32 v5, v9, v5, vcc_lo
	s_delay_alu instid0(VALU_DEP_2) | instskip(NEXT) | instid1(VALU_DEP_2)
	v_and_b32_e32 v1, 0x80000000, v1
	v_lshlrev_b32_e32 v3, 20, v3
	s_delay_alu instid0(VALU_DEP_3) | instskip(NEXT) | instid1(VALU_DEP_1)
	v_lshl_add_u32 v4, v5, 23, 0x3b800000
	v_or3_b32 v1, v1, v4, v3
	s_delay_alu instid0(VALU_DEP_1)
	v_cvt_i32_f32_e32 v4, v1
.LBB47_1085:
	s_or_b32 exec_lo, exec_lo, s36
.LBB47_1086:
	s_mov_b32 s36, -1
.LBB47_1087:
	s_mov_b32 s37, 0
.LBB47_1088:
	s_delay_alu instid0(SALU_CYCLE_1)
	s_and_b32 vcc_lo, exec_lo, s37
	s_cbranch_vccz .LBB47_1121
; %bb.1089:
	s_cmp_gt_i32 s35, 22
	s_cbranch_scc0 .LBB47_1097
; %bb.1090:
	s_cmp_lt_i32 s35, 24
	s_cbranch_scc1 .LBB47_1100
; %bb.1091:
	s_cmp_gt_i32 s35, 24
	s_cbranch_scc0 .LBB47_1101
; %bb.1092:
	global_load_u8 v1, v[10:11], off
	s_mov_b32 s37, 0
	s_mov_b32 s36, exec_lo
	s_wait_loadcnt 0x0
	v_cmpx_lt_i16_e32 0x7f, v1
	s_xor_b32 s36, exec_lo, s36
	s_cbranch_execz .LBB47_1113
; %bb.1093:
	v_cmp_ne_u16_e32 vcc_lo, 0x80, v1
	s_and_b32 s37, vcc_lo, exec_lo
	s_and_not1_saveexec_b32 s36, s36
	s_cbranch_execnz .LBB47_1114
.LBB47_1094:
	s_or_b32 exec_lo, exec_lo, s36
	v_mov_b32_e32 v4, 0
	s_and_saveexec_b32 s36, s37
	s_cbranch_execz .LBB47_1096
.LBB47_1095:
	v_and_b32_e32 v3, 0xffff, v1
	s_delay_alu instid0(VALU_DEP_1) | instskip(SKIP_1) | instid1(VALU_DEP_2)
	v_and_b32_e32 v4, 3, v3
	v_bfe_u32 v9, v3, 2, 5
	v_clz_i32_u32_e32 v5, v4
	s_delay_alu instid0(VALU_DEP_2) | instskip(NEXT) | instid1(VALU_DEP_2)
	v_cmp_eq_u32_e32 vcc_lo, 0, v9
	v_min_u32_e32 v5, 32, v5
	s_delay_alu instid0(VALU_DEP_1) | instskip(NEXT) | instid1(VALU_DEP_1)
	v_subrev_nc_u32_e32 v7, 29, v5
	v_dual_lshlrev_b32 v3, v7, v3 :: v_dual_sub_nc_u32 v5, 30, v5
	s_delay_alu instid0(VALU_DEP_1) | instskip(NEXT) | instid1(VALU_DEP_1)
	v_dual_lshlrev_b32 v1, 24, v1 :: v_dual_bitop2_b32 v3, 3, v3 bitop3:0x40
	v_dual_cndmask_b32 v3, v4, v3, vcc_lo :: v_dual_cndmask_b32 v5, v9, v5, vcc_lo
	s_delay_alu instid0(VALU_DEP_2) | instskip(NEXT) | instid1(VALU_DEP_2)
	v_and_b32_e32 v1, 0x80000000, v1
	v_lshlrev_b32_e32 v3, 21, v3
	s_delay_alu instid0(VALU_DEP_3) | instskip(NEXT) | instid1(VALU_DEP_1)
	v_lshl_add_u32 v4, v5, 23, 0x37800000
	v_or3_b32 v1, v1, v4, v3
	s_delay_alu instid0(VALU_DEP_1)
	v_cvt_i32_f32_e32 v4, v1
.LBB47_1096:
	s_or_b32 exec_lo, exec_lo, s36
	s_mov_b32 s36, 0
	s_branch .LBB47_1102
.LBB47_1097:
	s_mov_b32 s37, -1
                                        ; implicit-def: $vgpr4
	s_branch .LBB47_1108
.LBB47_1098:
	s_and_not1_saveexec_b32 s36, s36
	s_cbranch_execz .LBB47_1083
.LBB47_1099:
	v_cmp_ne_u16_e32 vcc_lo, 0, v1
	s_and_not1_b32 s37, s37, exec_lo
	s_and_b32 s58, vcc_lo, exec_lo
	s_delay_alu instid0(SALU_CYCLE_1)
	s_or_b32 s37, s37, s58
	s_or_b32 exec_lo, exec_lo, s36
	v_mov_b32_e32 v4, 0
	s_and_saveexec_b32 s36, s37
	s_cbranch_execnz .LBB47_1084
	s_branch .LBB47_1085
.LBB47_1100:
	s_mov_b32 s36, -1
                                        ; implicit-def: $vgpr4
	s_branch .LBB47_1105
.LBB47_1101:
	s_mov_b32 s36, -1
                                        ; implicit-def: $vgpr4
.LBB47_1102:
	s_delay_alu instid0(SALU_CYCLE_1)
	s_and_b32 vcc_lo, exec_lo, s36
	s_cbranch_vccz .LBB47_1104
; %bb.1103:
	global_load_u8 v1, v[10:11], off
	s_wait_loadcnt 0x0
	v_lshlrev_b32_e32 v1, 24, v1
	s_delay_alu instid0(VALU_DEP_1) | instskip(NEXT) | instid1(VALU_DEP_1)
	v_and_b32_e32 v3, 0x7f000000, v1
	v_clz_i32_u32_e32 v4, v3
	v_add_nc_u32_e32 v7, 0x1000000, v3
	v_cmp_ne_u32_e32 vcc_lo, 0, v3
	s_delay_alu instid0(VALU_DEP_3) | instskip(NEXT) | instid1(VALU_DEP_1)
	v_min_u32_e32 v4, 32, v4
	v_sub_nc_u32_e64 v4, v4, 4 clamp
	s_delay_alu instid0(VALU_DEP_1) | instskip(NEXT) | instid1(VALU_DEP_1)
	v_dual_lshlrev_b32 v5, v4, v3 :: v_dual_lshlrev_b32 v4, 23, v4
	v_lshrrev_b32_e32 v5, 4, v5
	s_delay_alu instid0(VALU_DEP_1) | instskip(NEXT) | instid1(VALU_DEP_1)
	v_dual_sub_nc_u32 v4, v5, v4 :: v_dual_ashrrev_i32 v5, 8, v7
	v_add_nc_u32_e32 v4, 0x3c000000, v4
	s_delay_alu instid0(VALU_DEP_1) | instskip(NEXT) | instid1(VALU_DEP_1)
	v_and_or_b32 v4, 0x7f800000, v5, v4
	v_cndmask_b32_e32 v3, 0, v4, vcc_lo
	s_delay_alu instid0(VALU_DEP_1) | instskip(NEXT) | instid1(VALU_DEP_1)
	v_and_or_b32 v1, 0x80000000, v1, v3
	v_cvt_i32_f32_e32 v4, v1
.LBB47_1104:
	s_mov_b32 s36, 0
.LBB47_1105:
	s_delay_alu instid0(SALU_CYCLE_1)
	s_and_not1_b32 vcc_lo, exec_lo, s36
	s_cbranch_vccnz .LBB47_1107
; %bb.1106:
	global_load_u8 v1, v[10:11], off
	s_wait_loadcnt 0x0
	v_lshlrev_b32_e32 v3, 25, v1
	v_lshlrev_b16 v1, 8, v1
	s_delay_alu instid0(VALU_DEP_1) | instskip(NEXT) | instid1(VALU_DEP_3)
	v_and_or_b32 v5, 0x7f00, v1, 0.5
	v_lshrrev_b32_e32 v4, 4, v3
	v_bfe_i32 v1, v1, 0, 16
	s_delay_alu instid0(VALU_DEP_3) | instskip(NEXT) | instid1(VALU_DEP_3)
	v_add_f32_e32 v5, -0.5, v5
	v_or_b32_e32 v4, 0x70000000, v4
	s_delay_alu instid0(VALU_DEP_1) | instskip(SKIP_1) | instid1(VALU_DEP_2)
	v_mul_f32_e32 v4, 0x7800000, v4
	v_cmp_gt_u32_e32 vcc_lo, 0x8000000, v3
	v_cndmask_b32_e32 v3, v4, v5, vcc_lo
	s_delay_alu instid0(VALU_DEP_1) | instskip(NEXT) | instid1(VALU_DEP_1)
	v_and_or_b32 v1, 0x80000000, v1, v3
	v_cvt_i32_f32_e32 v4, v1
.LBB47_1107:
	s_mov_b32 s37, 0
	s_mov_b32 s36, -1
.LBB47_1108:
	s_and_not1_b32 vcc_lo, exec_lo, s37
	s_cbranch_vccnz .LBB47_1121
; %bb.1109:
	s_cmp_gt_i32 s35, 14
	s_cbranch_scc0 .LBB47_1112
; %bb.1110:
	s_cmp_eq_u32 s35, 15
	s_cbranch_scc0 .LBB47_1115
; %bb.1111:
	global_load_u16 v1, v[10:11], off
	s_mov_b32 s36, -1
	s_mov_b32 s34, 0
	s_wait_loadcnt 0x0
	v_lshlrev_b32_e32 v1, 16, v1
	s_delay_alu instid0(VALU_DEP_1)
	v_cvt_i32_f32_e32 v4, v1
	s_branch .LBB47_1116
.LBB47_1112:
	s_mov_b32 s37, -1
                                        ; implicit-def: $vgpr4
	s_branch .LBB47_1117
.LBB47_1113:
	s_and_not1_saveexec_b32 s36, s36
	s_cbranch_execz .LBB47_1094
.LBB47_1114:
	v_cmp_ne_u16_e32 vcc_lo, 0, v1
	s_and_not1_b32 s37, s37, exec_lo
	s_and_b32 s58, vcc_lo, exec_lo
	s_delay_alu instid0(SALU_CYCLE_1)
	s_or_b32 s37, s37, s58
	s_or_b32 exec_lo, exec_lo, s36
	v_mov_b32_e32 v4, 0
	s_and_saveexec_b32 s36, s37
	s_cbranch_execnz .LBB47_1095
	s_branch .LBB47_1096
.LBB47_1115:
	s_mov_b32 s34, -1
                                        ; implicit-def: $vgpr4
.LBB47_1116:
	s_mov_b32 s37, 0
.LBB47_1117:
	s_delay_alu instid0(SALU_CYCLE_1)
	s_and_b32 vcc_lo, exec_lo, s37
	s_cbranch_vccz .LBB47_1121
; %bb.1118:
	s_cmp_eq_u32 s35, 11
	s_cbranch_scc0 .LBB47_1120
; %bb.1119:
	global_load_u8 v1, v[10:11], off
	s_mov_b32 s34, 0
	s_mov_b32 s36, -1
	s_wait_loadcnt 0x0
	v_cmp_ne_u16_e32 vcc_lo, 0, v1
	v_cndmask_b32_e64 v4, 0, 1, vcc_lo
	s_branch .LBB47_1121
.LBB47_1120:
	s_mov_b32 s34, -1
                                        ; implicit-def: $vgpr4
.LBB47_1121:
	s_mov_b32 s35, 0
.LBB47_1122:
	s_delay_alu instid0(SALU_CYCLE_1)
	s_and_b32 vcc_lo, exec_lo, s35
	s_cbranch_vccz .LBB47_1171
; %bb.1123:
	s_and_b32 s0, 0xffff, s0
	s_delay_alu instid0(SALU_CYCLE_1)
	s_cmp_lt_i32 s0, 5
	s_cbranch_scc1 .LBB47_1128
; %bb.1124:
	s_cmp_lt_i32 s0, 8
	s_cbranch_scc1 .LBB47_1129
; %bb.1125:
	;; [unrolled: 3-line block ×3, first 2 shown]
	s_cmp_gt_i32 s0, 9
	s_cbranch_scc0 .LBB47_1131
; %bb.1127:
	s_wait_loadcnt 0x0
	global_load_b64 v[4:5], v[10:11], off
	s_mov_b32 s35, 0
	s_wait_loadcnt 0x0
	v_cvt_i32_f64_e32 v4, v[4:5]
	s_branch .LBB47_1132
.LBB47_1128:
	s_mov_b32 s35, -1
                                        ; implicit-def: $vgpr4
	s_branch .LBB47_1150
.LBB47_1129:
	s_mov_b32 s35, -1
                                        ; implicit-def: $vgpr4
	s_branch .LBB47_1138
.LBB47_1130:
	s_mov_b32 s35, -1
                                        ; implicit-def: $vgpr4
	s_branch .LBB47_1135
.LBB47_1131:
	s_mov_b32 s35, -1
                                        ; implicit-def: $vgpr4
.LBB47_1132:
	s_delay_alu instid0(SALU_CYCLE_1)
	s_and_not1_b32 vcc_lo, exec_lo, s35
	s_cbranch_vccnz .LBB47_1134
; %bb.1133:
	global_load_b32 v1, v[10:11], off
	s_wait_loadcnt 0x0
	v_cvt_i32_f32_e32 v4, v1
.LBB47_1134:
	s_mov_b32 s35, 0
.LBB47_1135:
	s_delay_alu instid0(SALU_CYCLE_1)
	s_and_not1_b32 vcc_lo, exec_lo, s35
	s_cbranch_vccnz .LBB47_1137
; %bb.1136:
	global_load_b32 v1, v[10:11], off
	s_wait_loadcnt 0x0
	v_cvt_i16_f16_e32 v4, v1
.LBB47_1137:
	s_mov_b32 s35, 0
.LBB47_1138:
	s_delay_alu instid0(SALU_CYCLE_1)
	s_and_not1_b32 vcc_lo, exec_lo, s35
	s_cbranch_vccnz .LBB47_1149
; %bb.1139:
	s_cmp_lt_i32 s0, 6
	s_cbranch_scc1 .LBB47_1142
; %bb.1140:
	s_cmp_gt_i32 s0, 6
	s_cbranch_scc0 .LBB47_1143
; %bb.1141:
	s_wait_loadcnt 0x0
	global_load_b64 v[4:5], v[10:11], off
	s_mov_b32 s35, 0
	s_wait_loadcnt 0x0
	v_cvt_i32_f64_e32 v4, v[4:5]
	s_branch .LBB47_1144
.LBB47_1142:
	s_mov_b32 s35, -1
                                        ; implicit-def: $vgpr4
	s_branch .LBB47_1147
.LBB47_1143:
	s_mov_b32 s35, -1
                                        ; implicit-def: $vgpr4
.LBB47_1144:
	s_delay_alu instid0(SALU_CYCLE_1)
	s_and_not1_b32 vcc_lo, exec_lo, s35
	s_cbranch_vccnz .LBB47_1146
; %bb.1145:
	global_load_b32 v1, v[10:11], off
	s_wait_loadcnt 0x0
	v_cvt_i32_f32_e32 v4, v1
.LBB47_1146:
	s_mov_b32 s35, 0
.LBB47_1147:
	s_delay_alu instid0(SALU_CYCLE_1)
	s_and_not1_b32 vcc_lo, exec_lo, s35
	s_cbranch_vccnz .LBB47_1149
; %bb.1148:
	global_load_u16 v1, v[10:11], off
	s_wait_loadcnt 0x0
	v_cvt_i16_f16_e32 v4, v1
.LBB47_1149:
	s_mov_b32 s35, 0
.LBB47_1150:
	s_delay_alu instid0(SALU_CYCLE_1)
	s_and_not1_b32 vcc_lo, exec_lo, s35
	s_cbranch_vccnz .LBB47_1170
; %bb.1151:
	s_cmp_lt_i32 s0, 2
	s_cbranch_scc1 .LBB47_1155
; %bb.1152:
	s_cmp_lt_i32 s0, 3
	s_cbranch_scc1 .LBB47_1156
; %bb.1153:
	s_cmp_gt_i32 s0, 3
	s_cbranch_scc0 .LBB47_1157
; %bb.1154:
	s_wait_loadcnt 0x0
	global_load_b64 v[4:5], v[10:11], off
	s_mov_b32 s35, 0
	s_branch .LBB47_1158
.LBB47_1155:
	s_mov_b32 s35, -1
                                        ; implicit-def: $vgpr4
	s_branch .LBB47_1164
.LBB47_1156:
	s_mov_b32 s35, -1
                                        ; implicit-def: $vgpr4
	s_branch .LBB47_1161
.LBB47_1157:
	s_mov_b32 s35, -1
                                        ; implicit-def: $vgpr4
.LBB47_1158:
	s_delay_alu instid0(SALU_CYCLE_1)
	s_and_not1_b32 vcc_lo, exec_lo, s35
	s_cbranch_vccnz .LBB47_1160
; %bb.1159:
	s_wait_loadcnt 0x0
	global_load_b32 v4, v[10:11], off
.LBB47_1160:
	s_mov_b32 s35, 0
.LBB47_1161:
	s_delay_alu instid0(SALU_CYCLE_1)
	s_and_not1_b32 vcc_lo, exec_lo, s35
	s_cbranch_vccnz .LBB47_1163
; %bb.1162:
	s_wait_loadcnt 0x0
	global_load_u16 v4, v[10:11], off
.LBB47_1163:
	s_mov_b32 s35, 0
.LBB47_1164:
	s_delay_alu instid0(SALU_CYCLE_1)
	s_and_not1_b32 vcc_lo, exec_lo, s35
	s_cbranch_vccnz .LBB47_1170
; %bb.1165:
	s_cmp_gt_i32 s0, 0
	s_mov_b32 s0, 0
	s_cbranch_scc0 .LBB47_1167
; %bb.1166:
	s_wait_loadcnt 0x0
	global_load_u8 v4, v[10:11], off
	s_branch .LBB47_1168
.LBB47_1167:
	s_mov_b32 s0, -1
                                        ; implicit-def: $vgpr4
.LBB47_1168:
	s_delay_alu instid0(SALU_CYCLE_1)
	s_and_not1_b32 vcc_lo, exec_lo, s0
	s_cbranch_vccnz .LBB47_1170
; %bb.1169:
	s_wait_loadcnt 0x0
	global_load_u8 v4, v[10:11], off
.LBB47_1170:
	s_mov_b32 s36, -1
.LBB47_1171:
	s_delay_alu instid0(SALU_CYCLE_1)
	s_and_not1_b32 vcc_lo, exec_lo, s36
	s_cbranch_vccnz .LBB47_1179
; %bb.1172:
	v_mov_b32_e32 v9, 0
	s_and_b32 s0, s25, 0xff
	s_delay_alu instid0(SALU_CYCLE_1) | instskip(SKIP_1) | instid1(VALU_DEP_1)
	s_cmp_lt_i32 s0, 11
	s_wait_xcnt 0x0
	v_add_nc_u64_e32 v[10:11], s[8:9], v[8:9]
	s_cbranch_scc1 .LBB47_1180
; %bb.1173:
	s_and_b32 s36, 0xffff, s0
	s_delay_alu instid0(SALU_CYCLE_1)
	s_cmp_gt_i32 s36, 25
	s_cbranch_scc0 .LBB47_1181
; %bb.1174:
	s_cmp_gt_i32 s36, 28
	s_cbranch_scc0 .LBB47_1182
; %bb.1175:
	;; [unrolled: 3-line block ×4, first 2 shown]
	s_cmp_eq_u32 s36, 46
	s_mov_b32 s58, 0
	s_cbranch_scc0 .LBB47_1187
; %bb.1178:
	global_load_b32 v1, v[10:11], off
	s_mov_b32 s37, -1
	s_mov_b32 s35, 0
	s_wait_loadcnt 0x0
	v_lshlrev_b32_e32 v1, 16, v1
	s_delay_alu instid0(VALU_DEP_1)
	v_cvt_i32_f32_e32 v8, v1
	s_branch .LBB47_1189
.LBB47_1179:
	s_mov_b32 s37, 0
	s_mov_b32 s0, s53
	;; [unrolled: 1-line block ×4, first 2 shown]
	s_branch .LBB47_1552
.LBB47_1180:
	s_mov_b32 s36, -1
	s_mov_b32 s37, 0
	s_mov_b32 s35, s55
                                        ; implicit-def: $vgpr8
	s_branch .LBB47_1250
.LBB47_1181:
	s_mov_b32 s58, -1
	s_mov_b32 s37, 0
	s_mov_b32 s35, s55
                                        ; implicit-def: $vgpr8
	s_branch .LBB47_1216
.LBB47_1182:
	s_mov_b32 s58, -1
	s_mov_b32 s37, 0
	s_mov_b32 s35, s55
                                        ; implicit-def: $vgpr8
	s_branch .LBB47_1199
.LBB47_1183:
	s_mov_b32 s58, -1
	s_mov_b32 s37, 0
	s_mov_b32 s35, s55
                                        ; implicit-def: $vgpr8
	s_branch .LBB47_1194
.LBB47_1184:
	s_mov_b32 s58, -1
	s_mov_b32 s37, 0
	s_mov_b32 s35, s55
	s_branch .LBB47_1188
.LBB47_1185:
	s_and_not1_saveexec_b32 s55, s55
	s_cbranch_execz .LBB47_941
.LBB47_1186:
	v_add_f32_e64 v5, 0x46000000, |v4|
	s_and_not1_b32 s54, s54, exec_lo
	s_delay_alu instid0(VALU_DEP_1) | instskip(NEXT) | instid1(VALU_DEP_1)
	v_and_b32_e32 v5, 0xff, v5
	v_cmp_ne_u32_e32 vcc_lo, 0, v5
	s_and_b32 s57, vcc_lo, exec_lo
	s_delay_alu instid0(SALU_CYCLE_1)
	s_or_b32 s54, s54, s57
	s_or_b32 exec_lo, exec_lo, s55
	v_mov_b32_e32 v6, 0
	s_and_saveexec_b32 s55, s54
	s_cbranch_execnz .LBB47_942
	s_branch .LBB47_943
.LBB47_1187:
	s_mov_b32 s35, -1
	s_mov_b32 s37, 0
.LBB47_1188:
                                        ; implicit-def: $vgpr8
.LBB47_1189:
	s_and_b32 vcc_lo, exec_lo, s58
	s_cbranch_vccz .LBB47_1193
; %bb.1190:
	s_cmp_eq_u32 s36, 44
	s_cbranch_scc0 .LBB47_1192
; %bb.1191:
	global_load_u8 v1, v[10:11], off
	s_mov_b32 s35, 0
	s_mov_b32 s37, -1
	s_wait_loadcnt 0x0
	v_lshlrev_b32_e32 v3, 23, v1
	v_cmp_ne_u32_e32 vcc_lo, 0, v1
	s_delay_alu instid0(VALU_DEP_2) | instskip(NEXT) | instid1(VALU_DEP_1)
	v_cvt_i32_f32_e32 v3, v3
	v_cndmask_b32_e32 v8, 0, v3, vcc_lo
	s_branch .LBB47_1193
.LBB47_1192:
	s_mov_b32 s35, -1
                                        ; implicit-def: $vgpr8
.LBB47_1193:
	s_mov_b32 s58, 0
.LBB47_1194:
	s_delay_alu instid0(SALU_CYCLE_1)
	s_and_b32 vcc_lo, exec_lo, s58
	s_cbranch_vccz .LBB47_1198
; %bb.1195:
	s_cmp_eq_u32 s36, 29
	s_cbranch_scc0 .LBB47_1197
; %bb.1196:
	global_load_b64 v[8:9], v[10:11], off
	s_mov_b32 s37, -1
	s_mov_b32 s35, 0
	s_branch .LBB47_1198
.LBB47_1197:
	s_mov_b32 s35, -1
                                        ; implicit-def: $vgpr8
.LBB47_1198:
	s_mov_b32 s58, 0
.LBB47_1199:
	s_delay_alu instid0(SALU_CYCLE_1)
	s_and_b32 vcc_lo, exec_lo, s58
	s_cbranch_vccz .LBB47_1215
; %bb.1200:
	s_cmp_lt_i32 s36, 27
	s_cbranch_scc1 .LBB47_1203
; %bb.1201:
	s_cmp_gt_i32 s36, 27
	s_cbranch_scc0 .LBB47_1204
; %bb.1202:
	s_wait_loadcnt 0x0
	global_load_b32 v8, v[10:11], off
	s_mov_b32 s37, 0
	s_branch .LBB47_1205
.LBB47_1203:
	s_mov_b32 s37, -1
                                        ; implicit-def: $vgpr8
	s_branch .LBB47_1208
.LBB47_1204:
	s_mov_b32 s37, -1
                                        ; implicit-def: $vgpr8
.LBB47_1205:
	s_delay_alu instid0(SALU_CYCLE_1)
	s_and_not1_b32 vcc_lo, exec_lo, s37
	s_cbranch_vccnz .LBB47_1207
; %bb.1206:
	s_wait_loadcnt 0x0
	global_load_u16 v8, v[10:11], off
.LBB47_1207:
	s_mov_b32 s37, 0
.LBB47_1208:
	s_delay_alu instid0(SALU_CYCLE_1)
	s_and_not1_b32 vcc_lo, exec_lo, s37
	s_cbranch_vccnz .LBB47_1214
; %bb.1209:
	global_load_u8 v1, v[10:11], off
	s_mov_b32 s58, 0
	s_mov_b32 s37, exec_lo
	s_wait_loadcnt 0x0
	v_cmpx_lt_i16_e32 0x7f, v1
	s_xor_b32 s37, exec_lo, s37
	s_cbranch_execz .LBB47_1226
; %bb.1210:
	v_cmp_ne_u16_e32 vcc_lo, 0x80, v1
	s_and_b32 s58, vcc_lo, exec_lo
	s_and_not1_saveexec_b32 s37, s37
	s_cbranch_execnz .LBB47_1227
.LBB47_1211:
	s_or_b32 exec_lo, exec_lo, s37
	v_mov_b32_e32 v8, 0
	s_and_saveexec_b32 s37, s58
	s_cbranch_execz .LBB47_1213
.LBB47_1212:
	v_and_b32_e32 v3, 0xffff, v1
	s_delay_alu instid0(VALU_DEP_1) | instskip(SKIP_1) | instid1(VALU_DEP_2)
	v_dual_lshlrev_b32 v1, 24, v1 :: v_dual_bitop2_b32 v5, 7, v3 bitop3:0x40
	v_bfe_u32 v9, v3, 3, 4
	v_and_b32_e32 v1, 0x80000000, v1
	s_delay_alu instid0(VALU_DEP_3) | instskip(NEXT) | instid1(VALU_DEP_3)
	v_clz_i32_u32_e32 v7, v5
	v_cmp_eq_u32_e32 vcc_lo, 0, v9
	s_delay_alu instid0(VALU_DEP_2) | instskip(NEXT) | instid1(VALU_DEP_1)
	v_min_u32_e32 v7, 32, v7
	v_subrev_nc_u32_e32 v8, 28, v7
	v_sub_nc_u32_e32 v7, 29, v7
	s_delay_alu instid0(VALU_DEP_2) | instskip(NEXT) | instid1(VALU_DEP_2)
	v_lshlrev_b32_e32 v3, v8, v3
	v_cndmask_b32_e32 v7, v9, v7, vcc_lo
	s_delay_alu instid0(VALU_DEP_2) | instskip(NEXT) | instid1(VALU_DEP_1)
	v_and_b32_e32 v3, 7, v3
	v_cndmask_b32_e32 v3, v5, v3, vcc_lo
	s_delay_alu instid0(VALU_DEP_3) | instskip(NEXT) | instid1(VALU_DEP_2)
	v_lshl_add_u32 v5, v7, 23, 0x3b800000
	v_lshlrev_b32_e32 v3, 20, v3
	s_delay_alu instid0(VALU_DEP_1) | instskip(NEXT) | instid1(VALU_DEP_1)
	v_or3_b32 v1, v1, v5, v3
	v_cvt_i32_f32_e32 v8, v1
.LBB47_1213:
	s_or_b32 exec_lo, exec_lo, s37
.LBB47_1214:
	s_mov_b32 s37, -1
.LBB47_1215:
	s_mov_b32 s58, 0
.LBB47_1216:
	s_delay_alu instid0(SALU_CYCLE_1)
	s_and_b32 vcc_lo, exec_lo, s58
	s_cbranch_vccz .LBB47_1249
; %bb.1217:
	s_cmp_gt_i32 s36, 22
	s_cbranch_scc0 .LBB47_1225
; %bb.1218:
	s_cmp_lt_i32 s36, 24
	s_cbranch_scc1 .LBB47_1228
; %bb.1219:
	s_cmp_gt_i32 s36, 24
	s_cbranch_scc0 .LBB47_1229
; %bb.1220:
	global_load_u8 v1, v[10:11], off
	s_mov_b32 s58, 0
	s_mov_b32 s37, exec_lo
	s_wait_loadcnt 0x0
	v_cmpx_lt_i16_e32 0x7f, v1
	s_xor_b32 s37, exec_lo, s37
	s_cbranch_execz .LBB47_1241
; %bb.1221:
	v_cmp_ne_u16_e32 vcc_lo, 0x80, v1
	s_and_b32 s58, vcc_lo, exec_lo
	s_and_not1_saveexec_b32 s37, s37
	s_cbranch_execnz .LBB47_1242
.LBB47_1222:
	s_or_b32 exec_lo, exec_lo, s37
	v_mov_b32_e32 v8, 0
	s_and_saveexec_b32 s37, s58
	s_cbranch_execz .LBB47_1224
.LBB47_1223:
	v_and_b32_e32 v3, 0xffff, v1
	s_delay_alu instid0(VALU_DEP_1) | instskip(SKIP_1) | instid1(VALU_DEP_2)
	v_dual_lshlrev_b32 v1, 24, v1 :: v_dual_bitop2_b32 v5, 3, v3 bitop3:0x40
	v_bfe_u32 v9, v3, 2, 5
	v_and_b32_e32 v1, 0x80000000, v1
	s_delay_alu instid0(VALU_DEP_3) | instskip(NEXT) | instid1(VALU_DEP_3)
	v_clz_i32_u32_e32 v7, v5
	v_cmp_eq_u32_e32 vcc_lo, 0, v9
	s_delay_alu instid0(VALU_DEP_2) | instskip(NEXT) | instid1(VALU_DEP_1)
	v_min_u32_e32 v7, 32, v7
	v_subrev_nc_u32_e32 v8, 29, v7
	v_sub_nc_u32_e32 v7, 30, v7
	s_delay_alu instid0(VALU_DEP_2) | instskip(NEXT) | instid1(VALU_DEP_2)
	v_lshlrev_b32_e32 v3, v8, v3
	v_cndmask_b32_e32 v7, v9, v7, vcc_lo
	s_delay_alu instid0(VALU_DEP_2) | instskip(NEXT) | instid1(VALU_DEP_1)
	v_and_b32_e32 v3, 3, v3
	v_cndmask_b32_e32 v3, v5, v3, vcc_lo
	s_delay_alu instid0(VALU_DEP_3) | instskip(NEXT) | instid1(VALU_DEP_2)
	v_lshl_add_u32 v5, v7, 23, 0x37800000
	v_lshlrev_b32_e32 v3, 21, v3
	s_delay_alu instid0(VALU_DEP_1) | instskip(NEXT) | instid1(VALU_DEP_1)
	v_or3_b32 v1, v1, v5, v3
	v_cvt_i32_f32_e32 v8, v1
.LBB47_1224:
	s_or_b32 exec_lo, exec_lo, s37
	s_mov_b32 s37, 0
	s_branch .LBB47_1230
.LBB47_1225:
	s_mov_b32 s58, -1
                                        ; implicit-def: $vgpr8
	s_branch .LBB47_1236
.LBB47_1226:
	s_and_not1_saveexec_b32 s37, s37
	s_cbranch_execz .LBB47_1211
.LBB47_1227:
	v_cmp_ne_u16_e32 vcc_lo, 0, v1
	s_and_not1_b32 s58, s58, exec_lo
	s_and_b32 s59, vcc_lo, exec_lo
	s_delay_alu instid0(SALU_CYCLE_1)
	s_or_b32 s58, s58, s59
	s_or_b32 exec_lo, exec_lo, s37
	v_mov_b32_e32 v8, 0
	s_and_saveexec_b32 s37, s58
	s_cbranch_execnz .LBB47_1212
	s_branch .LBB47_1213
.LBB47_1228:
	s_mov_b32 s37, -1
                                        ; implicit-def: $vgpr8
	s_branch .LBB47_1233
.LBB47_1229:
	s_mov_b32 s37, -1
                                        ; implicit-def: $vgpr8
.LBB47_1230:
	s_delay_alu instid0(SALU_CYCLE_1)
	s_and_b32 vcc_lo, exec_lo, s37
	s_cbranch_vccz .LBB47_1232
; %bb.1231:
	global_load_u8 v1, v[10:11], off
	s_wait_loadcnt 0x0
	v_lshlrev_b32_e32 v1, 24, v1
	s_delay_alu instid0(VALU_DEP_1) | instskip(NEXT) | instid1(VALU_DEP_1)
	v_and_b32_e32 v3, 0x7f000000, v1
	v_clz_i32_u32_e32 v5, v3
	v_cmp_ne_u32_e32 vcc_lo, 0, v3
	v_add_nc_u32_e32 v8, 0x1000000, v3
	s_delay_alu instid0(VALU_DEP_3) | instskip(NEXT) | instid1(VALU_DEP_1)
	v_min_u32_e32 v5, 32, v5
	v_sub_nc_u32_e64 v5, v5, 4 clamp
	s_delay_alu instid0(VALU_DEP_1) | instskip(NEXT) | instid1(VALU_DEP_1)
	v_dual_lshlrev_b32 v7, v5, v3 :: v_dual_lshlrev_b32 v5, 23, v5
	v_lshrrev_b32_e32 v7, 4, v7
	s_delay_alu instid0(VALU_DEP_1) | instskip(NEXT) | instid1(VALU_DEP_1)
	v_dual_sub_nc_u32 v5, v7, v5 :: v_dual_ashrrev_i32 v7, 8, v8
	v_add_nc_u32_e32 v5, 0x3c000000, v5
	s_delay_alu instid0(VALU_DEP_1) | instskip(NEXT) | instid1(VALU_DEP_1)
	v_and_or_b32 v5, 0x7f800000, v7, v5
	v_cndmask_b32_e32 v3, 0, v5, vcc_lo
	s_delay_alu instid0(VALU_DEP_1) | instskip(NEXT) | instid1(VALU_DEP_1)
	v_and_or_b32 v1, 0x80000000, v1, v3
	v_cvt_i32_f32_e32 v8, v1
.LBB47_1232:
	s_mov_b32 s37, 0
.LBB47_1233:
	s_delay_alu instid0(SALU_CYCLE_1)
	s_and_not1_b32 vcc_lo, exec_lo, s37
	s_cbranch_vccnz .LBB47_1235
; %bb.1234:
	global_load_u8 v1, v[10:11], off
	s_wait_loadcnt 0x0
	v_lshlrev_b32_e32 v3, 25, v1
	v_lshlrev_b16 v1, 8, v1
	s_delay_alu instid0(VALU_DEP_1) | instskip(SKIP_1) | instid1(VALU_DEP_2)
	v_and_or_b32 v7, 0x7f00, v1, 0.5
	v_bfe_i32 v1, v1, 0, 16
	v_add_f32_e32 v7, -0.5, v7
	v_lshrrev_b32_e32 v5, 4, v3
	v_cmp_gt_u32_e32 vcc_lo, 0x8000000, v3
	s_delay_alu instid0(VALU_DEP_2) | instskip(NEXT) | instid1(VALU_DEP_1)
	v_or_b32_e32 v5, 0x70000000, v5
	v_mul_f32_e32 v5, 0x7800000, v5
	s_delay_alu instid0(VALU_DEP_1) | instskip(NEXT) | instid1(VALU_DEP_1)
	v_cndmask_b32_e32 v3, v5, v7, vcc_lo
	v_and_or_b32 v1, 0x80000000, v1, v3
	s_delay_alu instid0(VALU_DEP_1)
	v_cvt_i32_f32_e32 v8, v1
.LBB47_1235:
	s_mov_b32 s58, 0
	s_mov_b32 s37, -1
.LBB47_1236:
	s_and_not1_b32 vcc_lo, exec_lo, s58
	s_cbranch_vccnz .LBB47_1249
; %bb.1237:
	s_cmp_gt_i32 s36, 14
	s_cbranch_scc0 .LBB47_1240
; %bb.1238:
	s_cmp_eq_u32 s36, 15
	s_cbranch_scc0 .LBB47_1243
; %bb.1239:
	global_load_u16 v1, v[10:11], off
	s_mov_b32 s37, -1
	s_mov_b32 s35, 0
	s_wait_loadcnt 0x0
	v_lshlrev_b32_e32 v1, 16, v1
	s_delay_alu instid0(VALU_DEP_1)
	v_cvt_i32_f32_e32 v8, v1
	s_branch .LBB47_1244
.LBB47_1240:
	s_mov_b32 s58, -1
                                        ; implicit-def: $vgpr8
	s_branch .LBB47_1245
.LBB47_1241:
	s_and_not1_saveexec_b32 s37, s37
	s_cbranch_execz .LBB47_1222
.LBB47_1242:
	v_cmp_ne_u16_e32 vcc_lo, 0, v1
	s_and_not1_b32 s58, s58, exec_lo
	s_and_b32 s59, vcc_lo, exec_lo
	s_delay_alu instid0(SALU_CYCLE_1)
	s_or_b32 s58, s58, s59
	s_or_b32 exec_lo, exec_lo, s37
	v_mov_b32_e32 v8, 0
	s_and_saveexec_b32 s37, s58
	s_cbranch_execnz .LBB47_1223
	s_branch .LBB47_1224
.LBB47_1243:
	s_mov_b32 s35, -1
                                        ; implicit-def: $vgpr8
.LBB47_1244:
	s_mov_b32 s58, 0
.LBB47_1245:
	s_delay_alu instid0(SALU_CYCLE_1)
	s_and_b32 vcc_lo, exec_lo, s58
	s_cbranch_vccz .LBB47_1249
; %bb.1246:
	s_cmp_eq_u32 s36, 11
	s_cbranch_scc0 .LBB47_1248
; %bb.1247:
	global_load_u8 v1, v[10:11], off
	s_mov_b32 s35, 0
	s_mov_b32 s37, -1
	s_wait_loadcnt 0x0
	v_cmp_ne_u16_e32 vcc_lo, 0, v1
	v_cndmask_b32_e64 v8, 0, 1, vcc_lo
	s_branch .LBB47_1249
.LBB47_1248:
	s_mov_b32 s35, -1
                                        ; implicit-def: $vgpr8
.LBB47_1249:
	s_mov_b32 s36, 0
.LBB47_1250:
	s_delay_alu instid0(SALU_CYCLE_1)
	s_and_b32 vcc_lo, exec_lo, s36
	s_cbranch_vccz .LBB47_1299
; %bb.1251:
	s_and_b32 s0, 0xffff, s0
	s_delay_alu instid0(SALU_CYCLE_1)
	s_cmp_lt_i32 s0, 5
	s_cbranch_scc1 .LBB47_1256
; %bb.1252:
	s_cmp_lt_i32 s0, 8
	s_cbranch_scc1 .LBB47_1257
; %bb.1253:
	;; [unrolled: 3-line block ×3, first 2 shown]
	s_cmp_gt_i32 s0, 9
	s_cbranch_scc0 .LBB47_1259
; %bb.1255:
	s_wait_loadcnt 0x0
	global_load_b64 v[8:9], v[10:11], off
	s_mov_b32 s36, 0
	s_wait_loadcnt 0x0
	v_cvt_i32_f64_e32 v8, v[8:9]
	s_branch .LBB47_1260
.LBB47_1256:
	s_mov_b32 s36, -1
                                        ; implicit-def: $vgpr8
	s_branch .LBB47_1278
.LBB47_1257:
	s_mov_b32 s36, -1
                                        ; implicit-def: $vgpr8
	s_branch .LBB47_1266
.LBB47_1258:
	s_mov_b32 s36, -1
                                        ; implicit-def: $vgpr8
	s_branch .LBB47_1263
.LBB47_1259:
	s_mov_b32 s36, -1
                                        ; implicit-def: $vgpr8
.LBB47_1260:
	s_delay_alu instid0(SALU_CYCLE_1)
	s_and_not1_b32 vcc_lo, exec_lo, s36
	s_cbranch_vccnz .LBB47_1262
; %bb.1261:
	global_load_b32 v1, v[10:11], off
	s_wait_loadcnt 0x0
	v_cvt_i32_f32_e32 v8, v1
.LBB47_1262:
	s_mov_b32 s36, 0
.LBB47_1263:
	s_delay_alu instid0(SALU_CYCLE_1)
	s_and_not1_b32 vcc_lo, exec_lo, s36
	s_cbranch_vccnz .LBB47_1265
; %bb.1264:
	global_load_b32 v1, v[10:11], off
	s_wait_loadcnt 0x0
	v_cvt_i16_f16_e32 v8, v1
.LBB47_1265:
	s_mov_b32 s36, 0
.LBB47_1266:
	s_delay_alu instid0(SALU_CYCLE_1)
	s_and_not1_b32 vcc_lo, exec_lo, s36
	s_cbranch_vccnz .LBB47_1277
; %bb.1267:
	s_cmp_lt_i32 s0, 6
	s_cbranch_scc1 .LBB47_1270
; %bb.1268:
	s_cmp_gt_i32 s0, 6
	s_cbranch_scc0 .LBB47_1271
; %bb.1269:
	s_wait_loadcnt 0x0
	global_load_b64 v[8:9], v[10:11], off
	s_mov_b32 s36, 0
	s_wait_loadcnt 0x0
	v_cvt_i32_f64_e32 v8, v[8:9]
	s_branch .LBB47_1272
.LBB47_1270:
	s_mov_b32 s36, -1
                                        ; implicit-def: $vgpr8
	s_branch .LBB47_1275
.LBB47_1271:
	s_mov_b32 s36, -1
                                        ; implicit-def: $vgpr8
.LBB47_1272:
	s_delay_alu instid0(SALU_CYCLE_1)
	s_and_not1_b32 vcc_lo, exec_lo, s36
	s_cbranch_vccnz .LBB47_1274
; %bb.1273:
	global_load_b32 v1, v[10:11], off
	s_wait_loadcnt 0x0
	v_cvt_i32_f32_e32 v8, v1
.LBB47_1274:
	s_mov_b32 s36, 0
.LBB47_1275:
	s_delay_alu instid0(SALU_CYCLE_1)
	s_and_not1_b32 vcc_lo, exec_lo, s36
	s_cbranch_vccnz .LBB47_1277
; %bb.1276:
	global_load_u16 v1, v[10:11], off
	s_wait_loadcnt 0x0
	v_cvt_i16_f16_e32 v8, v1
.LBB47_1277:
	s_mov_b32 s36, 0
.LBB47_1278:
	s_delay_alu instid0(SALU_CYCLE_1)
	s_and_not1_b32 vcc_lo, exec_lo, s36
	s_cbranch_vccnz .LBB47_1298
; %bb.1279:
	s_cmp_lt_i32 s0, 2
	s_cbranch_scc1 .LBB47_1283
; %bb.1280:
	s_cmp_lt_i32 s0, 3
	s_cbranch_scc1 .LBB47_1284
; %bb.1281:
	s_cmp_gt_i32 s0, 3
	s_cbranch_scc0 .LBB47_1285
; %bb.1282:
	s_wait_loadcnt 0x0
	global_load_b64 v[8:9], v[10:11], off
	s_mov_b32 s36, 0
	s_branch .LBB47_1286
.LBB47_1283:
	s_mov_b32 s36, -1
                                        ; implicit-def: $vgpr8
	s_branch .LBB47_1292
.LBB47_1284:
	s_mov_b32 s36, -1
                                        ; implicit-def: $vgpr8
	s_branch .LBB47_1289
.LBB47_1285:
	s_mov_b32 s36, -1
                                        ; implicit-def: $vgpr8
.LBB47_1286:
	s_delay_alu instid0(SALU_CYCLE_1)
	s_and_not1_b32 vcc_lo, exec_lo, s36
	s_cbranch_vccnz .LBB47_1288
; %bb.1287:
	s_wait_loadcnt 0x0
	global_load_b32 v8, v[10:11], off
.LBB47_1288:
	s_mov_b32 s36, 0
.LBB47_1289:
	s_delay_alu instid0(SALU_CYCLE_1)
	s_and_not1_b32 vcc_lo, exec_lo, s36
	s_cbranch_vccnz .LBB47_1291
; %bb.1290:
	s_wait_loadcnt 0x0
	global_load_u16 v8, v[10:11], off
.LBB47_1291:
	s_mov_b32 s36, 0
.LBB47_1292:
	s_delay_alu instid0(SALU_CYCLE_1)
	s_and_not1_b32 vcc_lo, exec_lo, s36
	s_cbranch_vccnz .LBB47_1298
; %bb.1293:
	s_cmp_gt_i32 s0, 0
	s_mov_b32 s0, 0
	s_cbranch_scc0 .LBB47_1295
; %bb.1294:
	s_wait_loadcnt 0x0
	global_load_u8 v8, v[10:11], off
	s_branch .LBB47_1296
.LBB47_1295:
	s_mov_b32 s0, -1
                                        ; implicit-def: $vgpr8
.LBB47_1296:
	s_delay_alu instid0(SALU_CYCLE_1)
	s_and_not1_b32 vcc_lo, exec_lo, s0
	s_cbranch_vccnz .LBB47_1298
; %bb.1297:
	s_wait_loadcnt 0x0
	global_load_u8 v8, v[10:11], off
.LBB47_1298:
	s_mov_b32 s37, -1
.LBB47_1299:
	s_delay_alu instid0(SALU_CYCLE_1)
	s_and_not1_b32 vcc_lo, exec_lo, s37
	s_cbranch_vccnz .LBB47_1307
; %bb.1300:
	v_mov_b32_e32 v7, 0
	s_and_b32 s0, s29, 0xff
	s_delay_alu instid0(SALU_CYCLE_1) | instskip(NEXT) | instid1(VALU_DEP_1)
	s_cmp_lt_i32 s0, 11
	v_add_nc_u64_e32 v[6:7], s[10:11], v[6:7]
	s_cbranch_scc1 .LBB47_1308
; %bb.1301:
	s_and_b32 s37, 0xffff, s0
	s_delay_alu instid0(SALU_CYCLE_1)
	s_cmp_gt_i32 s37, 25
	s_cbranch_scc0 .LBB47_1309
; %bb.1302:
	s_cmp_gt_i32 s37, 28
	s_cbranch_scc0 .LBB47_1310
; %bb.1303:
	;; [unrolled: 3-line block ×4, first 2 shown]
	s_cmp_eq_u32 s37, 46
	s_mov_b32 s59, 0
	s_cbranch_scc0 .LBB47_1315
; %bb.1306:
	global_load_b32 v1, v[6:7], off
	s_mov_b32 s58, -1
	s_mov_b32 s36, 0
	s_wait_loadcnt 0x0
	v_lshlrev_b32_e32 v1, 16, v1
	s_wait_xcnt 0x1
	s_delay_alu instid0(VALU_DEP_1)
	v_cvt_i32_f32_e32 v10, v1
	s_branch .LBB47_1317
.LBB47_1307:
	s_mov_b32 s37, 0
	s_mov_b32 s0, s53
	;; [unrolled: 1-line block ×3, first 2 shown]
	s_branch .LBB47_1552
.LBB47_1308:
	s_mov_b32 s37, -1
	s_mov_b32 s58, 0
	s_mov_b32 s36, s54
                                        ; implicit-def: $vgpr10
	s_branch .LBB47_1378
.LBB47_1309:
	s_mov_b32 s59, -1
	s_mov_b32 s58, 0
	s_mov_b32 s36, s54
                                        ; implicit-def: $vgpr10
	s_branch .LBB47_1344
.LBB47_1310:
	s_mov_b32 s59, -1
	s_mov_b32 s58, 0
	s_mov_b32 s36, s54
                                        ; implicit-def: $vgpr10
	s_branch .LBB47_1327
.LBB47_1311:
	s_mov_b32 s59, -1
	s_mov_b32 s58, 0
	s_mov_b32 s36, s54
                                        ; implicit-def: $vgpr10
	s_branch .LBB47_1322
.LBB47_1312:
	s_mov_b32 s59, -1
	s_mov_b32 s58, 0
	s_mov_b32 s36, s54
	s_branch .LBB47_1316
.LBB47_1313:
	s_and_not1_saveexec_b32 s55, s55
	s_cbranch_execz .LBB47_954
.LBB47_1314:
	v_add_f32_e64 v5, 0x42800000, |v4|
	s_and_not1_b32 s54, s54, exec_lo
	s_delay_alu instid0(VALU_DEP_1) | instskip(NEXT) | instid1(VALU_DEP_1)
	v_and_b32_e32 v5, 0xff, v5
	v_cmp_ne_u32_e32 vcc_lo, 0, v5
	s_and_b32 s57, vcc_lo, exec_lo
	s_delay_alu instid0(SALU_CYCLE_1)
	s_or_b32 s54, s54, s57
	s_or_b32 exec_lo, exec_lo, s55
	v_mov_b32_e32 v6, 0
	s_and_saveexec_b32 s55, s54
	s_cbranch_execnz .LBB47_955
	s_branch .LBB47_956
.LBB47_1315:
	s_mov_b32 s36, -1
	s_mov_b32 s58, 0
.LBB47_1316:
                                        ; implicit-def: $vgpr10
.LBB47_1317:
	s_and_b32 vcc_lo, exec_lo, s59
	s_cbranch_vccz .LBB47_1321
; %bb.1318:
	s_cmp_eq_u32 s37, 44
	s_cbranch_scc0 .LBB47_1320
; %bb.1319:
	global_load_u8 v1, v[6:7], off
	s_mov_b32 s36, 0
	s_mov_b32 s58, -1
	s_wait_loadcnt 0x0
	v_lshlrev_b32_e32 v3, 23, v1
	v_cmp_ne_u32_e32 vcc_lo, 0, v1
	s_delay_alu instid0(VALU_DEP_2) | instskip(SKIP_1) | instid1(VALU_DEP_1)
	v_cvt_i32_f32_e32 v3, v3
	s_wait_xcnt 0x1
	v_cndmask_b32_e32 v10, 0, v3, vcc_lo
	s_branch .LBB47_1321
.LBB47_1320:
	s_mov_b32 s36, -1
                                        ; implicit-def: $vgpr10
.LBB47_1321:
	s_mov_b32 s59, 0
.LBB47_1322:
	s_delay_alu instid0(SALU_CYCLE_1)
	s_and_b32 vcc_lo, exec_lo, s59
	s_cbranch_vccz .LBB47_1326
; %bb.1323:
	s_cmp_eq_u32 s37, 29
	s_cbranch_scc0 .LBB47_1325
; %bb.1324:
	global_load_b64 v[10:11], v[6:7], off
	s_mov_b32 s58, -1
	s_mov_b32 s36, 0
	s_branch .LBB47_1326
.LBB47_1325:
	s_mov_b32 s36, -1
                                        ; implicit-def: $vgpr10
.LBB47_1326:
	s_mov_b32 s59, 0
.LBB47_1327:
	s_delay_alu instid0(SALU_CYCLE_1)
	s_and_b32 vcc_lo, exec_lo, s59
	s_cbranch_vccz .LBB47_1343
; %bb.1328:
	s_cmp_lt_i32 s37, 27
	s_cbranch_scc1 .LBB47_1331
; %bb.1329:
	s_cmp_gt_i32 s37, 27
	s_cbranch_scc0 .LBB47_1332
; %bb.1330:
	s_wait_loadcnt 0x0
	global_load_b32 v10, v[6:7], off
	s_mov_b32 s58, 0
	s_branch .LBB47_1333
.LBB47_1331:
	s_mov_b32 s58, -1
                                        ; implicit-def: $vgpr10
	s_branch .LBB47_1336
.LBB47_1332:
	s_mov_b32 s58, -1
                                        ; implicit-def: $vgpr10
.LBB47_1333:
	s_delay_alu instid0(SALU_CYCLE_1)
	s_and_not1_b32 vcc_lo, exec_lo, s58
	s_cbranch_vccnz .LBB47_1335
; %bb.1334:
	s_wait_loadcnt 0x0
	global_load_u16 v10, v[6:7], off
.LBB47_1335:
	s_mov_b32 s58, 0
.LBB47_1336:
	s_delay_alu instid0(SALU_CYCLE_1)
	s_and_not1_b32 vcc_lo, exec_lo, s58
	s_cbranch_vccnz .LBB47_1342
; %bb.1337:
	global_load_u8 v1, v[6:7], off
	s_mov_b32 s59, 0
	s_mov_b32 s58, exec_lo
	s_wait_loadcnt 0x0
	v_cmpx_lt_i16_e32 0x7f, v1
	s_xor_b32 s58, exec_lo, s58
	s_cbranch_execz .LBB47_1354
; %bb.1338:
	v_cmp_ne_u16_e32 vcc_lo, 0x80, v1
	s_and_b32 s59, vcc_lo, exec_lo
	s_and_not1_saveexec_b32 s58, s58
	s_cbranch_execnz .LBB47_1355
.LBB47_1339:
	s_or_b32 exec_lo, exec_lo, s58
	v_mov_b32_e32 v10, 0
	s_and_saveexec_b32 s58, s59
	s_cbranch_execz .LBB47_1341
.LBB47_1340:
	v_and_b32_e32 v3, 0xffff, v1
	s_delay_alu instid0(VALU_DEP_1) | instskip(SKIP_1) | instid1(VALU_DEP_2)
	v_and_b32_e32 v5, 7, v3
	v_bfe_u32 v11, v3, 3, 4
	v_clz_i32_u32_e32 v9, v5
	s_delay_alu instid0(VALU_DEP_2) | instskip(NEXT) | instid1(VALU_DEP_2)
	v_cmp_eq_u32_e32 vcc_lo, 0, v11
	v_min_u32_e32 v9, 32, v9
	s_delay_alu instid0(VALU_DEP_1) | instskip(NEXT) | instid1(VALU_DEP_1)
	v_subrev_nc_u32_e32 v10, 28, v9
	v_dual_lshlrev_b32 v3, v10, v3 :: v_dual_sub_nc_u32 v9, 29, v9
	s_delay_alu instid0(VALU_DEP_1) | instskip(NEXT) | instid1(VALU_DEP_1)
	v_dual_lshlrev_b32 v1, 24, v1 :: v_dual_bitop2_b32 v3, 7, v3 bitop3:0x40
	v_dual_cndmask_b32 v3, v5, v3, vcc_lo :: v_dual_cndmask_b32 v9, v11, v9, vcc_lo
	s_delay_alu instid0(VALU_DEP_2) | instskip(NEXT) | instid1(VALU_DEP_2)
	v_and_b32_e32 v1, 0x80000000, v1
	v_lshlrev_b32_e32 v3, 20, v3
	s_delay_alu instid0(VALU_DEP_3) | instskip(NEXT) | instid1(VALU_DEP_1)
	v_lshl_add_u32 v5, v9, 23, 0x3b800000
	v_or3_b32 v1, v1, v5, v3
	s_delay_alu instid0(VALU_DEP_1)
	v_cvt_i32_f32_e32 v10, v1
.LBB47_1341:
	s_or_b32 exec_lo, exec_lo, s58
.LBB47_1342:
	s_mov_b32 s58, -1
.LBB47_1343:
	s_mov_b32 s59, 0
.LBB47_1344:
	s_delay_alu instid0(SALU_CYCLE_1)
	s_and_b32 vcc_lo, exec_lo, s59
	s_cbranch_vccz .LBB47_1377
; %bb.1345:
	s_cmp_gt_i32 s37, 22
	s_cbranch_scc0 .LBB47_1353
; %bb.1346:
	s_cmp_lt_i32 s37, 24
	s_cbranch_scc1 .LBB47_1356
; %bb.1347:
	s_cmp_gt_i32 s37, 24
	s_cbranch_scc0 .LBB47_1357
; %bb.1348:
	global_load_u8 v1, v[6:7], off
	s_mov_b32 s59, 0
	s_mov_b32 s58, exec_lo
	s_wait_loadcnt 0x0
	v_cmpx_lt_i16_e32 0x7f, v1
	s_xor_b32 s58, exec_lo, s58
	s_cbranch_execz .LBB47_1369
; %bb.1349:
	v_cmp_ne_u16_e32 vcc_lo, 0x80, v1
	s_and_b32 s59, vcc_lo, exec_lo
	s_and_not1_saveexec_b32 s58, s58
	s_cbranch_execnz .LBB47_1370
.LBB47_1350:
	s_or_b32 exec_lo, exec_lo, s58
	v_mov_b32_e32 v10, 0
	s_and_saveexec_b32 s58, s59
	s_cbranch_execz .LBB47_1352
.LBB47_1351:
	v_and_b32_e32 v3, 0xffff, v1
	s_delay_alu instid0(VALU_DEP_1) | instskip(SKIP_1) | instid1(VALU_DEP_2)
	v_and_b32_e32 v5, 3, v3
	v_bfe_u32 v11, v3, 2, 5
	v_clz_i32_u32_e32 v9, v5
	s_delay_alu instid0(VALU_DEP_2) | instskip(NEXT) | instid1(VALU_DEP_2)
	v_cmp_eq_u32_e32 vcc_lo, 0, v11
	v_min_u32_e32 v9, 32, v9
	s_delay_alu instid0(VALU_DEP_1) | instskip(NEXT) | instid1(VALU_DEP_1)
	v_subrev_nc_u32_e32 v10, 29, v9
	v_dual_lshlrev_b32 v3, v10, v3 :: v_dual_sub_nc_u32 v9, 30, v9
	s_delay_alu instid0(VALU_DEP_1) | instskip(NEXT) | instid1(VALU_DEP_1)
	v_dual_lshlrev_b32 v1, 24, v1 :: v_dual_bitop2_b32 v3, 3, v3 bitop3:0x40
	v_dual_cndmask_b32 v3, v5, v3, vcc_lo :: v_dual_cndmask_b32 v9, v11, v9, vcc_lo
	s_delay_alu instid0(VALU_DEP_2) | instskip(NEXT) | instid1(VALU_DEP_2)
	v_and_b32_e32 v1, 0x80000000, v1
	v_lshlrev_b32_e32 v3, 21, v3
	s_delay_alu instid0(VALU_DEP_3) | instskip(NEXT) | instid1(VALU_DEP_1)
	v_lshl_add_u32 v5, v9, 23, 0x37800000
	v_or3_b32 v1, v1, v5, v3
	s_delay_alu instid0(VALU_DEP_1)
	v_cvt_i32_f32_e32 v10, v1
.LBB47_1352:
	s_or_b32 exec_lo, exec_lo, s58
	s_mov_b32 s58, 0
	s_branch .LBB47_1358
.LBB47_1353:
	s_mov_b32 s59, -1
                                        ; implicit-def: $vgpr10
	s_branch .LBB47_1364
.LBB47_1354:
	s_and_not1_saveexec_b32 s58, s58
	s_cbranch_execz .LBB47_1339
.LBB47_1355:
	v_cmp_ne_u16_e32 vcc_lo, 0, v1
	s_and_not1_b32 s59, s59, exec_lo
	s_and_b32 s60, vcc_lo, exec_lo
	s_delay_alu instid0(SALU_CYCLE_1)
	s_or_b32 s59, s59, s60
	s_or_b32 exec_lo, exec_lo, s58
	v_mov_b32_e32 v10, 0
	s_and_saveexec_b32 s58, s59
	s_cbranch_execnz .LBB47_1340
	s_branch .LBB47_1341
.LBB47_1356:
	s_mov_b32 s58, -1
                                        ; implicit-def: $vgpr10
	s_branch .LBB47_1361
.LBB47_1357:
	s_mov_b32 s58, -1
                                        ; implicit-def: $vgpr10
.LBB47_1358:
	s_delay_alu instid0(SALU_CYCLE_1)
	s_and_b32 vcc_lo, exec_lo, s58
	s_cbranch_vccz .LBB47_1360
; %bb.1359:
	global_load_u8 v1, v[6:7], off
	s_wait_loadcnt 0x0
	v_lshlrev_b32_e32 v1, 24, v1
	s_delay_alu instid0(VALU_DEP_1) | instskip(NEXT) | instid1(VALU_DEP_1)
	v_and_b32_e32 v3, 0x7f000000, v1
	v_clz_i32_u32_e32 v5, v3
	v_cmp_ne_u32_e32 vcc_lo, 0, v3
	s_wait_xcnt 0x1
	v_add_nc_u32_e32 v10, 0x1000000, v3
	s_delay_alu instid0(VALU_DEP_3) | instskip(NEXT) | instid1(VALU_DEP_1)
	v_min_u32_e32 v5, 32, v5
	v_sub_nc_u32_e64 v5, v5, 4 clamp
	s_delay_alu instid0(VALU_DEP_1) | instskip(NEXT) | instid1(VALU_DEP_1)
	v_dual_lshlrev_b32 v9, v5, v3 :: v_dual_lshlrev_b32 v5, 23, v5
	v_lshrrev_b32_e32 v9, 4, v9
	s_delay_alu instid0(VALU_DEP_1) | instskip(NEXT) | instid1(VALU_DEP_1)
	v_dual_sub_nc_u32 v5, v9, v5 :: v_dual_ashrrev_i32 v9, 8, v10
	v_add_nc_u32_e32 v5, 0x3c000000, v5
	s_delay_alu instid0(VALU_DEP_1) | instskip(NEXT) | instid1(VALU_DEP_1)
	v_and_or_b32 v5, 0x7f800000, v9, v5
	v_cndmask_b32_e32 v3, 0, v5, vcc_lo
	s_delay_alu instid0(VALU_DEP_1) | instskip(NEXT) | instid1(VALU_DEP_1)
	v_and_or_b32 v1, 0x80000000, v1, v3
	v_cvt_i32_f32_e32 v10, v1
.LBB47_1360:
	s_mov_b32 s58, 0
.LBB47_1361:
	s_delay_alu instid0(SALU_CYCLE_1)
	s_and_not1_b32 vcc_lo, exec_lo, s58
	s_cbranch_vccnz .LBB47_1363
; %bb.1362:
	global_load_u8 v1, v[6:7], off
	s_wait_loadcnt 0x0
	v_lshlrev_b32_e32 v3, 25, v1
	v_lshlrev_b16 v1, 8, v1
	s_delay_alu instid0(VALU_DEP_2) | instskip(NEXT) | instid1(VALU_DEP_2)
	v_cmp_gt_u32_e32 vcc_lo, 0x8000000, v3
	v_and_or_b32 v9, 0x7f00, v1, 0.5
	v_lshrrev_b32_e32 v5, 4, v3
	v_bfe_i32 v1, v1, 0, 16
	s_delay_alu instid0(VALU_DEP_3) | instskip(NEXT) | instid1(VALU_DEP_3)
	v_add_f32_e32 v9, -0.5, v9
	v_or_b32_e32 v5, 0x70000000, v5
	s_delay_alu instid0(VALU_DEP_1) | instskip(NEXT) | instid1(VALU_DEP_1)
	v_mul_f32_e32 v5, 0x7800000, v5
	v_cndmask_b32_e32 v3, v5, v9, vcc_lo
	s_delay_alu instid0(VALU_DEP_1) | instskip(SKIP_1) | instid1(VALU_DEP_1)
	v_and_or_b32 v1, 0x80000000, v1, v3
	s_wait_xcnt 0x1
	v_cvt_i32_f32_e32 v10, v1
.LBB47_1363:
	s_mov_b32 s59, 0
	s_mov_b32 s58, -1
.LBB47_1364:
	s_and_not1_b32 vcc_lo, exec_lo, s59
	s_cbranch_vccnz .LBB47_1377
; %bb.1365:
	s_cmp_gt_i32 s37, 14
	s_cbranch_scc0 .LBB47_1368
; %bb.1366:
	s_cmp_eq_u32 s37, 15
	s_cbranch_scc0 .LBB47_1371
; %bb.1367:
	global_load_u16 v1, v[6:7], off
	s_mov_b32 s58, -1
	s_mov_b32 s36, 0
	s_wait_loadcnt 0x0
	v_lshlrev_b32_e32 v1, 16, v1
	s_wait_xcnt 0x1
	s_delay_alu instid0(VALU_DEP_1)
	v_cvt_i32_f32_e32 v10, v1
	s_branch .LBB47_1372
.LBB47_1368:
	s_mov_b32 s59, -1
                                        ; implicit-def: $vgpr10
	s_branch .LBB47_1373
.LBB47_1369:
	s_and_not1_saveexec_b32 s58, s58
	s_cbranch_execz .LBB47_1350
.LBB47_1370:
	v_cmp_ne_u16_e32 vcc_lo, 0, v1
	s_and_not1_b32 s59, s59, exec_lo
	s_and_b32 s60, vcc_lo, exec_lo
	s_delay_alu instid0(SALU_CYCLE_1)
	s_or_b32 s59, s59, s60
	s_or_b32 exec_lo, exec_lo, s58
	v_mov_b32_e32 v10, 0
	s_and_saveexec_b32 s58, s59
	s_cbranch_execnz .LBB47_1351
	s_branch .LBB47_1352
.LBB47_1371:
	s_mov_b32 s36, -1
                                        ; implicit-def: $vgpr10
.LBB47_1372:
	s_mov_b32 s59, 0
.LBB47_1373:
	s_delay_alu instid0(SALU_CYCLE_1)
	s_and_b32 vcc_lo, exec_lo, s59
	s_cbranch_vccz .LBB47_1377
; %bb.1374:
	s_cmp_eq_u32 s37, 11
	s_cbranch_scc0 .LBB47_1376
; %bb.1375:
	global_load_u8 v1, v[6:7], off
	s_mov_b32 s36, 0
	s_mov_b32 s58, -1
	s_wait_loadcnt 0x0
	v_cmp_ne_u16_e32 vcc_lo, 0, v1
	s_wait_xcnt 0x1
	v_cndmask_b32_e64 v10, 0, 1, vcc_lo
	s_branch .LBB47_1377
.LBB47_1376:
	s_mov_b32 s36, -1
                                        ; implicit-def: $vgpr10
.LBB47_1377:
	s_mov_b32 s37, 0
.LBB47_1378:
	s_delay_alu instid0(SALU_CYCLE_1)
	s_and_b32 vcc_lo, exec_lo, s37
	s_cbranch_vccz .LBB47_1427
; %bb.1379:
	s_and_b32 s0, 0xffff, s0
	s_delay_alu instid0(SALU_CYCLE_1)
	s_cmp_lt_i32 s0, 5
	s_cbranch_scc1 .LBB47_1384
; %bb.1380:
	s_cmp_lt_i32 s0, 8
	s_cbranch_scc1 .LBB47_1385
; %bb.1381:
	;; [unrolled: 3-line block ×3, first 2 shown]
	s_cmp_gt_i32 s0, 9
	s_cbranch_scc0 .LBB47_1387
; %bb.1383:
	s_wait_loadcnt 0x0
	global_load_b64 v[10:11], v[6:7], off
	s_mov_b32 s37, 0
	s_wait_loadcnt 0x0
	v_cvt_i32_f64_e32 v10, v[10:11]
	s_branch .LBB47_1388
.LBB47_1384:
	s_mov_b32 s37, -1
                                        ; implicit-def: $vgpr10
	s_branch .LBB47_1406
.LBB47_1385:
	s_mov_b32 s37, -1
                                        ; implicit-def: $vgpr10
	s_branch .LBB47_1394
.LBB47_1386:
	s_mov_b32 s37, -1
                                        ; implicit-def: $vgpr10
	s_branch .LBB47_1391
.LBB47_1387:
	s_mov_b32 s37, -1
                                        ; implicit-def: $vgpr10
.LBB47_1388:
	s_delay_alu instid0(SALU_CYCLE_1)
	s_and_not1_b32 vcc_lo, exec_lo, s37
	s_cbranch_vccnz .LBB47_1390
; %bb.1389:
	global_load_b32 v1, v[6:7], off
	s_wait_loadcnt 0x0
	s_wait_xcnt 0x1
	v_cvt_i32_f32_e32 v10, v1
.LBB47_1390:
	s_mov_b32 s37, 0
.LBB47_1391:
	s_delay_alu instid0(SALU_CYCLE_1)
	s_and_not1_b32 vcc_lo, exec_lo, s37
	s_cbranch_vccnz .LBB47_1393
; %bb.1392:
	global_load_b32 v1, v[6:7], off
	s_wait_loadcnt 0x0
	s_wait_xcnt 0x1
	v_cvt_i16_f16_e32 v10, v1
.LBB47_1393:
	s_mov_b32 s37, 0
.LBB47_1394:
	s_delay_alu instid0(SALU_CYCLE_1)
	s_and_not1_b32 vcc_lo, exec_lo, s37
	s_cbranch_vccnz .LBB47_1405
; %bb.1395:
	s_cmp_lt_i32 s0, 6
	s_cbranch_scc1 .LBB47_1398
; %bb.1396:
	s_cmp_gt_i32 s0, 6
	s_cbranch_scc0 .LBB47_1399
; %bb.1397:
	s_wait_loadcnt 0x0
	global_load_b64 v[10:11], v[6:7], off
	s_mov_b32 s37, 0
	s_wait_loadcnt 0x0
	v_cvt_i32_f64_e32 v10, v[10:11]
	s_branch .LBB47_1400
.LBB47_1398:
	s_mov_b32 s37, -1
                                        ; implicit-def: $vgpr10
	s_branch .LBB47_1403
.LBB47_1399:
	s_mov_b32 s37, -1
                                        ; implicit-def: $vgpr10
.LBB47_1400:
	s_delay_alu instid0(SALU_CYCLE_1)
	s_and_not1_b32 vcc_lo, exec_lo, s37
	s_cbranch_vccnz .LBB47_1402
; %bb.1401:
	global_load_b32 v1, v[6:7], off
	s_wait_loadcnt 0x0
	s_wait_xcnt 0x1
	v_cvt_i32_f32_e32 v10, v1
.LBB47_1402:
	s_mov_b32 s37, 0
.LBB47_1403:
	s_delay_alu instid0(SALU_CYCLE_1)
	s_and_not1_b32 vcc_lo, exec_lo, s37
	s_cbranch_vccnz .LBB47_1405
; %bb.1404:
	global_load_u16 v1, v[6:7], off
	s_wait_loadcnt 0x0
	s_wait_xcnt 0x1
	v_cvt_i16_f16_e32 v10, v1
.LBB47_1405:
	s_mov_b32 s37, 0
.LBB47_1406:
	s_delay_alu instid0(SALU_CYCLE_1)
	s_and_not1_b32 vcc_lo, exec_lo, s37
	s_cbranch_vccnz .LBB47_1426
; %bb.1407:
	s_cmp_lt_i32 s0, 2
	s_cbranch_scc1 .LBB47_1411
; %bb.1408:
	s_cmp_lt_i32 s0, 3
	s_cbranch_scc1 .LBB47_1412
; %bb.1409:
	s_cmp_gt_i32 s0, 3
	s_cbranch_scc0 .LBB47_1413
; %bb.1410:
	s_wait_loadcnt 0x0
	global_load_b64 v[10:11], v[6:7], off
	s_mov_b32 s37, 0
	s_branch .LBB47_1414
.LBB47_1411:
	s_mov_b32 s37, -1
                                        ; implicit-def: $vgpr10
	s_branch .LBB47_1420
.LBB47_1412:
	s_mov_b32 s37, -1
                                        ; implicit-def: $vgpr10
	s_branch .LBB47_1417
.LBB47_1413:
	s_mov_b32 s37, -1
                                        ; implicit-def: $vgpr10
.LBB47_1414:
	s_delay_alu instid0(SALU_CYCLE_1)
	s_and_not1_b32 vcc_lo, exec_lo, s37
	s_cbranch_vccnz .LBB47_1416
; %bb.1415:
	s_wait_loadcnt 0x0
	global_load_b32 v10, v[6:7], off
.LBB47_1416:
	s_mov_b32 s37, 0
.LBB47_1417:
	s_delay_alu instid0(SALU_CYCLE_1)
	s_and_not1_b32 vcc_lo, exec_lo, s37
	s_cbranch_vccnz .LBB47_1419
; %bb.1418:
	s_wait_loadcnt 0x0
	global_load_u16 v10, v[6:7], off
.LBB47_1419:
	s_mov_b32 s37, 0
.LBB47_1420:
	s_delay_alu instid0(SALU_CYCLE_1)
	s_and_not1_b32 vcc_lo, exec_lo, s37
	s_cbranch_vccnz .LBB47_1426
; %bb.1421:
	s_cmp_gt_i32 s0, 0
	s_mov_b32 s0, 0
	s_cbranch_scc0 .LBB47_1423
; %bb.1422:
	s_wait_loadcnt 0x0
	global_load_u8 v10, v[6:7], off
	s_branch .LBB47_1424
.LBB47_1423:
	s_mov_b32 s0, -1
                                        ; implicit-def: $vgpr10
.LBB47_1424:
	s_delay_alu instid0(SALU_CYCLE_1)
	s_and_not1_b32 vcc_lo, exec_lo, s0
	s_cbranch_vccnz .LBB47_1426
; %bb.1425:
	s_wait_loadcnt 0x0
	global_load_u8 v10, v[6:7], off
.LBB47_1426:
	s_mov_b32 s58, -1
.LBB47_1427:
	s_delay_alu instid0(SALU_CYCLE_1)
	s_and_not1_b32 vcc_lo, exec_lo, s58
	s_cbranch_vccnz .LBB47_1435
; %bb.1428:
	v_mov_b32_e32 v3, 0
	s_wait_loadcnt 0x0
	v_mul_lo_u16 v1, v4, s24
	v_mul_lo_u16 v4, v8, s42
	s_and_b32 s37, s21, 0xff
	s_delay_alu instid0(SALU_CYCLE_1) | instskip(SKIP_1) | instid1(VALU_DEP_2)
	s_cmp_lt_i32 s37, 11
	v_add_nc_u64_e32 v[2:3], s[4:5], v[2:3]
	v_mad_u16 v1, v4, v10, v1
	s_cbranch_scc1 .LBB47_1436
; %bb.1429:
	s_and_b32 s58, 0xffff, s37
	s_delay_alu instid0(SALU_CYCLE_1)
	s_cmp_gt_i32 s58, 25
	s_cbranch_scc0 .LBB47_1437
; %bb.1430:
	s_cmp_gt_i32 s58, 28
	s_cbranch_scc0 .LBB47_1438
; %bb.1431:
	;; [unrolled: 3-line block ×4, first 2 shown]
	s_mov_b32 s60, 0
	s_mov_b32 s0, -1
	s_cmp_eq_u32 s58, 46
	s_mov_b32 s59, 0
	s_cbranch_scc0 .LBB47_1441
; %bb.1434:
	v_bfe_i32 v4, v1, 0, 8
	s_mov_b32 s59, -1
	s_mov_b32 s0, 0
	s_delay_alu instid0(VALU_DEP_1) | instskip(NEXT) | instid1(VALU_DEP_1)
	v_bfe_i32 v4, v4, 0, 16
	v_cvt_f32_i32_e32 v4, v4
	s_delay_alu instid0(VALU_DEP_1) | instskip(NEXT) | instid1(VALU_DEP_1)
	v_bfe_u32 v5, v4, 16, 1
	v_add3_u32 v4, v4, v5, 0x7fff
	s_delay_alu instid0(VALU_DEP_1)
	v_lshrrev_b32_e32 v4, 16, v4
	global_store_b32 v[2:3], v4, off
	s_branch .LBB47_1441
.LBB47_1435:
	s_mov_b32 s37, 0
	s_mov_b32 s0, s53
	s_branch .LBB47_1552
.LBB47_1436:
	s_mov_b32 s58, -1
	s_mov_b32 s59, 0
	s_mov_b32 s0, s53
	s_branch .LBB47_1510
.LBB47_1437:
	s_mov_b32 s60, -1
	s_mov_b32 s59, 0
	s_mov_b32 s0, s53
	s_branch .LBB47_1468
.LBB47_1438:
	s_mov_b32 s60, -1
	s_mov_b32 s59, 0
	s_mov_b32 s0, s53
	s_branch .LBB47_1451
.LBB47_1439:
	s_mov_b32 s60, -1
	s_mov_b32 s59, 0
	s_mov_b32 s0, s53
	s_branch .LBB47_1447
.LBB47_1440:
	s_mov_b32 s60, -1
	s_mov_b32 s59, 0
	s_mov_b32 s0, s53
.LBB47_1441:
	s_and_b32 vcc_lo, exec_lo, s60
	s_cbranch_vccz .LBB47_1446
; %bb.1442:
	s_cmp_eq_u32 s58, 44
	s_mov_b32 s0, -1
	s_cbranch_scc0 .LBB47_1446
; %bb.1443:
	s_wait_xcnt 0x0
	v_bfe_i32 v4, v1, 0, 8
	v_mov_b32_e32 v5, 0xff
	s_mov_b32 s59, exec_lo
	s_delay_alu instid0(VALU_DEP_2) | instskip(NEXT) | instid1(VALU_DEP_1)
	v_bfe_i32 v4, v4, 0, 16
	v_cvt_f32_i32_e32 v4, v4
	s_delay_alu instid0(VALU_DEP_1) | instskip(NEXT) | instid1(VALU_DEP_1)
	v_bfe_u32 v6, v4, 23, 8
	v_cmpx_ne_u32_e32 0xff, v6
	s_cbranch_execz .LBB47_1445
; %bb.1444:
	v_and_b32_e32 v5, 0x400000, v4
	v_and_or_b32 v6, 0x3fffff, v4, v6
	v_lshrrev_b32_e32 v4, 23, v4
	s_delay_alu instid0(VALU_DEP_3) | instskip(NEXT) | instid1(VALU_DEP_3)
	v_cmp_ne_u32_e32 vcc_lo, 0, v5
	v_cmp_ne_u32_e64 s0, 0, v6
	s_and_b32 s0, vcc_lo, s0
	s_delay_alu instid0(SALU_CYCLE_1) | instskip(NEXT) | instid1(VALU_DEP_1)
	v_cndmask_b32_e64 v5, 0, 1, s0
	v_add_nc_u32_e32 v5, v4, v5
.LBB47_1445:
	s_or_b32 exec_lo, exec_lo, s59
	s_mov_b32 s59, -1
	s_mov_b32 s0, 0
	global_store_b8 v[2:3], v5, off
.LBB47_1446:
	s_mov_b32 s60, 0
.LBB47_1447:
	s_delay_alu instid0(SALU_CYCLE_1)
	s_and_b32 vcc_lo, exec_lo, s60
	s_cbranch_vccz .LBB47_1450
; %bb.1448:
	s_cmp_eq_u32 s58, 29
	s_mov_b32 s0, -1
	s_cbranch_scc0 .LBB47_1450
; %bb.1449:
	s_wait_xcnt 0x0
	v_bfe_i32 v4, v1, 0, 8
	s_mov_b32 s59, -1
	s_mov_b32 s0, 0
	s_mov_b32 s60, 0
	s_delay_alu instid0(VALU_DEP_1)
	v_ashrrev_i32_e32 v5, 31, v4
	global_store_b64 v[2:3], v[4:5], off
	s_branch .LBB47_1451
.LBB47_1450:
	s_mov_b32 s60, 0
.LBB47_1451:
	s_delay_alu instid0(SALU_CYCLE_1)
	s_and_b32 vcc_lo, exec_lo, s60
	s_cbranch_vccz .LBB47_1467
; %bb.1452:
	s_cmp_lt_i32 s58, 27
	s_mov_b32 s59, -1
	s_cbranch_scc1 .LBB47_1458
; %bb.1453:
	s_cmp_gt_i32 s58, 27
	s_cbranch_scc0 .LBB47_1455
; %bb.1454:
	s_wait_xcnt 0x0
	v_bfe_i32 v4, v1, 0, 8
	s_mov_b32 s59, 0
	global_store_b32 v[2:3], v4, off
.LBB47_1455:
	s_and_not1_b32 vcc_lo, exec_lo, s59
	s_cbranch_vccnz .LBB47_1457
; %bb.1456:
	s_wait_xcnt 0x0
	v_bfe_i32 v4, v1, 0, 8
	global_store_b16 v[2:3], v4, off
.LBB47_1457:
	s_mov_b32 s59, 0
.LBB47_1458:
	s_delay_alu instid0(SALU_CYCLE_1)
	s_and_not1_b32 vcc_lo, exec_lo, s59
	s_cbranch_vccnz .LBB47_1466
; %bb.1459:
	s_wait_xcnt 0x0
	v_bfe_i32 v4, v1, 0, 8
	v_mov_b32_e32 v6, 0x80
	s_mov_b32 s59, exec_lo
	s_delay_alu instid0(VALU_DEP_2) | instskip(NEXT) | instid1(VALU_DEP_1)
	v_bfe_i32 v4, v4, 0, 16
	v_cvt_f32_i32_e32 v4, v4
	s_delay_alu instid0(VALU_DEP_1) | instskip(NEXT) | instid1(VALU_DEP_1)
	v_and_b32_e32 v5, 0x7fffffff, v4
	v_cmpx_gt_u32_e32 0x43800000, v5
	s_cbranch_execz .LBB47_1465
; %bb.1460:
	v_cmp_lt_u32_e32 vcc_lo, 0x3bffffff, v5
	s_mov_b32 s60, 0
                                        ; implicit-def: $vgpr5
	s_and_saveexec_b32 s61, vcc_lo
	s_delay_alu instid0(SALU_CYCLE_1)
	s_xor_b32 s61, exec_lo, s61
	s_cbranch_execz .LBB47_2745
; %bb.1461:
	v_bfe_u32 v5, v4, 20, 1
	s_mov_b32 s60, exec_lo
	s_delay_alu instid0(VALU_DEP_1) | instskip(NEXT) | instid1(VALU_DEP_1)
	v_add3_u32 v5, v4, v5, 0x487ffff
	v_lshrrev_b32_e32 v5, 20, v5
	s_and_not1_saveexec_b32 s61, s61
	s_cbranch_execnz .LBB47_2746
.LBB47_1462:
	s_or_b32 exec_lo, exec_lo, s61
	v_mov_b32_e32 v6, 0
	s_and_saveexec_b32 s61, s60
.LBB47_1463:
	v_lshrrev_b32_e32 v4, 24, v4
	s_delay_alu instid0(VALU_DEP_1)
	v_and_or_b32 v6, 0x80, v4, v5
.LBB47_1464:
	s_or_b32 exec_lo, exec_lo, s61
.LBB47_1465:
	s_delay_alu instid0(SALU_CYCLE_1)
	s_or_b32 exec_lo, exec_lo, s59
	global_store_b8 v[2:3], v6, off
.LBB47_1466:
	s_mov_b32 s59, -1
.LBB47_1467:
	s_mov_b32 s60, 0
.LBB47_1468:
	s_delay_alu instid0(SALU_CYCLE_1)
	s_and_b32 vcc_lo, exec_lo, s60
	s_cbranch_vccz .LBB47_1509
; %bb.1469:
	s_cmp_gt_i32 s58, 22
	s_mov_b32 s60, -1
	s_cbranch_scc0 .LBB47_1501
; %bb.1470:
	s_cmp_lt_i32 s58, 24
	s_mov_b32 s59, -1
	s_cbranch_scc1 .LBB47_1490
; %bb.1471:
	s_cmp_gt_i32 s58, 24
	s_cbranch_scc0 .LBB47_1479
; %bb.1472:
	s_wait_xcnt 0x0
	v_bfe_i32 v4, v1, 0, 8
	v_mov_b32_e32 v6, 0x80
	s_mov_b32 s59, exec_lo
	s_delay_alu instid0(VALU_DEP_2) | instskip(NEXT) | instid1(VALU_DEP_1)
	v_bfe_i32 v4, v4, 0, 16
	v_cvt_f32_i32_e32 v4, v4
	s_delay_alu instid0(VALU_DEP_1) | instskip(NEXT) | instid1(VALU_DEP_1)
	v_and_b32_e32 v5, 0x7fffffff, v4
	v_cmpx_gt_u32_e32 0x47800000, v5
	s_cbranch_execz .LBB47_1478
; %bb.1473:
	v_cmp_lt_u32_e32 vcc_lo, 0x37ffffff, v5
	s_mov_b32 s60, 0
                                        ; implicit-def: $vgpr5
	s_and_saveexec_b32 s61, vcc_lo
	s_delay_alu instid0(SALU_CYCLE_1)
	s_xor_b32 s61, exec_lo, s61
	s_cbranch_execz .LBB47_2874
; %bb.1474:
	v_bfe_u32 v5, v4, 21, 1
	s_mov_b32 s60, exec_lo
	s_delay_alu instid0(VALU_DEP_1) | instskip(NEXT) | instid1(VALU_DEP_1)
	v_add3_u32 v5, v4, v5, 0x88fffff
	v_lshrrev_b32_e32 v5, 21, v5
	s_and_not1_saveexec_b32 s61, s61
	s_cbranch_execnz .LBB47_2875
.LBB47_1475:
	s_or_b32 exec_lo, exec_lo, s61
	v_mov_b32_e32 v6, 0
	s_and_saveexec_b32 s61, s60
.LBB47_1476:
	v_lshrrev_b32_e32 v4, 24, v4
	s_delay_alu instid0(VALU_DEP_1)
	v_and_or_b32 v6, 0x80, v4, v5
.LBB47_1477:
	s_or_b32 exec_lo, exec_lo, s61
.LBB47_1478:
	s_delay_alu instid0(SALU_CYCLE_1)
	s_or_b32 exec_lo, exec_lo, s59
	s_mov_b32 s59, 0
	global_store_b8 v[2:3], v6, off
.LBB47_1479:
	s_and_b32 vcc_lo, exec_lo, s59
	s_cbranch_vccz .LBB47_1489
; %bb.1480:
	s_wait_xcnt 0x0
	v_bfe_i32 v4, v1, 0, 8
	s_mov_b32 s59, exec_lo
                                        ; implicit-def: $vgpr5
	s_delay_alu instid0(VALU_DEP_1) | instskip(NEXT) | instid1(VALU_DEP_1)
	v_bfe_i32 v4, v4, 0, 16
	v_cvt_f32_i32_e32 v4, v4
	s_delay_alu instid0(VALU_DEP_1) | instskip(NEXT) | instid1(VALU_DEP_1)
	v_and_b32_e32 v6, 0x7fffffff, v4
	v_cmpx_gt_u32_e32 0x43f00000, v6
	s_xor_b32 s59, exec_lo, s59
	s_cbranch_execz .LBB47_1486
; %bb.1481:
	s_mov_b32 s60, exec_lo
                                        ; implicit-def: $vgpr5
	v_cmpx_lt_u32_e32 0x3c7fffff, v6
	s_xor_b32 s60, exec_lo, s60
; %bb.1482:
	v_bfe_u32 v5, v4, 20, 1
	s_delay_alu instid0(VALU_DEP_1) | instskip(NEXT) | instid1(VALU_DEP_1)
	v_add3_u32 v5, v4, v5, 0x407ffff
	v_and_b32_e32 v6, 0xff00000, v5
	v_lshrrev_b32_e32 v5, 20, v5
	s_delay_alu instid0(VALU_DEP_2) | instskip(NEXT) | instid1(VALU_DEP_2)
	v_cmp_ne_u32_e32 vcc_lo, 0x7f00000, v6
	v_cndmask_b32_e32 v5, 0x7e, v5, vcc_lo
; %bb.1483:
	s_and_not1_saveexec_b32 s60, s60
; %bb.1484:
	v_add_f32_e64 v5, 0x46800000, |v4|
; %bb.1485:
	s_or_b32 exec_lo, exec_lo, s60
                                        ; implicit-def: $vgpr6
.LBB47_1486:
	s_and_not1_saveexec_b32 s59, s59
; %bb.1487:
	v_mov_b32_e32 v5, 0x7f
	v_cmp_lt_u32_e32 vcc_lo, 0x7f800000, v6
	s_delay_alu instid0(VALU_DEP_2)
	v_cndmask_b32_e32 v5, 0x7e, v5, vcc_lo
; %bb.1488:
	s_or_b32 exec_lo, exec_lo, s59
	v_lshrrev_b32_e32 v4, 24, v4
	s_delay_alu instid0(VALU_DEP_1)
	v_and_or_b32 v4, 0x80, v4, v5
	global_store_b8 v[2:3], v4, off
.LBB47_1489:
	s_mov_b32 s59, 0
.LBB47_1490:
	s_delay_alu instid0(SALU_CYCLE_1)
	s_and_not1_b32 vcc_lo, exec_lo, s59
	s_cbranch_vccnz .LBB47_1500
; %bb.1491:
	s_wait_xcnt 0x0
	v_bfe_i32 v4, v1, 0, 8
	s_mov_b32 s59, exec_lo
                                        ; implicit-def: $vgpr5
	s_delay_alu instid0(VALU_DEP_1) | instskip(NEXT) | instid1(VALU_DEP_1)
	v_bfe_i32 v4, v4, 0, 16
	v_cvt_f32_i32_e32 v4, v4
	s_delay_alu instid0(VALU_DEP_1) | instskip(NEXT) | instid1(VALU_DEP_1)
	v_and_b32_e32 v6, 0x7fffffff, v4
	v_cmpx_gt_u32_e32 0x47800000, v6
	s_xor_b32 s59, exec_lo, s59
	s_cbranch_execz .LBB47_1497
; %bb.1492:
	s_mov_b32 s60, exec_lo
                                        ; implicit-def: $vgpr5
	v_cmpx_lt_u32_e32 0x387fffff, v6
	s_xor_b32 s60, exec_lo, s60
; %bb.1493:
	v_bfe_u32 v5, v4, 21, 1
	s_delay_alu instid0(VALU_DEP_1) | instskip(NEXT) | instid1(VALU_DEP_1)
	v_add3_u32 v5, v4, v5, 0x80fffff
	v_lshrrev_b32_e32 v5, 21, v5
; %bb.1494:
	s_and_not1_saveexec_b32 s60, s60
; %bb.1495:
	v_add_f32_e64 v5, 0x43000000, |v4|
; %bb.1496:
	s_or_b32 exec_lo, exec_lo, s60
                                        ; implicit-def: $vgpr6
.LBB47_1497:
	s_and_not1_saveexec_b32 s59, s59
; %bb.1498:
	v_mov_b32_e32 v5, 0x7f
	v_cmp_lt_u32_e32 vcc_lo, 0x7f800000, v6
	s_delay_alu instid0(VALU_DEP_2)
	v_cndmask_b32_e32 v5, 0x7c, v5, vcc_lo
; %bb.1499:
	s_or_b32 exec_lo, exec_lo, s59
	v_lshrrev_b32_e32 v4, 24, v4
	s_delay_alu instid0(VALU_DEP_1)
	v_and_or_b32 v4, 0x80, v4, v5
	global_store_b8 v[2:3], v4, off
.LBB47_1500:
	s_mov_b32 s60, 0
	s_mov_b32 s59, -1
.LBB47_1501:
	s_and_not1_b32 vcc_lo, exec_lo, s60
	s_cbranch_vccnz .LBB47_1509
; %bb.1502:
	s_cmp_gt_i32 s58, 14
	s_mov_b32 s60, -1
	s_cbranch_scc0 .LBB47_1506
; %bb.1503:
	s_cmp_eq_u32 s58, 15
	s_mov_b32 s0, -1
	s_cbranch_scc0 .LBB47_1505
; %bb.1504:
	s_wait_xcnt 0x0
	v_bfe_i32 v4, v1, 0, 8
	s_mov_b32 s59, -1
	s_mov_b32 s0, 0
	s_delay_alu instid0(VALU_DEP_1) | instskip(NEXT) | instid1(VALU_DEP_1)
	v_bfe_i32 v4, v4, 0, 16
	v_cvt_f32_i32_e32 v4, v4
	s_delay_alu instid0(VALU_DEP_1) | instskip(NEXT) | instid1(VALU_DEP_1)
	v_bfe_u32 v5, v4, 16, 1
	v_add3_u32 v4, v4, v5, 0x7fff
	global_store_d16_hi_b16 v[2:3], v4, off
.LBB47_1505:
	s_mov_b32 s60, 0
.LBB47_1506:
	s_delay_alu instid0(SALU_CYCLE_1)
	s_and_b32 vcc_lo, exec_lo, s60
	s_cbranch_vccz .LBB47_1509
; %bb.1507:
	s_cmp_eq_u32 s58, 11
	s_mov_b32 s0, -1
	s_cbranch_scc0 .LBB47_1509
; %bb.1508:
	s_wait_xcnt 0x0
	v_and_b32_e32 v4, 0xff, v1
	s_mov_b32 s0, 0
	s_mov_b32 s59, -1
	s_delay_alu instid0(VALU_DEP_1)
	v_cmp_ne_u16_e32 vcc_lo, 0, v4
	v_cndmask_b32_e64 v4, 0, 1, vcc_lo
	global_store_b8 v[2:3], v4, off
.LBB47_1509:
	s_mov_b32 s58, 0
.LBB47_1510:
	s_delay_alu instid0(SALU_CYCLE_1)
	s_and_b32 vcc_lo, exec_lo, s58
	s_cbranch_vccz .LBB47_1549
; %bb.1511:
	s_and_b32 s37, 0xffff, s37
	s_mov_b32 s58, -1
	s_cmp_lt_i32 s37, 5
	s_cbranch_scc1 .LBB47_1532
; %bb.1512:
	s_cmp_lt_i32 s37, 8
	s_cbranch_scc1 .LBB47_1522
; %bb.1513:
	s_cmp_lt_i32 s37, 9
	s_cbranch_scc1 .LBB47_1519
; %bb.1514:
	s_cmp_gt_i32 s37, 9
	s_cbranch_scc0 .LBB47_1516
; %bb.1515:
	s_wait_xcnt 0x0
	v_bfe_i32 v4, v1, 0, 8
	v_mov_b32_e32 v6, 0
	s_mov_b32 s58, 0
	s_delay_alu instid0(VALU_DEP_2) | instskip(NEXT) | instid1(VALU_DEP_2)
	v_bfe_i32 v4, v4, 0, 16
	v_mov_b32_e32 v7, v6
	s_delay_alu instid0(VALU_DEP_2)
	v_cvt_f64_i32_e32 v[4:5], v4
	global_store_b128 v[2:3], v[4:7], off
.LBB47_1516:
	s_and_not1_b32 vcc_lo, exec_lo, s58
	s_cbranch_vccnz .LBB47_1518
; %bb.1517:
	s_wait_xcnt 0x0
	v_bfe_i32 v4, v1, 0, 8
	v_mov_b32_e32 v5, 0
	s_delay_alu instid0(VALU_DEP_2) | instskip(NEXT) | instid1(VALU_DEP_1)
	v_bfe_i32 v4, v4, 0, 16
	v_cvt_f32_i32_e32 v4, v4
	global_store_b64 v[2:3], v[4:5], off
.LBB47_1518:
	s_mov_b32 s58, 0
.LBB47_1519:
	s_delay_alu instid0(SALU_CYCLE_1)
	s_and_not1_b32 vcc_lo, exec_lo, s58
	s_cbranch_vccnz .LBB47_1521
; %bb.1520:
	s_wait_xcnt 0x0
	v_bfe_i32 v4, v1, 0, 8
	s_delay_alu instid0(VALU_DEP_1) | instskip(NEXT) | instid1(VALU_DEP_1)
	v_cvt_f16_i16_e32 v4, v4
	v_and_b32_e32 v4, 0xffff, v4
	global_store_b32 v[2:3], v4, off
.LBB47_1521:
	s_mov_b32 s58, 0
.LBB47_1522:
	s_delay_alu instid0(SALU_CYCLE_1)
	s_and_not1_b32 vcc_lo, exec_lo, s58
	s_cbranch_vccnz .LBB47_1531
; %bb.1523:
	s_cmp_lt_i32 s37, 6
	s_mov_b32 s58, -1
	s_cbranch_scc1 .LBB47_1529
; %bb.1524:
	s_cmp_gt_i32 s37, 6
	s_cbranch_scc0 .LBB47_1526
; %bb.1525:
	s_wait_xcnt 0x0
	v_bfe_i32 v4, v1, 0, 8
	s_mov_b32 s58, 0
	s_delay_alu instid0(VALU_DEP_1) | instskip(NEXT) | instid1(VALU_DEP_1)
	v_bfe_i32 v4, v4, 0, 16
	v_cvt_f64_i32_e32 v[4:5], v4
	global_store_b64 v[2:3], v[4:5], off
.LBB47_1526:
	s_and_not1_b32 vcc_lo, exec_lo, s58
	s_cbranch_vccnz .LBB47_1528
; %bb.1527:
	s_wait_xcnt 0x0
	v_bfe_i32 v4, v1, 0, 8
	s_delay_alu instid0(VALU_DEP_1) | instskip(NEXT) | instid1(VALU_DEP_1)
	v_bfe_i32 v4, v4, 0, 16
	v_cvt_f32_i32_e32 v4, v4
	global_store_b32 v[2:3], v4, off
.LBB47_1528:
	s_mov_b32 s58, 0
.LBB47_1529:
	s_delay_alu instid0(SALU_CYCLE_1)
	s_and_not1_b32 vcc_lo, exec_lo, s58
	s_cbranch_vccnz .LBB47_1531
; %bb.1530:
	s_wait_xcnt 0x0
	v_bfe_i32 v4, v1, 0, 8
	s_delay_alu instid0(VALU_DEP_1)
	v_cvt_f16_i16_e32 v4, v4
	global_store_b16 v[2:3], v4, off
.LBB47_1531:
	s_mov_b32 s58, 0
.LBB47_1532:
	s_delay_alu instid0(SALU_CYCLE_1)
	s_and_not1_b32 vcc_lo, exec_lo, s58
	s_cbranch_vccnz .LBB47_1548
; %bb.1533:
	s_cmp_lt_i32 s37, 2
	s_mov_b32 s58, -1
	s_cbranch_scc1 .LBB47_1543
; %bb.1534:
	s_cmp_lt_i32 s37, 3
	s_cbranch_scc1 .LBB47_1540
; %bb.1535:
	s_cmp_gt_i32 s37, 3
	s_cbranch_scc0 .LBB47_1537
; %bb.1536:
	s_wait_xcnt 0x0
	v_bfe_i32 v4, v1, 0, 8
	s_mov_b32 s58, 0
	s_delay_alu instid0(VALU_DEP_1)
	v_ashrrev_i32_e32 v5, 31, v4
	global_store_b64 v[2:3], v[4:5], off
.LBB47_1537:
	s_and_not1_b32 vcc_lo, exec_lo, s58
	s_cbranch_vccnz .LBB47_1539
; %bb.1538:
	s_wait_xcnt 0x0
	v_bfe_i32 v4, v1, 0, 8
	global_store_b32 v[2:3], v4, off
.LBB47_1539:
	s_mov_b32 s58, 0
.LBB47_1540:
	s_delay_alu instid0(SALU_CYCLE_1)
	s_and_not1_b32 vcc_lo, exec_lo, s58
	s_cbranch_vccnz .LBB47_1542
; %bb.1541:
	s_wait_xcnt 0x0
	v_bfe_i32 v4, v1, 0, 8
	global_store_b16 v[2:3], v4, off
.LBB47_1542:
	s_mov_b32 s58, 0
.LBB47_1543:
	s_delay_alu instid0(SALU_CYCLE_1)
	s_and_not1_b32 vcc_lo, exec_lo, s58
	s_cbranch_vccnz .LBB47_1548
; %bb.1544:
	s_cmp_gt_i32 s37, 0
	s_mov_b32 s37, -1
	s_cbranch_scc0 .LBB47_1546
; %bb.1545:
	s_mov_b32 s37, 0
	global_store_b8 v[2:3], v1, off
.LBB47_1546:
	s_and_not1_b32 vcc_lo, exec_lo, s37
	s_cbranch_vccnz .LBB47_1548
; %bb.1547:
	global_store_b8 v[2:3], v1, off
.LBB47_1548:
	s_mov_b32 s59, -1
.LBB47_1549:
	s_delay_alu instid0(SALU_CYCLE_1)
	s_and_not1_b32 vcc_lo, exec_lo, s59
	s_cbranch_vccnz .LBB47_1551
; %bb.1550:
	v_add_nc_u32_e32 v0, 0x80, v0
	s_mov_b32 s37, -1
	s_branch .LBB47_1553
.LBB47_1551:
	s_mov_b32 s37, 0
.LBB47_1552:
                                        ; implicit-def: $vgpr0
.LBB47_1553:
	s_and_not1_b32 s58, s53, exec_lo
	s_and_b32 s0, s0, exec_lo
	s_and_not1_b32 s59, s54, exec_lo
	s_and_b32 s36, s36, exec_lo
	s_or_b32 s61, s58, s0
	s_or_b32 s59, s59, s36
	s_and_not1_b32 s0, s55, exec_lo
	s_and_b32 s35, s35, exec_lo
	s_and_not1_b32 s36, s52, exec_lo
	s_and_b32 s34, s34, exec_lo
	s_or_b32 s60, s0, s35
	s_or_b32 s58, s36, s34
	s_or_not1_b32 s37, s37, exec_lo
.LBB47_1554:
	s_wait_xcnt 0x0
	s_or_b32 exec_lo, exec_lo, s57
	s_mov_b32 s35, 0
	s_mov_b32 s36, 0
	;; [unrolled: 1-line block ×3, first 2 shown]
                                        ; implicit-def: $sgpr0
                                        ; implicit-def: $vgpr10_vgpr11
                                        ; implicit-def: $vgpr2
                                        ; implicit-def: $vgpr6
                                        ; implicit-def: $vgpr8
                                        ; implicit-def: $vgpr4
	s_and_saveexec_b32 s57, s37
	s_cbranch_execz .LBB47_1643
; %bb.1555:
	v_cmp_gt_i32_e32 vcc_lo, s46, v0
	s_mov_b32 s37, s58
                                        ; implicit-def: $sgpr0
                                        ; implicit-def: $vgpr10_vgpr11
                                        ; implicit-def: $vgpr2
                                        ; implicit-def: $vgpr6
                                        ; implicit-def: $vgpr8
                                        ; implicit-def: $vgpr4
	s_and_saveexec_b32 s46, vcc_lo
	s_cbranch_execz .LBB47_1642
; %bb.1556:
	s_and_not1_b32 vcc_lo, exec_lo, s40
	s_cbranch_vccnz .LBB47_1562
; %bb.1557:
	s_and_not1_b32 vcc_lo, exec_lo, s47
	s_cbranch_vccnz .LBB47_1563
; %bb.1558:
	s_wait_loadcnt 0x0
	v_dual_mov_b32 v8, 0 :: v_dual_mov_b32 v1, v0
	v_dual_mov_b32 v6, 0 :: v_dual_mov_b32 v2, 0
	v_mov_b32_e32 v4, 0
	s_add_co_i32 s0, s44, 1
	s_mov_b64 s[34:35], 0xffffffffffffffe0
	s_and_b32 s0, s0, 30
	s_add_nc_u64 s[34:35], s[2:3], s[34:35]
	s_mov_b64 s[36:37], s[2:3]
.LBB47_1559:                            ; =>This Inner Loop Header: Depth=1
	s_clause 0x1
	s_load_b128 s[72:75], s[36:37], 0x4
	s_load_b64 s[62:63], s[36:37], 0x14
	s_load_b256 s[64:71], s[34:35], 0xe4
	s_add_co_i32 s0, s0, -2
	s_wait_xcnt 0x0
	s_add_nc_u64 s[36:37], s[36:37], 24
	s_cmp_eq_u32 s0, 0
	s_add_nc_u64 s[34:35], s[34:35], 32
	s_wait_kmcnt 0x0
	v_mul_hi_u32 v3, s73, v1
	s_delay_alu instid0(VALU_DEP_1) | instskip(NEXT) | instid1(VALU_DEP_1)
	v_add_nc_u32_e32 v3, v1, v3
	v_lshrrev_b32_e32 v3, s74, v3
	s_delay_alu instid0(VALU_DEP_1) | instskip(SKIP_1) | instid1(VALU_DEP_1)
	v_mul_hi_u32 v5, s62, v3
	v_mul_lo_u32 v7, v3, s72
	v_dual_add_nc_u32 v5, v3, v5 :: v_dual_sub_nc_u32 v7, v1, v7
	s_delay_alu instid0(VALU_DEP_1) | instskip(NEXT) | instid1(VALU_DEP_2)
	v_lshrrev_b32_e32 v1, s63, v5
	v_mad_u32 v4, v7, s65, v4
	v_mad_u32 v2, v7, s64, v2
	;; [unrolled: 1-line block ×4, first 2 shown]
	v_mul_lo_u32 v5, v1, s75
	s_delay_alu instid0(VALU_DEP_1) | instskip(NEXT) | instid1(VALU_DEP_1)
	v_sub_nc_u32_e32 v3, v3, v5
	v_mad_u32 v4, v3, s69, v4
	v_mad_u32 v2, v3, s68, v2
	;; [unrolled: 1-line block ×4, first 2 shown]
	s_cbranch_scc0 .LBB47_1559
; %bb.1560:
	s_bitcmp1_b32 s44, 0
	s_cselect_b32 s0, -1, 0
	s_delay_alu instid0(SALU_CYCLE_1)
	s_and_b32 vcc_lo, exec_lo, s0
	s_cbranch_vccnz .LBB47_1564
; %bb.1561:
	s_load_b96 s[68:70], s[36:37], 0x4
	s_load_b128 s[64:67], s[34:35], 0xe4
	s_wait_kmcnt 0x0
	v_mul_hi_u32 v3, s69, v1
	s_delay_alu instid0(VALU_DEP_1) | instskip(NEXT) | instid1(VALU_DEP_1)
	v_add_nc_u32_e32 v3, v1, v3
	v_lshrrev_b32_e32 v3, s70, v3
	s_delay_alu instid0(VALU_DEP_1) | instskip(NEXT) | instid1(VALU_DEP_1)
	v_mul_lo_u32 v3, v3, s68
	v_sub_nc_u32_e32 v1, v1, v3
	s_delay_alu instid0(VALU_DEP_1)
	v_mad_u32 v2, v1, s64, v2
	v_mad_u32 v4, v1, s65, v4
	;; [unrolled: 1-line block ×4, first 2 shown]
	s_branch .LBB47_1564
.LBB47_1562:
	s_mov_b32 s0, -1
                                        ; implicit-def: $vgpr4
                                        ; implicit-def: $vgpr2
                                        ; implicit-def: $vgpr6
                                        ; implicit-def: $vgpr8
	s_branch .LBB47_1565
.LBB47_1563:
	s_wait_loadcnt 0x0
	v_dual_mov_b32 v4, 0 :: v_dual_mov_b32 v2, 0
	v_dual_mov_b32 v6, 0 :: v_dual_mov_b32 v8, 0
.LBB47_1564:
	s_mov_b32 s0, 0
.LBB47_1565:
	s_delay_alu instid0(SALU_CYCLE_1)
	s_and_not1_b32 vcc_lo, exec_lo, s0
	s_cbranch_vccnz .LBB47_1568
; %bb.1566:
	v_mov_b32_e32 v1, 0
	s_and_not1_b32 vcc_lo, exec_lo, s43
	s_delay_alu instid0(VALU_DEP_1) | instskip(NEXT) | instid1(VALU_DEP_1)
	v_mul_u64_e32 v[2:3], s[26:27], v[0:1]
	v_add_nc_u32_e32 v2, v0, v3
	s_wait_loadcnt 0x0
	s_delay_alu instid0(VALU_DEP_1) | instskip(NEXT) | instid1(VALU_DEP_1)
	v_lshrrev_b32_e32 v10, s22, v2
	v_mul_lo_u32 v2, v10, s20
	s_delay_alu instid0(VALU_DEP_1) | instskip(NEXT) | instid1(VALU_DEP_1)
	v_sub_nc_u32_e32 v0, v0, v2
	v_mul_lo_u32 v4, v0, s13
	v_mul_lo_u32 v2, v0, s12
	;; [unrolled: 1-line block ×4, first 2 shown]
	s_cbranch_vccnz .LBB47_1568
; %bb.1567:
	v_mov_b32_e32 v11, v1
	s_delay_alu instid0(VALU_DEP_1) | instskip(NEXT) | instid1(VALU_DEP_1)
	v_mul_u64_e32 v[0:1], s[30:31], v[10:11]
	v_add_nc_u32_e32 v0, v10, v1
	s_delay_alu instid0(VALU_DEP_1) | instskip(NEXT) | instid1(VALU_DEP_1)
	v_lshrrev_b32_e32 v0, s1, v0
	v_mul_lo_u32 v0, v0, s23
	s_delay_alu instid0(VALU_DEP_1) | instskip(NEXT) | instid1(VALU_DEP_1)
	v_sub_nc_u32_e32 v0, v10, v0
	v_mad_u32 v2, v0, s16, v2
	v_mad_u32 v4, v0, s17, v4
	;; [unrolled: 1-line block ×4, first 2 shown]
.LBB47_1568:
	s_wait_loadcnt 0x0
	v_mov_b32_e32 v5, 0
	s_and_b32 s0, s28, 0xff
	s_delay_alu instid0(SALU_CYCLE_1) | instskip(NEXT) | instid1(VALU_DEP_1)
	s_cmp_lt_i32 s0, 11
	v_add_nc_u64_e32 v[10:11], s[6:7], v[4:5]
	s_cbranch_scc1 .LBB47_1575
; %bb.1569:
	s_and_b32 s1, 0xffff, s0
	s_mov_b32 s7, 0
	s_cmp_gt_i32 s1, 25
	s_cbranch_scc0 .LBB47_1576
; %bb.1570:
	s_cmp_gt_i32 s1, 28
	s_cbranch_scc0 .LBB47_1577
; %bb.1571:
	;; [unrolled: 3-line block ×4, first 2 shown]
	s_cmp_eq_u32 s1, 46
	s_mov_b32 s13, 0
	s_cbranch_scc0 .LBB47_1580
; %bb.1574:
	global_load_b32 v0, v[10:11], off
	s_mov_b32 s6, 0
	s_mov_b32 s12, -1
	s_wait_loadcnt 0x0
	v_lshlrev_b32_e32 v0, 16, v0
	s_delay_alu instid0(VALU_DEP_1)
	v_cvt_i32_f32_e32 v4, v0
	s_branch .LBB47_1582
.LBB47_1575:
	s_mov_b32 s1, -1
	s_mov_b32 s12, 0
	s_mov_b32 s7, 0
	s_mov_b32 s6, s58
                                        ; implicit-def: $vgpr4
	s_branch .LBB47_1641
.LBB47_1576:
	s_mov_b32 s13, -1
	s_mov_b32 s12, 0
	s_mov_b32 s6, s58
                                        ; implicit-def: $vgpr4
	s_branch .LBB47_1609
.LBB47_1577:
	s_mov_b32 s13, -1
	s_mov_b32 s12, 0
	s_mov_b32 s6, s58
                                        ; implicit-def: $vgpr4
	s_branch .LBB47_1592
.LBB47_1578:
	s_mov_b32 s13, -1
	s_mov_b32 s12, 0
	s_mov_b32 s6, s58
                                        ; implicit-def: $vgpr4
	s_branch .LBB47_1587
.LBB47_1579:
	s_mov_b32 s13, -1
	s_mov_b32 s12, 0
	s_mov_b32 s6, s58
	s_branch .LBB47_1581
.LBB47_1580:
	s_mov_b32 s6, -1
	s_mov_b32 s12, 0
.LBB47_1581:
                                        ; implicit-def: $vgpr4
.LBB47_1582:
	s_and_b32 vcc_lo, exec_lo, s13
	s_cbranch_vccz .LBB47_1586
; %bb.1583:
	s_cmp_eq_u32 s1, 44
	s_cbranch_scc0 .LBB47_1585
; %bb.1584:
	global_load_u8 v0, v[10:11], off
	s_mov_b32 s6, 0
	s_mov_b32 s12, -1
	s_wait_loadcnt 0x0
	v_lshlrev_b32_e32 v1, 23, v0
	v_cmp_ne_u32_e32 vcc_lo, 0, v0
	s_delay_alu instid0(VALU_DEP_2) | instskip(NEXT) | instid1(VALU_DEP_1)
	v_cvt_i32_f32_e32 v1, v1
	v_cndmask_b32_e32 v4, 0, v1, vcc_lo
	s_branch .LBB47_1586
.LBB47_1585:
	s_mov_b32 s6, -1
                                        ; implicit-def: $vgpr4
.LBB47_1586:
	s_mov_b32 s13, 0
.LBB47_1587:
	s_delay_alu instid0(SALU_CYCLE_1)
	s_and_b32 vcc_lo, exec_lo, s13
	s_cbranch_vccz .LBB47_1591
; %bb.1588:
	s_cmp_eq_u32 s1, 29
	s_cbranch_scc0 .LBB47_1590
; %bb.1589:
	global_load_b64 v[4:5], v[10:11], off
	s_mov_b32 s6, 0
	s_mov_b32 s12, -1
	s_branch .LBB47_1591
.LBB47_1590:
	s_mov_b32 s6, -1
                                        ; implicit-def: $vgpr4
.LBB47_1591:
	s_mov_b32 s13, 0
.LBB47_1592:
	s_delay_alu instid0(SALU_CYCLE_1)
	s_and_b32 vcc_lo, exec_lo, s13
	s_cbranch_vccz .LBB47_1608
; %bb.1593:
	s_cmp_lt_i32 s1, 27
	s_cbranch_scc1 .LBB47_1596
; %bb.1594:
	s_cmp_gt_i32 s1, 27
	s_cbranch_scc0 .LBB47_1597
; %bb.1595:
	s_wait_loadcnt 0x0
	global_load_b32 v4, v[10:11], off
	s_mov_b32 s12, 0
	s_branch .LBB47_1598
.LBB47_1596:
	s_mov_b32 s12, -1
                                        ; implicit-def: $vgpr4
	s_branch .LBB47_1601
.LBB47_1597:
	s_mov_b32 s12, -1
                                        ; implicit-def: $vgpr4
.LBB47_1598:
	s_delay_alu instid0(SALU_CYCLE_1)
	s_and_not1_b32 vcc_lo, exec_lo, s12
	s_cbranch_vccnz .LBB47_1600
; %bb.1599:
	s_wait_loadcnt 0x0
	global_load_u16 v4, v[10:11], off
.LBB47_1600:
	s_mov_b32 s12, 0
.LBB47_1601:
	s_delay_alu instid0(SALU_CYCLE_1)
	s_and_not1_b32 vcc_lo, exec_lo, s12
	s_cbranch_vccnz .LBB47_1607
; %bb.1602:
	global_load_u8 v0, v[10:11], off
	s_mov_b32 s13, 0
	s_mov_b32 s12, exec_lo
	s_wait_loadcnt 0x0
	v_cmpx_lt_i16_e32 0x7f, v0
	s_xor_b32 s12, exec_lo, s12
	s_cbranch_execz .LBB47_1619
; %bb.1603:
	v_cmp_ne_u16_e32 vcc_lo, 0x80, v0
	s_and_b32 s13, vcc_lo, exec_lo
	s_and_not1_saveexec_b32 s12, s12
	s_cbranch_execnz .LBB47_1620
.LBB47_1604:
	s_or_b32 exec_lo, exec_lo, s12
	v_mov_b32_e32 v4, 0
	s_and_saveexec_b32 s12, s13
	s_cbranch_execz .LBB47_1606
.LBB47_1605:
	v_and_b32_e32 v1, 0xffff, v0
	s_delay_alu instid0(VALU_DEP_1) | instskip(SKIP_1) | instid1(VALU_DEP_2)
	v_and_b32_e32 v3, 7, v1
	v_bfe_u32 v7, v1, 3, 4
	v_clz_i32_u32_e32 v4, v3
	s_delay_alu instid0(VALU_DEP_2) | instskip(NEXT) | instid1(VALU_DEP_2)
	v_cmp_eq_u32_e32 vcc_lo, 0, v7
	v_min_u32_e32 v4, 32, v4
	s_delay_alu instid0(VALU_DEP_1) | instskip(NEXT) | instid1(VALU_DEP_1)
	v_subrev_nc_u32_e32 v5, 28, v4
	v_dual_lshlrev_b32 v1, v5, v1 :: v_dual_sub_nc_u32 v4, 29, v4
	s_delay_alu instid0(VALU_DEP_1) | instskip(NEXT) | instid1(VALU_DEP_1)
	v_dual_lshlrev_b32 v0, 24, v0 :: v_dual_bitop2_b32 v1, 7, v1 bitop3:0x40
	v_cndmask_b32_e32 v1, v3, v1, vcc_lo
	s_delay_alu instid0(VALU_DEP_3) | instskip(NEXT) | instid1(VALU_DEP_3)
	v_cndmask_b32_e32 v4, v7, v4, vcc_lo
	v_and_b32_e32 v0, 0x80000000, v0
	s_delay_alu instid0(VALU_DEP_3) | instskip(NEXT) | instid1(VALU_DEP_3)
	v_lshlrev_b32_e32 v1, 20, v1
	v_lshl_add_u32 v3, v4, 23, 0x3b800000
	s_delay_alu instid0(VALU_DEP_1) | instskip(NEXT) | instid1(VALU_DEP_1)
	v_or3_b32 v0, v0, v3, v1
	v_cvt_i32_f32_e32 v4, v0
.LBB47_1606:
	s_or_b32 exec_lo, exec_lo, s12
.LBB47_1607:
	s_mov_b32 s12, -1
.LBB47_1608:
	s_mov_b32 s13, 0
.LBB47_1609:
	s_delay_alu instid0(SALU_CYCLE_1)
	s_and_b32 vcc_lo, exec_lo, s13
	s_cbranch_vccz .LBB47_1640
; %bb.1610:
	s_cmp_gt_i32 s1, 22
	s_cbranch_scc0 .LBB47_1618
; %bb.1611:
	s_cmp_lt_i32 s1, 24
	s_cbranch_scc1 .LBB47_1621
; %bb.1612:
	s_cmp_gt_i32 s1, 24
	s_cbranch_scc0 .LBB47_1622
; %bb.1613:
	global_load_u8 v0, v[10:11], off
	s_mov_b32 s12, 0
	s_mov_b32 s7, exec_lo
	s_wait_loadcnt 0x0
	v_cmpx_lt_i16_e32 0x7f, v0
	s_xor_b32 s7, exec_lo, s7
	s_cbranch_execz .LBB47_1634
; %bb.1614:
	v_cmp_ne_u16_e32 vcc_lo, 0x80, v0
	s_and_b32 s12, vcc_lo, exec_lo
	s_and_not1_saveexec_b32 s7, s7
	s_cbranch_execnz .LBB47_1635
.LBB47_1615:
	s_or_b32 exec_lo, exec_lo, s7
	v_mov_b32_e32 v4, 0
	s_and_saveexec_b32 s7, s12
	s_cbranch_execz .LBB47_1617
.LBB47_1616:
	v_and_b32_e32 v1, 0xffff, v0
	s_delay_alu instid0(VALU_DEP_1) | instskip(SKIP_1) | instid1(VALU_DEP_2)
	v_and_b32_e32 v3, 3, v1
	v_bfe_u32 v7, v1, 2, 5
	v_clz_i32_u32_e32 v4, v3
	s_delay_alu instid0(VALU_DEP_2) | instskip(NEXT) | instid1(VALU_DEP_2)
	v_cmp_eq_u32_e32 vcc_lo, 0, v7
	v_min_u32_e32 v4, 32, v4
	s_delay_alu instid0(VALU_DEP_1) | instskip(NEXT) | instid1(VALU_DEP_1)
	v_subrev_nc_u32_e32 v5, 29, v4
	v_dual_lshlrev_b32 v1, v5, v1 :: v_dual_sub_nc_u32 v4, 30, v4
	s_delay_alu instid0(VALU_DEP_1) | instskip(NEXT) | instid1(VALU_DEP_1)
	v_dual_lshlrev_b32 v0, 24, v0 :: v_dual_bitop2_b32 v1, 3, v1 bitop3:0x40
	v_cndmask_b32_e32 v1, v3, v1, vcc_lo
	s_delay_alu instid0(VALU_DEP_3) | instskip(NEXT) | instid1(VALU_DEP_3)
	v_cndmask_b32_e32 v4, v7, v4, vcc_lo
	v_and_b32_e32 v0, 0x80000000, v0
	s_delay_alu instid0(VALU_DEP_3) | instskip(NEXT) | instid1(VALU_DEP_3)
	v_lshlrev_b32_e32 v1, 21, v1
	v_lshl_add_u32 v3, v4, 23, 0x37800000
	s_delay_alu instid0(VALU_DEP_1) | instskip(NEXT) | instid1(VALU_DEP_1)
	v_or3_b32 v0, v0, v3, v1
	v_cvt_i32_f32_e32 v4, v0
.LBB47_1617:
	s_or_b32 exec_lo, exec_lo, s7
	s_mov_b32 s7, 0
	s_branch .LBB47_1623
.LBB47_1618:
	s_mov_b32 s7, -1
                                        ; implicit-def: $vgpr4
	s_branch .LBB47_1629
.LBB47_1619:
	s_and_not1_saveexec_b32 s12, s12
	s_cbranch_execz .LBB47_1604
.LBB47_1620:
	v_cmp_ne_u16_e32 vcc_lo, 0, v0
	s_and_not1_b32 s13, s13, exec_lo
	s_and_b32 s14, vcc_lo, exec_lo
	s_delay_alu instid0(SALU_CYCLE_1)
	s_or_b32 s13, s13, s14
	s_or_b32 exec_lo, exec_lo, s12
	v_mov_b32_e32 v4, 0
	s_and_saveexec_b32 s12, s13
	s_cbranch_execnz .LBB47_1605
	s_branch .LBB47_1606
.LBB47_1621:
	s_mov_b32 s7, -1
                                        ; implicit-def: $vgpr4
	s_branch .LBB47_1626
.LBB47_1622:
	s_mov_b32 s7, -1
                                        ; implicit-def: $vgpr4
.LBB47_1623:
	s_delay_alu instid0(SALU_CYCLE_1)
	s_and_b32 vcc_lo, exec_lo, s7
	s_cbranch_vccz .LBB47_1625
; %bb.1624:
	global_load_u8 v0, v[10:11], off
	s_wait_loadcnt 0x0
	v_lshlrev_b32_e32 v0, 24, v0
	s_delay_alu instid0(VALU_DEP_1) | instskip(NEXT) | instid1(VALU_DEP_1)
	v_and_b32_e32 v1, 0x7f000000, v0
	v_clz_i32_u32_e32 v3, v1
	v_add_nc_u32_e32 v5, 0x1000000, v1
	v_cmp_ne_u32_e32 vcc_lo, 0, v1
	s_delay_alu instid0(VALU_DEP_3) | instskip(NEXT) | instid1(VALU_DEP_1)
	v_min_u32_e32 v3, 32, v3
	v_sub_nc_u32_e64 v3, v3, 4 clamp
	s_delay_alu instid0(VALU_DEP_1) | instskip(NEXT) | instid1(VALU_DEP_1)
	v_dual_lshlrev_b32 v4, v3, v1 :: v_dual_lshlrev_b32 v3, 23, v3
	v_lshrrev_b32_e32 v4, 4, v4
	s_delay_alu instid0(VALU_DEP_1) | instskip(NEXT) | instid1(VALU_DEP_1)
	v_dual_sub_nc_u32 v3, v4, v3 :: v_dual_ashrrev_i32 v4, 8, v5
	v_add_nc_u32_e32 v3, 0x3c000000, v3
	s_delay_alu instid0(VALU_DEP_1) | instskip(NEXT) | instid1(VALU_DEP_1)
	v_and_or_b32 v3, 0x7f800000, v4, v3
	v_cndmask_b32_e32 v1, 0, v3, vcc_lo
	s_delay_alu instid0(VALU_DEP_1) | instskip(NEXT) | instid1(VALU_DEP_1)
	v_and_or_b32 v0, 0x80000000, v0, v1
	v_cvt_i32_f32_e32 v4, v0
.LBB47_1625:
	s_mov_b32 s7, 0
.LBB47_1626:
	s_delay_alu instid0(SALU_CYCLE_1)
	s_and_not1_b32 vcc_lo, exec_lo, s7
	s_cbranch_vccnz .LBB47_1628
; %bb.1627:
	global_load_u8 v0, v[10:11], off
	s_wait_loadcnt 0x0
	v_lshlrev_b32_e32 v1, 25, v0
	v_lshlrev_b16 v0, 8, v0
	s_delay_alu instid0(VALU_DEP_2) | instskip(NEXT) | instid1(VALU_DEP_2)
	v_cmp_gt_u32_e32 vcc_lo, 0x8000000, v1
	v_and_or_b32 v4, 0x7f00, v0, 0.5
	v_lshrrev_b32_e32 v3, 4, v1
	v_bfe_i32 v0, v0, 0, 16
	s_delay_alu instid0(VALU_DEP_3) | instskip(NEXT) | instid1(VALU_DEP_3)
	v_add_f32_e32 v4, -0.5, v4
	v_or_b32_e32 v3, 0x70000000, v3
	s_delay_alu instid0(VALU_DEP_1) | instskip(NEXT) | instid1(VALU_DEP_1)
	v_mul_f32_e32 v3, 0x7800000, v3
	v_cndmask_b32_e32 v1, v3, v4, vcc_lo
	s_delay_alu instid0(VALU_DEP_1) | instskip(NEXT) | instid1(VALU_DEP_1)
	v_and_or_b32 v0, 0x80000000, v0, v1
	v_cvt_i32_f32_e32 v4, v0
.LBB47_1628:
	s_mov_b32 s7, 0
	s_mov_b32 s12, -1
.LBB47_1629:
	s_and_not1_b32 vcc_lo, exec_lo, s7
	s_mov_b32 s7, 0
	s_cbranch_vccnz .LBB47_1640
; %bb.1630:
	s_cmp_gt_i32 s1, 14
	s_cbranch_scc0 .LBB47_1633
; %bb.1631:
	s_cmp_eq_u32 s1, 15
	s_cbranch_scc0 .LBB47_1636
; %bb.1632:
	global_load_u16 v0, v[10:11], off
	s_mov_b32 s6, 0
	s_mov_b32 s12, -1
	s_wait_loadcnt 0x0
	v_lshlrev_b32_e32 v0, 16, v0
	s_delay_alu instid0(VALU_DEP_1)
	v_cvt_i32_f32_e32 v4, v0
	s_branch .LBB47_1638
.LBB47_1633:
	s_mov_b32 s7, -1
	s_branch .LBB47_1637
.LBB47_1634:
	s_and_not1_saveexec_b32 s7, s7
	s_cbranch_execz .LBB47_1615
.LBB47_1635:
	v_cmp_ne_u16_e32 vcc_lo, 0, v0
	s_and_not1_b32 s12, s12, exec_lo
	s_and_b32 s13, vcc_lo, exec_lo
	s_delay_alu instid0(SALU_CYCLE_1)
	s_or_b32 s12, s12, s13
	s_or_b32 exec_lo, exec_lo, s7
	v_mov_b32_e32 v4, 0
	s_and_saveexec_b32 s7, s12
	s_cbranch_execnz .LBB47_1616
	s_branch .LBB47_1617
.LBB47_1636:
	s_mov_b32 s6, -1
.LBB47_1637:
                                        ; implicit-def: $vgpr4
.LBB47_1638:
	s_and_b32 vcc_lo, exec_lo, s7
	s_mov_b32 s7, 0
	s_cbranch_vccz .LBB47_1640
; %bb.1639:
	s_cmp_lg_u32 s1, 11
	s_mov_b32 s7, -1
	s_cselect_b32 s1, -1, 0
	s_and_not1_b32 s6, s6, exec_lo
	s_and_b32 s1, s1, exec_lo
	s_delay_alu instid0(SALU_CYCLE_1)
	s_or_b32 s6, s6, s1
.LBB47_1640:
	s_mov_b32 s1, 0
.LBB47_1641:
	s_delay_alu instid0(SALU_CYCLE_1)
	s_and_b32 s36, s1, exec_lo
	s_and_not1_b32 s1, s58, exec_lo
	s_and_b32 s6, s6, exec_lo
	s_and_b32 s34, s12, exec_lo
	;; [unrolled: 1-line block ×3, first 2 shown]
	s_or_b32 s37, s1, s6
.LBB47_1642:
	s_wait_xcnt 0x0
	s_or_b32 exec_lo, exec_lo, s46
	s_delay_alu instid0(SALU_CYCLE_1)
	s_and_not1_b32 s1, s58, exec_lo
	s_and_b32 s6, s37, exec_lo
	s_and_b32 s34, s34, exec_lo
	;; [unrolled: 1-line block ×4, first 2 shown]
	s_or_b32 s58, s1, s6
.LBB47_1643:
	s_or_b32 exec_lo, exec_lo, s57
	s_delay_alu instid0(SALU_CYCLE_1)
	s_and_not1_b32 s1, s53, exec_lo
	s_and_b32 s6, s61, exec_lo
	s_and_not1_b32 s7, s55, exec_lo
	s_or_b32 s53, s1, s6
	s_and_not1_b32 s1, s54, exec_lo
	s_and_b32 s6, s59, exec_lo
	s_and_b32 s12, s60, exec_lo
	s_or_b32 s54, s1, s6
	s_and_not1_b32 s1, s52, exec_lo
	s_and_b32 s6, s58, exec_lo
	s_or_b32 s55, s7, s12
	s_and_b32 s34, s34, exec_lo
	s_and_b32 s36, s36, exec_lo
	;; [unrolled: 1-line block ×3, first 2 shown]
	s_or_b32 s52, s1, s6
.LBB47_1644:
	s_or_b32 exec_lo, exec_lo, s56
	s_delay_alu instid0(SALU_CYCLE_1)
	s_and_not1_b32 s1, s45, exec_lo
	s_and_b32 s6, s53, exec_lo
	s_and_not1_b32 s7, s49, exec_lo
	s_or_b32 s45, s1, s6
	s_and_not1_b32 s1, s48, exec_lo
	s_and_b32 s6, s54, exec_lo
	s_and_b32 s12, s55, exec_lo
	s_or_b32 s48, s1, s6
	s_and_not1_b32 s1, s50, exec_lo
	s_and_b32 s6, s52, exec_lo
	s_or_b32 s49, s7, s12
	s_and_b32 s34, s34, exec_lo
	s_and_b32 s36, s36, exec_lo
	;; [unrolled: 1-line block ×3, first 2 shown]
	s_or_b32 s50, s1, s6
	s_or_b32 exec_lo, exec_lo, s51
	s_mov_b32 s1, 0
	s_and_saveexec_b32 s6, s50
	s_cbranch_execz .LBB47_520
.LBB47_1645:
	s_mov_b32 s1, exec_lo
	s_and_not1_b32 s27, s27, exec_lo
	s_trap 2
	s_or_b32 exec_lo, exec_lo, s6
	s_and_saveexec_b32 s6, s27
	s_delay_alu instid0(SALU_CYCLE_1)
	s_xor_b32 s6, exec_lo, s6
	s_cbranch_execnz .LBB47_521
.LBB47_1646:
	s_or_b32 exec_lo, exec_lo, s6
	s_and_saveexec_b32 s6, s36
	s_cbranch_execz .LBB47_1692
.LBB47_1647:
	s_sext_i32_i16 s7, s0
	s_delay_alu instid0(SALU_CYCLE_1)
	s_cmp_lt_i32 s7, 5
	s_cbranch_scc1 .LBB47_1652
; %bb.1648:
	s_cmp_lt_i32 s7, 8
	s_cbranch_scc1 .LBB47_1653
; %bb.1649:
	s_cmp_lt_i32 s7, 9
	s_cbranch_scc1 .LBB47_1654
; %bb.1650:
	s_cmp_gt_i32 s7, 9
	s_cbranch_scc0 .LBB47_1655
; %bb.1651:
	s_wait_loadcnt 0x0
	global_load_b64 v[0:1], v[10:11], off
	s_mov_b32 s7, 0
	s_wait_loadcnt 0x0
	v_cvt_i32_f64_e32 v4, v[0:1]
	s_branch .LBB47_1656
.LBB47_1652:
                                        ; implicit-def: $vgpr4
	s_branch .LBB47_1673
.LBB47_1653:
                                        ; implicit-def: $vgpr4
	s_branch .LBB47_1662
.LBB47_1654:
	s_mov_b32 s7, -1
                                        ; implicit-def: $vgpr4
	s_branch .LBB47_1659
.LBB47_1655:
	s_mov_b32 s7, -1
                                        ; implicit-def: $vgpr4
.LBB47_1656:
	s_delay_alu instid0(SALU_CYCLE_1)
	s_and_not1_b32 vcc_lo, exec_lo, s7
	s_cbranch_vccnz .LBB47_1658
; %bb.1657:
	s_wait_loadcnt 0x0
	global_load_b32 v0, v[10:11], off
	s_wait_loadcnt 0x0
	v_cvt_i32_f32_e32 v4, v0
.LBB47_1658:
	s_mov_b32 s7, 0
.LBB47_1659:
	s_delay_alu instid0(SALU_CYCLE_1)
	s_and_not1_b32 vcc_lo, exec_lo, s7
	s_cbranch_vccnz .LBB47_1661
; %bb.1660:
	s_wait_loadcnt 0x0
	global_load_b32 v0, v[10:11], off
	s_wait_loadcnt 0x0
	v_cvt_i16_f16_e32 v4, v0
.LBB47_1661:
	s_cbranch_execnz .LBB47_1672
.LBB47_1662:
	s_sext_i32_i16 s7, s0
	s_delay_alu instid0(SALU_CYCLE_1)
	s_cmp_lt_i32 s7, 6
	s_cbranch_scc1 .LBB47_1665
; %bb.1663:
	s_cmp_gt_i32 s7, 6
	s_cbranch_scc0 .LBB47_1666
; %bb.1664:
	s_wait_loadcnt 0x0
	global_load_b64 v[0:1], v[10:11], off
	s_mov_b32 s7, 0
	s_wait_loadcnt 0x0
	v_cvt_i32_f64_e32 v4, v[0:1]
	s_branch .LBB47_1667
.LBB47_1665:
	s_mov_b32 s7, -1
                                        ; implicit-def: $vgpr4
	s_branch .LBB47_1670
.LBB47_1666:
	s_mov_b32 s7, -1
                                        ; implicit-def: $vgpr4
.LBB47_1667:
	s_delay_alu instid0(SALU_CYCLE_1)
	s_and_not1_b32 vcc_lo, exec_lo, s7
	s_cbranch_vccnz .LBB47_1669
; %bb.1668:
	s_wait_loadcnt 0x0
	global_load_b32 v0, v[10:11], off
	s_wait_loadcnt 0x0
	v_cvt_i32_f32_e32 v4, v0
.LBB47_1669:
	s_mov_b32 s7, 0
.LBB47_1670:
	s_delay_alu instid0(SALU_CYCLE_1)
	s_and_not1_b32 vcc_lo, exec_lo, s7
	s_cbranch_vccnz .LBB47_1672
; %bb.1671:
	s_wait_loadcnt 0x0
	global_load_u16 v0, v[10:11], off
	s_wait_loadcnt 0x0
	v_cvt_i16_f16_e32 v4, v0
.LBB47_1672:
	s_cbranch_execnz .LBB47_1691
.LBB47_1673:
	s_sext_i32_i16 s7, s0
	s_delay_alu instid0(SALU_CYCLE_1)
	s_cmp_lt_i32 s7, 2
	s_cbranch_scc1 .LBB47_1677
; %bb.1674:
	s_cmp_lt_i32 s7, 3
	s_cbranch_scc1 .LBB47_1678
; %bb.1675:
	s_cmp_gt_i32 s7, 3
	s_cbranch_scc0 .LBB47_1679
; %bb.1676:
	s_wait_loadcnt 0x0
	global_load_b64 v[4:5], v[10:11], off
	s_mov_b32 s7, 0
	s_branch .LBB47_1680
.LBB47_1677:
                                        ; implicit-def: $vgpr4
	s_branch .LBB47_1686
.LBB47_1678:
	s_mov_b32 s7, -1
                                        ; implicit-def: $vgpr4
	s_branch .LBB47_1683
.LBB47_1679:
	s_mov_b32 s7, -1
                                        ; implicit-def: $vgpr4
.LBB47_1680:
	s_delay_alu instid0(SALU_CYCLE_1)
	s_and_not1_b32 vcc_lo, exec_lo, s7
	s_cbranch_vccnz .LBB47_1682
; %bb.1681:
	s_wait_loadcnt 0x0
	global_load_b32 v4, v[10:11], off
.LBB47_1682:
	s_mov_b32 s7, 0
.LBB47_1683:
	s_delay_alu instid0(SALU_CYCLE_1)
	s_and_not1_b32 vcc_lo, exec_lo, s7
	s_cbranch_vccnz .LBB47_1685
; %bb.1684:
	s_wait_loadcnt 0x0
	global_load_u16 v4, v[10:11], off
.LBB47_1685:
	s_cbranch_execnz .LBB47_1691
.LBB47_1686:
	s_sext_i32_i16 s0, s0
	s_delay_alu instid0(SALU_CYCLE_1)
	s_cmp_gt_i32 s0, 0
	s_mov_b32 s0, 0
	s_cbranch_scc0 .LBB47_1688
; %bb.1687:
	s_wait_loadcnt 0x0
	global_load_u8 v4, v[10:11], off
	s_branch .LBB47_1689
.LBB47_1688:
	s_mov_b32 s0, -1
                                        ; implicit-def: $vgpr4
.LBB47_1689:
	s_delay_alu instid0(SALU_CYCLE_1)
	s_and_not1_b32 vcc_lo, exec_lo, s0
	s_cbranch_vccnz .LBB47_1691
; %bb.1690:
	s_wait_loadcnt 0x0
	global_load_u8 v4, v[10:11], off
.LBB47_1691:
	s_or_b32 s34, s34, exec_lo
.LBB47_1692:
	s_wait_xcnt 0x0
	s_or_b32 exec_lo, exec_lo, s6
	s_mov_b32 s13, 0
	s_mov_b32 s12, 0
	;; [unrolled: 1-line block ×3, first 2 shown]
                                        ; implicit-def: $sgpr0
                                        ; implicit-def: $vgpr10_vgpr11
                                        ; implicit-def: $vgpr0
	s_and_saveexec_b32 s6, s34
	s_cbranch_execz .LBB47_1700
; %bb.1693:
	s_wait_loadcnt 0x0
	v_mov_b32_e32 v9, 0
	s_and_b32 s0, s25, 0xff
	s_delay_alu instid0(SALU_CYCLE_1) | instskip(NEXT) | instid1(VALU_DEP_1)
	s_cmp_lt_i32 s0, 11
	v_add_nc_u64_e32 v[10:11], s[8:9], v[8:9]
	s_cbranch_scc1 .LBB47_1703
; %bb.1694:
	s_and_b32 s7, 0xffff, s0
	s_mov_b32 s9, 0
	s_cmp_gt_i32 s7, 25
	s_cbranch_scc0 .LBB47_1704
; %bb.1695:
	s_cmp_gt_i32 s7, 28
	s_cbranch_scc0 .LBB47_1705
; %bb.1696:
	;; [unrolled: 3-line block ×4, first 2 shown]
	s_cmp_eq_u32 s7, 46
	s_cbranch_scc0 .LBB47_1708
; %bb.1699:
	global_load_b32 v0, v[10:11], off
	s_mov_b32 s8, 0
	s_mov_b32 s12, -1
	s_wait_loadcnt 0x0
	v_lshlrev_b32_e32 v0, 16, v0
	s_delay_alu instid0(VALU_DEP_1)
	v_cvt_i32_f32_e32 v0, v0
	s_branch .LBB47_1710
.LBB47_1700:
	s_or_b32 exec_lo, exec_lo, s6
	s_and_saveexec_b32 s6, s49
	s_cbranch_execnz .LBB47_1769
.LBB47_1701:
	s_or_b32 exec_lo, exec_lo, s6
	s_and_saveexec_b32 s6, s13
	s_delay_alu instid0(SALU_CYCLE_1)
	s_xor_b32 s6, exec_lo, s6
	s_cbranch_execz .LBB47_1770
.LBB47_1702:
	s_wait_loadcnt 0x0
	global_load_u8 v0, v[10:11], off
	s_or_b32 s7, s7, exec_lo
	s_wait_loadcnt 0x0
	v_cmp_ne_u16_e32 vcc_lo, 0, v0
	v_cndmask_b32_e64 v0, 0, 1, vcc_lo
	s_wait_xcnt 0x0
	s_or_b32 exec_lo, exec_lo, s6
	s_and_saveexec_b32 s6, s12
	s_cbranch_execz .LBB47_1816
	s_branch .LBB47_1771
.LBB47_1703:
	s_mov_b32 s13, -1
	s_mov_b32 s9, 0
	s_mov_b32 s8, s49
                                        ; implicit-def: $vgpr0
	s_branch .LBB47_1768
.LBB47_1704:
	s_mov_b32 s8, s49
                                        ; implicit-def: $vgpr0
	s_cbranch_execnz .LBB47_1737
	s_branch .LBB47_1767
.LBB47_1705:
	s_mov_b32 s13, -1
	s_mov_b32 s8, s49
                                        ; implicit-def: $vgpr0
	s_branch .LBB47_1720
.LBB47_1706:
	s_mov_b32 s13, -1
	s_mov_b32 s8, s49
                                        ; implicit-def: $vgpr0
	s_branch .LBB47_1715
.LBB47_1707:
	s_mov_b32 s13, -1
	s_mov_b32 s8, s49
	s_branch .LBB47_1709
.LBB47_1708:
	s_mov_b32 s8, -1
.LBB47_1709:
                                        ; implicit-def: $vgpr0
.LBB47_1710:
	s_and_b32 vcc_lo, exec_lo, s13
	s_cbranch_vccz .LBB47_1714
; %bb.1711:
	s_cmp_eq_u32 s7, 44
	s_cbranch_scc0 .LBB47_1713
; %bb.1712:
	global_load_u8 v0, v[10:11], off
	s_mov_b32 s8, 0
	s_mov_b32 s12, -1
	s_wait_loadcnt 0x0
	v_lshlrev_b32_e32 v1, 23, v0
	v_cmp_ne_u32_e32 vcc_lo, 0, v0
	s_delay_alu instid0(VALU_DEP_2) | instskip(NEXT) | instid1(VALU_DEP_1)
	v_cvt_i32_f32_e32 v1, v1
	v_cndmask_b32_e32 v0, 0, v1, vcc_lo
	s_branch .LBB47_1714
.LBB47_1713:
	s_mov_b32 s8, -1
                                        ; implicit-def: $vgpr0
.LBB47_1714:
	s_mov_b32 s13, 0
.LBB47_1715:
	s_delay_alu instid0(SALU_CYCLE_1)
	s_and_b32 vcc_lo, exec_lo, s13
	s_cbranch_vccz .LBB47_1719
; %bb.1716:
	s_cmp_eq_u32 s7, 29
	s_cbranch_scc0 .LBB47_1718
; %bb.1717:
	global_load_b64 v[0:1], v[10:11], off
	s_mov_b32 s8, 0
	s_mov_b32 s12, -1
	s_branch .LBB47_1719
.LBB47_1718:
	s_mov_b32 s8, -1
                                        ; implicit-def: $vgpr0
.LBB47_1719:
	s_mov_b32 s13, 0
.LBB47_1720:
	s_delay_alu instid0(SALU_CYCLE_1)
	s_and_b32 vcc_lo, exec_lo, s13
	s_cbranch_vccz .LBB47_1736
; %bb.1721:
	s_cmp_lt_i32 s7, 27
	s_cbranch_scc1 .LBB47_1724
; %bb.1722:
	s_cmp_gt_i32 s7, 27
	s_cbranch_scc0 .LBB47_1725
; %bb.1723:
	s_wait_loadcnt 0x0
	global_load_b32 v0, v[10:11], off
	s_mov_b32 s12, 0
	s_branch .LBB47_1726
.LBB47_1724:
	s_mov_b32 s12, -1
                                        ; implicit-def: $vgpr0
	s_branch .LBB47_1729
.LBB47_1725:
	s_mov_b32 s12, -1
                                        ; implicit-def: $vgpr0
.LBB47_1726:
	s_delay_alu instid0(SALU_CYCLE_1)
	s_and_not1_b32 vcc_lo, exec_lo, s12
	s_cbranch_vccnz .LBB47_1728
; %bb.1727:
	s_wait_loadcnt 0x0
	global_load_u16 v0, v[10:11], off
.LBB47_1728:
	s_mov_b32 s12, 0
.LBB47_1729:
	s_delay_alu instid0(SALU_CYCLE_1)
	s_and_not1_b32 vcc_lo, exec_lo, s12
	s_cbranch_vccnz .LBB47_1735
; %bb.1730:
	s_wait_loadcnt 0x0
	global_load_u8 v1, v[10:11], off
	s_mov_b32 s13, 0
	s_mov_b32 s12, exec_lo
	s_wait_loadcnt 0x0
	v_cmpx_lt_i16_e32 0x7f, v1
	s_xor_b32 s12, exec_lo, s12
	s_cbranch_execz .LBB47_1746
; %bb.1731:
	v_cmp_ne_u16_e32 vcc_lo, 0x80, v1
	s_and_b32 s13, vcc_lo, exec_lo
	s_and_not1_saveexec_b32 s12, s12
	s_cbranch_execnz .LBB47_1747
.LBB47_1732:
	s_or_b32 exec_lo, exec_lo, s12
	v_mov_b32_e32 v0, 0
	s_and_saveexec_b32 s12, s13
	s_cbranch_execz .LBB47_1734
.LBB47_1733:
	v_and_b32_e32 v0, 0xffff, v1
	s_delay_alu instid0(VALU_DEP_1) | instskip(SKIP_1) | instid1(VALU_DEP_2)
	v_and_b32_e32 v3, 7, v0
	v_bfe_u32 v8, v0, 3, 4
	v_clz_i32_u32_e32 v5, v3
	s_delay_alu instid0(VALU_DEP_2) | instskip(NEXT) | instid1(VALU_DEP_2)
	v_cmp_eq_u32_e32 vcc_lo, 0, v8
	v_min_u32_e32 v5, 32, v5
	s_delay_alu instid0(VALU_DEP_1) | instskip(NEXT) | instid1(VALU_DEP_1)
	v_subrev_nc_u32_e32 v7, 28, v5
	v_dual_lshlrev_b32 v0, v7, v0 :: v_dual_sub_nc_u32 v5, 29, v5
	s_delay_alu instid0(VALU_DEP_1) | instskip(NEXT) | instid1(VALU_DEP_1)
	v_dual_lshlrev_b32 v1, 24, v1 :: v_dual_bitop2_b32 v0, 7, v0 bitop3:0x40
	v_dual_cndmask_b32 v0, v3, v0 :: v_dual_cndmask_b32 v5, v8, v5
	s_delay_alu instid0(VALU_DEP_2) | instskip(NEXT) | instid1(VALU_DEP_2)
	v_and_b32_e32 v1, 0x80000000, v1
	v_lshlrev_b32_e32 v0, 20, v0
	s_delay_alu instid0(VALU_DEP_3) | instskip(NEXT) | instid1(VALU_DEP_1)
	v_lshl_add_u32 v3, v5, 23, 0x3b800000
	v_or3_b32 v0, v1, v3, v0
	s_delay_alu instid0(VALU_DEP_1)
	v_cvt_i32_f32_e32 v0, v0
.LBB47_1734:
	s_or_b32 exec_lo, exec_lo, s12
.LBB47_1735:
	s_mov_b32 s12, -1
.LBB47_1736:
	s_branch .LBB47_1767
.LBB47_1737:
	s_cmp_gt_i32 s7, 22
	s_cbranch_scc0 .LBB47_1745
; %bb.1738:
	s_cmp_lt_i32 s7, 24
	s_cbranch_scc1 .LBB47_1748
; %bb.1739:
	s_cmp_gt_i32 s7, 24
	s_cbranch_scc0 .LBB47_1749
; %bb.1740:
	s_wait_loadcnt 0x0
	global_load_u8 v1, v[10:11], off
	s_mov_b32 s12, 0
	s_mov_b32 s9, exec_lo
	s_wait_loadcnt 0x0
	v_cmpx_lt_i16_e32 0x7f, v1
	s_xor_b32 s9, exec_lo, s9
	s_cbranch_execz .LBB47_1761
; %bb.1741:
	v_cmp_ne_u16_e32 vcc_lo, 0x80, v1
	s_and_b32 s12, vcc_lo, exec_lo
	s_and_not1_saveexec_b32 s9, s9
	s_cbranch_execnz .LBB47_1762
.LBB47_1742:
	s_or_b32 exec_lo, exec_lo, s9
	v_mov_b32_e32 v0, 0
	s_and_saveexec_b32 s9, s12
	s_cbranch_execz .LBB47_1744
.LBB47_1743:
	v_and_b32_e32 v0, 0xffff, v1
	s_delay_alu instid0(VALU_DEP_1) | instskip(SKIP_1) | instid1(VALU_DEP_2)
	v_and_b32_e32 v3, 3, v0
	v_bfe_u32 v8, v0, 2, 5
	v_clz_i32_u32_e32 v5, v3
	s_delay_alu instid0(VALU_DEP_2) | instskip(NEXT) | instid1(VALU_DEP_2)
	v_cmp_eq_u32_e32 vcc_lo, 0, v8
	v_min_u32_e32 v5, 32, v5
	s_delay_alu instid0(VALU_DEP_1) | instskip(NEXT) | instid1(VALU_DEP_1)
	v_subrev_nc_u32_e32 v7, 29, v5
	v_dual_lshlrev_b32 v0, v7, v0 :: v_dual_sub_nc_u32 v5, 30, v5
	s_delay_alu instid0(VALU_DEP_1) | instskip(NEXT) | instid1(VALU_DEP_1)
	v_dual_lshlrev_b32 v1, 24, v1 :: v_dual_bitop2_b32 v0, 3, v0 bitop3:0x40
	v_dual_cndmask_b32 v0, v3, v0 :: v_dual_cndmask_b32 v5, v8, v5
	s_delay_alu instid0(VALU_DEP_2) | instskip(NEXT) | instid1(VALU_DEP_2)
	v_and_b32_e32 v1, 0x80000000, v1
	v_lshlrev_b32_e32 v0, 21, v0
	s_delay_alu instid0(VALU_DEP_3) | instskip(NEXT) | instid1(VALU_DEP_1)
	v_lshl_add_u32 v3, v5, 23, 0x37800000
	v_or3_b32 v0, v1, v3, v0
	s_delay_alu instid0(VALU_DEP_1)
	v_cvt_i32_f32_e32 v0, v0
.LBB47_1744:
	s_or_b32 exec_lo, exec_lo, s9
	s_mov_b32 s9, 0
	s_branch .LBB47_1750
.LBB47_1745:
	s_mov_b32 s9, -1
                                        ; implicit-def: $vgpr0
	s_branch .LBB47_1756
.LBB47_1746:
	s_and_not1_saveexec_b32 s12, s12
	s_cbranch_execz .LBB47_1732
.LBB47_1747:
	v_cmp_ne_u16_e32 vcc_lo, 0, v1
	s_and_not1_b32 s13, s13, exec_lo
	s_and_b32 s14, vcc_lo, exec_lo
	s_delay_alu instid0(SALU_CYCLE_1)
	s_or_b32 s13, s13, s14
	s_or_b32 exec_lo, exec_lo, s12
	v_mov_b32_e32 v0, 0
	s_and_saveexec_b32 s12, s13
	s_cbranch_execnz .LBB47_1733
	s_branch .LBB47_1734
.LBB47_1748:
	s_mov_b32 s9, -1
                                        ; implicit-def: $vgpr0
	s_branch .LBB47_1753
.LBB47_1749:
	s_mov_b32 s9, -1
                                        ; implicit-def: $vgpr0
.LBB47_1750:
	s_delay_alu instid0(SALU_CYCLE_1)
	s_and_b32 vcc_lo, exec_lo, s9
	s_cbranch_vccz .LBB47_1752
; %bb.1751:
	s_wait_loadcnt 0x0
	global_load_u8 v0, v[10:11], off
	s_wait_loadcnt 0x0
	v_lshlrev_b32_e32 v0, 24, v0
	s_delay_alu instid0(VALU_DEP_1) | instskip(NEXT) | instid1(VALU_DEP_1)
	v_and_b32_e32 v1, 0x7f000000, v0
	v_clz_i32_u32_e32 v3, v1
	v_add_nc_u32_e32 v7, 0x1000000, v1
	v_cmp_ne_u32_e32 vcc_lo, 0, v1
	s_delay_alu instid0(VALU_DEP_3) | instskip(NEXT) | instid1(VALU_DEP_1)
	v_min_u32_e32 v3, 32, v3
	v_sub_nc_u32_e64 v3, v3, 4 clamp
	s_delay_alu instid0(VALU_DEP_1) | instskip(NEXT) | instid1(VALU_DEP_1)
	v_dual_lshlrev_b32 v5, v3, v1 :: v_dual_lshlrev_b32 v3, 23, v3
	v_lshrrev_b32_e32 v5, 4, v5
	s_delay_alu instid0(VALU_DEP_1) | instskip(SKIP_1) | instid1(VALU_DEP_2)
	v_sub_nc_u32_e32 v3, v5, v3
	v_ashrrev_i32_e32 v5, 8, v7
	v_add_nc_u32_e32 v3, 0x3c000000, v3
	s_delay_alu instid0(VALU_DEP_1) | instskip(NEXT) | instid1(VALU_DEP_1)
	v_and_or_b32 v3, 0x7f800000, v5, v3
	v_cndmask_b32_e32 v1, 0, v3, vcc_lo
	s_delay_alu instid0(VALU_DEP_1) | instskip(NEXT) | instid1(VALU_DEP_1)
	v_and_or_b32 v0, 0x80000000, v0, v1
	v_cvt_i32_f32_e32 v0, v0
.LBB47_1752:
	s_mov_b32 s9, 0
.LBB47_1753:
	s_delay_alu instid0(SALU_CYCLE_1)
	s_and_not1_b32 vcc_lo, exec_lo, s9
	s_cbranch_vccnz .LBB47_1755
; %bb.1754:
	s_wait_loadcnt 0x0
	global_load_u8 v0, v[10:11], off
	s_wait_loadcnt 0x0
	v_lshlrev_b32_e32 v1, 25, v0
	v_lshlrev_b16 v0, 8, v0
	s_delay_alu instid0(VALU_DEP_1) | instskip(SKIP_1) | instid1(VALU_DEP_2)
	v_and_or_b32 v5, 0x7f00, v0, 0.5
	v_bfe_i32 v0, v0, 0, 16
	v_add_f32_e32 v5, -0.5, v5
	v_lshrrev_b32_e32 v3, 4, v1
	v_cmp_gt_u32_e32 vcc_lo, 0x8000000, v1
	s_delay_alu instid0(VALU_DEP_2) | instskip(NEXT) | instid1(VALU_DEP_1)
	v_or_b32_e32 v3, 0x70000000, v3
	v_mul_f32_e32 v3, 0x7800000, v3
	s_delay_alu instid0(VALU_DEP_1) | instskip(NEXT) | instid1(VALU_DEP_1)
	v_cndmask_b32_e32 v1, v3, v5, vcc_lo
	v_and_or_b32 v0, 0x80000000, v0, v1
	s_delay_alu instid0(VALU_DEP_1)
	v_cvt_i32_f32_e32 v0, v0
.LBB47_1755:
	s_mov_b32 s9, 0
	s_mov_b32 s12, -1
.LBB47_1756:
	s_and_not1_b32 vcc_lo, exec_lo, s9
	s_mov_b32 s9, 0
	s_cbranch_vccnz .LBB47_1767
; %bb.1757:
	s_cmp_gt_i32 s7, 14
	s_cbranch_scc0 .LBB47_1760
; %bb.1758:
	s_cmp_eq_u32 s7, 15
	s_cbranch_scc0 .LBB47_1763
; %bb.1759:
	s_wait_loadcnt 0x0
	global_load_u16 v0, v[10:11], off
	s_mov_b32 s8, 0
	s_mov_b32 s12, -1
	s_wait_loadcnt 0x0
	v_lshlrev_b32_e32 v0, 16, v0
	s_delay_alu instid0(VALU_DEP_1)
	v_cvt_i32_f32_e32 v0, v0
	s_branch .LBB47_1765
.LBB47_1760:
	s_mov_b32 s9, -1
	s_branch .LBB47_1764
.LBB47_1761:
	s_and_not1_saveexec_b32 s9, s9
	s_cbranch_execz .LBB47_1742
.LBB47_1762:
	v_cmp_ne_u16_e32 vcc_lo, 0, v1
	s_and_not1_b32 s12, s12, exec_lo
	s_and_b32 s13, vcc_lo, exec_lo
	s_delay_alu instid0(SALU_CYCLE_1)
	s_or_b32 s12, s12, s13
	s_or_b32 exec_lo, exec_lo, s9
	v_mov_b32_e32 v0, 0
	s_and_saveexec_b32 s9, s12
	s_cbranch_execnz .LBB47_1743
	s_branch .LBB47_1744
.LBB47_1763:
	s_mov_b32 s8, -1
.LBB47_1764:
                                        ; implicit-def: $vgpr0
.LBB47_1765:
	s_and_b32 vcc_lo, exec_lo, s9
	s_mov_b32 s9, 0
	s_cbranch_vccz .LBB47_1767
; %bb.1766:
	s_cmp_lg_u32 s7, 11
	s_mov_b32 s9, -1
	s_cselect_b32 s7, -1, 0
	s_and_not1_b32 s8, s8, exec_lo
	s_and_b32 s7, s7, exec_lo
	s_delay_alu instid0(SALU_CYCLE_1)
	s_or_b32 s8, s8, s7
.LBB47_1767:
	s_mov_b32 s13, 0
.LBB47_1768:
	s_and_not1_b32 s14, s49, exec_lo
	s_and_b32 s8, s8, exec_lo
	s_and_b32 s7, s12, exec_lo
	;; [unrolled: 1-line block ×4, first 2 shown]
	s_or_b32 s49, s14, s8
	s_wait_xcnt 0x0
	s_or_b32 exec_lo, exec_lo, s6
	s_and_saveexec_b32 s6, s49
	s_cbranch_execz .LBB47_1701
.LBB47_1769:
	s_or_b32 s1, s1, exec_lo
	s_and_not1_b32 s13, s13, exec_lo
	s_trap 2
	s_or_b32 exec_lo, exec_lo, s6
	s_and_saveexec_b32 s6, s13
	s_delay_alu instid0(SALU_CYCLE_1)
	s_xor_b32 s6, exec_lo, s6
	s_cbranch_execnz .LBB47_1702
.LBB47_1770:
	s_or_b32 exec_lo, exec_lo, s6
	s_and_saveexec_b32 s6, s12
	s_cbranch_execz .LBB47_1816
.LBB47_1771:
	s_sext_i32_i16 s8, s0
	s_delay_alu instid0(SALU_CYCLE_1)
	s_cmp_lt_i32 s8, 5
	s_cbranch_scc1 .LBB47_1776
; %bb.1772:
	s_cmp_lt_i32 s8, 8
	s_cbranch_scc1 .LBB47_1777
; %bb.1773:
	;; [unrolled: 3-line block ×3, first 2 shown]
	s_cmp_gt_i32 s8, 9
	s_cbranch_scc0 .LBB47_1779
; %bb.1775:
	s_wait_loadcnt 0x0
	global_load_b64 v[0:1], v[10:11], off
	s_mov_b32 s8, 0
	s_wait_loadcnt 0x0
	v_cvt_i32_f64_e32 v0, v[0:1]
	s_branch .LBB47_1780
.LBB47_1776:
                                        ; implicit-def: $vgpr0
	s_branch .LBB47_1797
.LBB47_1777:
                                        ; implicit-def: $vgpr0
	s_branch .LBB47_1786
.LBB47_1778:
	s_mov_b32 s8, -1
                                        ; implicit-def: $vgpr0
	s_branch .LBB47_1783
.LBB47_1779:
	s_mov_b32 s8, -1
                                        ; implicit-def: $vgpr0
.LBB47_1780:
	s_delay_alu instid0(SALU_CYCLE_1)
	s_and_not1_b32 vcc_lo, exec_lo, s8
	s_cbranch_vccnz .LBB47_1782
; %bb.1781:
	s_wait_loadcnt 0x0
	global_load_b32 v0, v[10:11], off
	s_wait_loadcnt 0x0
	v_cvt_i32_f32_e32 v0, v0
.LBB47_1782:
	s_mov_b32 s8, 0
.LBB47_1783:
	s_delay_alu instid0(SALU_CYCLE_1)
	s_and_not1_b32 vcc_lo, exec_lo, s8
	s_cbranch_vccnz .LBB47_1785
; %bb.1784:
	s_wait_loadcnt 0x0
	global_load_b32 v0, v[10:11], off
	s_wait_loadcnt 0x0
	v_cvt_i16_f16_e32 v0, v0
.LBB47_1785:
	s_cbranch_execnz .LBB47_1796
.LBB47_1786:
	s_sext_i32_i16 s8, s0
	s_delay_alu instid0(SALU_CYCLE_1)
	s_cmp_lt_i32 s8, 6
	s_cbranch_scc1 .LBB47_1789
; %bb.1787:
	s_cmp_gt_i32 s8, 6
	s_cbranch_scc0 .LBB47_1790
; %bb.1788:
	s_wait_loadcnt 0x0
	global_load_b64 v[0:1], v[10:11], off
	s_mov_b32 s8, 0
	s_wait_loadcnt 0x0
	v_cvt_i32_f64_e32 v0, v[0:1]
	s_branch .LBB47_1791
.LBB47_1789:
	s_mov_b32 s8, -1
                                        ; implicit-def: $vgpr0
	s_branch .LBB47_1794
.LBB47_1790:
	s_mov_b32 s8, -1
                                        ; implicit-def: $vgpr0
.LBB47_1791:
	s_delay_alu instid0(SALU_CYCLE_1)
	s_and_not1_b32 vcc_lo, exec_lo, s8
	s_cbranch_vccnz .LBB47_1793
; %bb.1792:
	s_wait_loadcnt 0x0
	global_load_b32 v0, v[10:11], off
	s_wait_loadcnt 0x0
	v_cvt_i32_f32_e32 v0, v0
.LBB47_1793:
	s_mov_b32 s8, 0
.LBB47_1794:
	s_delay_alu instid0(SALU_CYCLE_1)
	s_and_not1_b32 vcc_lo, exec_lo, s8
	s_cbranch_vccnz .LBB47_1796
; %bb.1795:
	s_wait_loadcnt 0x0
	global_load_u16 v0, v[10:11], off
	s_wait_loadcnt 0x0
	v_cvt_i16_f16_e32 v0, v0
.LBB47_1796:
	s_cbranch_execnz .LBB47_1815
.LBB47_1797:
	s_sext_i32_i16 s8, s0
	s_delay_alu instid0(SALU_CYCLE_1)
	s_cmp_lt_i32 s8, 2
	s_cbranch_scc1 .LBB47_1801
; %bb.1798:
	s_cmp_lt_i32 s8, 3
	s_cbranch_scc1 .LBB47_1802
; %bb.1799:
	s_cmp_gt_i32 s8, 3
	s_cbranch_scc0 .LBB47_1803
; %bb.1800:
	s_wait_loadcnt 0x0
	global_load_b64 v[0:1], v[10:11], off
	s_mov_b32 s8, 0
	s_branch .LBB47_1804
.LBB47_1801:
                                        ; implicit-def: $vgpr0
	s_branch .LBB47_1810
.LBB47_1802:
	s_mov_b32 s8, -1
                                        ; implicit-def: $vgpr0
	s_branch .LBB47_1807
.LBB47_1803:
	s_mov_b32 s8, -1
                                        ; implicit-def: $vgpr0
.LBB47_1804:
	s_delay_alu instid0(SALU_CYCLE_1)
	s_and_not1_b32 vcc_lo, exec_lo, s8
	s_cbranch_vccnz .LBB47_1806
; %bb.1805:
	s_wait_loadcnt 0x0
	global_load_b32 v0, v[10:11], off
.LBB47_1806:
	s_mov_b32 s8, 0
.LBB47_1807:
	s_delay_alu instid0(SALU_CYCLE_1)
	s_and_not1_b32 vcc_lo, exec_lo, s8
	s_cbranch_vccnz .LBB47_1809
; %bb.1808:
	s_wait_loadcnt 0x0
	global_load_u16 v0, v[10:11], off
.LBB47_1809:
	s_cbranch_execnz .LBB47_1815
.LBB47_1810:
	s_sext_i32_i16 s0, s0
	s_delay_alu instid0(SALU_CYCLE_1)
	s_cmp_gt_i32 s0, 0
	s_mov_b32 s0, 0
	s_cbranch_scc0 .LBB47_1812
; %bb.1811:
	s_wait_loadcnt 0x0
	global_load_u8 v0, v[10:11], off
	s_branch .LBB47_1813
.LBB47_1812:
	s_mov_b32 s0, -1
                                        ; implicit-def: $vgpr0
.LBB47_1813:
	s_delay_alu instid0(SALU_CYCLE_1)
	s_and_not1_b32 vcc_lo, exec_lo, s0
	s_cbranch_vccnz .LBB47_1815
; %bb.1814:
	s_wait_loadcnt 0x0
	global_load_u8 v0, v[10:11], off
.LBB47_1815:
	s_or_b32 s7, s7, exec_lo
.LBB47_1816:
	s_wait_xcnt 0x0
	s_or_b32 exec_lo, exec_lo, s6
	s_mov_b32 s8, 0
	s_mov_b32 s12, 0
	;; [unrolled: 1-line block ×3, first 2 shown]
                                        ; implicit-def: $sgpr0
                                        ; implicit-def: $vgpr8_vgpr9
                                        ; implicit-def: $vgpr10
	s_and_saveexec_b32 s6, s7
	s_cbranch_execz .LBB47_1824
; %bb.1817:
	v_mov_b32_e32 v7, 0
	s_and_b32 s0, s29, 0xff
	s_delay_alu instid0(SALU_CYCLE_1) | instskip(SKIP_1) | instid1(VALU_DEP_1)
	s_cmp_lt_i32 s0, 11
	s_wait_loadcnt 0x0
	v_add_nc_u64_e32 v[8:9], s[10:11], v[6:7]
	s_cbranch_scc1 .LBB47_1827
; %bb.1818:
	s_and_b32 s7, 0xffff, s0
	s_mov_b32 s10, 0
	s_cmp_gt_i32 s7, 25
	s_cbranch_scc0 .LBB47_1828
; %bb.1819:
	s_cmp_gt_i32 s7, 28
	s_cbranch_scc0 .LBB47_1829
; %bb.1820:
	;; [unrolled: 3-line block ×4, first 2 shown]
	s_cmp_eq_u32 s7, 46
	s_mov_b32 s11, 0
	s_cbranch_scc0 .LBB47_1832
; %bb.1823:
	global_load_b32 v1, v[8:9], off
	s_mov_b32 s9, -1
	s_wait_loadcnt 0x0
	v_lshlrev_b32_e32 v1, 16, v1
	s_delay_alu instid0(VALU_DEP_1)
	v_cvt_i32_f32_e32 v10, v1
	s_branch .LBB47_1834
.LBB47_1824:
	s_or_b32 exec_lo, exec_lo, s6
	s_and_saveexec_b32 s6, s48
	s_cbranch_execnz .LBB47_1893
.LBB47_1825:
	s_or_b32 exec_lo, exec_lo, s6
	s_and_saveexec_b32 s6, s8
	s_delay_alu instid0(SALU_CYCLE_1)
	s_xor_b32 s6, exec_lo, s6
	s_cbranch_execz .LBB47_1894
.LBB47_1826:
	s_wait_loadcnt 0x0
	global_load_u8 v1, v[8:9], off
	s_or_b32 s9, s9, exec_lo
	s_wait_loadcnt 0x0
	v_cmp_ne_u16_e32 vcc_lo, 0, v1
	v_cndmask_b32_e64 v10, 0, 1, vcc_lo
	s_wait_xcnt 0x0
	s_or_b32 exec_lo, exec_lo, s6
	s_and_saveexec_b32 s6, s12
	s_cbranch_execz .LBB47_1940
	s_branch .LBB47_1895
.LBB47_1827:
	s_mov_b32 s7, -1
	s_mov_b32 s10, 0
	s_mov_b32 s8, s48
                                        ; implicit-def: $vgpr10
	s_branch .LBB47_1892
.LBB47_1828:
	s_mov_b32 s8, s48
                                        ; implicit-def: $vgpr10
	s_cbranch_execnz .LBB47_1861
	s_branch .LBB47_1891
.LBB47_1829:
	s_mov_b32 s11, -1
	s_mov_b32 s8, s48
                                        ; implicit-def: $vgpr10
	s_branch .LBB47_1844
.LBB47_1830:
	s_mov_b32 s11, -1
	s_mov_b32 s8, s48
                                        ; implicit-def: $vgpr10
	s_branch .LBB47_1839
.LBB47_1831:
	s_mov_b32 s11, -1
	s_mov_b32 s8, s48
	s_branch .LBB47_1833
.LBB47_1832:
	s_mov_b32 s8, -1
.LBB47_1833:
                                        ; implicit-def: $vgpr10
.LBB47_1834:
	s_and_b32 vcc_lo, exec_lo, s11
	s_cbranch_vccz .LBB47_1838
; %bb.1835:
	s_cmp_eq_u32 s7, 44
	s_cbranch_scc0 .LBB47_1837
; %bb.1836:
	global_load_u8 v1, v[8:9], off
	s_mov_b32 s8, 0
	s_mov_b32 s9, -1
	s_wait_loadcnt 0x0
	v_lshlrev_b32_e32 v3, 23, v1
	v_cmp_ne_u32_e32 vcc_lo, 0, v1
	s_delay_alu instid0(VALU_DEP_2) | instskip(NEXT) | instid1(VALU_DEP_1)
	v_cvt_i32_f32_e32 v3, v3
	v_cndmask_b32_e32 v10, 0, v3, vcc_lo
	s_branch .LBB47_1838
.LBB47_1837:
	s_mov_b32 s8, -1
                                        ; implicit-def: $vgpr10
.LBB47_1838:
	s_mov_b32 s11, 0
.LBB47_1839:
	s_delay_alu instid0(SALU_CYCLE_1)
	s_and_b32 vcc_lo, exec_lo, s11
	s_cbranch_vccz .LBB47_1843
; %bb.1840:
	s_cmp_eq_u32 s7, 29
	s_cbranch_scc0 .LBB47_1842
; %bb.1841:
	global_load_b64 v[10:11], v[8:9], off
	s_mov_b32 s8, 0
	s_mov_b32 s9, -1
	s_branch .LBB47_1843
.LBB47_1842:
	s_mov_b32 s8, -1
                                        ; implicit-def: $vgpr10
.LBB47_1843:
	s_mov_b32 s11, 0
.LBB47_1844:
	s_delay_alu instid0(SALU_CYCLE_1)
	s_and_b32 vcc_lo, exec_lo, s11
	s_cbranch_vccz .LBB47_1860
; %bb.1845:
	s_cmp_lt_i32 s7, 27
	s_cbranch_scc1 .LBB47_1848
; %bb.1846:
	s_cmp_gt_i32 s7, 27
	s_cbranch_scc0 .LBB47_1849
; %bb.1847:
	s_wait_loadcnt 0x0
	global_load_b32 v10, v[8:9], off
	s_mov_b32 s9, 0
	s_branch .LBB47_1850
.LBB47_1848:
	s_mov_b32 s9, -1
                                        ; implicit-def: $vgpr10
	s_branch .LBB47_1853
.LBB47_1849:
	s_mov_b32 s9, -1
                                        ; implicit-def: $vgpr10
.LBB47_1850:
	s_delay_alu instid0(SALU_CYCLE_1)
	s_and_not1_b32 vcc_lo, exec_lo, s9
	s_cbranch_vccnz .LBB47_1852
; %bb.1851:
	s_wait_loadcnt 0x0
	global_load_u16 v10, v[8:9], off
.LBB47_1852:
	s_mov_b32 s9, 0
.LBB47_1853:
	s_delay_alu instid0(SALU_CYCLE_1)
	s_and_not1_b32 vcc_lo, exec_lo, s9
	s_cbranch_vccnz .LBB47_1859
; %bb.1854:
	global_load_u8 v1, v[8:9], off
	s_mov_b32 s11, 0
	s_mov_b32 s9, exec_lo
	s_wait_loadcnt 0x0
	v_cmpx_lt_i16_e32 0x7f, v1
	s_xor_b32 s9, exec_lo, s9
	s_cbranch_execz .LBB47_1870
; %bb.1855:
	v_cmp_ne_u16_e32 vcc_lo, 0x80, v1
	s_and_b32 s11, vcc_lo, exec_lo
	s_and_not1_saveexec_b32 s9, s9
	s_cbranch_execnz .LBB47_1871
.LBB47_1856:
	s_or_b32 exec_lo, exec_lo, s9
	v_mov_b32_e32 v10, 0
	s_and_saveexec_b32 s9, s11
	s_cbranch_execz .LBB47_1858
.LBB47_1857:
	v_and_b32_e32 v3, 0xffff, v1
	s_delay_alu instid0(VALU_DEP_1) | instskip(SKIP_1) | instid1(VALU_DEP_2)
	v_and_b32_e32 v5, 7, v3
	v_bfe_u32 v10, v3, 3, 4
	v_clz_i32_u32_e32 v6, v5
	s_delay_alu instid0(VALU_DEP_2) | instskip(NEXT) | instid1(VALU_DEP_2)
	v_cmp_eq_u32_e32 vcc_lo, 0, v10
	v_min_u32_e32 v6, 32, v6
	s_delay_alu instid0(VALU_DEP_1) | instskip(NEXT) | instid1(VALU_DEP_1)
	v_subrev_nc_u32_e32 v7, 28, v6
	v_dual_lshlrev_b32 v3, v7, v3 :: v_dual_sub_nc_u32 v6, 29, v6
	s_delay_alu instid0(VALU_DEP_1) | instskip(NEXT) | instid1(VALU_DEP_1)
	v_dual_lshlrev_b32 v1, 24, v1 :: v_dual_bitop2_b32 v3, 7, v3 bitop3:0x40
	v_dual_cndmask_b32 v6, v10, v6 :: v_dual_cndmask_b32 v3, v5, v3
	s_delay_alu instid0(VALU_DEP_2) | instskip(NEXT) | instid1(VALU_DEP_2)
	v_and_b32_e32 v1, 0x80000000, v1
	v_lshl_add_u32 v5, v6, 23, 0x3b800000
	s_delay_alu instid0(VALU_DEP_3) | instskip(NEXT) | instid1(VALU_DEP_1)
	v_lshlrev_b32_e32 v3, 20, v3
	v_or3_b32 v1, v1, v5, v3
	s_delay_alu instid0(VALU_DEP_1)
	v_cvt_i32_f32_e32 v10, v1
.LBB47_1858:
	s_or_b32 exec_lo, exec_lo, s9
.LBB47_1859:
	s_mov_b32 s9, -1
.LBB47_1860:
	s_branch .LBB47_1891
.LBB47_1861:
	s_cmp_gt_i32 s7, 22
	s_cbranch_scc0 .LBB47_1869
; %bb.1862:
	s_cmp_lt_i32 s7, 24
	s_cbranch_scc1 .LBB47_1872
; %bb.1863:
	s_cmp_gt_i32 s7, 24
	s_cbranch_scc0 .LBB47_1873
; %bb.1864:
	global_load_u8 v1, v[8:9], off
	s_mov_b32 s9, exec_lo
	s_wait_loadcnt 0x0
	v_cmpx_lt_i16_e32 0x7f, v1
	s_xor_b32 s9, exec_lo, s9
	s_cbranch_execz .LBB47_1885
; %bb.1865:
	v_cmp_ne_u16_e32 vcc_lo, 0x80, v1
	s_and_b32 s10, vcc_lo, exec_lo
	s_and_not1_saveexec_b32 s9, s9
	s_cbranch_execnz .LBB47_1886
.LBB47_1866:
	s_or_b32 exec_lo, exec_lo, s9
	v_mov_b32_e32 v10, 0
	s_and_saveexec_b32 s9, s10
	s_cbranch_execz .LBB47_1868
.LBB47_1867:
	v_and_b32_e32 v3, 0xffff, v1
	s_delay_alu instid0(VALU_DEP_1) | instskip(SKIP_1) | instid1(VALU_DEP_2)
	v_and_b32_e32 v5, 3, v3
	v_bfe_u32 v10, v3, 2, 5
	v_clz_i32_u32_e32 v6, v5
	s_delay_alu instid0(VALU_DEP_2) | instskip(NEXT) | instid1(VALU_DEP_2)
	v_cmp_eq_u32_e32 vcc_lo, 0, v10
	v_min_u32_e32 v6, 32, v6
	s_delay_alu instid0(VALU_DEP_1) | instskip(NEXT) | instid1(VALU_DEP_1)
	v_subrev_nc_u32_e32 v7, 29, v6
	v_dual_lshlrev_b32 v3, v7, v3 :: v_dual_sub_nc_u32 v6, 30, v6
	s_delay_alu instid0(VALU_DEP_1) | instskip(NEXT) | instid1(VALU_DEP_1)
	v_dual_lshlrev_b32 v1, 24, v1 :: v_dual_bitop2_b32 v3, 3, v3 bitop3:0x40
	v_dual_cndmask_b32 v6, v10, v6 :: v_dual_cndmask_b32 v3, v5, v3
	s_delay_alu instid0(VALU_DEP_2) | instskip(NEXT) | instid1(VALU_DEP_2)
	v_and_b32_e32 v1, 0x80000000, v1
	v_lshl_add_u32 v5, v6, 23, 0x37800000
	s_delay_alu instid0(VALU_DEP_3) | instskip(NEXT) | instid1(VALU_DEP_1)
	v_lshlrev_b32_e32 v3, 21, v3
	v_or3_b32 v1, v1, v5, v3
	s_delay_alu instid0(VALU_DEP_1)
	v_cvt_i32_f32_e32 v10, v1
.LBB47_1868:
	s_or_b32 exec_lo, exec_lo, s9
	s_mov_b32 s9, 0
	s_branch .LBB47_1874
.LBB47_1869:
	s_mov_b32 s10, -1
                                        ; implicit-def: $vgpr10
	s_branch .LBB47_1880
.LBB47_1870:
	s_and_not1_saveexec_b32 s9, s9
	s_cbranch_execz .LBB47_1856
.LBB47_1871:
	v_cmp_ne_u16_e32 vcc_lo, 0, v1
	s_and_not1_b32 s11, s11, exec_lo
	s_and_b32 s12, vcc_lo, exec_lo
	s_delay_alu instid0(SALU_CYCLE_1)
	s_or_b32 s11, s11, s12
	s_or_b32 exec_lo, exec_lo, s9
	v_mov_b32_e32 v10, 0
	s_and_saveexec_b32 s9, s11
	s_cbranch_execnz .LBB47_1857
	s_branch .LBB47_1858
.LBB47_1872:
	s_mov_b32 s9, -1
                                        ; implicit-def: $vgpr10
	s_branch .LBB47_1877
.LBB47_1873:
	s_mov_b32 s9, -1
                                        ; implicit-def: $vgpr10
.LBB47_1874:
	s_delay_alu instid0(SALU_CYCLE_1)
	s_and_b32 vcc_lo, exec_lo, s9
	s_cbranch_vccz .LBB47_1876
; %bb.1875:
	global_load_u8 v1, v[8:9], off
	s_wait_loadcnt 0x0
	v_lshlrev_b32_e32 v1, 24, v1
	s_delay_alu instid0(VALU_DEP_1) | instskip(NEXT) | instid1(VALU_DEP_1)
	v_and_b32_e32 v3, 0x7f000000, v1
	v_clz_i32_u32_e32 v5, v3
	v_add_nc_u32_e32 v7, 0x1000000, v3
	v_cmp_ne_u32_e32 vcc_lo, 0, v3
	s_delay_alu instid0(VALU_DEP_3) | instskip(NEXT) | instid1(VALU_DEP_1)
	v_min_u32_e32 v5, 32, v5
	v_sub_nc_u32_e64 v5, v5, 4 clamp
	s_delay_alu instid0(VALU_DEP_1) | instskip(NEXT) | instid1(VALU_DEP_1)
	v_dual_lshlrev_b32 v6, v5, v3 :: v_dual_lshlrev_b32 v5, 23, v5
	v_lshrrev_b32_e32 v6, 4, v6
	s_delay_alu instid0(VALU_DEP_1) | instskip(NEXT) | instid1(VALU_DEP_1)
	v_dual_sub_nc_u32 v5, v6, v5 :: v_dual_ashrrev_i32 v6, 8, v7
	v_add_nc_u32_e32 v5, 0x3c000000, v5
	s_delay_alu instid0(VALU_DEP_1) | instskip(NEXT) | instid1(VALU_DEP_1)
	v_and_or_b32 v5, 0x7f800000, v6, v5
	v_cndmask_b32_e32 v3, 0, v5, vcc_lo
	s_delay_alu instid0(VALU_DEP_1) | instskip(NEXT) | instid1(VALU_DEP_1)
	v_and_or_b32 v1, 0x80000000, v1, v3
	v_cvt_i32_f32_e32 v10, v1
.LBB47_1876:
	s_mov_b32 s9, 0
.LBB47_1877:
	s_delay_alu instid0(SALU_CYCLE_1)
	s_and_not1_b32 vcc_lo, exec_lo, s9
	s_cbranch_vccnz .LBB47_1879
; %bb.1878:
	global_load_u8 v1, v[8:9], off
	s_wait_loadcnt 0x0
	v_lshlrev_b32_e32 v3, 25, v1
	v_lshlrev_b16 v1, 8, v1
	s_delay_alu instid0(VALU_DEP_1) | instskip(SKIP_1) | instid1(VALU_DEP_2)
	v_and_or_b32 v6, 0x7f00, v1, 0.5
	v_bfe_i32 v1, v1, 0, 16
	v_dual_add_f32 v6, -0.5, v6 :: v_dual_lshrrev_b32 v5, 4, v3
	v_cmp_gt_u32_e32 vcc_lo, 0x8000000, v3
	s_delay_alu instid0(VALU_DEP_2) | instskip(NEXT) | instid1(VALU_DEP_1)
	v_or_b32_e32 v5, 0x70000000, v5
	v_mul_f32_e32 v5, 0x7800000, v5
	s_delay_alu instid0(VALU_DEP_1) | instskip(NEXT) | instid1(VALU_DEP_1)
	v_cndmask_b32_e32 v3, v5, v6, vcc_lo
	v_and_or_b32 v1, 0x80000000, v1, v3
	s_delay_alu instid0(VALU_DEP_1)
	v_cvt_i32_f32_e32 v10, v1
.LBB47_1879:
	s_mov_b32 s10, 0
	s_mov_b32 s9, -1
.LBB47_1880:
	s_and_not1_b32 vcc_lo, exec_lo, s10
	s_mov_b32 s10, 0
	s_cbranch_vccnz .LBB47_1891
; %bb.1881:
	s_cmp_gt_i32 s7, 14
	s_cbranch_scc0 .LBB47_1884
; %bb.1882:
	s_cmp_eq_u32 s7, 15
	s_cbranch_scc0 .LBB47_1887
; %bb.1883:
	global_load_u16 v1, v[8:9], off
	s_mov_b32 s8, 0
	s_mov_b32 s9, -1
	s_wait_loadcnt 0x0
	v_lshlrev_b32_e32 v1, 16, v1
	s_delay_alu instid0(VALU_DEP_1)
	v_cvt_i32_f32_e32 v10, v1
	s_branch .LBB47_1889
.LBB47_1884:
	s_mov_b32 s10, -1
	s_branch .LBB47_1888
.LBB47_1885:
	s_and_not1_saveexec_b32 s9, s9
	s_cbranch_execz .LBB47_1866
.LBB47_1886:
	v_cmp_ne_u16_e32 vcc_lo, 0, v1
	s_and_not1_b32 s10, s10, exec_lo
	s_and_b32 s11, vcc_lo, exec_lo
	s_delay_alu instid0(SALU_CYCLE_1)
	s_or_b32 s10, s10, s11
	s_or_b32 exec_lo, exec_lo, s9
	v_mov_b32_e32 v10, 0
	s_and_saveexec_b32 s9, s10
	s_cbranch_execnz .LBB47_1867
	s_branch .LBB47_1868
.LBB47_1887:
	s_mov_b32 s8, -1
.LBB47_1888:
                                        ; implicit-def: $vgpr10
.LBB47_1889:
	s_and_b32 vcc_lo, exec_lo, s10
	s_mov_b32 s10, 0
	s_cbranch_vccz .LBB47_1891
; %bb.1890:
	s_cmp_lg_u32 s7, 11
	s_mov_b32 s10, -1
	s_cselect_b32 s7, -1, 0
	s_and_not1_b32 s8, s8, exec_lo
	s_and_b32 s7, s7, exec_lo
	s_delay_alu instid0(SALU_CYCLE_1)
	s_or_b32 s8, s8, s7
.LBB47_1891:
	s_mov_b32 s7, 0
.LBB47_1892:
	s_delay_alu instid0(SALU_CYCLE_1)
	s_and_b32 s12, s7, exec_lo
	s_and_not1_b32 s7, s48, exec_lo
	s_and_b32 s11, s8, exec_lo
	s_and_b32 s9, s9, exec_lo
	;; [unrolled: 1-line block ×3, first 2 shown]
	s_or_b32 s48, s7, s11
	s_wait_xcnt 0x0
	s_or_b32 exec_lo, exec_lo, s6
	s_and_saveexec_b32 s6, s48
	s_cbranch_execz .LBB47_1825
.LBB47_1893:
	s_or_b32 s1, s1, exec_lo
	s_and_not1_b32 s8, s8, exec_lo
	s_trap 2
	s_or_b32 exec_lo, exec_lo, s6
	s_and_saveexec_b32 s6, s8
	s_delay_alu instid0(SALU_CYCLE_1)
	s_xor_b32 s6, exec_lo, s6
	s_cbranch_execnz .LBB47_1826
.LBB47_1894:
	s_or_b32 exec_lo, exec_lo, s6
	s_and_saveexec_b32 s6, s12
	s_cbranch_execz .LBB47_1940
.LBB47_1895:
	s_sext_i32_i16 s7, s0
	s_delay_alu instid0(SALU_CYCLE_1)
	s_cmp_lt_i32 s7, 5
	s_cbranch_scc1 .LBB47_1900
; %bb.1896:
	s_cmp_lt_i32 s7, 8
	s_cbranch_scc1 .LBB47_1901
; %bb.1897:
	;; [unrolled: 3-line block ×3, first 2 shown]
	s_cmp_gt_i32 s7, 9
	s_cbranch_scc0 .LBB47_1903
; %bb.1899:
	s_wait_loadcnt 0x0
	global_load_b64 v[6:7], v[8:9], off
	s_mov_b32 s7, 0
	s_wait_loadcnt 0x0
	v_cvt_i32_f64_e32 v10, v[6:7]
	s_branch .LBB47_1904
.LBB47_1900:
                                        ; implicit-def: $vgpr10
	s_branch .LBB47_1921
.LBB47_1901:
                                        ; implicit-def: $vgpr10
	s_branch .LBB47_1910
.LBB47_1902:
	s_mov_b32 s7, -1
                                        ; implicit-def: $vgpr10
	s_branch .LBB47_1907
.LBB47_1903:
	s_mov_b32 s7, -1
                                        ; implicit-def: $vgpr10
.LBB47_1904:
	s_delay_alu instid0(SALU_CYCLE_1)
	s_and_not1_b32 vcc_lo, exec_lo, s7
	s_cbranch_vccnz .LBB47_1906
; %bb.1905:
	s_wait_loadcnt 0x0
	global_load_b32 v1, v[8:9], off
	s_wait_loadcnt 0x0
	v_cvt_i32_f32_e32 v10, v1
.LBB47_1906:
	s_mov_b32 s7, 0
.LBB47_1907:
	s_delay_alu instid0(SALU_CYCLE_1)
	s_and_not1_b32 vcc_lo, exec_lo, s7
	s_cbranch_vccnz .LBB47_1909
; %bb.1908:
	s_wait_loadcnt 0x0
	global_load_b32 v1, v[8:9], off
	s_wait_loadcnt 0x0
	v_cvt_i16_f16_e32 v10, v1
.LBB47_1909:
	s_cbranch_execnz .LBB47_1920
.LBB47_1910:
	s_sext_i32_i16 s7, s0
	s_delay_alu instid0(SALU_CYCLE_1)
	s_cmp_lt_i32 s7, 6
	s_cbranch_scc1 .LBB47_1913
; %bb.1911:
	s_cmp_gt_i32 s7, 6
	s_cbranch_scc0 .LBB47_1914
; %bb.1912:
	s_wait_loadcnt 0x0
	global_load_b64 v[6:7], v[8:9], off
	s_mov_b32 s7, 0
	s_wait_loadcnt 0x0
	v_cvt_i32_f64_e32 v10, v[6:7]
	s_branch .LBB47_1915
.LBB47_1913:
	s_mov_b32 s7, -1
                                        ; implicit-def: $vgpr10
	s_branch .LBB47_1918
.LBB47_1914:
	s_mov_b32 s7, -1
                                        ; implicit-def: $vgpr10
.LBB47_1915:
	s_delay_alu instid0(SALU_CYCLE_1)
	s_and_not1_b32 vcc_lo, exec_lo, s7
	s_cbranch_vccnz .LBB47_1917
; %bb.1916:
	s_wait_loadcnt 0x0
	global_load_b32 v1, v[8:9], off
	s_wait_loadcnt 0x0
	v_cvt_i32_f32_e32 v10, v1
.LBB47_1917:
	s_mov_b32 s7, 0
.LBB47_1918:
	s_delay_alu instid0(SALU_CYCLE_1)
	s_and_not1_b32 vcc_lo, exec_lo, s7
	s_cbranch_vccnz .LBB47_1920
; %bb.1919:
	s_wait_loadcnt 0x0
	global_load_u16 v1, v[8:9], off
	s_wait_loadcnt 0x0
	v_cvt_i16_f16_e32 v10, v1
.LBB47_1920:
	s_cbranch_execnz .LBB47_1939
.LBB47_1921:
	s_sext_i32_i16 s7, s0
	s_delay_alu instid0(SALU_CYCLE_1)
	s_cmp_lt_i32 s7, 2
	s_cbranch_scc1 .LBB47_1925
; %bb.1922:
	s_cmp_lt_i32 s7, 3
	s_cbranch_scc1 .LBB47_1926
; %bb.1923:
	s_cmp_gt_i32 s7, 3
	s_cbranch_scc0 .LBB47_1927
; %bb.1924:
	s_wait_loadcnt 0x0
	global_load_b64 v[10:11], v[8:9], off
	s_mov_b32 s7, 0
	s_branch .LBB47_1928
.LBB47_1925:
                                        ; implicit-def: $vgpr10
	s_branch .LBB47_1934
.LBB47_1926:
	s_mov_b32 s7, -1
                                        ; implicit-def: $vgpr10
	s_branch .LBB47_1931
.LBB47_1927:
	s_mov_b32 s7, -1
                                        ; implicit-def: $vgpr10
.LBB47_1928:
	s_delay_alu instid0(SALU_CYCLE_1)
	s_and_not1_b32 vcc_lo, exec_lo, s7
	s_cbranch_vccnz .LBB47_1930
; %bb.1929:
	s_wait_loadcnt 0x0
	global_load_b32 v10, v[8:9], off
.LBB47_1930:
	s_mov_b32 s7, 0
.LBB47_1931:
	s_delay_alu instid0(SALU_CYCLE_1)
	s_and_not1_b32 vcc_lo, exec_lo, s7
	s_cbranch_vccnz .LBB47_1933
; %bb.1932:
	s_wait_loadcnt 0x0
	global_load_u16 v10, v[8:9], off
.LBB47_1933:
	s_cbranch_execnz .LBB47_1939
.LBB47_1934:
	s_sext_i32_i16 s0, s0
	s_delay_alu instid0(SALU_CYCLE_1)
	s_cmp_gt_i32 s0, 0
	s_mov_b32 s0, 0
	s_cbranch_scc0 .LBB47_1936
; %bb.1935:
	s_wait_loadcnt 0x0
	global_load_u8 v10, v[8:9], off
	s_branch .LBB47_1937
.LBB47_1936:
	s_mov_b32 s0, -1
                                        ; implicit-def: $vgpr10
.LBB47_1937:
	s_delay_alu instid0(SALU_CYCLE_1)
	s_and_not1_b32 vcc_lo, exec_lo, s0
	s_cbranch_vccnz .LBB47_1939
; %bb.1938:
	s_wait_loadcnt 0x0
	global_load_u8 v10, v[8:9], off
.LBB47_1939:
	s_or_b32 s9, s9, exec_lo
.LBB47_1940:
	s_wait_xcnt 0x0
	s_or_b32 exec_lo, exec_lo, s6
	s_mov_b32 s0, 0
	s_mov_b32 s8, 0
                                        ; implicit-def: $sgpr6
                                        ; implicit-def: $vgpr6_vgpr7
                                        ; implicit-def: $vgpr1
	s_and_saveexec_b32 s7, s9
	s_cbranch_execz .LBB47_1948
; %bb.1941:
	v_mov_b32_e32 v3, 0
	s_wait_loadcnt 0x0
	v_mul_lo_u16 v1, v4, s24
	v_mul_lo_u16 v0, v0, s42
	s_and_b32 s6, s21, 0xff
	s_delay_alu instid0(SALU_CYCLE_1) | instskip(SKIP_1) | instid1(VALU_DEP_2)
	s_cmp_lt_i32 s6, 11
	v_add_nc_u64_e32 v[6:7], s[4:5], v[2:3]
	v_mad_u16 v1, v0, v10, v1
	s_cbranch_scc1 .LBB47_1951
; %bb.1942:
	s_and_b32 s4, 0xffff, s6
	s_mov_b32 s5, -1
	s_cmp_gt_i32 s4, 25
	s_mov_b32 s0, s45
	s_cbranch_scc0 .LBB47_1979
; %bb.1943:
	s_cmp_gt_i32 s4, 28
	s_mov_b32 s0, s45
	s_cbranch_scc0 .LBB47_1963
; %bb.1944:
	;; [unrolled: 4-line block ×4, first 2 shown]
	s_cmp_eq_u32 s4, 46
	s_mov_b32 s0, -1
	s_cbranch_scc0 .LBB47_1952
; %bb.1947:
	v_bfe_i32 v0, v1, 0, 8
	s_mov_b32 s0, 0
	s_mov_b32 s5, 0
	s_delay_alu instid0(VALU_DEP_1) | instskip(NEXT) | instid1(VALU_DEP_1)
	v_bfe_i32 v0, v0, 0, 16
	v_cvt_f32_i32_e32 v0, v0
	s_delay_alu instid0(VALU_DEP_1) | instskip(NEXT) | instid1(VALU_DEP_1)
	v_bfe_u32 v2, v0, 16, 1
	v_add3_u32 v0, v0, v2, 0x7fff
	s_delay_alu instid0(VALU_DEP_1)
	v_lshrrev_b32_e32 v0, 16, v0
	global_store_b32 v[6:7], v0, off
	s_branch .LBB47_1953
.LBB47_1948:
	s_or_b32 exec_lo, exec_lo, s7
	s_and_saveexec_b32 s4, s45
	s_cbranch_execnz .LBB47_2021
.LBB47_1949:
	s_or_b32 exec_lo, exec_lo, s4
	s_and_saveexec_b32 s4, s0
	s_delay_alu instid0(SALU_CYCLE_1)
	s_xor_b32 s0, exec_lo, s4
	s_cbranch_execz .LBB47_2022
.LBB47_1950:
	s_wait_loadcnt 0x0
	v_and_b32_e32 v0, 0xff, v1
	s_delay_alu instid0(VALU_DEP_1)
	v_cmp_ne_u16_e32 vcc_lo, 0, v0
	v_cndmask_b32_e64 v0, 0, 1, vcc_lo
	global_store_b8 v[6:7], v0, off
	s_wait_xcnt 0x0
	s_or_b32 exec_lo, exec_lo, s0
	s_and_saveexec_b32 s0, s8
	s_delay_alu instid0(SALU_CYCLE_1)
	s_xor_b32 s0, exec_lo, s0
	s_cbranch_execz .LBB47_2060
	s_branch .LBB47_2023
.LBB47_1951:
	s_mov_b32 s9, 0
	s_mov_b32 s5, -1
	s_mov_b32 s0, s45
	s_branch .LBB47_2020
.LBB47_1952:
	s_mov_b32 s5, 0
.LBB47_1953:
	s_delay_alu instid0(SALU_CYCLE_1)
	s_and_b32 vcc_lo, exec_lo, s5
	s_cbranch_vccz .LBB47_1958
; %bb.1954:
	s_cmp_eq_u32 s4, 44
	s_mov_b32 s0, -1
	s_cbranch_scc0 .LBB47_1958
; %bb.1955:
	s_wait_xcnt 0x0
	v_bfe_i32 v0, v1, 0, 8
	v_mov_b32_e32 v2, 0xff
	s_mov_b32 s5, exec_lo
	s_delay_alu instid0(VALU_DEP_2) | instskip(NEXT) | instid1(VALU_DEP_1)
	v_bfe_i32 v0, v0, 0, 16
	v_cvt_f32_i32_e32 v0, v0
	s_delay_alu instid0(VALU_DEP_1) | instskip(NEXT) | instid1(VALU_DEP_1)
	v_bfe_u32 v3, v0, 23, 8
	v_cmpx_ne_u32_e32 0xff, v3
	s_cbranch_execz .LBB47_1957
; %bb.1956:
	v_and_b32_e32 v2, 0x400000, v0
	v_and_or_b32 v3, 0x3fffff, v0, v3
	v_lshrrev_b32_e32 v0, 23, v0
	s_delay_alu instid0(VALU_DEP_3) | instskip(NEXT) | instid1(VALU_DEP_3)
	v_cmp_ne_u32_e32 vcc_lo, 0, v2
	v_cmp_ne_u32_e64 s0, 0, v3
	s_and_b32 s0, vcc_lo, s0
	s_delay_alu instid0(SALU_CYCLE_1) | instskip(NEXT) | instid1(VALU_DEP_1)
	v_cndmask_b32_e64 v2, 0, 1, s0
	v_add_nc_u32_e32 v2, v0, v2
.LBB47_1957:
	s_or_b32 exec_lo, exec_lo, s5
	s_mov_b32 s0, 0
	global_store_b8 v[6:7], v2, off
.LBB47_1958:
	s_mov_b32 s5, 0
.LBB47_1959:
	s_delay_alu instid0(SALU_CYCLE_1)
	s_and_b32 vcc_lo, exec_lo, s5
	s_cbranch_vccz .LBB47_1962
; %bb.1960:
	s_cmp_eq_u32 s4, 29
	s_mov_b32 s0, -1
	s_cbranch_scc0 .LBB47_1962
; %bb.1961:
	s_wait_xcnt 0x0
	v_bfe_i32 v2, v1, 0, 8
	s_mov_b32 s0, 0
	s_mov_b32 s5, 0
	s_delay_alu instid0(VALU_DEP_1)
	v_ashrrev_i32_e32 v3, 31, v2
	global_store_b64 v[6:7], v[2:3], off
	s_branch .LBB47_1963
.LBB47_1962:
	s_mov_b32 s5, 0
.LBB47_1963:
	s_delay_alu instid0(SALU_CYCLE_1)
	s_and_b32 vcc_lo, exec_lo, s5
	s_cbranch_vccz .LBB47_1978
; %bb.1964:
	s_cmp_lt_i32 s4, 27
	s_mov_b32 s5, -1
	s_cbranch_scc1 .LBB47_1970
; %bb.1965:
	s_cmp_gt_i32 s4, 27
	s_cbranch_scc0 .LBB47_1967
; %bb.1966:
	s_wait_xcnt 0x0
	v_bfe_i32 v0, v1, 0, 8
	s_mov_b32 s5, 0
	global_store_b32 v[6:7], v0, off
.LBB47_1967:
	s_and_not1_b32 vcc_lo, exec_lo, s5
	s_cbranch_vccnz .LBB47_1969
; %bb.1968:
	s_wait_xcnt 0x0
	v_bfe_i32 v0, v1, 0, 8
	global_store_b16 v[6:7], v0, off
.LBB47_1969:
	s_mov_b32 s5, 0
.LBB47_1970:
	s_delay_alu instid0(SALU_CYCLE_1)
	s_and_not1_b32 vcc_lo, exec_lo, s5
	s_cbranch_vccnz .LBB47_1978
; %bb.1971:
	s_wait_xcnt 0x0
	v_bfe_i32 v0, v1, 0, 8
	v_mov_b32_e32 v3, 0x80
	s_mov_b32 s5, exec_lo
	s_delay_alu instid0(VALU_DEP_2) | instskip(NEXT) | instid1(VALU_DEP_1)
	v_bfe_i32 v0, v0, 0, 16
	v_cvt_f32_i32_e32 v0, v0
	s_delay_alu instid0(VALU_DEP_1) | instskip(NEXT) | instid1(VALU_DEP_1)
	v_and_b32_e32 v2, 0x7fffffff, v0
	v_cmpx_gt_u32_e32 0x43800000, v2
	s_cbranch_execz .LBB47_1977
; %bb.1972:
	v_cmp_lt_u32_e32 vcc_lo, 0x3bffffff, v2
                                        ; implicit-def: $vgpr2
	s_and_saveexec_b32 s9, vcc_lo
	s_delay_alu instid0(SALU_CYCLE_1)
	s_xor_b32 s9, exec_lo, s9
	s_cbranch_execz .LBB47_2119
; %bb.1973:
	v_bfe_u32 v2, v0, 20, 1
	s_mov_b32 s8, exec_lo
	s_delay_alu instid0(VALU_DEP_1) | instskip(NEXT) | instid1(VALU_DEP_1)
	v_add3_u32 v2, v0, v2, 0x487ffff
	v_lshrrev_b32_e32 v2, 20, v2
	s_and_not1_saveexec_b32 s9, s9
	s_cbranch_execnz .LBB47_2120
.LBB47_1974:
	s_or_b32 exec_lo, exec_lo, s9
	v_mov_b32_e32 v3, 0
	s_and_saveexec_b32 s9, s8
.LBB47_1975:
	v_lshrrev_b32_e32 v0, 24, v0
	s_delay_alu instid0(VALU_DEP_1)
	v_and_or_b32 v3, 0x80, v0, v2
.LBB47_1976:
	s_or_b32 exec_lo, exec_lo, s9
.LBB47_1977:
	s_delay_alu instid0(SALU_CYCLE_1)
	s_or_b32 exec_lo, exec_lo, s5
	global_store_b8 v[6:7], v3, off
.LBB47_1978:
	s_mov_b32 s5, 0
.LBB47_1979:
	s_delay_alu instid0(SALU_CYCLE_1)
	s_and_b32 vcc_lo, exec_lo, s5
	s_mov_b32 s5, 0
	s_cbranch_vccz .LBB47_2019
; %bb.1980:
	s_cmp_gt_i32 s4, 22
	s_mov_b32 s8, -1
	s_cbranch_scc0 .LBB47_2012
; %bb.1981:
	s_cmp_lt_i32 s4, 24
	s_cbranch_scc1 .LBB47_2001
; %bb.1982:
	s_cmp_gt_i32 s4, 24
	s_cbranch_scc0 .LBB47_1990
; %bb.1983:
	s_wait_xcnt 0x0
	v_bfe_i32 v0, v1, 0, 8
	v_mov_b32_e32 v3, 0x80
	s_mov_b32 s8, exec_lo
	s_delay_alu instid0(VALU_DEP_2) | instskip(NEXT) | instid1(VALU_DEP_1)
	v_bfe_i32 v0, v0, 0, 16
	v_cvt_f32_i32_e32 v0, v0
	s_delay_alu instid0(VALU_DEP_1) | instskip(NEXT) | instid1(VALU_DEP_1)
	v_and_b32_e32 v2, 0x7fffffff, v0
	v_cmpx_gt_u32_e32 0x47800000, v2
	s_cbranch_execz .LBB47_1989
; %bb.1984:
	v_cmp_lt_u32_e32 vcc_lo, 0x37ffffff, v2
	s_mov_b32 s9, 0
                                        ; implicit-def: $vgpr2
	s_and_saveexec_b32 s10, vcc_lo
	s_delay_alu instid0(SALU_CYCLE_1)
	s_xor_b32 s10, exec_lo, s10
	s_cbranch_execz .LBB47_2240
; %bb.1985:
	v_bfe_u32 v2, v0, 21, 1
	s_mov_b32 s9, exec_lo
	s_delay_alu instid0(VALU_DEP_1) | instskip(NEXT) | instid1(VALU_DEP_1)
	v_add3_u32 v2, v0, v2, 0x88fffff
	v_lshrrev_b32_e32 v2, 21, v2
	s_and_not1_saveexec_b32 s10, s10
	s_cbranch_execnz .LBB47_2241
.LBB47_1986:
	s_or_b32 exec_lo, exec_lo, s10
	v_mov_b32_e32 v3, 0
	s_and_saveexec_b32 s10, s9
.LBB47_1987:
	v_lshrrev_b32_e32 v0, 24, v0
	s_delay_alu instid0(VALU_DEP_1)
	v_and_or_b32 v3, 0x80, v0, v2
.LBB47_1988:
	s_or_b32 exec_lo, exec_lo, s10
.LBB47_1989:
	s_delay_alu instid0(SALU_CYCLE_1)
	s_or_b32 exec_lo, exec_lo, s8
	s_mov_b32 s8, 0
	global_store_b8 v[6:7], v3, off
.LBB47_1990:
	s_and_b32 vcc_lo, exec_lo, s8
	s_cbranch_vccz .LBB47_2000
; %bb.1991:
	s_wait_xcnt 0x0
	v_bfe_i32 v0, v1, 0, 8
	s_mov_b32 s8, exec_lo
                                        ; implicit-def: $vgpr2
	s_delay_alu instid0(VALU_DEP_1) | instskip(NEXT) | instid1(VALU_DEP_1)
	v_bfe_i32 v0, v0, 0, 16
	v_cvt_f32_i32_e32 v0, v0
	s_delay_alu instid0(VALU_DEP_1) | instskip(NEXT) | instid1(VALU_DEP_1)
	v_and_b32_e32 v3, 0x7fffffff, v0
	v_cmpx_gt_u32_e32 0x43f00000, v3
	s_xor_b32 s8, exec_lo, s8
	s_cbranch_execz .LBB47_1997
; %bb.1992:
	s_mov_b32 s9, exec_lo
                                        ; implicit-def: $vgpr2
	v_cmpx_lt_u32_e32 0x3c7fffff, v3
	s_xor_b32 s9, exec_lo, s9
; %bb.1993:
	v_bfe_u32 v2, v0, 20, 1
	s_delay_alu instid0(VALU_DEP_1) | instskip(NEXT) | instid1(VALU_DEP_1)
	v_add3_u32 v2, v0, v2, 0x407ffff
	v_and_b32_e32 v3, 0xff00000, v2
	v_lshrrev_b32_e32 v2, 20, v2
	s_delay_alu instid0(VALU_DEP_2) | instskip(NEXT) | instid1(VALU_DEP_2)
	v_cmp_ne_u32_e32 vcc_lo, 0x7f00000, v3
	v_cndmask_b32_e32 v2, 0x7e, v2, vcc_lo
; %bb.1994:
	s_and_not1_saveexec_b32 s9, s9
; %bb.1995:
	v_add_f32_e64 v2, 0x46800000, |v0|
; %bb.1996:
	s_or_b32 exec_lo, exec_lo, s9
                                        ; implicit-def: $vgpr3
.LBB47_1997:
	s_and_not1_saveexec_b32 s8, s8
; %bb.1998:
	v_mov_b32_e32 v2, 0x7f
	v_cmp_lt_u32_e32 vcc_lo, 0x7f800000, v3
	s_delay_alu instid0(VALU_DEP_2)
	v_cndmask_b32_e32 v2, 0x7e, v2, vcc_lo
; %bb.1999:
	s_or_b32 exec_lo, exec_lo, s8
	v_lshrrev_b32_e32 v0, 24, v0
	s_delay_alu instid0(VALU_DEP_1)
	v_and_or_b32 v0, 0x80, v0, v2
	global_store_b8 v[6:7], v0, off
.LBB47_2000:
	s_mov_b32 s8, 0
.LBB47_2001:
	s_delay_alu instid0(SALU_CYCLE_1)
	s_and_not1_b32 vcc_lo, exec_lo, s8
	s_cbranch_vccnz .LBB47_2011
; %bb.2002:
	s_wait_xcnt 0x0
	v_bfe_i32 v0, v1, 0, 8
	s_mov_b32 s8, exec_lo
                                        ; implicit-def: $vgpr2
	s_delay_alu instid0(VALU_DEP_1) | instskip(NEXT) | instid1(VALU_DEP_1)
	v_bfe_i32 v0, v0, 0, 16
	v_cvt_f32_i32_e32 v0, v0
	s_delay_alu instid0(VALU_DEP_1) | instskip(NEXT) | instid1(VALU_DEP_1)
	v_and_b32_e32 v3, 0x7fffffff, v0
	v_cmpx_gt_u32_e32 0x47800000, v3
	s_xor_b32 s8, exec_lo, s8
	s_cbranch_execz .LBB47_2008
; %bb.2003:
	s_mov_b32 s9, exec_lo
                                        ; implicit-def: $vgpr2
	v_cmpx_lt_u32_e32 0x387fffff, v3
	s_xor_b32 s9, exec_lo, s9
; %bb.2004:
	v_bfe_u32 v2, v0, 21, 1
	s_delay_alu instid0(VALU_DEP_1) | instskip(NEXT) | instid1(VALU_DEP_1)
	v_add3_u32 v2, v0, v2, 0x80fffff
	v_lshrrev_b32_e32 v2, 21, v2
; %bb.2005:
	s_and_not1_saveexec_b32 s9, s9
; %bb.2006:
	v_add_f32_e64 v2, 0x43000000, |v0|
; %bb.2007:
	s_or_b32 exec_lo, exec_lo, s9
                                        ; implicit-def: $vgpr3
.LBB47_2008:
	s_and_not1_saveexec_b32 s8, s8
; %bb.2009:
	v_mov_b32_e32 v2, 0x7f
	v_cmp_lt_u32_e32 vcc_lo, 0x7f800000, v3
	s_delay_alu instid0(VALU_DEP_2)
	v_cndmask_b32_e32 v2, 0x7c, v2, vcc_lo
; %bb.2010:
	s_or_b32 exec_lo, exec_lo, s8
	v_lshrrev_b32_e32 v0, 24, v0
	s_delay_alu instid0(VALU_DEP_1)
	v_and_or_b32 v0, 0x80, v0, v2
	global_store_b8 v[6:7], v0, off
.LBB47_2011:
	s_mov_b32 s8, 0
.LBB47_2012:
	s_delay_alu instid0(SALU_CYCLE_1)
	s_and_not1_b32 vcc_lo, exec_lo, s8
	s_mov_b32 s9, 0
	s_cbranch_vccnz .LBB47_2020
; %bb.2013:
	s_cmp_gt_i32 s4, 14
	s_mov_b32 s8, -1
	s_cbranch_scc0 .LBB47_2017
; %bb.2014:
	s_cmp_eq_u32 s4, 15
	s_mov_b32 s0, -1
	s_cbranch_scc0 .LBB47_2016
; %bb.2015:
	s_wait_xcnt 0x0
	v_bfe_i32 v0, v1, 0, 8
	s_mov_b32 s0, 0
	s_delay_alu instid0(VALU_DEP_1) | instskip(NEXT) | instid1(VALU_DEP_1)
	v_bfe_i32 v0, v0, 0, 16
	v_cvt_f32_i32_e32 v0, v0
	s_delay_alu instid0(VALU_DEP_1) | instskip(NEXT) | instid1(VALU_DEP_1)
	v_bfe_u32 v2, v0, 16, 1
	v_add3_u32 v0, v0, v2, 0x7fff
	global_store_d16_hi_b16 v[6:7], v0, off
.LBB47_2016:
	s_mov_b32 s8, 0
.LBB47_2017:
	s_delay_alu instid0(SALU_CYCLE_1)
	s_and_b32 vcc_lo, exec_lo, s8
	s_cbranch_vccz .LBB47_2020
; %bb.2018:
	s_cmp_lg_u32 s4, 11
	s_mov_b32 s9, -1
	s_cselect_b32 s4, -1, 0
	s_and_not1_b32 s0, s0, exec_lo
	s_and_b32 s4, s4, exec_lo
	s_delay_alu instid0(SALU_CYCLE_1)
	s_or_b32 s0, s0, s4
	s_branch .LBB47_2020
.LBB47_2019:
	s_mov_b32 s9, 0
.LBB47_2020:
	s_and_b32 s8, s5, exec_lo
	s_and_not1_b32 s4, s45, exec_lo
	s_and_b32 s5, s0, exec_lo
	s_and_b32 s0, s9, exec_lo
	s_or_b32 s45, s4, s5
	s_wait_xcnt 0x0
	s_or_b32 exec_lo, exec_lo, s7
	s_and_saveexec_b32 s4, s45
	s_cbranch_execz .LBB47_1949
.LBB47_2021:
	s_or_b32 s1, s1, exec_lo
	s_and_not1_b32 s0, s0, exec_lo
	s_trap 2
	s_or_b32 exec_lo, exec_lo, s4
	s_and_saveexec_b32 s4, s0
	s_delay_alu instid0(SALU_CYCLE_1)
	s_xor_b32 s0, exec_lo, s4
	s_cbranch_execnz .LBB47_1950
.LBB47_2022:
	s_or_b32 exec_lo, exec_lo, s0
	s_and_saveexec_b32 s0, s8
	s_delay_alu instid0(SALU_CYCLE_1)
	s_xor_b32 s0, exec_lo, s0
	s_cbranch_execz .LBB47_2060
.LBB47_2023:
	s_sext_i32_i16 s5, s6
	s_mov_b32 s4, -1
	s_cmp_lt_i32 s5, 5
	s_cbranch_scc1 .LBB47_2044
; %bb.2024:
	s_cmp_lt_i32 s5, 8
	s_cbranch_scc1 .LBB47_2034
; %bb.2025:
	;; [unrolled: 3-line block ×3, first 2 shown]
	s_cmp_gt_i32 s5, 9
	s_cbranch_scc0 .LBB47_2028
; %bb.2027:
	s_wait_loadcnt 0x0
	v_bfe_i32 v0, v1, 0, 8
	v_mov_b32_e32 v4, 0
	s_mov_b32 s4, 0
	s_delay_alu instid0(VALU_DEP_2) | instskip(NEXT) | instid1(VALU_DEP_2)
	v_bfe_i32 v0, v0, 0, 16
	v_mov_b32_e32 v5, v4
	s_delay_alu instid0(VALU_DEP_2)
	v_cvt_f64_i32_e32 v[2:3], v0
	global_store_b128 v[6:7], v[2:5], off
.LBB47_2028:
	s_and_not1_b32 vcc_lo, exec_lo, s4
	s_cbranch_vccnz .LBB47_2030
; %bb.2029:
	s_wait_loadcnt 0x0
	v_bfe_i32 v0, v1, 0, 8
	s_wait_xcnt 0x0
	v_mov_b32_e32 v3, 0
	s_delay_alu instid0(VALU_DEP_2) | instskip(NEXT) | instid1(VALU_DEP_1)
	v_bfe_i32 v0, v0, 0, 16
	v_cvt_f32_i32_e32 v2, v0
	global_store_b64 v[6:7], v[2:3], off
.LBB47_2030:
	s_mov_b32 s4, 0
.LBB47_2031:
	s_delay_alu instid0(SALU_CYCLE_1)
	s_and_not1_b32 vcc_lo, exec_lo, s4
	s_cbranch_vccnz .LBB47_2033
; %bb.2032:
	s_wait_loadcnt 0x0
	v_bfe_i32 v0, v1, 0, 8
	s_delay_alu instid0(VALU_DEP_1) | instskip(NEXT) | instid1(VALU_DEP_1)
	v_cvt_f16_i16_e32 v0, v0
	v_and_b32_e32 v0, 0xffff, v0
	global_store_b32 v[6:7], v0, off
.LBB47_2033:
	s_mov_b32 s4, 0
.LBB47_2034:
	s_delay_alu instid0(SALU_CYCLE_1)
	s_and_not1_b32 vcc_lo, exec_lo, s4
	s_cbranch_vccnz .LBB47_2043
; %bb.2035:
	s_sext_i32_i16 s5, s6
	s_mov_b32 s4, -1
	s_cmp_lt_i32 s5, 6
	s_cbranch_scc1 .LBB47_2041
; %bb.2036:
	s_cmp_gt_i32 s5, 6
	s_cbranch_scc0 .LBB47_2038
; %bb.2037:
	s_wait_loadcnt 0x0
	v_bfe_i32 v0, v1, 0, 8
	s_mov_b32 s4, 0
	s_delay_alu instid0(VALU_DEP_1) | instskip(NEXT) | instid1(VALU_DEP_1)
	v_bfe_i32 v0, v0, 0, 16
	v_cvt_f64_i32_e32 v[2:3], v0
	global_store_b64 v[6:7], v[2:3], off
.LBB47_2038:
	s_and_not1_b32 vcc_lo, exec_lo, s4
	s_cbranch_vccnz .LBB47_2040
; %bb.2039:
	s_wait_loadcnt 0x0
	v_bfe_i32 v0, v1, 0, 8
	s_delay_alu instid0(VALU_DEP_1) | instskip(NEXT) | instid1(VALU_DEP_1)
	v_bfe_i32 v0, v0, 0, 16
	v_cvt_f32_i32_e32 v0, v0
	global_store_b32 v[6:7], v0, off
.LBB47_2040:
	s_mov_b32 s4, 0
.LBB47_2041:
	s_delay_alu instid0(SALU_CYCLE_1)
	s_and_not1_b32 vcc_lo, exec_lo, s4
	s_cbranch_vccnz .LBB47_2043
; %bb.2042:
	s_wait_loadcnt 0x0
	v_bfe_i32 v0, v1, 0, 8
	s_delay_alu instid0(VALU_DEP_1)
	v_cvt_f16_i16_e32 v0, v0
	global_store_b16 v[6:7], v0, off
.LBB47_2043:
	s_mov_b32 s4, 0
.LBB47_2044:
	s_delay_alu instid0(SALU_CYCLE_1)
	s_and_not1_b32 vcc_lo, exec_lo, s4
	s_cbranch_vccnz .LBB47_2060
; %bb.2045:
	s_sext_i32_i16 s5, s6
	s_mov_b32 s4, -1
	s_cmp_lt_i32 s5, 2
	s_cbranch_scc1 .LBB47_2055
; %bb.2046:
	s_cmp_lt_i32 s5, 3
	s_cbranch_scc1 .LBB47_2052
; %bb.2047:
	s_cmp_gt_i32 s5, 3
	s_cbranch_scc0 .LBB47_2049
; %bb.2048:
	s_wait_loadcnt 0x0
	v_bfe_i32 v2, v1, 0, 8
	s_mov_b32 s4, 0
	s_delay_alu instid0(VALU_DEP_1)
	v_ashrrev_i32_e32 v3, 31, v2
	global_store_b64 v[6:7], v[2:3], off
.LBB47_2049:
	s_and_not1_b32 vcc_lo, exec_lo, s4
	s_cbranch_vccnz .LBB47_2051
; %bb.2050:
	s_wait_loadcnt 0x0
	v_bfe_i32 v0, v1, 0, 8
	global_store_b32 v[6:7], v0, off
.LBB47_2051:
	s_mov_b32 s4, 0
.LBB47_2052:
	s_delay_alu instid0(SALU_CYCLE_1)
	s_and_not1_b32 vcc_lo, exec_lo, s4
	s_cbranch_vccnz .LBB47_2054
; %bb.2053:
	s_wait_loadcnt 0x0
	v_bfe_i32 v0, v1, 0, 8
	global_store_b16 v[6:7], v0, off
.LBB47_2054:
	s_mov_b32 s4, 0
.LBB47_2055:
	s_delay_alu instid0(SALU_CYCLE_1)
	s_and_not1_b32 vcc_lo, exec_lo, s4
	s_cbranch_vccnz .LBB47_2060
; %bb.2056:
	s_sext_i32_i16 s4, s6
	s_delay_alu instid0(SALU_CYCLE_1)
	s_cmp_gt_i32 s4, 0
	s_mov_b32 s4, -1
	s_cbranch_scc0 .LBB47_2058
; %bb.2057:
	s_mov_b32 s4, 0
	s_wait_loadcnt 0x0
	global_store_b8 v[6:7], v1, off
.LBB47_2058:
	s_and_not1_b32 vcc_lo, exec_lo, s4
	s_cbranch_vccnz .LBB47_2060
; %bb.2059:
	s_wait_loadcnt 0x0
	global_store_b8 v[6:7], v1, off
.LBB47_2060:
	s_wait_xcnt 0x0
	s_or_b32 exec_lo, exec_lo, s0
	s_delay_alu instid0(SALU_CYCLE_1)
	s_and_b32 s10, s1, exec_lo
                                        ; implicit-def: $vgpr5
                                        ; implicit-def: $vgpr0
.LBB47_2061:
	s_or_saveexec_b32 s11, s41
	s_mov_b32 s0, 0
                                        ; implicit-def: $vgpr2_vgpr3
                                        ; implicit-def: $sgpr1
                                        ; implicit-def: $vgpr1
	s_xor_b32 exec_lo, exec_lo, s11
	s_cbranch_execz .LBB47_4060
; %bb.2062:
	s_wait_loadcnt 0x0
	v_cndmask_b32_e64 v1, 0, 1, s40
	s_and_not1_b32 vcc_lo, exec_lo, s40
	s_cbranch_vccnz .LBB47_2068
; %bb.2063:
	s_cmp_lg_u32 s33, 0
	s_mov_b32 s6, 0
	s_cbranch_scc0 .LBB47_2072
; %bb.2064:
	s_min_u32 s7, s38, 15
	v_dual_mov_b32 v12, 0 :: v_dual_mov_b32 v2, v0
	v_dual_mov_b32 v18, 0 :: v_dual_mov_b32 v6, 0
	v_mov_b32_e32 v8, 0
	s_add_co_i32 s4, s7, 1
	s_mov_b64 s[0:1], 0xffffffffffffffe0
	s_and_b32 s8, s4, 30
	s_add_nc_u64 s[0:1], s[2:3], s[0:1]
	s_mov_b64 s[4:5], s[2:3]
.LBB47_2065:                            ; =>This Inner Loop Header: Depth=1
	s_clause 0x1
	s_load_b128 s[20:23], s[4:5], 0x4
	s_load_b64 s[24:25], s[4:5], 0x14
	s_load_b256 s[12:19], s[0:1], 0xe4
	s_add_co_i32 s8, s8, -2
	s_wait_xcnt 0x0
	s_add_nc_u64 s[4:5], s[4:5], 24
	s_cmp_lg_u32 s8, 0
	s_add_nc_u64 s[0:1], s[0:1], 32
	s_wait_kmcnt 0x0
	v_mul_hi_u32 v3, s21, v2
	s_delay_alu instid0(VALU_DEP_1) | instskip(NEXT) | instid1(VALU_DEP_1)
	v_add_nc_u32_e32 v3, v2, v3
	v_lshrrev_b32_e32 v3, s22, v3
	s_delay_alu instid0(VALU_DEP_1) | instskip(SKIP_1) | instid1(VALU_DEP_1)
	v_mul_hi_u32 v4, s24, v3
	v_mul_lo_u32 v7, v3, s20
	v_dual_add_nc_u32 v4, v3, v4 :: v_dual_sub_nc_u32 v7, v2, v7
	s_delay_alu instid0(VALU_DEP_1) | instskip(NEXT) | instid1(VALU_DEP_2)
	v_lshrrev_b32_e32 v2, s25, v4
	v_mad_u32 v8, v7, s13, v8
	v_mad_u32 v6, v7, s12, v6
	;; [unrolled: 1-line block ×4, first 2 shown]
	v_mul_lo_u32 v4, v2, s23
	s_delay_alu instid0(VALU_DEP_1) | instskip(NEXT) | instid1(VALU_DEP_1)
	v_sub_nc_u32_e32 v3, v3, v4
	v_mad_u32 v8, v3, s17, v8
	v_mad_u32 v6, v3, s16, v6
	v_mad_u32 v18, v3, s19, v9
	v_mad_u32 v12, v3, s18, v7
	s_cbranch_scc1 .LBB47_2065
; %bb.2066:
	s_bitcmp1_b32 s7, 0
	s_cselect_b32 s7, -1, 0
	s_delay_alu instid0(SALU_CYCLE_1)
	s_and_b32 vcc_lo, exec_lo, s7
	s_cbranch_vccnz .LBB47_2069
; %bb.2067:
	s_load_b96 s[16:18], s[4:5], 0x4
	s_load_b128 s[12:15], s[0:1], 0xe4
	s_wait_kmcnt 0x0
	v_mul_hi_u32 v3, s17, v2
	s_delay_alu instid0(VALU_DEP_1) | instskip(NEXT) | instid1(VALU_DEP_1)
	v_add_nc_u32_e32 v3, v2, v3
	v_lshrrev_b32_e32 v3, s18, v3
	s_delay_alu instid0(VALU_DEP_1) | instskip(NEXT) | instid1(VALU_DEP_1)
	v_mul_lo_u32 v3, v3, s16
	v_sub_nc_u32_e32 v2, v2, v3
	s_delay_alu instid0(VALU_DEP_1)
	v_mad_u32 v6, v2, s12, v6
	v_mad_u32 v8, v2, s13, v8
	;; [unrolled: 1-line block ×4, first 2 shown]
	s_and_not1_b32 vcc_lo, exec_lo, s6
	s_cbranch_vccz .LBB47_2070
	s_branch .LBB47_2073
.LBB47_2068:
	s_mov_b32 s6, -1
                                        ; implicit-def: $vgpr8
                                        ; implicit-def: $vgpr6
                                        ; implicit-def: $vgpr18
                                        ; implicit-def: $vgpr12
.LBB47_2069:
	s_delay_alu instid0(SALU_CYCLE_1)
	s_and_not1_b32 vcc_lo, exec_lo, s6
	s_cbranch_vccnz .LBB47_2073
.LBB47_2070:
	s_clause 0x1
	s_load_b96 s[12:14], s[2:3], 0x4
	s_load_b128 s[4:7], s[2:3], 0xc4
	s_cmp_lt_u32 s33, 2
	s_wait_kmcnt 0x0
	v_mul_hi_u32 v2, s13, v0
	s_delay_alu instid0(VALU_DEP_1) | instskip(NEXT) | instid1(VALU_DEP_1)
	v_add_nc_u32_e32 v2, v0, v2
	v_lshrrev_b32_e32 v2, s14, v2
	s_delay_alu instid0(VALU_DEP_1) | instskip(NEXT) | instid1(VALU_DEP_1)
	v_mul_lo_u32 v3, v2, s12
	v_sub_nc_u32_e32 v3, v0, v3
	s_delay_alu instid0(VALU_DEP_1)
	v_mul_lo_u32 v8, v3, s5
	v_mul_lo_u32 v6, v3, s4
	;; [unrolled: 1-line block ×4, first 2 shown]
	s_cbranch_scc1 .LBB47_2073
; %bb.2071:
	s_clause 0x1
	s_load_b96 s[12:14], s[2:3], 0x10
	s_load_b128 s[4:7], s[2:3], 0xd4
	s_wait_kmcnt 0x0
	v_mul_hi_u32 v3, s13, v2
	s_delay_alu instid0(VALU_DEP_1) | instskip(NEXT) | instid1(VALU_DEP_1)
	v_add_nc_u32_e32 v3, v2, v3
	v_lshrrev_b32_e32 v3, s14, v3
	s_delay_alu instid0(VALU_DEP_1) | instskip(NEXT) | instid1(VALU_DEP_1)
	v_mul_lo_u32 v3, v3, s12
	v_sub_nc_u32_e32 v2, v2, v3
	s_delay_alu instid0(VALU_DEP_1)
	v_mad_u32 v6, v2, s4, v6
	v_mad_u32 v8, v2, s5, v8
	;; [unrolled: 1-line block ×4, first 2 shown]
	s_branch .LBB47_2073
.LBB47_2072:
	v_dual_mov_b32 v8, 0 :: v_dual_mov_b32 v6, 0
	v_dual_mov_b32 v18, 0 :: v_dual_mov_b32 v12, 0
	s_and_not1_b32 vcc_lo, exec_lo, s6
	s_cbranch_vccz .LBB47_2070
.LBB47_2073:
	v_cmp_ne_u32_e32 vcc_lo, 1, v1
	v_add_nc_u32_e32 v2, 0x80, v0
	s_cbranch_vccnz .LBB47_2079
; %bb.2074:
	s_cmp_lg_u32 s33, 0
	s_mov_b32 s6, 0
	s_cbranch_scc0 .LBB47_2083
; %bb.2075:
	s_min_u32 s7, s38, 15
	v_dual_mov_b32 v22, 0 :: v_dual_mov_b32 v3, v2
	v_dual_mov_b32 v28, 0 :: v_dual_mov_b32 v4, 0
	v_mov_b32_e32 v16, 0
	s_add_co_i32 s4, s7, 1
	s_mov_b64 s[0:1], 0xffffffffffffffe0
	s_and_b32 s8, s4, 30
	s_add_nc_u64 s[0:1], s[2:3], s[0:1]
	s_mov_b64 s[4:5], s[2:3]
.LBB47_2076:                            ; =>This Inner Loop Header: Depth=1
	s_clause 0x1
	s_load_b128 s[20:23], s[4:5], 0x4
	s_load_b64 s[24:25], s[4:5], 0x14
	s_load_b256 s[12:19], s[0:1], 0xe4
	s_add_co_i32 s8, s8, -2
	s_wait_xcnt 0x0
	s_add_nc_u64 s[4:5], s[4:5], 24
	s_cmp_lg_u32 s8, 0
	s_add_nc_u64 s[0:1], s[0:1], 32
	s_wait_kmcnt 0x0
	v_mul_hi_u32 v7, s21, v3
	s_delay_alu instid0(VALU_DEP_1) | instskip(NEXT) | instid1(VALU_DEP_1)
	v_add_nc_u32_e32 v7, v3, v7
	v_lshrrev_b32_e32 v7, s22, v7
	s_delay_alu instid0(VALU_DEP_1) | instskip(SKIP_1) | instid1(VALU_DEP_2)
	v_mul_hi_u32 v9, s24, v7
	v_mul_lo_u32 v10, v7, s20
	v_add_nc_u32_e32 v9, v7, v9
	s_delay_alu instid0(VALU_DEP_1) | instskip(NEXT) | instid1(VALU_DEP_1)
	v_dual_sub_nc_u32 v10, v3, v10 :: v_dual_lshrrev_b32 v3, s25, v9
	v_mad_u32 v11, v10, s13, v16
	v_mad_u32 v4, v10, s12, v4
	;; [unrolled: 1-line block ×4, first 2 shown]
	v_mul_lo_u32 v9, v3, s23
	s_delay_alu instid0(VALU_DEP_1) | instskip(NEXT) | instid1(VALU_DEP_1)
	v_sub_nc_u32_e32 v7, v7, v9
	v_mad_u32 v16, v7, s17, v11
	v_mad_u32 v4, v7, s16, v4
	;; [unrolled: 1-line block ×4, first 2 shown]
	s_cbranch_scc1 .LBB47_2076
; %bb.2077:
	s_bitcmp1_b32 s7, 0
	s_cselect_b32 s7, -1, 0
	s_delay_alu instid0(SALU_CYCLE_1)
	s_and_b32 vcc_lo, exec_lo, s7
	s_cbranch_vccnz .LBB47_2080
; %bb.2078:
	s_load_b96 s[16:18], s[4:5], 0x4
	s_load_b128 s[12:15], s[0:1], 0xe4
	s_wait_kmcnt 0x0
	v_mul_hi_u32 v7, s17, v3
	s_delay_alu instid0(VALU_DEP_1) | instskip(NEXT) | instid1(VALU_DEP_1)
	v_add_nc_u32_e32 v7, v3, v7
	v_lshrrev_b32_e32 v7, s18, v7
	s_delay_alu instid0(VALU_DEP_1) | instskip(NEXT) | instid1(VALU_DEP_1)
	v_mul_lo_u32 v7, v7, s16
	v_sub_nc_u32_e32 v3, v3, v7
	s_delay_alu instid0(VALU_DEP_1)
	v_mad_u32 v4, v3, s12, v4
	v_mad_u32 v16, v3, s13, v16
	;; [unrolled: 1-line block ×4, first 2 shown]
	s_and_not1_b32 vcc_lo, exec_lo, s6
	s_cbranch_vccz .LBB47_2081
	s_branch .LBB47_2084
.LBB47_2079:
	s_mov_b32 s6, -1
                                        ; implicit-def: $vgpr16
                                        ; implicit-def: $vgpr4
                                        ; implicit-def: $vgpr28
                                        ; implicit-def: $vgpr22
.LBB47_2080:
	s_delay_alu instid0(SALU_CYCLE_1)
	s_and_not1_b32 vcc_lo, exec_lo, s6
	s_cbranch_vccnz .LBB47_2084
.LBB47_2081:
	s_clause 0x1
	s_load_b96 s[12:14], s[2:3], 0x4
	s_load_b128 s[4:7], s[2:3], 0xc4
	s_cmp_lt_u32 s33, 2
	s_wait_kmcnt 0x0
	v_mul_hi_u32 v3, s13, v2
	s_delay_alu instid0(VALU_DEP_1) | instskip(NEXT) | instid1(VALU_DEP_1)
	v_add_nc_u32_e32 v3, v2, v3
	v_lshrrev_b32_e32 v3, s14, v3
	s_delay_alu instid0(VALU_DEP_1) | instskip(NEXT) | instid1(VALU_DEP_1)
	v_mul_lo_u32 v4, v3, s12
	v_sub_nc_u32_e32 v2, v2, v4
	s_delay_alu instid0(VALU_DEP_1)
	v_mul_lo_u32 v16, v2, s5
	v_mul_lo_u32 v4, v2, s4
	;; [unrolled: 1-line block ×4, first 2 shown]
	s_cbranch_scc1 .LBB47_2084
; %bb.2082:
	s_clause 0x1
	s_load_b96 s[12:14], s[2:3], 0x10
	s_load_b128 s[4:7], s[2:3], 0xd4
	s_wait_kmcnt 0x0
	v_mul_hi_u32 v2, s13, v3
	s_delay_alu instid0(VALU_DEP_1) | instskip(NEXT) | instid1(VALU_DEP_1)
	v_add_nc_u32_e32 v2, v3, v2
	v_lshrrev_b32_e32 v2, s14, v2
	s_delay_alu instid0(VALU_DEP_1) | instskip(NEXT) | instid1(VALU_DEP_1)
	v_mul_lo_u32 v2, v2, s12
	v_sub_nc_u32_e32 v2, v3, v2
	s_delay_alu instid0(VALU_DEP_1)
	v_mad_u32 v4, v2, s4, v4
	v_mad_u32 v16, v2, s5, v16
	;; [unrolled: 1-line block ×4, first 2 shown]
	s_branch .LBB47_2084
.LBB47_2083:
	v_dual_mov_b32 v16, 0 :: v_dual_mov_b32 v4, 0
	v_dual_mov_b32 v28, 0 :: v_dual_mov_b32 v22, 0
	s_and_not1_b32 vcc_lo, exec_lo, s6
	s_cbranch_vccz .LBB47_2081
.LBB47_2084:
	v_cmp_ne_u32_e32 vcc_lo, 1, v1
	v_add_nc_u32_e32 v0, 0x100, v0
	s_cbranch_vccnz .LBB47_2090
; %bb.2085:
	s_cmp_lg_u32 s33, 0
	s_mov_b32 s6, 0
	s_cbranch_scc0 .LBB47_2094
; %bb.2086:
	s_min_u32 s7, s38, 15
	v_dual_mov_b32 v30, 0 :: v_dual_mov_b32 v3, v0
	v_dual_mov_b32 v24, 0 :: v_dual_mov_b32 v2, 0
	v_mov_b32_e32 v26, 0
	s_add_co_i32 s4, s7, 1
	s_mov_b64 s[0:1], 0xffffffffffffffe0
	s_and_b32 s8, s4, 30
	s_add_nc_u64 s[0:1], s[2:3], s[0:1]
	s_mov_b64 s[4:5], s[2:3]
.LBB47_2087:                            ; =>This Inner Loop Header: Depth=1
	s_clause 0x1
	s_load_b128 s[20:23], s[4:5], 0x4
	s_load_b64 s[24:25], s[4:5], 0x14
	s_load_b256 s[12:19], s[0:1], 0xe4
	s_add_co_i32 s8, s8, -2
	s_wait_xcnt 0x0
	s_add_nc_u64 s[4:5], s[4:5], 24
	s_cmp_lg_u32 s8, 0
	s_add_nc_u64 s[0:1], s[0:1], 32
	s_wait_kmcnt 0x0
	v_mul_hi_u32 v7, s21, v3
	s_delay_alu instid0(VALU_DEP_1) | instskip(NEXT) | instid1(VALU_DEP_1)
	v_add_nc_u32_e32 v7, v3, v7
	v_lshrrev_b32_e32 v7, s22, v7
	s_delay_alu instid0(VALU_DEP_1) | instskip(SKIP_1) | instid1(VALU_DEP_2)
	v_mul_hi_u32 v9, s24, v7
	v_mul_lo_u32 v10, v7, s20
	v_add_nc_u32_e32 v9, v7, v9
	s_delay_alu instid0(VALU_DEP_1) | instskip(NEXT) | instid1(VALU_DEP_1)
	v_dual_sub_nc_u32 v10, v3, v10 :: v_dual_lshrrev_b32 v3, s25, v9
	v_mad_u32 v11, v10, s13, v26
	v_mad_u32 v2, v10, s12, v2
	;; [unrolled: 1-line block ×4, first 2 shown]
	v_mul_lo_u32 v9, v3, s23
	s_delay_alu instid0(VALU_DEP_1) | instskip(NEXT) | instid1(VALU_DEP_1)
	v_sub_nc_u32_e32 v7, v7, v9
	v_mad_u32 v26, v7, s17, v11
	v_mad_u32 v2, v7, s16, v2
	;; [unrolled: 1-line block ×4, first 2 shown]
	s_cbranch_scc1 .LBB47_2087
; %bb.2088:
	s_bitcmp1_b32 s7, 0
	s_cselect_b32 s7, -1, 0
	s_delay_alu instid0(SALU_CYCLE_1)
	s_and_b32 vcc_lo, exec_lo, s7
	s_cbranch_vccnz .LBB47_2091
; %bb.2089:
	s_load_b96 s[16:18], s[4:5], 0x4
	s_load_b128 s[12:15], s[0:1], 0xe4
	s_wait_kmcnt 0x0
	v_mul_hi_u32 v7, s17, v3
	s_delay_alu instid0(VALU_DEP_1) | instskip(NEXT) | instid1(VALU_DEP_1)
	v_add_nc_u32_e32 v7, v3, v7
	v_lshrrev_b32_e32 v7, s18, v7
	s_delay_alu instid0(VALU_DEP_1) | instskip(NEXT) | instid1(VALU_DEP_1)
	v_mul_lo_u32 v7, v7, s16
	v_sub_nc_u32_e32 v3, v3, v7
	s_delay_alu instid0(VALU_DEP_1)
	v_mad_u32 v2, v3, s12, v2
	v_mad_u32 v26, v3, s13, v26
	;; [unrolled: 1-line block ×4, first 2 shown]
	s_and_not1_b32 vcc_lo, exec_lo, s6
	s_cbranch_vccz .LBB47_2092
	s_branch .LBB47_2095
.LBB47_2090:
	s_mov_b32 s6, -1
                                        ; implicit-def: $vgpr26
                                        ; implicit-def: $vgpr2
                                        ; implicit-def: $vgpr24
                                        ; implicit-def: $vgpr30
.LBB47_2091:
	s_delay_alu instid0(SALU_CYCLE_1)
	s_and_not1_b32 vcc_lo, exec_lo, s6
	s_cbranch_vccnz .LBB47_2095
.LBB47_2092:
	s_clause 0x1
	s_load_b96 s[12:14], s[2:3], 0x4
	s_load_b128 s[4:7], s[2:3], 0xc4
	s_cmp_lt_u32 s33, 2
	s_wait_kmcnt 0x0
	v_mul_hi_u32 v2, s13, v0
	s_delay_alu instid0(VALU_DEP_1) | instskip(NEXT) | instid1(VALU_DEP_1)
	v_add_nc_u32_e32 v2, v0, v2
	v_lshrrev_b32_e32 v3, s14, v2
	s_delay_alu instid0(VALU_DEP_1) | instskip(NEXT) | instid1(VALU_DEP_1)
	v_mul_lo_u32 v2, v3, s12
	v_sub_nc_u32_e32 v0, v0, v2
	s_delay_alu instid0(VALU_DEP_1)
	v_mul_lo_u32 v26, v0, s5
	v_mul_lo_u32 v2, v0, s4
	;; [unrolled: 1-line block ×4, first 2 shown]
	s_cbranch_scc1 .LBB47_2095
; %bb.2093:
	s_clause 0x1
	s_load_b96 s[12:14], s[2:3], 0x10
	s_load_b128 s[4:7], s[2:3], 0xd4
	s_wait_kmcnt 0x0
	v_mul_hi_u32 v0, s13, v3
	s_delay_alu instid0(VALU_DEP_1) | instskip(NEXT) | instid1(VALU_DEP_1)
	v_add_nc_u32_e32 v0, v3, v0
	v_lshrrev_b32_e32 v0, s14, v0
	s_delay_alu instid0(VALU_DEP_1) | instskip(NEXT) | instid1(VALU_DEP_1)
	v_mul_lo_u32 v0, v0, s12
	v_sub_nc_u32_e32 v0, v3, v0
	s_delay_alu instid0(VALU_DEP_1)
	v_mad_u32 v2, v0, s4, v2
	v_mad_u32 v26, v0, s5, v26
	;; [unrolled: 1-line block ×4, first 2 shown]
	s_branch .LBB47_2095
.LBB47_2094:
	v_dual_mov_b32 v26, 0 :: v_dual_mov_b32 v2, 0
	v_dual_mov_b32 v24, 0 :: v_dual_mov_b32 v30, 0
	s_and_not1_b32 vcc_lo, exec_lo, s6
	s_cbranch_vccz .LBB47_2092
.LBB47_2095:
	v_cmp_ne_u32_e32 vcc_lo, 1, v1
	s_cbranch_vccnz .LBB47_2101
; %bb.2096:
	s_cmp_lg_u32 s33, 0
	s_mov_b32 s6, 0
	s_cbranch_scc0 .LBB47_2105
; %bb.2097:
	s_min_u32 s7, s38, 15
	v_dual_mov_b32 v14, 0 :: v_dual_mov_b32 v1, v5
	v_dual_mov_b32 v10, 0 :: v_dual_mov_b32 v0, 0
	v_mov_b32_e32 v20, 0
	s_add_co_i32 s4, s7, 1
	s_mov_b64 s[0:1], 0xffffffffffffffe0
	s_and_b32 s8, s4, 30
	s_add_nc_u64 s[0:1], s[2:3], s[0:1]
	s_mov_b64 s[4:5], s[2:3]
.LBB47_2098:                            ; =>This Inner Loop Header: Depth=1
	s_clause 0x1
	s_load_b128 s[20:23], s[4:5], 0x4
	s_load_b64 s[24:25], s[4:5], 0x14
	s_load_b256 s[12:19], s[0:1], 0xe4
	s_add_co_i32 s8, s8, -2
	s_wait_xcnt 0x0
	s_add_nc_u64 s[4:5], s[4:5], 24
	s_cmp_lg_u32 s8, 0
	s_add_nc_u64 s[0:1], s[0:1], 32
	s_wait_kmcnt 0x0
	v_mul_hi_u32 v3, s21, v1
	s_delay_alu instid0(VALU_DEP_1) | instskip(NEXT) | instid1(VALU_DEP_1)
	v_add_nc_u32_e32 v3, v1, v3
	v_lshrrev_b32_e32 v3, s22, v3
	s_delay_alu instid0(VALU_DEP_1) | instskip(SKIP_1) | instid1(VALU_DEP_1)
	v_mul_hi_u32 v7, s24, v3
	v_mul_lo_u32 v9, v3, s20
	v_dual_add_nc_u32 v7, v3, v7 :: v_dual_sub_nc_u32 v9, v1, v9
	s_delay_alu instid0(VALU_DEP_1) | instskip(NEXT) | instid1(VALU_DEP_2)
	v_lshrrev_b32_e32 v1, s25, v7
	v_mad_u32 v11, v9, s13, v20
	v_mad_u32 v0, v9, s12, v0
	;; [unrolled: 1-line block ×4, first 2 shown]
	v_mul_lo_u32 v7, v1, s23
	s_delay_alu instid0(VALU_DEP_1) | instskip(NEXT) | instid1(VALU_DEP_1)
	v_sub_nc_u32_e32 v3, v3, v7
	v_mad_u32 v20, v3, s17, v11
	v_mad_u32 v0, v3, s16, v0
	;; [unrolled: 1-line block ×4, first 2 shown]
	s_cbranch_scc1 .LBB47_2098
; %bb.2099:
	s_bitcmp1_b32 s7, 0
	s_cselect_b32 s7, -1, 0
	s_delay_alu instid0(SALU_CYCLE_1)
	s_and_b32 vcc_lo, exec_lo, s7
	s_cbranch_vccnz .LBB47_2102
; %bb.2100:
	s_load_b96 s[16:18], s[4:5], 0x4
	s_load_b128 s[12:15], s[0:1], 0xe4
	s_wait_kmcnt 0x0
	v_mul_hi_u32 v3, s17, v1
	s_delay_alu instid0(VALU_DEP_1) | instskip(NEXT) | instid1(VALU_DEP_1)
	v_add_nc_u32_e32 v3, v1, v3
	v_lshrrev_b32_e32 v3, s18, v3
	s_delay_alu instid0(VALU_DEP_1) | instskip(NEXT) | instid1(VALU_DEP_1)
	v_mul_lo_u32 v3, v3, s16
	v_sub_nc_u32_e32 v1, v1, v3
	s_delay_alu instid0(VALU_DEP_1)
	v_mad_u32 v0, v1, s12, v0
	v_mad_u32 v20, v1, s13, v20
	;; [unrolled: 1-line block ×4, first 2 shown]
	s_and_not1_b32 vcc_lo, exec_lo, s6
	s_cbranch_vccz .LBB47_2103
	s_branch .LBB47_2106
.LBB47_2101:
	s_mov_b32 s6, -1
                                        ; implicit-def: $vgpr20
                                        ; implicit-def: $vgpr0
                                        ; implicit-def: $vgpr10
                                        ; implicit-def: $vgpr14
.LBB47_2102:
	s_delay_alu instid0(SALU_CYCLE_1)
	s_and_not1_b32 vcc_lo, exec_lo, s6
	s_cbranch_vccnz .LBB47_2106
.LBB47_2103:
	s_clause 0x1
	s_load_b96 s[12:14], s[2:3], 0x4
	s_load_b128 s[4:7], s[2:3], 0xc4
	s_cmp_lt_u32 s33, 2
	s_wait_kmcnt 0x0
	v_mul_hi_u32 v0, s13, v5
	s_delay_alu instid0(VALU_DEP_1) | instskip(NEXT) | instid1(VALU_DEP_1)
	v_add_nc_u32_e32 v0, v5, v0
	v_lshrrev_b32_e32 v1, s14, v0
	s_delay_alu instid0(VALU_DEP_1) | instskip(NEXT) | instid1(VALU_DEP_1)
	v_mul_lo_u32 v0, v1, s12
	v_sub_nc_u32_e32 v3, v5, v0
	s_delay_alu instid0(VALU_DEP_1)
	v_mul_lo_u32 v20, v3, s5
	v_mul_lo_u32 v0, v3, s4
	;; [unrolled: 1-line block ×4, first 2 shown]
	s_cbranch_scc1 .LBB47_2106
; %bb.2104:
	s_clause 0x1
	s_load_b96 s[12:14], s[2:3], 0x10
	s_load_b128 s[4:7], s[2:3], 0xd4
	s_wait_kmcnt 0x0
	v_mul_hi_u32 v3, s13, v1
	s_delay_alu instid0(VALU_DEP_1) | instskip(NEXT) | instid1(VALU_DEP_1)
	v_add_nc_u32_e32 v3, v1, v3
	v_lshrrev_b32_e32 v3, s14, v3
	s_delay_alu instid0(VALU_DEP_1) | instskip(NEXT) | instid1(VALU_DEP_1)
	v_mul_lo_u32 v3, v3, s12
	v_sub_nc_u32_e32 v1, v1, v3
	s_delay_alu instid0(VALU_DEP_1)
	v_mad_u32 v0, v1, s4, v0
	v_mad_u32 v20, v1, s5, v20
	v_mad_u32 v14, v1, s6, v14
	v_mad_u32 v10, v1, s7, v10
	s_branch .LBB47_2106
.LBB47_2105:
	v_dual_mov_b32 v20, 0 :: v_dual_mov_b32 v0, 0
	v_dual_mov_b32 v10, 0 :: v_dual_mov_b32 v14, 0
	s_and_not1_b32 vcc_lo, exec_lo, s6
	s_cbranch_vccz .LBB47_2103
.LBB47_2106:
	v_mov_b32_e32 v9, 0
	s_load_b128 s[4:7], s[2:3], 0x1c8
	global_load_u8 v1, v9, s[2:3] offset:491
	s_wait_kmcnt 0x0
	v_add_nc_u64_e32 v[32:33], s[6:7], v[8:9]
	s_wait_loadcnt 0x0
	v_and_b32_e32 v3, 0xffff, v1
	v_readfirstlane_b32 s13, v1
	s_delay_alu instid0(VALU_DEP_2)
	v_cmp_gt_i32_e32 vcc_lo, 11, v3
	s_cbranch_vccnz .LBB47_2113
; %bb.2107:
	s_and_b32 s0, 0xffff, s13
	s_mov_b32 s8, 0
	s_cmp_gt_i32 s0, 25
	s_cbranch_scc0 .LBB47_2115
; %bb.2108:
	s_cmp_gt_i32 s0, 28
	s_cbranch_scc0 .LBB47_2116
; %bb.2109:
	;; [unrolled: 3-line block ×4, first 2 shown]
	s_cmp_eq_u32 s0, 46
	s_mov_b32 s12, 0
	s_cbranch_scc0 .LBB47_2121
; %bb.2112:
	global_load_b32 v1, v[32:33], off
	s_mov_b32 s1, 0
	s_mov_b32 s9, -1
	s_wait_loadcnt 0x0
	v_lshlrev_b32_e32 v1, 16, v1
	s_delay_alu instid0(VALU_DEP_1)
	v_cvt_i32_f32_e32 v8, v1
	s_branch .LBB47_2123
.LBB47_2113:
	s_mov_b32 s9, 0
	s_mov_b32 s12, s10
                                        ; implicit-def: $vgpr8
	s_cbranch_execnz .LBB47_2181
.LBB47_2114:
	s_and_not1_b32 vcc_lo, exec_lo, s9
	s_cbranch_vccz .LBB47_2226
	s_branch .LBB47_4058
.LBB47_2115:
	s_mov_b32 s9, 0
	s_mov_b32 s1, 0
                                        ; implicit-def: $vgpr8
	s_cbranch_execnz .LBB47_2148
	s_branch .LBB47_2177
.LBB47_2116:
	s_mov_b32 s9, 0
	s_mov_b32 s1, 0
                                        ; implicit-def: $vgpr8
	s_cbranch_execz .LBB47_2147
	s_branch .LBB47_2132
.LBB47_2117:
	s_mov_b32 s9, 0
	s_mov_b32 s1, 0
                                        ; implicit-def: $vgpr8
	s_cbranch_execnz .LBB47_2128
	s_branch .LBB47_2131
.LBB47_2118:
	s_mov_b32 s12, -1
	s_mov_b32 s9, 0
	s_mov_b32 s1, 0
	s_branch .LBB47_2122
.LBB47_2119:
	s_and_not1_saveexec_b32 s9, s9
	s_cbranch_execz .LBB47_1974
.LBB47_2120:
	v_add_f32_e64 v2, 0x46000000, |v0|
	s_and_not1_b32 s8, s8, exec_lo
	s_delay_alu instid0(VALU_DEP_1) | instskip(NEXT) | instid1(VALU_DEP_1)
	v_and_b32_e32 v2, 0xff, v2
	v_cmp_ne_u32_e32 vcc_lo, 0, v2
	s_and_b32 s10, vcc_lo, exec_lo
	s_delay_alu instid0(SALU_CYCLE_1)
	s_or_b32 s8, s8, s10
	s_or_b32 exec_lo, exec_lo, s9
	v_mov_b32_e32 v3, 0
	s_and_saveexec_b32 s9, s8
	s_cbranch_execnz .LBB47_1975
	s_branch .LBB47_1976
.LBB47_2121:
	s_mov_b32 s1, -1
	s_mov_b32 s9, 0
.LBB47_2122:
                                        ; implicit-def: $vgpr8
.LBB47_2123:
	s_and_b32 vcc_lo, exec_lo, s12
	s_cbranch_vccz .LBB47_2126
; %bb.2124:
	s_cmp_eq_u32 s0, 44
	s_cbranch_scc0 .LBB47_2127
; %bb.2125:
	global_load_u8 v1, v[32:33], off
	s_mov_b32 s1, 0
	s_mov_b32 s9, -1
	s_wait_loadcnt 0x0
	v_lshlrev_b32_e32 v3, 23, v1
	v_cmp_ne_u32_e32 vcc_lo, 0, v1
	s_delay_alu instid0(VALU_DEP_2) | instskip(NEXT) | instid1(VALU_DEP_1)
	v_cvt_i32_f32_e32 v3, v3
	v_cndmask_b32_e32 v8, 0, v3, vcc_lo
.LBB47_2126:
	s_branch .LBB47_2131
.LBB47_2127:
	s_mov_b32 s1, -1
                                        ; implicit-def: $vgpr8
	s_branch .LBB47_2131
.LBB47_2128:
	s_cmp_eq_u32 s0, 29
	s_cbranch_scc0 .LBB47_2130
; %bb.2129:
	global_load_b64 v[8:9], v[32:33], off
	s_mov_b32 s1, 0
	s_mov_b32 s9, -1
	s_branch .LBB47_2131
.LBB47_2130:
	s_mov_b32 s1, -1
                                        ; implicit-def: $vgpr8
.LBB47_2131:
	s_branch .LBB47_2147
.LBB47_2132:
	s_cmp_lt_i32 s0, 27
	s_cbranch_scc1 .LBB47_2135
; %bb.2133:
	s_cmp_gt_i32 s0, 27
	s_cbranch_scc0 .LBB47_2136
; %bb.2134:
	s_wait_loadcnt 0x0
	global_load_b32 v8, v[32:33], off
	s_mov_b32 s9, 0
	s_branch .LBB47_2137
.LBB47_2135:
	s_mov_b32 s9, -1
                                        ; implicit-def: $vgpr8
	s_branch .LBB47_2140
.LBB47_2136:
	s_mov_b32 s9, -1
                                        ; implicit-def: $vgpr8
.LBB47_2137:
	s_delay_alu instid0(SALU_CYCLE_1)
	s_and_not1_b32 vcc_lo, exec_lo, s9
	s_cbranch_vccnz .LBB47_2139
; %bb.2138:
	s_wait_loadcnt 0x0
	global_load_u16 v8, v[32:33], off
.LBB47_2139:
	s_mov_b32 s9, 0
.LBB47_2140:
	s_delay_alu instid0(SALU_CYCLE_1)
	s_and_not1_b32 vcc_lo, exec_lo, s9
	s_cbranch_vccnz .LBB47_2146
; %bb.2141:
	global_load_u8 v1, v[32:33], off
	s_mov_b32 s12, 0
	s_mov_b32 s9, exec_lo
	s_wait_loadcnt 0x0
	v_cmpx_lt_i16_e32 0x7f, v1
	s_xor_b32 s9, exec_lo, s9
	s_cbranch_execz .LBB47_2157
; %bb.2142:
	v_cmp_ne_u16_e32 vcc_lo, 0x80, v1
	s_and_b32 s12, vcc_lo, exec_lo
	s_and_not1_saveexec_b32 s9, s9
	s_cbranch_execnz .LBB47_2158
.LBB47_2143:
	s_or_b32 exec_lo, exec_lo, s9
	v_mov_b32_e32 v8, 0
	s_and_saveexec_b32 s9, s12
	s_cbranch_execz .LBB47_2145
.LBB47_2144:
	v_and_b32_e32 v3, 0xffff, v1
	s_delay_alu instid0(VALU_DEP_1) | instskip(SKIP_1) | instid1(VALU_DEP_2)
	v_dual_lshlrev_b32 v1, 24, v1 :: v_dual_bitop2_b32 v5, 7, v3 bitop3:0x40
	v_bfe_u32 v9, v3, 3, 4
	v_and_b32_e32 v1, 0x80000000, v1
	s_delay_alu instid0(VALU_DEP_3) | instskip(NEXT) | instid1(VALU_DEP_3)
	v_clz_i32_u32_e32 v7, v5
	v_cmp_eq_u32_e32 vcc_lo, 0, v9
	s_delay_alu instid0(VALU_DEP_2) | instskip(NEXT) | instid1(VALU_DEP_1)
	v_min_u32_e32 v7, 32, v7
	v_subrev_nc_u32_e32 v8, 28, v7
	v_sub_nc_u32_e32 v7, 29, v7
	s_delay_alu instid0(VALU_DEP_2) | instskip(NEXT) | instid1(VALU_DEP_2)
	v_lshlrev_b32_e32 v3, v8, v3
	v_cndmask_b32_e32 v7, v9, v7, vcc_lo
	s_delay_alu instid0(VALU_DEP_2) | instskip(NEXT) | instid1(VALU_DEP_1)
	v_and_b32_e32 v3, 7, v3
	v_cndmask_b32_e32 v3, v5, v3, vcc_lo
	s_delay_alu instid0(VALU_DEP_3) | instskip(NEXT) | instid1(VALU_DEP_2)
	v_lshl_add_u32 v5, v7, 23, 0x3b800000
	v_lshlrev_b32_e32 v3, 20, v3
	s_delay_alu instid0(VALU_DEP_1) | instskip(NEXT) | instid1(VALU_DEP_1)
	v_or3_b32 v1, v1, v5, v3
	v_cvt_i32_f32_e32 v8, v1
.LBB47_2145:
	s_or_b32 exec_lo, exec_lo, s9
.LBB47_2146:
	s_mov_b32 s9, -1
.LBB47_2147:
	s_branch .LBB47_2177
.LBB47_2148:
	s_cmp_gt_i32 s0, 22
	s_cbranch_scc0 .LBB47_2156
; %bb.2149:
	s_cmp_lt_i32 s0, 24
	s_cbranch_scc1 .LBB47_2159
; %bb.2150:
	s_cmp_gt_i32 s0, 24
	s_cbranch_scc0 .LBB47_2160
; %bb.2151:
	global_load_u8 v1, v[32:33], off
	s_mov_b32 s9, 0
	s_mov_b32 s8, exec_lo
	s_wait_loadcnt 0x0
	v_cmpx_lt_i16_e32 0x7f, v1
	s_xor_b32 s8, exec_lo, s8
	s_cbranch_execz .LBB47_2171
; %bb.2152:
	v_cmp_ne_u16_e32 vcc_lo, 0x80, v1
	s_and_b32 s9, vcc_lo, exec_lo
	s_and_not1_saveexec_b32 s8, s8
	s_cbranch_execnz .LBB47_2172
.LBB47_2153:
	s_or_b32 exec_lo, exec_lo, s8
	v_mov_b32_e32 v8, 0
	s_and_saveexec_b32 s8, s9
	s_cbranch_execz .LBB47_2155
.LBB47_2154:
	v_and_b32_e32 v3, 0xffff, v1
	s_delay_alu instid0(VALU_DEP_1) | instskip(SKIP_1) | instid1(VALU_DEP_2)
	v_dual_lshlrev_b32 v1, 24, v1 :: v_dual_bitop2_b32 v5, 3, v3 bitop3:0x40
	v_bfe_u32 v9, v3, 2, 5
	v_and_b32_e32 v1, 0x80000000, v1
	s_delay_alu instid0(VALU_DEP_3) | instskip(NEXT) | instid1(VALU_DEP_3)
	v_clz_i32_u32_e32 v7, v5
	v_cmp_eq_u32_e32 vcc_lo, 0, v9
	s_delay_alu instid0(VALU_DEP_2) | instskip(NEXT) | instid1(VALU_DEP_1)
	v_min_u32_e32 v7, 32, v7
	v_subrev_nc_u32_e32 v8, 29, v7
	v_sub_nc_u32_e32 v7, 30, v7
	s_delay_alu instid0(VALU_DEP_2) | instskip(NEXT) | instid1(VALU_DEP_2)
	v_lshlrev_b32_e32 v3, v8, v3
	v_cndmask_b32_e32 v7, v9, v7, vcc_lo
	s_delay_alu instid0(VALU_DEP_2) | instskip(NEXT) | instid1(VALU_DEP_1)
	v_and_b32_e32 v3, 3, v3
	v_cndmask_b32_e32 v3, v5, v3, vcc_lo
	s_delay_alu instid0(VALU_DEP_3) | instskip(NEXT) | instid1(VALU_DEP_2)
	v_lshl_add_u32 v5, v7, 23, 0x37800000
	v_lshlrev_b32_e32 v3, 21, v3
	s_delay_alu instid0(VALU_DEP_1) | instskip(NEXT) | instid1(VALU_DEP_1)
	v_or3_b32 v1, v1, v5, v3
	v_cvt_i32_f32_e32 v8, v1
.LBB47_2155:
	s_or_b32 exec_lo, exec_lo, s8
	s_mov_b32 s8, 0
	s_branch .LBB47_2161
.LBB47_2156:
                                        ; implicit-def: $vgpr8
	s_mov_b32 s8, 0
	s_branch .LBB47_2167
.LBB47_2157:
	s_and_not1_saveexec_b32 s9, s9
	s_cbranch_execz .LBB47_2143
.LBB47_2158:
	v_cmp_ne_u16_e32 vcc_lo, 0, v1
	s_and_not1_b32 s12, s12, exec_lo
	s_and_b32 s14, vcc_lo, exec_lo
	s_delay_alu instid0(SALU_CYCLE_1)
	s_or_b32 s12, s12, s14
	s_or_b32 exec_lo, exec_lo, s9
	v_mov_b32_e32 v8, 0
	s_and_saveexec_b32 s9, s12
	s_cbranch_execnz .LBB47_2144
	s_branch .LBB47_2145
.LBB47_2159:
	s_mov_b32 s8, -1
                                        ; implicit-def: $vgpr8
	s_branch .LBB47_2164
.LBB47_2160:
	s_mov_b32 s8, -1
                                        ; implicit-def: $vgpr8
.LBB47_2161:
	s_delay_alu instid0(SALU_CYCLE_1)
	s_and_b32 vcc_lo, exec_lo, s8
	s_cbranch_vccz .LBB47_2163
; %bb.2162:
	global_load_u8 v1, v[32:33], off
	s_wait_loadcnt 0x0
	v_lshlrev_b32_e32 v1, 24, v1
	s_delay_alu instid0(VALU_DEP_1) | instskip(NEXT) | instid1(VALU_DEP_1)
	v_and_b32_e32 v3, 0x7f000000, v1
	v_clz_i32_u32_e32 v5, v3
	v_cmp_ne_u32_e32 vcc_lo, 0, v3
	v_add_nc_u32_e32 v8, 0x1000000, v3
	s_delay_alu instid0(VALU_DEP_3) | instskip(NEXT) | instid1(VALU_DEP_1)
	v_min_u32_e32 v5, 32, v5
	v_sub_nc_u32_e64 v5, v5, 4 clamp
	s_delay_alu instid0(VALU_DEP_1) | instskip(NEXT) | instid1(VALU_DEP_1)
	v_dual_lshlrev_b32 v7, v5, v3 :: v_dual_lshlrev_b32 v5, 23, v5
	v_lshrrev_b32_e32 v7, 4, v7
	s_delay_alu instid0(VALU_DEP_1) | instskip(NEXT) | instid1(VALU_DEP_1)
	v_dual_sub_nc_u32 v5, v7, v5 :: v_dual_ashrrev_i32 v7, 8, v8
	v_add_nc_u32_e32 v5, 0x3c000000, v5
	s_delay_alu instid0(VALU_DEP_1) | instskip(NEXT) | instid1(VALU_DEP_1)
	v_and_or_b32 v5, 0x7f800000, v7, v5
	v_cndmask_b32_e32 v3, 0, v5, vcc_lo
	s_delay_alu instid0(VALU_DEP_1) | instskip(NEXT) | instid1(VALU_DEP_1)
	v_and_or_b32 v1, 0x80000000, v1, v3
	v_cvt_i32_f32_e32 v8, v1
.LBB47_2163:
	s_mov_b32 s8, 0
.LBB47_2164:
	s_delay_alu instid0(SALU_CYCLE_1)
	s_and_not1_b32 vcc_lo, exec_lo, s8
	s_cbranch_vccnz .LBB47_2166
; %bb.2165:
	global_load_u8 v1, v[32:33], off
	s_wait_loadcnt 0x0
	v_lshlrev_b32_e32 v3, 25, v1
	v_lshlrev_b16 v1, 8, v1
	s_delay_alu instid0(VALU_DEP_1) | instskip(SKIP_1) | instid1(VALU_DEP_2)
	v_and_or_b32 v7, 0x7f00, v1, 0.5
	v_bfe_i32 v1, v1, 0, 16
	v_add_f32_e32 v7, -0.5, v7
	v_lshrrev_b32_e32 v5, 4, v3
	v_cmp_gt_u32_e32 vcc_lo, 0x8000000, v3
	s_delay_alu instid0(VALU_DEP_2) | instskip(NEXT) | instid1(VALU_DEP_1)
	v_or_b32_e32 v5, 0x70000000, v5
	v_mul_f32_e32 v5, 0x7800000, v5
	s_delay_alu instid0(VALU_DEP_1) | instskip(NEXT) | instid1(VALU_DEP_1)
	v_cndmask_b32_e32 v3, v5, v7, vcc_lo
	v_and_or_b32 v1, 0x80000000, v1, v3
	s_delay_alu instid0(VALU_DEP_1)
	v_cvt_i32_f32_e32 v8, v1
.LBB47_2166:
	s_mov_b32 s9, -1
	s_mov_b32 s8, 0
	s_cbranch_execnz .LBB47_2177
.LBB47_2167:
	s_cmp_gt_i32 s0, 14
	s_cbranch_scc0 .LBB47_2170
; %bb.2168:
	s_cmp_eq_u32 s0, 15
	s_cbranch_scc0 .LBB47_2173
; %bb.2169:
	global_load_u16 v1, v[32:33], off
	s_mov_b32 s1, 0
	s_mov_b32 s9, -1
	s_wait_loadcnt 0x0
	v_lshlrev_b32_e32 v1, 16, v1
	s_delay_alu instid0(VALU_DEP_1)
	v_cvt_i32_f32_e32 v8, v1
	s_branch .LBB47_2175
.LBB47_2170:
	s_mov_b32 s8, -1
	s_branch .LBB47_2174
.LBB47_2171:
	s_and_not1_saveexec_b32 s8, s8
	s_cbranch_execz .LBB47_2153
.LBB47_2172:
	v_cmp_ne_u16_e32 vcc_lo, 0, v1
	s_and_not1_b32 s9, s9, exec_lo
	s_and_b32 s12, vcc_lo, exec_lo
	s_delay_alu instid0(SALU_CYCLE_1)
	s_or_b32 s9, s9, s12
	s_or_b32 exec_lo, exec_lo, s8
	v_mov_b32_e32 v8, 0
	s_and_saveexec_b32 s8, s9
	s_cbranch_execnz .LBB47_2154
	s_branch .LBB47_2155
.LBB47_2173:
	s_mov_b32 s1, -1
.LBB47_2174:
                                        ; implicit-def: $vgpr8
.LBB47_2175:
	s_and_b32 vcc_lo, exec_lo, s8
	s_mov_b32 s8, 0
	s_cbranch_vccz .LBB47_2177
; %bb.2176:
	s_cmp_lg_u32 s0, 11
	s_mov_b32 s8, -1
	s_cselect_b32 s1, -1, 0
.LBB47_2177:
	s_delay_alu instid0(SALU_CYCLE_1)
	s_and_b32 vcc_lo, exec_lo, s1
	s_mov_b32 s12, s10
	s_cbranch_vccnz .LBB47_2238
; %bb.2178:
	s_and_not1_b32 vcc_lo, exec_lo, s8
	s_cbranch_vccnz .LBB47_2180
.LBB47_2179:
	global_load_u8 v1, v[32:33], off
	s_mov_b32 s9, -1
	s_wait_loadcnt 0x0
	v_cmp_ne_u16_e32 vcc_lo, 0, v1
	v_cndmask_b32_e64 v8, 0, 1, vcc_lo
.LBB47_2180:
	s_branch .LBB47_2114
.LBB47_2181:
	s_and_b32 s0, 0xffff, s13
	s_delay_alu instid0(SALU_CYCLE_1)
	s_cmp_lt_i32 s0, 5
	s_cbranch_scc1 .LBB47_2186
; %bb.2182:
	s_cmp_lt_i32 s0, 8
	s_cbranch_scc1 .LBB47_2187
; %bb.2183:
	;; [unrolled: 3-line block ×3, first 2 shown]
	s_cmp_gt_i32 s0, 9
	s_cbranch_scc0 .LBB47_2189
; %bb.2185:
	s_wait_loadcnt 0x0
	global_load_b64 v[8:9], v[32:33], off
	s_mov_b32 s1, 0
	s_wait_loadcnt 0x0
	v_cvt_i32_f64_e32 v8, v[8:9]
	s_branch .LBB47_2190
.LBB47_2186:
                                        ; implicit-def: $vgpr8
	s_branch .LBB47_2207
.LBB47_2187:
                                        ; implicit-def: $vgpr8
	s_branch .LBB47_2196
.LBB47_2188:
	s_mov_b32 s1, -1
                                        ; implicit-def: $vgpr8
	s_branch .LBB47_2193
.LBB47_2189:
	s_mov_b32 s1, -1
                                        ; implicit-def: $vgpr8
.LBB47_2190:
	s_delay_alu instid0(SALU_CYCLE_1)
	s_and_not1_b32 vcc_lo, exec_lo, s1
	s_cbranch_vccnz .LBB47_2192
; %bb.2191:
	global_load_b32 v1, v[32:33], off
	s_wait_loadcnt 0x0
	v_cvt_i32_f32_e32 v8, v1
.LBB47_2192:
	s_mov_b32 s1, 0
.LBB47_2193:
	s_delay_alu instid0(SALU_CYCLE_1)
	s_and_not1_b32 vcc_lo, exec_lo, s1
	s_cbranch_vccnz .LBB47_2195
; %bb.2194:
	global_load_b32 v1, v[32:33], off
	s_wait_loadcnt 0x0
	v_cvt_i16_f16_e32 v8, v1
.LBB47_2195:
	s_cbranch_execnz .LBB47_2206
.LBB47_2196:
	s_cmp_lt_i32 s0, 6
	s_cbranch_scc1 .LBB47_2199
; %bb.2197:
	s_cmp_gt_i32 s0, 6
	s_cbranch_scc0 .LBB47_2200
; %bb.2198:
	s_wait_loadcnt 0x0
	global_load_b64 v[8:9], v[32:33], off
	s_mov_b32 s1, 0
	s_wait_loadcnt 0x0
	v_cvt_i32_f64_e32 v8, v[8:9]
	s_branch .LBB47_2201
.LBB47_2199:
	s_mov_b32 s1, -1
                                        ; implicit-def: $vgpr8
	s_branch .LBB47_2204
.LBB47_2200:
	s_mov_b32 s1, -1
                                        ; implicit-def: $vgpr8
.LBB47_2201:
	s_delay_alu instid0(SALU_CYCLE_1)
	s_and_not1_b32 vcc_lo, exec_lo, s1
	s_cbranch_vccnz .LBB47_2203
; %bb.2202:
	global_load_b32 v1, v[32:33], off
	s_wait_loadcnt 0x0
	v_cvt_i32_f32_e32 v8, v1
.LBB47_2203:
	s_mov_b32 s1, 0
.LBB47_2204:
	s_delay_alu instid0(SALU_CYCLE_1)
	s_and_not1_b32 vcc_lo, exec_lo, s1
	s_cbranch_vccnz .LBB47_2206
; %bb.2205:
	global_load_u16 v1, v[32:33], off
	s_wait_loadcnt 0x0
	v_cvt_i16_f16_e32 v8, v1
.LBB47_2206:
	s_cbranch_execnz .LBB47_2225
.LBB47_2207:
	s_cmp_lt_i32 s0, 2
	s_cbranch_scc1 .LBB47_2211
; %bb.2208:
	s_cmp_lt_i32 s0, 3
	s_cbranch_scc1 .LBB47_2212
; %bb.2209:
	s_cmp_gt_i32 s0, 3
	s_cbranch_scc0 .LBB47_2213
; %bb.2210:
	s_wait_loadcnt 0x0
	global_load_b64 v[8:9], v[32:33], off
	s_mov_b32 s1, 0
	s_branch .LBB47_2214
.LBB47_2211:
                                        ; implicit-def: $vgpr8
	s_branch .LBB47_2220
.LBB47_2212:
	s_mov_b32 s1, -1
                                        ; implicit-def: $vgpr8
	s_branch .LBB47_2217
.LBB47_2213:
	s_mov_b32 s1, -1
                                        ; implicit-def: $vgpr8
.LBB47_2214:
	s_delay_alu instid0(SALU_CYCLE_1)
	s_and_not1_b32 vcc_lo, exec_lo, s1
	s_cbranch_vccnz .LBB47_2216
; %bb.2215:
	s_wait_loadcnt 0x0
	global_load_b32 v8, v[32:33], off
.LBB47_2216:
	s_mov_b32 s1, 0
.LBB47_2217:
	s_delay_alu instid0(SALU_CYCLE_1)
	s_and_not1_b32 vcc_lo, exec_lo, s1
	s_cbranch_vccnz .LBB47_2219
; %bb.2218:
	s_wait_loadcnt 0x0
	global_load_u16 v8, v[32:33], off
.LBB47_2219:
	s_cbranch_execnz .LBB47_2225
.LBB47_2220:
	s_cmp_gt_i32 s0, 0
	s_mov_b32 s0, 0
	s_cbranch_scc0 .LBB47_2222
; %bb.2221:
	s_wait_loadcnt 0x0
	global_load_u8 v8, v[32:33], off
	s_branch .LBB47_2223
.LBB47_2222:
	s_mov_b32 s0, -1
                                        ; implicit-def: $vgpr8
.LBB47_2223:
	s_delay_alu instid0(SALU_CYCLE_1)
	s_and_not1_b32 vcc_lo, exec_lo, s0
	s_cbranch_vccnz .LBB47_2225
; %bb.2224:
	s_wait_loadcnt 0x0
	global_load_u8 v8, v[32:33], off
.LBB47_2225:
.LBB47_2226:
	s_clause 0x1
	s_load_b64 s[0:1], s[2:3], 0x1d8
	s_load_b32 s8, s[2:3], 0x1ec
	v_mov_b32_e32 v13, 0
	s_wait_kmcnt 0x0
	s_delay_alu instid0(VALU_DEP_1) | instskip(SKIP_1) | instid1(SALU_CYCLE_1)
	v_add_nc_u64_e32 v[32:33], s[0:1], v[12:13]
	s_and_b32 s14, s8, 0xff
	s_cmp_lt_i32 s14, 11
	s_cbranch_scc1 .LBB47_2233
; %bb.2227:
	s_and_b32 s8, 0xffff, s14
	s_mov_b32 s15, 0
	s_cmp_gt_i32 s8, 25
	s_cbranch_scc0 .LBB47_2235
; %bb.2228:
	s_cmp_gt_i32 s8, 28
	s_cbranch_scc0 .LBB47_2236
; %bb.2229:
	;; [unrolled: 3-line block ×4, first 2 shown]
	s_cmp_eq_u32 s8, 46
	s_mov_b32 s17, 0
	s_cbranch_scc0 .LBB47_2242
; %bb.2232:
	global_load_b32 v1, v[32:33], off
	s_mov_b32 s9, 0
	s_mov_b32 s16, -1
	s_wait_loadcnt 0x0
	v_lshlrev_b32_e32 v1, 16, v1
	s_delay_alu instid0(VALU_DEP_1)
	v_cvt_i32_f32_e32 v12, v1
	s_branch .LBB47_2244
.LBB47_2233:
	s_mov_b32 s16, 0
                                        ; implicit-def: $vgpr12
	s_cbranch_execnz .LBB47_2305
.LBB47_2234:
	s_and_not1_b32 vcc_lo, exec_lo, s16
	s_cbranch_vccnz .LBB47_4058
	s_branch .LBB47_2352
.LBB47_2235:
	s_mov_b32 s16, 0
	s_mov_b32 s9, 0
                                        ; implicit-def: $vgpr12
	s_cbranch_execnz .LBB47_2271
	s_branch .LBB47_2301
.LBB47_2236:
	s_mov_b32 s17, -1
	s_mov_b32 s16, 0
	s_mov_b32 s9, 0
                                        ; implicit-def: $vgpr12
	s_branch .LBB47_2254
.LBB47_2237:
	s_mov_b32 s17, -1
	s_mov_b32 s16, 0
	s_mov_b32 s9, 0
                                        ; implicit-def: $vgpr12
	s_branch .LBB47_2249
.LBB47_2238:
	s_or_b32 s12, s10, exec_lo
	s_trap 2
	s_cbranch_execz .LBB47_2179
	s_branch .LBB47_2180
.LBB47_2239:
	s_mov_b32 s17, -1
	s_mov_b32 s16, 0
	s_mov_b32 s9, 0
	s_branch .LBB47_2243
.LBB47_2240:
	s_and_not1_saveexec_b32 s10, s10
	s_cbranch_execz .LBB47_1986
.LBB47_2241:
	v_add_f32_e64 v2, 0x42800000, |v0|
	s_and_not1_b32 s9, s9, exec_lo
	s_delay_alu instid0(VALU_DEP_1) | instskip(NEXT) | instid1(VALU_DEP_1)
	v_and_b32_e32 v2, 0xff, v2
	v_cmp_ne_u32_e32 vcc_lo, 0, v2
	s_and_b32 s11, vcc_lo, exec_lo
	s_delay_alu instid0(SALU_CYCLE_1)
	s_or_b32 s9, s9, s11
	s_or_b32 exec_lo, exec_lo, s10
	v_mov_b32_e32 v3, 0
	s_and_saveexec_b32 s10, s9
	s_cbranch_execnz .LBB47_1987
	s_branch .LBB47_1988
.LBB47_2242:
	s_mov_b32 s9, -1
	s_mov_b32 s16, 0
.LBB47_2243:
                                        ; implicit-def: $vgpr12
.LBB47_2244:
	s_and_b32 vcc_lo, exec_lo, s17
	s_cbranch_vccz .LBB47_2248
; %bb.2245:
	s_cmp_eq_u32 s8, 44
	s_cbranch_scc0 .LBB47_2247
; %bb.2246:
	global_load_u8 v1, v[32:33], off
	s_mov_b32 s9, 0
	s_mov_b32 s16, -1
	s_wait_loadcnt 0x0
	v_lshlrev_b32_e32 v3, 23, v1
	v_cmp_ne_u32_e32 vcc_lo, 0, v1
	s_delay_alu instid0(VALU_DEP_2) | instskip(NEXT) | instid1(VALU_DEP_1)
	v_cvt_i32_f32_e32 v3, v3
	v_cndmask_b32_e32 v12, 0, v3, vcc_lo
	s_branch .LBB47_2248
.LBB47_2247:
	s_mov_b32 s9, -1
                                        ; implicit-def: $vgpr12
.LBB47_2248:
	s_mov_b32 s17, 0
.LBB47_2249:
	s_delay_alu instid0(SALU_CYCLE_1)
	s_and_b32 vcc_lo, exec_lo, s17
	s_cbranch_vccz .LBB47_2253
; %bb.2250:
	s_cmp_eq_u32 s8, 29
	s_cbranch_scc0 .LBB47_2252
; %bb.2251:
	global_load_b64 v[12:13], v[32:33], off
	s_mov_b32 s9, 0
	s_mov_b32 s16, -1
	s_branch .LBB47_2253
.LBB47_2252:
	s_mov_b32 s9, -1
                                        ; implicit-def: $vgpr12
.LBB47_2253:
	s_mov_b32 s17, 0
.LBB47_2254:
	s_delay_alu instid0(SALU_CYCLE_1)
	s_and_b32 vcc_lo, exec_lo, s17
	s_cbranch_vccz .LBB47_2270
; %bb.2255:
	s_cmp_lt_i32 s8, 27
	s_cbranch_scc1 .LBB47_2258
; %bb.2256:
	s_cmp_gt_i32 s8, 27
	s_cbranch_scc0 .LBB47_2259
; %bb.2257:
	s_wait_loadcnt 0x0
	global_load_b32 v12, v[32:33], off
	s_mov_b32 s16, 0
	s_branch .LBB47_2260
.LBB47_2258:
	s_mov_b32 s16, -1
                                        ; implicit-def: $vgpr12
	s_branch .LBB47_2263
.LBB47_2259:
	s_mov_b32 s16, -1
                                        ; implicit-def: $vgpr12
.LBB47_2260:
	s_delay_alu instid0(SALU_CYCLE_1)
	s_and_not1_b32 vcc_lo, exec_lo, s16
	s_cbranch_vccnz .LBB47_2262
; %bb.2261:
	s_wait_loadcnt 0x0
	global_load_u16 v12, v[32:33], off
.LBB47_2262:
	s_mov_b32 s16, 0
.LBB47_2263:
	s_delay_alu instid0(SALU_CYCLE_1)
	s_and_not1_b32 vcc_lo, exec_lo, s16
	s_cbranch_vccnz .LBB47_2269
; %bb.2264:
	global_load_u8 v1, v[32:33], off
	s_mov_b32 s17, 0
	s_mov_b32 s16, exec_lo
	s_wait_loadcnt 0x0
	v_cmpx_lt_i16_e32 0x7f, v1
	s_xor_b32 s16, exec_lo, s16
	s_cbranch_execz .LBB47_2280
; %bb.2265:
	v_cmp_ne_u16_e32 vcc_lo, 0x80, v1
	s_and_b32 s17, vcc_lo, exec_lo
	s_and_not1_saveexec_b32 s16, s16
	s_cbranch_execnz .LBB47_2281
.LBB47_2266:
	s_or_b32 exec_lo, exec_lo, s16
	v_mov_b32_e32 v12, 0
	s_and_saveexec_b32 s16, s17
	s_cbranch_execz .LBB47_2268
.LBB47_2267:
	v_and_b32_e32 v3, 0xffff, v1
	s_delay_alu instid0(VALU_DEP_1) | instskip(SKIP_1) | instid1(VALU_DEP_2)
	v_dual_lshlrev_b32 v1, 24, v1 :: v_dual_bitop2_b32 v5, 7, v3 bitop3:0x40
	v_bfe_u32 v11, v3, 3, 4
	v_and_b32_e32 v1, 0x80000000, v1
	s_delay_alu instid0(VALU_DEP_3) | instskip(NEXT) | instid1(VALU_DEP_3)
	v_clz_i32_u32_e32 v7, v5
	v_cmp_eq_u32_e32 vcc_lo, 0, v11
	s_delay_alu instid0(VALU_DEP_2) | instskip(NEXT) | instid1(VALU_DEP_1)
	v_min_u32_e32 v7, 32, v7
	v_subrev_nc_u32_e32 v9, 28, v7
	v_sub_nc_u32_e32 v7, 29, v7
	s_delay_alu instid0(VALU_DEP_2) | instskip(NEXT) | instid1(VALU_DEP_2)
	v_lshlrev_b32_e32 v3, v9, v3
	v_cndmask_b32_e32 v7, v11, v7, vcc_lo
	s_delay_alu instid0(VALU_DEP_2) | instskip(NEXT) | instid1(VALU_DEP_1)
	v_and_b32_e32 v3, 7, v3
	v_cndmask_b32_e32 v3, v5, v3, vcc_lo
	s_delay_alu instid0(VALU_DEP_3) | instskip(NEXT) | instid1(VALU_DEP_2)
	v_lshl_add_u32 v5, v7, 23, 0x3b800000
	v_lshlrev_b32_e32 v3, 20, v3
	s_delay_alu instid0(VALU_DEP_1) | instskip(NEXT) | instid1(VALU_DEP_1)
	v_or3_b32 v1, v1, v5, v3
	v_cvt_i32_f32_e32 v12, v1
.LBB47_2268:
	s_or_b32 exec_lo, exec_lo, s16
.LBB47_2269:
	s_mov_b32 s16, -1
.LBB47_2270:
	s_branch .LBB47_2301
.LBB47_2271:
	s_cmp_gt_i32 s8, 22
	s_cbranch_scc0 .LBB47_2279
; %bb.2272:
	s_cmp_lt_i32 s8, 24
	s_cbranch_scc1 .LBB47_2282
; %bb.2273:
	s_cmp_gt_i32 s8, 24
	s_cbranch_scc0 .LBB47_2283
; %bb.2274:
	global_load_u8 v1, v[32:33], off
	s_mov_b32 s16, 0
	s_mov_b32 s15, exec_lo
	s_wait_loadcnt 0x0
	v_cmpx_lt_i16_e32 0x7f, v1
	s_xor_b32 s15, exec_lo, s15
	s_cbranch_execz .LBB47_2295
; %bb.2275:
	v_cmp_ne_u16_e32 vcc_lo, 0x80, v1
	s_and_b32 s16, vcc_lo, exec_lo
	s_and_not1_saveexec_b32 s15, s15
	s_cbranch_execnz .LBB47_2296
.LBB47_2276:
	s_or_b32 exec_lo, exec_lo, s15
	v_mov_b32_e32 v12, 0
	s_and_saveexec_b32 s15, s16
	s_cbranch_execz .LBB47_2278
.LBB47_2277:
	v_and_b32_e32 v3, 0xffff, v1
	s_delay_alu instid0(VALU_DEP_1) | instskip(SKIP_1) | instid1(VALU_DEP_2)
	v_dual_lshlrev_b32 v1, 24, v1 :: v_dual_bitop2_b32 v5, 3, v3 bitop3:0x40
	v_bfe_u32 v11, v3, 2, 5
	v_and_b32_e32 v1, 0x80000000, v1
	s_delay_alu instid0(VALU_DEP_3) | instskip(NEXT) | instid1(VALU_DEP_3)
	v_clz_i32_u32_e32 v7, v5
	v_cmp_eq_u32_e32 vcc_lo, 0, v11
	s_delay_alu instid0(VALU_DEP_2) | instskip(NEXT) | instid1(VALU_DEP_1)
	v_min_u32_e32 v7, 32, v7
	v_subrev_nc_u32_e32 v9, 29, v7
	v_sub_nc_u32_e32 v7, 30, v7
	s_delay_alu instid0(VALU_DEP_2) | instskip(NEXT) | instid1(VALU_DEP_2)
	v_lshlrev_b32_e32 v3, v9, v3
	v_cndmask_b32_e32 v7, v11, v7, vcc_lo
	s_delay_alu instid0(VALU_DEP_2) | instskip(NEXT) | instid1(VALU_DEP_1)
	v_and_b32_e32 v3, 3, v3
	v_cndmask_b32_e32 v3, v5, v3, vcc_lo
	s_delay_alu instid0(VALU_DEP_3) | instskip(NEXT) | instid1(VALU_DEP_2)
	v_lshl_add_u32 v5, v7, 23, 0x37800000
	v_lshlrev_b32_e32 v3, 21, v3
	s_delay_alu instid0(VALU_DEP_1) | instskip(NEXT) | instid1(VALU_DEP_1)
	v_or3_b32 v1, v1, v5, v3
	v_cvt_i32_f32_e32 v12, v1
.LBB47_2278:
	s_or_b32 exec_lo, exec_lo, s15
	s_mov_b32 s15, 0
	s_branch .LBB47_2284
.LBB47_2279:
	s_mov_b32 s15, -1
                                        ; implicit-def: $vgpr12
	s_branch .LBB47_2290
.LBB47_2280:
	s_and_not1_saveexec_b32 s16, s16
	s_cbranch_execz .LBB47_2266
.LBB47_2281:
	v_cmp_ne_u16_e32 vcc_lo, 0, v1
	s_and_not1_b32 s17, s17, exec_lo
	s_and_b32 s18, vcc_lo, exec_lo
	s_delay_alu instid0(SALU_CYCLE_1)
	s_or_b32 s17, s17, s18
	s_or_b32 exec_lo, exec_lo, s16
	v_mov_b32_e32 v12, 0
	s_and_saveexec_b32 s16, s17
	s_cbranch_execnz .LBB47_2267
	s_branch .LBB47_2268
.LBB47_2282:
	s_mov_b32 s15, -1
                                        ; implicit-def: $vgpr12
	s_branch .LBB47_2287
.LBB47_2283:
	s_mov_b32 s15, -1
                                        ; implicit-def: $vgpr12
.LBB47_2284:
	s_delay_alu instid0(SALU_CYCLE_1)
	s_and_b32 vcc_lo, exec_lo, s15
	s_cbranch_vccz .LBB47_2286
; %bb.2285:
	global_load_u8 v1, v[32:33], off
	s_wait_loadcnt 0x0
	v_lshlrev_b32_e32 v1, 24, v1
	s_delay_alu instid0(VALU_DEP_1) | instskip(NEXT) | instid1(VALU_DEP_1)
	v_and_b32_e32 v3, 0x7f000000, v1
	v_clz_i32_u32_e32 v5, v3
	v_add_nc_u32_e32 v9, 0x1000000, v3
	v_cmp_ne_u32_e32 vcc_lo, 0, v3
	s_delay_alu instid0(VALU_DEP_3) | instskip(NEXT) | instid1(VALU_DEP_1)
	v_min_u32_e32 v5, 32, v5
	v_sub_nc_u32_e64 v5, v5, 4 clamp
	s_delay_alu instid0(VALU_DEP_1) | instskip(NEXT) | instid1(VALU_DEP_1)
	v_dual_lshlrev_b32 v7, v5, v3 :: v_dual_lshlrev_b32 v5, 23, v5
	v_lshrrev_b32_e32 v7, 4, v7
	s_delay_alu instid0(VALU_DEP_1) | instskip(SKIP_1) | instid1(VALU_DEP_2)
	v_sub_nc_u32_e32 v5, v7, v5
	v_ashrrev_i32_e32 v7, 8, v9
	v_add_nc_u32_e32 v5, 0x3c000000, v5
	s_delay_alu instid0(VALU_DEP_1) | instskip(NEXT) | instid1(VALU_DEP_1)
	v_and_or_b32 v5, 0x7f800000, v7, v5
	v_cndmask_b32_e32 v3, 0, v5, vcc_lo
	s_delay_alu instid0(VALU_DEP_1) | instskip(NEXT) | instid1(VALU_DEP_1)
	v_and_or_b32 v1, 0x80000000, v1, v3
	v_cvt_i32_f32_e32 v12, v1
.LBB47_2286:
	s_mov_b32 s15, 0
.LBB47_2287:
	s_delay_alu instid0(SALU_CYCLE_1)
	s_and_not1_b32 vcc_lo, exec_lo, s15
	s_cbranch_vccnz .LBB47_2289
; %bb.2288:
	global_load_u8 v1, v[32:33], off
	s_wait_loadcnt 0x0
	v_lshlrev_b32_e32 v3, 25, v1
	v_lshlrev_b16 v1, 8, v1
	s_delay_alu instid0(VALU_DEP_1) | instskip(SKIP_1) | instid1(VALU_DEP_2)
	v_and_or_b32 v7, 0x7f00, v1, 0.5
	v_bfe_i32 v1, v1, 0, 16
	v_add_f32_e32 v7, -0.5, v7
	v_lshrrev_b32_e32 v5, 4, v3
	v_cmp_gt_u32_e32 vcc_lo, 0x8000000, v3
	s_delay_alu instid0(VALU_DEP_2) | instskip(NEXT) | instid1(VALU_DEP_1)
	v_or_b32_e32 v5, 0x70000000, v5
	v_mul_f32_e32 v5, 0x7800000, v5
	s_delay_alu instid0(VALU_DEP_1) | instskip(NEXT) | instid1(VALU_DEP_1)
	v_cndmask_b32_e32 v3, v5, v7, vcc_lo
	v_and_or_b32 v1, 0x80000000, v1, v3
	s_delay_alu instid0(VALU_DEP_1)
	v_cvt_i32_f32_e32 v12, v1
.LBB47_2289:
	s_mov_b32 s15, 0
	s_mov_b32 s16, -1
.LBB47_2290:
	s_and_not1_b32 vcc_lo, exec_lo, s15
	s_mov_b32 s15, 0
	s_cbranch_vccnz .LBB47_2301
; %bb.2291:
	s_cmp_gt_i32 s8, 14
	s_cbranch_scc0 .LBB47_2294
; %bb.2292:
	s_cmp_eq_u32 s8, 15
	s_cbranch_scc0 .LBB47_2297
; %bb.2293:
	global_load_u16 v1, v[32:33], off
	s_mov_b32 s9, 0
	s_mov_b32 s16, -1
	s_wait_loadcnt 0x0
	v_lshlrev_b32_e32 v1, 16, v1
	s_delay_alu instid0(VALU_DEP_1)
	v_cvt_i32_f32_e32 v12, v1
	s_branch .LBB47_2299
.LBB47_2294:
	s_mov_b32 s15, -1
	s_branch .LBB47_2298
.LBB47_2295:
	s_and_not1_saveexec_b32 s15, s15
	s_cbranch_execz .LBB47_2276
.LBB47_2296:
	v_cmp_ne_u16_e32 vcc_lo, 0, v1
	s_and_not1_b32 s16, s16, exec_lo
	s_and_b32 s17, vcc_lo, exec_lo
	s_delay_alu instid0(SALU_CYCLE_1)
	s_or_b32 s16, s16, s17
	s_or_b32 exec_lo, exec_lo, s15
	v_mov_b32_e32 v12, 0
	s_and_saveexec_b32 s15, s16
	s_cbranch_execnz .LBB47_2277
	s_branch .LBB47_2278
.LBB47_2297:
	s_mov_b32 s9, -1
.LBB47_2298:
                                        ; implicit-def: $vgpr12
.LBB47_2299:
	s_and_b32 vcc_lo, exec_lo, s15
	s_mov_b32 s15, 0
	s_cbranch_vccz .LBB47_2301
; %bb.2300:
	s_cmp_lg_u32 s8, 11
	s_mov_b32 s15, -1
	s_cselect_b32 s9, -1, 0
.LBB47_2301:
	s_delay_alu instid0(SALU_CYCLE_1)
	s_and_b32 vcc_lo, exec_lo, s9
	s_cbranch_vccnz .LBB47_2364
; %bb.2302:
	s_and_not1_b32 vcc_lo, exec_lo, s15
	s_cbranch_vccnz .LBB47_2304
.LBB47_2303:
	global_load_u8 v1, v[32:33], off
	s_mov_b32 s16, -1
	s_wait_loadcnt 0x0
	v_cmp_ne_u16_e32 vcc_lo, 0, v1
	v_cndmask_b32_e64 v12, 0, 1, vcc_lo
.LBB47_2304:
	s_branch .LBB47_2234
.LBB47_2305:
	s_and_b32 s8, 0xffff, s14
	s_delay_alu instid0(SALU_CYCLE_1)
	s_cmp_lt_i32 s8, 5
	s_cbranch_scc1 .LBB47_2310
; %bb.2306:
	s_cmp_lt_i32 s8, 8
	s_cbranch_scc1 .LBB47_2311
; %bb.2307:
	s_cmp_lt_i32 s8, 9
	s_cbranch_scc1 .LBB47_2312
; %bb.2308:
	s_cmp_gt_i32 s8, 9
	s_cbranch_scc0 .LBB47_2313
; %bb.2309:
	s_wait_loadcnt 0x0
	global_load_b64 v[12:13], v[32:33], off
	s_mov_b32 s9, 0
	s_wait_loadcnt 0x0
	v_cvt_i32_f64_e32 v12, v[12:13]
	s_branch .LBB47_2314
.LBB47_2310:
                                        ; implicit-def: $vgpr12
	s_branch .LBB47_2332
.LBB47_2311:
	s_mov_b32 s9, -1
                                        ; implicit-def: $vgpr12
	s_branch .LBB47_2320
.LBB47_2312:
	s_mov_b32 s9, -1
                                        ; implicit-def: $vgpr12
	s_branch .LBB47_2317
.LBB47_2313:
	s_mov_b32 s9, -1
                                        ; implicit-def: $vgpr12
.LBB47_2314:
	s_delay_alu instid0(SALU_CYCLE_1)
	s_and_not1_b32 vcc_lo, exec_lo, s9
	s_cbranch_vccnz .LBB47_2316
; %bb.2315:
	global_load_b32 v1, v[32:33], off
	s_wait_loadcnt 0x0
	v_cvt_i32_f32_e32 v12, v1
.LBB47_2316:
	s_mov_b32 s9, 0
.LBB47_2317:
	s_delay_alu instid0(SALU_CYCLE_1)
	s_and_not1_b32 vcc_lo, exec_lo, s9
	s_cbranch_vccnz .LBB47_2319
; %bb.2318:
	global_load_b32 v1, v[32:33], off
	s_wait_loadcnt 0x0
	v_cvt_i16_f16_e32 v12, v1
.LBB47_2319:
	s_mov_b32 s9, 0
.LBB47_2320:
	s_delay_alu instid0(SALU_CYCLE_1)
	s_and_not1_b32 vcc_lo, exec_lo, s9
	s_cbranch_vccnz .LBB47_2331
; %bb.2321:
	s_cmp_lt_i32 s8, 6
	s_cbranch_scc1 .LBB47_2324
; %bb.2322:
	s_cmp_gt_i32 s8, 6
	s_cbranch_scc0 .LBB47_2325
; %bb.2323:
	s_wait_loadcnt 0x0
	global_load_b64 v[12:13], v[32:33], off
	s_mov_b32 s9, 0
	s_wait_loadcnt 0x0
	v_cvt_i32_f64_e32 v12, v[12:13]
	s_branch .LBB47_2326
.LBB47_2324:
	s_mov_b32 s9, -1
                                        ; implicit-def: $vgpr12
	s_branch .LBB47_2329
.LBB47_2325:
	s_mov_b32 s9, -1
                                        ; implicit-def: $vgpr12
.LBB47_2326:
	s_delay_alu instid0(SALU_CYCLE_1)
	s_and_not1_b32 vcc_lo, exec_lo, s9
	s_cbranch_vccnz .LBB47_2328
; %bb.2327:
	global_load_b32 v1, v[32:33], off
	s_wait_loadcnt 0x0
	v_cvt_i32_f32_e32 v12, v1
.LBB47_2328:
	s_mov_b32 s9, 0
.LBB47_2329:
	s_delay_alu instid0(SALU_CYCLE_1)
	s_and_not1_b32 vcc_lo, exec_lo, s9
	s_cbranch_vccnz .LBB47_2331
; %bb.2330:
	global_load_u16 v1, v[32:33], off
	s_wait_loadcnt 0x0
	v_cvt_i16_f16_e32 v12, v1
.LBB47_2331:
	s_cbranch_execnz .LBB47_2351
.LBB47_2332:
	s_cmp_lt_i32 s8, 2
	s_cbranch_scc1 .LBB47_2336
; %bb.2333:
	s_cmp_lt_i32 s8, 3
	s_cbranch_scc1 .LBB47_2337
; %bb.2334:
	s_cmp_gt_i32 s8, 3
	s_cbranch_scc0 .LBB47_2338
; %bb.2335:
	s_wait_loadcnt 0x0
	global_load_b64 v[12:13], v[32:33], off
	s_mov_b32 s9, 0
	s_branch .LBB47_2339
.LBB47_2336:
	s_mov_b32 s9, -1
                                        ; implicit-def: $vgpr12
	s_branch .LBB47_2345
.LBB47_2337:
	s_mov_b32 s9, -1
                                        ; implicit-def: $vgpr12
	s_branch .LBB47_2342
.LBB47_2338:
	s_mov_b32 s9, -1
                                        ; implicit-def: $vgpr12
.LBB47_2339:
	s_delay_alu instid0(SALU_CYCLE_1)
	s_and_not1_b32 vcc_lo, exec_lo, s9
	s_cbranch_vccnz .LBB47_2341
; %bb.2340:
	s_wait_loadcnt 0x0
	global_load_b32 v12, v[32:33], off
.LBB47_2341:
	s_mov_b32 s9, 0
.LBB47_2342:
	s_delay_alu instid0(SALU_CYCLE_1)
	s_and_not1_b32 vcc_lo, exec_lo, s9
	s_cbranch_vccnz .LBB47_2344
; %bb.2343:
	s_wait_loadcnt 0x0
	global_load_u16 v12, v[32:33], off
.LBB47_2344:
	s_mov_b32 s9, 0
.LBB47_2345:
	s_delay_alu instid0(SALU_CYCLE_1)
	s_and_not1_b32 vcc_lo, exec_lo, s9
	s_cbranch_vccnz .LBB47_2351
; %bb.2346:
	s_cmp_gt_i32 s8, 0
	s_mov_b32 s8, 0
	s_cbranch_scc0 .LBB47_2348
; %bb.2347:
	s_wait_loadcnt 0x0
	global_load_u8 v12, v[32:33], off
	s_branch .LBB47_2349
.LBB47_2348:
	s_mov_b32 s8, -1
                                        ; implicit-def: $vgpr12
.LBB47_2349:
	s_delay_alu instid0(SALU_CYCLE_1)
	s_and_not1_b32 vcc_lo, exec_lo, s8
	s_cbranch_vccnz .LBB47_2351
; %bb.2350:
	s_wait_loadcnt 0x0
	global_load_u8 v12, v[32:33], off
.LBB47_2351:
.LBB47_2352:
	v_mov_b32_e32 v19, 0
	s_load_b64 s[8:9], s[2:3], 0x1e0
	global_load_u8 v1, v19, s[2:3] offset:493
	s_wait_kmcnt 0x0
	v_add_nc_u64_e32 v[32:33], s[8:9], v[18:19]
	s_wait_loadcnt 0x0
	v_and_b32_e32 v3, 0xffff, v1
	v_readfirstlane_b32 s15, v1
	s_delay_alu instid0(VALU_DEP_2)
	v_cmp_gt_i32_e32 vcc_lo, 11, v3
	s_cbranch_vccnz .LBB47_2359
; %bb.2353:
	s_and_b32 s16, 0xffff, s15
	s_mov_b32 s18, 0
	s_cmp_gt_i32 s16, 25
	s_cbranch_scc0 .LBB47_2361
; %bb.2354:
	s_cmp_gt_i32 s16, 28
	s_cbranch_scc0 .LBB47_2362
; %bb.2355:
	;; [unrolled: 3-line block ×4, first 2 shown]
	s_cmp_eq_u32 s16, 46
	s_mov_b32 s20, 0
	s_cbranch_scc0 .LBB47_2366
; %bb.2358:
	global_load_b32 v1, v[32:33], off
	s_mov_b32 s17, 0
	s_mov_b32 s19, -1
	s_wait_loadcnt 0x0
	v_lshlrev_b32_e32 v1, 16, v1
	s_delay_alu instid0(VALU_DEP_1)
	v_cvt_i32_f32_e32 v18, v1
	s_branch .LBB47_2368
.LBB47_2359:
	s_mov_b32 s19, 0
                                        ; implicit-def: $vgpr18
	s_cbranch_execnz .LBB47_2430
.LBB47_2360:
	s_and_not1_b32 vcc_lo, exec_lo, s19
	s_cbranch_vccnz .LBB47_4058
	s_branch .LBB47_2478
.LBB47_2361:
	s_mov_b32 s20, -1
	s_mov_b32 s19, 0
	s_mov_b32 s17, 0
                                        ; implicit-def: $vgpr18
	s_branch .LBB47_2395
.LBB47_2362:
	s_mov_b32 s20, -1
	s_mov_b32 s19, 0
	s_mov_b32 s17, 0
                                        ; implicit-def: $vgpr18
	s_branch .LBB47_2378
.LBB47_2363:
	s_mov_b32 s20, -1
	s_mov_b32 s19, 0
	s_mov_b32 s17, 0
                                        ; implicit-def: $vgpr18
	s_branch .LBB47_2373
.LBB47_2364:
	s_or_b32 s12, s12, exec_lo
	s_trap 2
	s_cbranch_execz .LBB47_2303
	s_branch .LBB47_2304
.LBB47_2365:
	s_mov_b32 s20, -1
	s_mov_b32 s19, 0
	s_mov_b32 s17, 0
	s_branch .LBB47_2367
.LBB47_2366:
	s_mov_b32 s17, -1
	s_mov_b32 s19, 0
.LBB47_2367:
                                        ; implicit-def: $vgpr18
.LBB47_2368:
	s_and_b32 vcc_lo, exec_lo, s20
	s_cbranch_vccz .LBB47_2372
; %bb.2369:
	s_cmp_eq_u32 s16, 44
	s_cbranch_scc0 .LBB47_2371
; %bb.2370:
	global_load_u8 v1, v[32:33], off
	s_mov_b32 s17, 0
	s_mov_b32 s19, -1
	s_wait_loadcnt 0x0
	v_lshlrev_b32_e32 v3, 23, v1
	v_cmp_ne_u32_e32 vcc_lo, 0, v1
	s_delay_alu instid0(VALU_DEP_2) | instskip(NEXT) | instid1(VALU_DEP_1)
	v_cvt_i32_f32_e32 v3, v3
	v_cndmask_b32_e32 v18, 0, v3, vcc_lo
	s_branch .LBB47_2372
.LBB47_2371:
	s_mov_b32 s17, -1
                                        ; implicit-def: $vgpr18
.LBB47_2372:
	s_mov_b32 s20, 0
.LBB47_2373:
	s_delay_alu instid0(SALU_CYCLE_1)
	s_and_b32 vcc_lo, exec_lo, s20
	s_cbranch_vccz .LBB47_2377
; %bb.2374:
	s_cmp_eq_u32 s16, 29
	s_cbranch_scc0 .LBB47_2376
; %bb.2375:
	global_load_b64 v[18:19], v[32:33], off
	s_mov_b32 s17, 0
	s_mov_b32 s19, -1
	s_branch .LBB47_2377
.LBB47_2376:
	s_mov_b32 s17, -1
                                        ; implicit-def: $vgpr18
.LBB47_2377:
	s_mov_b32 s20, 0
.LBB47_2378:
	s_delay_alu instid0(SALU_CYCLE_1)
	s_and_b32 vcc_lo, exec_lo, s20
	s_cbranch_vccz .LBB47_2394
; %bb.2379:
	s_cmp_lt_i32 s16, 27
	s_cbranch_scc1 .LBB47_2382
; %bb.2380:
	s_cmp_gt_i32 s16, 27
	s_cbranch_scc0 .LBB47_2383
; %bb.2381:
	s_wait_loadcnt 0x0
	global_load_b32 v18, v[32:33], off
	s_mov_b32 s19, 0
	s_branch .LBB47_2384
.LBB47_2382:
	s_mov_b32 s19, -1
                                        ; implicit-def: $vgpr18
	s_branch .LBB47_2387
.LBB47_2383:
	s_mov_b32 s19, -1
                                        ; implicit-def: $vgpr18
.LBB47_2384:
	s_delay_alu instid0(SALU_CYCLE_1)
	s_and_not1_b32 vcc_lo, exec_lo, s19
	s_cbranch_vccnz .LBB47_2386
; %bb.2385:
	s_wait_loadcnt 0x0
	global_load_u16 v18, v[32:33], off
.LBB47_2386:
	s_mov_b32 s19, 0
.LBB47_2387:
	s_delay_alu instid0(SALU_CYCLE_1)
	s_and_not1_b32 vcc_lo, exec_lo, s19
	s_cbranch_vccnz .LBB47_2393
; %bb.2388:
	global_load_u8 v1, v[32:33], off
	s_mov_b32 s20, 0
	s_mov_b32 s19, exec_lo
	s_wait_loadcnt 0x0
	v_cmpx_lt_i16_e32 0x7f, v1
	s_xor_b32 s19, exec_lo, s19
	s_cbranch_execz .LBB47_2405
; %bb.2389:
	v_cmp_ne_u16_e32 vcc_lo, 0x80, v1
	s_and_b32 s20, vcc_lo, exec_lo
	s_and_not1_saveexec_b32 s19, s19
	s_cbranch_execnz .LBB47_2406
.LBB47_2390:
	s_or_b32 exec_lo, exec_lo, s19
	v_mov_b32_e32 v18, 0
	s_and_saveexec_b32 s19, s20
	s_cbranch_execz .LBB47_2392
.LBB47_2391:
	v_and_b32_e32 v3, 0xffff, v1
	s_delay_alu instid0(VALU_DEP_1) | instskip(SKIP_1) | instid1(VALU_DEP_2)
	v_dual_lshlrev_b32 v1, 24, v1 :: v_dual_bitop2_b32 v5, 7, v3 bitop3:0x40
	v_bfe_u32 v11, v3, 3, 4
	v_and_b32_e32 v1, 0x80000000, v1
	s_delay_alu instid0(VALU_DEP_3) | instskip(NEXT) | instid1(VALU_DEP_3)
	v_clz_i32_u32_e32 v7, v5
	v_cmp_eq_u32_e32 vcc_lo, 0, v11
	s_delay_alu instid0(VALU_DEP_2) | instskip(NEXT) | instid1(VALU_DEP_1)
	v_min_u32_e32 v7, 32, v7
	v_subrev_nc_u32_e32 v9, 28, v7
	v_sub_nc_u32_e32 v7, 29, v7
	s_delay_alu instid0(VALU_DEP_2) | instskip(NEXT) | instid1(VALU_DEP_2)
	v_lshlrev_b32_e32 v3, v9, v3
	v_cndmask_b32_e32 v7, v11, v7, vcc_lo
	s_delay_alu instid0(VALU_DEP_2) | instskip(NEXT) | instid1(VALU_DEP_1)
	v_and_b32_e32 v3, 7, v3
	v_cndmask_b32_e32 v3, v5, v3, vcc_lo
	s_delay_alu instid0(VALU_DEP_3) | instskip(NEXT) | instid1(VALU_DEP_2)
	v_lshl_add_u32 v5, v7, 23, 0x3b800000
	v_lshlrev_b32_e32 v3, 20, v3
	s_delay_alu instid0(VALU_DEP_1) | instskip(NEXT) | instid1(VALU_DEP_1)
	v_or3_b32 v1, v1, v5, v3
	v_cvt_i32_f32_e32 v18, v1
.LBB47_2392:
	s_or_b32 exec_lo, exec_lo, s19
.LBB47_2393:
	s_mov_b32 s19, -1
.LBB47_2394:
	s_mov_b32 s20, 0
.LBB47_2395:
	s_delay_alu instid0(SALU_CYCLE_1)
	s_and_b32 vcc_lo, exec_lo, s20
	s_cbranch_vccz .LBB47_2426
; %bb.2396:
	s_cmp_gt_i32 s16, 22
	s_cbranch_scc0 .LBB47_2404
; %bb.2397:
	s_cmp_lt_i32 s16, 24
	s_cbranch_scc1 .LBB47_2407
; %bb.2398:
	s_cmp_gt_i32 s16, 24
	s_cbranch_scc0 .LBB47_2408
; %bb.2399:
	global_load_u8 v1, v[32:33], off
	s_mov_b32 s19, 0
	s_mov_b32 s18, exec_lo
	s_wait_loadcnt 0x0
	v_cmpx_lt_i16_e32 0x7f, v1
	s_xor_b32 s18, exec_lo, s18
	s_cbranch_execz .LBB47_2420
; %bb.2400:
	v_cmp_ne_u16_e32 vcc_lo, 0x80, v1
	s_and_b32 s19, vcc_lo, exec_lo
	s_and_not1_saveexec_b32 s18, s18
	s_cbranch_execnz .LBB47_2421
.LBB47_2401:
	s_or_b32 exec_lo, exec_lo, s18
	v_mov_b32_e32 v18, 0
	s_and_saveexec_b32 s18, s19
	s_cbranch_execz .LBB47_2403
.LBB47_2402:
	v_and_b32_e32 v3, 0xffff, v1
	s_delay_alu instid0(VALU_DEP_1) | instskip(SKIP_1) | instid1(VALU_DEP_2)
	v_dual_lshlrev_b32 v1, 24, v1 :: v_dual_bitop2_b32 v5, 3, v3 bitop3:0x40
	v_bfe_u32 v11, v3, 2, 5
	v_and_b32_e32 v1, 0x80000000, v1
	s_delay_alu instid0(VALU_DEP_3) | instskip(NEXT) | instid1(VALU_DEP_3)
	v_clz_i32_u32_e32 v7, v5
	v_cmp_eq_u32_e32 vcc_lo, 0, v11
	s_delay_alu instid0(VALU_DEP_2) | instskip(NEXT) | instid1(VALU_DEP_1)
	v_min_u32_e32 v7, 32, v7
	v_subrev_nc_u32_e32 v9, 29, v7
	v_sub_nc_u32_e32 v7, 30, v7
	s_delay_alu instid0(VALU_DEP_2) | instskip(NEXT) | instid1(VALU_DEP_2)
	v_lshlrev_b32_e32 v3, v9, v3
	v_cndmask_b32_e32 v7, v11, v7, vcc_lo
	s_delay_alu instid0(VALU_DEP_2) | instskip(NEXT) | instid1(VALU_DEP_1)
	v_and_b32_e32 v3, 3, v3
	v_cndmask_b32_e32 v3, v5, v3, vcc_lo
	s_delay_alu instid0(VALU_DEP_3) | instskip(NEXT) | instid1(VALU_DEP_2)
	v_lshl_add_u32 v5, v7, 23, 0x37800000
	v_lshlrev_b32_e32 v3, 21, v3
	s_delay_alu instid0(VALU_DEP_1) | instskip(NEXT) | instid1(VALU_DEP_1)
	v_or3_b32 v1, v1, v5, v3
	v_cvt_i32_f32_e32 v18, v1
.LBB47_2403:
	s_or_b32 exec_lo, exec_lo, s18
	s_mov_b32 s18, 0
	s_branch .LBB47_2409
.LBB47_2404:
	s_mov_b32 s18, -1
                                        ; implicit-def: $vgpr18
	s_branch .LBB47_2415
.LBB47_2405:
	s_and_not1_saveexec_b32 s19, s19
	s_cbranch_execz .LBB47_2390
.LBB47_2406:
	v_cmp_ne_u16_e32 vcc_lo, 0, v1
	s_and_not1_b32 s20, s20, exec_lo
	s_and_b32 s21, vcc_lo, exec_lo
	s_delay_alu instid0(SALU_CYCLE_1)
	s_or_b32 s20, s20, s21
	s_or_b32 exec_lo, exec_lo, s19
	v_mov_b32_e32 v18, 0
	s_and_saveexec_b32 s19, s20
	s_cbranch_execnz .LBB47_2391
	s_branch .LBB47_2392
.LBB47_2407:
	s_mov_b32 s18, -1
                                        ; implicit-def: $vgpr18
	s_branch .LBB47_2412
.LBB47_2408:
	s_mov_b32 s18, -1
                                        ; implicit-def: $vgpr18
.LBB47_2409:
	s_delay_alu instid0(SALU_CYCLE_1)
	s_and_b32 vcc_lo, exec_lo, s18
	s_cbranch_vccz .LBB47_2411
; %bb.2410:
	global_load_u8 v1, v[32:33], off
	s_wait_loadcnt 0x0
	v_lshlrev_b32_e32 v1, 24, v1
	s_delay_alu instid0(VALU_DEP_1) | instskip(NEXT) | instid1(VALU_DEP_1)
	v_and_b32_e32 v3, 0x7f000000, v1
	v_clz_i32_u32_e32 v5, v3
	v_add_nc_u32_e32 v9, 0x1000000, v3
	v_cmp_ne_u32_e32 vcc_lo, 0, v3
	s_delay_alu instid0(VALU_DEP_3) | instskip(NEXT) | instid1(VALU_DEP_1)
	v_min_u32_e32 v5, 32, v5
	v_sub_nc_u32_e64 v5, v5, 4 clamp
	s_delay_alu instid0(VALU_DEP_1) | instskip(NEXT) | instid1(VALU_DEP_1)
	v_dual_lshlrev_b32 v7, v5, v3 :: v_dual_lshlrev_b32 v5, 23, v5
	v_lshrrev_b32_e32 v7, 4, v7
	s_delay_alu instid0(VALU_DEP_1) | instskip(SKIP_1) | instid1(VALU_DEP_2)
	v_sub_nc_u32_e32 v5, v7, v5
	v_ashrrev_i32_e32 v7, 8, v9
	v_add_nc_u32_e32 v5, 0x3c000000, v5
	s_delay_alu instid0(VALU_DEP_1) | instskip(NEXT) | instid1(VALU_DEP_1)
	v_and_or_b32 v5, 0x7f800000, v7, v5
	v_cndmask_b32_e32 v3, 0, v5, vcc_lo
	s_delay_alu instid0(VALU_DEP_1) | instskip(NEXT) | instid1(VALU_DEP_1)
	v_and_or_b32 v1, 0x80000000, v1, v3
	v_cvt_i32_f32_e32 v18, v1
.LBB47_2411:
	s_mov_b32 s18, 0
.LBB47_2412:
	s_delay_alu instid0(SALU_CYCLE_1)
	s_and_not1_b32 vcc_lo, exec_lo, s18
	s_cbranch_vccnz .LBB47_2414
; %bb.2413:
	global_load_u8 v1, v[32:33], off
	s_wait_loadcnt 0x0
	v_lshlrev_b32_e32 v3, 25, v1
	v_lshlrev_b16 v1, 8, v1
	s_delay_alu instid0(VALU_DEP_1) | instskip(SKIP_1) | instid1(VALU_DEP_2)
	v_and_or_b32 v7, 0x7f00, v1, 0.5
	v_bfe_i32 v1, v1, 0, 16
	v_add_f32_e32 v7, -0.5, v7
	v_lshrrev_b32_e32 v5, 4, v3
	v_cmp_gt_u32_e32 vcc_lo, 0x8000000, v3
	s_delay_alu instid0(VALU_DEP_2) | instskip(NEXT) | instid1(VALU_DEP_1)
	v_or_b32_e32 v5, 0x70000000, v5
	v_mul_f32_e32 v5, 0x7800000, v5
	s_delay_alu instid0(VALU_DEP_1) | instskip(NEXT) | instid1(VALU_DEP_1)
	v_cndmask_b32_e32 v3, v5, v7, vcc_lo
	v_and_or_b32 v1, 0x80000000, v1, v3
	s_delay_alu instid0(VALU_DEP_1)
	v_cvt_i32_f32_e32 v18, v1
.LBB47_2414:
	s_mov_b32 s18, 0
	s_mov_b32 s19, -1
.LBB47_2415:
	s_and_not1_b32 vcc_lo, exec_lo, s18
	s_mov_b32 s18, 0
	s_cbranch_vccnz .LBB47_2426
; %bb.2416:
	s_cmp_gt_i32 s16, 14
	s_cbranch_scc0 .LBB47_2419
; %bb.2417:
	s_cmp_eq_u32 s16, 15
	s_cbranch_scc0 .LBB47_2422
; %bb.2418:
	global_load_u16 v1, v[32:33], off
	s_mov_b32 s17, 0
	s_mov_b32 s19, -1
	s_wait_loadcnt 0x0
	v_lshlrev_b32_e32 v1, 16, v1
	s_delay_alu instid0(VALU_DEP_1)
	v_cvt_i32_f32_e32 v18, v1
	s_branch .LBB47_2424
.LBB47_2419:
	s_mov_b32 s18, -1
	s_branch .LBB47_2423
.LBB47_2420:
	s_and_not1_saveexec_b32 s18, s18
	s_cbranch_execz .LBB47_2401
.LBB47_2421:
	v_cmp_ne_u16_e32 vcc_lo, 0, v1
	s_and_not1_b32 s19, s19, exec_lo
	s_and_b32 s20, vcc_lo, exec_lo
	s_delay_alu instid0(SALU_CYCLE_1)
	s_or_b32 s19, s19, s20
	s_or_b32 exec_lo, exec_lo, s18
	v_mov_b32_e32 v18, 0
	s_and_saveexec_b32 s18, s19
	s_cbranch_execnz .LBB47_2402
	s_branch .LBB47_2403
.LBB47_2422:
	s_mov_b32 s17, -1
.LBB47_2423:
                                        ; implicit-def: $vgpr18
.LBB47_2424:
	s_and_b32 vcc_lo, exec_lo, s18
	s_mov_b32 s18, 0
	s_cbranch_vccz .LBB47_2426
; %bb.2425:
	s_cmp_lg_u32 s16, 11
	s_mov_b32 s18, -1
	s_cselect_b32 s17, -1, 0
.LBB47_2426:
	s_delay_alu instid0(SALU_CYCLE_1)
	s_and_b32 vcc_lo, exec_lo, s17
	s_cbranch_vccnz .LBB47_2489
; %bb.2427:
	s_and_not1_b32 vcc_lo, exec_lo, s18
	s_cbranch_vccnz .LBB47_2429
.LBB47_2428:
	global_load_u8 v1, v[32:33], off
	s_mov_b32 s19, -1
	s_wait_loadcnt 0x0
	v_cmp_ne_u16_e32 vcc_lo, 0, v1
	v_cndmask_b32_e64 v18, 0, 1, vcc_lo
.LBB47_2429:
	s_branch .LBB47_2360
.LBB47_2430:
	s_and_b32 s16, 0xffff, s15
	s_delay_alu instid0(SALU_CYCLE_1)
	s_cmp_lt_i32 s16, 5
	s_cbranch_scc1 .LBB47_2435
; %bb.2431:
	s_cmp_lt_i32 s16, 8
	s_cbranch_scc1 .LBB47_2436
; %bb.2432:
	s_cmp_lt_i32 s16, 9
	s_cbranch_scc1 .LBB47_2437
; %bb.2433:
	s_cmp_gt_i32 s16, 9
	s_cbranch_scc0 .LBB47_2438
; %bb.2434:
	s_wait_loadcnt 0x0
	global_load_b64 v[18:19], v[32:33], off
	s_mov_b32 s17, 0
	s_wait_loadcnt 0x0
	v_cvt_i32_f64_e32 v18, v[18:19]
	s_branch .LBB47_2439
.LBB47_2435:
	s_mov_b32 s17, -1
                                        ; implicit-def: $vgpr18
	s_branch .LBB47_2457
.LBB47_2436:
	s_mov_b32 s17, -1
                                        ; implicit-def: $vgpr18
	s_branch .LBB47_2445
.LBB47_2437:
	s_mov_b32 s17, -1
                                        ; implicit-def: $vgpr18
	s_branch .LBB47_2442
.LBB47_2438:
	s_mov_b32 s17, -1
                                        ; implicit-def: $vgpr18
.LBB47_2439:
	s_delay_alu instid0(SALU_CYCLE_1)
	s_and_not1_b32 vcc_lo, exec_lo, s17
	s_cbranch_vccnz .LBB47_2441
; %bb.2440:
	global_load_b32 v1, v[32:33], off
	s_wait_loadcnt 0x0
	v_cvt_i32_f32_e32 v18, v1
.LBB47_2441:
	s_mov_b32 s17, 0
.LBB47_2442:
	s_delay_alu instid0(SALU_CYCLE_1)
	s_and_not1_b32 vcc_lo, exec_lo, s17
	s_cbranch_vccnz .LBB47_2444
; %bb.2443:
	global_load_b32 v1, v[32:33], off
	s_wait_loadcnt 0x0
	v_cvt_i16_f16_e32 v18, v1
.LBB47_2444:
	s_mov_b32 s17, 0
.LBB47_2445:
	s_delay_alu instid0(SALU_CYCLE_1)
	s_and_not1_b32 vcc_lo, exec_lo, s17
	s_cbranch_vccnz .LBB47_2456
; %bb.2446:
	s_cmp_lt_i32 s16, 6
	s_cbranch_scc1 .LBB47_2449
; %bb.2447:
	s_cmp_gt_i32 s16, 6
	s_cbranch_scc0 .LBB47_2450
; %bb.2448:
	s_wait_loadcnt 0x0
	global_load_b64 v[18:19], v[32:33], off
	s_mov_b32 s17, 0
	s_wait_loadcnt 0x0
	v_cvt_i32_f64_e32 v18, v[18:19]
	s_branch .LBB47_2451
.LBB47_2449:
	s_mov_b32 s17, -1
                                        ; implicit-def: $vgpr18
	s_branch .LBB47_2454
.LBB47_2450:
	s_mov_b32 s17, -1
                                        ; implicit-def: $vgpr18
.LBB47_2451:
	s_delay_alu instid0(SALU_CYCLE_1)
	s_and_not1_b32 vcc_lo, exec_lo, s17
	s_cbranch_vccnz .LBB47_2453
; %bb.2452:
	global_load_b32 v1, v[32:33], off
	s_wait_loadcnt 0x0
	v_cvt_i32_f32_e32 v18, v1
.LBB47_2453:
	s_mov_b32 s17, 0
.LBB47_2454:
	s_delay_alu instid0(SALU_CYCLE_1)
	s_and_not1_b32 vcc_lo, exec_lo, s17
	s_cbranch_vccnz .LBB47_2456
; %bb.2455:
	global_load_u16 v1, v[32:33], off
	s_wait_loadcnt 0x0
	v_cvt_i16_f16_e32 v18, v1
.LBB47_2456:
	s_mov_b32 s17, 0
.LBB47_2457:
	s_delay_alu instid0(SALU_CYCLE_1)
	s_and_not1_b32 vcc_lo, exec_lo, s17
	s_cbranch_vccnz .LBB47_2477
; %bb.2458:
	s_cmp_lt_i32 s16, 2
	s_cbranch_scc1 .LBB47_2462
; %bb.2459:
	s_cmp_lt_i32 s16, 3
	s_cbranch_scc1 .LBB47_2463
; %bb.2460:
	s_cmp_gt_i32 s16, 3
	s_cbranch_scc0 .LBB47_2464
; %bb.2461:
	s_wait_loadcnt 0x0
	global_load_b64 v[18:19], v[32:33], off
	s_mov_b32 s17, 0
	s_branch .LBB47_2465
.LBB47_2462:
	s_mov_b32 s17, -1
                                        ; implicit-def: $vgpr18
	s_branch .LBB47_2471
.LBB47_2463:
	s_mov_b32 s17, -1
                                        ; implicit-def: $vgpr18
	s_branch .LBB47_2468
.LBB47_2464:
	s_mov_b32 s17, -1
                                        ; implicit-def: $vgpr18
.LBB47_2465:
	s_delay_alu instid0(SALU_CYCLE_1)
	s_and_not1_b32 vcc_lo, exec_lo, s17
	s_cbranch_vccnz .LBB47_2467
; %bb.2466:
	s_wait_loadcnt 0x0
	global_load_b32 v18, v[32:33], off
.LBB47_2467:
	s_mov_b32 s17, 0
.LBB47_2468:
	s_delay_alu instid0(SALU_CYCLE_1)
	s_and_not1_b32 vcc_lo, exec_lo, s17
	s_cbranch_vccnz .LBB47_2470
; %bb.2469:
	s_wait_loadcnt 0x0
	global_load_u16 v18, v[32:33], off
.LBB47_2470:
	s_mov_b32 s17, 0
.LBB47_2471:
	s_delay_alu instid0(SALU_CYCLE_1)
	s_and_not1_b32 vcc_lo, exec_lo, s17
	s_cbranch_vccnz .LBB47_2477
; %bb.2472:
	s_cmp_gt_i32 s16, 0
	s_mov_b32 s16, 0
	s_cbranch_scc0 .LBB47_2474
; %bb.2473:
	s_wait_loadcnt 0x0
	global_load_u8 v18, v[32:33], off
	s_branch .LBB47_2475
.LBB47_2474:
	s_mov_b32 s16, -1
                                        ; implicit-def: $vgpr18
.LBB47_2475:
	s_delay_alu instid0(SALU_CYCLE_1)
	s_and_not1_b32 vcc_lo, exec_lo, s16
	s_cbranch_vccnz .LBB47_2477
; %bb.2476:
	s_wait_loadcnt 0x0
	global_load_u8 v18, v[32:33], off
.LBB47_2477:
.LBB47_2478:
	v_mov_b32_e32 v17, 0
	s_and_b32 s13, 0xffff, s13
	s_delay_alu instid0(SALU_CYCLE_1) | instskip(SKIP_1) | instid1(VALU_DEP_1)
	s_cmp_lt_i32 s13, 11
	s_wait_xcnt 0x0
	v_add_nc_u64_e32 v[32:33], s[6:7], v[16:17]
	s_cbranch_scc1 .LBB47_2485
; %bb.2479:
	s_cmp_gt_i32 s13, 25
	s_mov_b32 s17, 0
	s_cbranch_scc0 .LBB47_2486
; %bb.2480:
	s_cmp_gt_i32 s13, 28
	s_cbranch_scc0 .LBB47_2487
; %bb.2481:
	s_cmp_gt_i32 s13, 43
	;; [unrolled: 3-line block ×3, first 2 shown]
	s_cbranch_scc0 .LBB47_2490
; %bb.2483:
	s_cmp_eq_u32 s13, 46
	s_mov_b32 s19, 0
	s_cbranch_scc0 .LBB47_2491
; %bb.2484:
	global_load_b32 v1, v[32:33], off
	s_mov_b32 s16, 0
	s_mov_b32 s18, -1
	s_wait_loadcnt 0x0
	v_lshlrev_b32_e32 v1, 16, v1
	s_delay_alu instid0(VALU_DEP_1)
	v_cvt_i32_f32_e32 v16, v1
	s_branch .LBB47_2493
.LBB47_2485:
	s_mov_b32 s16, -1
	s_mov_b32 s18, 0
                                        ; implicit-def: $vgpr16
	s_branch .LBB47_2555
.LBB47_2486:
	s_mov_b32 s19, -1
	s_mov_b32 s18, 0
	s_mov_b32 s16, 0
                                        ; implicit-def: $vgpr16
	s_branch .LBB47_2520
.LBB47_2487:
	s_mov_b32 s19, -1
	s_mov_b32 s18, 0
	s_mov_b32 s16, 0
                                        ; implicit-def: $vgpr16
	s_branch .LBB47_2503
.LBB47_2488:
	s_mov_b32 s19, -1
	s_mov_b32 s18, 0
	s_mov_b32 s16, 0
                                        ; implicit-def: $vgpr16
	s_branch .LBB47_2498
.LBB47_2489:
	s_or_b32 s12, s12, exec_lo
	s_trap 2
	s_cbranch_execz .LBB47_2428
	s_branch .LBB47_2429
.LBB47_2490:
	s_mov_b32 s19, -1
	s_mov_b32 s18, 0
	s_mov_b32 s16, 0
	s_branch .LBB47_2492
.LBB47_2491:
	s_mov_b32 s16, -1
	s_mov_b32 s18, 0
.LBB47_2492:
                                        ; implicit-def: $vgpr16
.LBB47_2493:
	s_and_b32 vcc_lo, exec_lo, s19
	s_cbranch_vccz .LBB47_2497
; %bb.2494:
	s_cmp_eq_u32 s13, 44
	s_cbranch_scc0 .LBB47_2496
; %bb.2495:
	global_load_u8 v1, v[32:33], off
	s_mov_b32 s16, 0
	s_mov_b32 s18, -1
	s_wait_loadcnt 0x0
	v_lshlrev_b32_e32 v3, 23, v1
	v_cmp_ne_u32_e32 vcc_lo, 0, v1
	s_delay_alu instid0(VALU_DEP_2) | instskip(NEXT) | instid1(VALU_DEP_1)
	v_cvt_i32_f32_e32 v3, v3
	v_cndmask_b32_e32 v16, 0, v3, vcc_lo
	s_branch .LBB47_2497
.LBB47_2496:
	s_mov_b32 s16, -1
                                        ; implicit-def: $vgpr16
.LBB47_2497:
	s_mov_b32 s19, 0
.LBB47_2498:
	s_delay_alu instid0(SALU_CYCLE_1)
	s_and_b32 vcc_lo, exec_lo, s19
	s_cbranch_vccz .LBB47_2502
; %bb.2499:
	s_cmp_eq_u32 s13, 29
	s_cbranch_scc0 .LBB47_2501
; %bb.2500:
	global_load_b64 v[16:17], v[32:33], off
	s_mov_b32 s16, 0
	s_mov_b32 s18, -1
	s_branch .LBB47_2502
.LBB47_2501:
	s_mov_b32 s16, -1
                                        ; implicit-def: $vgpr16
.LBB47_2502:
	s_mov_b32 s19, 0
.LBB47_2503:
	s_delay_alu instid0(SALU_CYCLE_1)
	s_and_b32 vcc_lo, exec_lo, s19
	s_cbranch_vccz .LBB47_2519
; %bb.2504:
	s_cmp_lt_i32 s13, 27
	s_cbranch_scc1 .LBB47_2507
; %bb.2505:
	s_cmp_gt_i32 s13, 27
	s_cbranch_scc0 .LBB47_2508
; %bb.2506:
	s_wait_loadcnt 0x0
	global_load_b32 v16, v[32:33], off
	s_mov_b32 s18, 0
	s_branch .LBB47_2509
.LBB47_2507:
	s_mov_b32 s18, -1
                                        ; implicit-def: $vgpr16
	s_branch .LBB47_2512
.LBB47_2508:
	s_mov_b32 s18, -1
                                        ; implicit-def: $vgpr16
.LBB47_2509:
	s_delay_alu instid0(SALU_CYCLE_1)
	s_and_not1_b32 vcc_lo, exec_lo, s18
	s_cbranch_vccnz .LBB47_2511
; %bb.2510:
	s_wait_loadcnt 0x0
	global_load_u16 v16, v[32:33], off
.LBB47_2511:
	s_mov_b32 s18, 0
.LBB47_2512:
	s_delay_alu instid0(SALU_CYCLE_1)
	s_and_not1_b32 vcc_lo, exec_lo, s18
	s_cbranch_vccnz .LBB47_2518
; %bb.2513:
	global_load_u8 v1, v[32:33], off
	s_mov_b32 s19, 0
	s_mov_b32 s18, exec_lo
	s_wait_loadcnt 0x0
	v_cmpx_lt_i16_e32 0x7f, v1
	s_xor_b32 s18, exec_lo, s18
	s_cbranch_execz .LBB47_2530
; %bb.2514:
	v_cmp_ne_u16_e32 vcc_lo, 0x80, v1
	s_and_b32 s19, vcc_lo, exec_lo
	s_and_not1_saveexec_b32 s18, s18
	s_cbranch_execnz .LBB47_2531
.LBB47_2515:
	s_or_b32 exec_lo, exec_lo, s18
	v_mov_b32_e32 v16, 0
	s_and_saveexec_b32 s18, s19
	s_cbranch_execz .LBB47_2517
.LBB47_2516:
	v_and_b32_e32 v3, 0xffff, v1
	s_delay_alu instid0(VALU_DEP_1) | instskip(SKIP_1) | instid1(VALU_DEP_2)
	v_dual_lshlrev_b32 v1, 24, v1 :: v_dual_bitop2_b32 v5, 7, v3 bitop3:0x40
	v_bfe_u32 v11, v3, 3, 4
	v_and_b32_e32 v1, 0x80000000, v1
	s_delay_alu instid0(VALU_DEP_3) | instskip(NEXT) | instid1(VALU_DEP_3)
	v_clz_i32_u32_e32 v7, v5
	v_cmp_eq_u32_e32 vcc_lo, 0, v11
	s_delay_alu instid0(VALU_DEP_2) | instskip(NEXT) | instid1(VALU_DEP_1)
	v_min_u32_e32 v7, 32, v7
	v_subrev_nc_u32_e32 v9, 28, v7
	v_sub_nc_u32_e32 v7, 29, v7
	s_delay_alu instid0(VALU_DEP_2) | instskip(NEXT) | instid1(VALU_DEP_2)
	v_lshlrev_b32_e32 v3, v9, v3
	v_cndmask_b32_e32 v7, v11, v7, vcc_lo
	s_delay_alu instid0(VALU_DEP_2) | instskip(NEXT) | instid1(VALU_DEP_1)
	v_and_b32_e32 v3, 7, v3
	v_cndmask_b32_e32 v3, v5, v3, vcc_lo
	s_delay_alu instid0(VALU_DEP_3) | instskip(NEXT) | instid1(VALU_DEP_2)
	v_lshl_add_u32 v5, v7, 23, 0x3b800000
	v_lshlrev_b32_e32 v3, 20, v3
	s_delay_alu instid0(VALU_DEP_1) | instskip(NEXT) | instid1(VALU_DEP_1)
	v_or3_b32 v1, v1, v5, v3
	v_cvt_i32_f32_e32 v16, v1
.LBB47_2517:
	s_or_b32 exec_lo, exec_lo, s18
.LBB47_2518:
	s_mov_b32 s18, -1
.LBB47_2519:
	s_mov_b32 s19, 0
.LBB47_2520:
	s_delay_alu instid0(SALU_CYCLE_1)
	s_and_b32 vcc_lo, exec_lo, s19
	s_cbranch_vccz .LBB47_2551
; %bb.2521:
	s_cmp_gt_i32 s13, 22
	s_cbranch_scc0 .LBB47_2529
; %bb.2522:
	s_cmp_lt_i32 s13, 24
	s_cbranch_scc1 .LBB47_2532
; %bb.2523:
	s_cmp_gt_i32 s13, 24
	s_cbranch_scc0 .LBB47_2533
; %bb.2524:
	global_load_u8 v1, v[32:33], off
	s_mov_b32 s18, 0
	s_mov_b32 s17, exec_lo
	s_wait_loadcnt 0x0
	v_cmpx_lt_i16_e32 0x7f, v1
	s_xor_b32 s17, exec_lo, s17
	s_cbranch_execz .LBB47_2545
; %bb.2525:
	v_cmp_ne_u16_e32 vcc_lo, 0x80, v1
	s_and_b32 s18, vcc_lo, exec_lo
	s_and_not1_saveexec_b32 s17, s17
	s_cbranch_execnz .LBB47_2546
.LBB47_2526:
	s_or_b32 exec_lo, exec_lo, s17
	v_mov_b32_e32 v16, 0
	s_and_saveexec_b32 s17, s18
	s_cbranch_execz .LBB47_2528
.LBB47_2527:
	v_and_b32_e32 v3, 0xffff, v1
	s_delay_alu instid0(VALU_DEP_1) | instskip(SKIP_1) | instid1(VALU_DEP_2)
	v_dual_lshlrev_b32 v1, 24, v1 :: v_dual_bitop2_b32 v5, 3, v3 bitop3:0x40
	v_bfe_u32 v11, v3, 2, 5
	v_and_b32_e32 v1, 0x80000000, v1
	s_delay_alu instid0(VALU_DEP_3) | instskip(NEXT) | instid1(VALU_DEP_3)
	v_clz_i32_u32_e32 v7, v5
	v_cmp_eq_u32_e32 vcc_lo, 0, v11
	s_delay_alu instid0(VALU_DEP_2) | instskip(NEXT) | instid1(VALU_DEP_1)
	v_min_u32_e32 v7, 32, v7
	v_subrev_nc_u32_e32 v9, 29, v7
	v_sub_nc_u32_e32 v7, 30, v7
	s_delay_alu instid0(VALU_DEP_2) | instskip(NEXT) | instid1(VALU_DEP_2)
	v_lshlrev_b32_e32 v3, v9, v3
	v_cndmask_b32_e32 v7, v11, v7, vcc_lo
	s_delay_alu instid0(VALU_DEP_2) | instskip(NEXT) | instid1(VALU_DEP_1)
	v_and_b32_e32 v3, 3, v3
	v_cndmask_b32_e32 v3, v5, v3, vcc_lo
	s_delay_alu instid0(VALU_DEP_3) | instskip(NEXT) | instid1(VALU_DEP_2)
	v_lshl_add_u32 v5, v7, 23, 0x37800000
	v_lshlrev_b32_e32 v3, 21, v3
	s_delay_alu instid0(VALU_DEP_1) | instskip(NEXT) | instid1(VALU_DEP_1)
	v_or3_b32 v1, v1, v5, v3
	v_cvt_i32_f32_e32 v16, v1
.LBB47_2528:
	s_or_b32 exec_lo, exec_lo, s17
	s_mov_b32 s17, 0
	s_branch .LBB47_2534
.LBB47_2529:
	s_mov_b32 s17, -1
                                        ; implicit-def: $vgpr16
	s_branch .LBB47_2540
.LBB47_2530:
	s_and_not1_saveexec_b32 s18, s18
	s_cbranch_execz .LBB47_2515
.LBB47_2531:
	v_cmp_ne_u16_e32 vcc_lo, 0, v1
	s_and_not1_b32 s19, s19, exec_lo
	s_and_b32 s20, vcc_lo, exec_lo
	s_delay_alu instid0(SALU_CYCLE_1)
	s_or_b32 s19, s19, s20
	s_or_b32 exec_lo, exec_lo, s18
	v_mov_b32_e32 v16, 0
	s_and_saveexec_b32 s18, s19
	s_cbranch_execnz .LBB47_2516
	s_branch .LBB47_2517
.LBB47_2532:
	s_mov_b32 s17, -1
                                        ; implicit-def: $vgpr16
	s_branch .LBB47_2537
.LBB47_2533:
	s_mov_b32 s17, -1
                                        ; implicit-def: $vgpr16
.LBB47_2534:
	s_delay_alu instid0(SALU_CYCLE_1)
	s_and_b32 vcc_lo, exec_lo, s17
	s_cbranch_vccz .LBB47_2536
; %bb.2535:
	global_load_u8 v1, v[32:33], off
	s_wait_loadcnt 0x0
	v_lshlrev_b32_e32 v1, 24, v1
	s_delay_alu instid0(VALU_DEP_1) | instskip(NEXT) | instid1(VALU_DEP_1)
	v_and_b32_e32 v3, 0x7f000000, v1
	v_clz_i32_u32_e32 v5, v3
	v_add_nc_u32_e32 v9, 0x1000000, v3
	v_cmp_ne_u32_e32 vcc_lo, 0, v3
	s_delay_alu instid0(VALU_DEP_3) | instskip(NEXT) | instid1(VALU_DEP_1)
	v_min_u32_e32 v5, 32, v5
	v_sub_nc_u32_e64 v5, v5, 4 clamp
	s_delay_alu instid0(VALU_DEP_1) | instskip(NEXT) | instid1(VALU_DEP_1)
	v_dual_lshlrev_b32 v7, v5, v3 :: v_dual_lshlrev_b32 v5, 23, v5
	v_lshrrev_b32_e32 v7, 4, v7
	s_delay_alu instid0(VALU_DEP_1) | instskip(SKIP_1) | instid1(VALU_DEP_2)
	v_sub_nc_u32_e32 v5, v7, v5
	v_ashrrev_i32_e32 v7, 8, v9
	v_add_nc_u32_e32 v5, 0x3c000000, v5
	s_delay_alu instid0(VALU_DEP_1) | instskip(NEXT) | instid1(VALU_DEP_1)
	v_and_or_b32 v5, 0x7f800000, v7, v5
	v_cndmask_b32_e32 v3, 0, v5, vcc_lo
	s_delay_alu instid0(VALU_DEP_1) | instskip(NEXT) | instid1(VALU_DEP_1)
	v_and_or_b32 v1, 0x80000000, v1, v3
	v_cvt_i32_f32_e32 v16, v1
.LBB47_2536:
	s_mov_b32 s17, 0
.LBB47_2537:
	s_delay_alu instid0(SALU_CYCLE_1)
	s_and_not1_b32 vcc_lo, exec_lo, s17
	s_cbranch_vccnz .LBB47_2539
; %bb.2538:
	global_load_u8 v1, v[32:33], off
	s_wait_loadcnt 0x0
	v_lshlrev_b32_e32 v3, 25, v1
	v_lshlrev_b16 v1, 8, v1
	s_delay_alu instid0(VALU_DEP_1) | instskip(SKIP_1) | instid1(VALU_DEP_2)
	v_and_or_b32 v7, 0x7f00, v1, 0.5
	v_bfe_i32 v1, v1, 0, 16
	v_add_f32_e32 v7, -0.5, v7
	v_lshrrev_b32_e32 v5, 4, v3
	v_cmp_gt_u32_e32 vcc_lo, 0x8000000, v3
	s_delay_alu instid0(VALU_DEP_2) | instskip(NEXT) | instid1(VALU_DEP_1)
	v_or_b32_e32 v5, 0x70000000, v5
	v_mul_f32_e32 v5, 0x7800000, v5
	s_delay_alu instid0(VALU_DEP_1) | instskip(NEXT) | instid1(VALU_DEP_1)
	v_cndmask_b32_e32 v3, v5, v7, vcc_lo
	v_and_or_b32 v1, 0x80000000, v1, v3
	s_delay_alu instid0(VALU_DEP_1)
	v_cvt_i32_f32_e32 v16, v1
.LBB47_2539:
	s_mov_b32 s17, 0
	s_mov_b32 s18, -1
.LBB47_2540:
	s_and_not1_b32 vcc_lo, exec_lo, s17
	s_mov_b32 s17, 0
	s_cbranch_vccnz .LBB47_2551
; %bb.2541:
	s_cmp_gt_i32 s13, 14
	s_cbranch_scc0 .LBB47_2544
; %bb.2542:
	s_cmp_eq_u32 s13, 15
	s_cbranch_scc0 .LBB47_2547
; %bb.2543:
	global_load_u16 v1, v[32:33], off
	s_mov_b32 s16, 0
	s_mov_b32 s18, -1
	s_wait_loadcnt 0x0
	v_lshlrev_b32_e32 v1, 16, v1
	s_delay_alu instid0(VALU_DEP_1)
	v_cvt_i32_f32_e32 v16, v1
	s_branch .LBB47_2549
.LBB47_2544:
	s_mov_b32 s17, -1
	s_branch .LBB47_2548
.LBB47_2545:
	s_and_not1_saveexec_b32 s17, s17
	s_cbranch_execz .LBB47_2526
.LBB47_2546:
	v_cmp_ne_u16_e32 vcc_lo, 0, v1
	s_and_not1_b32 s18, s18, exec_lo
	s_and_b32 s19, vcc_lo, exec_lo
	s_delay_alu instid0(SALU_CYCLE_1)
	s_or_b32 s18, s18, s19
	s_or_b32 exec_lo, exec_lo, s17
	v_mov_b32_e32 v16, 0
	s_and_saveexec_b32 s17, s18
	s_cbranch_execnz .LBB47_2527
	s_branch .LBB47_2528
.LBB47_2547:
	s_mov_b32 s16, -1
.LBB47_2548:
                                        ; implicit-def: $vgpr16
.LBB47_2549:
	s_and_b32 vcc_lo, exec_lo, s17
	s_mov_b32 s17, 0
	s_cbranch_vccz .LBB47_2551
; %bb.2550:
	s_cmp_lg_u32 s13, 11
	s_mov_b32 s17, -1
	s_cselect_b32 s16, -1, 0
.LBB47_2551:
	s_delay_alu instid0(SALU_CYCLE_1)
	s_and_b32 vcc_lo, exec_lo, s16
	s_cbranch_vccnz .LBB47_2616
; %bb.2552:
	s_and_not1_b32 vcc_lo, exec_lo, s17
	s_cbranch_vccnz .LBB47_2554
.LBB47_2553:
	global_load_u8 v1, v[32:33], off
	s_mov_b32 s18, -1
	s_wait_loadcnt 0x0
	v_cmp_ne_u16_e32 vcc_lo, 0, v1
	v_cndmask_b32_e64 v16, 0, 1, vcc_lo
.LBB47_2554:
	s_mov_b32 s16, 0
.LBB47_2555:
	s_delay_alu instid0(SALU_CYCLE_1)
	s_and_b32 vcc_lo, exec_lo, s16
	s_cbranch_vccz .LBB47_2604
; %bb.2556:
	s_cmp_lt_i32 s13, 5
	s_cbranch_scc1 .LBB47_2561
; %bb.2557:
	s_cmp_lt_i32 s13, 8
	s_cbranch_scc1 .LBB47_2562
	;; [unrolled: 3-line block ×3, first 2 shown]
; %bb.2559:
	s_cmp_gt_i32 s13, 9
	s_cbranch_scc0 .LBB47_2564
; %bb.2560:
	s_wait_loadcnt 0x0
	global_load_b64 v[16:17], v[32:33], off
	s_mov_b32 s16, 0
	s_wait_loadcnt 0x0
	v_cvt_i32_f64_e32 v16, v[16:17]
	s_branch .LBB47_2565
.LBB47_2561:
	s_mov_b32 s16, -1
                                        ; implicit-def: $vgpr16
	s_branch .LBB47_2583
.LBB47_2562:
	s_mov_b32 s16, -1
                                        ; implicit-def: $vgpr16
	s_branch .LBB47_2571
.LBB47_2563:
	s_mov_b32 s16, -1
                                        ; implicit-def: $vgpr16
	s_branch .LBB47_2568
.LBB47_2564:
	s_mov_b32 s16, -1
                                        ; implicit-def: $vgpr16
.LBB47_2565:
	s_delay_alu instid0(SALU_CYCLE_1)
	s_and_not1_b32 vcc_lo, exec_lo, s16
	s_cbranch_vccnz .LBB47_2567
; %bb.2566:
	global_load_b32 v1, v[32:33], off
	s_wait_loadcnt 0x0
	v_cvt_i32_f32_e32 v16, v1
.LBB47_2567:
	s_mov_b32 s16, 0
.LBB47_2568:
	s_delay_alu instid0(SALU_CYCLE_1)
	s_and_not1_b32 vcc_lo, exec_lo, s16
	s_cbranch_vccnz .LBB47_2570
; %bb.2569:
	global_load_b32 v1, v[32:33], off
	s_wait_loadcnt 0x0
	v_cvt_i16_f16_e32 v16, v1
.LBB47_2570:
	s_mov_b32 s16, 0
.LBB47_2571:
	s_delay_alu instid0(SALU_CYCLE_1)
	s_and_not1_b32 vcc_lo, exec_lo, s16
	s_cbranch_vccnz .LBB47_2582
; %bb.2572:
	s_cmp_lt_i32 s13, 6
	s_cbranch_scc1 .LBB47_2575
; %bb.2573:
	s_cmp_gt_i32 s13, 6
	s_cbranch_scc0 .LBB47_2576
; %bb.2574:
	s_wait_loadcnt 0x0
	global_load_b64 v[16:17], v[32:33], off
	s_mov_b32 s16, 0
	s_wait_loadcnt 0x0
	v_cvt_i32_f64_e32 v16, v[16:17]
	s_branch .LBB47_2577
.LBB47_2575:
	s_mov_b32 s16, -1
                                        ; implicit-def: $vgpr16
	s_branch .LBB47_2580
.LBB47_2576:
	s_mov_b32 s16, -1
                                        ; implicit-def: $vgpr16
.LBB47_2577:
	s_delay_alu instid0(SALU_CYCLE_1)
	s_and_not1_b32 vcc_lo, exec_lo, s16
	s_cbranch_vccnz .LBB47_2579
; %bb.2578:
	global_load_b32 v1, v[32:33], off
	s_wait_loadcnt 0x0
	v_cvt_i32_f32_e32 v16, v1
.LBB47_2579:
	s_mov_b32 s16, 0
.LBB47_2580:
	s_delay_alu instid0(SALU_CYCLE_1)
	s_and_not1_b32 vcc_lo, exec_lo, s16
	s_cbranch_vccnz .LBB47_2582
; %bb.2581:
	global_load_u16 v1, v[32:33], off
	s_wait_loadcnt 0x0
	v_cvt_i16_f16_e32 v16, v1
.LBB47_2582:
	s_mov_b32 s16, 0
.LBB47_2583:
	s_delay_alu instid0(SALU_CYCLE_1)
	s_and_not1_b32 vcc_lo, exec_lo, s16
	s_cbranch_vccnz .LBB47_2603
; %bb.2584:
	s_cmp_lt_i32 s13, 2
	s_cbranch_scc1 .LBB47_2588
; %bb.2585:
	s_cmp_lt_i32 s13, 3
	s_cbranch_scc1 .LBB47_2589
; %bb.2586:
	s_cmp_gt_i32 s13, 3
	s_cbranch_scc0 .LBB47_2590
; %bb.2587:
	s_wait_loadcnt 0x0
	global_load_b64 v[16:17], v[32:33], off
	s_mov_b32 s16, 0
	s_branch .LBB47_2591
.LBB47_2588:
	s_mov_b32 s16, -1
                                        ; implicit-def: $vgpr16
	s_branch .LBB47_2597
.LBB47_2589:
	s_mov_b32 s16, -1
                                        ; implicit-def: $vgpr16
	s_branch .LBB47_2594
.LBB47_2590:
	s_mov_b32 s16, -1
                                        ; implicit-def: $vgpr16
.LBB47_2591:
	s_delay_alu instid0(SALU_CYCLE_1)
	s_and_not1_b32 vcc_lo, exec_lo, s16
	s_cbranch_vccnz .LBB47_2593
; %bb.2592:
	s_wait_loadcnt 0x0
	global_load_b32 v16, v[32:33], off
.LBB47_2593:
	s_mov_b32 s16, 0
.LBB47_2594:
	s_delay_alu instid0(SALU_CYCLE_1)
	s_and_not1_b32 vcc_lo, exec_lo, s16
	s_cbranch_vccnz .LBB47_2596
; %bb.2595:
	s_wait_loadcnt 0x0
	global_load_u16 v16, v[32:33], off
.LBB47_2596:
	s_mov_b32 s16, 0
.LBB47_2597:
	s_delay_alu instid0(SALU_CYCLE_1)
	s_and_not1_b32 vcc_lo, exec_lo, s16
	s_cbranch_vccnz .LBB47_2603
; %bb.2598:
	s_cmp_gt_i32 s13, 0
	s_mov_b32 s16, 0
	s_cbranch_scc0 .LBB47_2600
; %bb.2599:
	s_wait_loadcnt 0x0
	global_load_u8 v16, v[32:33], off
	s_branch .LBB47_2601
.LBB47_2600:
	s_mov_b32 s16, -1
                                        ; implicit-def: $vgpr16
.LBB47_2601:
	s_delay_alu instid0(SALU_CYCLE_1)
	s_and_not1_b32 vcc_lo, exec_lo, s16
	s_cbranch_vccnz .LBB47_2603
; %bb.2602:
	s_wait_loadcnt 0x0
	global_load_u8 v16, v[32:33], off
.LBB47_2603:
	s_mov_b32 s18, -1
.LBB47_2604:
	s_delay_alu instid0(SALU_CYCLE_1)
	s_and_not1_b32 vcc_lo, exec_lo, s18
	s_cbranch_vccnz .LBB47_4058
; %bb.2605:
	v_mov_b32_e32 v23, 0
	s_and_b32 s14, 0xffff, s14
	s_delay_alu instid0(SALU_CYCLE_1) | instskip(SKIP_1) | instid1(VALU_DEP_1)
	s_cmp_lt_i32 s14, 11
	s_wait_xcnt 0x0
	v_add_nc_u64_e32 v[32:33], s[0:1], v[22:23]
	s_cbranch_scc1 .LBB47_2612
; %bb.2606:
	s_cmp_gt_i32 s14, 25
	s_mov_b32 s17, 0
	s_cbranch_scc0 .LBB47_2613
; %bb.2607:
	s_cmp_gt_i32 s14, 28
	s_cbranch_scc0 .LBB47_2614
; %bb.2608:
	s_cmp_gt_i32 s14, 43
	s_cbranch_scc0 .LBB47_2615
; %bb.2609:
	s_cmp_gt_i32 s14, 45
	s_cbranch_scc0 .LBB47_2617
; %bb.2610:
	s_cmp_eq_u32 s14, 46
	s_mov_b32 s19, 0
	s_cbranch_scc0 .LBB47_2618
; %bb.2611:
	global_load_b32 v1, v[32:33], off
	s_mov_b32 s16, 0
	s_mov_b32 s18, -1
	s_wait_loadcnt 0x0
	v_lshlrev_b32_e32 v1, 16, v1
	s_delay_alu instid0(VALU_DEP_1)
	v_cvt_i32_f32_e32 v22, v1
	s_branch .LBB47_2620
.LBB47_2612:
	s_mov_b32 s16, -1
	s_mov_b32 s18, 0
                                        ; implicit-def: $vgpr22
	s_branch .LBB47_2682
.LBB47_2613:
	s_mov_b32 s19, -1
	s_mov_b32 s18, 0
	s_mov_b32 s16, 0
                                        ; implicit-def: $vgpr22
	s_branch .LBB47_2647
.LBB47_2614:
	s_mov_b32 s19, -1
	s_mov_b32 s18, 0
	s_mov_b32 s16, 0
                                        ; implicit-def: $vgpr22
	s_branch .LBB47_2630
.LBB47_2615:
	s_mov_b32 s19, -1
	s_mov_b32 s18, 0
	s_mov_b32 s16, 0
                                        ; implicit-def: $vgpr22
	s_branch .LBB47_2625
.LBB47_2616:
	s_or_b32 s12, s12, exec_lo
	s_trap 2
	s_cbranch_execz .LBB47_2553
	s_branch .LBB47_2554
.LBB47_2617:
	s_mov_b32 s19, -1
	s_mov_b32 s18, 0
	s_mov_b32 s16, 0
	s_branch .LBB47_2619
.LBB47_2618:
	s_mov_b32 s16, -1
	s_mov_b32 s18, 0
.LBB47_2619:
                                        ; implicit-def: $vgpr22
.LBB47_2620:
	s_and_b32 vcc_lo, exec_lo, s19
	s_cbranch_vccz .LBB47_2624
; %bb.2621:
	s_cmp_eq_u32 s14, 44
	s_cbranch_scc0 .LBB47_2623
; %bb.2622:
	global_load_u8 v1, v[32:33], off
	s_mov_b32 s16, 0
	s_mov_b32 s18, -1
	s_wait_loadcnt 0x0
	v_lshlrev_b32_e32 v3, 23, v1
	v_cmp_ne_u32_e32 vcc_lo, 0, v1
	s_delay_alu instid0(VALU_DEP_2) | instskip(NEXT) | instid1(VALU_DEP_1)
	v_cvt_i32_f32_e32 v3, v3
	v_cndmask_b32_e32 v22, 0, v3, vcc_lo
	s_branch .LBB47_2624
.LBB47_2623:
	s_mov_b32 s16, -1
                                        ; implicit-def: $vgpr22
.LBB47_2624:
	s_mov_b32 s19, 0
.LBB47_2625:
	s_delay_alu instid0(SALU_CYCLE_1)
	s_and_b32 vcc_lo, exec_lo, s19
	s_cbranch_vccz .LBB47_2629
; %bb.2626:
	s_cmp_eq_u32 s14, 29
	s_cbranch_scc0 .LBB47_2628
; %bb.2627:
	global_load_b64 v[22:23], v[32:33], off
	s_mov_b32 s16, 0
	s_mov_b32 s18, -1
	s_branch .LBB47_2629
.LBB47_2628:
	s_mov_b32 s16, -1
                                        ; implicit-def: $vgpr22
.LBB47_2629:
	s_mov_b32 s19, 0
.LBB47_2630:
	s_delay_alu instid0(SALU_CYCLE_1)
	s_and_b32 vcc_lo, exec_lo, s19
	s_cbranch_vccz .LBB47_2646
; %bb.2631:
	s_cmp_lt_i32 s14, 27
	s_cbranch_scc1 .LBB47_2634
; %bb.2632:
	s_cmp_gt_i32 s14, 27
	s_cbranch_scc0 .LBB47_2635
; %bb.2633:
	s_wait_loadcnt 0x0
	global_load_b32 v22, v[32:33], off
	s_mov_b32 s18, 0
	s_branch .LBB47_2636
.LBB47_2634:
	s_mov_b32 s18, -1
                                        ; implicit-def: $vgpr22
	s_branch .LBB47_2639
.LBB47_2635:
	s_mov_b32 s18, -1
                                        ; implicit-def: $vgpr22
.LBB47_2636:
	s_delay_alu instid0(SALU_CYCLE_1)
	s_and_not1_b32 vcc_lo, exec_lo, s18
	s_cbranch_vccnz .LBB47_2638
; %bb.2637:
	s_wait_loadcnt 0x0
	global_load_u16 v22, v[32:33], off
.LBB47_2638:
	s_mov_b32 s18, 0
.LBB47_2639:
	s_delay_alu instid0(SALU_CYCLE_1)
	s_and_not1_b32 vcc_lo, exec_lo, s18
	s_cbranch_vccnz .LBB47_2645
; %bb.2640:
	global_load_u8 v1, v[32:33], off
	s_mov_b32 s19, 0
	s_mov_b32 s18, exec_lo
	s_wait_loadcnt 0x0
	v_cmpx_lt_i16_e32 0x7f, v1
	s_xor_b32 s18, exec_lo, s18
	s_cbranch_execz .LBB47_2657
; %bb.2641:
	v_cmp_ne_u16_e32 vcc_lo, 0x80, v1
	s_and_b32 s19, vcc_lo, exec_lo
	s_and_not1_saveexec_b32 s18, s18
	s_cbranch_execnz .LBB47_2658
.LBB47_2642:
	s_or_b32 exec_lo, exec_lo, s18
	v_mov_b32_e32 v22, 0
	s_and_saveexec_b32 s18, s19
	s_cbranch_execz .LBB47_2644
.LBB47_2643:
	v_and_b32_e32 v3, 0xffff, v1
	s_delay_alu instid0(VALU_DEP_1) | instskip(SKIP_1) | instid1(VALU_DEP_2)
	v_dual_lshlrev_b32 v1, 24, v1 :: v_dual_bitop2_b32 v5, 7, v3 bitop3:0x40
	v_bfe_u32 v11, v3, 3, 4
	v_and_b32_e32 v1, 0x80000000, v1
	s_delay_alu instid0(VALU_DEP_3) | instskip(NEXT) | instid1(VALU_DEP_3)
	v_clz_i32_u32_e32 v7, v5
	v_cmp_eq_u32_e32 vcc_lo, 0, v11
	s_delay_alu instid0(VALU_DEP_2) | instskip(NEXT) | instid1(VALU_DEP_1)
	v_min_u32_e32 v7, 32, v7
	v_subrev_nc_u32_e32 v9, 28, v7
	v_sub_nc_u32_e32 v7, 29, v7
	s_delay_alu instid0(VALU_DEP_2) | instskip(NEXT) | instid1(VALU_DEP_2)
	v_lshlrev_b32_e32 v3, v9, v3
	v_cndmask_b32_e32 v7, v11, v7, vcc_lo
	s_delay_alu instid0(VALU_DEP_2) | instskip(NEXT) | instid1(VALU_DEP_1)
	v_and_b32_e32 v3, 7, v3
	v_cndmask_b32_e32 v3, v5, v3, vcc_lo
	s_delay_alu instid0(VALU_DEP_3) | instskip(NEXT) | instid1(VALU_DEP_2)
	v_lshl_add_u32 v5, v7, 23, 0x3b800000
	v_lshlrev_b32_e32 v3, 20, v3
	s_delay_alu instid0(VALU_DEP_1) | instskip(NEXT) | instid1(VALU_DEP_1)
	v_or3_b32 v1, v1, v5, v3
	v_cvt_i32_f32_e32 v22, v1
.LBB47_2644:
	s_or_b32 exec_lo, exec_lo, s18
.LBB47_2645:
	s_mov_b32 s18, -1
.LBB47_2646:
	s_mov_b32 s19, 0
.LBB47_2647:
	s_delay_alu instid0(SALU_CYCLE_1)
	s_and_b32 vcc_lo, exec_lo, s19
	s_cbranch_vccz .LBB47_2678
; %bb.2648:
	s_cmp_gt_i32 s14, 22
	s_cbranch_scc0 .LBB47_2656
; %bb.2649:
	s_cmp_lt_i32 s14, 24
	s_cbranch_scc1 .LBB47_2659
; %bb.2650:
	s_cmp_gt_i32 s14, 24
	s_cbranch_scc0 .LBB47_2660
; %bb.2651:
	global_load_u8 v1, v[32:33], off
	s_mov_b32 s18, 0
	s_mov_b32 s17, exec_lo
	s_wait_loadcnt 0x0
	v_cmpx_lt_i16_e32 0x7f, v1
	s_xor_b32 s17, exec_lo, s17
	s_cbranch_execz .LBB47_2672
; %bb.2652:
	v_cmp_ne_u16_e32 vcc_lo, 0x80, v1
	s_and_b32 s18, vcc_lo, exec_lo
	s_and_not1_saveexec_b32 s17, s17
	s_cbranch_execnz .LBB47_2673
.LBB47_2653:
	s_or_b32 exec_lo, exec_lo, s17
	v_mov_b32_e32 v22, 0
	s_and_saveexec_b32 s17, s18
	s_cbranch_execz .LBB47_2655
.LBB47_2654:
	v_and_b32_e32 v3, 0xffff, v1
	s_delay_alu instid0(VALU_DEP_1) | instskip(SKIP_1) | instid1(VALU_DEP_2)
	v_dual_lshlrev_b32 v1, 24, v1 :: v_dual_bitop2_b32 v5, 3, v3 bitop3:0x40
	v_bfe_u32 v11, v3, 2, 5
	v_and_b32_e32 v1, 0x80000000, v1
	s_delay_alu instid0(VALU_DEP_3) | instskip(NEXT) | instid1(VALU_DEP_3)
	v_clz_i32_u32_e32 v7, v5
	v_cmp_eq_u32_e32 vcc_lo, 0, v11
	s_delay_alu instid0(VALU_DEP_2) | instskip(NEXT) | instid1(VALU_DEP_1)
	v_min_u32_e32 v7, 32, v7
	v_subrev_nc_u32_e32 v9, 29, v7
	v_sub_nc_u32_e32 v7, 30, v7
	s_delay_alu instid0(VALU_DEP_2) | instskip(NEXT) | instid1(VALU_DEP_2)
	v_lshlrev_b32_e32 v3, v9, v3
	v_cndmask_b32_e32 v7, v11, v7, vcc_lo
	s_delay_alu instid0(VALU_DEP_2) | instskip(NEXT) | instid1(VALU_DEP_1)
	v_and_b32_e32 v3, 3, v3
	v_cndmask_b32_e32 v3, v5, v3, vcc_lo
	s_delay_alu instid0(VALU_DEP_3) | instskip(NEXT) | instid1(VALU_DEP_2)
	v_lshl_add_u32 v5, v7, 23, 0x37800000
	v_lshlrev_b32_e32 v3, 21, v3
	s_delay_alu instid0(VALU_DEP_1) | instskip(NEXT) | instid1(VALU_DEP_1)
	v_or3_b32 v1, v1, v5, v3
	v_cvt_i32_f32_e32 v22, v1
.LBB47_2655:
	s_or_b32 exec_lo, exec_lo, s17
	s_mov_b32 s17, 0
	s_branch .LBB47_2661
.LBB47_2656:
	s_mov_b32 s17, -1
                                        ; implicit-def: $vgpr22
	s_branch .LBB47_2667
.LBB47_2657:
	s_and_not1_saveexec_b32 s18, s18
	s_cbranch_execz .LBB47_2642
.LBB47_2658:
	v_cmp_ne_u16_e32 vcc_lo, 0, v1
	s_and_not1_b32 s19, s19, exec_lo
	s_and_b32 s20, vcc_lo, exec_lo
	s_delay_alu instid0(SALU_CYCLE_1)
	s_or_b32 s19, s19, s20
	s_or_b32 exec_lo, exec_lo, s18
	v_mov_b32_e32 v22, 0
	s_and_saveexec_b32 s18, s19
	s_cbranch_execnz .LBB47_2643
	s_branch .LBB47_2644
.LBB47_2659:
	s_mov_b32 s17, -1
                                        ; implicit-def: $vgpr22
	s_branch .LBB47_2664
.LBB47_2660:
	s_mov_b32 s17, -1
                                        ; implicit-def: $vgpr22
.LBB47_2661:
	s_delay_alu instid0(SALU_CYCLE_1)
	s_and_b32 vcc_lo, exec_lo, s17
	s_cbranch_vccz .LBB47_2663
; %bb.2662:
	global_load_u8 v1, v[32:33], off
	s_wait_loadcnt 0x0
	v_lshlrev_b32_e32 v1, 24, v1
	s_delay_alu instid0(VALU_DEP_1) | instskip(NEXT) | instid1(VALU_DEP_1)
	v_and_b32_e32 v3, 0x7f000000, v1
	v_clz_i32_u32_e32 v5, v3
	v_add_nc_u32_e32 v9, 0x1000000, v3
	v_cmp_ne_u32_e32 vcc_lo, 0, v3
	s_delay_alu instid0(VALU_DEP_3) | instskip(NEXT) | instid1(VALU_DEP_1)
	v_min_u32_e32 v5, 32, v5
	v_sub_nc_u32_e64 v5, v5, 4 clamp
	s_delay_alu instid0(VALU_DEP_1) | instskip(NEXT) | instid1(VALU_DEP_1)
	v_dual_lshlrev_b32 v7, v5, v3 :: v_dual_lshlrev_b32 v5, 23, v5
	v_lshrrev_b32_e32 v7, 4, v7
	s_delay_alu instid0(VALU_DEP_1) | instskip(SKIP_1) | instid1(VALU_DEP_2)
	v_sub_nc_u32_e32 v5, v7, v5
	v_ashrrev_i32_e32 v7, 8, v9
	v_add_nc_u32_e32 v5, 0x3c000000, v5
	s_delay_alu instid0(VALU_DEP_1) | instskip(NEXT) | instid1(VALU_DEP_1)
	v_and_or_b32 v5, 0x7f800000, v7, v5
	v_cndmask_b32_e32 v3, 0, v5, vcc_lo
	s_delay_alu instid0(VALU_DEP_1) | instskip(NEXT) | instid1(VALU_DEP_1)
	v_and_or_b32 v1, 0x80000000, v1, v3
	v_cvt_i32_f32_e32 v22, v1
.LBB47_2663:
	s_mov_b32 s17, 0
.LBB47_2664:
	s_delay_alu instid0(SALU_CYCLE_1)
	s_and_not1_b32 vcc_lo, exec_lo, s17
	s_cbranch_vccnz .LBB47_2666
; %bb.2665:
	global_load_u8 v1, v[32:33], off
	s_wait_loadcnt 0x0
	v_lshlrev_b32_e32 v3, 25, v1
	v_lshlrev_b16 v1, 8, v1
	s_delay_alu instid0(VALU_DEP_1) | instskip(SKIP_1) | instid1(VALU_DEP_2)
	v_and_or_b32 v7, 0x7f00, v1, 0.5
	v_bfe_i32 v1, v1, 0, 16
	v_add_f32_e32 v7, -0.5, v7
	v_lshrrev_b32_e32 v5, 4, v3
	v_cmp_gt_u32_e32 vcc_lo, 0x8000000, v3
	s_delay_alu instid0(VALU_DEP_2) | instskip(NEXT) | instid1(VALU_DEP_1)
	v_or_b32_e32 v5, 0x70000000, v5
	v_mul_f32_e32 v5, 0x7800000, v5
	s_delay_alu instid0(VALU_DEP_1) | instskip(NEXT) | instid1(VALU_DEP_1)
	v_cndmask_b32_e32 v3, v5, v7, vcc_lo
	v_and_or_b32 v1, 0x80000000, v1, v3
	s_delay_alu instid0(VALU_DEP_1)
	v_cvt_i32_f32_e32 v22, v1
.LBB47_2666:
	s_mov_b32 s17, 0
	s_mov_b32 s18, -1
.LBB47_2667:
	s_and_not1_b32 vcc_lo, exec_lo, s17
	s_mov_b32 s17, 0
	s_cbranch_vccnz .LBB47_2678
; %bb.2668:
	s_cmp_gt_i32 s14, 14
	s_cbranch_scc0 .LBB47_2671
; %bb.2669:
	s_cmp_eq_u32 s14, 15
	s_cbranch_scc0 .LBB47_2674
; %bb.2670:
	global_load_u16 v1, v[32:33], off
	s_mov_b32 s16, 0
	s_mov_b32 s18, -1
	s_wait_loadcnt 0x0
	v_lshlrev_b32_e32 v1, 16, v1
	s_delay_alu instid0(VALU_DEP_1)
	v_cvt_i32_f32_e32 v22, v1
	s_branch .LBB47_2676
.LBB47_2671:
	s_mov_b32 s17, -1
	s_branch .LBB47_2675
.LBB47_2672:
	s_and_not1_saveexec_b32 s17, s17
	s_cbranch_execz .LBB47_2653
.LBB47_2673:
	v_cmp_ne_u16_e32 vcc_lo, 0, v1
	s_and_not1_b32 s18, s18, exec_lo
	s_and_b32 s19, vcc_lo, exec_lo
	s_delay_alu instid0(SALU_CYCLE_1)
	s_or_b32 s18, s18, s19
	s_or_b32 exec_lo, exec_lo, s17
	v_mov_b32_e32 v22, 0
	s_and_saveexec_b32 s17, s18
	s_cbranch_execnz .LBB47_2654
	s_branch .LBB47_2655
.LBB47_2674:
	s_mov_b32 s16, -1
.LBB47_2675:
                                        ; implicit-def: $vgpr22
.LBB47_2676:
	s_and_b32 vcc_lo, exec_lo, s17
	s_mov_b32 s17, 0
	s_cbranch_vccz .LBB47_2678
; %bb.2677:
	s_cmp_lg_u32 s14, 11
	s_mov_b32 s17, -1
	s_cselect_b32 s16, -1, 0
.LBB47_2678:
	s_delay_alu instid0(SALU_CYCLE_1)
	s_and_b32 vcc_lo, exec_lo, s16
	s_cbranch_vccnz .LBB47_2743
; %bb.2679:
	s_and_not1_b32 vcc_lo, exec_lo, s17
	s_cbranch_vccnz .LBB47_2681
.LBB47_2680:
	global_load_u8 v1, v[32:33], off
	s_mov_b32 s18, -1
	s_wait_loadcnt 0x0
	v_cmp_ne_u16_e32 vcc_lo, 0, v1
	v_cndmask_b32_e64 v22, 0, 1, vcc_lo
.LBB47_2681:
	s_mov_b32 s16, 0
.LBB47_2682:
	s_delay_alu instid0(SALU_CYCLE_1)
	s_and_b32 vcc_lo, exec_lo, s16
	s_cbranch_vccz .LBB47_2731
; %bb.2683:
	s_cmp_lt_i32 s14, 5
	s_cbranch_scc1 .LBB47_2688
; %bb.2684:
	s_cmp_lt_i32 s14, 8
	s_cbranch_scc1 .LBB47_2689
	;; [unrolled: 3-line block ×3, first 2 shown]
; %bb.2686:
	s_cmp_gt_i32 s14, 9
	s_cbranch_scc0 .LBB47_2691
; %bb.2687:
	s_wait_loadcnt 0x0
	global_load_b64 v[22:23], v[32:33], off
	s_mov_b32 s16, 0
	s_wait_loadcnt 0x0
	v_cvt_i32_f64_e32 v22, v[22:23]
	s_branch .LBB47_2692
.LBB47_2688:
	s_mov_b32 s16, -1
                                        ; implicit-def: $vgpr22
	s_branch .LBB47_2710
.LBB47_2689:
	s_mov_b32 s16, -1
                                        ; implicit-def: $vgpr22
	s_branch .LBB47_2698
.LBB47_2690:
	s_mov_b32 s16, -1
                                        ; implicit-def: $vgpr22
	s_branch .LBB47_2695
.LBB47_2691:
	s_mov_b32 s16, -1
                                        ; implicit-def: $vgpr22
.LBB47_2692:
	s_delay_alu instid0(SALU_CYCLE_1)
	s_and_not1_b32 vcc_lo, exec_lo, s16
	s_cbranch_vccnz .LBB47_2694
; %bb.2693:
	global_load_b32 v1, v[32:33], off
	s_wait_loadcnt 0x0
	v_cvt_i32_f32_e32 v22, v1
.LBB47_2694:
	s_mov_b32 s16, 0
.LBB47_2695:
	s_delay_alu instid0(SALU_CYCLE_1)
	s_and_not1_b32 vcc_lo, exec_lo, s16
	s_cbranch_vccnz .LBB47_2697
; %bb.2696:
	global_load_b32 v1, v[32:33], off
	s_wait_loadcnt 0x0
	v_cvt_i16_f16_e32 v22, v1
.LBB47_2697:
	s_mov_b32 s16, 0
.LBB47_2698:
	s_delay_alu instid0(SALU_CYCLE_1)
	s_and_not1_b32 vcc_lo, exec_lo, s16
	s_cbranch_vccnz .LBB47_2709
; %bb.2699:
	s_cmp_lt_i32 s14, 6
	s_cbranch_scc1 .LBB47_2702
; %bb.2700:
	s_cmp_gt_i32 s14, 6
	s_cbranch_scc0 .LBB47_2703
; %bb.2701:
	s_wait_loadcnt 0x0
	global_load_b64 v[22:23], v[32:33], off
	s_mov_b32 s16, 0
	s_wait_loadcnt 0x0
	v_cvt_i32_f64_e32 v22, v[22:23]
	s_branch .LBB47_2704
.LBB47_2702:
	s_mov_b32 s16, -1
                                        ; implicit-def: $vgpr22
	s_branch .LBB47_2707
.LBB47_2703:
	s_mov_b32 s16, -1
                                        ; implicit-def: $vgpr22
.LBB47_2704:
	s_delay_alu instid0(SALU_CYCLE_1)
	s_and_not1_b32 vcc_lo, exec_lo, s16
	s_cbranch_vccnz .LBB47_2706
; %bb.2705:
	global_load_b32 v1, v[32:33], off
	s_wait_loadcnt 0x0
	v_cvt_i32_f32_e32 v22, v1
.LBB47_2706:
	s_mov_b32 s16, 0
.LBB47_2707:
	s_delay_alu instid0(SALU_CYCLE_1)
	s_and_not1_b32 vcc_lo, exec_lo, s16
	s_cbranch_vccnz .LBB47_2709
; %bb.2708:
	global_load_u16 v1, v[32:33], off
	s_wait_loadcnt 0x0
	v_cvt_i16_f16_e32 v22, v1
.LBB47_2709:
	s_mov_b32 s16, 0
.LBB47_2710:
	s_delay_alu instid0(SALU_CYCLE_1)
	s_and_not1_b32 vcc_lo, exec_lo, s16
	s_cbranch_vccnz .LBB47_2730
; %bb.2711:
	s_cmp_lt_i32 s14, 2
	s_cbranch_scc1 .LBB47_2715
; %bb.2712:
	s_cmp_lt_i32 s14, 3
	s_cbranch_scc1 .LBB47_2716
; %bb.2713:
	s_cmp_gt_i32 s14, 3
	s_cbranch_scc0 .LBB47_2717
; %bb.2714:
	s_wait_loadcnt 0x0
	global_load_b64 v[22:23], v[32:33], off
	s_mov_b32 s16, 0
	s_branch .LBB47_2718
.LBB47_2715:
	s_mov_b32 s16, -1
                                        ; implicit-def: $vgpr22
	s_branch .LBB47_2724
.LBB47_2716:
	s_mov_b32 s16, -1
                                        ; implicit-def: $vgpr22
	s_branch .LBB47_2721
.LBB47_2717:
	s_mov_b32 s16, -1
                                        ; implicit-def: $vgpr22
.LBB47_2718:
	s_delay_alu instid0(SALU_CYCLE_1)
	s_and_not1_b32 vcc_lo, exec_lo, s16
	s_cbranch_vccnz .LBB47_2720
; %bb.2719:
	s_wait_loadcnt 0x0
	global_load_b32 v22, v[32:33], off
.LBB47_2720:
	s_mov_b32 s16, 0
.LBB47_2721:
	s_delay_alu instid0(SALU_CYCLE_1)
	s_and_not1_b32 vcc_lo, exec_lo, s16
	s_cbranch_vccnz .LBB47_2723
; %bb.2722:
	s_wait_loadcnt 0x0
	global_load_u16 v22, v[32:33], off
.LBB47_2723:
	s_mov_b32 s16, 0
.LBB47_2724:
	s_delay_alu instid0(SALU_CYCLE_1)
	s_and_not1_b32 vcc_lo, exec_lo, s16
	s_cbranch_vccnz .LBB47_2730
; %bb.2725:
	s_cmp_gt_i32 s14, 0
	s_mov_b32 s16, 0
	s_cbranch_scc0 .LBB47_2727
; %bb.2726:
	s_wait_loadcnt 0x0
	global_load_u8 v22, v[32:33], off
	s_branch .LBB47_2728
.LBB47_2727:
	s_mov_b32 s16, -1
                                        ; implicit-def: $vgpr22
.LBB47_2728:
	s_delay_alu instid0(SALU_CYCLE_1)
	s_and_not1_b32 vcc_lo, exec_lo, s16
	s_cbranch_vccnz .LBB47_2730
; %bb.2729:
	s_wait_loadcnt 0x0
	global_load_u8 v22, v[32:33], off
.LBB47_2730:
	s_mov_b32 s18, -1
.LBB47_2731:
	s_delay_alu instid0(SALU_CYCLE_1)
	s_and_not1_b32 vcc_lo, exec_lo, s18
	s_cbranch_vccnz .LBB47_4058
; %bb.2732:
	v_mov_b32_e32 v29, 0
	s_and_b32 s15, 0xffff, s15
	s_delay_alu instid0(SALU_CYCLE_1) | instskip(SKIP_1) | instid1(VALU_DEP_1)
	s_cmp_lt_i32 s15, 11
	s_wait_xcnt 0x0
	v_add_nc_u64_e32 v[32:33], s[8:9], v[28:29]
	s_cbranch_scc1 .LBB47_2739
; %bb.2733:
	s_cmp_gt_i32 s15, 25
	s_mov_b32 s17, 0
	s_cbranch_scc0 .LBB47_2740
; %bb.2734:
	s_cmp_gt_i32 s15, 28
	s_cbranch_scc0 .LBB47_2741
; %bb.2735:
	s_cmp_gt_i32 s15, 43
	s_cbranch_scc0 .LBB47_2742
; %bb.2736:
	s_cmp_gt_i32 s15, 45
	s_cbranch_scc0 .LBB47_2744
; %bb.2737:
	s_cmp_eq_u32 s15, 46
	s_mov_b32 s19, 0
	s_cbranch_scc0 .LBB47_2747
; %bb.2738:
	global_load_b32 v1, v[32:33], off
	s_mov_b32 s16, 0
	s_mov_b32 s18, -1
	s_wait_loadcnt 0x0
	v_lshlrev_b32_e32 v1, 16, v1
	s_delay_alu instid0(VALU_DEP_1)
	v_cvt_i32_f32_e32 v28, v1
	s_branch .LBB47_2749
.LBB47_2739:
	s_mov_b32 s16, -1
	s_mov_b32 s18, 0
                                        ; implicit-def: $vgpr28
	s_branch .LBB47_2811
.LBB47_2740:
	s_mov_b32 s19, -1
	s_mov_b32 s18, 0
	s_mov_b32 s16, 0
                                        ; implicit-def: $vgpr28
	s_branch .LBB47_2776
.LBB47_2741:
	s_mov_b32 s19, -1
	s_mov_b32 s18, 0
	s_mov_b32 s16, 0
                                        ; implicit-def: $vgpr28
	s_branch .LBB47_2759
.LBB47_2742:
	s_mov_b32 s19, -1
	s_mov_b32 s18, 0
	s_mov_b32 s16, 0
                                        ; implicit-def: $vgpr28
	s_branch .LBB47_2754
.LBB47_2743:
	s_or_b32 s12, s12, exec_lo
	s_trap 2
	s_cbranch_execz .LBB47_2680
	s_branch .LBB47_2681
.LBB47_2744:
	s_mov_b32 s19, -1
	s_mov_b32 s18, 0
	s_mov_b32 s16, 0
	s_branch .LBB47_2748
.LBB47_2745:
	s_and_not1_saveexec_b32 s61, s61
	s_cbranch_execz .LBB47_1462
.LBB47_2746:
	v_add_f32_e64 v5, 0x46000000, |v4|
	s_and_not1_b32 s60, s60, exec_lo
	s_delay_alu instid0(VALU_DEP_1) | instskip(NEXT) | instid1(VALU_DEP_1)
	v_and_b32_e32 v5, 0xff, v5
	v_cmp_ne_u32_e32 vcc_lo, 0, v5
	s_and_b32 s62, vcc_lo, exec_lo
	s_delay_alu instid0(SALU_CYCLE_1)
	s_or_b32 s60, s60, s62
	s_or_b32 exec_lo, exec_lo, s61
	v_mov_b32_e32 v6, 0
	s_and_saveexec_b32 s61, s60
	s_cbranch_execnz .LBB47_1463
	s_branch .LBB47_1464
.LBB47_2747:
	s_mov_b32 s16, -1
	s_mov_b32 s18, 0
.LBB47_2748:
                                        ; implicit-def: $vgpr28
.LBB47_2749:
	s_and_b32 vcc_lo, exec_lo, s19
	s_cbranch_vccz .LBB47_2753
; %bb.2750:
	s_cmp_eq_u32 s15, 44
	s_cbranch_scc0 .LBB47_2752
; %bb.2751:
	global_load_u8 v1, v[32:33], off
	s_mov_b32 s16, 0
	s_mov_b32 s18, -1
	s_wait_loadcnt 0x0
	v_lshlrev_b32_e32 v3, 23, v1
	v_cmp_ne_u32_e32 vcc_lo, 0, v1
	s_delay_alu instid0(VALU_DEP_2) | instskip(NEXT) | instid1(VALU_DEP_1)
	v_cvt_i32_f32_e32 v3, v3
	v_cndmask_b32_e32 v28, 0, v3, vcc_lo
	s_branch .LBB47_2753
.LBB47_2752:
	s_mov_b32 s16, -1
                                        ; implicit-def: $vgpr28
.LBB47_2753:
	s_mov_b32 s19, 0
.LBB47_2754:
	s_delay_alu instid0(SALU_CYCLE_1)
	s_and_b32 vcc_lo, exec_lo, s19
	s_cbranch_vccz .LBB47_2758
; %bb.2755:
	s_cmp_eq_u32 s15, 29
	s_cbranch_scc0 .LBB47_2757
; %bb.2756:
	global_load_b64 v[28:29], v[32:33], off
	s_mov_b32 s16, 0
	s_mov_b32 s18, -1
	s_branch .LBB47_2758
.LBB47_2757:
	s_mov_b32 s16, -1
                                        ; implicit-def: $vgpr28
.LBB47_2758:
	s_mov_b32 s19, 0
.LBB47_2759:
	s_delay_alu instid0(SALU_CYCLE_1)
	s_and_b32 vcc_lo, exec_lo, s19
	s_cbranch_vccz .LBB47_2775
; %bb.2760:
	s_cmp_lt_i32 s15, 27
	s_cbranch_scc1 .LBB47_2763
; %bb.2761:
	s_cmp_gt_i32 s15, 27
	s_cbranch_scc0 .LBB47_2764
; %bb.2762:
	s_wait_loadcnt 0x0
	global_load_b32 v28, v[32:33], off
	s_mov_b32 s18, 0
	s_branch .LBB47_2765
.LBB47_2763:
	s_mov_b32 s18, -1
                                        ; implicit-def: $vgpr28
	s_branch .LBB47_2768
.LBB47_2764:
	s_mov_b32 s18, -1
                                        ; implicit-def: $vgpr28
.LBB47_2765:
	s_delay_alu instid0(SALU_CYCLE_1)
	s_and_not1_b32 vcc_lo, exec_lo, s18
	s_cbranch_vccnz .LBB47_2767
; %bb.2766:
	s_wait_loadcnt 0x0
	global_load_u16 v28, v[32:33], off
.LBB47_2767:
	s_mov_b32 s18, 0
.LBB47_2768:
	s_delay_alu instid0(SALU_CYCLE_1)
	s_and_not1_b32 vcc_lo, exec_lo, s18
	s_cbranch_vccnz .LBB47_2774
; %bb.2769:
	global_load_u8 v1, v[32:33], off
	s_mov_b32 s19, 0
	s_mov_b32 s18, exec_lo
	s_wait_loadcnt 0x0
	v_cmpx_lt_i16_e32 0x7f, v1
	s_xor_b32 s18, exec_lo, s18
	s_cbranch_execz .LBB47_2786
; %bb.2770:
	v_cmp_ne_u16_e32 vcc_lo, 0x80, v1
	s_and_b32 s19, vcc_lo, exec_lo
	s_and_not1_saveexec_b32 s18, s18
	s_cbranch_execnz .LBB47_2787
.LBB47_2771:
	s_or_b32 exec_lo, exec_lo, s18
	v_mov_b32_e32 v28, 0
	s_and_saveexec_b32 s18, s19
	s_cbranch_execz .LBB47_2773
.LBB47_2772:
	v_and_b32_e32 v3, 0xffff, v1
	s_delay_alu instid0(VALU_DEP_1) | instskip(SKIP_1) | instid1(VALU_DEP_2)
	v_dual_lshlrev_b32 v1, 24, v1 :: v_dual_bitop2_b32 v5, 7, v3 bitop3:0x40
	v_bfe_u32 v11, v3, 3, 4
	v_and_b32_e32 v1, 0x80000000, v1
	s_delay_alu instid0(VALU_DEP_3) | instskip(NEXT) | instid1(VALU_DEP_3)
	v_clz_i32_u32_e32 v7, v5
	v_cmp_eq_u32_e32 vcc_lo, 0, v11
	s_delay_alu instid0(VALU_DEP_2) | instskip(NEXT) | instid1(VALU_DEP_1)
	v_min_u32_e32 v7, 32, v7
	v_subrev_nc_u32_e32 v9, 28, v7
	v_sub_nc_u32_e32 v7, 29, v7
	s_delay_alu instid0(VALU_DEP_2) | instskip(NEXT) | instid1(VALU_DEP_2)
	v_lshlrev_b32_e32 v3, v9, v3
	v_cndmask_b32_e32 v7, v11, v7, vcc_lo
	s_delay_alu instid0(VALU_DEP_2) | instskip(NEXT) | instid1(VALU_DEP_1)
	v_and_b32_e32 v3, 7, v3
	v_cndmask_b32_e32 v3, v5, v3, vcc_lo
	s_delay_alu instid0(VALU_DEP_3) | instskip(NEXT) | instid1(VALU_DEP_2)
	v_lshl_add_u32 v5, v7, 23, 0x3b800000
	v_lshlrev_b32_e32 v3, 20, v3
	s_delay_alu instid0(VALU_DEP_1) | instskip(NEXT) | instid1(VALU_DEP_1)
	v_or3_b32 v1, v1, v5, v3
	v_cvt_i32_f32_e32 v28, v1
.LBB47_2773:
	s_or_b32 exec_lo, exec_lo, s18
.LBB47_2774:
	s_mov_b32 s18, -1
.LBB47_2775:
	s_mov_b32 s19, 0
.LBB47_2776:
	s_delay_alu instid0(SALU_CYCLE_1)
	s_and_b32 vcc_lo, exec_lo, s19
	s_cbranch_vccz .LBB47_2807
; %bb.2777:
	s_cmp_gt_i32 s15, 22
	s_cbranch_scc0 .LBB47_2785
; %bb.2778:
	s_cmp_lt_i32 s15, 24
	s_cbranch_scc1 .LBB47_2788
; %bb.2779:
	s_cmp_gt_i32 s15, 24
	s_cbranch_scc0 .LBB47_2789
; %bb.2780:
	global_load_u8 v1, v[32:33], off
	s_mov_b32 s18, 0
	s_mov_b32 s17, exec_lo
	s_wait_loadcnt 0x0
	v_cmpx_lt_i16_e32 0x7f, v1
	s_xor_b32 s17, exec_lo, s17
	s_cbranch_execz .LBB47_2801
; %bb.2781:
	v_cmp_ne_u16_e32 vcc_lo, 0x80, v1
	s_and_b32 s18, vcc_lo, exec_lo
	s_and_not1_saveexec_b32 s17, s17
	s_cbranch_execnz .LBB47_2802
.LBB47_2782:
	s_or_b32 exec_lo, exec_lo, s17
	v_mov_b32_e32 v28, 0
	s_and_saveexec_b32 s17, s18
	s_cbranch_execz .LBB47_2784
.LBB47_2783:
	v_and_b32_e32 v3, 0xffff, v1
	s_delay_alu instid0(VALU_DEP_1) | instskip(SKIP_1) | instid1(VALU_DEP_2)
	v_dual_lshlrev_b32 v1, 24, v1 :: v_dual_bitop2_b32 v5, 3, v3 bitop3:0x40
	v_bfe_u32 v11, v3, 2, 5
	v_and_b32_e32 v1, 0x80000000, v1
	s_delay_alu instid0(VALU_DEP_3) | instskip(NEXT) | instid1(VALU_DEP_3)
	v_clz_i32_u32_e32 v7, v5
	v_cmp_eq_u32_e32 vcc_lo, 0, v11
	s_delay_alu instid0(VALU_DEP_2) | instskip(NEXT) | instid1(VALU_DEP_1)
	v_min_u32_e32 v7, 32, v7
	v_subrev_nc_u32_e32 v9, 29, v7
	v_sub_nc_u32_e32 v7, 30, v7
	s_delay_alu instid0(VALU_DEP_2) | instskip(NEXT) | instid1(VALU_DEP_2)
	v_lshlrev_b32_e32 v3, v9, v3
	v_cndmask_b32_e32 v7, v11, v7, vcc_lo
	s_delay_alu instid0(VALU_DEP_2) | instskip(NEXT) | instid1(VALU_DEP_1)
	v_and_b32_e32 v3, 3, v3
	v_cndmask_b32_e32 v3, v5, v3, vcc_lo
	s_delay_alu instid0(VALU_DEP_3) | instskip(NEXT) | instid1(VALU_DEP_2)
	v_lshl_add_u32 v5, v7, 23, 0x37800000
	v_lshlrev_b32_e32 v3, 21, v3
	s_delay_alu instid0(VALU_DEP_1) | instskip(NEXT) | instid1(VALU_DEP_1)
	v_or3_b32 v1, v1, v5, v3
	v_cvt_i32_f32_e32 v28, v1
.LBB47_2784:
	s_or_b32 exec_lo, exec_lo, s17
	s_mov_b32 s17, 0
	s_branch .LBB47_2790
.LBB47_2785:
	s_mov_b32 s17, -1
                                        ; implicit-def: $vgpr28
	s_branch .LBB47_2796
.LBB47_2786:
	s_and_not1_saveexec_b32 s18, s18
	s_cbranch_execz .LBB47_2771
.LBB47_2787:
	v_cmp_ne_u16_e32 vcc_lo, 0, v1
	s_and_not1_b32 s19, s19, exec_lo
	s_and_b32 s20, vcc_lo, exec_lo
	s_delay_alu instid0(SALU_CYCLE_1)
	s_or_b32 s19, s19, s20
	s_or_b32 exec_lo, exec_lo, s18
	v_mov_b32_e32 v28, 0
	s_and_saveexec_b32 s18, s19
	s_cbranch_execnz .LBB47_2772
	s_branch .LBB47_2773
.LBB47_2788:
	s_mov_b32 s17, -1
                                        ; implicit-def: $vgpr28
	s_branch .LBB47_2793
.LBB47_2789:
	s_mov_b32 s17, -1
                                        ; implicit-def: $vgpr28
.LBB47_2790:
	s_delay_alu instid0(SALU_CYCLE_1)
	s_and_b32 vcc_lo, exec_lo, s17
	s_cbranch_vccz .LBB47_2792
; %bb.2791:
	global_load_u8 v1, v[32:33], off
	s_wait_loadcnt 0x0
	v_lshlrev_b32_e32 v1, 24, v1
	s_delay_alu instid0(VALU_DEP_1) | instskip(NEXT) | instid1(VALU_DEP_1)
	v_and_b32_e32 v3, 0x7f000000, v1
	v_clz_i32_u32_e32 v5, v3
	v_add_nc_u32_e32 v9, 0x1000000, v3
	v_cmp_ne_u32_e32 vcc_lo, 0, v3
	s_delay_alu instid0(VALU_DEP_3) | instskip(NEXT) | instid1(VALU_DEP_1)
	v_min_u32_e32 v5, 32, v5
	v_sub_nc_u32_e64 v5, v5, 4 clamp
	s_delay_alu instid0(VALU_DEP_1) | instskip(NEXT) | instid1(VALU_DEP_1)
	v_dual_lshlrev_b32 v7, v5, v3 :: v_dual_lshlrev_b32 v5, 23, v5
	v_lshrrev_b32_e32 v7, 4, v7
	s_delay_alu instid0(VALU_DEP_1) | instskip(SKIP_1) | instid1(VALU_DEP_2)
	v_sub_nc_u32_e32 v5, v7, v5
	v_ashrrev_i32_e32 v7, 8, v9
	v_add_nc_u32_e32 v5, 0x3c000000, v5
	s_delay_alu instid0(VALU_DEP_1) | instskip(NEXT) | instid1(VALU_DEP_1)
	v_and_or_b32 v5, 0x7f800000, v7, v5
	v_cndmask_b32_e32 v3, 0, v5, vcc_lo
	s_delay_alu instid0(VALU_DEP_1) | instskip(NEXT) | instid1(VALU_DEP_1)
	v_and_or_b32 v1, 0x80000000, v1, v3
	v_cvt_i32_f32_e32 v28, v1
.LBB47_2792:
	s_mov_b32 s17, 0
.LBB47_2793:
	s_delay_alu instid0(SALU_CYCLE_1)
	s_and_not1_b32 vcc_lo, exec_lo, s17
	s_cbranch_vccnz .LBB47_2795
; %bb.2794:
	global_load_u8 v1, v[32:33], off
	s_wait_loadcnt 0x0
	v_lshlrev_b32_e32 v3, 25, v1
	v_lshlrev_b16 v1, 8, v1
	s_delay_alu instid0(VALU_DEP_1) | instskip(SKIP_1) | instid1(VALU_DEP_2)
	v_and_or_b32 v7, 0x7f00, v1, 0.5
	v_bfe_i32 v1, v1, 0, 16
	v_add_f32_e32 v7, -0.5, v7
	v_lshrrev_b32_e32 v5, 4, v3
	v_cmp_gt_u32_e32 vcc_lo, 0x8000000, v3
	s_delay_alu instid0(VALU_DEP_2) | instskip(NEXT) | instid1(VALU_DEP_1)
	v_or_b32_e32 v5, 0x70000000, v5
	v_mul_f32_e32 v5, 0x7800000, v5
	s_delay_alu instid0(VALU_DEP_1) | instskip(NEXT) | instid1(VALU_DEP_1)
	v_cndmask_b32_e32 v3, v5, v7, vcc_lo
	v_and_or_b32 v1, 0x80000000, v1, v3
	s_delay_alu instid0(VALU_DEP_1)
	v_cvt_i32_f32_e32 v28, v1
.LBB47_2795:
	s_mov_b32 s17, 0
	s_mov_b32 s18, -1
.LBB47_2796:
	s_and_not1_b32 vcc_lo, exec_lo, s17
	s_mov_b32 s17, 0
	s_cbranch_vccnz .LBB47_2807
; %bb.2797:
	s_cmp_gt_i32 s15, 14
	s_cbranch_scc0 .LBB47_2800
; %bb.2798:
	s_cmp_eq_u32 s15, 15
	s_cbranch_scc0 .LBB47_2803
; %bb.2799:
	global_load_u16 v1, v[32:33], off
	s_mov_b32 s16, 0
	s_mov_b32 s18, -1
	s_wait_loadcnt 0x0
	v_lshlrev_b32_e32 v1, 16, v1
	s_delay_alu instid0(VALU_DEP_1)
	v_cvt_i32_f32_e32 v28, v1
	s_branch .LBB47_2805
.LBB47_2800:
	s_mov_b32 s17, -1
	s_branch .LBB47_2804
.LBB47_2801:
	s_and_not1_saveexec_b32 s17, s17
	s_cbranch_execz .LBB47_2782
.LBB47_2802:
	v_cmp_ne_u16_e32 vcc_lo, 0, v1
	s_and_not1_b32 s18, s18, exec_lo
	s_and_b32 s19, vcc_lo, exec_lo
	s_delay_alu instid0(SALU_CYCLE_1)
	s_or_b32 s18, s18, s19
	s_or_b32 exec_lo, exec_lo, s17
	v_mov_b32_e32 v28, 0
	s_and_saveexec_b32 s17, s18
	s_cbranch_execnz .LBB47_2783
	s_branch .LBB47_2784
.LBB47_2803:
	s_mov_b32 s16, -1
.LBB47_2804:
                                        ; implicit-def: $vgpr28
.LBB47_2805:
	s_and_b32 vcc_lo, exec_lo, s17
	s_mov_b32 s17, 0
	s_cbranch_vccz .LBB47_2807
; %bb.2806:
	s_cmp_lg_u32 s15, 11
	s_mov_b32 s17, -1
	s_cselect_b32 s16, -1, 0
.LBB47_2807:
	s_delay_alu instid0(SALU_CYCLE_1)
	s_and_b32 vcc_lo, exec_lo, s16
	s_cbranch_vccnz .LBB47_2872
; %bb.2808:
	s_and_not1_b32 vcc_lo, exec_lo, s17
	s_cbranch_vccnz .LBB47_2810
.LBB47_2809:
	global_load_u8 v1, v[32:33], off
	s_mov_b32 s18, -1
	s_wait_loadcnt 0x0
	v_cmp_ne_u16_e32 vcc_lo, 0, v1
	v_cndmask_b32_e64 v28, 0, 1, vcc_lo
.LBB47_2810:
	s_mov_b32 s16, 0
.LBB47_2811:
	s_delay_alu instid0(SALU_CYCLE_1)
	s_and_b32 vcc_lo, exec_lo, s16
	s_cbranch_vccz .LBB47_2860
; %bb.2812:
	s_cmp_lt_i32 s15, 5
	s_cbranch_scc1 .LBB47_2817
; %bb.2813:
	s_cmp_lt_i32 s15, 8
	s_cbranch_scc1 .LBB47_2818
	;; [unrolled: 3-line block ×3, first 2 shown]
; %bb.2815:
	s_cmp_gt_i32 s15, 9
	s_cbranch_scc0 .LBB47_2820
; %bb.2816:
	s_wait_loadcnt 0x0
	global_load_b64 v[28:29], v[32:33], off
	s_mov_b32 s16, 0
	s_wait_loadcnt 0x0
	v_cvt_i32_f64_e32 v28, v[28:29]
	s_branch .LBB47_2821
.LBB47_2817:
	s_mov_b32 s16, -1
                                        ; implicit-def: $vgpr28
	s_branch .LBB47_2839
.LBB47_2818:
	s_mov_b32 s16, -1
                                        ; implicit-def: $vgpr28
	s_branch .LBB47_2827
.LBB47_2819:
	s_mov_b32 s16, -1
                                        ; implicit-def: $vgpr28
	s_branch .LBB47_2824
.LBB47_2820:
	s_mov_b32 s16, -1
                                        ; implicit-def: $vgpr28
.LBB47_2821:
	s_delay_alu instid0(SALU_CYCLE_1)
	s_and_not1_b32 vcc_lo, exec_lo, s16
	s_cbranch_vccnz .LBB47_2823
; %bb.2822:
	global_load_b32 v1, v[32:33], off
	s_wait_loadcnt 0x0
	v_cvt_i32_f32_e32 v28, v1
.LBB47_2823:
	s_mov_b32 s16, 0
.LBB47_2824:
	s_delay_alu instid0(SALU_CYCLE_1)
	s_and_not1_b32 vcc_lo, exec_lo, s16
	s_cbranch_vccnz .LBB47_2826
; %bb.2825:
	global_load_b32 v1, v[32:33], off
	s_wait_loadcnt 0x0
	v_cvt_i16_f16_e32 v28, v1
.LBB47_2826:
	s_mov_b32 s16, 0
.LBB47_2827:
	s_delay_alu instid0(SALU_CYCLE_1)
	s_and_not1_b32 vcc_lo, exec_lo, s16
	s_cbranch_vccnz .LBB47_2838
; %bb.2828:
	s_cmp_lt_i32 s15, 6
	s_cbranch_scc1 .LBB47_2831
; %bb.2829:
	s_cmp_gt_i32 s15, 6
	s_cbranch_scc0 .LBB47_2832
; %bb.2830:
	s_wait_loadcnt 0x0
	global_load_b64 v[28:29], v[32:33], off
	s_mov_b32 s16, 0
	s_wait_loadcnt 0x0
	v_cvt_i32_f64_e32 v28, v[28:29]
	s_branch .LBB47_2833
.LBB47_2831:
	s_mov_b32 s16, -1
                                        ; implicit-def: $vgpr28
	s_branch .LBB47_2836
.LBB47_2832:
	s_mov_b32 s16, -1
                                        ; implicit-def: $vgpr28
.LBB47_2833:
	s_delay_alu instid0(SALU_CYCLE_1)
	s_and_not1_b32 vcc_lo, exec_lo, s16
	s_cbranch_vccnz .LBB47_2835
; %bb.2834:
	global_load_b32 v1, v[32:33], off
	s_wait_loadcnt 0x0
	v_cvt_i32_f32_e32 v28, v1
.LBB47_2835:
	s_mov_b32 s16, 0
.LBB47_2836:
	s_delay_alu instid0(SALU_CYCLE_1)
	s_and_not1_b32 vcc_lo, exec_lo, s16
	s_cbranch_vccnz .LBB47_2838
; %bb.2837:
	global_load_u16 v1, v[32:33], off
	s_wait_loadcnt 0x0
	v_cvt_i16_f16_e32 v28, v1
.LBB47_2838:
	s_mov_b32 s16, 0
.LBB47_2839:
	s_delay_alu instid0(SALU_CYCLE_1)
	s_and_not1_b32 vcc_lo, exec_lo, s16
	s_cbranch_vccnz .LBB47_2859
; %bb.2840:
	s_cmp_lt_i32 s15, 2
	s_cbranch_scc1 .LBB47_2844
; %bb.2841:
	s_cmp_lt_i32 s15, 3
	s_cbranch_scc1 .LBB47_2845
; %bb.2842:
	s_cmp_gt_i32 s15, 3
	s_cbranch_scc0 .LBB47_2846
; %bb.2843:
	s_wait_loadcnt 0x0
	global_load_b64 v[28:29], v[32:33], off
	s_mov_b32 s16, 0
	s_branch .LBB47_2847
.LBB47_2844:
	s_mov_b32 s16, -1
                                        ; implicit-def: $vgpr28
	s_branch .LBB47_2853
.LBB47_2845:
	s_mov_b32 s16, -1
                                        ; implicit-def: $vgpr28
	s_branch .LBB47_2850
.LBB47_2846:
	s_mov_b32 s16, -1
                                        ; implicit-def: $vgpr28
.LBB47_2847:
	s_delay_alu instid0(SALU_CYCLE_1)
	s_and_not1_b32 vcc_lo, exec_lo, s16
	s_cbranch_vccnz .LBB47_2849
; %bb.2848:
	s_wait_loadcnt 0x0
	global_load_b32 v28, v[32:33], off
.LBB47_2849:
	s_mov_b32 s16, 0
.LBB47_2850:
	s_delay_alu instid0(SALU_CYCLE_1)
	s_and_not1_b32 vcc_lo, exec_lo, s16
	s_cbranch_vccnz .LBB47_2852
; %bb.2851:
	s_wait_loadcnt 0x0
	global_load_u16 v28, v[32:33], off
.LBB47_2852:
	s_mov_b32 s16, 0
.LBB47_2853:
	s_delay_alu instid0(SALU_CYCLE_1)
	s_and_not1_b32 vcc_lo, exec_lo, s16
	s_cbranch_vccnz .LBB47_2859
; %bb.2854:
	s_cmp_gt_i32 s15, 0
	s_mov_b32 s16, 0
	s_cbranch_scc0 .LBB47_2856
; %bb.2855:
	s_wait_loadcnt 0x0
	global_load_u8 v28, v[32:33], off
	s_branch .LBB47_2857
.LBB47_2856:
	s_mov_b32 s16, -1
                                        ; implicit-def: $vgpr28
.LBB47_2857:
	s_delay_alu instid0(SALU_CYCLE_1)
	s_and_not1_b32 vcc_lo, exec_lo, s16
	s_cbranch_vccnz .LBB47_2859
; %bb.2858:
	s_wait_loadcnt 0x0
	global_load_u8 v28, v[32:33], off
.LBB47_2859:
	s_mov_b32 s18, -1
.LBB47_2860:
	s_delay_alu instid0(SALU_CYCLE_1)
	s_and_not1_b32 vcc_lo, exec_lo, s18
	s_cbranch_vccnz .LBB47_4058
; %bb.2861:
	v_mov_b32_e32 v27, 0
	s_cmp_lt_i32 s13, 11
	s_wait_xcnt 0x0
	s_delay_alu instid0(VALU_DEP_1)
	v_add_nc_u64_e32 v[32:33], s[6:7], v[26:27]
	s_cbranch_scc1 .LBB47_2868
; %bb.2862:
	s_cmp_gt_i32 s13, 25
	s_mov_b32 s17, 0
	s_cbranch_scc0 .LBB47_2869
; %bb.2863:
	s_cmp_gt_i32 s13, 28
	s_cbranch_scc0 .LBB47_2870
; %bb.2864:
	s_cmp_gt_i32 s13, 43
	;; [unrolled: 3-line block ×3, first 2 shown]
	s_cbranch_scc0 .LBB47_2873
; %bb.2866:
	s_cmp_eq_u32 s13, 46
	s_mov_b32 s19, 0
	s_cbranch_scc0 .LBB47_2876
; %bb.2867:
	global_load_b32 v1, v[32:33], off
	s_mov_b32 s16, 0
	s_mov_b32 s18, -1
	s_wait_loadcnt 0x0
	v_lshlrev_b32_e32 v1, 16, v1
	s_delay_alu instid0(VALU_DEP_1)
	v_cvt_i32_f32_e32 v26, v1
	s_branch .LBB47_2878
.LBB47_2868:
	s_mov_b32 s16, -1
	s_mov_b32 s18, 0
                                        ; implicit-def: $vgpr26
	s_branch .LBB47_2940
.LBB47_2869:
	s_mov_b32 s19, -1
	s_mov_b32 s18, 0
	s_mov_b32 s16, 0
                                        ; implicit-def: $vgpr26
	s_branch .LBB47_2905
.LBB47_2870:
	s_mov_b32 s19, -1
	s_mov_b32 s18, 0
	s_mov_b32 s16, 0
                                        ; implicit-def: $vgpr26
	s_branch .LBB47_2888
.LBB47_2871:
	s_mov_b32 s19, -1
	s_mov_b32 s18, 0
	s_mov_b32 s16, 0
                                        ; implicit-def: $vgpr26
	s_branch .LBB47_2883
.LBB47_2872:
	s_or_b32 s12, s12, exec_lo
	s_trap 2
	s_cbranch_execz .LBB47_2809
	s_branch .LBB47_2810
.LBB47_2873:
	s_mov_b32 s19, -1
	s_mov_b32 s18, 0
	s_mov_b32 s16, 0
	s_branch .LBB47_2877
.LBB47_2874:
	s_and_not1_saveexec_b32 s61, s61
	s_cbranch_execz .LBB47_1475
.LBB47_2875:
	v_add_f32_e64 v5, 0x42800000, |v4|
	s_and_not1_b32 s60, s60, exec_lo
	s_delay_alu instid0(VALU_DEP_1) | instskip(NEXT) | instid1(VALU_DEP_1)
	v_and_b32_e32 v5, 0xff, v5
	v_cmp_ne_u32_e32 vcc_lo, 0, v5
	s_and_b32 s62, vcc_lo, exec_lo
	s_delay_alu instid0(SALU_CYCLE_1)
	s_or_b32 s60, s60, s62
	s_or_b32 exec_lo, exec_lo, s61
	v_mov_b32_e32 v6, 0
	s_and_saveexec_b32 s61, s60
	s_cbranch_execnz .LBB47_1476
	s_branch .LBB47_1477
.LBB47_2876:
	s_mov_b32 s16, -1
	s_mov_b32 s18, 0
.LBB47_2877:
                                        ; implicit-def: $vgpr26
.LBB47_2878:
	s_and_b32 vcc_lo, exec_lo, s19
	s_cbranch_vccz .LBB47_2882
; %bb.2879:
	s_cmp_eq_u32 s13, 44
	s_cbranch_scc0 .LBB47_2881
; %bb.2880:
	global_load_u8 v1, v[32:33], off
	s_mov_b32 s16, 0
	s_mov_b32 s18, -1
	s_wait_loadcnt 0x0
	v_lshlrev_b32_e32 v3, 23, v1
	v_cmp_ne_u32_e32 vcc_lo, 0, v1
	s_delay_alu instid0(VALU_DEP_2) | instskip(NEXT) | instid1(VALU_DEP_1)
	v_cvt_i32_f32_e32 v3, v3
	v_cndmask_b32_e32 v26, 0, v3, vcc_lo
	s_branch .LBB47_2882
.LBB47_2881:
	s_mov_b32 s16, -1
                                        ; implicit-def: $vgpr26
.LBB47_2882:
	s_mov_b32 s19, 0
.LBB47_2883:
	s_delay_alu instid0(SALU_CYCLE_1)
	s_and_b32 vcc_lo, exec_lo, s19
	s_cbranch_vccz .LBB47_2887
; %bb.2884:
	s_cmp_eq_u32 s13, 29
	s_cbranch_scc0 .LBB47_2886
; %bb.2885:
	global_load_b64 v[26:27], v[32:33], off
	s_mov_b32 s16, 0
	s_mov_b32 s18, -1
	s_branch .LBB47_2887
.LBB47_2886:
	s_mov_b32 s16, -1
                                        ; implicit-def: $vgpr26
.LBB47_2887:
	s_mov_b32 s19, 0
.LBB47_2888:
	s_delay_alu instid0(SALU_CYCLE_1)
	s_and_b32 vcc_lo, exec_lo, s19
	s_cbranch_vccz .LBB47_2904
; %bb.2889:
	s_cmp_lt_i32 s13, 27
	s_cbranch_scc1 .LBB47_2892
; %bb.2890:
	s_cmp_gt_i32 s13, 27
	s_cbranch_scc0 .LBB47_2893
; %bb.2891:
	s_wait_loadcnt 0x0
	global_load_b32 v26, v[32:33], off
	s_mov_b32 s18, 0
	s_branch .LBB47_2894
.LBB47_2892:
	s_mov_b32 s18, -1
                                        ; implicit-def: $vgpr26
	s_branch .LBB47_2897
.LBB47_2893:
	s_mov_b32 s18, -1
                                        ; implicit-def: $vgpr26
.LBB47_2894:
	s_delay_alu instid0(SALU_CYCLE_1)
	s_and_not1_b32 vcc_lo, exec_lo, s18
	s_cbranch_vccnz .LBB47_2896
; %bb.2895:
	s_wait_loadcnt 0x0
	global_load_u16 v26, v[32:33], off
.LBB47_2896:
	s_mov_b32 s18, 0
.LBB47_2897:
	s_delay_alu instid0(SALU_CYCLE_1)
	s_and_not1_b32 vcc_lo, exec_lo, s18
	s_cbranch_vccnz .LBB47_2903
; %bb.2898:
	global_load_u8 v1, v[32:33], off
	s_mov_b32 s19, 0
	s_mov_b32 s18, exec_lo
	s_wait_loadcnt 0x0
	v_cmpx_lt_i16_e32 0x7f, v1
	s_xor_b32 s18, exec_lo, s18
	s_cbranch_execz .LBB47_2915
; %bb.2899:
	v_cmp_ne_u16_e32 vcc_lo, 0x80, v1
	s_and_b32 s19, vcc_lo, exec_lo
	s_and_not1_saveexec_b32 s18, s18
	s_cbranch_execnz .LBB47_2916
.LBB47_2900:
	s_or_b32 exec_lo, exec_lo, s18
	v_mov_b32_e32 v26, 0
	s_and_saveexec_b32 s18, s19
	s_cbranch_execz .LBB47_2902
.LBB47_2901:
	v_and_b32_e32 v3, 0xffff, v1
	s_delay_alu instid0(VALU_DEP_1) | instskip(SKIP_1) | instid1(VALU_DEP_2)
	v_dual_lshlrev_b32 v1, 24, v1 :: v_dual_bitop2_b32 v5, 7, v3 bitop3:0x40
	v_bfe_u32 v11, v3, 3, 4
	v_and_b32_e32 v1, 0x80000000, v1
	s_delay_alu instid0(VALU_DEP_3) | instskip(NEXT) | instid1(VALU_DEP_3)
	v_clz_i32_u32_e32 v7, v5
	v_cmp_eq_u32_e32 vcc_lo, 0, v11
	s_delay_alu instid0(VALU_DEP_2) | instskip(NEXT) | instid1(VALU_DEP_1)
	v_min_u32_e32 v7, 32, v7
	v_subrev_nc_u32_e32 v9, 28, v7
	v_sub_nc_u32_e32 v7, 29, v7
	s_delay_alu instid0(VALU_DEP_2) | instskip(NEXT) | instid1(VALU_DEP_2)
	v_lshlrev_b32_e32 v3, v9, v3
	v_cndmask_b32_e32 v7, v11, v7, vcc_lo
	s_delay_alu instid0(VALU_DEP_2) | instskip(NEXT) | instid1(VALU_DEP_1)
	v_and_b32_e32 v3, 7, v3
	v_cndmask_b32_e32 v3, v5, v3, vcc_lo
	s_delay_alu instid0(VALU_DEP_3) | instskip(NEXT) | instid1(VALU_DEP_2)
	v_lshl_add_u32 v5, v7, 23, 0x3b800000
	v_lshlrev_b32_e32 v3, 20, v3
	s_delay_alu instid0(VALU_DEP_1) | instskip(NEXT) | instid1(VALU_DEP_1)
	v_or3_b32 v1, v1, v5, v3
	v_cvt_i32_f32_e32 v26, v1
.LBB47_2902:
	s_or_b32 exec_lo, exec_lo, s18
.LBB47_2903:
	s_mov_b32 s18, -1
.LBB47_2904:
	s_mov_b32 s19, 0
.LBB47_2905:
	s_delay_alu instid0(SALU_CYCLE_1)
	s_and_b32 vcc_lo, exec_lo, s19
	s_cbranch_vccz .LBB47_2936
; %bb.2906:
	s_cmp_gt_i32 s13, 22
	s_cbranch_scc0 .LBB47_2914
; %bb.2907:
	s_cmp_lt_i32 s13, 24
	s_cbranch_scc1 .LBB47_2917
; %bb.2908:
	s_cmp_gt_i32 s13, 24
	s_cbranch_scc0 .LBB47_2918
; %bb.2909:
	global_load_u8 v1, v[32:33], off
	s_mov_b32 s18, 0
	s_mov_b32 s17, exec_lo
	s_wait_loadcnt 0x0
	v_cmpx_lt_i16_e32 0x7f, v1
	s_xor_b32 s17, exec_lo, s17
	s_cbranch_execz .LBB47_2930
; %bb.2910:
	v_cmp_ne_u16_e32 vcc_lo, 0x80, v1
	s_and_b32 s18, vcc_lo, exec_lo
	s_and_not1_saveexec_b32 s17, s17
	s_cbranch_execnz .LBB47_2931
.LBB47_2911:
	s_or_b32 exec_lo, exec_lo, s17
	v_mov_b32_e32 v26, 0
	s_and_saveexec_b32 s17, s18
	s_cbranch_execz .LBB47_2913
.LBB47_2912:
	v_and_b32_e32 v3, 0xffff, v1
	s_delay_alu instid0(VALU_DEP_1) | instskip(SKIP_1) | instid1(VALU_DEP_2)
	v_dual_lshlrev_b32 v1, 24, v1 :: v_dual_bitop2_b32 v5, 3, v3 bitop3:0x40
	v_bfe_u32 v11, v3, 2, 5
	v_and_b32_e32 v1, 0x80000000, v1
	s_delay_alu instid0(VALU_DEP_3) | instskip(NEXT) | instid1(VALU_DEP_3)
	v_clz_i32_u32_e32 v7, v5
	v_cmp_eq_u32_e32 vcc_lo, 0, v11
	s_delay_alu instid0(VALU_DEP_2) | instskip(NEXT) | instid1(VALU_DEP_1)
	v_min_u32_e32 v7, 32, v7
	v_subrev_nc_u32_e32 v9, 29, v7
	v_sub_nc_u32_e32 v7, 30, v7
	s_delay_alu instid0(VALU_DEP_2) | instskip(NEXT) | instid1(VALU_DEP_2)
	v_lshlrev_b32_e32 v3, v9, v3
	v_cndmask_b32_e32 v7, v11, v7, vcc_lo
	s_delay_alu instid0(VALU_DEP_2) | instskip(NEXT) | instid1(VALU_DEP_1)
	v_and_b32_e32 v3, 3, v3
	v_cndmask_b32_e32 v3, v5, v3, vcc_lo
	s_delay_alu instid0(VALU_DEP_3) | instskip(NEXT) | instid1(VALU_DEP_2)
	v_lshl_add_u32 v5, v7, 23, 0x37800000
	v_lshlrev_b32_e32 v3, 21, v3
	s_delay_alu instid0(VALU_DEP_1) | instskip(NEXT) | instid1(VALU_DEP_1)
	v_or3_b32 v1, v1, v5, v3
	v_cvt_i32_f32_e32 v26, v1
.LBB47_2913:
	s_or_b32 exec_lo, exec_lo, s17
	s_mov_b32 s17, 0
	s_branch .LBB47_2919
.LBB47_2914:
	s_mov_b32 s17, -1
                                        ; implicit-def: $vgpr26
	s_branch .LBB47_2925
.LBB47_2915:
	s_and_not1_saveexec_b32 s18, s18
	s_cbranch_execz .LBB47_2900
.LBB47_2916:
	v_cmp_ne_u16_e32 vcc_lo, 0, v1
	s_and_not1_b32 s19, s19, exec_lo
	s_and_b32 s20, vcc_lo, exec_lo
	s_delay_alu instid0(SALU_CYCLE_1)
	s_or_b32 s19, s19, s20
	s_or_b32 exec_lo, exec_lo, s18
	v_mov_b32_e32 v26, 0
	s_and_saveexec_b32 s18, s19
	s_cbranch_execnz .LBB47_2901
	s_branch .LBB47_2902
.LBB47_2917:
	s_mov_b32 s17, -1
                                        ; implicit-def: $vgpr26
	s_branch .LBB47_2922
.LBB47_2918:
	s_mov_b32 s17, -1
                                        ; implicit-def: $vgpr26
.LBB47_2919:
	s_delay_alu instid0(SALU_CYCLE_1)
	s_and_b32 vcc_lo, exec_lo, s17
	s_cbranch_vccz .LBB47_2921
; %bb.2920:
	global_load_u8 v1, v[32:33], off
	s_wait_loadcnt 0x0
	v_lshlrev_b32_e32 v1, 24, v1
	s_delay_alu instid0(VALU_DEP_1) | instskip(NEXT) | instid1(VALU_DEP_1)
	v_and_b32_e32 v3, 0x7f000000, v1
	v_clz_i32_u32_e32 v5, v3
	v_add_nc_u32_e32 v9, 0x1000000, v3
	v_cmp_ne_u32_e32 vcc_lo, 0, v3
	s_delay_alu instid0(VALU_DEP_3) | instskip(NEXT) | instid1(VALU_DEP_1)
	v_min_u32_e32 v5, 32, v5
	v_sub_nc_u32_e64 v5, v5, 4 clamp
	s_delay_alu instid0(VALU_DEP_1) | instskip(NEXT) | instid1(VALU_DEP_1)
	v_dual_lshlrev_b32 v7, v5, v3 :: v_dual_lshlrev_b32 v5, 23, v5
	v_lshrrev_b32_e32 v7, 4, v7
	s_delay_alu instid0(VALU_DEP_1) | instskip(SKIP_1) | instid1(VALU_DEP_2)
	v_sub_nc_u32_e32 v5, v7, v5
	v_ashrrev_i32_e32 v7, 8, v9
	v_add_nc_u32_e32 v5, 0x3c000000, v5
	s_delay_alu instid0(VALU_DEP_1) | instskip(NEXT) | instid1(VALU_DEP_1)
	v_and_or_b32 v5, 0x7f800000, v7, v5
	v_cndmask_b32_e32 v3, 0, v5, vcc_lo
	s_delay_alu instid0(VALU_DEP_1) | instskip(NEXT) | instid1(VALU_DEP_1)
	v_and_or_b32 v1, 0x80000000, v1, v3
	v_cvt_i32_f32_e32 v26, v1
.LBB47_2921:
	s_mov_b32 s17, 0
.LBB47_2922:
	s_delay_alu instid0(SALU_CYCLE_1)
	s_and_not1_b32 vcc_lo, exec_lo, s17
	s_cbranch_vccnz .LBB47_2924
; %bb.2923:
	global_load_u8 v1, v[32:33], off
	s_wait_loadcnt 0x0
	v_lshlrev_b32_e32 v3, 25, v1
	v_lshlrev_b16 v1, 8, v1
	s_delay_alu instid0(VALU_DEP_1) | instskip(SKIP_1) | instid1(VALU_DEP_2)
	v_and_or_b32 v7, 0x7f00, v1, 0.5
	v_bfe_i32 v1, v1, 0, 16
	v_add_f32_e32 v7, -0.5, v7
	v_lshrrev_b32_e32 v5, 4, v3
	v_cmp_gt_u32_e32 vcc_lo, 0x8000000, v3
	s_delay_alu instid0(VALU_DEP_2) | instskip(NEXT) | instid1(VALU_DEP_1)
	v_or_b32_e32 v5, 0x70000000, v5
	v_mul_f32_e32 v5, 0x7800000, v5
	s_delay_alu instid0(VALU_DEP_1) | instskip(NEXT) | instid1(VALU_DEP_1)
	v_cndmask_b32_e32 v3, v5, v7, vcc_lo
	v_and_or_b32 v1, 0x80000000, v1, v3
	s_delay_alu instid0(VALU_DEP_1)
	v_cvt_i32_f32_e32 v26, v1
.LBB47_2924:
	s_mov_b32 s17, 0
	s_mov_b32 s18, -1
.LBB47_2925:
	s_and_not1_b32 vcc_lo, exec_lo, s17
	s_mov_b32 s17, 0
	s_cbranch_vccnz .LBB47_2936
; %bb.2926:
	s_cmp_gt_i32 s13, 14
	s_cbranch_scc0 .LBB47_2929
; %bb.2927:
	s_cmp_eq_u32 s13, 15
	s_cbranch_scc0 .LBB47_2932
; %bb.2928:
	global_load_u16 v1, v[32:33], off
	s_mov_b32 s16, 0
	s_mov_b32 s18, -1
	s_wait_loadcnt 0x0
	v_lshlrev_b32_e32 v1, 16, v1
	s_delay_alu instid0(VALU_DEP_1)
	v_cvt_i32_f32_e32 v26, v1
	s_branch .LBB47_2934
.LBB47_2929:
	s_mov_b32 s17, -1
	s_branch .LBB47_2933
.LBB47_2930:
	s_and_not1_saveexec_b32 s17, s17
	s_cbranch_execz .LBB47_2911
.LBB47_2931:
	v_cmp_ne_u16_e32 vcc_lo, 0, v1
	s_and_not1_b32 s18, s18, exec_lo
	s_and_b32 s19, vcc_lo, exec_lo
	s_delay_alu instid0(SALU_CYCLE_1)
	s_or_b32 s18, s18, s19
	s_or_b32 exec_lo, exec_lo, s17
	v_mov_b32_e32 v26, 0
	s_and_saveexec_b32 s17, s18
	s_cbranch_execnz .LBB47_2912
	s_branch .LBB47_2913
.LBB47_2932:
	s_mov_b32 s16, -1
.LBB47_2933:
                                        ; implicit-def: $vgpr26
.LBB47_2934:
	s_and_b32 vcc_lo, exec_lo, s17
	s_mov_b32 s17, 0
	s_cbranch_vccz .LBB47_2936
; %bb.2935:
	s_cmp_lg_u32 s13, 11
	s_mov_b32 s17, -1
	s_cselect_b32 s16, -1, 0
.LBB47_2936:
	s_delay_alu instid0(SALU_CYCLE_1)
	s_and_b32 vcc_lo, exec_lo, s16
	s_cbranch_vccnz .LBB47_3001
; %bb.2937:
	s_and_not1_b32 vcc_lo, exec_lo, s17
	s_cbranch_vccnz .LBB47_2939
.LBB47_2938:
	global_load_u8 v1, v[32:33], off
	s_mov_b32 s18, -1
	s_wait_loadcnt 0x0
	v_cmp_ne_u16_e32 vcc_lo, 0, v1
	v_cndmask_b32_e64 v26, 0, 1, vcc_lo
.LBB47_2939:
	s_mov_b32 s16, 0
.LBB47_2940:
	s_delay_alu instid0(SALU_CYCLE_1)
	s_and_b32 vcc_lo, exec_lo, s16
	s_cbranch_vccz .LBB47_2989
; %bb.2941:
	s_cmp_lt_i32 s13, 5
	s_cbranch_scc1 .LBB47_2946
; %bb.2942:
	s_cmp_lt_i32 s13, 8
	s_cbranch_scc1 .LBB47_2947
	;; [unrolled: 3-line block ×3, first 2 shown]
; %bb.2944:
	s_cmp_gt_i32 s13, 9
	s_cbranch_scc0 .LBB47_2949
; %bb.2945:
	s_wait_loadcnt 0x0
	global_load_b64 v[26:27], v[32:33], off
	s_mov_b32 s16, 0
	s_wait_loadcnt 0x0
	v_cvt_i32_f64_e32 v26, v[26:27]
	s_branch .LBB47_2950
.LBB47_2946:
	s_mov_b32 s16, -1
                                        ; implicit-def: $vgpr26
	s_branch .LBB47_2968
.LBB47_2947:
	s_mov_b32 s16, -1
                                        ; implicit-def: $vgpr26
	s_branch .LBB47_2956
.LBB47_2948:
	s_mov_b32 s16, -1
                                        ; implicit-def: $vgpr26
	s_branch .LBB47_2953
.LBB47_2949:
	s_mov_b32 s16, -1
                                        ; implicit-def: $vgpr26
.LBB47_2950:
	s_delay_alu instid0(SALU_CYCLE_1)
	s_and_not1_b32 vcc_lo, exec_lo, s16
	s_cbranch_vccnz .LBB47_2952
; %bb.2951:
	global_load_b32 v1, v[32:33], off
	s_wait_loadcnt 0x0
	v_cvt_i32_f32_e32 v26, v1
.LBB47_2952:
	s_mov_b32 s16, 0
.LBB47_2953:
	s_delay_alu instid0(SALU_CYCLE_1)
	s_and_not1_b32 vcc_lo, exec_lo, s16
	s_cbranch_vccnz .LBB47_2955
; %bb.2954:
	global_load_b32 v1, v[32:33], off
	s_wait_loadcnt 0x0
	v_cvt_i16_f16_e32 v26, v1
.LBB47_2955:
	s_mov_b32 s16, 0
.LBB47_2956:
	s_delay_alu instid0(SALU_CYCLE_1)
	s_and_not1_b32 vcc_lo, exec_lo, s16
	s_cbranch_vccnz .LBB47_2967
; %bb.2957:
	s_cmp_lt_i32 s13, 6
	s_cbranch_scc1 .LBB47_2960
; %bb.2958:
	s_cmp_gt_i32 s13, 6
	s_cbranch_scc0 .LBB47_2961
; %bb.2959:
	s_wait_loadcnt 0x0
	global_load_b64 v[26:27], v[32:33], off
	s_mov_b32 s16, 0
	s_wait_loadcnt 0x0
	v_cvt_i32_f64_e32 v26, v[26:27]
	s_branch .LBB47_2962
.LBB47_2960:
	s_mov_b32 s16, -1
                                        ; implicit-def: $vgpr26
	s_branch .LBB47_2965
.LBB47_2961:
	s_mov_b32 s16, -1
                                        ; implicit-def: $vgpr26
.LBB47_2962:
	s_delay_alu instid0(SALU_CYCLE_1)
	s_and_not1_b32 vcc_lo, exec_lo, s16
	s_cbranch_vccnz .LBB47_2964
; %bb.2963:
	global_load_b32 v1, v[32:33], off
	s_wait_loadcnt 0x0
	v_cvt_i32_f32_e32 v26, v1
.LBB47_2964:
	s_mov_b32 s16, 0
.LBB47_2965:
	s_delay_alu instid0(SALU_CYCLE_1)
	s_and_not1_b32 vcc_lo, exec_lo, s16
	s_cbranch_vccnz .LBB47_2967
; %bb.2966:
	global_load_u16 v1, v[32:33], off
	s_wait_loadcnt 0x0
	v_cvt_i16_f16_e32 v26, v1
.LBB47_2967:
	s_mov_b32 s16, 0
.LBB47_2968:
	s_delay_alu instid0(SALU_CYCLE_1)
	s_and_not1_b32 vcc_lo, exec_lo, s16
	s_cbranch_vccnz .LBB47_2988
; %bb.2969:
	s_cmp_lt_i32 s13, 2
	s_cbranch_scc1 .LBB47_2973
; %bb.2970:
	s_cmp_lt_i32 s13, 3
	s_cbranch_scc1 .LBB47_2974
; %bb.2971:
	s_cmp_gt_i32 s13, 3
	s_cbranch_scc0 .LBB47_2975
; %bb.2972:
	s_wait_loadcnt 0x0
	global_load_b64 v[26:27], v[32:33], off
	s_mov_b32 s16, 0
	s_branch .LBB47_2976
.LBB47_2973:
	s_mov_b32 s16, -1
                                        ; implicit-def: $vgpr26
	s_branch .LBB47_2982
.LBB47_2974:
	s_mov_b32 s16, -1
                                        ; implicit-def: $vgpr26
	s_branch .LBB47_2979
.LBB47_2975:
	s_mov_b32 s16, -1
                                        ; implicit-def: $vgpr26
.LBB47_2976:
	s_delay_alu instid0(SALU_CYCLE_1)
	s_and_not1_b32 vcc_lo, exec_lo, s16
	s_cbranch_vccnz .LBB47_2978
; %bb.2977:
	s_wait_loadcnt 0x0
	global_load_b32 v26, v[32:33], off
.LBB47_2978:
	s_mov_b32 s16, 0
.LBB47_2979:
	s_delay_alu instid0(SALU_CYCLE_1)
	s_and_not1_b32 vcc_lo, exec_lo, s16
	s_cbranch_vccnz .LBB47_2981
; %bb.2980:
	s_wait_loadcnt 0x0
	global_load_u16 v26, v[32:33], off
.LBB47_2981:
	s_mov_b32 s16, 0
.LBB47_2982:
	s_delay_alu instid0(SALU_CYCLE_1)
	s_and_not1_b32 vcc_lo, exec_lo, s16
	s_cbranch_vccnz .LBB47_2988
; %bb.2983:
	s_cmp_gt_i32 s13, 0
	s_mov_b32 s16, 0
	s_cbranch_scc0 .LBB47_2985
; %bb.2984:
	s_wait_loadcnt 0x0
	global_load_u8 v26, v[32:33], off
	s_branch .LBB47_2986
.LBB47_2985:
	s_mov_b32 s16, -1
                                        ; implicit-def: $vgpr26
.LBB47_2986:
	s_delay_alu instid0(SALU_CYCLE_1)
	s_and_not1_b32 vcc_lo, exec_lo, s16
	s_cbranch_vccnz .LBB47_2988
; %bb.2987:
	s_wait_loadcnt 0x0
	global_load_u8 v26, v[32:33], off
.LBB47_2988:
	s_mov_b32 s18, -1
.LBB47_2989:
	s_delay_alu instid0(SALU_CYCLE_1)
	s_and_not1_b32 vcc_lo, exec_lo, s18
	s_cbranch_vccnz .LBB47_4058
; %bb.2990:
	v_mov_b32_e32 v31, 0
	s_cmp_lt_i32 s14, 11
	s_wait_xcnt 0x0
	s_delay_alu instid0(VALU_DEP_1)
	v_add_nc_u64_e32 v[32:33], s[0:1], v[30:31]
	s_cbranch_scc1 .LBB47_2997
; %bb.2991:
	s_cmp_gt_i32 s14, 25
	s_mov_b32 s17, 0
	s_cbranch_scc0 .LBB47_2998
; %bb.2992:
	s_cmp_gt_i32 s14, 28
	s_cbranch_scc0 .LBB47_2999
; %bb.2993:
	s_cmp_gt_i32 s14, 43
	;; [unrolled: 3-line block ×3, first 2 shown]
	s_cbranch_scc0 .LBB47_3002
; %bb.2995:
	s_cmp_eq_u32 s14, 46
	s_mov_b32 s19, 0
	s_cbranch_scc0 .LBB47_3003
; %bb.2996:
	global_load_b32 v1, v[32:33], off
	s_mov_b32 s16, 0
	s_mov_b32 s18, -1
	s_wait_loadcnt 0x0
	v_lshlrev_b32_e32 v1, 16, v1
	s_delay_alu instid0(VALU_DEP_1)
	v_cvt_i32_f32_e32 v30, v1
	s_branch .LBB47_3005
.LBB47_2997:
	s_mov_b32 s16, -1
	s_mov_b32 s18, 0
                                        ; implicit-def: $vgpr30
	s_branch .LBB47_3067
.LBB47_2998:
	s_mov_b32 s19, -1
	s_mov_b32 s18, 0
	s_mov_b32 s16, 0
                                        ; implicit-def: $vgpr30
	s_branch .LBB47_3032
.LBB47_2999:
	s_mov_b32 s19, -1
	s_mov_b32 s18, 0
	s_mov_b32 s16, 0
                                        ; implicit-def: $vgpr30
	s_branch .LBB47_3015
.LBB47_3000:
	s_mov_b32 s19, -1
	s_mov_b32 s18, 0
	s_mov_b32 s16, 0
                                        ; implicit-def: $vgpr30
	s_branch .LBB47_3010
.LBB47_3001:
	s_or_b32 s12, s12, exec_lo
	s_trap 2
	s_cbranch_execz .LBB47_2938
	s_branch .LBB47_2939
.LBB47_3002:
	s_mov_b32 s19, -1
	s_mov_b32 s18, 0
	s_mov_b32 s16, 0
	s_branch .LBB47_3004
.LBB47_3003:
	s_mov_b32 s16, -1
	s_mov_b32 s18, 0
.LBB47_3004:
                                        ; implicit-def: $vgpr30
.LBB47_3005:
	s_and_b32 vcc_lo, exec_lo, s19
	s_cbranch_vccz .LBB47_3009
; %bb.3006:
	s_cmp_eq_u32 s14, 44
	s_cbranch_scc0 .LBB47_3008
; %bb.3007:
	global_load_u8 v1, v[32:33], off
	s_mov_b32 s16, 0
	s_mov_b32 s18, -1
	s_wait_loadcnt 0x0
	v_lshlrev_b32_e32 v3, 23, v1
	v_cmp_ne_u32_e32 vcc_lo, 0, v1
	s_delay_alu instid0(VALU_DEP_2) | instskip(NEXT) | instid1(VALU_DEP_1)
	v_cvt_i32_f32_e32 v3, v3
	v_cndmask_b32_e32 v30, 0, v3, vcc_lo
	s_branch .LBB47_3009
.LBB47_3008:
	s_mov_b32 s16, -1
                                        ; implicit-def: $vgpr30
.LBB47_3009:
	s_mov_b32 s19, 0
.LBB47_3010:
	s_delay_alu instid0(SALU_CYCLE_1)
	s_and_b32 vcc_lo, exec_lo, s19
	s_cbranch_vccz .LBB47_3014
; %bb.3011:
	s_cmp_eq_u32 s14, 29
	s_cbranch_scc0 .LBB47_3013
; %bb.3012:
	global_load_b64 v[30:31], v[32:33], off
	s_mov_b32 s16, 0
	s_mov_b32 s18, -1
	s_branch .LBB47_3014
.LBB47_3013:
	s_mov_b32 s16, -1
                                        ; implicit-def: $vgpr30
.LBB47_3014:
	s_mov_b32 s19, 0
.LBB47_3015:
	s_delay_alu instid0(SALU_CYCLE_1)
	s_and_b32 vcc_lo, exec_lo, s19
	s_cbranch_vccz .LBB47_3031
; %bb.3016:
	s_cmp_lt_i32 s14, 27
	s_cbranch_scc1 .LBB47_3019
; %bb.3017:
	s_cmp_gt_i32 s14, 27
	s_cbranch_scc0 .LBB47_3020
; %bb.3018:
	s_wait_loadcnt 0x0
	global_load_b32 v30, v[32:33], off
	s_mov_b32 s18, 0
	s_branch .LBB47_3021
.LBB47_3019:
	s_mov_b32 s18, -1
                                        ; implicit-def: $vgpr30
	s_branch .LBB47_3024
.LBB47_3020:
	s_mov_b32 s18, -1
                                        ; implicit-def: $vgpr30
.LBB47_3021:
	s_delay_alu instid0(SALU_CYCLE_1)
	s_and_not1_b32 vcc_lo, exec_lo, s18
	s_cbranch_vccnz .LBB47_3023
; %bb.3022:
	s_wait_loadcnt 0x0
	global_load_u16 v30, v[32:33], off
.LBB47_3023:
	s_mov_b32 s18, 0
.LBB47_3024:
	s_delay_alu instid0(SALU_CYCLE_1)
	s_and_not1_b32 vcc_lo, exec_lo, s18
	s_cbranch_vccnz .LBB47_3030
; %bb.3025:
	global_load_u8 v1, v[32:33], off
	s_mov_b32 s19, 0
	s_mov_b32 s18, exec_lo
	s_wait_loadcnt 0x0
	v_cmpx_lt_i16_e32 0x7f, v1
	s_xor_b32 s18, exec_lo, s18
	s_cbranch_execz .LBB47_3042
; %bb.3026:
	v_cmp_ne_u16_e32 vcc_lo, 0x80, v1
	s_and_b32 s19, vcc_lo, exec_lo
	s_and_not1_saveexec_b32 s18, s18
	s_cbranch_execnz .LBB47_3043
.LBB47_3027:
	s_or_b32 exec_lo, exec_lo, s18
	v_mov_b32_e32 v30, 0
	s_and_saveexec_b32 s18, s19
	s_cbranch_execz .LBB47_3029
.LBB47_3028:
	v_and_b32_e32 v3, 0xffff, v1
	s_delay_alu instid0(VALU_DEP_1) | instskip(SKIP_1) | instid1(VALU_DEP_2)
	v_dual_lshlrev_b32 v1, 24, v1 :: v_dual_bitop2_b32 v5, 7, v3 bitop3:0x40
	v_bfe_u32 v11, v3, 3, 4
	v_and_b32_e32 v1, 0x80000000, v1
	s_delay_alu instid0(VALU_DEP_3) | instskip(NEXT) | instid1(VALU_DEP_3)
	v_clz_i32_u32_e32 v7, v5
	v_cmp_eq_u32_e32 vcc_lo, 0, v11
	s_delay_alu instid0(VALU_DEP_2) | instskip(NEXT) | instid1(VALU_DEP_1)
	v_min_u32_e32 v7, 32, v7
	v_subrev_nc_u32_e32 v9, 28, v7
	v_sub_nc_u32_e32 v7, 29, v7
	s_delay_alu instid0(VALU_DEP_2) | instskip(NEXT) | instid1(VALU_DEP_2)
	v_lshlrev_b32_e32 v3, v9, v3
	v_cndmask_b32_e32 v7, v11, v7, vcc_lo
	s_delay_alu instid0(VALU_DEP_2) | instskip(NEXT) | instid1(VALU_DEP_1)
	v_and_b32_e32 v3, 7, v3
	v_cndmask_b32_e32 v3, v5, v3, vcc_lo
	s_delay_alu instid0(VALU_DEP_3) | instskip(NEXT) | instid1(VALU_DEP_2)
	v_lshl_add_u32 v5, v7, 23, 0x3b800000
	v_lshlrev_b32_e32 v3, 20, v3
	s_delay_alu instid0(VALU_DEP_1) | instskip(NEXT) | instid1(VALU_DEP_1)
	v_or3_b32 v1, v1, v5, v3
	v_cvt_i32_f32_e32 v30, v1
.LBB47_3029:
	s_or_b32 exec_lo, exec_lo, s18
.LBB47_3030:
	s_mov_b32 s18, -1
.LBB47_3031:
	s_mov_b32 s19, 0
.LBB47_3032:
	s_delay_alu instid0(SALU_CYCLE_1)
	s_and_b32 vcc_lo, exec_lo, s19
	s_cbranch_vccz .LBB47_3063
; %bb.3033:
	s_cmp_gt_i32 s14, 22
	s_cbranch_scc0 .LBB47_3041
; %bb.3034:
	s_cmp_lt_i32 s14, 24
	s_cbranch_scc1 .LBB47_3044
; %bb.3035:
	s_cmp_gt_i32 s14, 24
	s_cbranch_scc0 .LBB47_3045
; %bb.3036:
	global_load_u8 v1, v[32:33], off
	s_mov_b32 s18, 0
	s_mov_b32 s17, exec_lo
	s_wait_loadcnt 0x0
	v_cmpx_lt_i16_e32 0x7f, v1
	s_xor_b32 s17, exec_lo, s17
	s_cbranch_execz .LBB47_3057
; %bb.3037:
	v_cmp_ne_u16_e32 vcc_lo, 0x80, v1
	s_and_b32 s18, vcc_lo, exec_lo
	s_and_not1_saveexec_b32 s17, s17
	s_cbranch_execnz .LBB47_3058
.LBB47_3038:
	s_or_b32 exec_lo, exec_lo, s17
	v_mov_b32_e32 v30, 0
	s_and_saveexec_b32 s17, s18
	s_cbranch_execz .LBB47_3040
.LBB47_3039:
	v_and_b32_e32 v3, 0xffff, v1
	s_delay_alu instid0(VALU_DEP_1) | instskip(SKIP_1) | instid1(VALU_DEP_2)
	v_dual_lshlrev_b32 v1, 24, v1 :: v_dual_bitop2_b32 v5, 3, v3 bitop3:0x40
	v_bfe_u32 v11, v3, 2, 5
	v_and_b32_e32 v1, 0x80000000, v1
	s_delay_alu instid0(VALU_DEP_3) | instskip(NEXT) | instid1(VALU_DEP_3)
	v_clz_i32_u32_e32 v7, v5
	v_cmp_eq_u32_e32 vcc_lo, 0, v11
	s_delay_alu instid0(VALU_DEP_2) | instskip(NEXT) | instid1(VALU_DEP_1)
	v_min_u32_e32 v7, 32, v7
	v_subrev_nc_u32_e32 v9, 29, v7
	v_sub_nc_u32_e32 v7, 30, v7
	s_delay_alu instid0(VALU_DEP_2) | instskip(NEXT) | instid1(VALU_DEP_2)
	v_lshlrev_b32_e32 v3, v9, v3
	v_cndmask_b32_e32 v7, v11, v7, vcc_lo
	s_delay_alu instid0(VALU_DEP_2) | instskip(NEXT) | instid1(VALU_DEP_1)
	v_and_b32_e32 v3, 3, v3
	v_cndmask_b32_e32 v3, v5, v3, vcc_lo
	s_delay_alu instid0(VALU_DEP_3) | instskip(NEXT) | instid1(VALU_DEP_2)
	v_lshl_add_u32 v5, v7, 23, 0x37800000
	v_lshlrev_b32_e32 v3, 21, v3
	s_delay_alu instid0(VALU_DEP_1) | instskip(NEXT) | instid1(VALU_DEP_1)
	v_or3_b32 v1, v1, v5, v3
	v_cvt_i32_f32_e32 v30, v1
.LBB47_3040:
	s_or_b32 exec_lo, exec_lo, s17
	s_mov_b32 s17, 0
	s_branch .LBB47_3046
.LBB47_3041:
	s_mov_b32 s17, -1
                                        ; implicit-def: $vgpr30
	s_branch .LBB47_3052
.LBB47_3042:
	s_and_not1_saveexec_b32 s18, s18
	s_cbranch_execz .LBB47_3027
.LBB47_3043:
	v_cmp_ne_u16_e32 vcc_lo, 0, v1
	s_and_not1_b32 s19, s19, exec_lo
	s_and_b32 s20, vcc_lo, exec_lo
	s_delay_alu instid0(SALU_CYCLE_1)
	s_or_b32 s19, s19, s20
	s_or_b32 exec_lo, exec_lo, s18
	v_mov_b32_e32 v30, 0
	s_and_saveexec_b32 s18, s19
	s_cbranch_execnz .LBB47_3028
	s_branch .LBB47_3029
.LBB47_3044:
	s_mov_b32 s17, -1
                                        ; implicit-def: $vgpr30
	s_branch .LBB47_3049
.LBB47_3045:
	s_mov_b32 s17, -1
                                        ; implicit-def: $vgpr30
.LBB47_3046:
	s_delay_alu instid0(SALU_CYCLE_1)
	s_and_b32 vcc_lo, exec_lo, s17
	s_cbranch_vccz .LBB47_3048
; %bb.3047:
	global_load_u8 v1, v[32:33], off
	s_wait_loadcnt 0x0
	v_lshlrev_b32_e32 v1, 24, v1
	s_delay_alu instid0(VALU_DEP_1) | instskip(NEXT) | instid1(VALU_DEP_1)
	v_and_b32_e32 v3, 0x7f000000, v1
	v_clz_i32_u32_e32 v5, v3
	v_add_nc_u32_e32 v9, 0x1000000, v3
	v_cmp_ne_u32_e32 vcc_lo, 0, v3
	s_delay_alu instid0(VALU_DEP_3) | instskip(NEXT) | instid1(VALU_DEP_1)
	v_min_u32_e32 v5, 32, v5
	v_sub_nc_u32_e64 v5, v5, 4 clamp
	s_delay_alu instid0(VALU_DEP_1) | instskip(NEXT) | instid1(VALU_DEP_1)
	v_dual_lshlrev_b32 v7, v5, v3 :: v_dual_lshlrev_b32 v5, 23, v5
	v_lshrrev_b32_e32 v7, 4, v7
	s_delay_alu instid0(VALU_DEP_1) | instskip(SKIP_1) | instid1(VALU_DEP_2)
	v_sub_nc_u32_e32 v5, v7, v5
	v_ashrrev_i32_e32 v7, 8, v9
	v_add_nc_u32_e32 v5, 0x3c000000, v5
	s_delay_alu instid0(VALU_DEP_1) | instskip(NEXT) | instid1(VALU_DEP_1)
	v_and_or_b32 v5, 0x7f800000, v7, v5
	v_cndmask_b32_e32 v3, 0, v5, vcc_lo
	s_delay_alu instid0(VALU_DEP_1) | instskip(NEXT) | instid1(VALU_DEP_1)
	v_and_or_b32 v1, 0x80000000, v1, v3
	v_cvt_i32_f32_e32 v30, v1
.LBB47_3048:
	s_mov_b32 s17, 0
.LBB47_3049:
	s_delay_alu instid0(SALU_CYCLE_1)
	s_and_not1_b32 vcc_lo, exec_lo, s17
	s_cbranch_vccnz .LBB47_3051
; %bb.3050:
	global_load_u8 v1, v[32:33], off
	s_wait_loadcnt 0x0
	v_lshlrev_b32_e32 v3, 25, v1
	v_lshlrev_b16 v1, 8, v1
	s_delay_alu instid0(VALU_DEP_1) | instskip(SKIP_1) | instid1(VALU_DEP_2)
	v_and_or_b32 v7, 0x7f00, v1, 0.5
	v_bfe_i32 v1, v1, 0, 16
	v_add_f32_e32 v7, -0.5, v7
	v_lshrrev_b32_e32 v5, 4, v3
	v_cmp_gt_u32_e32 vcc_lo, 0x8000000, v3
	s_delay_alu instid0(VALU_DEP_2) | instskip(NEXT) | instid1(VALU_DEP_1)
	v_or_b32_e32 v5, 0x70000000, v5
	v_mul_f32_e32 v5, 0x7800000, v5
	s_delay_alu instid0(VALU_DEP_1) | instskip(NEXT) | instid1(VALU_DEP_1)
	v_cndmask_b32_e32 v3, v5, v7, vcc_lo
	v_and_or_b32 v1, 0x80000000, v1, v3
	s_delay_alu instid0(VALU_DEP_1)
	v_cvt_i32_f32_e32 v30, v1
.LBB47_3051:
	s_mov_b32 s17, 0
	s_mov_b32 s18, -1
.LBB47_3052:
	s_and_not1_b32 vcc_lo, exec_lo, s17
	s_mov_b32 s17, 0
	s_cbranch_vccnz .LBB47_3063
; %bb.3053:
	s_cmp_gt_i32 s14, 14
	s_cbranch_scc0 .LBB47_3056
; %bb.3054:
	s_cmp_eq_u32 s14, 15
	s_cbranch_scc0 .LBB47_3059
; %bb.3055:
	global_load_u16 v1, v[32:33], off
	s_mov_b32 s16, 0
	s_mov_b32 s18, -1
	s_wait_loadcnt 0x0
	v_lshlrev_b32_e32 v1, 16, v1
	s_delay_alu instid0(VALU_DEP_1)
	v_cvt_i32_f32_e32 v30, v1
	s_branch .LBB47_3061
.LBB47_3056:
	s_mov_b32 s17, -1
	s_branch .LBB47_3060
.LBB47_3057:
	s_and_not1_saveexec_b32 s17, s17
	s_cbranch_execz .LBB47_3038
.LBB47_3058:
	v_cmp_ne_u16_e32 vcc_lo, 0, v1
	s_and_not1_b32 s18, s18, exec_lo
	s_and_b32 s19, vcc_lo, exec_lo
	s_delay_alu instid0(SALU_CYCLE_1)
	s_or_b32 s18, s18, s19
	s_or_b32 exec_lo, exec_lo, s17
	v_mov_b32_e32 v30, 0
	s_and_saveexec_b32 s17, s18
	s_cbranch_execnz .LBB47_3039
	s_branch .LBB47_3040
.LBB47_3059:
	s_mov_b32 s16, -1
.LBB47_3060:
                                        ; implicit-def: $vgpr30
.LBB47_3061:
	s_and_b32 vcc_lo, exec_lo, s17
	s_mov_b32 s17, 0
	s_cbranch_vccz .LBB47_3063
; %bb.3062:
	s_cmp_lg_u32 s14, 11
	s_mov_b32 s17, -1
	s_cselect_b32 s16, -1, 0
.LBB47_3063:
	s_delay_alu instid0(SALU_CYCLE_1)
	s_and_b32 vcc_lo, exec_lo, s16
	s_cbranch_vccnz .LBB47_3128
; %bb.3064:
	s_and_not1_b32 vcc_lo, exec_lo, s17
	s_cbranch_vccnz .LBB47_3066
.LBB47_3065:
	global_load_u8 v1, v[32:33], off
	s_mov_b32 s18, -1
	s_wait_loadcnt 0x0
	v_cmp_ne_u16_e32 vcc_lo, 0, v1
	v_cndmask_b32_e64 v30, 0, 1, vcc_lo
.LBB47_3066:
	s_mov_b32 s16, 0
.LBB47_3067:
	s_delay_alu instid0(SALU_CYCLE_1)
	s_and_b32 vcc_lo, exec_lo, s16
	s_cbranch_vccz .LBB47_3116
; %bb.3068:
	s_cmp_lt_i32 s14, 5
	s_cbranch_scc1 .LBB47_3073
; %bb.3069:
	s_cmp_lt_i32 s14, 8
	s_cbranch_scc1 .LBB47_3074
	;; [unrolled: 3-line block ×3, first 2 shown]
; %bb.3071:
	s_cmp_gt_i32 s14, 9
	s_cbranch_scc0 .LBB47_3076
; %bb.3072:
	s_wait_loadcnt 0x0
	global_load_b64 v[30:31], v[32:33], off
	s_mov_b32 s16, 0
	s_wait_loadcnt 0x0
	v_cvt_i32_f64_e32 v30, v[30:31]
	s_branch .LBB47_3077
.LBB47_3073:
	s_mov_b32 s16, -1
                                        ; implicit-def: $vgpr30
	s_branch .LBB47_3095
.LBB47_3074:
	s_mov_b32 s16, -1
                                        ; implicit-def: $vgpr30
	s_branch .LBB47_3083
.LBB47_3075:
	s_mov_b32 s16, -1
                                        ; implicit-def: $vgpr30
	s_branch .LBB47_3080
.LBB47_3076:
	s_mov_b32 s16, -1
                                        ; implicit-def: $vgpr30
.LBB47_3077:
	s_delay_alu instid0(SALU_CYCLE_1)
	s_and_not1_b32 vcc_lo, exec_lo, s16
	s_cbranch_vccnz .LBB47_3079
; %bb.3078:
	global_load_b32 v1, v[32:33], off
	s_wait_loadcnt 0x0
	v_cvt_i32_f32_e32 v30, v1
.LBB47_3079:
	s_mov_b32 s16, 0
.LBB47_3080:
	s_delay_alu instid0(SALU_CYCLE_1)
	s_and_not1_b32 vcc_lo, exec_lo, s16
	s_cbranch_vccnz .LBB47_3082
; %bb.3081:
	global_load_b32 v1, v[32:33], off
	s_wait_loadcnt 0x0
	v_cvt_i16_f16_e32 v30, v1
.LBB47_3082:
	s_mov_b32 s16, 0
.LBB47_3083:
	s_delay_alu instid0(SALU_CYCLE_1)
	s_and_not1_b32 vcc_lo, exec_lo, s16
	s_cbranch_vccnz .LBB47_3094
; %bb.3084:
	s_cmp_lt_i32 s14, 6
	s_cbranch_scc1 .LBB47_3087
; %bb.3085:
	s_cmp_gt_i32 s14, 6
	s_cbranch_scc0 .LBB47_3088
; %bb.3086:
	s_wait_loadcnt 0x0
	global_load_b64 v[30:31], v[32:33], off
	s_mov_b32 s16, 0
	s_wait_loadcnt 0x0
	v_cvt_i32_f64_e32 v30, v[30:31]
	s_branch .LBB47_3089
.LBB47_3087:
	s_mov_b32 s16, -1
                                        ; implicit-def: $vgpr30
	s_branch .LBB47_3092
.LBB47_3088:
	s_mov_b32 s16, -1
                                        ; implicit-def: $vgpr30
.LBB47_3089:
	s_delay_alu instid0(SALU_CYCLE_1)
	s_and_not1_b32 vcc_lo, exec_lo, s16
	s_cbranch_vccnz .LBB47_3091
; %bb.3090:
	global_load_b32 v1, v[32:33], off
	s_wait_loadcnt 0x0
	v_cvt_i32_f32_e32 v30, v1
.LBB47_3091:
	s_mov_b32 s16, 0
.LBB47_3092:
	s_delay_alu instid0(SALU_CYCLE_1)
	s_and_not1_b32 vcc_lo, exec_lo, s16
	s_cbranch_vccnz .LBB47_3094
; %bb.3093:
	global_load_u16 v1, v[32:33], off
	s_wait_loadcnt 0x0
	v_cvt_i16_f16_e32 v30, v1
.LBB47_3094:
	s_mov_b32 s16, 0
.LBB47_3095:
	s_delay_alu instid0(SALU_CYCLE_1)
	s_and_not1_b32 vcc_lo, exec_lo, s16
	s_cbranch_vccnz .LBB47_3115
; %bb.3096:
	s_cmp_lt_i32 s14, 2
	s_cbranch_scc1 .LBB47_3100
; %bb.3097:
	s_cmp_lt_i32 s14, 3
	s_cbranch_scc1 .LBB47_3101
; %bb.3098:
	s_cmp_gt_i32 s14, 3
	s_cbranch_scc0 .LBB47_3102
; %bb.3099:
	s_wait_loadcnt 0x0
	global_load_b64 v[30:31], v[32:33], off
	s_mov_b32 s16, 0
	s_branch .LBB47_3103
.LBB47_3100:
	s_mov_b32 s16, -1
                                        ; implicit-def: $vgpr30
	s_branch .LBB47_3109
.LBB47_3101:
	s_mov_b32 s16, -1
                                        ; implicit-def: $vgpr30
	s_branch .LBB47_3106
.LBB47_3102:
	s_mov_b32 s16, -1
                                        ; implicit-def: $vgpr30
.LBB47_3103:
	s_delay_alu instid0(SALU_CYCLE_1)
	s_and_not1_b32 vcc_lo, exec_lo, s16
	s_cbranch_vccnz .LBB47_3105
; %bb.3104:
	s_wait_loadcnt 0x0
	global_load_b32 v30, v[32:33], off
.LBB47_3105:
	s_mov_b32 s16, 0
.LBB47_3106:
	s_delay_alu instid0(SALU_CYCLE_1)
	s_and_not1_b32 vcc_lo, exec_lo, s16
	s_cbranch_vccnz .LBB47_3108
; %bb.3107:
	s_wait_loadcnt 0x0
	global_load_u16 v30, v[32:33], off
.LBB47_3108:
	s_mov_b32 s16, 0
.LBB47_3109:
	s_delay_alu instid0(SALU_CYCLE_1)
	s_and_not1_b32 vcc_lo, exec_lo, s16
	s_cbranch_vccnz .LBB47_3115
; %bb.3110:
	s_cmp_gt_i32 s14, 0
	s_mov_b32 s16, 0
	s_cbranch_scc0 .LBB47_3112
; %bb.3111:
	s_wait_loadcnt 0x0
	global_load_u8 v30, v[32:33], off
	s_branch .LBB47_3113
.LBB47_3112:
	s_mov_b32 s16, -1
                                        ; implicit-def: $vgpr30
.LBB47_3113:
	s_delay_alu instid0(SALU_CYCLE_1)
	s_and_not1_b32 vcc_lo, exec_lo, s16
	s_cbranch_vccnz .LBB47_3115
; %bb.3114:
	s_wait_loadcnt 0x0
	global_load_u8 v30, v[32:33], off
.LBB47_3115:
	s_mov_b32 s18, -1
.LBB47_3116:
	s_delay_alu instid0(SALU_CYCLE_1)
	s_and_not1_b32 vcc_lo, exec_lo, s18
	s_cbranch_vccnz .LBB47_4058
; %bb.3117:
	v_mov_b32_e32 v25, 0
	s_cmp_lt_i32 s15, 11
	s_wait_xcnt 0x0
	s_delay_alu instid0(VALU_DEP_1)
	v_add_nc_u64_e32 v[32:33], s[8:9], v[24:25]
	s_cbranch_scc1 .LBB47_3124
; %bb.3118:
	s_cmp_gt_i32 s15, 25
	s_mov_b32 s17, 0
	s_cbranch_scc0 .LBB47_3125
; %bb.3119:
	s_cmp_gt_i32 s15, 28
	s_cbranch_scc0 .LBB47_3126
; %bb.3120:
	s_cmp_gt_i32 s15, 43
	;; [unrolled: 3-line block ×3, first 2 shown]
	s_cbranch_scc0 .LBB47_3129
; %bb.3122:
	s_cmp_eq_u32 s15, 46
	s_mov_b32 s19, 0
	s_cbranch_scc0 .LBB47_3130
; %bb.3123:
	global_load_b32 v1, v[32:33], off
	s_mov_b32 s16, 0
	s_mov_b32 s18, -1
	s_wait_loadcnt 0x0
	v_lshlrev_b32_e32 v1, 16, v1
	s_delay_alu instid0(VALU_DEP_1)
	v_cvt_i32_f32_e32 v24, v1
	s_branch .LBB47_3132
.LBB47_3124:
	s_mov_b32 s16, -1
	s_mov_b32 s18, 0
                                        ; implicit-def: $vgpr24
	s_branch .LBB47_3194
.LBB47_3125:
	s_mov_b32 s19, -1
	s_mov_b32 s18, 0
	s_mov_b32 s16, 0
                                        ; implicit-def: $vgpr24
	s_branch .LBB47_3159
.LBB47_3126:
	s_mov_b32 s19, -1
	s_mov_b32 s18, 0
	s_mov_b32 s16, 0
                                        ; implicit-def: $vgpr24
	s_branch .LBB47_3142
.LBB47_3127:
	s_mov_b32 s19, -1
	s_mov_b32 s18, 0
	s_mov_b32 s16, 0
                                        ; implicit-def: $vgpr24
	s_branch .LBB47_3137
.LBB47_3128:
	s_or_b32 s12, s12, exec_lo
	s_trap 2
	s_cbranch_execz .LBB47_3065
	s_branch .LBB47_3066
.LBB47_3129:
	s_mov_b32 s19, -1
	s_mov_b32 s18, 0
	s_mov_b32 s16, 0
	s_branch .LBB47_3131
.LBB47_3130:
	s_mov_b32 s16, -1
	s_mov_b32 s18, 0
.LBB47_3131:
                                        ; implicit-def: $vgpr24
.LBB47_3132:
	s_and_b32 vcc_lo, exec_lo, s19
	s_cbranch_vccz .LBB47_3136
; %bb.3133:
	s_cmp_eq_u32 s15, 44
	s_cbranch_scc0 .LBB47_3135
; %bb.3134:
	global_load_u8 v1, v[32:33], off
	s_mov_b32 s16, 0
	s_mov_b32 s18, -1
	s_wait_loadcnt 0x0
	v_lshlrev_b32_e32 v3, 23, v1
	v_cmp_ne_u32_e32 vcc_lo, 0, v1
	s_delay_alu instid0(VALU_DEP_2) | instskip(NEXT) | instid1(VALU_DEP_1)
	v_cvt_i32_f32_e32 v3, v3
	v_cndmask_b32_e32 v24, 0, v3, vcc_lo
	s_branch .LBB47_3136
.LBB47_3135:
	s_mov_b32 s16, -1
                                        ; implicit-def: $vgpr24
.LBB47_3136:
	s_mov_b32 s19, 0
.LBB47_3137:
	s_delay_alu instid0(SALU_CYCLE_1)
	s_and_b32 vcc_lo, exec_lo, s19
	s_cbranch_vccz .LBB47_3141
; %bb.3138:
	s_cmp_eq_u32 s15, 29
	s_cbranch_scc0 .LBB47_3140
; %bb.3139:
	global_load_b64 v[24:25], v[32:33], off
	s_mov_b32 s16, 0
	s_mov_b32 s18, -1
	s_branch .LBB47_3141
.LBB47_3140:
	s_mov_b32 s16, -1
                                        ; implicit-def: $vgpr24
.LBB47_3141:
	s_mov_b32 s19, 0
.LBB47_3142:
	s_delay_alu instid0(SALU_CYCLE_1)
	s_and_b32 vcc_lo, exec_lo, s19
	s_cbranch_vccz .LBB47_3158
; %bb.3143:
	s_cmp_lt_i32 s15, 27
	s_cbranch_scc1 .LBB47_3146
; %bb.3144:
	s_cmp_gt_i32 s15, 27
	s_cbranch_scc0 .LBB47_3147
; %bb.3145:
	s_wait_loadcnt 0x0
	global_load_b32 v24, v[32:33], off
	s_mov_b32 s18, 0
	s_branch .LBB47_3148
.LBB47_3146:
	s_mov_b32 s18, -1
                                        ; implicit-def: $vgpr24
	s_branch .LBB47_3151
.LBB47_3147:
	s_mov_b32 s18, -1
                                        ; implicit-def: $vgpr24
.LBB47_3148:
	s_delay_alu instid0(SALU_CYCLE_1)
	s_and_not1_b32 vcc_lo, exec_lo, s18
	s_cbranch_vccnz .LBB47_3150
; %bb.3149:
	s_wait_loadcnt 0x0
	global_load_u16 v24, v[32:33], off
.LBB47_3150:
	s_mov_b32 s18, 0
.LBB47_3151:
	s_delay_alu instid0(SALU_CYCLE_1)
	s_and_not1_b32 vcc_lo, exec_lo, s18
	s_cbranch_vccnz .LBB47_3157
; %bb.3152:
	global_load_u8 v1, v[32:33], off
	s_mov_b32 s19, 0
	s_mov_b32 s18, exec_lo
	s_wait_loadcnt 0x0
	v_cmpx_lt_i16_e32 0x7f, v1
	s_xor_b32 s18, exec_lo, s18
	s_cbranch_execz .LBB47_3169
; %bb.3153:
	v_cmp_ne_u16_e32 vcc_lo, 0x80, v1
	s_and_b32 s19, vcc_lo, exec_lo
	s_and_not1_saveexec_b32 s18, s18
	s_cbranch_execnz .LBB47_3170
.LBB47_3154:
	s_or_b32 exec_lo, exec_lo, s18
	v_mov_b32_e32 v24, 0
	s_and_saveexec_b32 s18, s19
	s_cbranch_execz .LBB47_3156
.LBB47_3155:
	v_and_b32_e32 v3, 0xffff, v1
	s_delay_alu instid0(VALU_DEP_1) | instskip(SKIP_1) | instid1(VALU_DEP_2)
	v_dual_lshlrev_b32 v1, 24, v1 :: v_dual_bitop2_b32 v5, 7, v3 bitop3:0x40
	v_bfe_u32 v11, v3, 3, 4
	v_and_b32_e32 v1, 0x80000000, v1
	s_delay_alu instid0(VALU_DEP_3) | instskip(NEXT) | instid1(VALU_DEP_3)
	v_clz_i32_u32_e32 v7, v5
	v_cmp_eq_u32_e32 vcc_lo, 0, v11
	s_delay_alu instid0(VALU_DEP_2) | instskip(NEXT) | instid1(VALU_DEP_1)
	v_min_u32_e32 v7, 32, v7
	v_subrev_nc_u32_e32 v9, 28, v7
	v_sub_nc_u32_e32 v7, 29, v7
	s_delay_alu instid0(VALU_DEP_2) | instskip(NEXT) | instid1(VALU_DEP_2)
	v_lshlrev_b32_e32 v3, v9, v3
	v_cndmask_b32_e32 v7, v11, v7, vcc_lo
	s_delay_alu instid0(VALU_DEP_2) | instskip(NEXT) | instid1(VALU_DEP_1)
	v_and_b32_e32 v3, 7, v3
	v_cndmask_b32_e32 v3, v5, v3, vcc_lo
	s_delay_alu instid0(VALU_DEP_3) | instskip(NEXT) | instid1(VALU_DEP_2)
	v_lshl_add_u32 v5, v7, 23, 0x3b800000
	v_lshlrev_b32_e32 v3, 20, v3
	s_delay_alu instid0(VALU_DEP_1) | instskip(NEXT) | instid1(VALU_DEP_1)
	v_or3_b32 v1, v1, v5, v3
	v_cvt_i32_f32_e32 v24, v1
.LBB47_3156:
	s_or_b32 exec_lo, exec_lo, s18
.LBB47_3157:
	s_mov_b32 s18, -1
.LBB47_3158:
	s_mov_b32 s19, 0
.LBB47_3159:
	s_delay_alu instid0(SALU_CYCLE_1)
	s_and_b32 vcc_lo, exec_lo, s19
	s_cbranch_vccz .LBB47_3190
; %bb.3160:
	s_cmp_gt_i32 s15, 22
	s_cbranch_scc0 .LBB47_3168
; %bb.3161:
	s_cmp_lt_i32 s15, 24
	s_cbranch_scc1 .LBB47_3171
; %bb.3162:
	s_cmp_gt_i32 s15, 24
	s_cbranch_scc0 .LBB47_3172
; %bb.3163:
	global_load_u8 v1, v[32:33], off
	s_mov_b32 s18, 0
	s_mov_b32 s17, exec_lo
	s_wait_loadcnt 0x0
	v_cmpx_lt_i16_e32 0x7f, v1
	s_xor_b32 s17, exec_lo, s17
	s_cbranch_execz .LBB47_3184
; %bb.3164:
	v_cmp_ne_u16_e32 vcc_lo, 0x80, v1
	s_and_b32 s18, vcc_lo, exec_lo
	s_and_not1_saveexec_b32 s17, s17
	s_cbranch_execnz .LBB47_3185
.LBB47_3165:
	s_or_b32 exec_lo, exec_lo, s17
	v_mov_b32_e32 v24, 0
	s_and_saveexec_b32 s17, s18
	s_cbranch_execz .LBB47_3167
.LBB47_3166:
	v_and_b32_e32 v3, 0xffff, v1
	s_delay_alu instid0(VALU_DEP_1) | instskip(SKIP_1) | instid1(VALU_DEP_2)
	v_dual_lshlrev_b32 v1, 24, v1 :: v_dual_bitop2_b32 v5, 3, v3 bitop3:0x40
	v_bfe_u32 v11, v3, 2, 5
	v_and_b32_e32 v1, 0x80000000, v1
	s_delay_alu instid0(VALU_DEP_3) | instskip(NEXT) | instid1(VALU_DEP_3)
	v_clz_i32_u32_e32 v7, v5
	v_cmp_eq_u32_e32 vcc_lo, 0, v11
	s_delay_alu instid0(VALU_DEP_2) | instskip(NEXT) | instid1(VALU_DEP_1)
	v_min_u32_e32 v7, 32, v7
	v_subrev_nc_u32_e32 v9, 29, v7
	v_sub_nc_u32_e32 v7, 30, v7
	s_delay_alu instid0(VALU_DEP_2) | instskip(NEXT) | instid1(VALU_DEP_2)
	v_lshlrev_b32_e32 v3, v9, v3
	v_cndmask_b32_e32 v7, v11, v7, vcc_lo
	s_delay_alu instid0(VALU_DEP_2) | instskip(NEXT) | instid1(VALU_DEP_1)
	v_and_b32_e32 v3, 3, v3
	v_cndmask_b32_e32 v3, v5, v3, vcc_lo
	s_delay_alu instid0(VALU_DEP_3) | instskip(NEXT) | instid1(VALU_DEP_2)
	v_lshl_add_u32 v5, v7, 23, 0x37800000
	v_lshlrev_b32_e32 v3, 21, v3
	s_delay_alu instid0(VALU_DEP_1) | instskip(NEXT) | instid1(VALU_DEP_1)
	v_or3_b32 v1, v1, v5, v3
	v_cvt_i32_f32_e32 v24, v1
.LBB47_3167:
	s_or_b32 exec_lo, exec_lo, s17
	s_mov_b32 s17, 0
	s_branch .LBB47_3173
.LBB47_3168:
	s_mov_b32 s17, -1
                                        ; implicit-def: $vgpr24
	s_branch .LBB47_3179
.LBB47_3169:
	s_and_not1_saveexec_b32 s18, s18
	s_cbranch_execz .LBB47_3154
.LBB47_3170:
	v_cmp_ne_u16_e32 vcc_lo, 0, v1
	s_and_not1_b32 s19, s19, exec_lo
	s_and_b32 s20, vcc_lo, exec_lo
	s_delay_alu instid0(SALU_CYCLE_1)
	s_or_b32 s19, s19, s20
	s_or_b32 exec_lo, exec_lo, s18
	v_mov_b32_e32 v24, 0
	s_and_saveexec_b32 s18, s19
	s_cbranch_execnz .LBB47_3155
	s_branch .LBB47_3156
.LBB47_3171:
	s_mov_b32 s17, -1
                                        ; implicit-def: $vgpr24
	s_branch .LBB47_3176
.LBB47_3172:
	s_mov_b32 s17, -1
                                        ; implicit-def: $vgpr24
.LBB47_3173:
	s_delay_alu instid0(SALU_CYCLE_1)
	s_and_b32 vcc_lo, exec_lo, s17
	s_cbranch_vccz .LBB47_3175
; %bb.3174:
	global_load_u8 v1, v[32:33], off
	s_wait_loadcnt 0x0
	v_lshlrev_b32_e32 v1, 24, v1
	s_delay_alu instid0(VALU_DEP_1) | instskip(NEXT) | instid1(VALU_DEP_1)
	v_and_b32_e32 v3, 0x7f000000, v1
	v_clz_i32_u32_e32 v5, v3
	v_add_nc_u32_e32 v9, 0x1000000, v3
	v_cmp_ne_u32_e32 vcc_lo, 0, v3
	s_delay_alu instid0(VALU_DEP_3) | instskip(NEXT) | instid1(VALU_DEP_1)
	v_min_u32_e32 v5, 32, v5
	v_sub_nc_u32_e64 v5, v5, 4 clamp
	s_delay_alu instid0(VALU_DEP_1) | instskip(NEXT) | instid1(VALU_DEP_1)
	v_dual_lshlrev_b32 v7, v5, v3 :: v_dual_lshlrev_b32 v5, 23, v5
	v_lshrrev_b32_e32 v7, 4, v7
	s_delay_alu instid0(VALU_DEP_1) | instskip(SKIP_1) | instid1(VALU_DEP_2)
	v_sub_nc_u32_e32 v5, v7, v5
	v_ashrrev_i32_e32 v7, 8, v9
	v_add_nc_u32_e32 v5, 0x3c000000, v5
	s_delay_alu instid0(VALU_DEP_1) | instskip(NEXT) | instid1(VALU_DEP_1)
	v_and_or_b32 v5, 0x7f800000, v7, v5
	v_cndmask_b32_e32 v3, 0, v5, vcc_lo
	s_delay_alu instid0(VALU_DEP_1) | instskip(NEXT) | instid1(VALU_DEP_1)
	v_and_or_b32 v1, 0x80000000, v1, v3
	v_cvt_i32_f32_e32 v24, v1
.LBB47_3175:
	s_mov_b32 s17, 0
.LBB47_3176:
	s_delay_alu instid0(SALU_CYCLE_1)
	s_and_not1_b32 vcc_lo, exec_lo, s17
	s_cbranch_vccnz .LBB47_3178
; %bb.3177:
	global_load_u8 v1, v[32:33], off
	s_wait_loadcnt 0x0
	v_lshlrev_b32_e32 v3, 25, v1
	v_lshlrev_b16 v1, 8, v1
	s_delay_alu instid0(VALU_DEP_1) | instskip(SKIP_1) | instid1(VALU_DEP_2)
	v_and_or_b32 v7, 0x7f00, v1, 0.5
	v_bfe_i32 v1, v1, 0, 16
	v_add_f32_e32 v7, -0.5, v7
	v_lshrrev_b32_e32 v5, 4, v3
	v_cmp_gt_u32_e32 vcc_lo, 0x8000000, v3
	s_delay_alu instid0(VALU_DEP_2) | instskip(NEXT) | instid1(VALU_DEP_1)
	v_or_b32_e32 v5, 0x70000000, v5
	v_mul_f32_e32 v5, 0x7800000, v5
	s_delay_alu instid0(VALU_DEP_1) | instskip(NEXT) | instid1(VALU_DEP_1)
	v_cndmask_b32_e32 v3, v5, v7, vcc_lo
	v_and_or_b32 v1, 0x80000000, v1, v3
	s_delay_alu instid0(VALU_DEP_1)
	v_cvt_i32_f32_e32 v24, v1
.LBB47_3178:
	s_mov_b32 s17, 0
	s_mov_b32 s18, -1
.LBB47_3179:
	s_and_not1_b32 vcc_lo, exec_lo, s17
	s_mov_b32 s17, 0
	s_cbranch_vccnz .LBB47_3190
; %bb.3180:
	s_cmp_gt_i32 s15, 14
	s_cbranch_scc0 .LBB47_3183
; %bb.3181:
	s_cmp_eq_u32 s15, 15
	s_cbranch_scc0 .LBB47_3186
; %bb.3182:
	global_load_u16 v1, v[32:33], off
	s_mov_b32 s16, 0
	s_mov_b32 s18, -1
	s_wait_loadcnt 0x0
	v_lshlrev_b32_e32 v1, 16, v1
	s_delay_alu instid0(VALU_DEP_1)
	v_cvt_i32_f32_e32 v24, v1
	s_branch .LBB47_3188
.LBB47_3183:
	s_mov_b32 s17, -1
	s_branch .LBB47_3187
.LBB47_3184:
	s_and_not1_saveexec_b32 s17, s17
	s_cbranch_execz .LBB47_3165
.LBB47_3185:
	v_cmp_ne_u16_e32 vcc_lo, 0, v1
	s_and_not1_b32 s18, s18, exec_lo
	s_and_b32 s19, vcc_lo, exec_lo
	s_delay_alu instid0(SALU_CYCLE_1)
	s_or_b32 s18, s18, s19
	s_or_b32 exec_lo, exec_lo, s17
	v_mov_b32_e32 v24, 0
	s_and_saveexec_b32 s17, s18
	s_cbranch_execnz .LBB47_3166
	s_branch .LBB47_3167
.LBB47_3186:
	s_mov_b32 s16, -1
.LBB47_3187:
                                        ; implicit-def: $vgpr24
.LBB47_3188:
	s_and_b32 vcc_lo, exec_lo, s17
	s_mov_b32 s17, 0
	s_cbranch_vccz .LBB47_3190
; %bb.3189:
	s_cmp_lg_u32 s15, 11
	s_mov_b32 s17, -1
	s_cselect_b32 s16, -1, 0
.LBB47_3190:
	s_delay_alu instid0(SALU_CYCLE_1)
	s_and_b32 vcc_lo, exec_lo, s16
	s_cbranch_vccnz .LBB47_3255
; %bb.3191:
	s_and_not1_b32 vcc_lo, exec_lo, s17
	s_cbranch_vccnz .LBB47_3193
.LBB47_3192:
	global_load_u8 v1, v[32:33], off
	s_mov_b32 s18, -1
	s_wait_loadcnt 0x0
	v_cmp_ne_u16_e32 vcc_lo, 0, v1
	v_cndmask_b32_e64 v24, 0, 1, vcc_lo
.LBB47_3193:
	s_mov_b32 s16, 0
.LBB47_3194:
	s_delay_alu instid0(SALU_CYCLE_1)
	s_and_b32 vcc_lo, exec_lo, s16
	s_cbranch_vccz .LBB47_3243
; %bb.3195:
	s_cmp_lt_i32 s15, 5
	s_cbranch_scc1 .LBB47_3200
; %bb.3196:
	s_cmp_lt_i32 s15, 8
	s_cbranch_scc1 .LBB47_3201
	;; [unrolled: 3-line block ×3, first 2 shown]
; %bb.3198:
	s_cmp_gt_i32 s15, 9
	s_cbranch_scc0 .LBB47_3203
; %bb.3199:
	s_wait_loadcnt 0x0
	global_load_b64 v[24:25], v[32:33], off
	s_mov_b32 s16, 0
	s_wait_loadcnt 0x0
	v_cvt_i32_f64_e32 v24, v[24:25]
	s_branch .LBB47_3204
.LBB47_3200:
	s_mov_b32 s16, -1
                                        ; implicit-def: $vgpr24
	s_branch .LBB47_3222
.LBB47_3201:
	s_mov_b32 s16, -1
                                        ; implicit-def: $vgpr24
	s_branch .LBB47_3210
.LBB47_3202:
	s_mov_b32 s16, -1
                                        ; implicit-def: $vgpr24
	s_branch .LBB47_3207
.LBB47_3203:
	s_mov_b32 s16, -1
                                        ; implicit-def: $vgpr24
.LBB47_3204:
	s_delay_alu instid0(SALU_CYCLE_1)
	s_and_not1_b32 vcc_lo, exec_lo, s16
	s_cbranch_vccnz .LBB47_3206
; %bb.3205:
	global_load_b32 v1, v[32:33], off
	s_wait_loadcnt 0x0
	v_cvt_i32_f32_e32 v24, v1
.LBB47_3206:
	s_mov_b32 s16, 0
.LBB47_3207:
	s_delay_alu instid0(SALU_CYCLE_1)
	s_and_not1_b32 vcc_lo, exec_lo, s16
	s_cbranch_vccnz .LBB47_3209
; %bb.3208:
	global_load_b32 v1, v[32:33], off
	s_wait_loadcnt 0x0
	v_cvt_i16_f16_e32 v24, v1
.LBB47_3209:
	s_mov_b32 s16, 0
.LBB47_3210:
	s_delay_alu instid0(SALU_CYCLE_1)
	s_and_not1_b32 vcc_lo, exec_lo, s16
	s_cbranch_vccnz .LBB47_3221
; %bb.3211:
	s_cmp_lt_i32 s15, 6
	s_cbranch_scc1 .LBB47_3214
; %bb.3212:
	s_cmp_gt_i32 s15, 6
	s_cbranch_scc0 .LBB47_3215
; %bb.3213:
	s_wait_loadcnt 0x0
	global_load_b64 v[24:25], v[32:33], off
	s_mov_b32 s16, 0
	s_wait_loadcnt 0x0
	v_cvt_i32_f64_e32 v24, v[24:25]
	s_branch .LBB47_3216
.LBB47_3214:
	s_mov_b32 s16, -1
                                        ; implicit-def: $vgpr24
	s_branch .LBB47_3219
.LBB47_3215:
	s_mov_b32 s16, -1
                                        ; implicit-def: $vgpr24
.LBB47_3216:
	s_delay_alu instid0(SALU_CYCLE_1)
	s_and_not1_b32 vcc_lo, exec_lo, s16
	s_cbranch_vccnz .LBB47_3218
; %bb.3217:
	global_load_b32 v1, v[32:33], off
	s_wait_loadcnt 0x0
	v_cvt_i32_f32_e32 v24, v1
.LBB47_3218:
	s_mov_b32 s16, 0
.LBB47_3219:
	s_delay_alu instid0(SALU_CYCLE_1)
	s_and_not1_b32 vcc_lo, exec_lo, s16
	s_cbranch_vccnz .LBB47_3221
; %bb.3220:
	global_load_u16 v1, v[32:33], off
	s_wait_loadcnt 0x0
	v_cvt_i16_f16_e32 v24, v1
.LBB47_3221:
	s_mov_b32 s16, 0
.LBB47_3222:
	s_delay_alu instid0(SALU_CYCLE_1)
	s_and_not1_b32 vcc_lo, exec_lo, s16
	s_cbranch_vccnz .LBB47_3242
; %bb.3223:
	s_cmp_lt_i32 s15, 2
	s_cbranch_scc1 .LBB47_3227
; %bb.3224:
	s_cmp_lt_i32 s15, 3
	s_cbranch_scc1 .LBB47_3228
; %bb.3225:
	s_cmp_gt_i32 s15, 3
	s_cbranch_scc0 .LBB47_3229
; %bb.3226:
	s_wait_loadcnt 0x0
	global_load_b64 v[24:25], v[32:33], off
	s_mov_b32 s16, 0
	s_branch .LBB47_3230
.LBB47_3227:
	s_mov_b32 s16, -1
                                        ; implicit-def: $vgpr24
	s_branch .LBB47_3236
.LBB47_3228:
	s_mov_b32 s16, -1
                                        ; implicit-def: $vgpr24
	s_branch .LBB47_3233
.LBB47_3229:
	s_mov_b32 s16, -1
                                        ; implicit-def: $vgpr24
.LBB47_3230:
	s_delay_alu instid0(SALU_CYCLE_1)
	s_and_not1_b32 vcc_lo, exec_lo, s16
	s_cbranch_vccnz .LBB47_3232
; %bb.3231:
	s_wait_loadcnt 0x0
	global_load_b32 v24, v[32:33], off
.LBB47_3232:
	s_mov_b32 s16, 0
.LBB47_3233:
	s_delay_alu instid0(SALU_CYCLE_1)
	s_and_not1_b32 vcc_lo, exec_lo, s16
	s_cbranch_vccnz .LBB47_3235
; %bb.3234:
	s_wait_loadcnt 0x0
	global_load_u16 v24, v[32:33], off
.LBB47_3235:
	s_mov_b32 s16, 0
.LBB47_3236:
	s_delay_alu instid0(SALU_CYCLE_1)
	s_and_not1_b32 vcc_lo, exec_lo, s16
	s_cbranch_vccnz .LBB47_3242
; %bb.3237:
	s_cmp_gt_i32 s15, 0
	s_mov_b32 s16, 0
	s_cbranch_scc0 .LBB47_3239
; %bb.3238:
	s_wait_loadcnt 0x0
	global_load_u8 v24, v[32:33], off
	s_branch .LBB47_3240
.LBB47_3239:
	s_mov_b32 s16, -1
                                        ; implicit-def: $vgpr24
.LBB47_3240:
	s_delay_alu instid0(SALU_CYCLE_1)
	s_and_not1_b32 vcc_lo, exec_lo, s16
	s_cbranch_vccnz .LBB47_3242
; %bb.3241:
	s_wait_loadcnt 0x0
	global_load_u8 v24, v[32:33], off
.LBB47_3242:
	s_mov_b32 s18, -1
.LBB47_3243:
	s_delay_alu instid0(SALU_CYCLE_1)
	s_and_not1_b32 vcc_lo, exec_lo, s18
	s_cbranch_vccnz .LBB47_4058
; %bb.3244:
	v_mov_b32_e32 v21, 0
	s_cmp_lt_i32 s13, 11
	s_wait_xcnt 0x0
	s_delay_alu instid0(VALU_DEP_1)
	v_add_nc_u64_e32 v[32:33], s[6:7], v[20:21]
	s_cbranch_scc1 .LBB47_3251
; %bb.3245:
	s_cmp_gt_i32 s13, 25
	s_mov_b32 s7, 0
	s_cbranch_scc0 .LBB47_3252
; %bb.3246:
	s_cmp_gt_i32 s13, 28
	s_cbranch_scc0 .LBB47_3253
; %bb.3247:
	s_cmp_gt_i32 s13, 43
	;; [unrolled: 3-line block ×3, first 2 shown]
	s_cbranch_scc0 .LBB47_3256
; %bb.3249:
	s_cmp_eq_u32 s13, 46
	s_mov_b32 s17, 0
	s_cbranch_scc0 .LBB47_3257
; %bb.3250:
	global_load_b32 v1, v[32:33], off
	s_mov_b32 s6, 0
	s_mov_b32 s16, -1
	s_wait_loadcnt 0x0
	v_lshlrev_b32_e32 v1, 16, v1
	s_delay_alu instid0(VALU_DEP_1)
	v_cvt_i32_f32_e32 v20, v1
	s_branch .LBB47_3259
.LBB47_3251:
	s_mov_b32 s6, -1
	s_mov_b32 s16, 0
                                        ; implicit-def: $vgpr20
	s_branch .LBB47_3321
.LBB47_3252:
	s_mov_b32 s17, -1
	s_mov_b32 s16, 0
	s_mov_b32 s6, 0
                                        ; implicit-def: $vgpr20
	s_branch .LBB47_3286
.LBB47_3253:
	s_mov_b32 s17, -1
	s_mov_b32 s16, 0
	s_mov_b32 s6, 0
                                        ; implicit-def: $vgpr20
	s_branch .LBB47_3269
.LBB47_3254:
	s_mov_b32 s17, -1
	s_mov_b32 s16, 0
	s_mov_b32 s6, 0
                                        ; implicit-def: $vgpr20
	s_branch .LBB47_3264
.LBB47_3255:
	s_or_b32 s12, s12, exec_lo
	s_trap 2
	s_cbranch_execz .LBB47_3192
	s_branch .LBB47_3193
.LBB47_3256:
	s_mov_b32 s17, -1
	s_mov_b32 s16, 0
	s_mov_b32 s6, 0
	s_branch .LBB47_3258
.LBB47_3257:
	s_mov_b32 s6, -1
	s_mov_b32 s16, 0
.LBB47_3258:
                                        ; implicit-def: $vgpr20
.LBB47_3259:
	s_and_b32 vcc_lo, exec_lo, s17
	s_cbranch_vccz .LBB47_3263
; %bb.3260:
	s_cmp_eq_u32 s13, 44
	s_cbranch_scc0 .LBB47_3262
; %bb.3261:
	global_load_u8 v1, v[32:33], off
	s_mov_b32 s6, 0
	s_mov_b32 s16, -1
	s_wait_loadcnt 0x0
	v_lshlrev_b32_e32 v3, 23, v1
	v_cmp_ne_u32_e32 vcc_lo, 0, v1
	s_delay_alu instid0(VALU_DEP_2) | instskip(NEXT) | instid1(VALU_DEP_1)
	v_cvt_i32_f32_e32 v3, v3
	v_cndmask_b32_e32 v20, 0, v3, vcc_lo
	s_branch .LBB47_3263
.LBB47_3262:
	s_mov_b32 s6, -1
                                        ; implicit-def: $vgpr20
.LBB47_3263:
	s_mov_b32 s17, 0
.LBB47_3264:
	s_delay_alu instid0(SALU_CYCLE_1)
	s_and_b32 vcc_lo, exec_lo, s17
	s_cbranch_vccz .LBB47_3268
; %bb.3265:
	s_cmp_eq_u32 s13, 29
	s_cbranch_scc0 .LBB47_3267
; %bb.3266:
	global_load_b64 v[20:21], v[32:33], off
	s_mov_b32 s6, 0
	s_mov_b32 s16, -1
	s_branch .LBB47_3268
.LBB47_3267:
	s_mov_b32 s6, -1
                                        ; implicit-def: $vgpr20
.LBB47_3268:
	s_mov_b32 s17, 0
.LBB47_3269:
	s_delay_alu instid0(SALU_CYCLE_1)
	s_and_b32 vcc_lo, exec_lo, s17
	s_cbranch_vccz .LBB47_3285
; %bb.3270:
	s_cmp_lt_i32 s13, 27
	s_cbranch_scc1 .LBB47_3273
; %bb.3271:
	s_cmp_gt_i32 s13, 27
	s_cbranch_scc0 .LBB47_3274
; %bb.3272:
	s_wait_loadcnt 0x0
	global_load_b32 v20, v[32:33], off
	s_mov_b32 s16, 0
	s_branch .LBB47_3275
.LBB47_3273:
	s_mov_b32 s16, -1
                                        ; implicit-def: $vgpr20
	s_branch .LBB47_3278
.LBB47_3274:
	s_mov_b32 s16, -1
                                        ; implicit-def: $vgpr20
.LBB47_3275:
	s_delay_alu instid0(SALU_CYCLE_1)
	s_and_not1_b32 vcc_lo, exec_lo, s16
	s_cbranch_vccnz .LBB47_3277
; %bb.3276:
	s_wait_loadcnt 0x0
	global_load_u16 v20, v[32:33], off
.LBB47_3277:
	s_mov_b32 s16, 0
.LBB47_3278:
	s_delay_alu instid0(SALU_CYCLE_1)
	s_and_not1_b32 vcc_lo, exec_lo, s16
	s_cbranch_vccnz .LBB47_3284
; %bb.3279:
	global_load_u8 v1, v[32:33], off
	s_mov_b32 s17, 0
	s_mov_b32 s16, exec_lo
	s_wait_loadcnt 0x0
	v_cmpx_lt_i16_e32 0x7f, v1
	s_xor_b32 s16, exec_lo, s16
	s_cbranch_execz .LBB47_3296
; %bb.3280:
	v_cmp_ne_u16_e32 vcc_lo, 0x80, v1
	s_and_b32 s17, vcc_lo, exec_lo
	s_and_not1_saveexec_b32 s16, s16
	s_cbranch_execnz .LBB47_3297
.LBB47_3281:
	s_or_b32 exec_lo, exec_lo, s16
	v_mov_b32_e32 v20, 0
	s_and_saveexec_b32 s16, s17
	s_cbranch_execz .LBB47_3283
.LBB47_3282:
	v_and_b32_e32 v3, 0xffff, v1
	s_delay_alu instid0(VALU_DEP_1) | instskip(SKIP_1) | instid1(VALU_DEP_2)
	v_dual_lshlrev_b32 v1, 24, v1 :: v_dual_bitop2_b32 v5, 7, v3 bitop3:0x40
	v_bfe_u32 v11, v3, 3, 4
	v_and_b32_e32 v1, 0x80000000, v1
	s_delay_alu instid0(VALU_DEP_3) | instskip(NEXT) | instid1(VALU_DEP_3)
	v_clz_i32_u32_e32 v7, v5
	v_cmp_eq_u32_e32 vcc_lo, 0, v11
	s_delay_alu instid0(VALU_DEP_2) | instskip(NEXT) | instid1(VALU_DEP_1)
	v_min_u32_e32 v7, 32, v7
	v_subrev_nc_u32_e32 v9, 28, v7
	v_sub_nc_u32_e32 v7, 29, v7
	s_delay_alu instid0(VALU_DEP_2) | instskip(NEXT) | instid1(VALU_DEP_2)
	v_lshlrev_b32_e32 v3, v9, v3
	v_cndmask_b32_e32 v7, v11, v7, vcc_lo
	s_delay_alu instid0(VALU_DEP_2) | instskip(NEXT) | instid1(VALU_DEP_1)
	v_and_b32_e32 v3, 7, v3
	v_cndmask_b32_e32 v3, v5, v3, vcc_lo
	s_delay_alu instid0(VALU_DEP_3) | instskip(NEXT) | instid1(VALU_DEP_2)
	v_lshl_add_u32 v5, v7, 23, 0x3b800000
	v_lshlrev_b32_e32 v3, 20, v3
	s_delay_alu instid0(VALU_DEP_1) | instskip(NEXT) | instid1(VALU_DEP_1)
	v_or3_b32 v1, v1, v5, v3
	v_cvt_i32_f32_e32 v20, v1
.LBB47_3283:
	s_or_b32 exec_lo, exec_lo, s16
.LBB47_3284:
	s_mov_b32 s16, -1
.LBB47_3285:
	s_mov_b32 s17, 0
.LBB47_3286:
	s_delay_alu instid0(SALU_CYCLE_1)
	s_and_b32 vcc_lo, exec_lo, s17
	s_cbranch_vccz .LBB47_3317
; %bb.3287:
	s_cmp_gt_i32 s13, 22
	s_cbranch_scc0 .LBB47_3295
; %bb.3288:
	s_cmp_lt_i32 s13, 24
	s_cbranch_scc1 .LBB47_3298
; %bb.3289:
	s_cmp_gt_i32 s13, 24
	s_cbranch_scc0 .LBB47_3299
; %bb.3290:
	global_load_u8 v1, v[32:33], off
	s_mov_b32 s16, 0
	s_mov_b32 s7, exec_lo
	s_wait_loadcnt 0x0
	v_cmpx_lt_i16_e32 0x7f, v1
	s_xor_b32 s7, exec_lo, s7
	s_cbranch_execz .LBB47_3311
; %bb.3291:
	v_cmp_ne_u16_e32 vcc_lo, 0x80, v1
	s_and_b32 s16, vcc_lo, exec_lo
	s_and_not1_saveexec_b32 s7, s7
	s_cbranch_execnz .LBB47_3312
.LBB47_3292:
	s_or_b32 exec_lo, exec_lo, s7
	v_mov_b32_e32 v20, 0
	s_and_saveexec_b32 s7, s16
	s_cbranch_execz .LBB47_3294
.LBB47_3293:
	v_and_b32_e32 v3, 0xffff, v1
	s_delay_alu instid0(VALU_DEP_1) | instskip(SKIP_1) | instid1(VALU_DEP_2)
	v_dual_lshlrev_b32 v1, 24, v1 :: v_dual_bitop2_b32 v5, 3, v3 bitop3:0x40
	v_bfe_u32 v11, v3, 2, 5
	v_and_b32_e32 v1, 0x80000000, v1
	s_delay_alu instid0(VALU_DEP_3) | instskip(NEXT) | instid1(VALU_DEP_3)
	v_clz_i32_u32_e32 v7, v5
	v_cmp_eq_u32_e32 vcc_lo, 0, v11
	s_delay_alu instid0(VALU_DEP_2) | instskip(NEXT) | instid1(VALU_DEP_1)
	v_min_u32_e32 v7, 32, v7
	v_subrev_nc_u32_e32 v9, 29, v7
	v_sub_nc_u32_e32 v7, 30, v7
	s_delay_alu instid0(VALU_DEP_2) | instskip(NEXT) | instid1(VALU_DEP_2)
	v_lshlrev_b32_e32 v3, v9, v3
	v_cndmask_b32_e32 v7, v11, v7, vcc_lo
	s_delay_alu instid0(VALU_DEP_2) | instskip(NEXT) | instid1(VALU_DEP_1)
	v_and_b32_e32 v3, 3, v3
	v_cndmask_b32_e32 v3, v5, v3, vcc_lo
	s_delay_alu instid0(VALU_DEP_3) | instskip(NEXT) | instid1(VALU_DEP_2)
	v_lshl_add_u32 v5, v7, 23, 0x37800000
	v_lshlrev_b32_e32 v3, 21, v3
	s_delay_alu instid0(VALU_DEP_1) | instskip(NEXT) | instid1(VALU_DEP_1)
	v_or3_b32 v1, v1, v5, v3
	v_cvt_i32_f32_e32 v20, v1
.LBB47_3294:
	s_or_b32 exec_lo, exec_lo, s7
	s_mov_b32 s7, 0
	s_branch .LBB47_3300
.LBB47_3295:
	s_mov_b32 s7, -1
                                        ; implicit-def: $vgpr20
	s_branch .LBB47_3306
.LBB47_3296:
	s_and_not1_saveexec_b32 s16, s16
	s_cbranch_execz .LBB47_3281
.LBB47_3297:
	v_cmp_ne_u16_e32 vcc_lo, 0, v1
	s_and_not1_b32 s17, s17, exec_lo
	s_and_b32 s18, vcc_lo, exec_lo
	s_delay_alu instid0(SALU_CYCLE_1)
	s_or_b32 s17, s17, s18
	s_or_b32 exec_lo, exec_lo, s16
	v_mov_b32_e32 v20, 0
	s_and_saveexec_b32 s16, s17
	s_cbranch_execnz .LBB47_3282
	s_branch .LBB47_3283
.LBB47_3298:
	s_mov_b32 s7, -1
                                        ; implicit-def: $vgpr20
	s_branch .LBB47_3303
.LBB47_3299:
	s_mov_b32 s7, -1
                                        ; implicit-def: $vgpr20
.LBB47_3300:
	s_delay_alu instid0(SALU_CYCLE_1)
	s_and_b32 vcc_lo, exec_lo, s7
	s_cbranch_vccz .LBB47_3302
; %bb.3301:
	global_load_u8 v1, v[32:33], off
	s_wait_loadcnt 0x0
	v_lshlrev_b32_e32 v1, 24, v1
	s_delay_alu instid0(VALU_DEP_1) | instskip(NEXT) | instid1(VALU_DEP_1)
	v_and_b32_e32 v3, 0x7f000000, v1
	v_clz_i32_u32_e32 v5, v3
	v_add_nc_u32_e32 v9, 0x1000000, v3
	v_cmp_ne_u32_e32 vcc_lo, 0, v3
	s_delay_alu instid0(VALU_DEP_3) | instskip(NEXT) | instid1(VALU_DEP_1)
	v_min_u32_e32 v5, 32, v5
	v_sub_nc_u32_e64 v5, v5, 4 clamp
	s_delay_alu instid0(VALU_DEP_1) | instskip(NEXT) | instid1(VALU_DEP_1)
	v_dual_lshlrev_b32 v7, v5, v3 :: v_dual_lshlrev_b32 v5, 23, v5
	v_lshrrev_b32_e32 v7, 4, v7
	s_delay_alu instid0(VALU_DEP_1) | instskip(SKIP_1) | instid1(VALU_DEP_2)
	v_sub_nc_u32_e32 v5, v7, v5
	v_ashrrev_i32_e32 v7, 8, v9
	v_add_nc_u32_e32 v5, 0x3c000000, v5
	s_delay_alu instid0(VALU_DEP_1) | instskip(NEXT) | instid1(VALU_DEP_1)
	v_and_or_b32 v5, 0x7f800000, v7, v5
	v_cndmask_b32_e32 v3, 0, v5, vcc_lo
	s_delay_alu instid0(VALU_DEP_1) | instskip(NEXT) | instid1(VALU_DEP_1)
	v_and_or_b32 v1, 0x80000000, v1, v3
	v_cvt_i32_f32_e32 v20, v1
.LBB47_3302:
	s_mov_b32 s7, 0
.LBB47_3303:
	s_delay_alu instid0(SALU_CYCLE_1)
	s_and_not1_b32 vcc_lo, exec_lo, s7
	s_cbranch_vccnz .LBB47_3305
; %bb.3304:
	global_load_u8 v1, v[32:33], off
	s_wait_loadcnt 0x0
	v_lshlrev_b32_e32 v3, 25, v1
	v_lshlrev_b16 v1, 8, v1
	s_delay_alu instid0(VALU_DEP_1) | instskip(SKIP_1) | instid1(VALU_DEP_2)
	v_and_or_b32 v7, 0x7f00, v1, 0.5
	v_bfe_i32 v1, v1, 0, 16
	v_add_f32_e32 v7, -0.5, v7
	v_lshrrev_b32_e32 v5, 4, v3
	v_cmp_gt_u32_e32 vcc_lo, 0x8000000, v3
	s_delay_alu instid0(VALU_DEP_2) | instskip(NEXT) | instid1(VALU_DEP_1)
	v_or_b32_e32 v5, 0x70000000, v5
	v_mul_f32_e32 v5, 0x7800000, v5
	s_delay_alu instid0(VALU_DEP_1) | instskip(NEXT) | instid1(VALU_DEP_1)
	v_cndmask_b32_e32 v3, v5, v7, vcc_lo
	v_and_or_b32 v1, 0x80000000, v1, v3
	s_delay_alu instid0(VALU_DEP_1)
	v_cvt_i32_f32_e32 v20, v1
.LBB47_3305:
	s_mov_b32 s7, 0
	s_mov_b32 s16, -1
.LBB47_3306:
	s_and_not1_b32 vcc_lo, exec_lo, s7
	s_mov_b32 s7, 0
	s_cbranch_vccnz .LBB47_3317
; %bb.3307:
	s_cmp_gt_i32 s13, 14
	s_cbranch_scc0 .LBB47_3310
; %bb.3308:
	s_cmp_eq_u32 s13, 15
	s_cbranch_scc0 .LBB47_3313
; %bb.3309:
	global_load_u16 v1, v[32:33], off
	s_mov_b32 s6, 0
	s_mov_b32 s16, -1
	s_wait_loadcnt 0x0
	v_lshlrev_b32_e32 v1, 16, v1
	s_delay_alu instid0(VALU_DEP_1)
	v_cvt_i32_f32_e32 v20, v1
	s_branch .LBB47_3315
.LBB47_3310:
	s_mov_b32 s7, -1
	s_branch .LBB47_3314
.LBB47_3311:
	s_and_not1_saveexec_b32 s7, s7
	s_cbranch_execz .LBB47_3292
.LBB47_3312:
	v_cmp_ne_u16_e32 vcc_lo, 0, v1
	s_and_not1_b32 s16, s16, exec_lo
	s_and_b32 s17, vcc_lo, exec_lo
	s_delay_alu instid0(SALU_CYCLE_1)
	s_or_b32 s16, s16, s17
	s_or_b32 exec_lo, exec_lo, s7
	v_mov_b32_e32 v20, 0
	s_and_saveexec_b32 s7, s16
	s_cbranch_execnz .LBB47_3293
	s_branch .LBB47_3294
.LBB47_3313:
	s_mov_b32 s6, -1
.LBB47_3314:
                                        ; implicit-def: $vgpr20
.LBB47_3315:
	s_and_b32 vcc_lo, exec_lo, s7
	s_mov_b32 s7, 0
	s_cbranch_vccz .LBB47_3317
; %bb.3316:
	s_cmp_lg_u32 s13, 11
	s_mov_b32 s7, -1
	s_cselect_b32 s6, -1, 0
.LBB47_3317:
	s_delay_alu instid0(SALU_CYCLE_1)
	s_and_b32 vcc_lo, exec_lo, s6
	s_cbranch_vccnz .LBB47_3382
; %bb.3318:
	s_and_not1_b32 vcc_lo, exec_lo, s7
	s_cbranch_vccnz .LBB47_3320
.LBB47_3319:
	global_load_u8 v1, v[32:33], off
	s_mov_b32 s16, -1
	s_wait_loadcnt 0x0
	v_cmp_ne_u16_e32 vcc_lo, 0, v1
	v_cndmask_b32_e64 v20, 0, 1, vcc_lo
.LBB47_3320:
	s_mov_b32 s6, 0
.LBB47_3321:
	s_delay_alu instid0(SALU_CYCLE_1)
	s_and_b32 vcc_lo, exec_lo, s6
	s_cbranch_vccz .LBB47_3370
; %bb.3322:
	s_cmp_lt_i32 s13, 5
	s_cbranch_scc1 .LBB47_3327
; %bb.3323:
	s_cmp_lt_i32 s13, 8
	s_cbranch_scc1 .LBB47_3328
	;; [unrolled: 3-line block ×3, first 2 shown]
; %bb.3325:
	s_cmp_gt_i32 s13, 9
	s_cbranch_scc0 .LBB47_3330
; %bb.3326:
	s_wait_loadcnt 0x0
	global_load_b64 v[20:21], v[32:33], off
	s_mov_b32 s6, 0
	s_wait_loadcnt 0x0
	v_cvt_i32_f64_e32 v20, v[20:21]
	s_branch .LBB47_3331
.LBB47_3327:
	s_mov_b32 s6, -1
                                        ; implicit-def: $vgpr20
	s_branch .LBB47_3349
.LBB47_3328:
	s_mov_b32 s6, -1
                                        ; implicit-def: $vgpr20
	s_branch .LBB47_3337
.LBB47_3329:
	s_mov_b32 s6, -1
                                        ; implicit-def: $vgpr20
	s_branch .LBB47_3334
.LBB47_3330:
	s_mov_b32 s6, -1
                                        ; implicit-def: $vgpr20
.LBB47_3331:
	s_delay_alu instid0(SALU_CYCLE_1)
	s_and_not1_b32 vcc_lo, exec_lo, s6
	s_cbranch_vccnz .LBB47_3333
; %bb.3332:
	global_load_b32 v1, v[32:33], off
	s_wait_loadcnt 0x0
	v_cvt_i32_f32_e32 v20, v1
.LBB47_3333:
	s_mov_b32 s6, 0
.LBB47_3334:
	s_delay_alu instid0(SALU_CYCLE_1)
	s_and_not1_b32 vcc_lo, exec_lo, s6
	s_cbranch_vccnz .LBB47_3336
; %bb.3335:
	global_load_b32 v1, v[32:33], off
	s_wait_loadcnt 0x0
	v_cvt_i16_f16_e32 v20, v1
.LBB47_3336:
	s_mov_b32 s6, 0
.LBB47_3337:
	s_delay_alu instid0(SALU_CYCLE_1)
	s_and_not1_b32 vcc_lo, exec_lo, s6
	s_cbranch_vccnz .LBB47_3348
; %bb.3338:
	s_cmp_lt_i32 s13, 6
	s_cbranch_scc1 .LBB47_3341
; %bb.3339:
	s_cmp_gt_i32 s13, 6
	s_cbranch_scc0 .LBB47_3342
; %bb.3340:
	s_wait_loadcnt 0x0
	global_load_b64 v[20:21], v[32:33], off
	s_mov_b32 s6, 0
	s_wait_loadcnt 0x0
	v_cvt_i32_f64_e32 v20, v[20:21]
	s_branch .LBB47_3343
.LBB47_3341:
	s_mov_b32 s6, -1
                                        ; implicit-def: $vgpr20
	s_branch .LBB47_3346
.LBB47_3342:
	s_mov_b32 s6, -1
                                        ; implicit-def: $vgpr20
.LBB47_3343:
	s_delay_alu instid0(SALU_CYCLE_1)
	s_and_not1_b32 vcc_lo, exec_lo, s6
	s_cbranch_vccnz .LBB47_3345
; %bb.3344:
	global_load_b32 v1, v[32:33], off
	s_wait_loadcnt 0x0
	v_cvt_i32_f32_e32 v20, v1
.LBB47_3345:
	s_mov_b32 s6, 0
.LBB47_3346:
	s_delay_alu instid0(SALU_CYCLE_1)
	s_and_not1_b32 vcc_lo, exec_lo, s6
	s_cbranch_vccnz .LBB47_3348
; %bb.3347:
	global_load_u16 v1, v[32:33], off
	s_wait_loadcnt 0x0
	v_cvt_i16_f16_e32 v20, v1
.LBB47_3348:
	s_mov_b32 s6, 0
.LBB47_3349:
	s_delay_alu instid0(SALU_CYCLE_1)
	s_and_not1_b32 vcc_lo, exec_lo, s6
	s_cbranch_vccnz .LBB47_3369
; %bb.3350:
	s_cmp_lt_i32 s13, 2
	s_cbranch_scc1 .LBB47_3354
; %bb.3351:
	s_cmp_lt_i32 s13, 3
	s_cbranch_scc1 .LBB47_3355
; %bb.3352:
	s_cmp_gt_i32 s13, 3
	s_cbranch_scc0 .LBB47_3356
; %bb.3353:
	s_wait_loadcnt 0x0
	global_load_b64 v[20:21], v[32:33], off
	s_mov_b32 s6, 0
	s_branch .LBB47_3357
.LBB47_3354:
	s_mov_b32 s6, -1
                                        ; implicit-def: $vgpr20
	s_branch .LBB47_3363
.LBB47_3355:
	s_mov_b32 s6, -1
                                        ; implicit-def: $vgpr20
	s_branch .LBB47_3360
.LBB47_3356:
	s_mov_b32 s6, -1
                                        ; implicit-def: $vgpr20
.LBB47_3357:
	s_delay_alu instid0(SALU_CYCLE_1)
	s_and_not1_b32 vcc_lo, exec_lo, s6
	s_cbranch_vccnz .LBB47_3359
; %bb.3358:
	s_wait_loadcnt 0x0
	global_load_b32 v20, v[32:33], off
.LBB47_3359:
	s_mov_b32 s6, 0
.LBB47_3360:
	s_delay_alu instid0(SALU_CYCLE_1)
	s_and_not1_b32 vcc_lo, exec_lo, s6
	s_cbranch_vccnz .LBB47_3362
; %bb.3361:
	s_wait_loadcnt 0x0
	global_load_u16 v20, v[32:33], off
.LBB47_3362:
	s_mov_b32 s6, 0
.LBB47_3363:
	s_delay_alu instid0(SALU_CYCLE_1)
	s_and_not1_b32 vcc_lo, exec_lo, s6
	s_cbranch_vccnz .LBB47_3369
; %bb.3364:
	s_cmp_gt_i32 s13, 0
	s_mov_b32 s6, 0
	s_cbranch_scc0 .LBB47_3366
; %bb.3365:
	s_wait_loadcnt 0x0
	global_load_u8 v20, v[32:33], off
	s_branch .LBB47_3367
.LBB47_3366:
	s_mov_b32 s6, -1
                                        ; implicit-def: $vgpr20
.LBB47_3367:
	s_delay_alu instid0(SALU_CYCLE_1)
	s_and_not1_b32 vcc_lo, exec_lo, s6
	s_cbranch_vccnz .LBB47_3369
; %bb.3368:
	s_wait_loadcnt 0x0
	global_load_u8 v20, v[32:33], off
.LBB47_3369:
	s_mov_b32 s16, -1
.LBB47_3370:
	s_delay_alu instid0(SALU_CYCLE_1)
	s_and_not1_b32 vcc_lo, exec_lo, s16
	s_cbranch_vccnz .LBB47_4058
; %bb.3371:
	v_mov_b32_e32 v15, 0
	s_cmp_lt_i32 s14, 11
	s_wait_xcnt 0x0
	s_delay_alu instid0(VALU_DEP_1)
	v_add_nc_u64_e32 v[32:33], s[0:1], v[14:15]
	s_cbranch_scc1 .LBB47_3378
; %bb.3372:
	s_cmp_gt_i32 s14, 25
	s_mov_b32 s1, 0
	s_cbranch_scc0 .LBB47_3379
; %bb.3373:
	s_cmp_gt_i32 s14, 28
	s_cbranch_scc0 .LBB47_3380
; %bb.3374:
	s_cmp_gt_i32 s14, 43
	;; [unrolled: 3-line block ×3, first 2 shown]
	s_cbranch_scc0 .LBB47_3383
; %bb.3376:
	s_cmp_eq_u32 s14, 46
	s_mov_b32 s7, 0
	s_cbranch_scc0 .LBB47_3384
; %bb.3377:
	global_load_b32 v1, v[32:33], off
	s_mov_b32 s0, 0
	s_mov_b32 s6, -1
	s_wait_loadcnt 0x0
	v_lshlrev_b32_e32 v1, 16, v1
	s_delay_alu instid0(VALU_DEP_1)
	v_cvt_i32_f32_e32 v14, v1
	s_branch .LBB47_3386
.LBB47_3378:
	s_mov_b32 s0, -1
	s_mov_b32 s6, 0
                                        ; implicit-def: $vgpr14
	s_branch .LBB47_3448
.LBB47_3379:
	s_mov_b32 s7, -1
	s_mov_b32 s6, 0
	s_mov_b32 s0, 0
                                        ; implicit-def: $vgpr14
	s_branch .LBB47_3413
.LBB47_3380:
	s_mov_b32 s7, -1
	s_mov_b32 s6, 0
	s_mov_b32 s0, 0
                                        ; implicit-def: $vgpr14
	s_branch .LBB47_3396
.LBB47_3381:
	s_mov_b32 s7, -1
	s_mov_b32 s6, 0
	s_mov_b32 s0, 0
                                        ; implicit-def: $vgpr14
	s_branch .LBB47_3391
.LBB47_3382:
	s_or_b32 s12, s12, exec_lo
	s_trap 2
	s_cbranch_execz .LBB47_3319
	s_branch .LBB47_3320
.LBB47_3383:
	s_mov_b32 s7, -1
	s_mov_b32 s6, 0
	s_mov_b32 s0, 0
	s_branch .LBB47_3385
.LBB47_3384:
	s_mov_b32 s0, -1
	s_mov_b32 s6, 0
.LBB47_3385:
                                        ; implicit-def: $vgpr14
.LBB47_3386:
	s_and_b32 vcc_lo, exec_lo, s7
	s_cbranch_vccz .LBB47_3390
; %bb.3387:
	s_cmp_eq_u32 s14, 44
	s_cbranch_scc0 .LBB47_3389
; %bb.3388:
	global_load_u8 v1, v[32:33], off
	s_mov_b32 s0, 0
	s_mov_b32 s6, -1
	s_wait_loadcnt 0x0
	v_lshlrev_b32_e32 v3, 23, v1
	v_cmp_ne_u32_e32 vcc_lo, 0, v1
	s_delay_alu instid0(VALU_DEP_2) | instskip(NEXT) | instid1(VALU_DEP_1)
	v_cvt_i32_f32_e32 v3, v3
	v_cndmask_b32_e32 v14, 0, v3, vcc_lo
	s_branch .LBB47_3390
.LBB47_3389:
	s_mov_b32 s0, -1
                                        ; implicit-def: $vgpr14
.LBB47_3390:
	s_mov_b32 s7, 0
.LBB47_3391:
	s_delay_alu instid0(SALU_CYCLE_1)
	s_and_b32 vcc_lo, exec_lo, s7
	s_cbranch_vccz .LBB47_3395
; %bb.3392:
	s_cmp_eq_u32 s14, 29
	s_cbranch_scc0 .LBB47_3394
; %bb.3393:
	global_load_b64 v[14:15], v[32:33], off
	s_mov_b32 s0, 0
	s_mov_b32 s6, -1
	s_branch .LBB47_3395
.LBB47_3394:
	s_mov_b32 s0, -1
                                        ; implicit-def: $vgpr14
.LBB47_3395:
	s_mov_b32 s7, 0
.LBB47_3396:
	s_delay_alu instid0(SALU_CYCLE_1)
	s_and_b32 vcc_lo, exec_lo, s7
	s_cbranch_vccz .LBB47_3412
; %bb.3397:
	s_cmp_lt_i32 s14, 27
	s_cbranch_scc1 .LBB47_3400
; %bb.3398:
	s_cmp_gt_i32 s14, 27
	s_cbranch_scc0 .LBB47_3401
; %bb.3399:
	s_wait_loadcnt 0x0
	global_load_b32 v14, v[32:33], off
	s_mov_b32 s6, 0
	s_branch .LBB47_3402
.LBB47_3400:
	s_mov_b32 s6, -1
                                        ; implicit-def: $vgpr14
	s_branch .LBB47_3405
.LBB47_3401:
	s_mov_b32 s6, -1
                                        ; implicit-def: $vgpr14
.LBB47_3402:
	s_delay_alu instid0(SALU_CYCLE_1)
	s_and_not1_b32 vcc_lo, exec_lo, s6
	s_cbranch_vccnz .LBB47_3404
; %bb.3403:
	s_wait_loadcnt 0x0
	global_load_u16 v14, v[32:33], off
.LBB47_3404:
	s_mov_b32 s6, 0
.LBB47_3405:
	s_delay_alu instid0(SALU_CYCLE_1)
	s_and_not1_b32 vcc_lo, exec_lo, s6
	s_cbranch_vccnz .LBB47_3411
; %bb.3406:
	global_load_u8 v1, v[32:33], off
	s_mov_b32 s7, 0
	s_mov_b32 s6, exec_lo
	s_wait_loadcnt 0x0
	v_cmpx_lt_i16_e32 0x7f, v1
	s_xor_b32 s6, exec_lo, s6
	s_cbranch_execz .LBB47_3423
; %bb.3407:
	v_cmp_ne_u16_e32 vcc_lo, 0x80, v1
	s_and_b32 s7, vcc_lo, exec_lo
	s_and_not1_saveexec_b32 s6, s6
	s_cbranch_execnz .LBB47_3424
.LBB47_3408:
	s_or_b32 exec_lo, exec_lo, s6
	v_mov_b32_e32 v14, 0
	s_and_saveexec_b32 s6, s7
	s_cbranch_execz .LBB47_3410
.LBB47_3409:
	v_and_b32_e32 v3, 0xffff, v1
	s_delay_alu instid0(VALU_DEP_1) | instskip(SKIP_1) | instid1(VALU_DEP_2)
	v_dual_lshlrev_b32 v1, 24, v1 :: v_dual_bitop2_b32 v5, 7, v3 bitop3:0x40
	v_bfe_u32 v11, v3, 3, 4
	v_and_b32_e32 v1, 0x80000000, v1
	s_delay_alu instid0(VALU_DEP_3) | instskip(NEXT) | instid1(VALU_DEP_3)
	v_clz_i32_u32_e32 v7, v5
	v_cmp_eq_u32_e32 vcc_lo, 0, v11
	s_delay_alu instid0(VALU_DEP_2) | instskip(NEXT) | instid1(VALU_DEP_1)
	v_min_u32_e32 v7, 32, v7
	v_subrev_nc_u32_e32 v9, 28, v7
	v_sub_nc_u32_e32 v7, 29, v7
	s_delay_alu instid0(VALU_DEP_2) | instskip(NEXT) | instid1(VALU_DEP_2)
	v_lshlrev_b32_e32 v3, v9, v3
	v_cndmask_b32_e32 v7, v11, v7, vcc_lo
	s_delay_alu instid0(VALU_DEP_2) | instskip(NEXT) | instid1(VALU_DEP_1)
	v_and_b32_e32 v3, 7, v3
	v_cndmask_b32_e32 v3, v5, v3, vcc_lo
	s_delay_alu instid0(VALU_DEP_3) | instskip(NEXT) | instid1(VALU_DEP_2)
	v_lshl_add_u32 v5, v7, 23, 0x3b800000
	v_lshlrev_b32_e32 v3, 20, v3
	s_delay_alu instid0(VALU_DEP_1) | instskip(NEXT) | instid1(VALU_DEP_1)
	v_or3_b32 v1, v1, v5, v3
	v_cvt_i32_f32_e32 v14, v1
.LBB47_3410:
	s_or_b32 exec_lo, exec_lo, s6
.LBB47_3411:
	s_mov_b32 s6, -1
.LBB47_3412:
	s_mov_b32 s7, 0
.LBB47_3413:
	s_delay_alu instid0(SALU_CYCLE_1)
	s_and_b32 vcc_lo, exec_lo, s7
	s_cbranch_vccz .LBB47_3444
; %bb.3414:
	s_cmp_gt_i32 s14, 22
	s_cbranch_scc0 .LBB47_3422
; %bb.3415:
	s_cmp_lt_i32 s14, 24
	s_cbranch_scc1 .LBB47_3425
; %bb.3416:
	s_cmp_gt_i32 s14, 24
	s_cbranch_scc0 .LBB47_3426
; %bb.3417:
	global_load_u8 v1, v[32:33], off
	s_mov_b32 s6, 0
	s_mov_b32 s1, exec_lo
	s_wait_loadcnt 0x0
	v_cmpx_lt_i16_e32 0x7f, v1
	s_xor_b32 s1, exec_lo, s1
	s_cbranch_execz .LBB47_3438
; %bb.3418:
	v_cmp_ne_u16_e32 vcc_lo, 0x80, v1
	s_and_b32 s6, vcc_lo, exec_lo
	s_and_not1_saveexec_b32 s1, s1
	s_cbranch_execnz .LBB47_3439
.LBB47_3419:
	s_or_b32 exec_lo, exec_lo, s1
	v_mov_b32_e32 v14, 0
	s_and_saveexec_b32 s1, s6
	s_cbranch_execz .LBB47_3421
.LBB47_3420:
	v_and_b32_e32 v3, 0xffff, v1
	s_delay_alu instid0(VALU_DEP_1) | instskip(SKIP_1) | instid1(VALU_DEP_2)
	v_dual_lshlrev_b32 v1, 24, v1 :: v_dual_bitop2_b32 v5, 3, v3 bitop3:0x40
	v_bfe_u32 v11, v3, 2, 5
	v_and_b32_e32 v1, 0x80000000, v1
	s_delay_alu instid0(VALU_DEP_3) | instskip(NEXT) | instid1(VALU_DEP_3)
	v_clz_i32_u32_e32 v7, v5
	v_cmp_eq_u32_e32 vcc_lo, 0, v11
	s_delay_alu instid0(VALU_DEP_2) | instskip(NEXT) | instid1(VALU_DEP_1)
	v_min_u32_e32 v7, 32, v7
	v_subrev_nc_u32_e32 v9, 29, v7
	v_sub_nc_u32_e32 v7, 30, v7
	s_delay_alu instid0(VALU_DEP_2) | instskip(NEXT) | instid1(VALU_DEP_2)
	v_lshlrev_b32_e32 v3, v9, v3
	v_cndmask_b32_e32 v7, v11, v7, vcc_lo
	s_delay_alu instid0(VALU_DEP_2) | instskip(NEXT) | instid1(VALU_DEP_1)
	v_and_b32_e32 v3, 3, v3
	v_cndmask_b32_e32 v3, v5, v3, vcc_lo
	s_delay_alu instid0(VALU_DEP_3) | instskip(NEXT) | instid1(VALU_DEP_2)
	v_lshl_add_u32 v5, v7, 23, 0x37800000
	v_lshlrev_b32_e32 v3, 21, v3
	s_delay_alu instid0(VALU_DEP_1) | instskip(NEXT) | instid1(VALU_DEP_1)
	v_or3_b32 v1, v1, v5, v3
	v_cvt_i32_f32_e32 v14, v1
.LBB47_3421:
	s_or_b32 exec_lo, exec_lo, s1
	s_mov_b32 s1, 0
	s_branch .LBB47_3427
.LBB47_3422:
	s_mov_b32 s1, -1
                                        ; implicit-def: $vgpr14
	s_branch .LBB47_3433
.LBB47_3423:
	s_and_not1_saveexec_b32 s6, s6
	s_cbranch_execz .LBB47_3408
.LBB47_3424:
	v_cmp_ne_u16_e32 vcc_lo, 0, v1
	s_and_not1_b32 s7, s7, exec_lo
	s_and_b32 s13, vcc_lo, exec_lo
	s_delay_alu instid0(SALU_CYCLE_1)
	s_or_b32 s7, s7, s13
	s_or_b32 exec_lo, exec_lo, s6
	v_mov_b32_e32 v14, 0
	s_and_saveexec_b32 s6, s7
	s_cbranch_execnz .LBB47_3409
	s_branch .LBB47_3410
.LBB47_3425:
	s_mov_b32 s1, -1
                                        ; implicit-def: $vgpr14
	s_branch .LBB47_3430
.LBB47_3426:
	s_mov_b32 s1, -1
                                        ; implicit-def: $vgpr14
.LBB47_3427:
	s_delay_alu instid0(SALU_CYCLE_1)
	s_and_b32 vcc_lo, exec_lo, s1
	s_cbranch_vccz .LBB47_3429
; %bb.3428:
	global_load_u8 v1, v[32:33], off
	s_wait_loadcnt 0x0
	v_lshlrev_b32_e32 v1, 24, v1
	s_delay_alu instid0(VALU_DEP_1) | instskip(NEXT) | instid1(VALU_DEP_1)
	v_and_b32_e32 v3, 0x7f000000, v1
	v_clz_i32_u32_e32 v5, v3
	v_add_nc_u32_e32 v9, 0x1000000, v3
	v_cmp_ne_u32_e32 vcc_lo, 0, v3
	s_delay_alu instid0(VALU_DEP_3) | instskip(NEXT) | instid1(VALU_DEP_1)
	v_min_u32_e32 v5, 32, v5
	v_sub_nc_u32_e64 v5, v5, 4 clamp
	s_delay_alu instid0(VALU_DEP_1) | instskip(NEXT) | instid1(VALU_DEP_1)
	v_dual_lshlrev_b32 v7, v5, v3 :: v_dual_lshlrev_b32 v5, 23, v5
	v_lshrrev_b32_e32 v7, 4, v7
	s_delay_alu instid0(VALU_DEP_1) | instskip(SKIP_1) | instid1(VALU_DEP_2)
	v_sub_nc_u32_e32 v5, v7, v5
	v_ashrrev_i32_e32 v7, 8, v9
	v_add_nc_u32_e32 v5, 0x3c000000, v5
	s_delay_alu instid0(VALU_DEP_1) | instskip(NEXT) | instid1(VALU_DEP_1)
	v_and_or_b32 v5, 0x7f800000, v7, v5
	v_cndmask_b32_e32 v3, 0, v5, vcc_lo
	s_delay_alu instid0(VALU_DEP_1) | instskip(NEXT) | instid1(VALU_DEP_1)
	v_and_or_b32 v1, 0x80000000, v1, v3
	v_cvt_i32_f32_e32 v14, v1
.LBB47_3429:
	s_mov_b32 s1, 0
.LBB47_3430:
	s_delay_alu instid0(SALU_CYCLE_1)
	s_and_not1_b32 vcc_lo, exec_lo, s1
	s_cbranch_vccnz .LBB47_3432
; %bb.3431:
	global_load_u8 v1, v[32:33], off
	s_wait_loadcnt 0x0
	v_lshlrev_b32_e32 v3, 25, v1
	v_lshlrev_b16 v1, 8, v1
	s_delay_alu instid0(VALU_DEP_1) | instskip(SKIP_1) | instid1(VALU_DEP_2)
	v_and_or_b32 v7, 0x7f00, v1, 0.5
	v_bfe_i32 v1, v1, 0, 16
	v_add_f32_e32 v7, -0.5, v7
	v_lshrrev_b32_e32 v5, 4, v3
	v_cmp_gt_u32_e32 vcc_lo, 0x8000000, v3
	s_delay_alu instid0(VALU_DEP_2) | instskip(NEXT) | instid1(VALU_DEP_1)
	v_or_b32_e32 v5, 0x70000000, v5
	v_mul_f32_e32 v5, 0x7800000, v5
	s_delay_alu instid0(VALU_DEP_1) | instskip(NEXT) | instid1(VALU_DEP_1)
	v_cndmask_b32_e32 v3, v5, v7, vcc_lo
	v_and_or_b32 v1, 0x80000000, v1, v3
	s_delay_alu instid0(VALU_DEP_1)
	v_cvt_i32_f32_e32 v14, v1
.LBB47_3432:
	s_mov_b32 s1, 0
	s_mov_b32 s6, -1
.LBB47_3433:
	s_and_not1_b32 vcc_lo, exec_lo, s1
	s_mov_b32 s1, 0
	s_cbranch_vccnz .LBB47_3444
; %bb.3434:
	s_cmp_gt_i32 s14, 14
	s_cbranch_scc0 .LBB47_3437
; %bb.3435:
	s_cmp_eq_u32 s14, 15
	s_cbranch_scc0 .LBB47_3440
; %bb.3436:
	global_load_u16 v1, v[32:33], off
	s_mov_b32 s0, 0
	s_mov_b32 s6, -1
	s_wait_loadcnt 0x0
	v_lshlrev_b32_e32 v1, 16, v1
	s_delay_alu instid0(VALU_DEP_1)
	v_cvt_i32_f32_e32 v14, v1
	s_branch .LBB47_3442
.LBB47_3437:
	s_mov_b32 s1, -1
	s_branch .LBB47_3441
.LBB47_3438:
	s_and_not1_saveexec_b32 s1, s1
	s_cbranch_execz .LBB47_3419
.LBB47_3439:
	v_cmp_ne_u16_e32 vcc_lo, 0, v1
	s_and_not1_b32 s6, s6, exec_lo
	s_and_b32 s7, vcc_lo, exec_lo
	s_delay_alu instid0(SALU_CYCLE_1)
	s_or_b32 s6, s6, s7
	s_or_b32 exec_lo, exec_lo, s1
	v_mov_b32_e32 v14, 0
	s_and_saveexec_b32 s1, s6
	s_cbranch_execnz .LBB47_3420
	s_branch .LBB47_3421
.LBB47_3440:
	s_mov_b32 s0, -1
.LBB47_3441:
                                        ; implicit-def: $vgpr14
.LBB47_3442:
	s_and_b32 vcc_lo, exec_lo, s1
	s_mov_b32 s1, 0
	s_cbranch_vccz .LBB47_3444
; %bb.3443:
	s_cmp_lg_u32 s14, 11
	s_mov_b32 s1, -1
	s_cselect_b32 s0, -1, 0
.LBB47_3444:
	s_delay_alu instid0(SALU_CYCLE_1)
	s_and_b32 vcc_lo, exec_lo, s0
	s_cbranch_vccnz .LBB47_3509
; %bb.3445:
	s_and_not1_b32 vcc_lo, exec_lo, s1
	s_cbranch_vccnz .LBB47_3447
.LBB47_3446:
	global_load_u8 v1, v[32:33], off
	s_mov_b32 s6, -1
	s_wait_loadcnt 0x0
	v_cmp_ne_u16_e32 vcc_lo, 0, v1
	v_cndmask_b32_e64 v14, 0, 1, vcc_lo
.LBB47_3447:
	s_mov_b32 s0, 0
.LBB47_3448:
	s_delay_alu instid0(SALU_CYCLE_1)
	s_and_b32 vcc_lo, exec_lo, s0
	s_cbranch_vccz .LBB47_3497
; %bb.3449:
	s_cmp_lt_i32 s14, 5
	s_cbranch_scc1 .LBB47_3454
; %bb.3450:
	s_cmp_lt_i32 s14, 8
	s_cbranch_scc1 .LBB47_3455
; %bb.3451:
	s_cmp_lt_i32 s14, 9
	s_cbranch_scc1 .LBB47_3456
; %bb.3452:
	s_cmp_gt_i32 s14, 9
	s_cbranch_scc0 .LBB47_3457
; %bb.3453:
	s_wait_loadcnt 0x0
	global_load_b64 v[14:15], v[32:33], off
	s_mov_b32 s0, 0
	s_wait_loadcnt 0x0
	v_cvt_i32_f64_e32 v14, v[14:15]
	s_branch .LBB47_3458
.LBB47_3454:
	s_mov_b32 s0, -1
                                        ; implicit-def: $vgpr14
	s_branch .LBB47_3476
.LBB47_3455:
	s_mov_b32 s0, -1
                                        ; implicit-def: $vgpr14
	s_branch .LBB47_3464
.LBB47_3456:
	s_mov_b32 s0, -1
                                        ; implicit-def: $vgpr14
	s_branch .LBB47_3461
.LBB47_3457:
	s_mov_b32 s0, -1
                                        ; implicit-def: $vgpr14
.LBB47_3458:
	s_delay_alu instid0(SALU_CYCLE_1)
	s_and_not1_b32 vcc_lo, exec_lo, s0
	s_cbranch_vccnz .LBB47_3460
; %bb.3459:
	global_load_b32 v1, v[32:33], off
	s_wait_loadcnt 0x0
	v_cvt_i32_f32_e32 v14, v1
.LBB47_3460:
	s_mov_b32 s0, 0
.LBB47_3461:
	s_delay_alu instid0(SALU_CYCLE_1)
	s_and_not1_b32 vcc_lo, exec_lo, s0
	s_cbranch_vccnz .LBB47_3463
; %bb.3462:
	global_load_b32 v1, v[32:33], off
	s_wait_loadcnt 0x0
	v_cvt_i16_f16_e32 v14, v1
.LBB47_3463:
	s_mov_b32 s0, 0
.LBB47_3464:
	s_delay_alu instid0(SALU_CYCLE_1)
	s_and_not1_b32 vcc_lo, exec_lo, s0
	s_cbranch_vccnz .LBB47_3475
; %bb.3465:
	s_cmp_lt_i32 s14, 6
	s_cbranch_scc1 .LBB47_3468
; %bb.3466:
	s_cmp_gt_i32 s14, 6
	s_cbranch_scc0 .LBB47_3469
; %bb.3467:
	s_wait_loadcnt 0x0
	global_load_b64 v[14:15], v[32:33], off
	s_mov_b32 s0, 0
	s_wait_loadcnt 0x0
	v_cvt_i32_f64_e32 v14, v[14:15]
	s_branch .LBB47_3470
.LBB47_3468:
	s_mov_b32 s0, -1
                                        ; implicit-def: $vgpr14
	s_branch .LBB47_3473
.LBB47_3469:
	s_mov_b32 s0, -1
                                        ; implicit-def: $vgpr14
.LBB47_3470:
	s_delay_alu instid0(SALU_CYCLE_1)
	s_and_not1_b32 vcc_lo, exec_lo, s0
	s_cbranch_vccnz .LBB47_3472
; %bb.3471:
	global_load_b32 v1, v[32:33], off
	s_wait_loadcnt 0x0
	v_cvt_i32_f32_e32 v14, v1
.LBB47_3472:
	s_mov_b32 s0, 0
.LBB47_3473:
	s_delay_alu instid0(SALU_CYCLE_1)
	s_and_not1_b32 vcc_lo, exec_lo, s0
	s_cbranch_vccnz .LBB47_3475
; %bb.3474:
	global_load_u16 v1, v[32:33], off
	s_wait_loadcnt 0x0
	v_cvt_i16_f16_e32 v14, v1
.LBB47_3475:
	s_mov_b32 s0, 0
.LBB47_3476:
	s_delay_alu instid0(SALU_CYCLE_1)
	s_and_not1_b32 vcc_lo, exec_lo, s0
	s_cbranch_vccnz .LBB47_3496
; %bb.3477:
	s_cmp_lt_i32 s14, 2
	s_cbranch_scc1 .LBB47_3481
; %bb.3478:
	s_cmp_lt_i32 s14, 3
	s_cbranch_scc1 .LBB47_3482
; %bb.3479:
	s_cmp_gt_i32 s14, 3
	s_cbranch_scc0 .LBB47_3483
; %bb.3480:
	s_wait_loadcnt 0x0
	global_load_b64 v[14:15], v[32:33], off
	s_mov_b32 s0, 0
	s_branch .LBB47_3484
.LBB47_3481:
	s_mov_b32 s0, -1
                                        ; implicit-def: $vgpr14
	s_branch .LBB47_3490
.LBB47_3482:
	s_mov_b32 s0, -1
                                        ; implicit-def: $vgpr14
	s_branch .LBB47_3487
.LBB47_3483:
	s_mov_b32 s0, -1
                                        ; implicit-def: $vgpr14
.LBB47_3484:
	s_delay_alu instid0(SALU_CYCLE_1)
	s_and_not1_b32 vcc_lo, exec_lo, s0
	s_cbranch_vccnz .LBB47_3486
; %bb.3485:
	s_wait_loadcnt 0x0
	global_load_b32 v14, v[32:33], off
.LBB47_3486:
	s_mov_b32 s0, 0
.LBB47_3487:
	s_delay_alu instid0(SALU_CYCLE_1)
	s_and_not1_b32 vcc_lo, exec_lo, s0
	s_cbranch_vccnz .LBB47_3489
; %bb.3488:
	s_wait_loadcnt 0x0
	global_load_u16 v14, v[32:33], off
.LBB47_3489:
	s_mov_b32 s0, 0
.LBB47_3490:
	s_delay_alu instid0(SALU_CYCLE_1)
	s_and_not1_b32 vcc_lo, exec_lo, s0
	s_cbranch_vccnz .LBB47_3496
; %bb.3491:
	s_cmp_gt_i32 s14, 0
	s_mov_b32 s0, 0
	s_cbranch_scc0 .LBB47_3493
; %bb.3492:
	s_wait_loadcnt 0x0
	global_load_u8 v14, v[32:33], off
	s_branch .LBB47_3494
.LBB47_3493:
	s_mov_b32 s0, -1
                                        ; implicit-def: $vgpr14
.LBB47_3494:
	s_delay_alu instid0(SALU_CYCLE_1)
	s_and_not1_b32 vcc_lo, exec_lo, s0
	s_cbranch_vccnz .LBB47_3496
; %bb.3495:
	s_wait_loadcnt 0x0
	global_load_u8 v14, v[32:33], off
.LBB47_3496:
	s_mov_b32 s6, -1
.LBB47_3497:
	s_delay_alu instid0(SALU_CYCLE_1)
	s_and_not1_b32 vcc_lo, exec_lo, s6
	s_cbranch_vccnz .LBB47_4058
; %bb.3498:
	v_mov_b32_e32 v11, 0
	s_cmp_lt_i32 s15, 11
	s_wait_xcnt 0x0
	s_delay_alu instid0(VALU_DEP_1)
	v_add_nc_u64_e32 v[32:33], s[8:9], v[10:11]
	s_cbranch_scc1 .LBB47_3505
; %bb.3499:
	s_cmp_gt_i32 s15, 25
	s_mov_b32 s1, 0
	s_cbranch_scc0 .LBB47_3506
; %bb.3500:
	s_cmp_gt_i32 s15, 28
	s_cbranch_scc0 .LBB47_3507
; %bb.3501:
	s_cmp_gt_i32 s15, 43
	;; [unrolled: 3-line block ×3, first 2 shown]
	s_cbranch_scc0 .LBB47_3510
; %bb.3503:
	s_cmp_eq_u32 s15, 46
	s_mov_b32 s7, 0
	s_cbranch_scc0 .LBB47_3511
; %bb.3504:
	global_load_b32 v1, v[32:33], off
	s_mov_b32 s0, 0
	s_mov_b32 s6, -1
	s_wait_loadcnt 0x0
	v_lshlrev_b32_e32 v1, 16, v1
	s_delay_alu instid0(VALU_DEP_1)
	v_cvt_i32_f32_e32 v10, v1
	s_branch .LBB47_3513
.LBB47_3505:
	s_mov_b32 s0, -1
	s_mov_b32 s6, 0
                                        ; implicit-def: $vgpr10
	s_branch .LBB47_3575
.LBB47_3506:
	s_mov_b32 s7, -1
	s_mov_b32 s6, 0
	s_mov_b32 s0, 0
                                        ; implicit-def: $vgpr10
	s_branch .LBB47_3540
.LBB47_3507:
	s_mov_b32 s7, -1
	s_mov_b32 s6, 0
	s_mov_b32 s0, 0
                                        ; implicit-def: $vgpr10
	s_branch .LBB47_3523
.LBB47_3508:
	s_mov_b32 s7, -1
	s_mov_b32 s6, 0
	s_mov_b32 s0, 0
                                        ; implicit-def: $vgpr10
	s_branch .LBB47_3518
.LBB47_3509:
	s_or_b32 s12, s12, exec_lo
	s_trap 2
	s_cbranch_execz .LBB47_3446
	s_branch .LBB47_3447
.LBB47_3510:
	s_mov_b32 s7, -1
	s_mov_b32 s6, 0
	s_mov_b32 s0, 0
	s_branch .LBB47_3512
.LBB47_3511:
	s_mov_b32 s0, -1
	s_mov_b32 s6, 0
.LBB47_3512:
                                        ; implicit-def: $vgpr10
.LBB47_3513:
	s_and_b32 vcc_lo, exec_lo, s7
	s_cbranch_vccz .LBB47_3517
; %bb.3514:
	s_cmp_eq_u32 s15, 44
	s_cbranch_scc0 .LBB47_3516
; %bb.3515:
	global_load_u8 v1, v[32:33], off
	s_mov_b32 s0, 0
	s_mov_b32 s6, -1
	s_wait_loadcnt 0x0
	v_lshlrev_b32_e32 v3, 23, v1
	v_cmp_ne_u32_e32 vcc_lo, 0, v1
	s_delay_alu instid0(VALU_DEP_2) | instskip(NEXT) | instid1(VALU_DEP_1)
	v_cvt_i32_f32_e32 v3, v3
	v_cndmask_b32_e32 v10, 0, v3, vcc_lo
	s_branch .LBB47_3517
.LBB47_3516:
	s_mov_b32 s0, -1
                                        ; implicit-def: $vgpr10
.LBB47_3517:
	s_mov_b32 s7, 0
.LBB47_3518:
	s_delay_alu instid0(SALU_CYCLE_1)
	s_and_b32 vcc_lo, exec_lo, s7
	s_cbranch_vccz .LBB47_3522
; %bb.3519:
	s_cmp_eq_u32 s15, 29
	s_cbranch_scc0 .LBB47_3521
; %bb.3520:
	global_load_b64 v[10:11], v[32:33], off
	s_mov_b32 s0, 0
	s_mov_b32 s6, -1
	s_branch .LBB47_3522
.LBB47_3521:
	s_mov_b32 s0, -1
                                        ; implicit-def: $vgpr10
.LBB47_3522:
	s_mov_b32 s7, 0
.LBB47_3523:
	s_delay_alu instid0(SALU_CYCLE_1)
	s_and_b32 vcc_lo, exec_lo, s7
	s_cbranch_vccz .LBB47_3539
; %bb.3524:
	s_cmp_lt_i32 s15, 27
	s_cbranch_scc1 .LBB47_3527
; %bb.3525:
	s_cmp_gt_i32 s15, 27
	s_cbranch_scc0 .LBB47_3528
; %bb.3526:
	s_wait_loadcnt 0x0
	global_load_b32 v10, v[32:33], off
	s_mov_b32 s6, 0
	s_branch .LBB47_3529
.LBB47_3527:
	s_mov_b32 s6, -1
                                        ; implicit-def: $vgpr10
	s_branch .LBB47_3532
.LBB47_3528:
	s_mov_b32 s6, -1
                                        ; implicit-def: $vgpr10
.LBB47_3529:
	s_delay_alu instid0(SALU_CYCLE_1)
	s_and_not1_b32 vcc_lo, exec_lo, s6
	s_cbranch_vccnz .LBB47_3531
; %bb.3530:
	s_wait_loadcnt 0x0
	global_load_u16 v10, v[32:33], off
.LBB47_3531:
	s_mov_b32 s6, 0
.LBB47_3532:
	s_delay_alu instid0(SALU_CYCLE_1)
	s_and_not1_b32 vcc_lo, exec_lo, s6
	s_cbranch_vccnz .LBB47_3538
; %bb.3533:
	global_load_u8 v1, v[32:33], off
	s_mov_b32 s7, 0
	s_mov_b32 s6, exec_lo
	s_wait_loadcnt 0x0
	v_cmpx_lt_i16_e32 0x7f, v1
	s_xor_b32 s6, exec_lo, s6
	s_cbranch_execz .LBB47_3550
; %bb.3534:
	v_cmp_ne_u16_e32 vcc_lo, 0x80, v1
	s_and_b32 s7, vcc_lo, exec_lo
	s_and_not1_saveexec_b32 s6, s6
	s_cbranch_execnz .LBB47_3551
.LBB47_3535:
	s_or_b32 exec_lo, exec_lo, s6
	v_mov_b32_e32 v10, 0
	s_and_saveexec_b32 s6, s7
	s_cbranch_execz .LBB47_3537
.LBB47_3536:
	v_and_b32_e32 v3, 0xffff, v1
	s_delay_alu instid0(VALU_DEP_1) | instskip(SKIP_1) | instid1(VALU_DEP_2)
	v_dual_lshlrev_b32 v1, 24, v1 :: v_dual_bitop2_b32 v5, 7, v3 bitop3:0x40
	v_bfe_u32 v10, v3, 3, 4
	v_and_b32_e32 v1, 0x80000000, v1
	s_delay_alu instid0(VALU_DEP_3) | instskip(NEXT) | instid1(VALU_DEP_3)
	v_clz_i32_u32_e32 v7, v5
	v_cmp_eq_u32_e32 vcc_lo, 0, v10
	s_delay_alu instid0(VALU_DEP_2) | instskip(NEXT) | instid1(VALU_DEP_1)
	v_min_u32_e32 v7, 32, v7
	v_subrev_nc_u32_e32 v9, 28, v7
	v_sub_nc_u32_e32 v7, 29, v7
	s_delay_alu instid0(VALU_DEP_2) | instskip(NEXT) | instid1(VALU_DEP_2)
	v_lshlrev_b32_e32 v3, v9, v3
	v_cndmask_b32_e32 v7, v10, v7, vcc_lo
	s_delay_alu instid0(VALU_DEP_2) | instskip(NEXT) | instid1(VALU_DEP_1)
	v_and_b32_e32 v3, 7, v3
	v_cndmask_b32_e32 v3, v5, v3, vcc_lo
	s_delay_alu instid0(VALU_DEP_3) | instskip(NEXT) | instid1(VALU_DEP_2)
	v_lshl_add_u32 v5, v7, 23, 0x3b800000
	v_lshlrev_b32_e32 v3, 20, v3
	s_delay_alu instid0(VALU_DEP_1) | instskip(NEXT) | instid1(VALU_DEP_1)
	v_or3_b32 v1, v1, v5, v3
	v_cvt_i32_f32_e32 v10, v1
.LBB47_3537:
	s_or_b32 exec_lo, exec_lo, s6
.LBB47_3538:
	s_mov_b32 s6, -1
.LBB47_3539:
	s_mov_b32 s7, 0
.LBB47_3540:
	s_delay_alu instid0(SALU_CYCLE_1)
	s_and_b32 vcc_lo, exec_lo, s7
	s_cbranch_vccz .LBB47_3571
; %bb.3541:
	s_cmp_gt_i32 s15, 22
	s_cbranch_scc0 .LBB47_3549
; %bb.3542:
	s_cmp_lt_i32 s15, 24
	s_cbranch_scc1 .LBB47_3552
; %bb.3543:
	s_cmp_gt_i32 s15, 24
	s_cbranch_scc0 .LBB47_3553
; %bb.3544:
	global_load_u8 v1, v[32:33], off
	s_mov_b32 s6, 0
	s_mov_b32 s1, exec_lo
	s_wait_loadcnt 0x0
	v_cmpx_lt_i16_e32 0x7f, v1
	s_xor_b32 s1, exec_lo, s1
	s_cbranch_execz .LBB47_3565
; %bb.3545:
	v_cmp_ne_u16_e32 vcc_lo, 0x80, v1
	s_and_b32 s6, vcc_lo, exec_lo
	s_and_not1_saveexec_b32 s1, s1
	s_cbranch_execnz .LBB47_3566
.LBB47_3546:
	s_or_b32 exec_lo, exec_lo, s1
	v_mov_b32_e32 v10, 0
	s_and_saveexec_b32 s1, s6
	s_cbranch_execz .LBB47_3548
.LBB47_3547:
	v_and_b32_e32 v3, 0xffff, v1
	s_delay_alu instid0(VALU_DEP_1) | instskip(SKIP_1) | instid1(VALU_DEP_2)
	v_dual_lshlrev_b32 v1, 24, v1 :: v_dual_bitop2_b32 v5, 3, v3 bitop3:0x40
	v_bfe_u32 v10, v3, 2, 5
	v_and_b32_e32 v1, 0x80000000, v1
	s_delay_alu instid0(VALU_DEP_3) | instskip(NEXT) | instid1(VALU_DEP_3)
	v_clz_i32_u32_e32 v7, v5
	v_cmp_eq_u32_e32 vcc_lo, 0, v10
	s_delay_alu instid0(VALU_DEP_2) | instskip(NEXT) | instid1(VALU_DEP_1)
	v_min_u32_e32 v7, 32, v7
	v_subrev_nc_u32_e32 v9, 29, v7
	v_sub_nc_u32_e32 v7, 30, v7
	s_delay_alu instid0(VALU_DEP_2) | instskip(NEXT) | instid1(VALU_DEP_2)
	v_lshlrev_b32_e32 v3, v9, v3
	v_cndmask_b32_e32 v7, v10, v7, vcc_lo
	s_delay_alu instid0(VALU_DEP_2) | instskip(NEXT) | instid1(VALU_DEP_1)
	v_and_b32_e32 v3, 3, v3
	v_cndmask_b32_e32 v3, v5, v3, vcc_lo
	s_delay_alu instid0(VALU_DEP_3) | instskip(NEXT) | instid1(VALU_DEP_2)
	v_lshl_add_u32 v5, v7, 23, 0x37800000
	v_lshlrev_b32_e32 v3, 21, v3
	s_delay_alu instid0(VALU_DEP_1) | instskip(NEXT) | instid1(VALU_DEP_1)
	v_or3_b32 v1, v1, v5, v3
	v_cvt_i32_f32_e32 v10, v1
.LBB47_3548:
	s_or_b32 exec_lo, exec_lo, s1
	s_mov_b32 s1, 0
	s_branch .LBB47_3554
.LBB47_3549:
	s_mov_b32 s1, -1
                                        ; implicit-def: $vgpr10
	s_branch .LBB47_3560
.LBB47_3550:
	s_and_not1_saveexec_b32 s6, s6
	s_cbranch_execz .LBB47_3535
.LBB47_3551:
	v_cmp_ne_u16_e32 vcc_lo, 0, v1
	s_and_not1_b32 s7, s7, exec_lo
	s_and_b32 s8, vcc_lo, exec_lo
	s_delay_alu instid0(SALU_CYCLE_1)
	s_or_b32 s7, s7, s8
	s_or_b32 exec_lo, exec_lo, s6
	v_mov_b32_e32 v10, 0
	s_and_saveexec_b32 s6, s7
	s_cbranch_execnz .LBB47_3536
	s_branch .LBB47_3537
.LBB47_3552:
	s_mov_b32 s1, -1
                                        ; implicit-def: $vgpr10
	s_branch .LBB47_3557
.LBB47_3553:
	s_mov_b32 s1, -1
                                        ; implicit-def: $vgpr10
.LBB47_3554:
	s_delay_alu instid0(SALU_CYCLE_1)
	s_and_b32 vcc_lo, exec_lo, s1
	s_cbranch_vccz .LBB47_3556
; %bb.3555:
	global_load_u8 v1, v[32:33], off
	s_wait_loadcnt 0x0
	v_lshlrev_b32_e32 v1, 24, v1
	s_delay_alu instid0(VALU_DEP_1) | instskip(NEXT) | instid1(VALU_DEP_1)
	v_and_b32_e32 v3, 0x7f000000, v1
	v_clz_i32_u32_e32 v5, v3
	v_add_nc_u32_e32 v9, 0x1000000, v3
	v_cmp_ne_u32_e32 vcc_lo, 0, v3
	s_delay_alu instid0(VALU_DEP_3) | instskip(NEXT) | instid1(VALU_DEP_1)
	v_min_u32_e32 v5, 32, v5
	v_sub_nc_u32_e64 v5, v5, 4 clamp
	s_delay_alu instid0(VALU_DEP_1) | instskip(NEXT) | instid1(VALU_DEP_1)
	v_dual_lshlrev_b32 v7, v5, v3 :: v_dual_lshlrev_b32 v5, 23, v5
	v_lshrrev_b32_e32 v7, 4, v7
	s_delay_alu instid0(VALU_DEP_1) | instskip(SKIP_1) | instid1(VALU_DEP_2)
	v_sub_nc_u32_e32 v5, v7, v5
	v_ashrrev_i32_e32 v7, 8, v9
	v_add_nc_u32_e32 v5, 0x3c000000, v5
	s_delay_alu instid0(VALU_DEP_1) | instskip(NEXT) | instid1(VALU_DEP_1)
	v_and_or_b32 v5, 0x7f800000, v7, v5
	v_cndmask_b32_e32 v3, 0, v5, vcc_lo
	s_delay_alu instid0(VALU_DEP_1) | instskip(NEXT) | instid1(VALU_DEP_1)
	v_and_or_b32 v1, 0x80000000, v1, v3
	v_cvt_i32_f32_e32 v10, v1
.LBB47_3556:
	s_mov_b32 s1, 0
.LBB47_3557:
	s_delay_alu instid0(SALU_CYCLE_1)
	s_and_not1_b32 vcc_lo, exec_lo, s1
	s_cbranch_vccnz .LBB47_3559
; %bb.3558:
	global_load_u8 v1, v[32:33], off
	s_wait_loadcnt 0x0
	v_lshlrev_b32_e32 v3, 25, v1
	v_lshlrev_b16 v1, 8, v1
	s_delay_alu instid0(VALU_DEP_1) | instskip(SKIP_1) | instid1(VALU_DEP_2)
	v_and_or_b32 v7, 0x7f00, v1, 0.5
	v_bfe_i32 v1, v1, 0, 16
	v_add_f32_e32 v7, -0.5, v7
	v_lshrrev_b32_e32 v5, 4, v3
	v_cmp_gt_u32_e32 vcc_lo, 0x8000000, v3
	s_delay_alu instid0(VALU_DEP_2) | instskip(NEXT) | instid1(VALU_DEP_1)
	v_or_b32_e32 v5, 0x70000000, v5
	v_mul_f32_e32 v5, 0x7800000, v5
	s_delay_alu instid0(VALU_DEP_1) | instskip(NEXT) | instid1(VALU_DEP_1)
	v_cndmask_b32_e32 v3, v5, v7, vcc_lo
	v_and_or_b32 v1, 0x80000000, v1, v3
	s_delay_alu instid0(VALU_DEP_1)
	v_cvt_i32_f32_e32 v10, v1
.LBB47_3559:
	s_mov_b32 s1, 0
	s_mov_b32 s6, -1
.LBB47_3560:
	s_and_not1_b32 vcc_lo, exec_lo, s1
	s_mov_b32 s1, 0
	s_cbranch_vccnz .LBB47_3571
; %bb.3561:
	s_cmp_gt_i32 s15, 14
	s_cbranch_scc0 .LBB47_3564
; %bb.3562:
	s_cmp_eq_u32 s15, 15
	s_cbranch_scc0 .LBB47_3567
; %bb.3563:
	global_load_u16 v1, v[32:33], off
	s_mov_b32 s0, 0
	s_mov_b32 s6, -1
	s_wait_loadcnt 0x0
	v_lshlrev_b32_e32 v1, 16, v1
	s_delay_alu instid0(VALU_DEP_1)
	v_cvt_i32_f32_e32 v10, v1
	s_branch .LBB47_3569
.LBB47_3564:
	s_mov_b32 s1, -1
	s_branch .LBB47_3568
.LBB47_3565:
	s_and_not1_saveexec_b32 s1, s1
	s_cbranch_execz .LBB47_3546
.LBB47_3566:
	v_cmp_ne_u16_e32 vcc_lo, 0, v1
	s_and_not1_b32 s6, s6, exec_lo
	s_and_b32 s7, vcc_lo, exec_lo
	s_delay_alu instid0(SALU_CYCLE_1)
	s_or_b32 s6, s6, s7
	s_or_b32 exec_lo, exec_lo, s1
	v_mov_b32_e32 v10, 0
	s_and_saveexec_b32 s1, s6
	s_cbranch_execnz .LBB47_3547
	s_branch .LBB47_3548
.LBB47_3567:
	s_mov_b32 s0, -1
.LBB47_3568:
                                        ; implicit-def: $vgpr10
.LBB47_3569:
	s_and_b32 vcc_lo, exec_lo, s1
	s_mov_b32 s1, 0
	s_cbranch_vccz .LBB47_3571
; %bb.3570:
	s_cmp_lg_u32 s15, 11
	s_mov_b32 s1, -1
	s_cselect_b32 s0, -1, 0
.LBB47_3571:
	s_delay_alu instid0(SALU_CYCLE_1)
	s_and_b32 vcc_lo, exec_lo, s0
	s_cbranch_vccnz .LBB47_4104
; %bb.3572:
	s_and_not1_b32 vcc_lo, exec_lo, s1
	s_cbranch_vccnz .LBB47_3574
.LBB47_3573:
	global_load_u8 v1, v[32:33], off
	s_mov_b32 s6, -1
	s_wait_loadcnt 0x0
	v_cmp_ne_u16_e32 vcc_lo, 0, v1
	v_cndmask_b32_e64 v10, 0, 1, vcc_lo
.LBB47_3574:
	s_mov_b32 s0, 0
.LBB47_3575:
	s_delay_alu instid0(SALU_CYCLE_1)
	s_and_b32 vcc_lo, exec_lo, s0
	s_cbranch_vccz .LBB47_3624
; %bb.3576:
	s_cmp_lt_i32 s15, 5
	s_cbranch_scc1 .LBB47_3581
; %bb.3577:
	s_cmp_lt_i32 s15, 8
	s_cbranch_scc1 .LBB47_3582
	;; [unrolled: 3-line block ×3, first 2 shown]
; %bb.3579:
	s_cmp_gt_i32 s15, 9
	s_cbranch_scc0 .LBB47_3584
; %bb.3580:
	s_wait_loadcnt 0x0
	global_load_b64 v[10:11], v[32:33], off
	s_mov_b32 s0, 0
	s_wait_loadcnt 0x0
	v_cvt_i32_f64_e32 v10, v[10:11]
	s_branch .LBB47_3585
.LBB47_3581:
	s_mov_b32 s0, -1
                                        ; implicit-def: $vgpr10
	s_branch .LBB47_3603
.LBB47_3582:
	s_mov_b32 s0, -1
                                        ; implicit-def: $vgpr10
	s_branch .LBB47_3591
.LBB47_3583:
	s_mov_b32 s0, -1
                                        ; implicit-def: $vgpr10
	s_branch .LBB47_3588
.LBB47_3584:
	s_mov_b32 s0, -1
                                        ; implicit-def: $vgpr10
.LBB47_3585:
	s_delay_alu instid0(SALU_CYCLE_1)
	s_and_not1_b32 vcc_lo, exec_lo, s0
	s_cbranch_vccnz .LBB47_3587
; %bb.3586:
	global_load_b32 v1, v[32:33], off
	s_wait_loadcnt 0x0
	v_cvt_i32_f32_e32 v10, v1
.LBB47_3587:
	s_mov_b32 s0, 0
.LBB47_3588:
	s_delay_alu instid0(SALU_CYCLE_1)
	s_and_not1_b32 vcc_lo, exec_lo, s0
	s_cbranch_vccnz .LBB47_3590
; %bb.3589:
	global_load_b32 v1, v[32:33], off
	s_wait_loadcnt 0x0
	v_cvt_i16_f16_e32 v10, v1
.LBB47_3590:
	s_mov_b32 s0, 0
.LBB47_3591:
	s_delay_alu instid0(SALU_CYCLE_1)
	s_and_not1_b32 vcc_lo, exec_lo, s0
	s_cbranch_vccnz .LBB47_3602
; %bb.3592:
	s_cmp_lt_i32 s15, 6
	s_cbranch_scc1 .LBB47_3595
; %bb.3593:
	s_cmp_gt_i32 s15, 6
	s_cbranch_scc0 .LBB47_3596
; %bb.3594:
	s_wait_loadcnt 0x0
	global_load_b64 v[10:11], v[32:33], off
	s_mov_b32 s0, 0
	s_wait_loadcnt 0x0
	v_cvt_i32_f64_e32 v10, v[10:11]
	s_branch .LBB47_3597
.LBB47_3595:
	s_mov_b32 s0, -1
                                        ; implicit-def: $vgpr10
	s_branch .LBB47_3600
.LBB47_3596:
	s_mov_b32 s0, -1
                                        ; implicit-def: $vgpr10
.LBB47_3597:
	s_delay_alu instid0(SALU_CYCLE_1)
	s_and_not1_b32 vcc_lo, exec_lo, s0
	s_cbranch_vccnz .LBB47_3599
; %bb.3598:
	global_load_b32 v1, v[32:33], off
	s_wait_loadcnt 0x0
	v_cvt_i32_f32_e32 v10, v1
.LBB47_3599:
	s_mov_b32 s0, 0
.LBB47_3600:
	s_delay_alu instid0(SALU_CYCLE_1)
	s_and_not1_b32 vcc_lo, exec_lo, s0
	s_cbranch_vccnz .LBB47_3602
; %bb.3601:
	global_load_u16 v1, v[32:33], off
	s_wait_loadcnt 0x0
	v_cvt_i16_f16_e32 v10, v1
.LBB47_3602:
	s_mov_b32 s0, 0
.LBB47_3603:
	s_delay_alu instid0(SALU_CYCLE_1)
	s_and_not1_b32 vcc_lo, exec_lo, s0
	s_cbranch_vccnz .LBB47_3623
; %bb.3604:
	s_cmp_lt_i32 s15, 2
	s_cbranch_scc1 .LBB47_3608
; %bb.3605:
	s_cmp_lt_i32 s15, 3
	s_cbranch_scc1 .LBB47_3609
; %bb.3606:
	s_cmp_gt_i32 s15, 3
	s_cbranch_scc0 .LBB47_3610
; %bb.3607:
	s_wait_loadcnt 0x0
	global_load_b64 v[10:11], v[32:33], off
	s_mov_b32 s0, 0
	s_branch .LBB47_3611
.LBB47_3608:
	s_mov_b32 s0, -1
                                        ; implicit-def: $vgpr10
	s_branch .LBB47_3617
.LBB47_3609:
	s_mov_b32 s0, -1
                                        ; implicit-def: $vgpr10
	s_branch .LBB47_3614
.LBB47_3610:
	s_mov_b32 s0, -1
                                        ; implicit-def: $vgpr10
.LBB47_3611:
	s_delay_alu instid0(SALU_CYCLE_1)
	s_and_not1_b32 vcc_lo, exec_lo, s0
	s_cbranch_vccnz .LBB47_3613
; %bb.3612:
	s_wait_loadcnt 0x0
	global_load_b32 v10, v[32:33], off
.LBB47_3613:
	s_mov_b32 s0, 0
.LBB47_3614:
	s_delay_alu instid0(SALU_CYCLE_1)
	s_and_not1_b32 vcc_lo, exec_lo, s0
	s_cbranch_vccnz .LBB47_3616
; %bb.3615:
	s_wait_loadcnt 0x0
	global_load_u16 v10, v[32:33], off
.LBB47_3616:
	s_mov_b32 s0, 0
.LBB47_3617:
	s_delay_alu instid0(SALU_CYCLE_1)
	s_and_not1_b32 vcc_lo, exec_lo, s0
	s_cbranch_vccnz .LBB47_3623
; %bb.3618:
	s_cmp_gt_i32 s15, 0
	s_mov_b32 s0, 0
	s_cbranch_scc0 .LBB47_3620
; %bb.3619:
	s_wait_loadcnt 0x0
	global_load_u8 v10, v[32:33], off
	s_branch .LBB47_3621
.LBB47_3620:
	s_mov_b32 s0, -1
                                        ; implicit-def: $vgpr10
.LBB47_3621:
	s_delay_alu instid0(SALU_CYCLE_1)
	s_and_not1_b32 vcc_lo, exec_lo, s0
	s_cbranch_vccnz .LBB47_3623
; %bb.3622:
	s_wait_loadcnt 0x0
	global_load_u8 v10, v[32:33], off
.LBB47_3623:
	s_mov_b32 s6, -1
.LBB47_3624:
	s_delay_alu instid0(SALU_CYCLE_1)
	s_and_not1_b32 vcc_lo, exec_lo, s6
	s_cbranch_vccnz .LBB47_4058
; %bb.3625:
	v_mov_b32_e32 v7, 0
	global_load_u8 v1, v7, s[2:3] offset:490
	s_wait_xcnt 0x0
	s_load_b32 s2, s[2:3], 0x1e8
	v_add_nc_u64_e32 v[6:7], s[4:5], v[6:7]
	s_wait_kmcnt 0x0
	s_bfe_u32 s3, s2, 0x80008
	v_mul_lo_u16 v5, v8, s2
	v_mul_lo_u16 v8, v12, s3
	s_wait_loadcnt 0x0
	v_and_b32_e32 v3, 0xffff, v1
	v_readfirstlane_b32 s1, v1
	s_delay_alu instid0(VALU_DEP_3) | instskip(NEXT) | instid1(VALU_DEP_3)
	v_mad_u16 v1, v8, v18, v5
	v_cmp_gt_i32_e32 vcc_lo, 11, v3
	s_cbranch_vccnz .LBB47_3703
; %bb.3626:
	s_and_b32 s6, 0xffff, s1
	s_mov_b32 s9, -1
	s_mov_b32 s7, 0
	s_cmp_gt_i32 s6, 25
	s_mov_b32 s8, 0
	s_mov_b32 s0, 0
	s_cbranch_scc0 .LBB47_3659
; %bb.3627:
	s_cmp_gt_i32 s6, 28
	s_cbranch_scc0 .LBB47_3642
; %bb.3628:
	s_cmp_gt_i32 s6, 43
	;; [unrolled: 3-line block ×3, first 2 shown]
	s_cbranch_scc0 .LBB47_3632
; %bb.3630:
	s_mov_b32 s0, -1
	s_mov_b32 s9, 0
	s_cmp_eq_u32 s6, 46
	s_cbranch_scc0 .LBB47_3632
; %bb.3631:
	v_bfe_i32 v3, v1, 0, 8
	s_mov_b32 s0, 0
	s_mov_b32 s8, -1
	s_delay_alu instid0(VALU_DEP_1) | instskip(NEXT) | instid1(VALU_DEP_1)
	v_bfe_i32 v3, v3, 0, 16
	v_cvt_f32_i32_e32 v3, v3
	s_delay_alu instid0(VALU_DEP_1) | instskip(NEXT) | instid1(VALU_DEP_1)
	v_bfe_u32 v5, v3, 16, 1
	v_add3_u32 v3, v3, v5, 0x7fff
	s_delay_alu instid0(VALU_DEP_1)
	v_lshrrev_b32_e32 v3, 16, v3
	global_store_b32 v[6:7], v3, off
.LBB47_3632:
	s_and_b32 vcc_lo, exec_lo, s9
	s_cbranch_vccz .LBB47_3637
; %bb.3633:
	s_cmp_eq_u32 s6, 44
	s_mov_b32 s0, -1
	s_cbranch_scc0 .LBB47_3637
; %bb.3634:
	s_wait_xcnt 0x0
	v_bfe_i32 v3, v1, 0, 8
	v_mov_b32_e32 v5, 0xff
	s_mov_b32 s8, exec_lo
	s_delay_alu instid0(VALU_DEP_2) | instskip(NEXT) | instid1(VALU_DEP_1)
	v_bfe_i32 v3, v3, 0, 16
	v_cvt_f32_i32_e32 v3, v3
	s_delay_alu instid0(VALU_DEP_1) | instskip(NEXT) | instid1(VALU_DEP_1)
	v_bfe_u32 v8, v3, 23, 8
	v_cmpx_ne_u32_e32 0xff, v8
	s_cbranch_execz .LBB47_3636
; %bb.3635:
	v_and_b32_e32 v5, 0x400000, v3
	v_and_or_b32 v8, 0x3fffff, v3, v8
	v_lshrrev_b32_e32 v3, 23, v3
	s_delay_alu instid0(VALU_DEP_3) | instskip(NEXT) | instid1(VALU_DEP_3)
	v_cmp_ne_u32_e32 vcc_lo, 0, v5
	v_cmp_ne_u32_e64 s0, 0, v8
	s_and_b32 s0, vcc_lo, s0
	s_delay_alu instid0(SALU_CYCLE_1) | instskip(NEXT) | instid1(VALU_DEP_1)
	v_cndmask_b32_e64 v5, 0, 1, s0
	v_add_nc_u32_e32 v5, v3, v5
.LBB47_3636:
	s_or_b32 exec_lo, exec_lo, s8
	s_mov_b32 s0, 0
	s_mov_b32 s8, -1
	global_store_b8 v[6:7], v5, off
.LBB47_3637:
	s_mov_b32 s9, 0
.LBB47_3638:
	s_delay_alu instid0(SALU_CYCLE_1)
	s_and_b32 vcc_lo, exec_lo, s9
	s_cbranch_vccz .LBB47_3641
; %bb.3639:
	s_cmp_eq_u32 s6, 29
	s_mov_b32 s0, -1
	s_cbranch_scc0 .LBB47_3641
; %bb.3640:
	v_bfe_i32 v8, v1, 0, 8
	s_mov_b32 s0, 0
	s_mov_b32 s8, -1
	s_delay_alu instid0(VALU_DEP_1)
	v_ashrrev_i32_e32 v9, 31, v8
	global_store_b64 v[6:7], v[8:9], off
.LBB47_3641:
	s_mov_b32 s9, 0
.LBB47_3642:
	s_delay_alu instid0(SALU_CYCLE_1)
	s_and_b32 vcc_lo, exec_lo, s9
	s_cbranch_vccz .LBB47_3658
; %bb.3643:
	s_cmp_lt_i32 s6, 27
	s_mov_b32 s8, -1
	s_cbranch_scc1 .LBB47_3649
; %bb.3644:
	s_cmp_gt_i32 s6, 27
	s_cbranch_scc0 .LBB47_3646
; %bb.3645:
	s_wait_xcnt 0x0
	v_bfe_i32 v3, v1, 0, 8
	s_mov_b32 s8, 0
	global_store_b32 v[6:7], v3, off
.LBB47_3646:
	s_and_not1_b32 vcc_lo, exec_lo, s8
	s_cbranch_vccnz .LBB47_3648
; %bb.3647:
	s_wait_xcnt 0x0
	v_bfe_i32 v3, v1, 0, 8
	global_store_b16 v[6:7], v3, off
.LBB47_3648:
	s_mov_b32 s8, 0
.LBB47_3649:
	s_delay_alu instid0(SALU_CYCLE_1)
	s_and_not1_b32 vcc_lo, exec_lo, s8
	s_cbranch_vccnz .LBB47_3657
; %bb.3650:
	s_wait_xcnt 0x0
	v_bfe_i32 v3, v1, 0, 8
	v_mov_b32_e32 v8, 0x80
	s_mov_b32 s8, exec_lo
	s_delay_alu instid0(VALU_DEP_2) | instskip(NEXT) | instid1(VALU_DEP_1)
	v_bfe_i32 v3, v3, 0, 16
	v_cvt_f32_i32_e32 v3, v3
	s_delay_alu instid0(VALU_DEP_1) | instskip(NEXT) | instid1(VALU_DEP_1)
	v_and_b32_e32 v5, 0x7fffffff, v3
	v_cmpx_gt_u32_e32 0x43800000, v5
	s_cbranch_execz .LBB47_3656
; %bb.3651:
	v_cmp_lt_u32_e32 vcc_lo, 0x3bffffff, v5
	s_mov_b32 s9, 0
                                        ; implicit-def: $vgpr5
	s_and_saveexec_b32 s13, vcc_lo
	s_delay_alu instid0(SALU_CYCLE_1)
	s_xor_b32 s13, exec_lo, s13
	s_cbranch_execz .LBB47_4105
; %bb.3652:
	v_bfe_u32 v5, v3, 20, 1
	s_mov_b32 s9, exec_lo
	s_delay_alu instid0(VALU_DEP_1) | instskip(NEXT) | instid1(VALU_DEP_1)
	v_add3_u32 v5, v3, v5, 0x487ffff
	v_lshrrev_b32_e32 v5, 20, v5
	s_and_not1_saveexec_b32 s13, s13
	s_cbranch_execnz .LBB47_4106
.LBB47_3653:
	s_or_b32 exec_lo, exec_lo, s13
	v_mov_b32_e32 v8, 0
	s_and_saveexec_b32 s13, s9
.LBB47_3654:
	v_lshrrev_b32_e32 v3, 24, v3
	s_delay_alu instid0(VALU_DEP_1)
	v_and_or_b32 v8, 0x80, v3, v5
.LBB47_3655:
	s_or_b32 exec_lo, exec_lo, s13
.LBB47_3656:
	s_delay_alu instid0(SALU_CYCLE_1)
	s_or_b32 exec_lo, exec_lo, s8
	global_store_b8 v[6:7], v8, off
.LBB47_3657:
	s_mov_b32 s8, -1
.LBB47_3658:
	s_mov_b32 s9, 0
.LBB47_3659:
	s_delay_alu instid0(SALU_CYCLE_1)
	s_and_b32 vcc_lo, exec_lo, s9
	s_cbranch_vccz .LBB47_3699
; %bb.3660:
	s_cmp_gt_i32 s6, 22
	s_mov_b32 s7, -1
	s_cbranch_scc0 .LBB47_3692
; %bb.3661:
	s_cmp_lt_i32 s6, 24
	s_cbranch_scc1 .LBB47_3681
; %bb.3662:
	s_cmp_gt_i32 s6, 24
	s_cbranch_scc0 .LBB47_3670
; %bb.3663:
	s_wait_xcnt 0x0
	v_bfe_i32 v3, v1, 0, 8
	v_mov_b32_e32 v8, 0x80
	s_mov_b32 s7, exec_lo
	s_delay_alu instid0(VALU_DEP_2) | instskip(NEXT) | instid1(VALU_DEP_1)
	v_bfe_i32 v3, v3, 0, 16
	v_cvt_f32_i32_e32 v3, v3
	s_delay_alu instid0(VALU_DEP_1) | instskip(NEXT) | instid1(VALU_DEP_1)
	v_and_b32_e32 v5, 0x7fffffff, v3
	v_cmpx_gt_u32_e32 0x47800000, v5
	s_cbranch_execz .LBB47_3669
; %bb.3664:
	v_cmp_lt_u32_e32 vcc_lo, 0x37ffffff, v5
	s_mov_b32 s8, 0
                                        ; implicit-def: $vgpr5
	s_and_saveexec_b32 s9, vcc_lo
	s_delay_alu instid0(SALU_CYCLE_1)
	s_xor_b32 s9, exec_lo, s9
	s_cbranch_execz .LBB47_4108
; %bb.3665:
	v_bfe_u32 v5, v3, 21, 1
	s_mov_b32 s8, exec_lo
	s_delay_alu instid0(VALU_DEP_1) | instskip(NEXT) | instid1(VALU_DEP_1)
	v_add3_u32 v5, v3, v5, 0x88fffff
	v_lshrrev_b32_e32 v5, 21, v5
	s_and_not1_saveexec_b32 s9, s9
	s_cbranch_execnz .LBB47_4109
.LBB47_3666:
	s_or_b32 exec_lo, exec_lo, s9
	v_mov_b32_e32 v8, 0
	s_and_saveexec_b32 s9, s8
.LBB47_3667:
	v_lshrrev_b32_e32 v3, 24, v3
	s_delay_alu instid0(VALU_DEP_1)
	v_and_or_b32 v8, 0x80, v3, v5
.LBB47_3668:
	s_or_b32 exec_lo, exec_lo, s9
.LBB47_3669:
	s_delay_alu instid0(SALU_CYCLE_1)
	s_or_b32 exec_lo, exec_lo, s7
	s_mov_b32 s7, 0
	global_store_b8 v[6:7], v8, off
.LBB47_3670:
	s_and_b32 vcc_lo, exec_lo, s7
	s_cbranch_vccz .LBB47_3680
; %bb.3671:
	s_wait_xcnt 0x0
	v_bfe_i32 v3, v1, 0, 8
	s_mov_b32 s7, exec_lo
                                        ; implicit-def: $vgpr5
	s_delay_alu instid0(VALU_DEP_1) | instskip(NEXT) | instid1(VALU_DEP_1)
	v_bfe_i32 v3, v3, 0, 16
	v_cvt_f32_i32_e32 v3, v3
	s_delay_alu instid0(VALU_DEP_1) | instskip(NEXT) | instid1(VALU_DEP_1)
	v_and_b32_e32 v8, 0x7fffffff, v3
	v_cmpx_gt_u32_e32 0x43f00000, v8
	s_xor_b32 s7, exec_lo, s7
	s_cbranch_execz .LBB47_3677
; %bb.3672:
	s_mov_b32 s8, exec_lo
                                        ; implicit-def: $vgpr5
	v_cmpx_lt_u32_e32 0x3c7fffff, v8
	s_xor_b32 s8, exec_lo, s8
; %bb.3673:
	v_bfe_u32 v5, v3, 20, 1
	s_delay_alu instid0(VALU_DEP_1) | instskip(NEXT) | instid1(VALU_DEP_1)
	v_add3_u32 v5, v3, v5, 0x407ffff
	v_and_b32_e32 v8, 0xff00000, v5
	v_lshrrev_b32_e32 v5, 20, v5
	s_delay_alu instid0(VALU_DEP_2) | instskip(NEXT) | instid1(VALU_DEP_2)
	v_cmp_ne_u32_e32 vcc_lo, 0x7f00000, v8
	v_cndmask_b32_e32 v5, 0x7e, v5, vcc_lo
; %bb.3674:
	s_and_not1_saveexec_b32 s8, s8
; %bb.3675:
	v_add_f32_e64 v5, 0x46800000, |v3|
; %bb.3676:
	s_or_b32 exec_lo, exec_lo, s8
                                        ; implicit-def: $vgpr8
.LBB47_3677:
	s_and_not1_saveexec_b32 s7, s7
; %bb.3678:
	v_mov_b32_e32 v5, 0x7f
	v_cmp_lt_u32_e32 vcc_lo, 0x7f800000, v8
	s_delay_alu instid0(VALU_DEP_2)
	v_cndmask_b32_e32 v5, 0x7e, v5, vcc_lo
; %bb.3679:
	s_or_b32 exec_lo, exec_lo, s7
	v_lshrrev_b32_e32 v3, 24, v3
	s_delay_alu instid0(VALU_DEP_1)
	v_and_or_b32 v3, 0x80, v3, v5
	global_store_b8 v[6:7], v3, off
.LBB47_3680:
	s_mov_b32 s7, 0
.LBB47_3681:
	s_delay_alu instid0(SALU_CYCLE_1)
	s_and_not1_b32 vcc_lo, exec_lo, s7
	s_cbranch_vccnz .LBB47_3691
; %bb.3682:
	s_wait_xcnt 0x0
	v_bfe_i32 v3, v1, 0, 8
	s_mov_b32 s7, exec_lo
                                        ; implicit-def: $vgpr5
	s_delay_alu instid0(VALU_DEP_1) | instskip(NEXT) | instid1(VALU_DEP_1)
	v_bfe_i32 v3, v3, 0, 16
	v_cvt_f32_i32_e32 v3, v3
	s_delay_alu instid0(VALU_DEP_1) | instskip(NEXT) | instid1(VALU_DEP_1)
	v_and_b32_e32 v8, 0x7fffffff, v3
	v_cmpx_gt_u32_e32 0x47800000, v8
	s_xor_b32 s7, exec_lo, s7
	s_cbranch_execz .LBB47_3688
; %bb.3683:
	s_mov_b32 s8, exec_lo
                                        ; implicit-def: $vgpr5
	v_cmpx_lt_u32_e32 0x387fffff, v8
	s_xor_b32 s8, exec_lo, s8
; %bb.3684:
	v_bfe_u32 v5, v3, 21, 1
	s_delay_alu instid0(VALU_DEP_1) | instskip(NEXT) | instid1(VALU_DEP_1)
	v_add3_u32 v5, v3, v5, 0x80fffff
	v_lshrrev_b32_e32 v5, 21, v5
; %bb.3685:
	s_and_not1_saveexec_b32 s8, s8
; %bb.3686:
	v_add_f32_e64 v5, 0x43000000, |v3|
; %bb.3687:
	s_or_b32 exec_lo, exec_lo, s8
                                        ; implicit-def: $vgpr8
.LBB47_3688:
	s_and_not1_saveexec_b32 s7, s7
; %bb.3689:
	v_mov_b32_e32 v5, 0x7f
	v_cmp_lt_u32_e32 vcc_lo, 0x7f800000, v8
	s_delay_alu instid0(VALU_DEP_2)
	v_cndmask_b32_e32 v5, 0x7c, v5, vcc_lo
; %bb.3690:
	s_or_b32 exec_lo, exec_lo, s7
	v_lshrrev_b32_e32 v3, 24, v3
	s_delay_alu instid0(VALU_DEP_1)
	v_and_or_b32 v3, 0x80, v3, v5
	global_store_b8 v[6:7], v3, off
.LBB47_3691:
	s_mov_b32 s7, 0
	s_mov_b32 s8, -1
.LBB47_3692:
	s_and_not1_b32 vcc_lo, exec_lo, s7
	s_mov_b32 s7, 0
	s_cbranch_vccnz .LBB47_3699
; %bb.3693:
	s_cmp_gt_i32 s6, 14
	s_mov_b32 s7, -1
	s_cbranch_scc0 .LBB47_3697
; %bb.3694:
	s_cmp_eq_u32 s6, 15
	s_mov_b32 s0, -1
	s_cbranch_scc0 .LBB47_3696
; %bb.3695:
	s_wait_xcnt 0x0
	v_bfe_i32 v3, v1, 0, 8
	s_mov_b32 s0, 0
	s_mov_b32 s8, -1
	s_delay_alu instid0(VALU_DEP_1) | instskip(NEXT) | instid1(VALU_DEP_1)
	v_bfe_i32 v3, v3, 0, 16
	v_cvt_f32_i32_e32 v3, v3
	s_delay_alu instid0(VALU_DEP_1) | instskip(NEXT) | instid1(VALU_DEP_1)
	v_bfe_u32 v5, v3, 16, 1
	v_add3_u32 v3, v3, v5, 0x7fff
	global_store_d16_hi_b16 v[6:7], v3, off
.LBB47_3696:
	s_mov_b32 s7, 0
.LBB47_3697:
	s_delay_alu instid0(SALU_CYCLE_1)
	s_and_b32 vcc_lo, exec_lo, s7
	s_mov_b32 s7, 0
	s_cbranch_vccz .LBB47_3699
; %bb.3698:
	s_cmp_lg_u32 s6, 11
	s_mov_b32 s7, -1
	s_cselect_b32 s0, -1, 0
.LBB47_3699:
	s_delay_alu instid0(SALU_CYCLE_1)
	s_and_b32 vcc_lo, exec_lo, s0
	s_cbranch_vccnz .LBB47_4107
; %bb.3700:
	s_and_not1_b32 vcc_lo, exec_lo, s7
	s_cbranch_vccnz .LBB47_3702
.LBB47_3701:
	s_wait_xcnt 0x0
	v_and_b32_e32 v3, 0xff, v1
	s_mov_b32 s8, -1
	s_delay_alu instid0(VALU_DEP_1)
	v_cmp_ne_u16_e32 vcc_lo, 0, v3
	v_cndmask_b32_e64 v3, 0, 1, vcc_lo
	global_store_b8 v[6:7], v3, off
.LBB47_3702:
	s_mov_b32 s0, 0
	s_branch .LBB47_3704
.LBB47_3703:
	s_mov_b32 s0, -1
	s_mov_b32 s8, 0
.LBB47_3704:
	s_and_b32 vcc_lo, exec_lo, s0
	s_cbranch_vccz .LBB47_3743
; %bb.3705:
	s_and_b32 s0, 0xffff, s1
	s_mov_b32 s6, -1
	s_cmp_lt_i32 s0, 5
	s_cbranch_scc1 .LBB47_3726
; %bb.3706:
	s_cmp_lt_i32 s0, 8
	s_cbranch_scc1 .LBB47_3716
; %bb.3707:
	;; [unrolled: 3-line block ×3, first 2 shown]
	s_cmp_gt_i32 s0, 9
	s_cbranch_scc0 .LBB47_3710
; %bb.3709:
	s_wait_xcnt 0x0
	v_bfe_i32 v3, v1, 0, 8
	v_mov_b32_e32 v34, 0
	s_mov_b32 s6, 0
	s_delay_alu instid0(VALU_DEP_2) | instskip(NEXT) | instid1(VALU_DEP_2)
	v_bfe_i32 v3, v3, 0, 16
	v_mov_b32_e32 v35, v34
	s_delay_alu instid0(VALU_DEP_2)
	v_cvt_f64_i32_e32 v[32:33], v3
	global_store_b128 v[6:7], v[32:35], off
.LBB47_3710:
	s_and_not1_b32 vcc_lo, exec_lo, s6
	s_cbranch_vccnz .LBB47_3712
; %bb.3711:
	s_wait_xcnt 0x0
	v_bfe_i32 v3, v1, 0, 8
	v_mov_b32_e32 v9, 0
	s_delay_alu instid0(VALU_DEP_2) | instskip(NEXT) | instid1(VALU_DEP_1)
	v_bfe_i32 v3, v3, 0, 16
	v_cvt_f32_i32_e32 v8, v3
	global_store_b64 v[6:7], v[8:9], off
.LBB47_3712:
	s_mov_b32 s6, 0
.LBB47_3713:
	s_delay_alu instid0(SALU_CYCLE_1)
	s_and_not1_b32 vcc_lo, exec_lo, s6
	s_cbranch_vccnz .LBB47_3715
; %bb.3714:
	s_wait_xcnt 0x0
	v_bfe_i32 v3, v1, 0, 8
	s_delay_alu instid0(VALU_DEP_1) | instskip(NEXT) | instid1(VALU_DEP_1)
	v_cvt_f16_i16_e32 v3, v3
	v_and_b32_e32 v3, 0xffff, v3
	global_store_b32 v[6:7], v3, off
.LBB47_3715:
	s_mov_b32 s6, 0
.LBB47_3716:
	s_delay_alu instid0(SALU_CYCLE_1)
	s_and_not1_b32 vcc_lo, exec_lo, s6
	s_cbranch_vccnz .LBB47_3725
; %bb.3717:
	s_cmp_lt_i32 s0, 6
	s_mov_b32 s6, -1
	s_cbranch_scc1 .LBB47_3723
; %bb.3718:
	s_cmp_gt_i32 s0, 6
	s_cbranch_scc0 .LBB47_3720
; %bb.3719:
	s_wait_xcnt 0x0
	v_bfe_i32 v3, v1, 0, 8
	s_mov_b32 s6, 0
	s_delay_alu instid0(VALU_DEP_1) | instskip(NEXT) | instid1(VALU_DEP_1)
	v_bfe_i32 v3, v3, 0, 16
	v_cvt_f64_i32_e32 v[8:9], v3
	global_store_b64 v[6:7], v[8:9], off
.LBB47_3720:
	s_and_not1_b32 vcc_lo, exec_lo, s6
	s_cbranch_vccnz .LBB47_3722
; %bb.3721:
	s_wait_xcnt 0x0
	v_bfe_i32 v3, v1, 0, 8
	s_delay_alu instid0(VALU_DEP_1) | instskip(NEXT) | instid1(VALU_DEP_1)
	v_bfe_i32 v3, v3, 0, 16
	v_cvt_f32_i32_e32 v3, v3
	global_store_b32 v[6:7], v3, off
.LBB47_3722:
	s_mov_b32 s6, 0
.LBB47_3723:
	s_delay_alu instid0(SALU_CYCLE_1)
	s_and_not1_b32 vcc_lo, exec_lo, s6
	s_cbranch_vccnz .LBB47_3725
; %bb.3724:
	s_wait_xcnt 0x0
	v_bfe_i32 v3, v1, 0, 8
	s_delay_alu instid0(VALU_DEP_1)
	v_cvt_f16_i16_e32 v3, v3
	global_store_b16 v[6:7], v3, off
.LBB47_3725:
	s_mov_b32 s6, 0
.LBB47_3726:
	s_delay_alu instid0(SALU_CYCLE_1)
	s_and_not1_b32 vcc_lo, exec_lo, s6
	s_cbranch_vccnz .LBB47_3742
; %bb.3727:
	s_cmp_lt_i32 s0, 2
	s_mov_b32 s6, -1
	s_cbranch_scc1 .LBB47_3737
; %bb.3728:
	s_cmp_lt_i32 s0, 3
	s_cbranch_scc1 .LBB47_3734
; %bb.3729:
	s_cmp_gt_i32 s0, 3
	s_cbranch_scc0 .LBB47_3731
; %bb.3730:
	s_wait_xcnt 0x0
	v_bfe_i32 v8, v1, 0, 8
	s_mov_b32 s6, 0
	s_delay_alu instid0(VALU_DEP_1)
	v_ashrrev_i32_e32 v9, 31, v8
	global_store_b64 v[6:7], v[8:9], off
.LBB47_3731:
	s_and_not1_b32 vcc_lo, exec_lo, s6
	s_cbranch_vccnz .LBB47_3733
; %bb.3732:
	s_wait_xcnt 0x0
	v_bfe_i32 v3, v1, 0, 8
	global_store_b32 v[6:7], v3, off
.LBB47_3733:
	s_mov_b32 s6, 0
.LBB47_3734:
	s_delay_alu instid0(SALU_CYCLE_1)
	s_and_not1_b32 vcc_lo, exec_lo, s6
	s_cbranch_vccnz .LBB47_3736
; %bb.3735:
	s_wait_xcnt 0x0
	v_bfe_i32 v3, v1, 0, 8
	global_store_b16 v[6:7], v3, off
.LBB47_3736:
	s_mov_b32 s6, 0
.LBB47_3737:
	s_delay_alu instid0(SALU_CYCLE_1)
	s_and_not1_b32 vcc_lo, exec_lo, s6
	s_cbranch_vccnz .LBB47_3742
; %bb.3738:
	s_cmp_gt_i32 s0, 0
	s_mov_b32 s0, -1
	s_cbranch_scc0 .LBB47_3740
; %bb.3739:
	s_mov_b32 s0, 0
	global_store_b8 v[6:7], v1, off
.LBB47_3740:
	s_and_not1_b32 vcc_lo, exec_lo, s0
	s_cbranch_vccnz .LBB47_3742
; %bb.3741:
	global_store_b8 v[6:7], v1, off
.LBB47_3742:
	s_mov_b32 s8, -1
.LBB47_3743:
	s_delay_alu instid0(SALU_CYCLE_1)
	s_and_not1_b32 vcc_lo, exec_lo, s8
	s_cbranch_vccnz .LBB47_4058
; %bb.3744:
	s_wait_xcnt 0x0
	v_mov_b32_e32 v5, 0
	v_mul_lo_u16 v1, v16, s2
	v_mul_lo_u16 v3, v22, s3
	s_and_b32 s6, 0xffff, s1
	s_delay_alu instid0(SALU_CYCLE_1) | instskip(SKIP_1) | instid1(VALU_DEP_2)
	s_cmp_lt_i32 s6, 11
	v_add_nc_u64_e32 v[4:5], s[4:5], v[4:5]
	v_mad_u16 v1, v3, v28, v1
	s_cbranch_scc1 .LBB47_3822
; %bb.3745:
	s_mov_b32 s9, -1
	s_mov_b32 s7, 0
	s_cmp_gt_i32 s6, 25
	s_mov_b32 s8, 0
	s_mov_b32 s0, 0
	s_cbranch_scc0 .LBB47_3778
; %bb.3746:
	s_cmp_gt_i32 s6, 28
	s_cbranch_scc0 .LBB47_3761
; %bb.3747:
	s_cmp_gt_i32 s6, 43
	;; [unrolled: 3-line block ×3, first 2 shown]
	s_cbranch_scc0 .LBB47_3751
; %bb.3749:
	s_mov_b32 s0, -1
	s_mov_b32 s9, 0
	s_cmp_eq_u32 s6, 46
	s_cbranch_scc0 .LBB47_3751
; %bb.3750:
	v_bfe_i32 v3, v1, 0, 8
	s_mov_b32 s0, 0
	s_mov_b32 s8, -1
	s_delay_alu instid0(VALU_DEP_1) | instskip(NEXT) | instid1(VALU_DEP_1)
	v_bfe_i32 v3, v3, 0, 16
	v_cvt_f32_i32_e32 v3, v3
	s_delay_alu instid0(VALU_DEP_1) | instskip(NEXT) | instid1(VALU_DEP_1)
	v_bfe_u32 v6, v3, 16, 1
	v_add3_u32 v3, v3, v6, 0x7fff
	s_delay_alu instid0(VALU_DEP_1)
	v_lshrrev_b32_e32 v3, 16, v3
	global_store_b32 v[4:5], v3, off
.LBB47_3751:
	s_and_b32 vcc_lo, exec_lo, s9
	s_cbranch_vccz .LBB47_3756
; %bb.3752:
	s_cmp_eq_u32 s6, 44
	s_mov_b32 s0, -1
	s_cbranch_scc0 .LBB47_3756
; %bb.3753:
	s_wait_xcnt 0x0
	v_bfe_i32 v3, v1, 0, 8
	v_mov_b32_e32 v6, 0xff
	s_mov_b32 s8, exec_lo
	s_delay_alu instid0(VALU_DEP_2) | instskip(NEXT) | instid1(VALU_DEP_1)
	v_bfe_i32 v3, v3, 0, 16
	v_cvt_f32_i32_e32 v3, v3
	s_delay_alu instid0(VALU_DEP_1) | instskip(NEXT) | instid1(VALU_DEP_1)
	v_bfe_u32 v7, v3, 23, 8
	v_cmpx_ne_u32_e32 0xff, v7
	s_cbranch_execz .LBB47_3755
; %bb.3754:
	v_and_b32_e32 v6, 0x400000, v3
	v_and_or_b32 v7, 0x3fffff, v3, v7
	v_lshrrev_b32_e32 v3, 23, v3
	s_delay_alu instid0(VALU_DEP_3) | instskip(NEXT) | instid1(VALU_DEP_3)
	v_cmp_ne_u32_e32 vcc_lo, 0, v6
	v_cmp_ne_u32_e64 s0, 0, v7
	s_and_b32 s0, vcc_lo, s0
	s_delay_alu instid0(SALU_CYCLE_1) | instskip(NEXT) | instid1(VALU_DEP_1)
	v_cndmask_b32_e64 v6, 0, 1, s0
	v_add_nc_u32_e32 v6, v3, v6
.LBB47_3755:
	s_or_b32 exec_lo, exec_lo, s8
	s_mov_b32 s0, 0
	s_mov_b32 s8, -1
	global_store_b8 v[4:5], v6, off
.LBB47_3756:
	s_mov_b32 s9, 0
.LBB47_3757:
	s_delay_alu instid0(SALU_CYCLE_1)
	s_and_b32 vcc_lo, exec_lo, s9
	s_cbranch_vccz .LBB47_3760
; %bb.3758:
	s_cmp_eq_u32 s6, 29
	s_mov_b32 s0, -1
	s_cbranch_scc0 .LBB47_3760
; %bb.3759:
	s_wait_xcnt 0x0
	v_bfe_i32 v6, v1, 0, 8
	s_mov_b32 s0, 0
	s_mov_b32 s8, -1
	s_delay_alu instid0(VALU_DEP_1)
	v_ashrrev_i32_e32 v7, 31, v6
	global_store_b64 v[4:5], v[6:7], off
.LBB47_3760:
	s_mov_b32 s9, 0
.LBB47_3761:
	s_delay_alu instid0(SALU_CYCLE_1)
	s_and_b32 vcc_lo, exec_lo, s9
	s_cbranch_vccz .LBB47_3777
; %bb.3762:
	s_cmp_lt_i32 s6, 27
	s_mov_b32 s8, -1
	s_cbranch_scc1 .LBB47_3768
; %bb.3763:
	s_cmp_gt_i32 s6, 27
	s_cbranch_scc0 .LBB47_3765
; %bb.3764:
	s_wait_xcnt 0x0
	v_bfe_i32 v3, v1, 0, 8
	s_mov_b32 s8, 0
	global_store_b32 v[4:5], v3, off
.LBB47_3765:
	s_and_not1_b32 vcc_lo, exec_lo, s8
	s_cbranch_vccnz .LBB47_3767
; %bb.3766:
	s_wait_xcnt 0x0
	v_bfe_i32 v3, v1, 0, 8
	global_store_b16 v[4:5], v3, off
.LBB47_3767:
	s_mov_b32 s8, 0
.LBB47_3768:
	s_delay_alu instid0(SALU_CYCLE_1)
	s_and_not1_b32 vcc_lo, exec_lo, s8
	s_cbranch_vccnz .LBB47_3776
; %bb.3769:
	s_wait_xcnt 0x0
	v_bfe_i32 v3, v1, 0, 8
	v_mov_b32_e32 v7, 0x80
	s_mov_b32 s8, exec_lo
	s_delay_alu instid0(VALU_DEP_2) | instskip(NEXT) | instid1(VALU_DEP_1)
	v_bfe_i32 v3, v3, 0, 16
	v_cvt_f32_i32_e32 v3, v3
	s_delay_alu instid0(VALU_DEP_1) | instskip(NEXT) | instid1(VALU_DEP_1)
	v_and_b32_e32 v6, 0x7fffffff, v3
	v_cmpx_gt_u32_e32 0x43800000, v6
	s_cbranch_execz .LBB47_3775
; %bb.3770:
	v_cmp_lt_u32_e32 vcc_lo, 0x3bffffff, v6
	s_mov_b32 s9, 0
                                        ; implicit-def: $vgpr6
	s_and_saveexec_b32 s13, vcc_lo
	s_delay_alu instid0(SALU_CYCLE_1)
	s_xor_b32 s13, exec_lo, s13
	s_cbranch_execz .LBB47_4110
; %bb.3771:
	v_bfe_u32 v6, v3, 20, 1
	s_mov_b32 s9, exec_lo
	s_delay_alu instid0(VALU_DEP_1) | instskip(NEXT) | instid1(VALU_DEP_1)
	v_add3_u32 v6, v3, v6, 0x487ffff
	v_lshrrev_b32_e32 v6, 20, v6
	s_and_not1_saveexec_b32 s13, s13
	s_cbranch_execnz .LBB47_4111
.LBB47_3772:
	s_or_b32 exec_lo, exec_lo, s13
	v_mov_b32_e32 v7, 0
	s_and_saveexec_b32 s13, s9
.LBB47_3773:
	v_lshrrev_b32_e32 v3, 24, v3
	s_delay_alu instid0(VALU_DEP_1)
	v_and_or_b32 v7, 0x80, v3, v6
.LBB47_3774:
	s_or_b32 exec_lo, exec_lo, s13
.LBB47_3775:
	s_delay_alu instid0(SALU_CYCLE_1)
	s_or_b32 exec_lo, exec_lo, s8
	global_store_b8 v[4:5], v7, off
.LBB47_3776:
	s_mov_b32 s8, -1
.LBB47_3777:
	s_mov_b32 s9, 0
.LBB47_3778:
	s_delay_alu instid0(SALU_CYCLE_1)
	s_and_b32 vcc_lo, exec_lo, s9
	s_cbranch_vccz .LBB47_3818
; %bb.3779:
	s_cmp_gt_i32 s6, 22
	s_mov_b32 s7, -1
	s_cbranch_scc0 .LBB47_3811
; %bb.3780:
	s_cmp_lt_i32 s6, 24
	s_cbranch_scc1 .LBB47_3800
; %bb.3781:
	s_cmp_gt_i32 s6, 24
	s_cbranch_scc0 .LBB47_3789
; %bb.3782:
	s_wait_xcnt 0x0
	v_bfe_i32 v3, v1, 0, 8
	v_mov_b32_e32 v7, 0x80
	s_mov_b32 s7, exec_lo
	s_delay_alu instid0(VALU_DEP_2) | instskip(NEXT) | instid1(VALU_DEP_1)
	v_bfe_i32 v3, v3, 0, 16
	v_cvt_f32_i32_e32 v3, v3
	s_delay_alu instid0(VALU_DEP_1) | instskip(NEXT) | instid1(VALU_DEP_1)
	v_and_b32_e32 v6, 0x7fffffff, v3
	v_cmpx_gt_u32_e32 0x47800000, v6
	s_cbranch_execz .LBB47_3788
; %bb.3783:
	v_cmp_lt_u32_e32 vcc_lo, 0x37ffffff, v6
	s_mov_b32 s8, 0
                                        ; implicit-def: $vgpr6
	s_and_saveexec_b32 s9, vcc_lo
	s_delay_alu instid0(SALU_CYCLE_1)
	s_xor_b32 s9, exec_lo, s9
	s_cbranch_execz .LBB47_4113
; %bb.3784:
	v_bfe_u32 v6, v3, 21, 1
	s_mov_b32 s8, exec_lo
	s_delay_alu instid0(VALU_DEP_1) | instskip(NEXT) | instid1(VALU_DEP_1)
	v_add3_u32 v6, v3, v6, 0x88fffff
	v_lshrrev_b32_e32 v6, 21, v6
	s_and_not1_saveexec_b32 s9, s9
	s_cbranch_execnz .LBB47_4114
.LBB47_3785:
	s_or_b32 exec_lo, exec_lo, s9
	v_mov_b32_e32 v7, 0
	s_and_saveexec_b32 s9, s8
.LBB47_3786:
	v_lshrrev_b32_e32 v3, 24, v3
	s_delay_alu instid0(VALU_DEP_1)
	v_and_or_b32 v7, 0x80, v3, v6
.LBB47_3787:
	s_or_b32 exec_lo, exec_lo, s9
.LBB47_3788:
	s_delay_alu instid0(SALU_CYCLE_1)
	s_or_b32 exec_lo, exec_lo, s7
	s_mov_b32 s7, 0
	global_store_b8 v[4:5], v7, off
.LBB47_3789:
	s_and_b32 vcc_lo, exec_lo, s7
	s_cbranch_vccz .LBB47_3799
; %bb.3790:
	s_wait_xcnt 0x0
	v_bfe_i32 v3, v1, 0, 8
	s_mov_b32 s7, exec_lo
                                        ; implicit-def: $vgpr6
	s_delay_alu instid0(VALU_DEP_1) | instskip(NEXT) | instid1(VALU_DEP_1)
	v_bfe_i32 v3, v3, 0, 16
	v_cvt_f32_i32_e32 v3, v3
	s_delay_alu instid0(VALU_DEP_1) | instskip(NEXT) | instid1(VALU_DEP_1)
	v_and_b32_e32 v7, 0x7fffffff, v3
	v_cmpx_gt_u32_e32 0x43f00000, v7
	s_xor_b32 s7, exec_lo, s7
	s_cbranch_execz .LBB47_3796
; %bb.3791:
	s_mov_b32 s8, exec_lo
                                        ; implicit-def: $vgpr6
	v_cmpx_lt_u32_e32 0x3c7fffff, v7
	s_xor_b32 s8, exec_lo, s8
; %bb.3792:
	v_bfe_u32 v6, v3, 20, 1
	s_delay_alu instid0(VALU_DEP_1) | instskip(NEXT) | instid1(VALU_DEP_1)
	v_add3_u32 v6, v3, v6, 0x407ffff
	v_and_b32_e32 v7, 0xff00000, v6
	v_lshrrev_b32_e32 v6, 20, v6
	s_delay_alu instid0(VALU_DEP_2) | instskip(NEXT) | instid1(VALU_DEP_2)
	v_cmp_ne_u32_e32 vcc_lo, 0x7f00000, v7
	v_cndmask_b32_e32 v6, 0x7e, v6, vcc_lo
; %bb.3793:
	s_and_not1_saveexec_b32 s8, s8
; %bb.3794:
	v_add_f32_e64 v6, 0x46800000, |v3|
; %bb.3795:
	s_or_b32 exec_lo, exec_lo, s8
                                        ; implicit-def: $vgpr7
.LBB47_3796:
	s_and_not1_saveexec_b32 s7, s7
; %bb.3797:
	v_mov_b32_e32 v6, 0x7f
	v_cmp_lt_u32_e32 vcc_lo, 0x7f800000, v7
	s_delay_alu instid0(VALU_DEP_2)
	v_cndmask_b32_e32 v6, 0x7e, v6, vcc_lo
; %bb.3798:
	s_or_b32 exec_lo, exec_lo, s7
	v_lshrrev_b32_e32 v3, 24, v3
	s_delay_alu instid0(VALU_DEP_1)
	v_and_or_b32 v3, 0x80, v3, v6
	global_store_b8 v[4:5], v3, off
.LBB47_3799:
	s_mov_b32 s7, 0
.LBB47_3800:
	s_delay_alu instid0(SALU_CYCLE_1)
	s_and_not1_b32 vcc_lo, exec_lo, s7
	s_cbranch_vccnz .LBB47_3810
; %bb.3801:
	s_wait_xcnt 0x0
	v_bfe_i32 v3, v1, 0, 8
	s_mov_b32 s7, exec_lo
                                        ; implicit-def: $vgpr6
	s_delay_alu instid0(VALU_DEP_1) | instskip(NEXT) | instid1(VALU_DEP_1)
	v_bfe_i32 v3, v3, 0, 16
	v_cvt_f32_i32_e32 v3, v3
	s_delay_alu instid0(VALU_DEP_1) | instskip(NEXT) | instid1(VALU_DEP_1)
	v_and_b32_e32 v7, 0x7fffffff, v3
	v_cmpx_gt_u32_e32 0x47800000, v7
	s_xor_b32 s7, exec_lo, s7
	s_cbranch_execz .LBB47_3807
; %bb.3802:
	s_mov_b32 s8, exec_lo
                                        ; implicit-def: $vgpr6
	v_cmpx_lt_u32_e32 0x387fffff, v7
	s_xor_b32 s8, exec_lo, s8
; %bb.3803:
	v_bfe_u32 v6, v3, 21, 1
	s_delay_alu instid0(VALU_DEP_1) | instskip(NEXT) | instid1(VALU_DEP_1)
	v_add3_u32 v6, v3, v6, 0x80fffff
	v_lshrrev_b32_e32 v6, 21, v6
; %bb.3804:
	s_and_not1_saveexec_b32 s8, s8
; %bb.3805:
	v_add_f32_e64 v6, 0x43000000, |v3|
; %bb.3806:
	s_or_b32 exec_lo, exec_lo, s8
                                        ; implicit-def: $vgpr7
.LBB47_3807:
	s_and_not1_saveexec_b32 s7, s7
; %bb.3808:
	v_mov_b32_e32 v6, 0x7f
	v_cmp_lt_u32_e32 vcc_lo, 0x7f800000, v7
	s_delay_alu instid0(VALU_DEP_2)
	v_cndmask_b32_e32 v6, 0x7c, v6, vcc_lo
; %bb.3809:
	s_or_b32 exec_lo, exec_lo, s7
	v_lshrrev_b32_e32 v3, 24, v3
	s_delay_alu instid0(VALU_DEP_1)
	v_and_or_b32 v3, 0x80, v3, v6
	global_store_b8 v[4:5], v3, off
.LBB47_3810:
	s_mov_b32 s7, 0
	s_mov_b32 s8, -1
.LBB47_3811:
	s_and_not1_b32 vcc_lo, exec_lo, s7
	s_mov_b32 s7, 0
	s_cbranch_vccnz .LBB47_3818
; %bb.3812:
	s_cmp_gt_i32 s6, 14
	s_mov_b32 s7, -1
	s_cbranch_scc0 .LBB47_3816
; %bb.3813:
	s_cmp_eq_u32 s6, 15
	s_mov_b32 s0, -1
	s_cbranch_scc0 .LBB47_3815
; %bb.3814:
	s_wait_xcnt 0x0
	v_bfe_i32 v3, v1, 0, 8
	s_mov_b32 s0, 0
	s_mov_b32 s8, -1
	s_delay_alu instid0(VALU_DEP_1) | instskip(NEXT) | instid1(VALU_DEP_1)
	v_bfe_i32 v3, v3, 0, 16
	v_cvt_f32_i32_e32 v3, v3
	s_delay_alu instid0(VALU_DEP_1) | instskip(NEXT) | instid1(VALU_DEP_1)
	v_bfe_u32 v6, v3, 16, 1
	v_add3_u32 v3, v3, v6, 0x7fff
	global_store_d16_hi_b16 v[4:5], v3, off
.LBB47_3815:
	s_mov_b32 s7, 0
.LBB47_3816:
	s_delay_alu instid0(SALU_CYCLE_1)
	s_and_b32 vcc_lo, exec_lo, s7
	s_mov_b32 s7, 0
	s_cbranch_vccz .LBB47_3818
; %bb.3817:
	s_cmp_lg_u32 s6, 11
	s_mov_b32 s7, -1
	s_cselect_b32 s0, -1, 0
.LBB47_3818:
	s_delay_alu instid0(SALU_CYCLE_1)
	s_and_b32 vcc_lo, exec_lo, s0
	s_cbranch_vccnz .LBB47_4112
; %bb.3819:
	s_and_not1_b32 vcc_lo, exec_lo, s7
	s_cbranch_vccnz .LBB47_3821
.LBB47_3820:
	s_wait_xcnt 0x0
	v_and_b32_e32 v3, 0xff, v1
	s_mov_b32 s8, -1
	s_delay_alu instid0(VALU_DEP_1)
	v_cmp_ne_u16_e32 vcc_lo, 0, v3
	v_cndmask_b32_e64 v3, 0, 1, vcc_lo
	global_store_b8 v[4:5], v3, off
.LBB47_3821:
	s_mov_b32 s0, 0
	s_branch .LBB47_3823
.LBB47_3822:
	s_mov_b32 s0, -1
	s_mov_b32 s8, 0
.LBB47_3823:
	s_and_b32 vcc_lo, exec_lo, s0
	s_cbranch_vccz .LBB47_3862
; %bb.3824:
	s_cmp_lt_i32 s6, 5
	s_mov_b32 s0, -1
	s_cbranch_scc1 .LBB47_3845
; %bb.3825:
	s_cmp_lt_i32 s6, 8
	s_cbranch_scc1 .LBB47_3835
; %bb.3826:
	s_cmp_lt_i32 s6, 9
	s_cbranch_scc1 .LBB47_3832
; %bb.3827:
	s_cmp_gt_i32 s6, 9
	s_cbranch_scc0 .LBB47_3829
; %bb.3828:
	s_wait_xcnt 0x0
	v_bfe_i32 v3, v1, 0, 8
	v_mov_b32_e32 v8, 0
	s_mov_b32 s0, 0
	s_delay_alu instid0(VALU_DEP_2) | instskip(NEXT) | instid1(VALU_DEP_2)
	v_bfe_i32 v3, v3, 0, 16
	v_mov_b32_e32 v9, v8
	s_delay_alu instid0(VALU_DEP_2)
	v_cvt_f64_i32_e32 v[6:7], v3
	global_store_b128 v[4:5], v[6:9], off
.LBB47_3829:
	s_and_not1_b32 vcc_lo, exec_lo, s0
	s_cbranch_vccnz .LBB47_3831
; %bb.3830:
	s_wait_xcnt 0x0
	v_bfe_i32 v3, v1, 0, 8
	v_mov_b32_e32 v7, 0
	s_delay_alu instid0(VALU_DEP_2) | instskip(NEXT) | instid1(VALU_DEP_1)
	v_bfe_i32 v3, v3, 0, 16
	v_cvt_f32_i32_e32 v6, v3
	global_store_b64 v[4:5], v[6:7], off
.LBB47_3831:
	s_mov_b32 s0, 0
.LBB47_3832:
	s_delay_alu instid0(SALU_CYCLE_1)
	s_and_not1_b32 vcc_lo, exec_lo, s0
	s_cbranch_vccnz .LBB47_3834
; %bb.3833:
	s_wait_xcnt 0x0
	v_bfe_i32 v3, v1, 0, 8
	s_delay_alu instid0(VALU_DEP_1) | instskip(NEXT) | instid1(VALU_DEP_1)
	v_cvt_f16_i16_e32 v3, v3
	v_and_b32_e32 v3, 0xffff, v3
	global_store_b32 v[4:5], v3, off
.LBB47_3834:
	s_mov_b32 s0, 0
.LBB47_3835:
	s_delay_alu instid0(SALU_CYCLE_1)
	s_and_not1_b32 vcc_lo, exec_lo, s0
	s_cbranch_vccnz .LBB47_3844
; %bb.3836:
	s_cmp_lt_i32 s6, 6
	s_mov_b32 s0, -1
	s_cbranch_scc1 .LBB47_3842
; %bb.3837:
	s_cmp_gt_i32 s6, 6
	s_cbranch_scc0 .LBB47_3839
; %bb.3838:
	s_wait_xcnt 0x0
	v_bfe_i32 v3, v1, 0, 8
	s_mov_b32 s0, 0
	s_delay_alu instid0(VALU_DEP_1) | instskip(NEXT) | instid1(VALU_DEP_1)
	v_bfe_i32 v3, v3, 0, 16
	v_cvt_f64_i32_e32 v[6:7], v3
	global_store_b64 v[4:5], v[6:7], off
.LBB47_3839:
	s_and_not1_b32 vcc_lo, exec_lo, s0
	s_cbranch_vccnz .LBB47_3841
; %bb.3840:
	s_wait_xcnt 0x0
	v_bfe_i32 v3, v1, 0, 8
	s_delay_alu instid0(VALU_DEP_1) | instskip(NEXT) | instid1(VALU_DEP_1)
	v_bfe_i32 v3, v3, 0, 16
	v_cvt_f32_i32_e32 v3, v3
	global_store_b32 v[4:5], v3, off
.LBB47_3841:
	s_mov_b32 s0, 0
.LBB47_3842:
	s_delay_alu instid0(SALU_CYCLE_1)
	s_and_not1_b32 vcc_lo, exec_lo, s0
	s_cbranch_vccnz .LBB47_3844
; %bb.3843:
	s_wait_xcnt 0x0
	v_bfe_i32 v3, v1, 0, 8
	s_delay_alu instid0(VALU_DEP_1)
	v_cvt_f16_i16_e32 v3, v3
	global_store_b16 v[4:5], v3, off
.LBB47_3844:
	s_mov_b32 s0, 0
.LBB47_3845:
	s_delay_alu instid0(SALU_CYCLE_1)
	s_and_not1_b32 vcc_lo, exec_lo, s0
	s_cbranch_vccnz .LBB47_3861
; %bb.3846:
	s_cmp_lt_i32 s6, 2
	s_mov_b32 s0, -1
	s_cbranch_scc1 .LBB47_3856
; %bb.3847:
	s_cmp_lt_i32 s6, 3
	s_cbranch_scc1 .LBB47_3853
; %bb.3848:
	s_cmp_gt_i32 s6, 3
	s_cbranch_scc0 .LBB47_3850
; %bb.3849:
	s_wait_xcnt 0x0
	v_bfe_i32 v6, v1, 0, 8
	s_mov_b32 s0, 0
	s_delay_alu instid0(VALU_DEP_1)
	v_ashrrev_i32_e32 v7, 31, v6
	global_store_b64 v[4:5], v[6:7], off
.LBB47_3850:
	s_and_not1_b32 vcc_lo, exec_lo, s0
	s_cbranch_vccnz .LBB47_3852
; %bb.3851:
	s_wait_xcnt 0x0
	v_bfe_i32 v3, v1, 0, 8
	global_store_b32 v[4:5], v3, off
.LBB47_3852:
	s_mov_b32 s0, 0
.LBB47_3853:
	s_delay_alu instid0(SALU_CYCLE_1)
	s_and_not1_b32 vcc_lo, exec_lo, s0
	s_cbranch_vccnz .LBB47_3855
; %bb.3854:
	s_wait_xcnt 0x0
	v_bfe_i32 v3, v1, 0, 8
	global_store_b16 v[4:5], v3, off
.LBB47_3855:
	s_mov_b32 s0, 0
.LBB47_3856:
	s_delay_alu instid0(SALU_CYCLE_1)
	s_and_not1_b32 vcc_lo, exec_lo, s0
	s_cbranch_vccnz .LBB47_3861
; %bb.3857:
	s_cmp_gt_i32 s6, 0
	s_mov_b32 s0, -1
	s_cbranch_scc0 .LBB47_3859
; %bb.3858:
	s_mov_b32 s0, 0
	global_store_b8 v[4:5], v1, off
.LBB47_3859:
	s_and_not1_b32 vcc_lo, exec_lo, s0
	s_cbranch_vccnz .LBB47_3861
; %bb.3860:
	global_store_b8 v[4:5], v1, off
.LBB47_3861:
	s_mov_b32 s8, -1
.LBB47_3862:
	s_delay_alu instid0(SALU_CYCLE_1)
	s_and_not1_b32 vcc_lo, exec_lo, s8
	s_cbranch_vccnz .LBB47_4058
; %bb.3863:
	s_wait_xcnt 0x0
	v_mov_b32_e32 v3, 0
	v_mul_lo_u16 v1, v26, s2
	v_mul_lo_u16 v4, v30, s3
	s_cmp_lt_i32 s6, 11
	s_delay_alu instid0(VALU_DEP_3) | instskip(NEXT) | instid1(VALU_DEP_2)
	v_add_nc_u64_e32 v[2:3], s[4:5], v[2:3]
	v_mad_u16 v1, v4, v24, v1
	s_cbranch_scc1 .LBB47_3941
; %bb.3864:
	s_mov_b32 s9, -1
	s_mov_b32 s7, 0
	s_cmp_gt_i32 s6, 25
	s_mov_b32 s8, 0
	s_mov_b32 s0, 0
	s_cbranch_scc0 .LBB47_3897
; %bb.3865:
	s_cmp_gt_i32 s6, 28
	s_cbranch_scc0 .LBB47_3880
; %bb.3866:
	s_cmp_gt_i32 s6, 43
	;; [unrolled: 3-line block ×3, first 2 shown]
	s_cbranch_scc0 .LBB47_3870
; %bb.3868:
	s_mov_b32 s0, -1
	s_mov_b32 s9, 0
	s_cmp_eq_u32 s6, 46
	s_cbranch_scc0 .LBB47_3870
; %bb.3869:
	v_bfe_i32 v4, v1, 0, 8
	s_mov_b32 s0, 0
	s_mov_b32 s8, -1
	s_delay_alu instid0(VALU_DEP_1) | instskip(NEXT) | instid1(VALU_DEP_1)
	v_bfe_i32 v4, v4, 0, 16
	v_cvt_f32_i32_e32 v4, v4
	s_delay_alu instid0(VALU_DEP_1) | instskip(NEXT) | instid1(VALU_DEP_1)
	v_bfe_u32 v5, v4, 16, 1
	v_add3_u32 v4, v4, v5, 0x7fff
	s_delay_alu instid0(VALU_DEP_1)
	v_lshrrev_b32_e32 v4, 16, v4
	global_store_b32 v[2:3], v4, off
.LBB47_3870:
	s_and_b32 vcc_lo, exec_lo, s9
	s_cbranch_vccz .LBB47_3875
; %bb.3871:
	s_cmp_eq_u32 s6, 44
	s_mov_b32 s0, -1
	s_cbranch_scc0 .LBB47_3875
; %bb.3872:
	s_wait_xcnt 0x0
	v_bfe_i32 v4, v1, 0, 8
	v_mov_b32_e32 v5, 0xff
	s_mov_b32 s8, exec_lo
	s_delay_alu instid0(VALU_DEP_2) | instskip(NEXT) | instid1(VALU_DEP_1)
	v_bfe_i32 v4, v4, 0, 16
	v_cvt_f32_i32_e32 v4, v4
	s_delay_alu instid0(VALU_DEP_1) | instskip(NEXT) | instid1(VALU_DEP_1)
	v_bfe_u32 v6, v4, 23, 8
	v_cmpx_ne_u32_e32 0xff, v6
	s_cbranch_execz .LBB47_3874
; %bb.3873:
	v_and_b32_e32 v5, 0x400000, v4
	v_and_or_b32 v6, 0x3fffff, v4, v6
	v_lshrrev_b32_e32 v4, 23, v4
	s_delay_alu instid0(VALU_DEP_3) | instskip(NEXT) | instid1(VALU_DEP_3)
	v_cmp_ne_u32_e32 vcc_lo, 0, v5
	v_cmp_ne_u32_e64 s0, 0, v6
	s_and_b32 s0, vcc_lo, s0
	s_delay_alu instid0(SALU_CYCLE_1) | instskip(NEXT) | instid1(VALU_DEP_1)
	v_cndmask_b32_e64 v5, 0, 1, s0
	v_add_nc_u32_e32 v5, v4, v5
.LBB47_3874:
	s_or_b32 exec_lo, exec_lo, s8
	s_mov_b32 s0, 0
	s_mov_b32 s8, -1
	global_store_b8 v[2:3], v5, off
.LBB47_3875:
	s_mov_b32 s9, 0
.LBB47_3876:
	s_delay_alu instid0(SALU_CYCLE_1)
	s_and_b32 vcc_lo, exec_lo, s9
	s_cbranch_vccz .LBB47_3879
; %bb.3877:
	s_cmp_eq_u32 s6, 29
	s_mov_b32 s0, -1
	s_cbranch_scc0 .LBB47_3879
; %bb.3878:
	s_wait_xcnt 0x0
	v_bfe_i32 v4, v1, 0, 8
	s_mov_b32 s0, 0
	s_mov_b32 s8, -1
	s_delay_alu instid0(VALU_DEP_1)
	v_ashrrev_i32_e32 v5, 31, v4
	global_store_b64 v[2:3], v[4:5], off
.LBB47_3879:
	s_mov_b32 s9, 0
.LBB47_3880:
	s_delay_alu instid0(SALU_CYCLE_1)
	s_and_b32 vcc_lo, exec_lo, s9
	s_cbranch_vccz .LBB47_3896
; %bb.3881:
	s_cmp_lt_i32 s6, 27
	s_mov_b32 s8, -1
	s_cbranch_scc1 .LBB47_3887
; %bb.3882:
	s_cmp_gt_i32 s6, 27
	s_cbranch_scc0 .LBB47_3884
; %bb.3883:
	s_wait_xcnt 0x0
	v_bfe_i32 v4, v1, 0, 8
	s_mov_b32 s8, 0
	global_store_b32 v[2:3], v4, off
.LBB47_3884:
	s_and_not1_b32 vcc_lo, exec_lo, s8
	s_cbranch_vccnz .LBB47_3886
; %bb.3885:
	s_wait_xcnt 0x0
	v_bfe_i32 v4, v1, 0, 8
	global_store_b16 v[2:3], v4, off
.LBB47_3886:
	s_mov_b32 s8, 0
.LBB47_3887:
	s_delay_alu instid0(SALU_CYCLE_1)
	s_and_not1_b32 vcc_lo, exec_lo, s8
	s_cbranch_vccnz .LBB47_3895
; %bb.3888:
	s_wait_xcnt 0x0
	v_bfe_i32 v4, v1, 0, 8
	v_mov_b32_e32 v6, 0x80
	s_mov_b32 s8, exec_lo
	s_delay_alu instid0(VALU_DEP_2) | instskip(NEXT) | instid1(VALU_DEP_1)
	v_bfe_i32 v4, v4, 0, 16
	v_cvt_f32_i32_e32 v4, v4
	s_delay_alu instid0(VALU_DEP_1) | instskip(NEXT) | instid1(VALU_DEP_1)
	v_and_b32_e32 v5, 0x7fffffff, v4
	v_cmpx_gt_u32_e32 0x43800000, v5
	s_cbranch_execz .LBB47_3894
; %bb.3889:
	v_cmp_lt_u32_e32 vcc_lo, 0x3bffffff, v5
	s_mov_b32 s9, 0
                                        ; implicit-def: $vgpr5
	s_and_saveexec_b32 s13, vcc_lo
	s_delay_alu instid0(SALU_CYCLE_1)
	s_xor_b32 s13, exec_lo, s13
	s_cbranch_execz .LBB47_4115
; %bb.3890:
	v_bfe_u32 v5, v4, 20, 1
	s_mov_b32 s9, exec_lo
	s_delay_alu instid0(VALU_DEP_1) | instskip(NEXT) | instid1(VALU_DEP_1)
	v_add3_u32 v5, v4, v5, 0x487ffff
	v_lshrrev_b32_e32 v5, 20, v5
	s_and_not1_saveexec_b32 s13, s13
	s_cbranch_execnz .LBB47_4116
.LBB47_3891:
	s_or_b32 exec_lo, exec_lo, s13
	v_mov_b32_e32 v6, 0
	s_and_saveexec_b32 s13, s9
.LBB47_3892:
	v_lshrrev_b32_e32 v4, 24, v4
	s_delay_alu instid0(VALU_DEP_1)
	v_and_or_b32 v6, 0x80, v4, v5
.LBB47_3893:
	s_or_b32 exec_lo, exec_lo, s13
.LBB47_3894:
	s_delay_alu instid0(SALU_CYCLE_1)
	s_or_b32 exec_lo, exec_lo, s8
	global_store_b8 v[2:3], v6, off
.LBB47_3895:
	s_mov_b32 s8, -1
.LBB47_3896:
	s_mov_b32 s9, 0
.LBB47_3897:
	s_delay_alu instid0(SALU_CYCLE_1)
	s_and_b32 vcc_lo, exec_lo, s9
	s_cbranch_vccz .LBB47_3937
; %bb.3898:
	s_cmp_gt_i32 s6, 22
	s_mov_b32 s7, -1
	s_cbranch_scc0 .LBB47_3930
; %bb.3899:
	s_cmp_lt_i32 s6, 24
	s_cbranch_scc1 .LBB47_3919
; %bb.3900:
	s_cmp_gt_i32 s6, 24
	s_cbranch_scc0 .LBB47_3908
; %bb.3901:
	s_wait_xcnt 0x0
	v_bfe_i32 v4, v1, 0, 8
	v_mov_b32_e32 v6, 0x80
	s_mov_b32 s7, exec_lo
	s_delay_alu instid0(VALU_DEP_2) | instskip(NEXT) | instid1(VALU_DEP_1)
	v_bfe_i32 v4, v4, 0, 16
	v_cvt_f32_i32_e32 v4, v4
	s_delay_alu instid0(VALU_DEP_1) | instskip(NEXT) | instid1(VALU_DEP_1)
	v_and_b32_e32 v5, 0x7fffffff, v4
	v_cmpx_gt_u32_e32 0x47800000, v5
	s_cbranch_execz .LBB47_3907
; %bb.3902:
	v_cmp_lt_u32_e32 vcc_lo, 0x37ffffff, v5
	s_mov_b32 s8, 0
                                        ; implicit-def: $vgpr5
	s_and_saveexec_b32 s9, vcc_lo
	s_delay_alu instid0(SALU_CYCLE_1)
	s_xor_b32 s9, exec_lo, s9
	s_cbranch_execz .LBB47_4118
; %bb.3903:
	v_bfe_u32 v5, v4, 21, 1
	s_mov_b32 s8, exec_lo
	s_delay_alu instid0(VALU_DEP_1) | instskip(NEXT) | instid1(VALU_DEP_1)
	v_add3_u32 v5, v4, v5, 0x88fffff
	v_lshrrev_b32_e32 v5, 21, v5
	s_and_not1_saveexec_b32 s9, s9
	s_cbranch_execnz .LBB47_4119
.LBB47_3904:
	s_or_b32 exec_lo, exec_lo, s9
	v_mov_b32_e32 v6, 0
	s_and_saveexec_b32 s9, s8
.LBB47_3905:
	v_lshrrev_b32_e32 v4, 24, v4
	s_delay_alu instid0(VALU_DEP_1)
	v_and_or_b32 v6, 0x80, v4, v5
.LBB47_3906:
	s_or_b32 exec_lo, exec_lo, s9
.LBB47_3907:
	s_delay_alu instid0(SALU_CYCLE_1)
	s_or_b32 exec_lo, exec_lo, s7
	s_mov_b32 s7, 0
	global_store_b8 v[2:3], v6, off
.LBB47_3908:
	s_and_b32 vcc_lo, exec_lo, s7
	s_cbranch_vccz .LBB47_3918
; %bb.3909:
	s_wait_xcnt 0x0
	v_bfe_i32 v4, v1, 0, 8
	s_mov_b32 s7, exec_lo
                                        ; implicit-def: $vgpr5
	s_delay_alu instid0(VALU_DEP_1) | instskip(NEXT) | instid1(VALU_DEP_1)
	v_bfe_i32 v4, v4, 0, 16
	v_cvt_f32_i32_e32 v4, v4
	s_delay_alu instid0(VALU_DEP_1) | instskip(NEXT) | instid1(VALU_DEP_1)
	v_and_b32_e32 v6, 0x7fffffff, v4
	v_cmpx_gt_u32_e32 0x43f00000, v6
	s_xor_b32 s7, exec_lo, s7
	s_cbranch_execz .LBB47_3915
; %bb.3910:
	s_mov_b32 s8, exec_lo
                                        ; implicit-def: $vgpr5
	v_cmpx_lt_u32_e32 0x3c7fffff, v6
	s_xor_b32 s8, exec_lo, s8
; %bb.3911:
	v_bfe_u32 v5, v4, 20, 1
	s_delay_alu instid0(VALU_DEP_1) | instskip(NEXT) | instid1(VALU_DEP_1)
	v_add3_u32 v5, v4, v5, 0x407ffff
	v_and_b32_e32 v6, 0xff00000, v5
	v_lshrrev_b32_e32 v5, 20, v5
	s_delay_alu instid0(VALU_DEP_2) | instskip(NEXT) | instid1(VALU_DEP_2)
	v_cmp_ne_u32_e32 vcc_lo, 0x7f00000, v6
	v_cndmask_b32_e32 v5, 0x7e, v5, vcc_lo
; %bb.3912:
	s_and_not1_saveexec_b32 s8, s8
; %bb.3913:
	v_add_f32_e64 v5, 0x46800000, |v4|
; %bb.3914:
	s_or_b32 exec_lo, exec_lo, s8
                                        ; implicit-def: $vgpr6
.LBB47_3915:
	s_and_not1_saveexec_b32 s7, s7
; %bb.3916:
	v_mov_b32_e32 v5, 0x7f
	v_cmp_lt_u32_e32 vcc_lo, 0x7f800000, v6
	s_delay_alu instid0(VALU_DEP_2)
	v_cndmask_b32_e32 v5, 0x7e, v5, vcc_lo
; %bb.3917:
	s_or_b32 exec_lo, exec_lo, s7
	v_lshrrev_b32_e32 v4, 24, v4
	s_delay_alu instid0(VALU_DEP_1)
	v_and_or_b32 v4, 0x80, v4, v5
	global_store_b8 v[2:3], v4, off
.LBB47_3918:
	s_mov_b32 s7, 0
.LBB47_3919:
	s_delay_alu instid0(SALU_CYCLE_1)
	s_and_not1_b32 vcc_lo, exec_lo, s7
	s_cbranch_vccnz .LBB47_3929
; %bb.3920:
	s_wait_xcnt 0x0
	v_bfe_i32 v4, v1, 0, 8
	s_mov_b32 s7, exec_lo
                                        ; implicit-def: $vgpr5
	s_delay_alu instid0(VALU_DEP_1) | instskip(NEXT) | instid1(VALU_DEP_1)
	v_bfe_i32 v4, v4, 0, 16
	v_cvt_f32_i32_e32 v4, v4
	s_delay_alu instid0(VALU_DEP_1) | instskip(NEXT) | instid1(VALU_DEP_1)
	v_and_b32_e32 v6, 0x7fffffff, v4
	v_cmpx_gt_u32_e32 0x47800000, v6
	s_xor_b32 s7, exec_lo, s7
	s_cbranch_execz .LBB47_3926
; %bb.3921:
	s_mov_b32 s8, exec_lo
                                        ; implicit-def: $vgpr5
	v_cmpx_lt_u32_e32 0x387fffff, v6
	s_xor_b32 s8, exec_lo, s8
; %bb.3922:
	v_bfe_u32 v5, v4, 21, 1
	s_delay_alu instid0(VALU_DEP_1) | instskip(NEXT) | instid1(VALU_DEP_1)
	v_add3_u32 v5, v4, v5, 0x80fffff
	v_lshrrev_b32_e32 v5, 21, v5
; %bb.3923:
	s_and_not1_saveexec_b32 s8, s8
; %bb.3924:
	v_add_f32_e64 v5, 0x43000000, |v4|
; %bb.3925:
	s_or_b32 exec_lo, exec_lo, s8
                                        ; implicit-def: $vgpr6
.LBB47_3926:
	s_and_not1_saveexec_b32 s7, s7
; %bb.3927:
	v_mov_b32_e32 v5, 0x7f
	v_cmp_lt_u32_e32 vcc_lo, 0x7f800000, v6
	s_delay_alu instid0(VALU_DEP_2)
	v_cndmask_b32_e32 v5, 0x7c, v5, vcc_lo
; %bb.3928:
	s_or_b32 exec_lo, exec_lo, s7
	v_lshrrev_b32_e32 v4, 24, v4
	s_delay_alu instid0(VALU_DEP_1)
	v_and_or_b32 v4, 0x80, v4, v5
	global_store_b8 v[2:3], v4, off
.LBB47_3929:
	s_mov_b32 s7, 0
	s_mov_b32 s8, -1
.LBB47_3930:
	s_and_not1_b32 vcc_lo, exec_lo, s7
	s_mov_b32 s7, 0
	s_cbranch_vccnz .LBB47_3937
; %bb.3931:
	s_cmp_gt_i32 s6, 14
	s_mov_b32 s7, -1
	s_cbranch_scc0 .LBB47_3935
; %bb.3932:
	s_cmp_eq_u32 s6, 15
	s_mov_b32 s0, -1
	s_cbranch_scc0 .LBB47_3934
; %bb.3933:
	s_wait_xcnt 0x0
	v_bfe_i32 v4, v1, 0, 8
	s_mov_b32 s0, 0
	s_mov_b32 s8, -1
	s_delay_alu instid0(VALU_DEP_1) | instskip(NEXT) | instid1(VALU_DEP_1)
	v_bfe_i32 v4, v4, 0, 16
	v_cvt_f32_i32_e32 v4, v4
	s_delay_alu instid0(VALU_DEP_1) | instskip(NEXT) | instid1(VALU_DEP_1)
	v_bfe_u32 v5, v4, 16, 1
	v_add3_u32 v4, v4, v5, 0x7fff
	global_store_d16_hi_b16 v[2:3], v4, off
.LBB47_3934:
	s_mov_b32 s7, 0
.LBB47_3935:
	s_delay_alu instid0(SALU_CYCLE_1)
	s_and_b32 vcc_lo, exec_lo, s7
	s_mov_b32 s7, 0
	s_cbranch_vccz .LBB47_3937
; %bb.3936:
	s_cmp_lg_u32 s6, 11
	s_mov_b32 s7, -1
	s_cselect_b32 s0, -1, 0
.LBB47_3937:
	s_delay_alu instid0(SALU_CYCLE_1)
	s_and_b32 vcc_lo, exec_lo, s0
	s_cbranch_vccnz .LBB47_4117
; %bb.3938:
	s_and_not1_b32 vcc_lo, exec_lo, s7
	s_cbranch_vccnz .LBB47_3940
.LBB47_3939:
	s_wait_xcnt 0x0
	v_and_b32_e32 v4, 0xff, v1
	s_mov_b32 s8, -1
	s_delay_alu instid0(VALU_DEP_1)
	v_cmp_ne_u16_e32 vcc_lo, 0, v4
	v_cndmask_b32_e64 v4, 0, 1, vcc_lo
	global_store_b8 v[2:3], v4, off
.LBB47_3940:
	s_mov_b32 s0, 0
	s_branch .LBB47_3942
.LBB47_3941:
	s_mov_b32 s0, -1
	s_mov_b32 s8, 0
.LBB47_3942:
	s_and_b32 vcc_lo, exec_lo, s0
	s_cbranch_vccz .LBB47_3981
; %bb.3943:
	s_cmp_lt_i32 s6, 5
	s_mov_b32 s0, -1
	s_cbranch_scc1 .LBB47_3964
; %bb.3944:
	s_cmp_lt_i32 s6, 8
	s_cbranch_scc1 .LBB47_3954
; %bb.3945:
	s_cmp_lt_i32 s6, 9
	s_cbranch_scc1 .LBB47_3951
; %bb.3946:
	s_cmp_gt_i32 s6, 9
	s_cbranch_scc0 .LBB47_3948
; %bb.3947:
	s_wait_xcnt 0x0
	v_bfe_i32 v4, v1, 0, 8
	v_mov_b32_e32 v6, 0
	s_mov_b32 s0, 0
	s_delay_alu instid0(VALU_DEP_2) | instskip(NEXT) | instid1(VALU_DEP_2)
	v_bfe_i32 v4, v4, 0, 16
	v_mov_b32_e32 v7, v6
	s_delay_alu instid0(VALU_DEP_2)
	v_cvt_f64_i32_e32 v[4:5], v4
	global_store_b128 v[2:3], v[4:7], off
.LBB47_3948:
	s_and_not1_b32 vcc_lo, exec_lo, s0
	s_cbranch_vccnz .LBB47_3950
; %bb.3949:
	s_wait_xcnt 0x0
	v_bfe_i32 v4, v1, 0, 8
	v_mov_b32_e32 v5, 0
	s_delay_alu instid0(VALU_DEP_2) | instskip(NEXT) | instid1(VALU_DEP_1)
	v_bfe_i32 v4, v4, 0, 16
	v_cvt_f32_i32_e32 v4, v4
	global_store_b64 v[2:3], v[4:5], off
.LBB47_3950:
	s_mov_b32 s0, 0
.LBB47_3951:
	s_delay_alu instid0(SALU_CYCLE_1)
	s_and_not1_b32 vcc_lo, exec_lo, s0
	s_cbranch_vccnz .LBB47_3953
; %bb.3952:
	s_wait_xcnt 0x0
	v_bfe_i32 v4, v1, 0, 8
	s_delay_alu instid0(VALU_DEP_1) | instskip(NEXT) | instid1(VALU_DEP_1)
	v_cvt_f16_i16_e32 v4, v4
	v_and_b32_e32 v4, 0xffff, v4
	global_store_b32 v[2:3], v4, off
.LBB47_3953:
	s_mov_b32 s0, 0
.LBB47_3954:
	s_delay_alu instid0(SALU_CYCLE_1)
	s_and_not1_b32 vcc_lo, exec_lo, s0
	s_cbranch_vccnz .LBB47_3963
; %bb.3955:
	s_cmp_lt_i32 s6, 6
	s_mov_b32 s0, -1
	s_cbranch_scc1 .LBB47_3961
; %bb.3956:
	s_cmp_gt_i32 s6, 6
	s_cbranch_scc0 .LBB47_3958
; %bb.3957:
	s_wait_xcnt 0x0
	v_bfe_i32 v4, v1, 0, 8
	s_mov_b32 s0, 0
	s_delay_alu instid0(VALU_DEP_1) | instskip(NEXT) | instid1(VALU_DEP_1)
	v_bfe_i32 v4, v4, 0, 16
	v_cvt_f64_i32_e32 v[4:5], v4
	global_store_b64 v[2:3], v[4:5], off
.LBB47_3958:
	s_and_not1_b32 vcc_lo, exec_lo, s0
	s_cbranch_vccnz .LBB47_3960
; %bb.3959:
	s_wait_xcnt 0x0
	v_bfe_i32 v4, v1, 0, 8
	s_delay_alu instid0(VALU_DEP_1) | instskip(NEXT) | instid1(VALU_DEP_1)
	v_bfe_i32 v4, v4, 0, 16
	v_cvt_f32_i32_e32 v4, v4
	global_store_b32 v[2:3], v4, off
.LBB47_3960:
	s_mov_b32 s0, 0
.LBB47_3961:
	s_delay_alu instid0(SALU_CYCLE_1)
	s_and_not1_b32 vcc_lo, exec_lo, s0
	s_cbranch_vccnz .LBB47_3963
; %bb.3962:
	s_wait_xcnt 0x0
	v_bfe_i32 v4, v1, 0, 8
	s_delay_alu instid0(VALU_DEP_1)
	v_cvt_f16_i16_e32 v4, v4
	global_store_b16 v[2:3], v4, off
.LBB47_3963:
	s_mov_b32 s0, 0
.LBB47_3964:
	s_delay_alu instid0(SALU_CYCLE_1)
	s_and_not1_b32 vcc_lo, exec_lo, s0
	s_cbranch_vccnz .LBB47_3980
; %bb.3965:
	s_cmp_lt_i32 s6, 2
	s_mov_b32 s0, -1
	s_cbranch_scc1 .LBB47_3975
; %bb.3966:
	s_cmp_lt_i32 s6, 3
	s_cbranch_scc1 .LBB47_3972
; %bb.3967:
	s_cmp_gt_i32 s6, 3
	s_cbranch_scc0 .LBB47_3969
; %bb.3968:
	s_wait_xcnt 0x0
	v_bfe_i32 v4, v1, 0, 8
	s_mov_b32 s0, 0
	s_delay_alu instid0(VALU_DEP_1)
	v_ashrrev_i32_e32 v5, 31, v4
	global_store_b64 v[2:3], v[4:5], off
.LBB47_3969:
	s_and_not1_b32 vcc_lo, exec_lo, s0
	s_cbranch_vccnz .LBB47_3971
; %bb.3970:
	s_wait_xcnt 0x0
	v_bfe_i32 v4, v1, 0, 8
	global_store_b32 v[2:3], v4, off
.LBB47_3971:
	s_mov_b32 s0, 0
.LBB47_3972:
	s_delay_alu instid0(SALU_CYCLE_1)
	s_and_not1_b32 vcc_lo, exec_lo, s0
	s_cbranch_vccnz .LBB47_3974
; %bb.3973:
	s_wait_xcnt 0x0
	v_bfe_i32 v4, v1, 0, 8
	global_store_b16 v[2:3], v4, off
.LBB47_3974:
	s_mov_b32 s0, 0
.LBB47_3975:
	s_delay_alu instid0(SALU_CYCLE_1)
	s_and_not1_b32 vcc_lo, exec_lo, s0
	s_cbranch_vccnz .LBB47_3980
; %bb.3976:
	s_cmp_gt_i32 s6, 0
	s_mov_b32 s0, -1
	s_cbranch_scc0 .LBB47_3978
; %bb.3977:
	s_mov_b32 s0, 0
	global_store_b8 v[2:3], v1, off
.LBB47_3978:
	s_and_not1_b32 vcc_lo, exec_lo, s0
	s_cbranch_vccnz .LBB47_3980
; %bb.3979:
	global_store_b8 v[2:3], v1, off
.LBB47_3980:
	s_mov_b32 s8, -1
.LBB47_3981:
	s_delay_alu instid0(SALU_CYCLE_1)
	s_and_not1_b32 vcc_lo, exec_lo, s8
	s_cbranch_vccnz .LBB47_4058
; %bb.3982:
	s_wait_xcnt 0x0
	v_mov_b32_e32 v1, 0
	v_mul_lo_u16 v4, v20, s2
	v_mul_lo_u16 v5, v14, s3
	s_cmp_lt_i32 s6, 11
	s_delay_alu instid0(VALU_DEP_3) | instskip(NEXT) | instid1(VALU_DEP_2)
	v_add_nc_u64_e32 v[2:3], s[4:5], v[0:1]
	v_mad_u16 v1, v5, v10, v4
	s_cbranch_scc1 .LBB47_4103
; %bb.3983:
	s_mov_b32 s3, -1
	s_mov_b32 s2, 0
	s_cmp_gt_i32 s6, 25
	s_mov_b32 s0, 0
	s_cbranch_scc0 .LBB47_4016
; %bb.3984:
	s_cmp_gt_i32 s6, 28
	s_cbranch_scc0 .LBB47_4000
; %bb.3985:
	s_cmp_gt_i32 s6, 43
	s_cbranch_scc0 .LBB47_3996
; %bb.3986:
	s_cmp_gt_i32 s6, 45
	s_cbranch_scc0 .LBB47_3990
; %bb.3987:
	s_cmp_eq_u32 s6, 46
	s_mov_b32 s0, -1
	s_cbranch_scc0 .LBB47_3989
; %bb.3988:
	v_bfe_i32 v0, v1, 0, 8
	s_mov_b32 s0, 0
	s_delay_alu instid0(VALU_DEP_1) | instskip(NEXT) | instid1(VALU_DEP_1)
	v_bfe_i32 v0, v0, 0, 16
	v_cvt_f32_i32_e32 v0, v0
	s_delay_alu instid0(VALU_DEP_1) | instskip(NEXT) | instid1(VALU_DEP_1)
	v_bfe_u32 v4, v0, 16, 1
	v_add3_u32 v0, v0, v4, 0x7fff
	s_delay_alu instid0(VALU_DEP_1)
	v_lshrrev_b32_e32 v0, 16, v0
	global_store_b32 v[2:3], v0, off
.LBB47_3989:
	s_mov_b32 s3, 0
.LBB47_3990:
	s_delay_alu instid0(SALU_CYCLE_1)
	s_and_b32 vcc_lo, exec_lo, s3
	s_cbranch_vccz .LBB47_3995
; %bb.3991:
	s_cmp_eq_u32 s6, 44
	s_mov_b32 s0, -1
	s_cbranch_scc0 .LBB47_3995
; %bb.3992:
	s_wait_xcnt 0x0
	v_bfe_i32 v0, v1, 0, 8
	v_mov_b32_e32 v4, 0xff
	s_mov_b32 s3, exec_lo
	s_delay_alu instid0(VALU_DEP_2) | instskip(NEXT) | instid1(VALU_DEP_1)
	v_bfe_i32 v0, v0, 0, 16
	v_cvt_f32_i32_e32 v0, v0
	s_delay_alu instid0(VALU_DEP_1) | instskip(NEXT) | instid1(VALU_DEP_1)
	v_bfe_u32 v5, v0, 23, 8
	v_cmpx_ne_u32_e32 0xff, v5
	s_cbranch_execz .LBB47_3994
; %bb.3993:
	v_and_b32_e32 v4, 0x400000, v0
	v_and_or_b32 v5, 0x3fffff, v0, v5
	v_lshrrev_b32_e32 v0, 23, v0
	s_delay_alu instid0(VALU_DEP_3) | instskip(NEXT) | instid1(VALU_DEP_3)
	v_cmp_ne_u32_e32 vcc_lo, 0, v4
	v_cmp_ne_u32_e64 s0, 0, v5
	s_and_b32 s0, vcc_lo, s0
	s_delay_alu instid0(SALU_CYCLE_1) | instskip(NEXT) | instid1(VALU_DEP_1)
	v_cndmask_b32_e64 v4, 0, 1, s0
	v_add_nc_u32_e32 v4, v0, v4
.LBB47_3994:
	s_or_b32 exec_lo, exec_lo, s3
	s_mov_b32 s0, 0
	global_store_b8 v[2:3], v4, off
.LBB47_3995:
	s_mov_b32 s3, 0
.LBB47_3996:
	s_delay_alu instid0(SALU_CYCLE_1)
	s_and_b32 vcc_lo, exec_lo, s3
	s_cbranch_vccz .LBB47_3999
; %bb.3997:
	s_cmp_eq_u32 s6, 29
	s_mov_b32 s0, -1
	s_cbranch_scc0 .LBB47_3999
; %bb.3998:
	s_wait_xcnt 0x0
	v_bfe_i32 v4, v1, 0, 8
	s_mov_b32 s0, 0
	s_delay_alu instid0(VALU_DEP_1)
	v_ashrrev_i32_e32 v5, 31, v4
	global_store_b64 v[2:3], v[4:5], off
.LBB47_3999:
	s_mov_b32 s3, 0
.LBB47_4000:
	s_delay_alu instid0(SALU_CYCLE_1)
	s_and_b32 vcc_lo, exec_lo, s3
	s_cbranch_vccz .LBB47_4015
; %bb.4001:
	s_cmp_lt_i32 s6, 27
	s_mov_b32 s3, -1
	s_cbranch_scc1 .LBB47_4007
; %bb.4002:
	s_cmp_gt_i32 s6, 27
	s_cbranch_scc0 .LBB47_4004
; %bb.4003:
	s_wait_xcnt 0x0
	v_bfe_i32 v0, v1, 0, 8
	s_mov_b32 s3, 0
	global_store_b32 v[2:3], v0, off
.LBB47_4004:
	s_and_not1_b32 vcc_lo, exec_lo, s3
	s_cbranch_vccnz .LBB47_4006
; %bb.4005:
	s_wait_xcnt 0x0
	v_bfe_i32 v0, v1, 0, 8
	global_store_b16 v[2:3], v0, off
.LBB47_4006:
	s_mov_b32 s3, 0
.LBB47_4007:
	s_delay_alu instid0(SALU_CYCLE_1)
	s_and_not1_b32 vcc_lo, exec_lo, s3
	s_cbranch_vccnz .LBB47_4015
; %bb.4008:
	s_wait_xcnt 0x0
	v_bfe_i32 v0, v1, 0, 8
	v_mov_b32_e32 v5, 0x80
	s_mov_b32 s3, exec_lo
	s_delay_alu instid0(VALU_DEP_2) | instskip(NEXT) | instid1(VALU_DEP_1)
	v_bfe_i32 v0, v0, 0, 16
	v_cvt_f32_i32_e32 v0, v0
	s_delay_alu instid0(VALU_DEP_1) | instskip(NEXT) | instid1(VALU_DEP_1)
	v_and_b32_e32 v4, 0x7fffffff, v0
	v_cmpx_gt_u32_e32 0x43800000, v4
	s_cbranch_execz .LBB47_4014
; %bb.4009:
	v_cmp_lt_u32_e32 vcc_lo, 0x3bffffff, v4
	s_mov_b32 s4, 0
                                        ; implicit-def: $vgpr4
	s_and_saveexec_b32 s5, vcc_lo
	s_delay_alu instid0(SALU_CYCLE_1)
	s_xor_b32 s5, exec_lo, s5
	s_cbranch_execz .LBB47_4120
; %bb.4010:
	v_bfe_u32 v4, v0, 20, 1
	s_mov_b32 s4, exec_lo
	s_delay_alu instid0(VALU_DEP_1) | instskip(NEXT) | instid1(VALU_DEP_1)
	v_add3_u32 v4, v0, v4, 0x487ffff
	v_lshrrev_b32_e32 v4, 20, v4
	s_and_not1_saveexec_b32 s5, s5
	s_cbranch_execnz .LBB47_4121
.LBB47_4011:
	s_or_b32 exec_lo, exec_lo, s5
	v_mov_b32_e32 v5, 0
	s_and_saveexec_b32 s5, s4
.LBB47_4012:
	v_lshrrev_b32_e32 v0, 24, v0
	s_delay_alu instid0(VALU_DEP_1)
	v_and_or_b32 v5, 0x80, v0, v4
.LBB47_4013:
	s_or_b32 exec_lo, exec_lo, s5
.LBB47_4014:
	s_delay_alu instid0(SALU_CYCLE_1)
	s_or_b32 exec_lo, exec_lo, s3
	global_store_b8 v[2:3], v5, off
.LBB47_4015:
	s_mov_b32 s3, 0
.LBB47_4016:
	s_delay_alu instid0(SALU_CYCLE_1)
	s_and_b32 vcc_lo, exec_lo, s3
	s_cbranch_vccz .LBB47_4056
; %bb.4017:
	s_cmp_gt_i32 s6, 22
	s_mov_b32 s2, -1
	s_cbranch_scc0 .LBB47_4049
; %bb.4018:
	s_cmp_lt_i32 s6, 24
	s_cbranch_scc1 .LBB47_4038
; %bb.4019:
	s_cmp_gt_i32 s6, 24
	s_cbranch_scc0 .LBB47_4027
; %bb.4020:
	s_wait_xcnt 0x0
	v_bfe_i32 v0, v1, 0, 8
	v_mov_b32_e32 v5, 0x80
	s_mov_b32 s2, exec_lo
	s_delay_alu instid0(VALU_DEP_2) | instskip(NEXT) | instid1(VALU_DEP_1)
	v_bfe_i32 v0, v0, 0, 16
	v_cvt_f32_i32_e32 v0, v0
	s_delay_alu instid0(VALU_DEP_1) | instskip(NEXT) | instid1(VALU_DEP_1)
	v_and_b32_e32 v4, 0x7fffffff, v0
	v_cmpx_gt_u32_e32 0x47800000, v4
	s_cbranch_execz .LBB47_4026
; %bb.4021:
	v_cmp_lt_u32_e32 vcc_lo, 0x37ffffff, v4
	s_mov_b32 s3, 0
                                        ; implicit-def: $vgpr4
	s_and_saveexec_b32 s4, vcc_lo
	s_delay_alu instid0(SALU_CYCLE_1)
	s_xor_b32 s4, exec_lo, s4
	s_cbranch_execz .LBB47_4123
; %bb.4022:
	v_bfe_u32 v4, v0, 21, 1
	s_mov_b32 s3, exec_lo
	s_delay_alu instid0(VALU_DEP_1) | instskip(NEXT) | instid1(VALU_DEP_1)
	v_add3_u32 v4, v0, v4, 0x88fffff
	v_lshrrev_b32_e32 v4, 21, v4
	s_and_not1_saveexec_b32 s4, s4
	s_cbranch_execnz .LBB47_4124
.LBB47_4023:
	s_or_b32 exec_lo, exec_lo, s4
	v_mov_b32_e32 v5, 0
	s_and_saveexec_b32 s4, s3
.LBB47_4024:
	v_lshrrev_b32_e32 v0, 24, v0
	s_delay_alu instid0(VALU_DEP_1)
	v_and_or_b32 v5, 0x80, v0, v4
.LBB47_4025:
	s_or_b32 exec_lo, exec_lo, s4
.LBB47_4026:
	s_delay_alu instid0(SALU_CYCLE_1)
	s_or_b32 exec_lo, exec_lo, s2
	s_mov_b32 s2, 0
	global_store_b8 v[2:3], v5, off
.LBB47_4027:
	s_and_b32 vcc_lo, exec_lo, s2
	s_cbranch_vccz .LBB47_4037
; %bb.4028:
	s_wait_xcnt 0x0
	v_bfe_i32 v0, v1, 0, 8
	s_mov_b32 s2, exec_lo
                                        ; implicit-def: $vgpr4
	s_delay_alu instid0(VALU_DEP_1) | instskip(NEXT) | instid1(VALU_DEP_1)
	v_bfe_i32 v0, v0, 0, 16
	v_cvt_f32_i32_e32 v0, v0
	s_delay_alu instid0(VALU_DEP_1) | instskip(NEXT) | instid1(VALU_DEP_1)
	v_and_b32_e32 v5, 0x7fffffff, v0
	v_cmpx_gt_u32_e32 0x43f00000, v5
	s_xor_b32 s2, exec_lo, s2
	s_cbranch_execz .LBB47_4034
; %bb.4029:
	s_mov_b32 s3, exec_lo
                                        ; implicit-def: $vgpr4
	v_cmpx_lt_u32_e32 0x3c7fffff, v5
	s_xor_b32 s3, exec_lo, s3
; %bb.4030:
	v_bfe_u32 v4, v0, 20, 1
	s_delay_alu instid0(VALU_DEP_1) | instskip(NEXT) | instid1(VALU_DEP_1)
	v_add3_u32 v4, v0, v4, 0x407ffff
	v_and_b32_e32 v5, 0xff00000, v4
	v_lshrrev_b32_e32 v4, 20, v4
	s_delay_alu instid0(VALU_DEP_2) | instskip(NEXT) | instid1(VALU_DEP_2)
	v_cmp_ne_u32_e32 vcc_lo, 0x7f00000, v5
	v_cndmask_b32_e32 v4, 0x7e, v4, vcc_lo
; %bb.4031:
	s_and_not1_saveexec_b32 s3, s3
; %bb.4032:
	v_add_f32_e64 v4, 0x46800000, |v0|
; %bb.4033:
	s_or_b32 exec_lo, exec_lo, s3
                                        ; implicit-def: $vgpr5
.LBB47_4034:
	s_and_not1_saveexec_b32 s2, s2
; %bb.4035:
	v_mov_b32_e32 v4, 0x7f
	v_cmp_lt_u32_e32 vcc_lo, 0x7f800000, v5
	s_delay_alu instid0(VALU_DEP_2)
	v_cndmask_b32_e32 v4, 0x7e, v4, vcc_lo
; %bb.4036:
	s_or_b32 exec_lo, exec_lo, s2
	v_lshrrev_b32_e32 v0, 24, v0
	s_delay_alu instid0(VALU_DEP_1)
	v_and_or_b32 v0, 0x80, v0, v4
	global_store_b8 v[2:3], v0, off
.LBB47_4037:
	s_mov_b32 s2, 0
.LBB47_4038:
	s_delay_alu instid0(SALU_CYCLE_1)
	s_and_not1_b32 vcc_lo, exec_lo, s2
	s_cbranch_vccnz .LBB47_4048
; %bb.4039:
	s_wait_xcnt 0x0
	v_bfe_i32 v0, v1, 0, 8
	s_mov_b32 s2, exec_lo
                                        ; implicit-def: $vgpr4
	s_delay_alu instid0(VALU_DEP_1) | instskip(NEXT) | instid1(VALU_DEP_1)
	v_bfe_i32 v0, v0, 0, 16
	v_cvt_f32_i32_e32 v0, v0
	s_delay_alu instid0(VALU_DEP_1) | instskip(NEXT) | instid1(VALU_DEP_1)
	v_and_b32_e32 v5, 0x7fffffff, v0
	v_cmpx_gt_u32_e32 0x47800000, v5
	s_xor_b32 s2, exec_lo, s2
	s_cbranch_execz .LBB47_4045
; %bb.4040:
	s_mov_b32 s3, exec_lo
                                        ; implicit-def: $vgpr4
	v_cmpx_lt_u32_e32 0x387fffff, v5
	s_xor_b32 s3, exec_lo, s3
; %bb.4041:
	v_bfe_u32 v4, v0, 21, 1
	s_delay_alu instid0(VALU_DEP_1) | instskip(NEXT) | instid1(VALU_DEP_1)
	v_add3_u32 v4, v0, v4, 0x80fffff
	v_lshrrev_b32_e32 v4, 21, v4
; %bb.4042:
	s_and_not1_saveexec_b32 s3, s3
; %bb.4043:
	v_add_f32_e64 v4, 0x43000000, |v0|
; %bb.4044:
	s_or_b32 exec_lo, exec_lo, s3
                                        ; implicit-def: $vgpr5
.LBB47_4045:
	s_and_not1_saveexec_b32 s2, s2
; %bb.4046:
	v_mov_b32_e32 v4, 0x7f
	v_cmp_lt_u32_e32 vcc_lo, 0x7f800000, v5
	s_delay_alu instid0(VALU_DEP_2)
	v_cndmask_b32_e32 v4, 0x7c, v4, vcc_lo
; %bb.4047:
	s_or_b32 exec_lo, exec_lo, s2
	v_lshrrev_b32_e32 v0, 24, v0
	s_delay_alu instid0(VALU_DEP_1)
	v_and_or_b32 v0, 0x80, v0, v4
	global_store_b8 v[2:3], v0, off
.LBB47_4048:
	s_mov_b32 s2, 0
.LBB47_4049:
	s_delay_alu instid0(SALU_CYCLE_1)
	s_and_not1_b32 vcc_lo, exec_lo, s2
	s_mov_b32 s2, 0
	s_cbranch_vccnz .LBB47_4056
; %bb.4050:
	s_cmp_gt_i32 s6, 14
	s_mov_b32 s2, -1
	s_cbranch_scc0 .LBB47_4054
; %bb.4051:
	s_cmp_eq_u32 s6, 15
	s_mov_b32 s0, -1
	s_cbranch_scc0 .LBB47_4053
; %bb.4052:
	s_wait_xcnt 0x0
	v_bfe_i32 v0, v1, 0, 8
	s_mov_b32 s0, 0
	s_delay_alu instid0(VALU_DEP_1) | instskip(NEXT) | instid1(VALU_DEP_1)
	v_bfe_i32 v0, v0, 0, 16
	v_cvt_f32_i32_e32 v0, v0
	s_delay_alu instid0(VALU_DEP_1) | instskip(NEXT) | instid1(VALU_DEP_1)
	v_bfe_u32 v4, v0, 16, 1
	v_add3_u32 v0, v0, v4, 0x7fff
	global_store_d16_hi_b16 v[2:3], v0, off
.LBB47_4053:
	s_mov_b32 s2, 0
.LBB47_4054:
	s_delay_alu instid0(SALU_CYCLE_1)
	s_and_b32 vcc_lo, exec_lo, s2
	s_mov_b32 s2, 0
	s_cbranch_vccz .LBB47_4056
; %bb.4055:
	s_cmp_lg_u32 s6, 11
	s_mov_b32 s2, -1
	s_cselect_b32 s0, -1, 0
.LBB47_4056:
	s_delay_alu instid0(SALU_CYCLE_1)
	s_and_b32 vcc_lo, exec_lo, s0
	s_cbranch_vccnz .LBB47_4122
.LBB47_4057:
	s_mov_b32 s0, 0
	s_branch .LBB47_4059
.LBB47_4058:
	s_mov_b32 s0, 0
	s_wait_xcnt 0x0
	s_mov_b32 s2, 0
                                        ; implicit-def: $vgpr2_vgpr3
                                        ; implicit-def: $sgpr1
                                        ; implicit-def: $vgpr1
.LBB47_4059:
	s_and_not1_b32 s3, s10, exec_lo
	s_and_b32 s4, s12, exec_lo
	s_and_b32 s0, s0, exec_lo
	;; [unrolled: 1-line block ×3, first 2 shown]
	s_or_b32 s10, s3, s4
.LBB47_4060:
	s_wait_xcnt 0x0
	s_or_b32 exec_lo, exec_lo, s11
	s_and_saveexec_b32 s2, s10
	s_cbranch_execz .LBB47_4063
; %bb.4061:
	; divergent unreachable
	s_or_b32 exec_lo, exec_lo, s2
	s_and_saveexec_b32 s2, s39
	s_delay_alu instid0(SALU_CYCLE_1)
	s_xor_b32 s2, exec_lo, s2
	s_cbranch_execnz .LBB47_4064
.LBB47_4062:
	s_or_b32 exec_lo, exec_lo, s2
	s_and_saveexec_b32 s2, s0
	s_cbranch_execnz .LBB47_4065
	s_branch .LBB47_4102
.LBB47_4063:
	s_or_b32 exec_lo, exec_lo, s2
	s_and_saveexec_b32 s2, s39
	s_delay_alu instid0(SALU_CYCLE_1)
	s_xor_b32 s2, exec_lo, s2
	s_cbranch_execz .LBB47_4062
.LBB47_4064:
	s_wait_loadcnt 0x0
	v_and_b32_e32 v0, 0xff, v1
	s_delay_alu instid0(VALU_DEP_1)
	v_cmp_ne_u16_e32 vcc_lo, 0, v0
	v_cndmask_b32_e64 v0, 0, 1, vcc_lo
	global_store_b8 v[2:3], v0, off
	s_wait_xcnt 0x0
	s_or_b32 exec_lo, exec_lo, s2
	s_and_saveexec_b32 s2, s0
	s_cbranch_execz .LBB47_4102
.LBB47_4065:
	s_sext_i32_i16 s2, s1
	s_mov_b32 s0, -1
	s_cmp_lt_i32 s2, 5
	s_cbranch_scc1 .LBB47_4086
; %bb.4066:
	s_cmp_lt_i32 s2, 8
	s_cbranch_scc1 .LBB47_4076
; %bb.4067:
	s_cmp_lt_i32 s2, 9
	s_cbranch_scc1 .LBB47_4073
; %bb.4068:
	s_cmp_gt_i32 s2, 9
	s_cbranch_scc0 .LBB47_4070
; %bb.4069:
	s_wait_loadcnt 0x0
	v_bfe_i32 v0, v1, 0, 8
	v_mov_b32_e32 v6, 0
	s_mov_b32 s0, 0
	s_delay_alu instid0(VALU_DEP_2) | instskip(NEXT) | instid1(VALU_DEP_2)
	v_bfe_i32 v0, v0, 0, 16
	v_mov_b32_e32 v7, v6
	s_delay_alu instid0(VALU_DEP_2)
	v_cvt_f64_i32_e32 v[4:5], v0
	global_store_b128 v[2:3], v[4:7], off
.LBB47_4070:
	s_and_not1_b32 vcc_lo, exec_lo, s0
	s_cbranch_vccnz .LBB47_4072
; %bb.4071:
	s_wait_loadcnt 0x0
	v_bfe_i32 v0, v1, 0, 8
	s_wait_xcnt 0x0
	v_mov_b32_e32 v5, 0
	s_delay_alu instid0(VALU_DEP_2) | instskip(NEXT) | instid1(VALU_DEP_1)
	v_bfe_i32 v0, v0, 0, 16
	v_cvt_f32_i32_e32 v4, v0
	global_store_b64 v[2:3], v[4:5], off
.LBB47_4072:
	s_mov_b32 s0, 0
.LBB47_4073:
	s_delay_alu instid0(SALU_CYCLE_1)
	s_and_not1_b32 vcc_lo, exec_lo, s0
	s_cbranch_vccnz .LBB47_4075
; %bb.4074:
	s_wait_loadcnt 0x0
	v_bfe_i32 v0, v1, 0, 8
	s_delay_alu instid0(VALU_DEP_1) | instskip(NEXT) | instid1(VALU_DEP_1)
	v_cvt_f16_i16_e32 v0, v0
	v_and_b32_e32 v0, 0xffff, v0
	global_store_b32 v[2:3], v0, off
.LBB47_4075:
	s_mov_b32 s0, 0
.LBB47_4076:
	s_delay_alu instid0(SALU_CYCLE_1)
	s_and_not1_b32 vcc_lo, exec_lo, s0
	s_cbranch_vccnz .LBB47_4085
; %bb.4077:
	s_sext_i32_i16 s2, s1
	s_mov_b32 s0, -1
	s_cmp_lt_i32 s2, 6
	s_cbranch_scc1 .LBB47_4083
; %bb.4078:
	s_cmp_gt_i32 s2, 6
	s_cbranch_scc0 .LBB47_4080
; %bb.4079:
	s_wait_loadcnt 0x0
	v_bfe_i32 v0, v1, 0, 8
	s_mov_b32 s0, 0
	s_delay_alu instid0(VALU_DEP_1) | instskip(NEXT) | instid1(VALU_DEP_1)
	v_bfe_i32 v0, v0, 0, 16
	v_cvt_f64_i32_e32 v[4:5], v0
	global_store_b64 v[2:3], v[4:5], off
.LBB47_4080:
	s_and_not1_b32 vcc_lo, exec_lo, s0
	s_cbranch_vccnz .LBB47_4082
; %bb.4081:
	s_wait_loadcnt 0x0
	v_bfe_i32 v0, v1, 0, 8
	s_delay_alu instid0(VALU_DEP_1) | instskip(NEXT) | instid1(VALU_DEP_1)
	v_bfe_i32 v0, v0, 0, 16
	v_cvt_f32_i32_e32 v0, v0
	global_store_b32 v[2:3], v0, off
.LBB47_4082:
	s_mov_b32 s0, 0
.LBB47_4083:
	s_delay_alu instid0(SALU_CYCLE_1)
	s_and_not1_b32 vcc_lo, exec_lo, s0
	s_cbranch_vccnz .LBB47_4085
; %bb.4084:
	s_wait_loadcnt 0x0
	v_bfe_i32 v0, v1, 0, 8
	s_delay_alu instid0(VALU_DEP_1)
	v_cvt_f16_i16_e32 v0, v0
	global_store_b16 v[2:3], v0, off
.LBB47_4085:
	s_mov_b32 s0, 0
.LBB47_4086:
	s_delay_alu instid0(SALU_CYCLE_1)
	s_and_not1_b32 vcc_lo, exec_lo, s0
	s_cbranch_vccnz .LBB47_4102
; %bb.4087:
	s_sext_i32_i16 s2, s1
	s_mov_b32 s0, -1
	s_cmp_lt_i32 s2, 2
	s_cbranch_scc1 .LBB47_4097
; %bb.4088:
	s_cmp_lt_i32 s2, 3
	s_cbranch_scc1 .LBB47_4094
; %bb.4089:
	s_cmp_gt_i32 s2, 3
	s_cbranch_scc0 .LBB47_4091
; %bb.4090:
	s_wait_loadcnt 0x0
	v_bfe_i32 v4, v1, 0, 8
	s_mov_b32 s0, 0
	s_delay_alu instid0(VALU_DEP_1)
	v_ashrrev_i32_e32 v5, 31, v4
	global_store_b64 v[2:3], v[4:5], off
.LBB47_4091:
	s_and_not1_b32 vcc_lo, exec_lo, s0
	s_cbranch_vccnz .LBB47_4093
; %bb.4092:
	s_wait_loadcnt 0x0
	v_bfe_i32 v0, v1, 0, 8
	global_store_b32 v[2:3], v0, off
.LBB47_4093:
	s_mov_b32 s0, 0
.LBB47_4094:
	s_delay_alu instid0(SALU_CYCLE_1)
	s_and_not1_b32 vcc_lo, exec_lo, s0
	s_cbranch_vccnz .LBB47_4096
; %bb.4095:
	s_wait_loadcnt 0x0
	v_bfe_i32 v0, v1, 0, 8
	global_store_b16 v[2:3], v0, off
.LBB47_4096:
	s_mov_b32 s0, 0
.LBB47_4097:
	s_delay_alu instid0(SALU_CYCLE_1)
	s_and_not1_b32 vcc_lo, exec_lo, s0
	s_cbranch_vccnz .LBB47_4102
; %bb.4098:
	s_sext_i32_i16 s0, s1
	s_delay_alu instid0(SALU_CYCLE_1)
	s_cmp_gt_i32 s0, 0
	s_mov_b32 s0, -1
	s_cbranch_scc0 .LBB47_4100
; %bb.4099:
	s_mov_b32 s0, 0
	s_wait_loadcnt 0x0
	global_store_b8 v[2:3], v1, off
.LBB47_4100:
	s_and_not1_b32 vcc_lo, exec_lo, s0
	s_cbranch_vccnz .LBB47_4102
; %bb.4101:
	s_wait_loadcnt 0x0
	global_store_b8 v[2:3], v1, off
	s_endpgm
.LBB47_4102:
	s_endpgm
.LBB47_4103:
	s_mov_b32 s2, 0
	s_mov_b32 s0, -1
	s_branch .LBB47_4059
.LBB47_4104:
	s_or_b32 s12, s12, exec_lo
	s_trap 2
	s_cbranch_execz .LBB47_3573
	s_branch .LBB47_3574
.LBB47_4105:
	s_and_not1_saveexec_b32 s13, s13
	s_cbranch_execz .LBB47_3653
.LBB47_4106:
	v_add_f32_e64 v5, 0x46000000, |v3|
	s_and_not1_b32 s9, s9, exec_lo
	s_delay_alu instid0(VALU_DEP_1) | instskip(NEXT) | instid1(VALU_DEP_1)
	v_and_b32_e32 v5, 0xff, v5
	v_cmp_ne_u32_e32 vcc_lo, 0, v5
	s_and_b32 s14, vcc_lo, exec_lo
	s_delay_alu instid0(SALU_CYCLE_1)
	s_or_b32 s9, s9, s14
	s_or_b32 exec_lo, exec_lo, s13
	v_mov_b32_e32 v8, 0
	s_and_saveexec_b32 s13, s9
	s_cbranch_execnz .LBB47_3654
	s_branch .LBB47_3655
.LBB47_4107:
	s_or_b32 s12, s12, exec_lo
	s_trap 2
	s_cbranch_execz .LBB47_3701
	s_branch .LBB47_3702
.LBB47_4108:
	s_and_not1_saveexec_b32 s9, s9
	s_cbranch_execz .LBB47_3666
.LBB47_4109:
	v_add_f32_e64 v5, 0x42800000, |v3|
	s_and_not1_b32 s8, s8, exec_lo
	s_delay_alu instid0(VALU_DEP_1) | instskip(NEXT) | instid1(VALU_DEP_1)
	v_and_b32_e32 v5, 0xff, v5
	v_cmp_ne_u32_e32 vcc_lo, 0, v5
	s_and_b32 s13, vcc_lo, exec_lo
	s_delay_alu instid0(SALU_CYCLE_1)
	s_or_b32 s8, s8, s13
	s_or_b32 exec_lo, exec_lo, s9
	v_mov_b32_e32 v8, 0
	s_and_saveexec_b32 s9, s8
	s_cbranch_execnz .LBB47_3667
	s_branch .LBB47_3668
.LBB47_4110:
	s_and_not1_saveexec_b32 s13, s13
	s_cbranch_execz .LBB47_3772
.LBB47_4111:
	v_add_f32_e64 v6, 0x46000000, |v3|
	s_and_not1_b32 s9, s9, exec_lo
	s_delay_alu instid0(VALU_DEP_1) | instskip(NEXT) | instid1(VALU_DEP_1)
	v_and_b32_e32 v6, 0xff, v6
	v_cmp_ne_u32_e32 vcc_lo, 0, v6
	s_and_b32 s14, vcc_lo, exec_lo
	s_delay_alu instid0(SALU_CYCLE_1)
	s_or_b32 s9, s9, s14
	s_or_b32 exec_lo, exec_lo, s13
	v_mov_b32_e32 v7, 0
	s_and_saveexec_b32 s13, s9
	s_cbranch_execnz .LBB47_3773
	s_branch .LBB47_3774
.LBB47_4112:
	s_or_b32 s12, s12, exec_lo
	s_trap 2
	s_cbranch_execz .LBB47_3820
	s_branch .LBB47_3821
.LBB47_4113:
	s_and_not1_saveexec_b32 s9, s9
	s_cbranch_execz .LBB47_3785
.LBB47_4114:
	v_add_f32_e64 v6, 0x42800000, |v3|
	s_and_not1_b32 s8, s8, exec_lo
	s_delay_alu instid0(VALU_DEP_1) | instskip(NEXT) | instid1(VALU_DEP_1)
	v_and_b32_e32 v6, 0xff, v6
	v_cmp_ne_u32_e32 vcc_lo, 0, v6
	s_and_b32 s13, vcc_lo, exec_lo
	s_delay_alu instid0(SALU_CYCLE_1)
	s_or_b32 s8, s8, s13
	s_or_b32 exec_lo, exec_lo, s9
	v_mov_b32_e32 v7, 0
	s_and_saveexec_b32 s9, s8
	s_cbranch_execnz .LBB47_3786
	s_branch .LBB47_3787
.LBB47_4115:
	s_and_not1_saveexec_b32 s13, s13
	s_cbranch_execz .LBB47_3891
.LBB47_4116:
	v_add_f32_e64 v5, 0x46000000, |v4|
	s_and_not1_b32 s9, s9, exec_lo
	s_delay_alu instid0(VALU_DEP_1) | instskip(NEXT) | instid1(VALU_DEP_1)
	v_and_b32_e32 v5, 0xff, v5
	v_cmp_ne_u32_e32 vcc_lo, 0, v5
	s_and_b32 s14, vcc_lo, exec_lo
	s_delay_alu instid0(SALU_CYCLE_1)
	s_or_b32 s9, s9, s14
	s_or_b32 exec_lo, exec_lo, s13
	v_mov_b32_e32 v6, 0
	s_and_saveexec_b32 s13, s9
	s_cbranch_execnz .LBB47_3892
	s_branch .LBB47_3893
.LBB47_4117:
	s_or_b32 s12, s12, exec_lo
	s_trap 2
	s_cbranch_execz .LBB47_3939
	s_branch .LBB47_3940
.LBB47_4118:
	s_and_not1_saveexec_b32 s9, s9
	s_cbranch_execz .LBB47_3904
.LBB47_4119:
	v_add_f32_e64 v5, 0x42800000, |v4|
	s_and_not1_b32 s8, s8, exec_lo
	s_delay_alu instid0(VALU_DEP_1) | instskip(NEXT) | instid1(VALU_DEP_1)
	v_and_b32_e32 v5, 0xff, v5
	v_cmp_ne_u32_e32 vcc_lo, 0, v5
	s_and_b32 s13, vcc_lo, exec_lo
	s_delay_alu instid0(SALU_CYCLE_1)
	s_or_b32 s8, s8, s13
	s_or_b32 exec_lo, exec_lo, s9
	v_mov_b32_e32 v6, 0
	s_and_saveexec_b32 s9, s8
	s_cbranch_execnz .LBB47_3905
	s_branch .LBB47_3906
.LBB47_4120:
	s_and_not1_saveexec_b32 s5, s5
	s_cbranch_execz .LBB47_4011
.LBB47_4121:
	v_add_f32_e64 v4, 0x46000000, |v0|
	s_and_not1_b32 s4, s4, exec_lo
	s_delay_alu instid0(VALU_DEP_1) | instskip(NEXT) | instid1(VALU_DEP_1)
	v_and_b32_e32 v4, 0xff, v4
	v_cmp_ne_u32_e32 vcc_lo, 0, v4
	s_and_b32 s7, vcc_lo, exec_lo
	s_delay_alu instid0(SALU_CYCLE_1)
	s_or_b32 s4, s4, s7
	s_or_b32 exec_lo, exec_lo, s5
	v_mov_b32_e32 v5, 0
	s_and_saveexec_b32 s5, s4
	s_cbranch_execnz .LBB47_4012
	s_branch .LBB47_4013
.LBB47_4122:
	s_mov_b32 s2, 0
	s_or_b32 s12, s12, exec_lo
	s_trap 2
	s_branch .LBB47_4057
.LBB47_4123:
	s_and_not1_saveexec_b32 s4, s4
	s_cbranch_execz .LBB47_4023
.LBB47_4124:
	v_add_f32_e64 v4, 0x42800000, |v0|
	s_and_not1_b32 s3, s3, exec_lo
	s_delay_alu instid0(VALU_DEP_1) | instskip(NEXT) | instid1(VALU_DEP_1)
	v_and_b32_e32 v4, 0xff, v4
	v_cmp_ne_u32_e32 vcc_lo, 0, v4
	s_and_b32 s5, vcc_lo, exec_lo
	s_delay_alu instid0(SALU_CYCLE_1)
	s_or_b32 s3, s3, s5
	s_or_b32 exec_lo, exec_lo, s4
	v_mov_b32_e32 v5, 0
	s_and_saveexec_b32 s4, s3
	s_cbranch_execnz .LBB47_4024
	s_branch .LBB47_4025
	.section	.rodata,"a",@progbits
	.p2align	6, 0x0
	.amdhsa_kernel _ZN2at6native32elementwise_kernel_manual_unrollILi128ELi4EZNS0_15gpu_kernel_implIZZZNS0_12_GLOBAL__N_116addr_kernel_cudaERNS_14TensorIteratorERKN3c106ScalarES9_ENKUlvE_clEvENKUlvE0_clEvEUlaaaE0_EEvRNS_18TensorIteratorBaseERKT_EUlibE0_EEviT1_
		.amdhsa_group_segment_fixed_size 0
		.amdhsa_private_segment_fixed_size 0
		.amdhsa_kernarg_size 504
		.amdhsa_user_sgpr_count 2
		.amdhsa_user_sgpr_dispatch_ptr 0
		.amdhsa_user_sgpr_queue_ptr 0
		.amdhsa_user_sgpr_kernarg_segment_ptr 1
		.amdhsa_user_sgpr_dispatch_id 0
		.amdhsa_user_sgpr_kernarg_preload_length 0
		.amdhsa_user_sgpr_kernarg_preload_offset 0
		.amdhsa_user_sgpr_private_segment_size 0
		.amdhsa_wavefront_size32 1
		.amdhsa_uses_dynamic_stack 0
		.amdhsa_enable_private_segment 0
		.amdhsa_system_sgpr_workgroup_id_x 1
		.amdhsa_system_sgpr_workgroup_id_y 0
		.amdhsa_system_sgpr_workgroup_id_z 0
		.amdhsa_system_sgpr_workgroup_info 0
		.amdhsa_system_vgpr_workitem_id 0
		.amdhsa_next_free_vgpr 36
		.amdhsa_next_free_sgpr 76
		.amdhsa_named_barrier_count 0
		.amdhsa_reserve_vcc 1
		.amdhsa_float_round_mode_32 0
		.amdhsa_float_round_mode_16_64 0
		.amdhsa_float_denorm_mode_32 3
		.amdhsa_float_denorm_mode_16_64 3
		.amdhsa_fp16_overflow 0
		.amdhsa_memory_ordered 1
		.amdhsa_forward_progress 1
		.amdhsa_inst_pref_size 255
		.amdhsa_round_robin_scheduling 0
		.amdhsa_exception_fp_ieee_invalid_op 0
		.amdhsa_exception_fp_denorm_src 0
		.amdhsa_exception_fp_ieee_div_zero 0
		.amdhsa_exception_fp_ieee_overflow 0
		.amdhsa_exception_fp_ieee_underflow 0
		.amdhsa_exception_fp_ieee_inexact 0
		.amdhsa_exception_int_div_zero 0
	.end_amdhsa_kernel
	.section	.text._ZN2at6native32elementwise_kernel_manual_unrollILi128ELi4EZNS0_15gpu_kernel_implIZZZNS0_12_GLOBAL__N_116addr_kernel_cudaERNS_14TensorIteratorERKN3c106ScalarES9_ENKUlvE_clEvENKUlvE0_clEvEUlaaaE0_EEvRNS_18TensorIteratorBaseERKT_EUlibE0_EEviT1_,"axG",@progbits,_ZN2at6native32elementwise_kernel_manual_unrollILi128ELi4EZNS0_15gpu_kernel_implIZZZNS0_12_GLOBAL__N_116addr_kernel_cudaERNS_14TensorIteratorERKN3c106ScalarES9_ENKUlvE_clEvENKUlvE0_clEvEUlaaaE0_EEvRNS_18TensorIteratorBaseERKT_EUlibE0_EEviT1_,comdat
.Lfunc_end47:
	.size	_ZN2at6native32elementwise_kernel_manual_unrollILi128ELi4EZNS0_15gpu_kernel_implIZZZNS0_12_GLOBAL__N_116addr_kernel_cudaERNS_14TensorIteratorERKN3c106ScalarES9_ENKUlvE_clEvENKUlvE0_clEvEUlaaaE0_EEvRNS_18TensorIteratorBaseERKT_EUlibE0_EEviT1_, .Lfunc_end47-_ZN2at6native32elementwise_kernel_manual_unrollILi128ELi4EZNS0_15gpu_kernel_implIZZZNS0_12_GLOBAL__N_116addr_kernel_cudaERNS_14TensorIteratorERKN3c106ScalarES9_ENKUlvE_clEvENKUlvE0_clEvEUlaaaE0_EEvRNS_18TensorIteratorBaseERKT_EUlibE0_EEviT1_
                                        ; -- End function
	.set _ZN2at6native32elementwise_kernel_manual_unrollILi128ELi4EZNS0_15gpu_kernel_implIZZZNS0_12_GLOBAL__N_116addr_kernel_cudaERNS_14TensorIteratorERKN3c106ScalarES9_ENKUlvE_clEvENKUlvE0_clEvEUlaaaE0_EEvRNS_18TensorIteratorBaseERKT_EUlibE0_EEviT1_.num_vgpr, 36
	.set _ZN2at6native32elementwise_kernel_manual_unrollILi128ELi4EZNS0_15gpu_kernel_implIZZZNS0_12_GLOBAL__N_116addr_kernel_cudaERNS_14TensorIteratorERKN3c106ScalarES9_ENKUlvE_clEvENKUlvE0_clEvEUlaaaE0_EEvRNS_18TensorIteratorBaseERKT_EUlibE0_EEviT1_.num_agpr, 0
	.set _ZN2at6native32elementwise_kernel_manual_unrollILi128ELi4EZNS0_15gpu_kernel_implIZZZNS0_12_GLOBAL__N_116addr_kernel_cudaERNS_14TensorIteratorERKN3c106ScalarES9_ENKUlvE_clEvENKUlvE0_clEvEUlaaaE0_EEvRNS_18TensorIteratorBaseERKT_EUlibE0_EEviT1_.numbered_sgpr, 76
	.set _ZN2at6native32elementwise_kernel_manual_unrollILi128ELi4EZNS0_15gpu_kernel_implIZZZNS0_12_GLOBAL__N_116addr_kernel_cudaERNS_14TensorIteratorERKN3c106ScalarES9_ENKUlvE_clEvENKUlvE0_clEvEUlaaaE0_EEvRNS_18TensorIteratorBaseERKT_EUlibE0_EEviT1_.num_named_barrier, 0
	.set _ZN2at6native32elementwise_kernel_manual_unrollILi128ELi4EZNS0_15gpu_kernel_implIZZZNS0_12_GLOBAL__N_116addr_kernel_cudaERNS_14TensorIteratorERKN3c106ScalarES9_ENKUlvE_clEvENKUlvE0_clEvEUlaaaE0_EEvRNS_18TensorIteratorBaseERKT_EUlibE0_EEviT1_.private_seg_size, 0
	.set _ZN2at6native32elementwise_kernel_manual_unrollILi128ELi4EZNS0_15gpu_kernel_implIZZZNS0_12_GLOBAL__N_116addr_kernel_cudaERNS_14TensorIteratorERKN3c106ScalarES9_ENKUlvE_clEvENKUlvE0_clEvEUlaaaE0_EEvRNS_18TensorIteratorBaseERKT_EUlibE0_EEviT1_.uses_vcc, 1
	.set _ZN2at6native32elementwise_kernel_manual_unrollILi128ELi4EZNS0_15gpu_kernel_implIZZZNS0_12_GLOBAL__N_116addr_kernel_cudaERNS_14TensorIteratorERKN3c106ScalarES9_ENKUlvE_clEvENKUlvE0_clEvEUlaaaE0_EEvRNS_18TensorIteratorBaseERKT_EUlibE0_EEviT1_.uses_flat_scratch, 0
	.set _ZN2at6native32elementwise_kernel_manual_unrollILi128ELi4EZNS0_15gpu_kernel_implIZZZNS0_12_GLOBAL__N_116addr_kernel_cudaERNS_14TensorIteratorERKN3c106ScalarES9_ENKUlvE_clEvENKUlvE0_clEvEUlaaaE0_EEvRNS_18TensorIteratorBaseERKT_EUlibE0_EEviT1_.has_dyn_sized_stack, 0
	.set _ZN2at6native32elementwise_kernel_manual_unrollILi128ELi4EZNS0_15gpu_kernel_implIZZZNS0_12_GLOBAL__N_116addr_kernel_cudaERNS_14TensorIteratorERKN3c106ScalarES9_ENKUlvE_clEvENKUlvE0_clEvEUlaaaE0_EEvRNS_18TensorIteratorBaseERKT_EUlibE0_EEviT1_.has_recursion, 0
	.set _ZN2at6native32elementwise_kernel_manual_unrollILi128ELi4EZNS0_15gpu_kernel_implIZZZNS0_12_GLOBAL__N_116addr_kernel_cudaERNS_14TensorIteratorERKN3c106ScalarES9_ENKUlvE_clEvENKUlvE0_clEvEUlaaaE0_EEvRNS_18TensorIteratorBaseERKT_EUlibE0_EEviT1_.has_indirect_call, 0
	.section	.AMDGPU.csdata,"",@progbits
; Kernel info:
; codeLenInByte = 75144
; TotalNumSgprs: 78
; NumVgprs: 36
; ScratchSize: 0
; MemoryBound: 1
; FloatMode: 240
; IeeeMode: 1
; LDSByteSize: 0 bytes/workgroup (compile time only)
; SGPRBlocks: 0
; VGPRBlocks: 2
; NumSGPRsForWavesPerEU: 78
; NumVGPRsForWavesPerEU: 36
; NamedBarCnt: 0
; Occupancy: 16
; WaveLimiterHint : 1
; COMPUTE_PGM_RSRC2:SCRATCH_EN: 0
; COMPUTE_PGM_RSRC2:USER_SGPR: 2
; COMPUTE_PGM_RSRC2:TRAP_HANDLER: 0
; COMPUTE_PGM_RSRC2:TGID_X_EN: 1
; COMPUTE_PGM_RSRC2:TGID_Y_EN: 0
; COMPUTE_PGM_RSRC2:TGID_Z_EN: 0
; COMPUTE_PGM_RSRC2:TIDIG_COMP_CNT: 0
	.section	.text._ZN2at6native29vectorized_elementwise_kernelILi16EZZZNS0_12_GLOBAL__N_116addr_kernel_cudaERNS_14TensorIteratorERKN3c106ScalarES8_ENKUlvE_clEvENKUlvE1_clEvEUliiiE_St5arrayIPcLm4EEEEviT0_T1_,"axG",@progbits,_ZN2at6native29vectorized_elementwise_kernelILi16EZZZNS0_12_GLOBAL__N_116addr_kernel_cudaERNS_14TensorIteratorERKN3c106ScalarES8_ENKUlvE_clEvENKUlvE1_clEvEUliiiE_St5arrayIPcLm4EEEEviT0_T1_,comdat
	.globl	_ZN2at6native29vectorized_elementwise_kernelILi16EZZZNS0_12_GLOBAL__N_116addr_kernel_cudaERNS_14TensorIteratorERKN3c106ScalarES8_ENKUlvE_clEvENKUlvE1_clEvEUliiiE_St5arrayIPcLm4EEEEviT0_T1_ ; -- Begin function _ZN2at6native29vectorized_elementwise_kernelILi16EZZZNS0_12_GLOBAL__N_116addr_kernel_cudaERNS_14TensorIteratorERKN3c106ScalarES8_ENKUlvE_clEvENKUlvE1_clEvEUliiiE_St5arrayIPcLm4EEEEviT0_T1_
	.p2align	8
	.type	_ZN2at6native29vectorized_elementwise_kernelILi16EZZZNS0_12_GLOBAL__N_116addr_kernel_cudaERNS_14TensorIteratorERKN3c106ScalarES8_ENKUlvE_clEvENKUlvE1_clEvEUliiiE_St5arrayIPcLm4EEEEviT0_T1_,@function
_ZN2at6native29vectorized_elementwise_kernelILi16EZZZNS0_12_GLOBAL__N_116addr_kernel_cudaERNS_14TensorIteratorERKN3c106ScalarES8_ENKUlvE_clEvENKUlvE1_clEvEUliiiE_St5arrayIPcLm4EEEEviT0_T1_: ; @_ZN2at6native29vectorized_elementwise_kernelILi16EZZZNS0_12_GLOBAL__N_116addr_kernel_cudaERNS_14TensorIteratorERKN3c106ScalarES8_ENKUlvE_clEvENKUlvE1_clEvEUliiiE_St5arrayIPcLm4EEEEviT0_T1_
; %bb.0:
	s_clause 0x1
	s_load_b128 s[4:7], s[0:1], 0x0
	s_load_b128 s[8:11], s[0:1], 0x18
	s_wait_xcnt 0x0
	s_bfe_u32 s0, ttmp6, 0x4000c
	s_and_b32 s1, ttmp6, 15
	s_add_co_i32 s0, s0, 1
	s_getreg_b32 s2, hwreg(HW_REG_IB_STS2, 6, 4)
	s_mul_i32 s0, ttmp9, s0
	s_delay_alu instid0(SALU_CYCLE_1) | instskip(SKIP_2) | instid1(SALU_CYCLE_1)
	s_add_co_i32 s1, s1, s0
	s_cmp_eq_u32 s2, 0
	s_cselect_b32 s0, ttmp9, s1
	s_lshl_b32 s2, s0, 10
	s_mov_b32 s0, -1
	s_wait_kmcnt 0x0
	s_sub_co_i32 s1, s4, s2
	s_delay_alu instid0(SALU_CYCLE_1)
	s_cmp_gt_i32 s1, 0x3ff
	s_cbranch_scc0 .LBB48_2
; %bb.1:
	s_ashr_i32 s3, s2, 31
	s_mov_b32 s0, 0
	s_lshl_b64 s[12:13], s[2:3], 2
	s_delay_alu instid0(SALU_CYCLE_1)
	s_add_nc_u64 s[14:15], s[8:9], s[12:13]
	global_load_b128 v[2:5], v0, s[14:15] scale_offset
	s_wait_xcnt 0x0
	s_add_nc_u64 s[14:15], s[10:11], s[12:13]
	s_add_nc_u64 s[12:13], s[6:7], s[12:13]
	global_load_b128 v[6:9], v0, s[14:15] scale_offset
	s_wait_loadcnt 0x1
	v_mul_lo_u32 v1, v3, s5
	v_mul_lo_u32 v2, v2, s5
	;; [unrolled: 1-line block ×4, first 2 shown]
	s_wait_loadcnt 0x0
	s_delay_alu instid0(VALU_DEP_4) | instskip(NEXT) | instid1(VALU_DEP_4)
	v_mul_lo_u32 v3, v1, v7
	v_mul_lo_u32 v2, v2, v6
	s_delay_alu instid0(VALU_DEP_4) | instskip(NEXT) | instid1(VALU_DEP_4)
	v_mul_lo_u32 v5, v5, v9
	v_mul_lo_u32 v4, v4, v8
	global_store_b128 v0, v[2:5], s[12:13] scale_offset
.LBB48_2:
	s_and_not1_b32 vcc_lo, exec_lo, s0
	s_cbranch_vccnz .LBB48_23
; %bb.3:
	v_cmp_gt_i32_e32 vcc_lo, s1, v0
	v_dual_mov_b32 v9, 0 :: v_dual_bitop2_b32 v1, s2, v0 bitop3:0x54
	v_or_b32_e32 v8, 0x100, v0
	s_wait_xcnt 0x0
	v_dual_mov_b32 v4, 0 :: v_dual_mov_b32 v10, 0
	v_dual_mov_b32 v3, 0 :: v_dual_mov_b32 v12, 0
	;; [unrolled: 1-line block ×3, first 2 shown]
	v_mov_b32_e32 v14, 0
	s_and_saveexec_b32 s3, vcc_lo
	s_cbranch_execz .LBB48_11
; %bb.4:
	s_clause 0x1
	global_load_b32 v13, v1, s[8:9] scale_offset
	global_load_b32 v14, v1, s[10:11] scale_offset
	v_or_b32_e32 v2, 0x100, v0
	v_dual_mov_b32 v11, 0 :: v_dual_mov_b32 v12, 0
	v_dual_mov_b32 v3, 0 :: v_dual_mov_b32 v10, 0
	;; [unrolled: 1-line block ×3, first 2 shown]
	s_mov_b32 s4, exec_lo
	s_wait_xcnt 0x0
	v_cmpx_gt_u32_e64 s1, v2
	s_cbranch_execz .LBB48_10
; %bb.5:
	v_dual_mov_b32 v3, 0 :: v_dual_add_nc_u32 v2, s2, v0
	v_or_b32_e32 v4, 0x200, v0
	v_dual_mov_b32 v10, 0 :: v_dual_mov_b32 v9, 0
	s_clause 0x1
	global_load_b32 v12, v2, s[8:9] offset:1024 scale_offset
	global_load_b32 v11, v2, s[10:11] offset:1024 scale_offset
	v_cmp_gt_u32_e64 s0, s1, v4
	v_mov_b32_e32 v4, 0
	s_wait_xcnt 0x0
	s_and_saveexec_b32 s12, s0
	s_cbranch_execz .LBB48_9
; %bb.6:
	v_lshlrev_b64_e32 v[6:7], 2, v[2:3]
	v_or_b32_e32 v9, 0x300, v0
	s_delay_alu instid0(VALU_DEP_1) | instskip(NEXT) | instid1(VALU_DEP_3)
	v_cmp_gt_u32_e64 s0, s1, v9
	v_add_nc_u64_e32 v[4:5], s[8:9], v[6:7]
	v_add_nc_u64_e32 v[6:7], s[10:11], v[6:7]
	v_mov_b32_e32 v9, 0
	global_load_b32 v10, v[4:5], off offset:2048
	global_load_b32 v2, v[6:7], off offset:2048
	s_wait_xcnt 0x0
	s_and_saveexec_b32 s8, s0
	s_cbranch_execz .LBB48_8
; %bb.7:
	global_load_b32 v9, v[4:5], off offset:3072
	global_load_b32 v3, v[6:7], off offset:3072
.LBB48_8:
	s_wait_xcnt 0x0
	s_or_b32 exec_lo, exec_lo, s8
	s_wait_loadcnt 0x0
	v_dual_mov_b32 v4, v3 :: v_dual_mov_b32 v3, v2
.LBB48_9:
	s_or_b32 exec_lo, exec_lo, s12
.LBB48_10:
	s_delay_alu instid0(SALU_CYCLE_1) | instskip(NEXT) | instid1(SALU_CYCLE_1)
	s_or_b32 exec_lo, exec_lo, s4
	s_or_b32 exec_lo, exec_lo, s3
                                        ; implicit-def: $vgpr2
	s_and_saveexec_b32 s0, vcc_lo
	s_cbranch_execz .LBB48_13
	s_branch .LBB48_12
.LBB48_11:
	s_or_b32 exec_lo, exec_lo, s3
                                        ; implicit-def: $vgpr2
	s_and_saveexec_b32 s0, vcc_lo
	s_cbranch_execz .LBB48_13
.LBB48_12:
	s_wait_loadcnt 0x1
	v_mul_lo_u32 v2, v13, s5
	s_wait_loadcnt 0x0
	s_delay_alu instid0(VALU_DEP_1)
	v_mul_lo_u32 v2, v2, v14
.LBB48_13:
	s_or_b32 exec_lo, exec_lo, s0
	s_delay_alu instid0(SALU_CYCLE_1)
	s_mov_b32 s3, exec_lo
                                        ; implicit-def: $vgpr5
	v_cmpx_gt_i32_e64 s1, v8
	s_cbranch_execz .LBB48_15
; %bb.14:
	s_wait_loadcnt 0x1
	v_mul_lo_u32 v5, v12, s5
	s_wait_loadcnt 0x0
	s_delay_alu instid0(VALU_DEP_1)
	v_mul_lo_u32 v5, v5, v11
.LBB48_15:
	s_or_b32 exec_lo, exec_lo, s3
	v_or_b32_e32 v6, 0x200, v0
	s_delay_alu instid0(VALU_DEP_1)
	v_cmp_gt_i32_e64 s0, s1, v6
                                        ; implicit-def: $vgpr6
	s_and_saveexec_b32 s3, s0
; %bb.16:
	v_mul_lo_u32 v6, v10, s5
	s_delay_alu instid0(VALU_DEP_1)
	v_mul_lo_u32 v6, v6, v3
; %bb.17:
	s_or_b32 exec_lo, exec_lo, s3
	v_or_b32_e32 v3, 0x300, v0
	s_delay_alu instid0(VALU_DEP_1)
	v_cmp_gt_i32_e64 s0, s1, v3
                                        ; implicit-def: $vgpr3
	s_and_saveexec_b32 s3, s0
	s_cbranch_execz .LBB48_24
; %bb.18:
	v_mul_lo_u32 v3, v9, s5
	s_delay_alu instid0(VALU_DEP_1) | instskip(SKIP_2) | instid1(SALU_CYCLE_1)
	v_mul_lo_u32 v3, v3, v4
	s_or_b32 exec_lo, exec_lo, s3
	s_and_saveexec_b32 s0, vcc_lo
	s_xor_b32 s0, exec_lo, s0
	s_cbranch_execnz .LBB48_25
.LBB48_19:
	s_or_b32 exec_lo, exec_lo, s0
	s_delay_alu instid0(SALU_CYCLE_1)
	s_mov_b32 s0, exec_lo
	v_cmpx_gt_i32_e64 s1, v0
	s_cbranch_execz .LBB48_26
.LBB48_20:
	v_add_nc_u32_e32 v1, s2, v0
	v_add_nc_u32_e32 v0, 0x100, v0
	global_store_b32 v1, v5, s[6:7] scale_offset
	s_wait_xcnt 0x0
	s_or_b32 exec_lo, exec_lo, s0
	s_delay_alu instid0(SALU_CYCLE_1)
	s_mov_b32 s0, exec_lo
	v_cmpx_gt_i32_e64 s1, v0
	s_cbranch_execnz .LBB48_27
.LBB48_21:
	s_or_b32 exec_lo, exec_lo, s0
	s_delay_alu instid0(SALU_CYCLE_1)
	s_mov_b32 s0, exec_lo
	v_cmpx_gt_i32_e64 s1, v0
	s_cbranch_execz .LBB48_23
.LBB48_22:
	v_add_nc_u32_e32 v0, s2, v0
	global_store_b32 v0, v3, s[6:7] scale_offset
.LBB48_23:
	s_endpgm
.LBB48_24:
	s_or_b32 exec_lo, exec_lo, s3
	s_and_saveexec_b32 s0, vcc_lo
	s_delay_alu instid0(SALU_CYCLE_1)
	s_xor_b32 s0, exec_lo, s0
	s_cbranch_execz .LBB48_19
.LBB48_25:
	v_mov_b32_e32 v0, v8
	global_store_b32 v1, v2, s[6:7] scale_offset
	s_wait_xcnt 0x0
	s_or_b32 exec_lo, exec_lo, s0
	s_delay_alu instid0(SALU_CYCLE_1)
	s_mov_b32 s0, exec_lo
	v_cmpx_gt_i32_e64 s1, v0
	s_cbranch_execnz .LBB48_20
.LBB48_26:
	s_or_b32 exec_lo, exec_lo, s0
	s_delay_alu instid0(SALU_CYCLE_1)
	s_mov_b32 s0, exec_lo
	v_cmpx_gt_i32_e64 s1, v0
	s_cbranch_execz .LBB48_21
.LBB48_27:
	v_add_nc_u32_e32 v1, s2, v0
	v_add_nc_u32_e32 v0, 0x100, v0
	global_store_b32 v1, v6, s[6:7] scale_offset
	s_wait_xcnt 0x0
	s_or_b32 exec_lo, exec_lo, s0
	s_delay_alu instid0(SALU_CYCLE_1)
	s_mov_b32 s0, exec_lo
	v_cmpx_gt_i32_e64 s1, v0
	s_cbranch_execnz .LBB48_22
	s_branch .LBB48_23
	.section	.rodata,"a",@progbits
	.p2align	6, 0x0
	.amdhsa_kernel _ZN2at6native29vectorized_elementwise_kernelILi16EZZZNS0_12_GLOBAL__N_116addr_kernel_cudaERNS_14TensorIteratorERKN3c106ScalarES8_ENKUlvE_clEvENKUlvE1_clEvEUliiiE_St5arrayIPcLm4EEEEviT0_T1_
		.amdhsa_group_segment_fixed_size 0
		.amdhsa_private_segment_fixed_size 0
		.amdhsa_kernarg_size 40
		.amdhsa_user_sgpr_count 2
		.amdhsa_user_sgpr_dispatch_ptr 0
		.amdhsa_user_sgpr_queue_ptr 0
		.amdhsa_user_sgpr_kernarg_segment_ptr 1
		.amdhsa_user_sgpr_dispatch_id 0
		.amdhsa_user_sgpr_kernarg_preload_length 0
		.amdhsa_user_sgpr_kernarg_preload_offset 0
		.amdhsa_user_sgpr_private_segment_size 0
		.amdhsa_wavefront_size32 1
		.amdhsa_uses_dynamic_stack 0
		.amdhsa_enable_private_segment 0
		.amdhsa_system_sgpr_workgroup_id_x 1
		.amdhsa_system_sgpr_workgroup_id_y 0
		.amdhsa_system_sgpr_workgroup_id_z 0
		.amdhsa_system_sgpr_workgroup_info 0
		.amdhsa_system_vgpr_workitem_id 0
		.amdhsa_next_free_vgpr 15
		.amdhsa_next_free_sgpr 16
		.amdhsa_named_barrier_count 0
		.amdhsa_reserve_vcc 1
		.amdhsa_float_round_mode_32 0
		.amdhsa_float_round_mode_16_64 0
		.amdhsa_float_denorm_mode_32 3
		.amdhsa_float_denorm_mode_16_64 3
		.amdhsa_fp16_overflow 0
		.amdhsa_memory_ordered 1
		.amdhsa_forward_progress 1
		.amdhsa_inst_pref_size 9
		.amdhsa_round_robin_scheduling 0
		.amdhsa_exception_fp_ieee_invalid_op 0
		.amdhsa_exception_fp_denorm_src 0
		.amdhsa_exception_fp_ieee_div_zero 0
		.amdhsa_exception_fp_ieee_overflow 0
		.amdhsa_exception_fp_ieee_underflow 0
		.amdhsa_exception_fp_ieee_inexact 0
		.amdhsa_exception_int_div_zero 0
	.end_amdhsa_kernel
	.section	.text._ZN2at6native29vectorized_elementwise_kernelILi16EZZZNS0_12_GLOBAL__N_116addr_kernel_cudaERNS_14TensorIteratorERKN3c106ScalarES8_ENKUlvE_clEvENKUlvE1_clEvEUliiiE_St5arrayIPcLm4EEEEviT0_T1_,"axG",@progbits,_ZN2at6native29vectorized_elementwise_kernelILi16EZZZNS0_12_GLOBAL__N_116addr_kernel_cudaERNS_14TensorIteratorERKN3c106ScalarES8_ENKUlvE_clEvENKUlvE1_clEvEUliiiE_St5arrayIPcLm4EEEEviT0_T1_,comdat
.Lfunc_end48:
	.size	_ZN2at6native29vectorized_elementwise_kernelILi16EZZZNS0_12_GLOBAL__N_116addr_kernel_cudaERNS_14TensorIteratorERKN3c106ScalarES8_ENKUlvE_clEvENKUlvE1_clEvEUliiiE_St5arrayIPcLm4EEEEviT0_T1_, .Lfunc_end48-_ZN2at6native29vectorized_elementwise_kernelILi16EZZZNS0_12_GLOBAL__N_116addr_kernel_cudaERNS_14TensorIteratorERKN3c106ScalarES8_ENKUlvE_clEvENKUlvE1_clEvEUliiiE_St5arrayIPcLm4EEEEviT0_T1_
                                        ; -- End function
	.set _ZN2at6native29vectorized_elementwise_kernelILi16EZZZNS0_12_GLOBAL__N_116addr_kernel_cudaERNS_14TensorIteratorERKN3c106ScalarES8_ENKUlvE_clEvENKUlvE1_clEvEUliiiE_St5arrayIPcLm4EEEEviT0_T1_.num_vgpr, 15
	.set _ZN2at6native29vectorized_elementwise_kernelILi16EZZZNS0_12_GLOBAL__N_116addr_kernel_cudaERNS_14TensorIteratorERKN3c106ScalarES8_ENKUlvE_clEvENKUlvE1_clEvEUliiiE_St5arrayIPcLm4EEEEviT0_T1_.num_agpr, 0
	.set _ZN2at6native29vectorized_elementwise_kernelILi16EZZZNS0_12_GLOBAL__N_116addr_kernel_cudaERNS_14TensorIteratorERKN3c106ScalarES8_ENKUlvE_clEvENKUlvE1_clEvEUliiiE_St5arrayIPcLm4EEEEviT0_T1_.numbered_sgpr, 16
	.set _ZN2at6native29vectorized_elementwise_kernelILi16EZZZNS0_12_GLOBAL__N_116addr_kernel_cudaERNS_14TensorIteratorERKN3c106ScalarES8_ENKUlvE_clEvENKUlvE1_clEvEUliiiE_St5arrayIPcLm4EEEEviT0_T1_.num_named_barrier, 0
	.set _ZN2at6native29vectorized_elementwise_kernelILi16EZZZNS0_12_GLOBAL__N_116addr_kernel_cudaERNS_14TensorIteratorERKN3c106ScalarES8_ENKUlvE_clEvENKUlvE1_clEvEUliiiE_St5arrayIPcLm4EEEEviT0_T1_.private_seg_size, 0
	.set _ZN2at6native29vectorized_elementwise_kernelILi16EZZZNS0_12_GLOBAL__N_116addr_kernel_cudaERNS_14TensorIteratorERKN3c106ScalarES8_ENKUlvE_clEvENKUlvE1_clEvEUliiiE_St5arrayIPcLm4EEEEviT0_T1_.uses_vcc, 1
	.set _ZN2at6native29vectorized_elementwise_kernelILi16EZZZNS0_12_GLOBAL__N_116addr_kernel_cudaERNS_14TensorIteratorERKN3c106ScalarES8_ENKUlvE_clEvENKUlvE1_clEvEUliiiE_St5arrayIPcLm4EEEEviT0_T1_.uses_flat_scratch, 0
	.set _ZN2at6native29vectorized_elementwise_kernelILi16EZZZNS0_12_GLOBAL__N_116addr_kernel_cudaERNS_14TensorIteratorERKN3c106ScalarES8_ENKUlvE_clEvENKUlvE1_clEvEUliiiE_St5arrayIPcLm4EEEEviT0_T1_.has_dyn_sized_stack, 0
	.set _ZN2at6native29vectorized_elementwise_kernelILi16EZZZNS0_12_GLOBAL__N_116addr_kernel_cudaERNS_14TensorIteratorERKN3c106ScalarES8_ENKUlvE_clEvENKUlvE1_clEvEUliiiE_St5arrayIPcLm4EEEEviT0_T1_.has_recursion, 0
	.set _ZN2at6native29vectorized_elementwise_kernelILi16EZZZNS0_12_GLOBAL__N_116addr_kernel_cudaERNS_14TensorIteratorERKN3c106ScalarES8_ENKUlvE_clEvENKUlvE1_clEvEUliiiE_St5arrayIPcLm4EEEEviT0_T1_.has_indirect_call, 0
	.section	.AMDGPU.csdata,"",@progbits
; Kernel info:
; codeLenInByte = 1096
; TotalNumSgprs: 18
; NumVgprs: 15
; ScratchSize: 0
; MemoryBound: 0
; FloatMode: 240
; IeeeMode: 1
; LDSByteSize: 0 bytes/workgroup (compile time only)
; SGPRBlocks: 0
; VGPRBlocks: 0
; NumSGPRsForWavesPerEU: 18
; NumVGPRsForWavesPerEU: 15
; NamedBarCnt: 0
; Occupancy: 16
; WaveLimiterHint : 0
; COMPUTE_PGM_RSRC2:SCRATCH_EN: 0
; COMPUTE_PGM_RSRC2:USER_SGPR: 2
; COMPUTE_PGM_RSRC2:TRAP_HANDLER: 0
; COMPUTE_PGM_RSRC2:TGID_X_EN: 1
; COMPUTE_PGM_RSRC2:TGID_Y_EN: 0
; COMPUTE_PGM_RSRC2:TGID_Z_EN: 0
; COMPUTE_PGM_RSRC2:TIDIG_COMP_CNT: 0
	.section	.text._ZN2at6native29vectorized_elementwise_kernelILi8EZZZNS0_12_GLOBAL__N_116addr_kernel_cudaERNS_14TensorIteratorERKN3c106ScalarES8_ENKUlvE_clEvENKUlvE1_clEvEUliiiE_St5arrayIPcLm4EEEEviT0_T1_,"axG",@progbits,_ZN2at6native29vectorized_elementwise_kernelILi8EZZZNS0_12_GLOBAL__N_116addr_kernel_cudaERNS_14TensorIteratorERKN3c106ScalarES8_ENKUlvE_clEvENKUlvE1_clEvEUliiiE_St5arrayIPcLm4EEEEviT0_T1_,comdat
	.globl	_ZN2at6native29vectorized_elementwise_kernelILi8EZZZNS0_12_GLOBAL__N_116addr_kernel_cudaERNS_14TensorIteratorERKN3c106ScalarES8_ENKUlvE_clEvENKUlvE1_clEvEUliiiE_St5arrayIPcLm4EEEEviT0_T1_ ; -- Begin function _ZN2at6native29vectorized_elementwise_kernelILi8EZZZNS0_12_GLOBAL__N_116addr_kernel_cudaERNS_14TensorIteratorERKN3c106ScalarES8_ENKUlvE_clEvENKUlvE1_clEvEUliiiE_St5arrayIPcLm4EEEEviT0_T1_
	.p2align	8
	.type	_ZN2at6native29vectorized_elementwise_kernelILi8EZZZNS0_12_GLOBAL__N_116addr_kernel_cudaERNS_14TensorIteratorERKN3c106ScalarES8_ENKUlvE_clEvENKUlvE1_clEvEUliiiE_St5arrayIPcLm4EEEEviT0_T1_,@function
_ZN2at6native29vectorized_elementwise_kernelILi8EZZZNS0_12_GLOBAL__N_116addr_kernel_cudaERNS_14TensorIteratorERKN3c106ScalarES8_ENKUlvE_clEvENKUlvE1_clEvEUliiiE_St5arrayIPcLm4EEEEviT0_T1_: ; @_ZN2at6native29vectorized_elementwise_kernelILi8EZZZNS0_12_GLOBAL__N_116addr_kernel_cudaERNS_14TensorIteratorERKN3c106ScalarES8_ENKUlvE_clEvENKUlvE1_clEvEUliiiE_St5arrayIPcLm4EEEEviT0_T1_
; %bb.0:
	s_clause 0x1
	s_load_b128 s[4:7], s[0:1], 0x0
	s_load_b128 s[8:11], s[0:1], 0x18
	s_wait_xcnt 0x0
	s_bfe_u32 s0, ttmp6, 0x4000c
	s_and_b32 s1, ttmp6, 15
	s_add_co_i32 s0, s0, 1
	s_getreg_b32 s2, hwreg(HW_REG_IB_STS2, 6, 4)
	s_mul_i32 s0, ttmp9, s0
	s_delay_alu instid0(SALU_CYCLE_1) | instskip(SKIP_2) | instid1(SALU_CYCLE_1)
	s_add_co_i32 s1, s1, s0
	s_cmp_eq_u32 s2, 0
	s_cselect_b32 s0, ttmp9, s1
	s_lshl_b32 s2, s0, 10
	s_mov_b32 s0, -1
	s_wait_kmcnt 0x0
	s_sub_co_i32 s1, s4, s2
	s_delay_alu instid0(SALU_CYCLE_1)
	s_cmp_gt_i32 s1, 0x3ff
	s_cbranch_scc0 .LBB49_2
; %bb.1:
	s_ashr_i32 s3, s2, 31
	s_mov_b32 s0, 0
	s_lshl_b64 s[12:13], s[2:3], 2
	s_delay_alu instid0(SALU_CYCLE_1)
	s_add_nc_u64 s[14:15], s[8:9], s[12:13]
	global_load_b128 v[2:5], v0, s[14:15] scale_offset
	s_wait_xcnt 0x0
	s_add_nc_u64 s[14:15], s[10:11], s[12:13]
	s_add_nc_u64 s[12:13], s[6:7], s[12:13]
	global_load_b128 v[6:9], v0, s[14:15] scale_offset
	s_wait_loadcnt 0x1
	v_mul_lo_u32 v1, v3, s5
	v_mul_lo_u32 v2, v2, s5
	;; [unrolled: 1-line block ×4, first 2 shown]
	s_wait_loadcnt 0x0
	s_delay_alu instid0(VALU_DEP_4) | instskip(NEXT) | instid1(VALU_DEP_4)
	v_mul_lo_u32 v3, v1, v7
	v_mul_lo_u32 v2, v2, v6
	s_delay_alu instid0(VALU_DEP_4) | instskip(NEXT) | instid1(VALU_DEP_4)
	v_mul_lo_u32 v5, v5, v9
	v_mul_lo_u32 v4, v4, v8
	global_store_b128 v0, v[2:5], s[12:13] scale_offset
.LBB49_2:
	s_and_not1_b32 vcc_lo, exec_lo, s0
	s_cbranch_vccnz .LBB49_23
; %bb.3:
	v_cmp_gt_i32_e32 vcc_lo, s1, v0
	v_dual_mov_b32 v9, 0 :: v_dual_bitop2_b32 v1, s2, v0 bitop3:0x54
	v_or_b32_e32 v8, 0x100, v0
	s_wait_xcnt 0x0
	v_dual_mov_b32 v4, 0 :: v_dual_mov_b32 v10, 0
	v_dual_mov_b32 v3, 0 :: v_dual_mov_b32 v12, 0
	;; [unrolled: 1-line block ×3, first 2 shown]
	v_mov_b32_e32 v14, 0
	s_and_saveexec_b32 s3, vcc_lo
	s_cbranch_execz .LBB49_11
; %bb.4:
	s_clause 0x1
	global_load_b32 v13, v1, s[8:9] scale_offset
	global_load_b32 v14, v1, s[10:11] scale_offset
	v_or_b32_e32 v2, 0x100, v0
	v_dual_mov_b32 v11, 0 :: v_dual_mov_b32 v12, 0
	v_dual_mov_b32 v3, 0 :: v_dual_mov_b32 v10, 0
	;; [unrolled: 1-line block ×3, first 2 shown]
	s_mov_b32 s4, exec_lo
	s_wait_xcnt 0x0
	v_cmpx_gt_u32_e64 s1, v2
	s_cbranch_execz .LBB49_10
; %bb.5:
	v_dual_mov_b32 v3, 0 :: v_dual_add_nc_u32 v2, s2, v0
	v_or_b32_e32 v4, 0x200, v0
	v_dual_mov_b32 v10, 0 :: v_dual_mov_b32 v9, 0
	s_clause 0x1
	global_load_b32 v12, v2, s[8:9] offset:1024 scale_offset
	global_load_b32 v11, v2, s[10:11] offset:1024 scale_offset
	v_cmp_gt_u32_e64 s0, s1, v4
	v_mov_b32_e32 v4, 0
	s_wait_xcnt 0x0
	s_and_saveexec_b32 s12, s0
	s_cbranch_execz .LBB49_9
; %bb.6:
	v_lshlrev_b64_e32 v[6:7], 2, v[2:3]
	v_or_b32_e32 v9, 0x300, v0
	s_delay_alu instid0(VALU_DEP_1) | instskip(NEXT) | instid1(VALU_DEP_3)
	v_cmp_gt_u32_e64 s0, s1, v9
	v_add_nc_u64_e32 v[4:5], s[8:9], v[6:7]
	v_add_nc_u64_e32 v[6:7], s[10:11], v[6:7]
	v_mov_b32_e32 v9, 0
	global_load_b32 v10, v[4:5], off offset:2048
	global_load_b32 v2, v[6:7], off offset:2048
	s_wait_xcnt 0x0
	s_and_saveexec_b32 s8, s0
	s_cbranch_execz .LBB49_8
; %bb.7:
	global_load_b32 v9, v[4:5], off offset:3072
	global_load_b32 v3, v[6:7], off offset:3072
.LBB49_8:
	s_wait_xcnt 0x0
	s_or_b32 exec_lo, exec_lo, s8
	s_wait_loadcnt 0x0
	v_dual_mov_b32 v4, v3 :: v_dual_mov_b32 v3, v2
.LBB49_9:
	s_or_b32 exec_lo, exec_lo, s12
.LBB49_10:
	s_delay_alu instid0(SALU_CYCLE_1) | instskip(NEXT) | instid1(SALU_CYCLE_1)
	s_or_b32 exec_lo, exec_lo, s4
	s_or_b32 exec_lo, exec_lo, s3
                                        ; implicit-def: $vgpr2
	s_and_saveexec_b32 s0, vcc_lo
	s_cbranch_execz .LBB49_13
	s_branch .LBB49_12
.LBB49_11:
	s_or_b32 exec_lo, exec_lo, s3
                                        ; implicit-def: $vgpr2
	s_and_saveexec_b32 s0, vcc_lo
	s_cbranch_execz .LBB49_13
.LBB49_12:
	s_wait_loadcnt 0x1
	v_mul_lo_u32 v2, v13, s5
	s_wait_loadcnt 0x0
	s_delay_alu instid0(VALU_DEP_1)
	v_mul_lo_u32 v2, v2, v14
.LBB49_13:
	s_or_b32 exec_lo, exec_lo, s0
	s_delay_alu instid0(SALU_CYCLE_1)
	s_mov_b32 s3, exec_lo
                                        ; implicit-def: $vgpr5
	v_cmpx_gt_i32_e64 s1, v8
	s_cbranch_execz .LBB49_15
; %bb.14:
	s_wait_loadcnt 0x1
	v_mul_lo_u32 v5, v12, s5
	s_wait_loadcnt 0x0
	s_delay_alu instid0(VALU_DEP_1)
	v_mul_lo_u32 v5, v5, v11
.LBB49_15:
	s_or_b32 exec_lo, exec_lo, s3
	v_or_b32_e32 v6, 0x200, v0
	s_delay_alu instid0(VALU_DEP_1)
	v_cmp_gt_i32_e64 s0, s1, v6
                                        ; implicit-def: $vgpr6
	s_and_saveexec_b32 s3, s0
; %bb.16:
	v_mul_lo_u32 v6, v10, s5
	s_delay_alu instid0(VALU_DEP_1)
	v_mul_lo_u32 v6, v6, v3
; %bb.17:
	s_or_b32 exec_lo, exec_lo, s3
	v_or_b32_e32 v3, 0x300, v0
	s_delay_alu instid0(VALU_DEP_1)
	v_cmp_gt_i32_e64 s0, s1, v3
                                        ; implicit-def: $vgpr3
	s_and_saveexec_b32 s3, s0
	s_cbranch_execz .LBB49_24
; %bb.18:
	v_mul_lo_u32 v3, v9, s5
	s_delay_alu instid0(VALU_DEP_1) | instskip(SKIP_2) | instid1(SALU_CYCLE_1)
	v_mul_lo_u32 v3, v3, v4
	s_or_b32 exec_lo, exec_lo, s3
	s_and_saveexec_b32 s0, vcc_lo
	s_xor_b32 s0, exec_lo, s0
	s_cbranch_execnz .LBB49_25
.LBB49_19:
	s_or_b32 exec_lo, exec_lo, s0
	s_delay_alu instid0(SALU_CYCLE_1)
	s_mov_b32 s0, exec_lo
	v_cmpx_gt_i32_e64 s1, v0
	s_cbranch_execz .LBB49_26
.LBB49_20:
	v_add_nc_u32_e32 v1, s2, v0
	v_add_nc_u32_e32 v0, 0x100, v0
	global_store_b32 v1, v5, s[6:7] scale_offset
	s_wait_xcnt 0x0
	s_or_b32 exec_lo, exec_lo, s0
	s_delay_alu instid0(SALU_CYCLE_1)
	s_mov_b32 s0, exec_lo
	v_cmpx_gt_i32_e64 s1, v0
	s_cbranch_execnz .LBB49_27
.LBB49_21:
	s_or_b32 exec_lo, exec_lo, s0
	s_delay_alu instid0(SALU_CYCLE_1)
	s_mov_b32 s0, exec_lo
	v_cmpx_gt_i32_e64 s1, v0
	s_cbranch_execz .LBB49_23
.LBB49_22:
	v_add_nc_u32_e32 v0, s2, v0
	global_store_b32 v0, v3, s[6:7] scale_offset
.LBB49_23:
	s_endpgm
.LBB49_24:
	s_or_b32 exec_lo, exec_lo, s3
	s_and_saveexec_b32 s0, vcc_lo
	s_delay_alu instid0(SALU_CYCLE_1)
	s_xor_b32 s0, exec_lo, s0
	s_cbranch_execz .LBB49_19
.LBB49_25:
	v_mov_b32_e32 v0, v8
	global_store_b32 v1, v2, s[6:7] scale_offset
	s_wait_xcnt 0x0
	s_or_b32 exec_lo, exec_lo, s0
	s_delay_alu instid0(SALU_CYCLE_1)
	s_mov_b32 s0, exec_lo
	v_cmpx_gt_i32_e64 s1, v0
	s_cbranch_execnz .LBB49_20
.LBB49_26:
	s_or_b32 exec_lo, exec_lo, s0
	s_delay_alu instid0(SALU_CYCLE_1)
	s_mov_b32 s0, exec_lo
	v_cmpx_gt_i32_e64 s1, v0
	s_cbranch_execz .LBB49_21
.LBB49_27:
	v_add_nc_u32_e32 v1, s2, v0
	v_add_nc_u32_e32 v0, 0x100, v0
	global_store_b32 v1, v6, s[6:7] scale_offset
	s_wait_xcnt 0x0
	s_or_b32 exec_lo, exec_lo, s0
	s_delay_alu instid0(SALU_CYCLE_1)
	s_mov_b32 s0, exec_lo
	v_cmpx_gt_i32_e64 s1, v0
	s_cbranch_execnz .LBB49_22
	s_branch .LBB49_23
	.section	.rodata,"a",@progbits
	.p2align	6, 0x0
	.amdhsa_kernel _ZN2at6native29vectorized_elementwise_kernelILi8EZZZNS0_12_GLOBAL__N_116addr_kernel_cudaERNS_14TensorIteratorERKN3c106ScalarES8_ENKUlvE_clEvENKUlvE1_clEvEUliiiE_St5arrayIPcLm4EEEEviT0_T1_
		.amdhsa_group_segment_fixed_size 0
		.amdhsa_private_segment_fixed_size 0
		.amdhsa_kernarg_size 40
		.amdhsa_user_sgpr_count 2
		.amdhsa_user_sgpr_dispatch_ptr 0
		.amdhsa_user_sgpr_queue_ptr 0
		.amdhsa_user_sgpr_kernarg_segment_ptr 1
		.amdhsa_user_sgpr_dispatch_id 0
		.amdhsa_user_sgpr_kernarg_preload_length 0
		.amdhsa_user_sgpr_kernarg_preload_offset 0
		.amdhsa_user_sgpr_private_segment_size 0
		.amdhsa_wavefront_size32 1
		.amdhsa_uses_dynamic_stack 0
		.amdhsa_enable_private_segment 0
		.amdhsa_system_sgpr_workgroup_id_x 1
		.amdhsa_system_sgpr_workgroup_id_y 0
		.amdhsa_system_sgpr_workgroup_id_z 0
		.amdhsa_system_sgpr_workgroup_info 0
		.amdhsa_system_vgpr_workitem_id 0
		.amdhsa_next_free_vgpr 15
		.amdhsa_next_free_sgpr 16
		.amdhsa_named_barrier_count 0
		.amdhsa_reserve_vcc 1
		.amdhsa_float_round_mode_32 0
		.amdhsa_float_round_mode_16_64 0
		.amdhsa_float_denorm_mode_32 3
		.amdhsa_float_denorm_mode_16_64 3
		.amdhsa_fp16_overflow 0
		.amdhsa_memory_ordered 1
		.amdhsa_forward_progress 1
		.amdhsa_inst_pref_size 9
		.amdhsa_round_robin_scheduling 0
		.amdhsa_exception_fp_ieee_invalid_op 0
		.amdhsa_exception_fp_denorm_src 0
		.amdhsa_exception_fp_ieee_div_zero 0
		.amdhsa_exception_fp_ieee_overflow 0
		.amdhsa_exception_fp_ieee_underflow 0
		.amdhsa_exception_fp_ieee_inexact 0
		.amdhsa_exception_int_div_zero 0
	.end_amdhsa_kernel
	.section	.text._ZN2at6native29vectorized_elementwise_kernelILi8EZZZNS0_12_GLOBAL__N_116addr_kernel_cudaERNS_14TensorIteratorERKN3c106ScalarES8_ENKUlvE_clEvENKUlvE1_clEvEUliiiE_St5arrayIPcLm4EEEEviT0_T1_,"axG",@progbits,_ZN2at6native29vectorized_elementwise_kernelILi8EZZZNS0_12_GLOBAL__N_116addr_kernel_cudaERNS_14TensorIteratorERKN3c106ScalarES8_ENKUlvE_clEvENKUlvE1_clEvEUliiiE_St5arrayIPcLm4EEEEviT0_T1_,comdat
.Lfunc_end49:
	.size	_ZN2at6native29vectorized_elementwise_kernelILi8EZZZNS0_12_GLOBAL__N_116addr_kernel_cudaERNS_14TensorIteratorERKN3c106ScalarES8_ENKUlvE_clEvENKUlvE1_clEvEUliiiE_St5arrayIPcLm4EEEEviT0_T1_, .Lfunc_end49-_ZN2at6native29vectorized_elementwise_kernelILi8EZZZNS0_12_GLOBAL__N_116addr_kernel_cudaERNS_14TensorIteratorERKN3c106ScalarES8_ENKUlvE_clEvENKUlvE1_clEvEUliiiE_St5arrayIPcLm4EEEEviT0_T1_
                                        ; -- End function
	.set _ZN2at6native29vectorized_elementwise_kernelILi8EZZZNS0_12_GLOBAL__N_116addr_kernel_cudaERNS_14TensorIteratorERKN3c106ScalarES8_ENKUlvE_clEvENKUlvE1_clEvEUliiiE_St5arrayIPcLm4EEEEviT0_T1_.num_vgpr, 15
	.set _ZN2at6native29vectorized_elementwise_kernelILi8EZZZNS0_12_GLOBAL__N_116addr_kernel_cudaERNS_14TensorIteratorERKN3c106ScalarES8_ENKUlvE_clEvENKUlvE1_clEvEUliiiE_St5arrayIPcLm4EEEEviT0_T1_.num_agpr, 0
	.set _ZN2at6native29vectorized_elementwise_kernelILi8EZZZNS0_12_GLOBAL__N_116addr_kernel_cudaERNS_14TensorIteratorERKN3c106ScalarES8_ENKUlvE_clEvENKUlvE1_clEvEUliiiE_St5arrayIPcLm4EEEEviT0_T1_.numbered_sgpr, 16
	.set _ZN2at6native29vectorized_elementwise_kernelILi8EZZZNS0_12_GLOBAL__N_116addr_kernel_cudaERNS_14TensorIteratorERKN3c106ScalarES8_ENKUlvE_clEvENKUlvE1_clEvEUliiiE_St5arrayIPcLm4EEEEviT0_T1_.num_named_barrier, 0
	.set _ZN2at6native29vectorized_elementwise_kernelILi8EZZZNS0_12_GLOBAL__N_116addr_kernel_cudaERNS_14TensorIteratorERKN3c106ScalarES8_ENKUlvE_clEvENKUlvE1_clEvEUliiiE_St5arrayIPcLm4EEEEviT0_T1_.private_seg_size, 0
	.set _ZN2at6native29vectorized_elementwise_kernelILi8EZZZNS0_12_GLOBAL__N_116addr_kernel_cudaERNS_14TensorIteratorERKN3c106ScalarES8_ENKUlvE_clEvENKUlvE1_clEvEUliiiE_St5arrayIPcLm4EEEEviT0_T1_.uses_vcc, 1
	.set _ZN2at6native29vectorized_elementwise_kernelILi8EZZZNS0_12_GLOBAL__N_116addr_kernel_cudaERNS_14TensorIteratorERKN3c106ScalarES8_ENKUlvE_clEvENKUlvE1_clEvEUliiiE_St5arrayIPcLm4EEEEviT0_T1_.uses_flat_scratch, 0
	.set _ZN2at6native29vectorized_elementwise_kernelILi8EZZZNS0_12_GLOBAL__N_116addr_kernel_cudaERNS_14TensorIteratorERKN3c106ScalarES8_ENKUlvE_clEvENKUlvE1_clEvEUliiiE_St5arrayIPcLm4EEEEviT0_T1_.has_dyn_sized_stack, 0
	.set _ZN2at6native29vectorized_elementwise_kernelILi8EZZZNS0_12_GLOBAL__N_116addr_kernel_cudaERNS_14TensorIteratorERKN3c106ScalarES8_ENKUlvE_clEvENKUlvE1_clEvEUliiiE_St5arrayIPcLm4EEEEviT0_T1_.has_recursion, 0
	.set _ZN2at6native29vectorized_elementwise_kernelILi8EZZZNS0_12_GLOBAL__N_116addr_kernel_cudaERNS_14TensorIteratorERKN3c106ScalarES8_ENKUlvE_clEvENKUlvE1_clEvEUliiiE_St5arrayIPcLm4EEEEviT0_T1_.has_indirect_call, 0
	.section	.AMDGPU.csdata,"",@progbits
; Kernel info:
; codeLenInByte = 1096
; TotalNumSgprs: 18
; NumVgprs: 15
; ScratchSize: 0
; MemoryBound: 0
; FloatMode: 240
; IeeeMode: 1
; LDSByteSize: 0 bytes/workgroup (compile time only)
; SGPRBlocks: 0
; VGPRBlocks: 0
; NumSGPRsForWavesPerEU: 18
; NumVGPRsForWavesPerEU: 15
; NamedBarCnt: 0
; Occupancy: 16
; WaveLimiterHint : 0
; COMPUTE_PGM_RSRC2:SCRATCH_EN: 0
; COMPUTE_PGM_RSRC2:USER_SGPR: 2
; COMPUTE_PGM_RSRC2:TRAP_HANDLER: 0
; COMPUTE_PGM_RSRC2:TGID_X_EN: 1
; COMPUTE_PGM_RSRC2:TGID_Y_EN: 0
; COMPUTE_PGM_RSRC2:TGID_Z_EN: 0
; COMPUTE_PGM_RSRC2:TIDIG_COMP_CNT: 0
	.section	.text._ZN2at6native29vectorized_elementwise_kernelILi4EZZZNS0_12_GLOBAL__N_116addr_kernel_cudaERNS_14TensorIteratorERKN3c106ScalarES8_ENKUlvE_clEvENKUlvE1_clEvEUliiiE_St5arrayIPcLm4EEEEviT0_T1_,"axG",@progbits,_ZN2at6native29vectorized_elementwise_kernelILi4EZZZNS0_12_GLOBAL__N_116addr_kernel_cudaERNS_14TensorIteratorERKN3c106ScalarES8_ENKUlvE_clEvENKUlvE1_clEvEUliiiE_St5arrayIPcLm4EEEEviT0_T1_,comdat
	.globl	_ZN2at6native29vectorized_elementwise_kernelILi4EZZZNS0_12_GLOBAL__N_116addr_kernel_cudaERNS_14TensorIteratorERKN3c106ScalarES8_ENKUlvE_clEvENKUlvE1_clEvEUliiiE_St5arrayIPcLm4EEEEviT0_T1_ ; -- Begin function _ZN2at6native29vectorized_elementwise_kernelILi4EZZZNS0_12_GLOBAL__N_116addr_kernel_cudaERNS_14TensorIteratorERKN3c106ScalarES8_ENKUlvE_clEvENKUlvE1_clEvEUliiiE_St5arrayIPcLm4EEEEviT0_T1_
	.p2align	8
	.type	_ZN2at6native29vectorized_elementwise_kernelILi4EZZZNS0_12_GLOBAL__N_116addr_kernel_cudaERNS_14TensorIteratorERKN3c106ScalarES8_ENKUlvE_clEvENKUlvE1_clEvEUliiiE_St5arrayIPcLm4EEEEviT0_T1_,@function
_ZN2at6native29vectorized_elementwise_kernelILi4EZZZNS0_12_GLOBAL__N_116addr_kernel_cudaERNS_14TensorIteratorERKN3c106ScalarES8_ENKUlvE_clEvENKUlvE1_clEvEUliiiE_St5arrayIPcLm4EEEEviT0_T1_: ; @_ZN2at6native29vectorized_elementwise_kernelILi4EZZZNS0_12_GLOBAL__N_116addr_kernel_cudaERNS_14TensorIteratorERKN3c106ScalarES8_ENKUlvE_clEvENKUlvE1_clEvEUliiiE_St5arrayIPcLm4EEEEviT0_T1_
; %bb.0:
	s_clause 0x1
	s_load_b128 s[4:7], s[0:1], 0x0
	s_load_b128 s[8:11], s[0:1], 0x18
	s_wait_xcnt 0x0
	s_bfe_u32 s0, ttmp6, 0x4000c
	s_and_b32 s1, ttmp6, 15
	s_add_co_i32 s0, s0, 1
	s_getreg_b32 s2, hwreg(HW_REG_IB_STS2, 6, 4)
	s_mul_i32 s0, ttmp9, s0
	s_delay_alu instid0(SALU_CYCLE_1) | instskip(SKIP_2) | instid1(SALU_CYCLE_1)
	s_add_co_i32 s1, s1, s0
	s_cmp_eq_u32 s2, 0
	s_cselect_b32 s0, ttmp9, s1
	s_lshl_b32 s2, s0, 10
	s_mov_b32 s0, -1
	s_wait_kmcnt 0x0
	s_sub_co_i32 s1, s4, s2
	s_delay_alu instid0(SALU_CYCLE_1)
	s_cmp_gt_i32 s1, 0x3ff
	s_cbranch_scc0 .LBB50_2
; %bb.1:
	s_ashr_i32 s3, s2, 31
	s_mov_b32 s0, 0
	s_lshl_b64 s[12:13], s[2:3], 2
	s_delay_alu instid0(SALU_CYCLE_1)
	s_add_nc_u64 s[14:15], s[8:9], s[12:13]
	global_load_b128 v[2:5], v0, s[14:15] scale_offset
	s_wait_xcnt 0x0
	s_add_nc_u64 s[14:15], s[10:11], s[12:13]
	s_add_nc_u64 s[12:13], s[6:7], s[12:13]
	global_load_b128 v[6:9], v0, s[14:15] scale_offset
	s_wait_loadcnt 0x1
	v_mul_lo_u32 v1, v3, s5
	v_mul_lo_u32 v2, v2, s5
	;; [unrolled: 1-line block ×4, first 2 shown]
	s_wait_loadcnt 0x0
	s_delay_alu instid0(VALU_DEP_4) | instskip(NEXT) | instid1(VALU_DEP_4)
	v_mul_lo_u32 v3, v1, v7
	v_mul_lo_u32 v2, v2, v6
	s_delay_alu instid0(VALU_DEP_4) | instskip(NEXT) | instid1(VALU_DEP_4)
	v_mul_lo_u32 v5, v5, v9
	v_mul_lo_u32 v4, v4, v8
	global_store_b128 v0, v[2:5], s[12:13] scale_offset
.LBB50_2:
	s_and_not1_b32 vcc_lo, exec_lo, s0
	s_cbranch_vccnz .LBB50_23
; %bb.3:
	v_cmp_gt_i32_e32 vcc_lo, s1, v0
	v_dual_mov_b32 v9, 0 :: v_dual_bitop2_b32 v1, s2, v0 bitop3:0x54
	v_or_b32_e32 v8, 0x100, v0
	s_wait_xcnt 0x0
	v_dual_mov_b32 v4, 0 :: v_dual_mov_b32 v10, 0
	v_dual_mov_b32 v3, 0 :: v_dual_mov_b32 v12, 0
	;; [unrolled: 1-line block ×3, first 2 shown]
	v_mov_b32_e32 v14, 0
	s_and_saveexec_b32 s3, vcc_lo
	s_cbranch_execz .LBB50_11
; %bb.4:
	s_clause 0x1
	global_load_b32 v13, v1, s[8:9] scale_offset
	global_load_b32 v14, v1, s[10:11] scale_offset
	v_or_b32_e32 v2, 0x100, v0
	v_dual_mov_b32 v11, 0 :: v_dual_mov_b32 v12, 0
	v_dual_mov_b32 v3, 0 :: v_dual_mov_b32 v10, 0
	;; [unrolled: 1-line block ×3, first 2 shown]
	s_mov_b32 s4, exec_lo
	s_wait_xcnt 0x0
	v_cmpx_gt_u32_e64 s1, v2
	s_cbranch_execz .LBB50_10
; %bb.5:
	v_dual_mov_b32 v3, 0 :: v_dual_add_nc_u32 v2, s2, v0
	v_or_b32_e32 v4, 0x200, v0
	v_dual_mov_b32 v10, 0 :: v_dual_mov_b32 v9, 0
	s_clause 0x1
	global_load_b32 v12, v2, s[8:9] offset:1024 scale_offset
	global_load_b32 v11, v2, s[10:11] offset:1024 scale_offset
	v_cmp_gt_u32_e64 s0, s1, v4
	v_mov_b32_e32 v4, 0
	s_wait_xcnt 0x0
	s_and_saveexec_b32 s12, s0
	s_cbranch_execz .LBB50_9
; %bb.6:
	v_lshlrev_b64_e32 v[6:7], 2, v[2:3]
	v_or_b32_e32 v9, 0x300, v0
	s_delay_alu instid0(VALU_DEP_1) | instskip(NEXT) | instid1(VALU_DEP_3)
	v_cmp_gt_u32_e64 s0, s1, v9
	v_add_nc_u64_e32 v[4:5], s[8:9], v[6:7]
	v_add_nc_u64_e32 v[6:7], s[10:11], v[6:7]
	v_mov_b32_e32 v9, 0
	global_load_b32 v10, v[4:5], off offset:2048
	global_load_b32 v2, v[6:7], off offset:2048
	s_wait_xcnt 0x0
	s_and_saveexec_b32 s8, s0
	s_cbranch_execz .LBB50_8
; %bb.7:
	global_load_b32 v9, v[4:5], off offset:3072
	global_load_b32 v3, v[6:7], off offset:3072
.LBB50_8:
	s_wait_xcnt 0x0
	s_or_b32 exec_lo, exec_lo, s8
	s_wait_loadcnt 0x0
	v_dual_mov_b32 v4, v3 :: v_dual_mov_b32 v3, v2
.LBB50_9:
	s_or_b32 exec_lo, exec_lo, s12
.LBB50_10:
	s_delay_alu instid0(SALU_CYCLE_1) | instskip(NEXT) | instid1(SALU_CYCLE_1)
	s_or_b32 exec_lo, exec_lo, s4
	s_or_b32 exec_lo, exec_lo, s3
                                        ; implicit-def: $vgpr2
	s_and_saveexec_b32 s0, vcc_lo
	s_cbranch_execz .LBB50_13
	s_branch .LBB50_12
.LBB50_11:
	s_or_b32 exec_lo, exec_lo, s3
                                        ; implicit-def: $vgpr2
	s_and_saveexec_b32 s0, vcc_lo
	s_cbranch_execz .LBB50_13
.LBB50_12:
	s_wait_loadcnt 0x1
	v_mul_lo_u32 v2, v13, s5
	s_wait_loadcnt 0x0
	s_delay_alu instid0(VALU_DEP_1)
	v_mul_lo_u32 v2, v2, v14
.LBB50_13:
	s_or_b32 exec_lo, exec_lo, s0
	s_delay_alu instid0(SALU_CYCLE_1)
	s_mov_b32 s3, exec_lo
                                        ; implicit-def: $vgpr5
	v_cmpx_gt_i32_e64 s1, v8
	s_cbranch_execz .LBB50_15
; %bb.14:
	s_wait_loadcnt 0x1
	v_mul_lo_u32 v5, v12, s5
	s_wait_loadcnt 0x0
	s_delay_alu instid0(VALU_DEP_1)
	v_mul_lo_u32 v5, v5, v11
.LBB50_15:
	s_or_b32 exec_lo, exec_lo, s3
	v_or_b32_e32 v6, 0x200, v0
	s_delay_alu instid0(VALU_DEP_1)
	v_cmp_gt_i32_e64 s0, s1, v6
                                        ; implicit-def: $vgpr6
	s_and_saveexec_b32 s3, s0
; %bb.16:
	v_mul_lo_u32 v6, v10, s5
	s_delay_alu instid0(VALU_DEP_1)
	v_mul_lo_u32 v6, v6, v3
; %bb.17:
	s_or_b32 exec_lo, exec_lo, s3
	v_or_b32_e32 v3, 0x300, v0
	s_delay_alu instid0(VALU_DEP_1)
	v_cmp_gt_i32_e64 s0, s1, v3
                                        ; implicit-def: $vgpr3
	s_and_saveexec_b32 s3, s0
	s_cbranch_execz .LBB50_24
; %bb.18:
	v_mul_lo_u32 v3, v9, s5
	s_delay_alu instid0(VALU_DEP_1) | instskip(SKIP_2) | instid1(SALU_CYCLE_1)
	v_mul_lo_u32 v3, v3, v4
	s_or_b32 exec_lo, exec_lo, s3
	s_and_saveexec_b32 s0, vcc_lo
	s_xor_b32 s0, exec_lo, s0
	s_cbranch_execnz .LBB50_25
.LBB50_19:
	s_or_b32 exec_lo, exec_lo, s0
	s_delay_alu instid0(SALU_CYCLE_1)
	s_mov_b32 s0, exec_lo
	v_cmpx_gt_i32_e64 s1, v0
	s_cbranch_execz .LBB50_26
.LBB50_20:
	v_add_nc_u32_e32 v1, s2, v0
	v_add_nc_u32_e32 v0, 0x100, v0
	global_store_b32 v1, v5, s[6:7] scale_offset
	s_wait_xcnt 0x0
	s_or_b32 exec_lo, exec_lo, s0
	s_delay_alu instid0(SALU_CYCLE_1)
	s_mov_b32 s0, exec_lo
	v_cmpx_gt_i32_e64 s1, v0
	s_cbranch_execnz .LBB50_27
.LBB50_21:
	s_or_b32 exec_lo, exec_lo, s0
	s_delay_alu instid0(SALU_CYCLE_1)
	s_mov_b32 s0, exec_lo
	v_cmpx_gt_i32_e64 s1, v0
	s_cbranch_execz .LBB50_23
.LBB50_22:
	v_add_nc_u32_e32 v0, s2, v0
	global_store_b32 v0, v3, s[6:7] scale_offset
.LBB50_23:
	s_endpgm
.LBB50_24:
	s_or_b32 exec_lo, exec_lo, s3
	s_and_saveexec_b32 s0, vcc_lo
	s_delay_alu instid0(SALU_CYCLE_1)
	s_xor_b32 s0, exec_lo, s0
	s_cbranch_execz .LBB50_19
.LBB50_25:
	v_mov_b32_e32 v0, v8
	global_store_b32 v1, v2, s[6:7] scale_offset
	s_wait_xcnt 0x0
	s_or_b32 exec_lo, exec_lo, s0
	s_delay_alu instid0(SALU_CYCLE_1)
	s_mov_b32 s0, exec_lo
	v_cmpx_gt_i32_e64 s1, v0
	s_cbranch_execnz .LBB50_20
.LBB50_26:
	s_or_b32 exec_lo, exec_lo, s0
	s_delay_alu instid0(SALU_CYCLE_1)
	s_mov_b32 s0, exec_lo
	v_cmpx_gt_i32_e64 s1, v0
	s_cbranch_execz .LBB50_21
.LBB50_27:
	v_add_nc_u32_e32 v1, s2, v0
	v_add_nc_u32_e32 v0, 0x100, v0
	global_store_b32 v1, v6, s[6:7] scale_offset
	s_wait_xcnt 0x0
	s_or_b32 exec_lo, exec_lo, s0
	s_delay_alu instid0(SALU_CYCLE_1)
	s_mov_b32 s0, exec_lo
	v_cmpx_gt_i32_e64 s1, v0
	s_cbranch_execnz .LBB50_22
	s_branch .LBB50_23
	.section	.rodata,"a",@progbits
	.p2align	6, 0x0
	.amdhsa_kernel _ZN2at6native29vectorized_elementwise_kernelILi4EZZZNS0_12_GLOBAL__N_116addr_kernel_cudaERNS_14TensorIteratorERKN3c106ScalarES8_ENKUlvE_clEvENKUlvE1_clEvEUliiiE_St5arrayIPcLm4EEEEviT0_T1_
		.amdhsa_group_segment_fixed_size 0
		.amdhsa_private_segment_fixed_size 0
		.amdhsa_kernarg_size 40
		.amdhsa_user_sgpr_count 2
		.amdhsa_user_sgpr_dispatch_ptr 0
		.amdhsa_user_sgpr_queue_ptr 0
		.amdhsa_user_sgpr_kernarg_segment_ptr 1
		.amdhsa_user_sgpr_dispatch_id 0
		.amdhsa_user_sgpr_kernarg_preload_length 0
		.amdhsa_user_sgpr_kernarg_preload_offset 0
		.amdhsa_user_sgpr_private_segment_size 0
		.amdhsa_wavefront_size32 1
		.amdhsa_uses_dynamic_stack 0
		.amdhsa_enable_private_segment 0
		.amdhsa_system_sgpr_workgroup_id_x 1
		.amdhsa_system_sgpr_workgroup_id_y 0
		.amdhsa_system_sgpr_workgroup_id_z 0
		.amdhsa_system_sgpr_workgroup_info 0
		.amdhsa_system_vgpr_workitem_id 0
		.amdhsa_next_free_vgpr 15
		.amdhsa_next_free_sgpr 16
		.amdhsa_named_barrier_count 0
		.amdhsa_reserve_vcc 1
		.amdhsa_float_round_mode_32 0
		.amdhsa_float_round_mode_16_64 0
		.amdhsa_float_denorm_mode_32 3
		.amdhsa_float_denorm_mode_16_64 3
		.amdhsa_fp16_overflow 0
		.amdhsa_memory_ordered 1
		.amdhsa_forward_progress 1
		.amdhsa_inst_pref_size 9
		.amdhsa_round_robin_scheduling 0
		.amdhsa_exception_fp_ieee_invalid_op 0
		.amdhsa_exception_fp_denorm_src 0
		.amdhsa_exception_fp_ieee_div_zero 0
		.amdhsa_exception_fp_ieee_overflow 0
		.amdhsa_exception_fp_ieee_underflow 0
		.amdhsa_exception_fp_ieee_inexact 0
		.amdhsa_exception_int_div_zero 0
	.end_amdhsa_kernel
	.section	.text._ZN2at6native29vectorized_elementwise_kernelILi4EZZZNS0_12_GLOBAL__N_116addr_kernel_cudaERNS_14TensorIteratorERKN3c106ScalarES8_ENKUlvE_clEvENKUlvE1_clEvEUliiiE_St5arrayIPcLm4EEEEviT0_T1_,"axG",@progbits,_ZN2at6native29vectorized_elementwise_kernelILi4EZZZNS0_12_GLOBAL__N_116addr_kernel_cudaERNS_14TensorIteratorERKN3c106ScalarES8_ENKUlvE_clEvENKUlvE1_clEvEUliiiE_St5arrayIPcLm4EEEEviT0_T1_,comdat
.Lfunc_end50:
	.size	_ZN2at6native29vectorized_elementwise_kernelILi4EZZZNS0_12_GLOBAL__N_116addr_kernel_cudaERNS_14TensorIteratorERKN3c106ScalarES8_ENKUlvE_clEvENKUlvE1_clEvEUliiiE_St5arrayIPcLm4EEEEviT0_T1_, .Lfunc_end50-_ZN2at6native29vectorized_elementwise_kernelILi4EZZZNS0_12_GLOBAL__N_116addr_kernel_cudaERNS_14TensorIteratorERKN3c106ScalarES8_ENKUlvE_clEvENKUlvE1_clEvEUliiiE_St5arrayIPcLm4EEEEviT0_T1_
                                        ; -- End function
	.set _ZN2at6native29vectorized_elementwise_kernelILi4EZZZNS0_12_GLOBAL__N_116addr_kernel_cudaERNS_14TensorIteratorERKN3c106ScalarES8_ENKUlvE_clEvENKUlvE1_clEvEUliiiE_St5arrayIPcLm4EEEEviT0_T1_.num_vgpr, 15
	.set _ZN2at6native29vectorized_elementwise_kernelILi4EZZZNS0_12_GLOBAL__N_116addr_kernel_cudaERNS_14TensorIteratorERKN3c106ScalarES8_ENKUlvE_clEvENKUlvE1_clEvEUliiiE_St5arrayIPcLm4EEEEviT0_T1_.num_agpr, 0
	.set _ZN2at6native29vectorized_elementwise_kernelILi4EZZZNS0_12_GLOBAL__N_116addr_kernel_cudaERNS_14TensorIteratorERKN3c106ScalarES8_ENKUlvE_clEvENKUlvE1_clEvEUliiiE_St5arrayIPcLm4EEEEviT0_T1_.numbered_sgpr, 16
	.set _ZN2at6native29vectorized_elementwise_kernelILi4EZZZNS0_12_GLOBAL__N_116addr_kernel_cudaERNS_14TensorIteratorERKN3c106ScalarES8_ENKUlvE_clEvENKUlvE1_clEvEUliiiE_St5arrayIPcLm4EEEEviT0_T1_.num_named_barrier, 0
	.set _ZN2at6native29vectorized_elementwise_kernelILi4EZZZNS0_12_GLOBAL__N_116addr_kernel_cudaERNS_14TensorIteratorERKN3c106ScalarES8_ENKUlvE_clEvENKUlvE1_clEvEUliiiE_St5arrayIPcLm4EEEEviT0_T1_.private_seg_size, 0
	.set _ZN2at6native29vectorized_elementwise_kernelILi4EZZZNS0_12_GLOBAL__N_116addr_kernel_cudaERNS_14TensorIteratorERKN3c106ScalarES8_ENKUlvE_clEvENKUlvE1_clEvEUliiiE_St5arrayIPcLm4EEEEviT0_T1_.uses_vcc, 1
	.set _ZN2at6native29vectorized_elementwise_kernelILi4EZZZNS0_12_GLOBAL__N_116addr_kernel_cudaERNS_14TensorIteratorERKN3c106ScalarES8_ENKUlvE_clEvENKUlvE1_clEvEUliiiE_St5arrayIPcLm4EEEEviT0_T1_.uses_flat_scratch, 0
	.set _ZN2at6native29vectorized_elementwise_kernelILi4EZZZNS0_12_GLOBAL__N_116addr_kernel_cudaERNS_14TensorIteratorERKN3c106ScalarES8_ENKUlvE_clEvENKUlvE1_clEvEUliiiE_St5arrayIPcLm4EEEEviT0_T1_.has_dyn_sized_stack, 0
	.set _ZN2at6native29vectorized_elementwise_kernelILi4EZZZNS0_12_GLOBAL__N_116addr_kernel_cudaERNS_14TensorIteratorERKN3c106ScalarES8_ENKUlvE_clEvENKUlvE1_clEvEUliiiE_St5arrayIPcLm4EEEEviT0_T1_.has_recursion, 0
	.set _ZN2at6native29vectorized_elementwise_kernelILi4EZZZNS0_12_GLOBAL__N_116addr_kernel_cudaERNS_14TensorIteratorERKN3c106ScalarES8_ENKUlvE_clEvENKUlvE1_clEvEUliiiE_St5arrayIPcLm4EEEEviT0_T1_.has_indirect_call, 0
	.section	.AMDGPU.csdata,"",@progbits
; Kernel info:
; codeLenInByte = 1096
; TotalNumSgprs: 18
; NumVgprs: 15
; ScratchSize: 0
; MemoryBound: 0
; FloatMode: 240
; IeeeMode: 1
; LDSByteSize: 0 bytes/workgroup (compile time only)
; SGPRBlocks: 0
; VGPRBlocks: 0
; NumSGPRsForWavesPerEU: 18
; NumVGPRsForWavesPerEU: 15
; NamedBarCnt: 0
; Occupancy: 16
; WaveLimiterHint : 0
; COMPUTE_PGM_RSRC2:SCRATCH_EN: 0
; COMPUTE_PGM_RSRC2:USER_SGPR: 2
; COMPUTE_PGM_RSRC2:TRAP_HANDLER: 0
; COMPUTE_PGM_RSRC2:TGID_X_EN: 1
; COMPUTE_PGM_RSRC2:TGID_Y_EN: 0
; COMPUTE_PGM_RSRC2:TGID_Z_EN: 0
; COMPUTE_PGM_RSRC2:TIDIG_COMP_CNT: 0
	.section	.text._ZN2at6native29vectorized_elementwise_kernelILi2EZZZNS0_12_GLOBAL__N_116addr_kernel_cudaERNS_14TensorIteratorERKN3c106ScalarES8_ENKUlvE_clEvENKUlvE1_clEvEUliiiE_St5arrayIPcLm4EEEEviT0_T1_,"axG",@progbits,_ZN2at6native29vectorized_elementwise_kernelILi2EZZZNS0_12_GLOBAL__N_116addr_kernel_cudaERNS_14TensorIteratorERKN3c106ScalarES8_ENKUlvE_clEvENKUlvE1_clEvEUliiiE_St5arrayIPcLm4EEEEviT0_T1_,comdat
	.globl	_ZN2at6native29vectorized_elementwise_kernelILi2EZZZNS0_12_GLOBAL__N_116addr_kernel_cudaERNS_14TensorIteratorERKN3c106ScalarES8_ENKUlvE_clEvENKUlvE1_clEvEUliiiE_St5arrayIPcLm4EEEEviT0_T1_ ; -- Begin function _ZN2at6native29vectorized_elementwise_kernelILi2EZZZNS0_12_GLOBAL__N_116addr_kernel_cudaERNS_14TensorIteratorERKN3c106ScalarES8_ENKUlvE_clEvENKUlvE1_clEvEUliiiE_St5arrayIPcLm4EEEEviT0_T1_
	.p2align	8
	.type	_ZN2at6native29vectorized_elementwise_kernelILi2EZZZNS0_12_GLOBAL__N_116addr_kernel_cudaERNS_14TensorIteratorERKN3c106ScalarES8_ENKUlvE_clEvENKUlvE1_clEvEUliiiE_St5arrayIPcLm4EEEEviT0_T1_,@function
_ZN2at6native29vectorized_elementwise_kernelILi2EZZZNS0_12_GLOBAL__N_116addr_kernel_cudaERNS_14TensorIteratorERKN3c106ScalarES8_ENKUlvE_clEvENKUlvE1_clEvEUliiiE_St5arrayIPcLm4EEEEviT0_T1_: ; @_ZN2at6native29vectorized_elementwise_kernelILi2EZZZNS0_12_GLOBAL__N_116addr_kernel_cudaERNS_14TensorIteratorERKN3c106ScalarES8_ENKUlvE_clEvENKUlvE1_clEvEUliiiE_St5arrayIPcLm4EEEEviT0_T1_
; %bb.0:
	s_clause 0x1
	s_load_b128 s[4:7], s[0:1], 0x0
	s_load_b128 s[8:11], s[0:1], 0x18
	s_wait_xcnt 0x0
	s_bfe_u32 s0, ttmp6, 0x4000c
	s_and_b32 s1, ttmp6, 15
	s_add_co_i32 s0, s0, 1
	s_getreg_b32 s2, hwreg(HW_REG_IB_STS2, 6, 4)
	s_mul_i32 s0, ttmp9, s0
	s_delay_alu instid0(SALU_CYCLE_1) | instskip(SKIP_2) | instid1(SALU_CYCLE_1)
	s_add_co_i32 s1, s1, s0
	s_cmp_eq_u32 s2, 0
	s_cselect_b32 s0, ttmp9, s1
	s_lshl_b32 s2, s0, 10
	s_mov_b32 s0, -1
	s_wait_kmcnt 0x0
	s_sub_co_i32 s1, s4, s2
	s_delay_alu instid0(SALU_CYCLE_1)
	s_cmp_gt_i32 s1, 0x3ff
	s_cbranch_scc0 .LBB51_2
; %bb.1:
	s_ashr_i32 s3, s2, 31
	s_mov_b32 s0, 0
	s_lshl_b64 s[12:13], s[2:3], 2
	s_delay_alu instid0(SALU_CYCLE_1)
	s_add_nc_u64 s[14:15], s[8:9], s[12:13]
	s_clause 0x1
	global_load_b64 v[2:3], v0, s[14:15] scale_offset
	global_load_b64 v[4:5], v0, s[14:15] offset:2048 scale_offset
	s_wait_xcnt 0x0
	s_add_nc_u64 s[14:15], s[10:11], s[12:13]
	s_clause 0x1
	global_load_b64 v[6:7], v0, s[14:15] scale_offset
	global_load_b64 v[8:9], v0, s[14:15] offset:2048 scale_offset
	s_add_nc_u64 s[12:13], s[6:7], s[12:13]
	s_wait_loadcnt 0x3
	v_mul_lo_u32 v1, v2, s5
	v_mul_lo_u32 v3, v3, s5
	s_wait_loadcnt 0x2
	v_mul_lo_u32 v4, v4, s5
	v_mul_lo_u32 v5, v5, s5
	s_wait_loadcnt 0x1
	s_delay_alu instid0(VALU_DEP_4) | instskip(NEXT) | instid1(VALU_DEP_4)
	v_mul_lo_u32 v2, v1, v6
	v_mul_lo_u32 v3, v3, v7
	s_wait_loadcnt 0x0
	s_delay_alu instid0(VALU_DEP_4) | instskip(NEXT) | instid1(VALU_DEP_4)
	v_mul_lo_u32 v4, v4, v8
	v_mul_lo_u32 v5, v5, v9
	s_clause 0x1
	global_store_b64 v0, v[2:3], s[12:13] scale_offset
	global_store_b64 v0, v[4:5], s[12:13] offset:2048 scale_offset
.LBB51_2:
	s_and_not1_b32 vcc_lo, exec_lo, s0
	s_cbranch_vccnz .LBB51_23
; %bb.3:
	v_cmp_gt_i32_e32 vcc_lo, s1, v0
	v_dual_mov_b32 v9, 0 :: v_dual_bitop2_b32 v1, s2, v0 bitop3:0x54
	v_or_b32_e32 v8, 0x100, v0
	s_wait_xcnt 0x0
	v_dual_mov_b32 v4, 0 :: v_dual_mov_b32 v10, 0
	v_dual_mov_b32 v3, 0 :: v_dual_mov_b32 v12, 0
	;; [unrolled: 1-line block ×3, first 2 shown]
	v_mov_b32_e32 v14, 0
	s_and_saveexec_b32 s3, vcc_lo
	s_cbranch_execz .LBB51_11
; %bb.4:
	s_clause 0x1
	global_load_b32 v13, v1, s[8:9] scale_offset
	global_load_b32 v14, v1, s[10:11] scale_offset
	v_or_b32_e32 v2, 0x100, v0
	v_dual_mov_b32 v11, 0 :: v_dual_mov_b32 v12, 0
	v_dual_mov_b32 v3, 0 :: v_dual_mov_b32 v10, 0
	;; [unrolled: 1-line block ×3, first 2 shown]
	s_mov_b32 s4, exec_lo
	s_wait_xcnt 0x0
	v_cmpx_gt_u32_e64 s1, v2
	s_cbranch_execz .LBB51_10
; %bb.5:
	v_dual_mov_b32 v3, 0 :: v_dual_add_nc_u32 v2, s2, v0
	v_or_b32_e32 v4, 0x200, v0
	v_dual_mov_b32 v10, 0 :: v_dual_mov_b32 v9, 0
	s_clause 0x1
	global_load_b32 v12, v2, s[8:9] offset:1024 scale_offset
	global_load_b32 v11, v2, s[10:11] offset:1024 scale_offset
	v_cmp_gt_u32_e64 s0, s1, v4
	v_mov_b32_e32 v4, 0
	s_wait_xcnt 0x0
	s_and_saveexec_b32 s12, s0
	s_cbranch_execz .LBB51_9
; %bb.6:
	v_lshlrev_b64_e32 v[6:7], 2, v[2:3]
	v_or_b32_e32 v9, 0x300, v0
	s_delay_alu instid0(VALU_DEP_1) | instskip(NEXT) | instid1(VALU_DEP_3)
	v_cmp_gt_u32_e64 s0, s1, v9
	v_add_nc_u64_e32 v[4:5], s[8:9], v[6:7]
	v_add_nc_u64_e32 v[6:7], s[10:11], v[6:7]
	v_mov_b32_e32 v9, 0
	global_load_b32 v10, v[4:5], off offset:2048
	global_load_b32 v2, v[6:7], off offset:2048
	s_wait_xcnt 0x0
	s_and_saveexec_b32 s8, s0
	s_cbranch_execz .LBB51_8
; %bb.7:
	global_load_b32 v9, v[4:5], off offset:3072
	global_load_b32 v3, v[6:7], off offset:3072
.LBB51_8:
	s_wait_xcnt 0x0
	s_or_b32 exec_lo, exec_lo, s8
	s_wait_loadcnt 0x0
	v_dual_mov_b32 v4, v3 :: v_dual_mov_b32 v3, v2
.LBB51_9:
	s_or_b32 exec_lo, exec_lo, s12
.LBB51_10:
	s_delay_alu instid0(SALU_CYCLE_1) | instskip(NEXT) | instid1(SALU_CYCLE_1)
	s_or_b32 exec_lo, exec_lo, s4
	s_or_b32 exec_lo, exec_lo, s3
                                        ; implicit-def: $vgpr2
	s_and_saveexec_b32 s0, vcc_lo
	s_cbranch_execz .LBB51_13
	s_branch .LBB51_12
.LBB51_11:
	s_or_b32 exec_lo, exec_lo, s3
                                        ; implicit-def: $vgpr2
	s_and_saveexec_b32 s0, vcc_lo
	s_cbranch_execz .LBB51_13
.LBB51_12:
	s_wait_loadcnt 0x1
	v_mul_lo_u32 v2, v13, s5
	s_wait_loadcnt 0x0
	s_delay_alu instid0(VALU_DEP_1)
	v_mul_lo_u32 v2, v2, v14
.LBB51_13:
	s_or_b32 exec_lo, exec_lo, s0
	s_delay_alu instid0(SALU_CYCLE_1)
	s_mov_b32 s3, exec_lo
                                        ; implicit-def: $vgpr5
	v_cmpx_gt_i32_e64 s1, v8
	s_cbranch_execz .LBB51_15
; %bb.14:
	s_wait_loadcnt 0x1
	v_mul_lo_u32 v5, v12, s5
	s_wait_loadcnt 0x0
	s_delay_alu instid0(VALU_DEP_1)
	v_mul_lo_u32 v5, v5, v11
.LBB51_15:
	s_or_b32 exec_lo, exec_lo, s3
	v_or_b32_e32 v6, 0x200, v0
	s_delay_alu instid0(VALU_DEP_1)
	v_cmp_gt_i32_e64 s0, s1, v6
                                        ; implicit-def: $vgpr6
	s_and_saveexec_b32 s3, s0
; %bb.16:
	v_mul_lo_u32 v6, v10, s5
	s_delay_alu instid0(VALU_DEP_1)
	v_mul_lo_u32 v6, v6, v3
; %bb.17:
	s_or_b32 exec_lo, exec_lo, s3
	v_or_b32_e32 v3, 0x300, v0
	s_delay_alu instid0(VALU_DEP_1)
	v_cmp_gt_i32_e64 s0, s1, v3
                                        ; implicit-def: $vgpr3
	s_and_saveexec_b32 s3, s0
	s_cbranch_execz .LBB51_24
; %bb.18:
	v_mul_lo_u32 v3, v9, s5
	s_delay_alu instid0(VALU_DEP_1) | instskip(SKIP_2) | instid1(SALU_CYCLE_1)
	v_mul_lo_u32 v3, v3, v4
	s_or_b32 exec_lo, exec_lo, s3
	s_and_saveexec_b32 s0, vcc_lo
	s_xor_b32 s0, exec_lo, s0
	s_cbranch_execnz .LBB51_25
.LBB51_19:
	s_or_b32 exec_lo, exec_lo, s0
	s_delay_alu instid0(SALU_CYCLE_1)
	s_mov_b32 s0, exec_lo
	v_cmpx_gt_i32_e64 s1, v0
	s_cbranch_execz .LBB51_26
.LBB51_20:
	v_add_nc_u32_e32 v1, s2, v0
	v_add_nc_u32_e32 v0, 0x100, v0
	global_store_b32 v1, v5, s[6:7] scale_offset
	s_wait_xcnt 0x0
	s_or_b32 exec_lo, exec_lo, s0
	s_delay_alu instid0(SALU_CYCLE_1)
	s_mov_b32 s0, exec_lo
	v_cmpx_gt_i32_e64 s1, v0
	s_cbranch_execnz .LBB51_27
.LBB51_21:
	s_or_b32 exec_lo, exec_lo, s0
	s_delay_alu instid0(SALU_CYCLE_1)
	s_mov_b32 s0, exec_lo
	v_cmpx_gt_i32_e64 s1, v0
	s_cbranch_execz .LBB51_23
.LBB51_22:
	v_add_nc_u32_e32 v0, s2, v0
	global_store_b32 v0, v3, s[6:7] scale_offset
.LBB51_23:
	s_endpgm
.LBB51_24:
	s_or_b32 exec_lo, exec_lo, s3
	s_and_saveexec_b32 s0, vcc_lo
	s_delay_alu instid0(SALU_CYCLE_1)
	s_xor_b32 s0, exec_lo, s0
	s_cbranch_execz .LBB51_19
.LBB51_25:
	v_mov_b32_e32 v0, v8
	global_store_b32 v1, v2, s[6:7] scale_offset
	s_wait_xcnt 0x0
	s_or_b32 exec_lo, exec_lo, s0
	s_delay_alu instid0(SALU_CYCLE_1)
	s_mov_b32 s0, exec_lo
	v_cmpx_gt_i32_e64 s1, v0
	s_cbranch_execnz .LBB51_20
.LBB51_26:
	s_or_b32 exec_lo, exec_lo, s0
	s_delay_alu instid0(SALU_CYCLE_1)
	s_mov_b32 s0, exec_lo
	v_cmpx_gt_i32_e64 s1, v0
	s_cbranch_execz .LBB51_21
.LBB51_27:
	v_add_nc_u32_e32 v1, s2, v0
	v_add_nc_u32_e32 v0, 0x100, v0
	global_store_b32 v1, v6, s[6:7] scale_offset
	s_wait_xcnt 0x0
	s_or_b32 exec_lo, exec_lo, s0
	s_delay_alu instid0(SALU_CYCLE_1)
	s_mov_b32 s0, exec_lo
	v_cmpx_gt_i32_e64 s1, v0
	s_cbranch_execnz .LBB51_22
	s_branch .LBB51_23
	.section	.rodata,"a",@progbits
	.p2align	6, 0x0
	.amdhsa_kernel _ZN2at6native29vectorized_elementwise_kernelILi2EZZZNS0_12_GLOBAL__N_116addr_kernel_cudaERNS_14TensorIteratorERKN3c106ScalarES8_ENKUlvE_clEvENKUlvE1_clEvEUliiiE_St5arrayIPcLm4EEEEviT0_T1_
		.amdhsa_group_segment_fixed_size 0
		.amdhsa_private_segment_fixed_size 0
		.amdhsa_kernarg_size 40
		.amdhsa_user_sgpr_count 2
		.amdhsa_user_sgpr_dispatch_ptr 0
		.amdhsa_user_sgpr_queue_ptr 0
		.amdhsa_user_sgpr_kernarg_segment_ptr 1
		.amdhsa_user_sgpr_dispatch_id 0
		.amdhsa_user_sgpr_kernarg_preload_length 0
		.amdhsa_user_sgpr_kernarg_preload_offset 0
		.amdhsa_user_sgpr_private_segment_size 0
		.amdhsa_wavefront_size32 1
		.amdhsa_uses_dynamic_stack 0
		.amdhsa_enable_private_segment 0
		.amdhsa_system_sgpr_workgroup_id_x 1
		.amdhsa_system_sgpr_workgroup_id_y 0
		.amdhsa_system_sgpr_workgroup_id_z 0
		.amdhsa_system_sgpr_workgroup_info 0
		.amdhsa_system_vgpr_workitem_id 0
		.amdhsa_next_free_vgpr 15
		.amdhsa_next_free_sgpr 16
		.amdhsa_named_barrier_count 0
		.amdhsa_reserve_vcc 1
		.amdhsa_float_round_mode_32 0
		.amdhsa_float_round_mode_16_64 0
		.amdhsa_float_denorm_mode_32 3
		.amdhsa_float_denorm_mode_16_64 3
		.amdhsa_fp16_overflow 0
		.amdhsa_memory_ordered 1
		.amdhsa_forward_progress 1
		.amdhsa_inst_pref_size 9
		.amdhsa_round_robin_scheduling 0
		.amdhsa_exception_fp_ieee_invalid_op 0
		.amdhsa_exception_fp_denorm_src 0
		.amdhsa_exception_fp_ieee_div_zero 0
		.amdhsa_exception_fp_ieee_overflow 0
		.amdhsa_exception_fp_ieee_underflow 0
		.amdhsa_exception_fp_ieee_inexact 0
		.amdhsa_exception_int_div_zero 0
	.end_amdhsa_kernel
	.section	.text._ZN2at6native29vectorized_elementwise_kernelILi2EZZZNS0_12_GLOBAL__N_116addr_kernel_cudaERNS_14TensorIteratorERKN3c106ScalarES8_ENKUlvE_clEvENKUlvE1_clEvEUliiiE_St5arrayIPcLm4EEEEviT0_T1_,"axG",@progbits,_ZN2at6native29vectorized_elementwise_kernelILi2EZZZNS0_12_GLOBAL__N_116addr_kernel_cudaERNS_14TensorIteratorERKN3c106ScalarES8_ENKUlvE_clEvENKUlvE1_clEvEUliiiE_St5arrayIPcLm4EEEEviT0_T1_,comdat
.Lfunc_end51:
	.size	_ZN2at6native29vectorized_elementwise_kernelILi2EZZZNS0_12_GLOBAL__N_116addr_kernel_cudaERNS_14TensorIteratorERKN3c106ScalarES8_ENKUlvE_clEvENKUlvE1_clEvEUliiiE_St5arrayIPcLm4EEEEviT0_T1_, .Lfunc_end51-_ZN2at6native29vectorized_elementwise_kernelILi2EZZZNS0_12_GLOBAL__N_116addr_kernel_cudaERNS_14TensorIteratorERKN3c106ScalarES8_ENKUlvE_clEvENKUlvE1_clEvEUliiiE_St5arrayIPcLm4EEEEviT0_T1_
                                        ; -- End function
	.set _ZN2at6native29vectorized_elementwise_kernelILi2EZZZNS0_12_GLOBAL__N_116addr_kernel_cudaERNS_14TensorIteratorERKN3c106ScalarES8_ENKUlvE_clEvENKUlvE1_clEvEUliiiE_St5arrayIPcLm4EEEEviT0_T1_.num_vgpr, 15
	.set _ZN2at6native29vectorized_elementwise_kernelILi2EZZZNS0_12_GLOBAL__N_116addr_kernel_cudaERNS_14TensorIteratorERKN3c106ScalarES8_ENKUlvE_clEvENKUlvE1_clEvEUliiiE_St5arrayIPcLm4EEEEviT0_T1_.num_agpr, 0
	.set _ZN2at6native29vectorized_elementwise_kernelILi2EZZZNS0_12_GLOBAL__N_116addr_kernel_cudaERNS_14TensorIteratorERKN3c106ScalarES8_ENKUlvE_clEvENKUlvE1_clEvEUliiiE_St5arrayIPcLm4EEEEviT0_T1_.numbered_sgpr, 16
	.set _ZN2at6native29vectorized_elementwise_kernelILi2EZZZNS0_12_GLOBAL__N_116addr_kernel_cudaERNS_14TensorIteratorERKN3c106ScalarES8_ENKUlvE_clEvENKUlvE1_clEvEUliiiE_St5arrayIPcLm4EEEEviT0_T1_.num_named_barrier, 0
	.set _ZN2at6native29vectorized_elementwise_kernelILi2EZZZNS0_12_GLOBAL__N_116addr_kernel_cudaERNS_14TensorIteratorERKN3c106ScalarES8_ENKUlvE_clEvENKUlvE1_clEvEUliiiE_St5arrayIPcLm4EEEEviT0_T1_.private_seg_size, 0
	.set _ZN2at6native29vectorized_elementwise_kernelILi2EZZZNS0_12_GLOBAL__N_116addr_kernel_cudaERNS_14TensorIteratorERKN3c106ScalarES8_ENKUlvE_clEvENKUlvE1_clEvEUliiiE_St5arrayIPcLm4EEEEviT0_T1_.uses_vcc, 1
	.set _ZN2at6native29vectorized_elementwise_kernelILi2EZZZNS0_12_GLOBAL__N_116addr_kernel_cudaERNS_14TensorIteratorERKN3c106ScalarES8_ENKUlvE_clEvENKUlvE1_clEvEUliiiE_St5arrayIPcLm4EEEEviT0_T1_.uses_flat_scratch, 0
	.set _ZN2at6native29vectorized_elementwise_kernelILi2EZZZNS0_12_GLOBAL__N_116addr_kernel_cudaERNS_14TensorIteratorERKN3c106ScalarES8_ENKUlvE_clEvENKUlvE1_clEvEUliiiE_St5arrayIPcLm4EEEEviT0_T1_.has_dyn_sized_stack, 0
	.set _ZN2at6native29vectorized_elementwise_kernelILi2EZZZNS0_12_GLOBAL__N_116addr_kernel_cudaERNS_14TensorIteratorERKN3c106ScalarES8_ENKUlvE_clEvENKUlvE1_clEvEUliiiE_St5arrayIPcLm4EEEEviT0_T1_.has_recursion, 0
	.set _ZN2at6native29vectorized_elementwise_kernelILi2EZZZNS0_12_GLOBAL__N_116addr_kernel_cudaERNS_14TensorIteratorERKN3c106ScalarES8_ENKUlvE_clEvENKUlvE1_clEvEUliiiE_St5arrayIPcLm4EEEEviT0_T1_.has_indirect_call, 0
	.section	.AMDGPU.csdata,"",@progbits
; Kernel info:
; codeLenInByte = 1152
; TotalNumSgprs: 18
; NumVgprs: 15
; ScratchSize: 0
; MemoryBound: 0
; FloatMode: 240
; IeeeMode: 1
; LDSByteSize: 0 bytes/workgroup (compile time only)
; SGPRBlocks: 0
; VGPRBlocks: 0
; NumSGPRsForWavesPerEU: 18
; NumVGPRsForWavesPerEU: 15
; NamedBarCnt: 0
; Occupancy: 16
; WaveLimiterHint : 1
; COMPUTE_PGM_RSRC2:SCRATCH_EN: 0
; COMPUTE_PGM_RSRC2:USER_SGPR: 2
; COMPUTE_PGM_RSRC2:TRAP_HANDLER: 0
; COMPUTE_PGM_RSRC2:TGID_X_EN: 1
; COMPUTE_PGM_RSRC2:TGID_Y_EN: 0
; COMPUTE_PGM_RSRC2:TGID_Z_EN: 0
; COMPUTE_PGM_RSRC2:TIDIG_COMP_CNT: 0
	.section	.text._ZN2at6native27unrolled_elementwise_kernelIZZZNS0_12_GLOBAL__N_116addr_kernel_cudaERNS_14TensorIteratorERKN3c106ScalarES8_ENKUlvE_clEvENKUlvE1_clEvEUliiiE_St5arrayIPcLm4EELi4E23TrivialOffsetCalculatorILi3EjESF_ILi1EjENS0_6memory15LoadWithoutCastENSI_16StoreWithoutCastEEEviT_T0_T2_T3_T4_T5_,"axG",@progbits,_ZN2at6native27unrolled_elementwise_kernelIZZZNS0_12_GLOBAL__N_116addr_kernel_cudaERNS_14TensorIteratorERKN3c106ScalarES8_ENKUlvE_clEvENKUlvE1_clEvEUliiiE_St5arrayIPcLm4EELi4E23TrivialOffsetCalculatorILi3EjESF_ILi1EjENS0_6memory15LoadWithoutCastENSI_16StoreWithoutCastEEEviT_T0_T2_T3_T4_T5_,comdat
	.globl	_ZN2at6native27unrolled_elementwise_kernelIZZZNS0_12_GLOBAL__N_116addr_kernel_cudaERNS_14TensorIteratorERKN3c106ScalarES8_ENKUlvE_clEvENKUlvE1_clEvEUliiiE_St5arrayIPcLm4EELi4E23TrivialOffsetCalculatorILi3EjESF_ILi1EjENS0_6memory15LoadWithoutCastENSI_16StoreWithoutCastEEEviT_T0_T2_T3_T4_T5_ ; -- Begin function _ZN2at6native27unrolled_elementwise_kernelIZZZNS0_12_GLOBAL__N_116addr_kernel_cudaERNS_14TensorIteratorERKN3c106ScalarES8_ENKUlvE_clEvENKUlvE1_clEvEUliiiE_St5arrayIPcLm4EELi4E23TrivialOffsetCalculatorILi3EjESF_ILi1EjENS0_6memory15LoadWithoutCastENSI_16StoreWithoutCastEEEviT_T0_T2_T3_T4_T5_
	.p2align	8
	.type	_ZN2at6native27unrolled_elementwise_kernelIZZZNS0_12_GLOBAL__N_116addr_kernel_cudaERNS_14TensorIteratorERKN3c106ScalarES8_ENKUlvE_clEvENKUlvE1_clEvEUliiiE_St5arrayIPcLm4EELi4E23TrivialOffsetCalculatorILi3EjESF_ILi1EjENS0_6memory15LoadWithoutCastENSI_16StoreWithoutCastEEEviT_T0_T2_T3_T4_T5_,@function
_ZN2at6native27unrolled_elementwise_kernelIZZZNS0_12_GLOBAL__N_116addr_kernel_cudaERNS_14TensorIteratorERKN3c106ScalarES8_ENKUlvE_clEvENKUlvE1_clEvEUliiiE_St5arrayIPcLm4EELi4E23TrivialOffsetCalculatorILi3EjESF_ILi1EjENS0_6memory15LoadWithoutCastENSI_16StoreWithoutCastEEEviT_T0_T2_T3_T4_T5_: ; @_ZN2at6native27unrolled_elementwise_kernelIZZZNS0_12_GLOBAL__N_116addr_kernel_cudaERNS_14TensorIteratorERKN3c106ScalarES8_ENKUlvE_clEvENKUlvE1_clEvEUliiiE_St5arrayIPcLm4EELi4E23TrivialOffsetCalculatorILi3EjESF_ILi1EjENS0_6memory15LoadWithoutCastENSI_16StoreWithoutCastEEEviT_T0_T2_T3_T4_T5_
; %bb.0:
	s_load_b64 s[2:3], s[0:1], 0x0
	s_bfe_u32 s5, ttmp6, 0x4000c
	s_and_b32 s4, ttmp6, 15
	s_add_co_i32 s5, s5, 1
	s_getreg_b32 s6, hwreg(HW_REG_IB_STS2, 6, 4)
	s_mul_i32 s5, ttmp9, s5
	v_dual_mov_b32 v4, 0 :: v_dual_mov_b32 v3, 0
	s_add_co_i32 s4, s4, s5
	s_cmp_eq_u32 s6, 0
	v_dual_mov_b32 v6, 0 :: v_dual_mov_b32 v5, 0
	s_cselect_b32 s4, ttmp9, s4
	v_dual_mov_b32 v7, 0 :: v_dual_mov_b32 v8, 0
	s_lshl_b32 s8, s4, 10
	s_delay_alu instid0(SALU_CYCLE_1) | instskip(SKIP_4) | instid1(SALU_CYCLE_1)
	v_dual_mov_b32 v9, 0 :: v_dual_bitop2_b32 v2, s8, v0 bitop3:0x54
	v_or_b32_e32 v1, 0x100, v0
	v_mov_b32_e32 v10, 0
	s_wait_kmcnt 0x0
	s_sub_co_i32 s9, s2, s8
	v_cmp_gt_i32_e32 vcc_lo, s9, v0
	s_and_saveexec_b32 s10, vcc_lo
	s_cbranch_execz .LBB52_8
; %bb.1:
	s_add_nc_u64 s[12:13], s[0:1], 8
	v_or_b32_e32 v11, 0x100, v0
	s_load_b128 s[4:7], s[12:13], 0x10
	v_dual_mov_b32 v8, 0 :: v_dual_mov_b32 v7, 0
	v_dual_mov_b32 v5, 0 :: v_dual_mov_b32 v6, 0
	;; [unrolled: 1-line block ×3, first 2 shown]
	s_mov_b32 s11, exec_lo
	s_wait_kmcnt 0x0
	s_clause 0x1
	global_load_b32 v9, v2, s[4:5] scale_offset
	global_load_b32 v10, v2, s[6:7] scale_offset
	s_wait_xcnt 0x0
	v_cmpx_gt_u32_e64 s9, v11
	s_cbranch_execz .LBB52_7
; %bb.2:
	v_dual_add_nc_u32 v3, s8, v11 :: v_dual_mov_b32 v5, 0
	v_or_b32_e32 v11, 0x200, v0
	v_dual_mov_b32 v6, 0 :: v_dual_mov_b32 v4, 0
	s_clause 0x1
	global_load_b32 v7, v3, s[4:5] scale_offset
	global_load_b32 v8, v3, s[6:7] scale_offset
	s_wait_xcnt 0x0
	v_mov_b32_e32 v3, 0
	s_mov_b32 s12, exec_lo
	v_cmpx_gt_u32_e64 s9, v11
	s_cbranch_execz .LBB52_6
; %bb.3:
	v_dual_mov_b32 v4, 0 :: v_dual_add_nc_u32 v3, s8, v11
	v_or_b32_e32 v11, 0x300, v0
	s_mov_b32 s13, exec_lo
	s_clause 0x1
	global_load_b32 v6, v3, s[4:5] scale_offset
	global_load_b32 v5, v3, s[6:7] scale_offset
	s_wait_xcnt 0x0
	v_mov_b32_e32 v3, 0
	v_cmpx_gt_u32_e64 s9, v11
	s_cbranch_execz .LBB52_5
; %bb.4:
	v_add_nc_u32_e32 v11, s8, v11
	s_clause 0x1
	global_load_b32 v4, v11, s[4:5] scale_offset
	global_load_b32 v3, v11, s[6:7] scale_offset
.LBB52_5:
	s_wait_xcnt 0x0
	s_or_b32 exec_lo, exec_lo, s13
.LBB52_6:
	s_delay_alu instid0(SALU_CYCLE_1)
	s_or_b32 exec_lo, exec_lo, s12
.LBB52_7:
	s_delay_alu instid0(SALU_CYCLE_1) | instskip(NEXT) | instid1(SALU_CYCLE_1)
	s_or_b32 exec_lo, exec_lo, s11
	s_or_b32 exec_lo, exec_lo, s10
                                        ; implicit-def: $vgpr11
	s_and_saveexec_b32 s2, vcc_lo
	s_cbranch_execz .LBB52_10
	s_branch .LBB52_9
.LBB52_8:
	s_or_b32 exec_lo, exec_lo, s10
                                        ; implicit-def: $vgpr11
	s_and_saveexec_b32 s2, vcc_lo
	s_cbranch_execz .LBB52_10
.LBB52_9:
	s_wait_loadcnt 0x1
	v_mul_lo_u32 v9, v9, s3
	s_wait_loadcnt 0x0
	s_delay_alu instid0(VALU_DEP_1)
	v_mul_lo_u32 v11, v9, v10
.LBB52_10:
	s_or_b32 exec_lo, exec_lo, s2
	s_delay_alu instid0(SALU_CYCLE_1)
	s_mov_b32 s4, exec_lo
                                        ; implicit-def: $vgpr9
	v_cmpx_gt_i32_e64 s9, v1
	s_cbranch_execz .LBB52_12
; %bb.11:
	s_wait_loadcnt 0x1
	v_mul_lo_u32 v7, v7, s3
	s_wait_loadcnt 0x0
	s_delay_alu instid0(VALU_DEP_1)
	v_mul_lo_u32 v9, v7, v8
.LBB52_12:
	s_or_b32 exec_lo, exec_lo, s4
	s_wait_loadcnt 0x1
	v_or_b32_e32 v7, 0x200, v0
	s_delay_alu instid0(VALU_DEP_1)
	v_cmp_gt_i32_e64 s2, s9, v7
                                        ; implicit-def: $vgpr7
	s_and_saveexec_b32 s4, s2
	s_cbranch_execz .LBB52_14
; %bb.13:
	v_mul_lo_u32 v6, v6, s3
	s_wait_loadcnt 0x0
	s_delay_alu instid0(VALU_DEP_1)
	v_mul_lo_u32 v7, v6, v5
.LBB52_14:
	s_or_b32 exec_lo, exec_lo, s4
	s_load_b64 s[4:5], s[0:1], 0x8
	s_wait_loadcnt 0x0
	v_or_b32_e32 v5, 0x300, v0
	s_wait_xcnt 0x0
	s_delay_alu instid0(VALU_DEP_1)
	v_cmp_gt_i32_e64 s0, s9, v5
                                        ; implicit-def: $vgpr5
	s_and_saveexec_b32 s1, s0
	s_cbranch_execz .LBB52_20
; %bb.15:
	v_mul_lo_u32 v4, v4, s3
	s_delay_alu instid0(VALU_DEP_1) | instskip(SKIP_2) | instid1(SALU_CYCLE_1)
	v_mul_lo_u32 v5, v4, v3
	s_or_b32 exec_lo, exec_lo, s1
	s_and_saveexec_b32 s0, vcc_lo
	s_xor_b32 s0, exec_lo, s0
	s_cbranch_execnz .LBB52_21
.LBB52_16:
	s_or_b32 exec_lo, exec_lo, s0
	s_delay_alu instid0(SALU_CYCLE_1)
	s_mov_b32 s0, exec_lo
	v_cmpx_gt_i32_e64 s9, v0
	s_cbranch_execz .LBB52_22
.LBB52_17:
	v_add_nc_u32_e32 v1, 0x100, v0
	s_delay_alu instid0(VALU_DEP_1) | instskip(SKIP_4) | instid1(SALU_CYCLE_1)
	v_dual_add_nc_u32 v2, s8, v0 :: v_dual_mov_b32 v0, v1
	s_wait_kmcnt 0x0
	global_store_b32 v2, v9, s[4:5] scale_offset
	s_wait_xcnt 0x0
	s_or_b32 exec_lo, exec_lo, s0
	s_mov_b32 s0, exec_lo
	v_cmpx_gt_i32_e64 s9, v0
	s_cbranch_execnz .LBB52_23
.LBB52_18:
	s_or_b32 exec_lo, exec_lo, s0
	s_delay_alu instid0(SALU_CYCLE_1)
	s_mov_b32 s0, exec_lo
	v_cmpx_gt_i32_e64 s9, v0
	s_cbranch_execz .LBB52_24
.LBB52_19:
	v_add_nc_u32_e32 v0, s8, v0
	s_wait_kmcnt 0x0
	global_store_b32 v0, v5, s[4:5] scale_offset
	s_endpgm
.LBB52_20:
	s_or_b32 exec_lo, exec_lo, s1
	s_and_saveexec_b32 s0, vcc_lo
	s_delay_alu instid0(SALU_CYCLE_1)
	s_xor_b32 s0, exec_lo, s0
	s_cbranch_execz .LBB52_16
.LBB52_21:
	v_mov_b32_e32 v0, v1
	s_wait_kmcnt 0x0
	global_store_b32 v2, v11, s[4:5] scale_offset
	s_wait_xcnt 0x0
	s_or_b32 exec_lo, exec_lo, s0
	s_delay_alu instid0(SALU_CYCLE_1)
	s_mov_b32 s0, exec_lo
	v_cmpx_gt_i32_e64 s9, v0
	s_cbranch_execnz .LBB52_17
.LBB52_22:
	s_or_b32 exec_lo, exec_lo, s0
	s_delay_alu instid0(SALU_CYCLE_1)
	s_mov_b32 s0, exec_lo
	v_cmpx_gt_i32_e64 s9, v0
	s_cbranch_execz .LBB52_18
.LBB52_23:
	v_add_nc_u32_e32 v1, 0x100, v0
	s_delay_alu instid0(VALU_DEP_1) | instskip(SKIP_4) | instid1(SALU_CYCLE_1)
	v_dual_add_nc_u32 v2, s8, v0 :: v_dual_mov_b32 v0, v1
	s_wait_kmcnt 0x0
	global_store_b32 v2, v7, s[4:5] scale_offset
	s_wait_xcnt 0x0
	s_or_b32 exec_lo, exec_lo, s0
	s_mov_b32 s0, exec_lo
	v_cmpx_gt_i32_e64 s9, v0
	s_cbranch_execnz .LBB52_19
.LBB52_24:
	s_endpgm
	.section	.rodata,"a",@progbits
	.p2align	6, 0x0
	.amdhsa_kernel _ZN2at6native27unrolled_elementwise_kernelIZZZNS0_12_GLOBAL__N_116addr_kernel_cudaERNS_14TensorIteratorERKN3c106ScalarES8_ENKUlvE_clEvENKUlvE1_clEvEUliiiE_St5arrayIPcLm4EELi4E23TrivialOffsetCalculatorILi3EjESF_ILi1EjENS0_6memory15LoadWithoutCastENSI_16StoreWithoutCastEEEviT_T0_T2_T3_T4_T5_
		.amdhsa_group_segment_fixed_size 0
		.amdhsa_private_segment_fixed_size 0
		.amdhsa_kernarg_size 44
		.amdhsa_user_sgpr_count 2
		.amdhsa_user_sgpr_dispatch_ptr 0
		.amdhsa_user_sgpr_queue_ptr 0
		.amdhsa_user_sgpr_kernarg_segment_ptr 1
		.amdhsa_user_sgpr_dispatch_id 0
		.amdhsa_user_sgpr_kernarg_preload_length 0
		.amdhsa_user_sgpr_kernarg_preload_offset 0
		.amdhsa_user_sgpr_private_segment_size 0
		.amdhsa_wavefront_size32 1
		.amdhsa_uses_dynamic_stack 0
		.amdhsa_enable_private_segment 0
		.amdhsa_system_sgpr_workgroup_id_x 1
		.amdhsa_system_sgpr_workgroup_id_y 0
		.amdhsa_system_sgpr_workgroup_id_z 0
		.amdhsa_system_sgpr_workgroup_info 0
		.amdhsa_system_vgpr_workitem_id 0
		.amdhsa_next_free_vgpr 12
		.amdhsa_next_free_sgpr 14
		.amdhsa_named_barrier_count 0
		.amdhsa_reserve_vcc 1
		.amdhsa_float_round_mode_32 0
		.amdhsa_float_round_mode_16_64 0
		.amdhsa_float_denorm_mode_32 3
		.amdhsa_float_denorm_mode_16_64 3
		.amdhsa_fp16_overflow 0
		.amdhsa_memory_ordered 1
		.amdhsa_forward_progress 1
		.amdhsa_inst_pref_size 8
		.amdhsa_round_robin_scheduling 0
		.amdhsa_exception_fp_ieee_invalid_op 0
		.amdhsa_exception_fp_denorm_src 0
		.amdhsa_exception_fp_ieee_div_zero 0
		.amdhsa_exception_fp_ieee_overflow 0
		.amdhsa_exception_fp_ieee_underflow 0
		.amdhsa_exception_fp_ieee_inexact 0
		.amdhsa_exception_int_div_zero 0
	.end_amdhsa_kernel
	.section	.text._ZN2at6native27unrolled_elementwise_kernelIZZZNS0_12_GLOBAL__N_116addr_kernel_cudaERNS_14TensorIteratorERKN3c106ScalarES8_ENKUlvE_clEvENKUlvE1_clEvEUliiiE_St5arrayIPcLm4EELi4E23TrivialOffsetCalculatorILi3EjESF_ILi1EjENS0_6memory15LoadWithoutCastENSI_16StoreWithoutCastEEEviT_T0_T2_T3_T4_T5_,"axG",@progbits,_ZN2at6native27unrolled_elementwise_kernelIZZZNS0_12_GLOBAL__N_116addr_kernel_cudaERNS_14TensorIteratorERKN3c106ScalarES8_ENKUlvE_clEvENKUlvE1_clEvEUliiiE_St5arrayIPcLm4EELi4E23TrivialOffsetCalculatorILi3EjESF_ILi1EjENS0_6memory15LoadWithoutCastENSI_16StoreWithoutCastEEEviT_T0_T2_T3_T4_T5_,comdat
.Lfunc_end52:
	.size	_ZN2at6native27unrolled_elementwise_kernelIZZZNS0_12_GLOBAL__N_116addr_kernel_cudaERNS_14TensorIteratorERKN3c106ScalarES8_ENKUlvE_clEvENKUlvE1_clEvEUliiiE_St5arrayIPcLm4EELi4E23TrivialOffsetCalculatorILi3EjESF_ILi1EjENS0_6memory15LoadWithoutCastENSI_16StoreWithoutCastEEEviT_T0_T2_T3_T4_T5_, .Lfunc_end52-_ZN2at6native27unrolled_elementwise_kernelIZZZNS0_12_GLOBAL__N_116addr_kernel_cudaERNS_14TensorIteratorERKN3c106ScalarES8_ENKUlvE_clEvENKUlvE1_clEvEUliiiE_St5arrayIPcLm4EELi4E23TrivialOffsetCalculatorILi3EjESF_ILi1EjENS0_6memory15LoadWithoutCastENSI_16StoreWithoutCastEEEviT_T0_T2_T3_T4_T5_
                                        ; -- End function
	.set _ZN2at6native27unrolled_elementwise_kernelIZZZNS0_12_GLOBAL__N_116addr_kernel_cudaERNS_14TensorIteratorERKN3c106ScalarES8_ENKUlvE_clEvENKUlvE1_clEvEUliiiE_St5arrayIPcLm4EELi4E23TrivialOffsetCalculatorILi3EjESF_ILi1EjENS0_6memory15LoadWithoutCastENSI_16StoreWithoutCastEEEviT_T0_T2_T3_T4_T5_.num_vgpr, 12
	.set _ZN2at6native27unrolled_elementwise_kernelIZZZNS0_12_GLOBAL__N_116addr_kernel_cudaERNS_14TensorIteratorERKN3c106ScalarES8_ENKUlvE_clEvENKUlvE1_clEvEUliiiE_St5arrayIPcLm4EELi4E23TrivialOffsetCalculatorILi3EjESF_ILi1EjENS0_6memory15LoadWithoutCastENSI_16StoreWithoutCastEEEviT_T0_T2_T3_T4_T5_.num_agpr, 0
	.set _ZN2at6native27unrolled_elementwise_kernelIZZZNS0_12_GLOBAL__N_116addr_kernel_cudaERNS_14TensorIteratorERKN3c106ScalarES8_ENKUlvE_clEvENKUlvE1_clEvEUliiiE_St5arrayIPcLm4EELi4E23TrivialOffsetCalculatorILi3EjESF_ILi1EjENS0_6memory15LoadWithoutCastENSI_16StoreWithoutCastEEEviT_T0_T2_T3_T4_T5_.numbered_sgpr, 14
	.set _ZN2at6native27unrolled_elementwise_kernelIZZZNS0_12_GLOBAL__N_116addr_kernel_cudaERNS_14TensorIteratorERKN3c106ScalarES8_ENKUlvE_clEvENKUlvE1_clEvEUliiiE_St5arrayIPcLm4EELi4E23TrivialOffsetCalculatorILi3EjESF_ILi1EjENS0_6memory15LoadWithoutCastENSI_16StoreWithoutCastEEEviT_T0_T2_T3_T4_T5_.num_named_barrier, 0
	.set _ZN2at6native27unrolled_elementwise_kernelIZZZNS0_12_GLOBAL__N_116addr_kernel_cudaERNS_14TensorIteratorERKN3c106ScalarES8_ENKUlvE_clEvENKUlvE1_clEvEUliiiE_St5arrayIPcLm4EELi4E23TrivialOffsetCalculatorILi3EjESF_ILi1EjENS0_6memory15LoadWithoutCastENSI_16StoreWithoutCastEEEviT_T0_T2_T3_T4_T5_.private_seg_size, 0
	.set _ZN2at6native27unrolled_elementwise_kernelIZZZNS0_12_GLOBAL__N_116addr_kernel_cudaERNS_14TensorIteratorERKN3c106ScalarES8_ENKUlvE_clEvENKUlvE1_clEvEUliiiE_St5arrayIPcLm4EELi4E23TrivialOffsetCalculatorILi3EjESF_ILi1EjENS0_6memory15LoadWithoutCastENSI_16StoreWithoutCastEEEviT_T0_T2_T3_T4_T5_.uses_vcc, 1
	.set _ZN2at6native27unrolled_elementwise_kernelIZZZNS0_12_GLOBAL__N_116addr_kernel_cudaERNS_14TensorIteratorERKN3c106ScalarES8_ENKUlvE_clEvENKUlvE1_clEvEUliiiE_St5arrayIPcLm4EELi4E23TrivialOffsetCalculatorILi3EjESF_ILi1EjENS0_6memory15LoadWithoutCastENSI_16StoreWithoutCastEEEviT_T0_T2_T3_T4_T5_.uses_flat_scratch, 0
	.set _ZN2at6native27unrolled_elementwise_kernelIZZZNS0_12_GLOBAL__N_116addr_kernel_cudaERNS_14TensorIteratorERKN3c106ScalarES8_ENKUlvE_clEvENKUlvE1_clEvEUliiiE_St5arrayIPcLm4EELi4E23TrivialOffsetCalculatorILi3EjESF_ILi1EjENS0_6memory15LoadWithoutCastENSI_16StoreWithoutCastEEEviT_T0_T2_T3_T4_T5_.has_dyn_sized_stack, 0
	.set _ZN2at6native27unrolled_elementwise_kernelIZZZNS0_12_GLOBAL__N_116addr_kernel_cudaERNS_14TensorIteratorERKN3c106ScalarES8_ENKUlvE_clEvENKUlvE1_clEvEUliiiE_St5arrayIPcLm4EELi4E23TrivialOffsetCalculatorILi3EjESF_ILi1EjENS0_6memory15LoadWithoutCastENSI_16StoreWithoutCastEEEviT_T0_T2_T3_T4_T5_.has_recursion, 0
	.set _ZN2at6native27unrolled_elementwise_kernelIZZZNS0_12_GLOBAL__N_116addr_kernel_cudaERNS_14TensorIteratorERKN3c106ScalarES8_ENKUlvE_clEvENKUlvE1_clEvEUliiiE_St5arrayIPcLm4EELi4E23TrivialOffsetCalculatorILi3EjESF_ILi1EjENS0_6memory15LoadWithoutCastENSI_16StoreWithoutCastEEEviT_T0_T2_T3_T4_T5_.has_indirect_call, 0
	.section	.AMDGPU.csdata,"",@progbits
; Kernel info:
; codeLenInByte = 972
; TotalNumSgprs: 16
; NumVgprs: 12
; ScratchSize: 0
; MemoryBound: 0
; FloatMode: 240
; IeeeMode: 1
; LDSByteSize: 0 bytes/workgroup (compile time only)
; SGPRBlocks: 0
; VGPRBlocks: 0
; NumSGPRsForWavesPerEU: 16
; NumVGPRsForWavesPerEU: 12
; NamedBarCnt: 0
; Occupancy: 16
; WaveLimiterHint : 0
; COMPUTE_PGM_RSRC2:SCRATCH_EN: 0
; COMPUTE_PGM_RSRC2:USER_SGPR: 2
; COMPUTE_PGM_RSRC2:TRAP_HANDLER: 0
; COMPUTE_PGM_RSRC2:TGID_X_EN: 1
; COMPUTE_PGM_RSRC2:TGID_Y_EN: 0
; COMPUTE_PGM_RSRC2:TGID_Z_EN: 0
; COMPUTE_PGM_RSRC2:TIDIG_COMP_CNT: 0
	.section	.text._ZN2at6native32elementwise_kernel_manual_unrollILi128ELi4EZNS0_22gpu_kernel_impl_nocastIZZZNS0_12_GLOBAL__N_116addr_kernel_cudaERNS_14TensorIteratorERKN3c106ScalarES9_ENKUlvE_clEvENKUlvE1_clEvEUliiiE_EEvRNS_18TensorIteratorBaseERKT_EUlibE_EEviT1_,"axG",@progbits,_ZN2at6native32elementwise_kernel_manual_unrollILi128ELi4EZNS0_22gpu_kernel_impl_nocastIZZZNS0_12_GLOBAL__N_116addr_kernel_cudaERNS_14TensorIteratorERKN3c106ScalarES9_ENKUlvE_clEvENKUlvE1_clEvEUliiiE_EEvRNS_18TensorIteratorBaseERKT_EUlibE_EEviT1_,comdat
	.globl	_ZN2at6native32elementwise_kernel_manual_unrollILi128ELi4EZNS0_22gpu_kernel_impl_nocastIZZZNS0_12_GLOBAL__N_116addr_kernel_cudaERNS_14TensorIteratorERKN3c106ScalarES9_ENKUlvE_clEvENKUlvE1_clEvEUliiiE_EEvRNS_18TensorIteratorBaseERKT_EUlibE_EEviT1_ ; -- Begin function _ZN2at6native32elementwise_kernel_manual_unrollILi128ELi4EZNS0_22gpu_kernel_impl_nocastIZZZNS0_12_GLOBAL__N_116addr_kernel_cudaERNS_14TensorIteratorERKN3c106ScalarES9_ENKUlvE_clEvENKUlvE1_clEvEUliiiE_EEvRNS_18TensorIteratorBaseERKT_EUlibE_EEviT1_
	.p2align	8
	.type	_ZN2at6native32elementwise_kernel_manual_unrollILi128ELi4EZNS0_22gpu_kernel_impl_nocastIZZZNS0_12_GLOBAL__N_116addr_kernel_cudaERNS_14TensorIteratorERKN3c106ScalarES9_ENKUlvE_clEvENKUlvE1_clEvEUliiiE_EEvRNS_18TensorIteratorBaseERKT_EUlibE_EEviT1_,@function
_ZN2at6native32elementwise_kernel_manual_unrollILi128ELi4EZNS0_22gpu_kernel_impl_nocastIZZZNS0_12_GLOBAL__N_116addr_kernel_cudaERNS_14TensorIteratorERKN3c106ScalarES9_ENKUlvE_clEvENKUlvE1_clEvEUliiiE_EEvRNS_18TensorIteratorBaseERKT_EUlibE_EEviT1_: ; @_ZN2at6native32elementwise_kernel_manual_unrollILi128ELi4EZNS0_22gpu_kernel_impl_nocastIZZZNS0_12_GLOBAL__N_116addr_kernel_cudaERNS_14TensorIteratorERKN3c106ScalarES9_ENKUlvE_clEvENKUlvE1_clEvEUliiiE_EEvRNS_18TensorIteratorBaseERKT_EUlibE_EEviT1_
; %bb.0:
	s_clause 0x1
	s_load_b32 s11, s[0:1], 0x8
	s_load_b32 s36, s[0:1], 0x0
	s_bfe_u32 s2, ttmp6, 0x4000c
	s_and_b32 s3, ttmp6, 15
	s_add_co_i32 s2, s2, 1
	s_getreg_b32 s4, hwreg(HW_REG_IB_STS2, 6, 4)
	s_mul_i32 s2, ttmp9, s2
	s_add_nc_u64 s[12:13], s[0:1], 8
	s_add_co_i32 s3, s3, s2
	s_cmp_eq_u32 s4, 0
	s_mov_b32 s21, 0
	s_cselect_b32 s2, ttmp9, s3
	s_wait_xcnt 0x0
	s_mov_b32 s0, exec_lo
	v_lshl_or_b32 v0, s2, 9, v0
	s_delay_alu instid0(VALU_DEP_1) | instskip(SKIP_2) | instid1(SALU_CYCLE_1)
	v_or_b32_e32 v2, 0x180, v0
	s_wait_kmcnt 0x0
	s_add_co_i32 s28, s11, -1
	s_cmp_gt_u32 s28, 1
	s_cselect_b32 s29, -1, 0
	v_cmpx_le_i32_e64 s36, v2
	s_xor_b32 s30, exec_lo, s0
	s_cbranch_execz .LBB53_54
; %bb.1:
	s_clause 0x7
	s_load_b128 s[4:7], s[12:13], 0x4
	s_load_b64 s[16:17], s[12:13], 0x14
	s_load_b32 s33, s[12:13], 0xc4
	s_load_b96 s[8:10], s[12:13], 0xcc
	s_load_b64 s[18:19], s[12:13], 0xdc
	s_load_b64 s[14:15], s[12:13], 0x1c8
	s_load_b32 s31, s[12:13], 0x1e8
	s_load_b128 s[0:3], s[12:13], 0x1d8
	s_cmp_lg_u32 s11, 0
	s_mov_b32 s23, s21
	s_cselect_b32 s37, -1, 0
	s_min_u32 s35, s28, 15
	s_cmp_gt_u32 s11, 1
	s_cselect_b32 s34, -1, 0
	s_wait_kmcnt 0x0
	s_mov_b32 s20, s5
	s_mov_b32 s22, s16
	s_mov_b32 s5, exec_lo
	v_cmpx_gt_i32_e64 s36, v0
	s_cbranch_execnz .LBB53_5
; %bb.2:
	s_or_b32 exec_lo, exec_lo, s5
	s_delay_alu instid0(SALU_CYCLE_1)
	s_mov_b32 s5, exec_lo
	v_cmpx_gt_i32_e64 s36, v0
	s_cbranch_execnz .LBB53_17
.LBB53_3:
	s_or_b32 exec_lo, exec_lo, s5
	s_delay_alu instid0(SALU_CYCLE_1)
	s_mov_b32 s5, exec_lo
	v_cmpx_gt_i32_e64 s36, v0
	s_cbranch_execnz .LBB53_29
.LBB53_4:
	s_or_b32 exec_lo, exec_lo, s5
	s_delay_alu instid0(SALU_CYCLE_1)
	s_mov_b32 s5, exec_lo
	v_cmpx_gt_i32_e64 s36, v0
	s_cbranch_execnz .LBB53_41
	s_branch .LBB53_53
.LBB53_5:
	s_and_not1_b32 vcc_lo, exec_lo, s29
	s_cbranch_vccnz .LBB53_11
; %bb.6:
	s_and_not1_b32 vcc_lo, exec_lo, s37
	s_cbranch_vccnz .LBB53_12
; %bb.7:
	v_dual_mov_b32 v4, 0 :: v_dual_mov_b32 v1, v0
	v_dual_mov_b32 v6, 0 :: v_dual_mov_b32 v5, 0
	s_add_co_i32 s16, s35, 1
	s_mov_b64 s[24:25], 0xffffffffffffffe0
	s_and_b32 s16, s16, 30
	s_add_nc_u64 s[24:25], s[12:13], s[24:25]
	s_mov_b64 s[26:27], s[12:13]
.LBB53_8:                               ; =>This Inner Loop Header: Depth=1
	s_clause 0x1
	s_load_b128 s[40:43], s[26:27], 0x4
	s_load_b64 s[38:39], s[26:27], 0x14
	s_load_b32 s44, s[24:25], 0xe4
	s_add_co_i32 s16, s16, -2
	s_wait_xcnt 0x0
	s_add_nc_u64 s[26:27], s[26:27], 24
	s_cmp_lg_u32 s16, 0
	s_wait_kmcnt 0x0
	v_mul_hi_u32 v2, s41, v1
	s_delay_alu instid0(VALU_DEP_1) | instskip(NEXT) | instid1(VALU_DEP_1)
	v_add_nc_u32_e32 v2, v1, v2
	v_lshrrev_b32_e32 v2, s42, v2
	s_delay_alu instid0(VALU_DEP_1) | instskip(SKIP_2) | instid1(VALU_DEP_2)
	v_mul_hi_u32 v3, s38, v2
	v_mul_lo_u32 v7, v2, s40
	s_load_b96 s[40:42], s[24:25], 0xec
	v_add_nc_u32_e32 v3, v2, v3
	s_delay_alu instid0(VALU_DEP_2) | instskip(NEXT) | instid1(VALU_DEP_2)
	v_sub_nc_u32_e32 v7, v1, v7
	v_lshrrev_b32_e32 v1, s39, v3
	s_load_b64 s[38:39], s[24:25], 0xfc
	s_delay_alu instid0(VALU_DEP_2)
	v_mad_u32 v4, v7, s44, v4
	s_wait_xcnt 0x0
	s_add_nc_u64 s[24:25], s[24:25], 32
	v_mul_lo_u32 v3, v1, s43
	s_wait_kmcnt 0x0
	v_mad_u32 v5, v7, s41, v5
	v_mad_u32 v6, v7, s40, v6
	s_delay_alu instid0(VALU_DEP_3) | instskip(NEXT) | instid1(VALU_DEP_1)
	v_sub_nc_u32_e32 v2, v2, v3
	v_mad_u32 v4, v2, s42, v4
	s_delay_alu instid0(VALU_DEP_4) | instskip(NEXT) | instid1(VALU_DEP_4)
	v_mad_u32 v5, v2, s39, v5
	v_mad_u32 v6, v2, s38, v6
	s_cbranch_scc1 .LBB53_8
; %bb.9:
	s_bitcmp1_b32 s35, 0
	s_cselect_b32 s16, -1, 0
	s_delay_alu instid0(SALU_CYCLE_1)
	s_and_b32 vcc_lo, exec_lo, s16
	s_cbranch_vccnz .LBB53_13
; %bb.10:
	s_load_b96 s[40:42], s[26:27], 0x4
	s_load_b32 s16, s[24:25], 0xe4
	s_wait_xcnt 0x0
	s_load_b64 s[26:27], s[24:25], 0xec
	s_wait_kmcnt 0x0
	v_mul_hi_u32 v2, s41, v1
	s_delay_alu instid0(VALU_DEP_1) | instskip(NEXT) | instid1(VALU_DEP_1)
	v_add_nc_u32_e32 v2, v1, v2
	v_lshrrev_b32_e32 v2, s42, v2
	s_delay_alu instid0(VALU_DEP_1) | instskip(NEXT) | instid1(VALU_DEP_1)
	v_mul_lo_u32 v2, v2, s40
	v_sub_nc_u32_e32 v1, v1, v2
	s_delay_alu instid0(VALU_DEP_1)
	v_mad_u32 v4, v1, s16, v4
	v_mad_u32 v6, v1, s26, v6
	v_mad_u32 v5, v1, s27, v5
	s_cbranch_execz .LBB53_14
	s_branch .LBB53_16
.LBB53_11:
                                        ; implicit-def: $vgpr5
                                        ; implicit-def: $vgpr6
                                        ; implicit-def: $vgpr4
	s_branch .LBB53_14
.LBB53_12:
	v_dual_mov_b32 v5, 0 :: v_dual_mov_b32 v6, 0
	v_mov_b32_e32 v4, 0
.LBB53_13:
	s_cbranch_execnz .LBB53_16
.LBB53_14:
	v_mov_b32_e32 v1, 0
	s_and_not1_b32 vcc_lo, exec_lo, s34
	s_delay_alu instid0(VALU_DEP_1) | instskip(NEXT) | instid1(VALU_DEP_1)
	v_mul_u64_e32 v[2:3], s[20:21], v[0:1]
	v_add_nc_u32_e32 v2, v0, v3
	s_delay_alu instid0(VALU_DEP_1) | instskip(NEXT) | instid1(VALU_DEP_1)
	v_lshrrev_b32_e32 v2, s6, v2
	v_mul_lo_u32 v3, v2, s4
	s_delay_alu instid0(VALU_DEP_1) | instskip(NEXT) | instid1(VALU_DEP_1)
	v_sub_nc_u32_e32 v3, v0, v3
	v_mul_lo_u32 v4, v3, s33
	v_mul_lo_u32 v5, v3, s9
	;; [unrolled: 1-line block ×3, first 2 shown]
	s_cbranch_vccnz .LBB53_16
; %bb.15:
	v_mov_b32_e32 v3, v1
	s_delay_alu instid0(VALU_DEP_1) | instskip(NEXT) | instid1(VALU_DEP_1)
	v_mul_u64_e32 v[8:9], s[22:23], v[2:3]
	v_add_nc_u32_e32 v1, v2, v9
	s_delay_alu instid0(VALU_DEP_1) | instskip(NEXT) | instid1(VALU_DEP_1)
	v_lshrrev_b32_e32 v1, s17, v1
	v_mul_lo_u32 v1, v1, s7
	s_delay_alu instid0(VALU_DEP_1) | instskip(NEXT) | instid1(VALU_DEP_1)
	v_sub_nc_u32_e32 v1, v2, v1
	v_mad_u32 v4, v1, s10, v4
	v_mad_u32 v6, v1, s18, v6
	;; [unrolled: 1-line block ×3, first 2 shown]
.LBB53_16:
	global_load_b32 v1, v6, s[0:1]
	global_load_b32 v2, v5, s[2:3]
	v_add_nc_u32_e32 v0, 0x80, v0
	s_wait_loadcnt 0x1
	v_mul_lo_u32 v1, v1, s31
	s_wait_loadcnt 0x0
	s_delay_alu instid0(VALU_DEP_1) | instskip(SKIP_3) | instid1(SALU_CYCLE_1)
	v_mul_lo_u32 v1, v1, v2
	global_store_b32 v4, v1, s[14:15]
	s_wait_xcnt 0x0
	s_or_b32 exec_lo, exec_lo, s5
	s_mov_b32 s5, exec_lo
	v_cmpx_gt_i32_e64 s36, v0
	s_cbranch_execz .LBB53_3
.LBB53_17:
	s_and_not1_b32 vcc_lo, exec_lo, s29
	s_cbranch_vccnz .LBB53_23
; %bb.18:
	s_and_not1_b32 vcc_lo, exec_lo, s37
	s_cbranch_vccnz .LBB53_24
; %bb.19:
	v_dual_mov_b32 v4, 0 :: v_dual_mov_b32 v1, v0
	v_dual_mov_b32 v6, 0 :: v_dual_mov_b32 v5, 0
	s_add_co_i32 s16, s35, 1
	s_mov_b64 s[24:25], 0xffffffffffffffe0
	s_and_b32 s16, s16, 30
	s_add_nc_u64 s[24:25], s[12:13], s[24:25]
	s_mov_b64 s[26:27], s[12:13]
.LBB53_20:                              ; =>This Inner Loop Header: Depth=1
	s_clause 0x1
	s_load_b128 s[40:43], s[26:27], 0x4
	s_load_b64 s[38:39], s[26:27], 0x14
	s_load_b32 s44, s[24:25], 0xe4
	s_add_co_i32 s16, s16, -2
	s_wait_xcnt 0x0
	s_add_nc_u64 s[26:27], s[26:27], 24
	s_cmp_eq_u32 s16, 0
	s_wait_kmcnt 0x0
	v_mul_hi_u32 v2, s41, v1
	s_delay_alu instid0(VALU_DEP_1) | instskip(NEXT) | instid1(VALU_DEP_1)
	v_add_nc_u32_e32 v2, v1, v2
	v_lshrrev_b32_e32 v2, s42, v2
	s_delay_alu instid0(VALU_DEP_1) | instskip(SKIP_2) | instid1(VALU_DEP_2)
	v_mul_hi_u32 v3, s38, v2
	v_mul_lo_u32 v7, v2, s40
	s_load_b96 s[40:42], s[24:25], 0xec
	v_add_nc_u32_e32 v3, v2, v3
	s_delay_alu instid0(VALU_DEP_2) | instskip(NEXT) | instid1(VALU_DEP_2)
	v_sub_nc_u32_e32 v7, v1, v7
	v_lshrrev_b32_e32 v1, s39, v3
	s_load_b64 s[38:39], s[24:25], 0xfc
	s_delay_alu instid0(VALU_DEP_2)
	v_mad_u32 v4, v7, s44, v4
	s_wait_xcnt 0x0
	s_add_nc_u64 s[24:25], s[24:25], 32
	v_mul_lo_u32 v3, v1, s43
	s_wait_kmcnt 0x0
	v_mad_u32 v5, v7, s41, v5
	v_mad_u32 v6, v7, s40, v6
	s_delay_alu instid0(VALU_DEP_3) | instskip(NEXT) | instid1(VALU_DEP_1)
	v_sub_nc_u32_e32 v2, v2, v3
	v_mad_u32 v4, v2, s42, v4
	s_delay_alu instid0(VALU_DEP_4) | instskip(NEXT) | instid1(VALU_DEP_4)
	v_mad_u32 v5, v2, s39, v5
	v_mad_u32 v6, v2, s38, v6
	s_cbranch_scc0 .LBB53_20
; %bb.21:
	s_bitcmp1_b32 s35, 0
	s_cselect_b32 s16, -1, 0
	s_delay_alu instid0(SALU_CYCLE_1)
	s_and_b32 vcc_lo, exec_lo, s16
	s_cbranch_vccnz .LBB53_25
; %bb.22:
	s_load_b96 s[40:42], s[26:27], 0x4
	s_load_b32 s16, s[24:25], 0xe4
	s_wait_xcnt 0x0
	s_load_b64 s[26:27], s[24:25], 0xec
	s_wait_kmcnt 0x0
	v_mul_hi_u32 v2, s41, v1
	s_delay_alu instid0(VALU_DEP_1) | instskip(NEXT) | instid1(VALU_DEP_1)
	v_add_nc_u32_e32 v2, v1, v2
	v_lshrrev_b32_e32 v2, s42, v2
	s_delay_alu instid0(VALU_DEP_1) | instskip(NEXT) | instid1(VALU_DEP_1)
	v_mul_lo_u32 v2, v2, s40
	v_sub_nc_u32_e32 v1, v1, v2
	s_delay_alu instid0(VALU_DEP_1)
	v_mad_u32 v4, v1, s16, v4
	v_mad_u32 v6, v1, s26, v6
	v_mad_u32 v5, v1, s27, v5
	s_branch .LBB53_25
.LBB53_23:
                                        ; implicit-def: $vgpr5
                                        ; implicit-def: $vgpr6
                                        ; implicit-def: $vgpr4
	s_branch .LBB53_26
.LBB53_24:
	v_dual_mov_b32 v5, 0 :: v_dual_mov_b32 v6, 0
	v_mov_b32_e32 v4, 0
.LBB53_25:
	s_cbranch_execnz .LBB53_28
.LBB53_26:
	v_mov_b32_e32 v1, 0
	s_and_not1_b32 vcc_lo, exec_lo, s34
	s_delay_alu instid0(VALU_DEP_1) | instskip(NEXT) | instid1(VALU_DEP_1)
	v_mul_u64_e32 v[2:3], s[20:21], v[0:1]
	v_add_nc_u32_e32 v2, v0, v3
	s_delay_alu instid0(VALU_DEP_1) | instskip(NEXT) | instid1(VALU_DEP_1)
	v_lshrrev_b32_e32 v2, s6, v2
	v_mul_lo_u32 v3, v2, s4
	s_delay_alu instid0(VALU_DEP_1) | instskip(NEXT) | instid1(VALU_DEP_1)
	v_sub_nc_u32_e32 v3, v0, v3
	v_mul_lo_u32 v4, v3, s33
	v_mul_lo_u32 v5, v3, s9
	;; [unrolled: 1-line block ×3, first 2 shown]
	s_cbranch_vccnz .LBB53_28
; %bb.27:
	v_mov_b32_e32 v3, v1
	s_delay_alu instid0(VALU_DEP_1) | instskip(NEXT) | instid1(VALU_DEP_1)
	v_mul_u64_e32 v[8:9], s[22:23], v[2:3]
	v_add_nc_u32_e32 v1, v2, v9
	s_delay_alu instid0(VALU_DEP_1) | instskip(NEXT) | instid1(VALU_DEP_1)
	v_lshrrev_b32_e32 v1, s17, v1
	v_mul_lo_u32 v1, v1, s7
	s_delay_alu instid0(VALU_DEP_1) | instskip(NEXT) | instid1(VALU_DEP_1)
	v_sub_nc_u32_e32 v1, v2, v1
	v_mad_u32 v4, v1, s10, v4
	v_mad_u32 v6, v1, s18, v6
	;; [unrolled: 1-line block ×3, first 2 shown]
.LBB53_28:
	global_load_b32 v1, v6, s[0:1]
	global_load_b32 v2, v5, s[2:3]
	v_add_nc_u32_e32 v0, 0x80, v0
	s_wait_loadcnt 0x1
	v_mul_lo_u32 v1, v1, s31
	s_wait_loadcnt 0x0
	s_delay_alu instid0(VALU_DEP_1) | instskip(SKIP_3) | instid1(SALU_CYCLE_1)
	v_mul_lo_u32 v1, v1, v2
	global_store_b32 v4, v1, s[14:15]
	s_wait_xcnt 0x0
	s_or_b32 exec_lo, exec_lo, s5
	s_mov_b32 s5, exec_lo
	v_cmpx_gt_i32_e64 s36, v0
	s_cbranch_execz .LBB53_4
.LBB53_29:
	s_and_not1_b32 vcc_lo, exec_lo, s29
	s_cbranch_vccnz .LBB53_35
; %bb.30:
	s_and_not1_b32 vcc_lo, exec_lo, s37
	s_cbranch_vccnz .LBB53_36
; %bb.31:
	v_dual_mov_b32 v4, 0 :: v_dual_mov_b32 v1, v0
	v_dual_mov_b32 v6, 0 :: v_dual_mov_b32 v5, 0
	s_add_co_i32 s16, s35, 1
	s_mov_b64 s[24:25], 0xffffffffffffffe0
	s_and_b32 s16, s16, 30
	s_add_nc_u64 s[24:25], s[12:13], s[24:25]
	s_mov_b64 s[26:27], s[12:13]
.LBB53_32:                              ; =>This Inner Loop Header: Depth=1
	s_clause 0x1
	s_load_b128 s[40:43], s[26:27], 0x4
	s_load_b64 s[38:39], s[26:27], 0x14
	s_load_b32 s44, s[24:25], 0xe4
	s_add_co_i32 s16, s16, -2
	s_wait_xcnt 0x0
	s_add_nc_u64 s[26:27], s[26:27], 24
	s_cmp_eq_u32 s16, 0
	s_wait_kmcnt 0x0
	v_mul_hi_u32 v2, s41, v1
	s_delay_alu instid0(VALU_DEP_1) | instskip(NEXT) | instid1(VALU_DEP_1)
	v_add_nc_u32_e32 v2, v1, v2
	v_lshrrev_b32_e32 v2, s42, v2
	s_delay_alu instid0(VALU_DEP_1) | instskip(SKIP_2) | instid1(VALU_DEP_2)
	v_mul_hi_u32 v3, s38, v2
	v_mul_lo_u32 v7, v2, s40
	s_load_b96 s[40:42], s[24:25], 0xec
	v_add_nc_u32_e32 v3, v2, v3
	s_delay_alu instid0(VALU_DEP_2) | instskip(NEXT) | instid1(VALU_DEP_2)
	v_sub_nc_u32_e32 v7, v1, v7
	v_lshrrev_b32_e32 v1, s39, v3
	s_load_b64 s[38:39], s[24:25], 0xfc
	s_delay_alu instid0(VALU_DEP_2)
	v_mad_u32 v4, v7, s44, v4
	s_wait_xcnt 0x0
	s_add_nc_u64 s[24:25], s[24:25], 32
	v_mul_lo_u32 v3, v1, s43
	s_wait_kmcnt 0x0
	v_mad_u32 v5, v7, s41, v5
	v_mad_u32 v6, v7, s40, v6
	s_delay_alu instid0(VALU_DEP_3) | instskip(NEXT) | instid1(VALU_DEP_1)
	v_sub_nc_u32_e32 v2, v2, v3
	v_mad_u32 v4, v2, s42, v4
	s_delay_alu instid0(VALU_DEP_4) | instskip(NEXT) | instid1(VALU_DEP_4)
	v_mad_u32 v5, v2, s39, v5
	v_mad_u32 v6, v2, s38, v6
	s_cbranch_scc0 .LBB53_32
; %bb.33:
	s_bitcmp1_b32 s35, 0
	s_cselect_b32 s16, -1, 0
	s_delay_alu instid0(SALU_CYCLE_1)
	s_and_b32 vcc_lo, exec_lo, s16
	s_cbranch_vccnz .LBB53_37
; %bb.34:
	s_load_b96 s[40:42], s[26:27], 0x4
	s_load_b32 s16, s[24:25], 0xe4
	s_wait_xcnt 0x0
	s_load_b64 s[26:27], s[24:25], 0xec
	s_wait_kmcnt 0x0
	v_mul_hi_u32 v2, s41, v1
	s_delay_alu instid0(VALU_DEP_1) | instskip(NEXT) | instid1(VALU_DEP_1)
	v_add_nc_u32_e32 v2, v1, v2
	v_lshrrev_b32_e32 v2, s42, v2
	s_delay_alu instid0(VALU_DEP_1) | instskip(NEXT) | instid1(VALU_DEP_1)
	v_mul_lo_u32 v2, v2, s40
	v_sub_nc_u32_e32 v1, v1, v2
	s_delay_alu instid0(VALU_DEP_1)
	v_mad_u32 v4, v1, s16, v4
	v_mad_u32 v6, v1, s26, v6
	;; [unrolled: 1-line block ×3, first 2 shown]
	s_branch .LBB53_37
.LBB53_35:
                                        ; implicit-def: $vgpr5
                                        ; implicit-def: $vgpr6
                                        ; implicit-def: $vgpr4
	s_branch .LBB53_38
.LBB53_36:
	v_dual_mov_b32 v5, 0 :: v_dual_mov_b32 v6, 0
	v_mov_b32_e32 v4, 0
.LBB53_37:
	s_cbranch_execnz .LBB53_40
.LBB53_38:
	v_mov_b32_e32 v1, 0
	s_and_not1_b32 vcc_lo, exec_lo, s34
	s_delay_alu instid0(VALU_DEP_1) | instskip(NEXT) | instid1(VALU_DEP_1)
	v_mul_u64_e32 v[2:3], s[20:21], v[0:1]
	v_add_nc_u32_e32 v2, v0, v3
	s_delay_alu instid0(VALU_DEP_1) | instskip(NEXT) | instid1(VALU_DEP_1)
	v_lshrrev_b32_e32 v2, s6, v2
	v_mul_lo_u32 v3, v2, s4
	s_delay_alu instid0(VALU_DEP_1) | instskip(NEXT) | instid1(VALU_DEP_1)
	v_sub_nc_u32_e32 v3, v0, v3
	v_mul_lo_u32 v4, v3, s33
	v_mul_lo_u32 v5, v3, s9
	;; [unrolled: 1-line block ×3, first 2 shown]
	s_cbranch_vccnz .LBB53_40
; %bb.39:
	v_mov_b32_e32 v3, v1
	s_delay_alu instid0(VALU_DEP_1) | instskip(NEXT) | instid1(VALU_DEP_1)
	v_mul_u64_e32 v[8:9], s[22:23], v[2:3]
	v_add_nc_u32_e32 v1, v2, v9
	s_delay_alu instid0(VALU_DEP_1) | instskip(NEXT) | instid1(VALU_DEP_1)
	v_lshrrev_b32_e32 v1, s17, v1
	v_mul_lo_u32 v1, v1, s7
	s_delay_alu instid0(VALU_DEP_1) | instskip(NEXT) | instid1(VALU_DEP_1)
	v_sub_nc_u32_e32 v1, v2, v1
	v_mad_u32 v4, v1, s10, v4
	v_mad_u32 v6, v1, s18, v6
	;; [unrolled: 1-line block ×3, first 2 shown]
.LBB53_40:
	global_load_b32 v1, v6, s[0:1]
	global_load_b32 v2, v5, s[2:3]
	v_add_nc_u32_e32 v0, 0x80, v0
	s_wait_loadcnt 0x1
	v_mul_lo_u32 v1, v1, s31
	s_wait_loadcnt 0x0
	s_delay_alu instid0(VALU_DEP_1) | instskip(SKIP_3) | instid1(SALU_CYCLE_1)
	v_mul_lo_u32 v1, v1, v2
	global_store_b32 v4, v1, s[14:15]
	s_wait_xcnt 0x0
	s_or_b32 exec_lo, exec_lo, s5
	s_mov_b32 s5, exec_lo
	v_cmpx_gt_i32_e64 s36, v0
	s_cbranch_execz .LBB53_53
.LBB53_41:
	s_and_not1_b32 vcc_lo, exec_lo, s29
	s_cbranch_vccnz .LBB53_47
; %bb.42:
	s_and_not1_b32 vcc_lo, exec_lo, s37
	s_cbranch_vccnz .LBB53_48
; %bb.43:
	v_dual_mov_b32 v4, 0 :: v_dual_mov_b32 v1, v0
	v_dual_mov_b32 v6, 0 :: v_dual_mov_b32 v5, 0
	s_add_co_i32 s16, s35, 1
	s_mov_b64 s[24:25], 0xffffffffffffffe0
	s_and_b32 s16, s16, 30
	s_add_nc_u64 s[24:25], s[12:13], s[24:25]
	s_mov_b64 s[26:27], s[12:13]
.LBB53_44:                              ; =>This Inner Loop Header: Depth=1
	s_clause 0x1
	s_load_b128 s[36:39], s[26:27], 0x4
	s_load_b64 s[40:41], s[26:27], 0x14
	s_load_b32 s42, s[24:25], 0xe4
	s_add_co_i32 s16, s16, -2
	s_wait_xcnt 0x0
	s_add_nc_u64 s[26:27], s[26:27], 24
	s_cmp_eq_u32 s16, 0
	s_wait_kmcnt 0x0
	v_mul_hi_u32 v2, s37, v1
	s_delay_alu instid0(VALU_DEP_1) | instskip(NEXT) | instid1(VALU_DEP_1)
	v_add_nc_u32_e32 v2, v1, v2
	v_lshrrev_b32_e32 v2, s38, v2
	s_delay_alu instid0(VALU_DEP_1) | instskip(SKIP_2) | instid1(VALU_DEP_2)
	v_mul_hi_u32 v3, s40, v2
	v_mul_lo_u32 v7, v2, s36
	s_load_b96 s[36:38], s[24:25], 0xec
	v_add_nc_u32_e32 v3, v2, v3
	s_delay_alu instid0(VALU_DEP_2) | instskip(NEXT) | instid1(VALU_DEP_2)
	v_sub_nc_u32_e32 v7, v1, v7
	v_lshrrev_b32_e32 v1, s41, v3
	s_load_b64 s[40:41], s[24:25], 0xfc
	s_delay_alu instid0(VALU_DEP_2)
	v_mad_u32 v4, v7, s42, v4
	s_wait_xcnt 0x0
	s_add_nc_u64 s[24:25], s[24:25], 32
	v_mul_lo_u32 v3, v1, s39
	s_wait_kmcnt 0x0
	v_mad_u32 v5, v7, s37, v5
	v_mad_u32 v6, v7, s36, v6
	s_delay_alu instid0(VALU_DEP_3) | instskip(NEXT) | instid1(VALU_DEP_1)
	v_sub_nc_u32_e32 v2, v2, v3
	v_mad_u32 v4, v2, s38, v4
	s_delay_alu instid0(VALU_DEP_4) | instskip(NEXT) | instid1(VALU_DEP_4)
	v_mad_u32 v5, v2, s41, v5
	v_mad_u32 v6, v2, s40, v6
	s_cbranch_scc0 .LBB53_44
; %bb.45:
	s_bitcmp1_b32 s35, 0
	s_cselect_b32 s16, -1, 0
	s_delay_alu instid0(SALU_CYCLE_1)
	s_and_b32 vcc_lo, exec_lo, s16
	s_cbranch_vccnz .LBB53_49
; %bb.46:
	s_load_b96 s[36:38], s[26:27], 0x4
	s_load_b32 s16, s[24:25], 0xe4
	s_wait_xcnt 0x0
	s_load_b64 s[26:27], s[24:25], 0xec
	s_wait_kmcnt 0x0
	v_mul_hi_u32 v2, s37, v1
	s_delay_alu instid0(VALU_DEP_1) | instskip(NEXT) | instid1(VALU_DEP_1)
	v_add_nc_u32_e32 v2, v1, v2
	v_lshrrev_b32_e32 v2, s38, v2
	s_delay_alu instid0(VALU_DEP_1) | instskip(NEXT) | instid1(VALU_DEP_1)
	v_mul_lo_u32 v2, v2, s36
	v_sub_nc_u32_e32 v1, v1, v2
	s_delay_alu instid0(VALU_DEP_1)
	v_mad_u32 v4, v1, s16, v4
	v_mad_u32 v6, v1, s26, v6
	v_mad_u32 v5, v1, s27, v5
	s_branch .LBB53_49
.LBB53_47:
                                        ; implicit-def: $vgpr5
                                        ; implicit-def: $vgpr6
                                        ; implicit-def: $vgpr4
	s_branch .LBB53_50
.LBB53_48:
	v_dual_mov_b32 v5, 0 :: v_dual_mov_b32 v6, 0
	v_mov_b32_e32 v4, 0
.LBB53_49:
	s_cbranch_execnz .LBB53_52
.LBB53_50:
	v_mov_b32_e32 v1, 0
	s_and_not1_b32 vcc_lo, exec_lo, s34
	s_delay_alu instid0(VALU_DEP_1) | instskip(NEXT) | instid1(VALU_DEP_1)
	v_mul_u64_e32 v[2:3], s[20:21], v[0:1]
	v_add_nc_u32_e32 v2, v0, v3
	s_delay_alu instid0(VALU_DEP_1) | instskip(NEXT) | instid1(VALU_DEP_1)
	v_lshrrev_b32_e32 v2, s6, v2
	v_mul_lo_u32 v3, v2, s4
	s_delay_alu instid0(VALU_DEP_1) | instskip(NEXT) | instid1(VALU_DEP_1)
	v_sub_nc_u32_e32 v0, v0, v3
	v_mul_lo_u32 v4, v0, s33
	v_mul_lo_u32 v5, v0, s9
	;; [unrolled: 1-line block ×3, first 2 shown]
	s_cbranch_vccnz .LBB53_52
; %bb.51:
	v_mov_b32_e32 v3, v1
	s_delay_alu instid0(VALU_DEP_1) | instskip(NEXT) | instid1(VALU_DEP_1)
	v_mul_u64_e32 v[0:1], s[22:23], v[2:3]
	v_add_nc_u32_e32 v0, v2, v1
	s_delay_alu instid0(VALU_DEP_1) | instskip(NEXT) | instid1(VALU_DEP_1)
	v_lshrrev_b32_e32 v0, s17, v0
	v_mul_lo_u32 v0, v0, s7
	s_delay_alu instid0(VALU_DEP_1) | instskip(NEXT) | instid1(VALU_DEP_1)
	v_sub_nc_u32_e32 v0, v2, v0
	v_mad_u32 v4, v0, s10, v4
	v_mad_u32 v6, v0, s18, v6
	;; [unrolled: 1-line block ×3, first 2 shown]
.LBB53_52:
	global_load_b32 v0, v6, s[0:1]
	global_load_b32 v1, v5, s[2:3]
	s_wait_loadcnt 0x1
	v_mul_lo_u32 v0, v0, s31
	s_wait_loadcnt 0x0
	s_delay_alu instid0(VALU_DEP_1)
	v_mul_lo_u32 v0, v0, v1
	global_store_b32 v4, v0, s[14:15]
.LBB53_53:
	s_wait_xcnt 0x0
	s_or_b32 exec_lo, exec_lo, s5
                                        ; implicit-def: $vgpr2
                                        ; implicit-def: $vgpr0
.LBB53_54:
	s_and_not1_saveexec_b32 s0, s30
	s_cbranch_execz .LBB53_61
; %bb.55:
	v_cndmask_b32_e64 v5, 0, 1, s29
	s_and_not1_b32 vcc_lo, exec_lo, s29
	s_cbranch_vccnz .LBB53_62
; %bb.56:
	s_cmp_lg_u32 s11, 0
	s_mov_b32 s4, 0
	s_cbranch_scc0 .LBB53_66
; %bb.57:
	s_min_u32 s5, s28, 15
	v_dual_mov_b32 v1, 0 :: v_dual_mov_b32 v6, v0
	v_dual_mov_b32 v3, 0 :: v_dual_mov_b32 v4, 0
	s_add_co_i32 s2, s5, 1
	s_mov_b64 s[0:1], 0xffffffffffffffe0
	s_and_b32 s6, s2, 30
	s_add_nc_u64 s[0:1], s[12:13], s[0:1]
	s_mov_b64 s[2:3], s[12:13]
.LBB53_58:                              ; =>This Inner Loop Header: Depth=1
	s_clause 0x1
	s_load_b128 s[16:19], s[2:3], 0x4
	s_load_b64 s[14:15], s[2:3], 0x14
	s_clause 0x1
	s_load_b32 s7, s[0:1], 0xe4
	s_load_b96 s[8:10], s[0:1], 0xec
	s_add_co_i32 s6, s6, -2
	s_wait_xcnt 0x0
	s_add_nc_u64 s[2:3], s[2:3], 24
	s_cmp_lg_u32 s6, 0
	s_wait_kmcnt 0x0
	v_mul_hi_u32 v7, s17, v6
	s_delay_alu instid0(VALU_DEP_1) | instskip(NEXT) | instid1(VALU_DEP_1)
	v_add_nc_u32_e32 v7, v6, v7
	v_lshrrev_b32_e32 v7, s18, v7
	s_delay_alu instid0(VALU_DEP_1) | instskip(SKIP_1) | instid1(VALU_DEP_1)
	v_mul_hi_u32 v8, s14, v7
	v_mul_lo_u32 v9, v7, s16
	v_dual_add_nc_u32 v8, v7, v8 :: v_dual_sub_nc_u32 v9, v6, v9
	s_delay_alu instid0(VALU_DEP_1) | instskip(SKIP_1) | instid1(VALU_DEP_2)
	v_lshrrev_b32_e32 v6, s15, v8
	s_load_b64 s[14:15], s[0:1], 0xfc
	v_mad_u32 v1, v9, s7, v1
	v_mad_u32 v4, v9, s9, v4
	;; [unrolled: 1-line block ×3, first 2 shown]
	v_mul_lo_u32 v8, v6, s19
	s_wait_xcnt 0x0
	s_add_nc_u64 s[0:1], s[0:1], 32
	s_delay_alu instid0(VALU_DEP_1) | instskip(NEXT) | instid1(VALU_DEP_1)
	v_sub_nc_u32_e32 v7, v7, v8
	v_mad_u32 v1, v7, s10, v1
	s_wait_kmcnt 0x0
	v_mad_u32 v4, v7, s15, v4
	v_mad_u32 v3, v7, s14, v3
	s_cbranch_scc1 .LBB53_58
; %bb.59:
	s_bitcmp1_b32 s5, 0
	s_cselect_b32 s5, -1, 0
	s_delay_alu instid0(SALU_CYCLE_1)
	s_and_b32 vcc_lo, exec_lo, s5
	s_cbranch_vccnz .LBB53_63
; %bb.60:
	s_load_b96 s[8:10], s[2:3], 0x4
	s_load_b32 s5, s[0:1], 0xe4
	s_wait_xcnt 0x0
	s_load_b64 s[2:3], s[0:1], 0xec
	s_wait_kmcnt 0x0
	v_mul_hi_u32 v7, s9, v6
	s_delay_alu instid0(VALU_DEP_1) | instskip(NEXT) | instid1(VALU_DEP_1)
	v_add_nc_u32_e32 v7, v6, v7
	v_lshrrev_b32_e32 v7, s10, v7
	s_delay_alu instid0(VALU_DEP_1) | instskip(NEXT) | instid1(VALU_DEP_1)
	v_mul_lo_u32 v7, v7, s8
	v_sub_nc_u32_e32 v6, v6, v7
	s_delay_alu instid0(VALU_DEP_1)
	v_mad_u32 v1, v6, s5, v1
	v_mad_u32 v3, v6, s2, v3
	;; [unrolled: 1-line block ×3, first 2 shown]
	s_and_not1_b32 vcc_lo, exec_lo, s4
	s_cbranch_vccz .LBB53_64
	s_branch .LBB53_67
.LBB53_61:
	s_endpgm
.LBB53_62:
	s_mov_b32 s4, -1
                                        ; implicit-def: $vgpr4
                                        ; implicit-def: $vgpr3
                                        ; implicit-def: $vgpr1
.LBB53_63:
	s_delay_alu instid0(SALU_CYCLE_1)
	s_and_not1_b32 vcc_lo, exec_lo, s4
	s_cbranch_vccnz .LBB53_67
.LBB53_64:
	s_clause 0x2
	s_load_b96 s[0:2], s[12:13], 0x4
	s_load_b32 s3, s[12:13], 0xc4
	s_load_b64 s[4:5], s[12:13], 0xcc
	s_cmp_lt_u32 s11, 2
	s_wait_kmcnt 0x0
	v_mul_hi_u32 v1, s1, v0
	s_delay_alu instid0(VALU_DEP_1) | instskip(NEXT) | instid1(VALU_DEP_1)
	v_add_nc_u32_e32 v1, v0, v1
	v_lshrrev_b32_e32 v6, s2, v1
	s_delay_alu instid0(VALU_DEP_1) | instskip(NEXT) | instid1(VALU_DEP_1)
	v_mul_lo_u32 v1, v6, s0
	v_sub_nc_u32_e32 v3, v0, v1
	s_delay_alu instid0(VALU_DEP_1)
	v_mul_lo_u32 v1, v3, s3
	v_mul_lo_u32 v4, v3, s5
	;; [unrolled: 1-line block ×3, first 2 shown]
	s_cbranch_scc1 .LBB53_67
; %bb.65:
	s_clause 0x2
	s_load_b96 s[0:2], s[12:13], 0x10
	s_load_b32 s3, s[12:13], 0xd4
	s_load_b64 s[4:5], s[12:13], 0xdc
	s_wait_kmcnt 0x0
	v_mul_hi_u32 v7, s1, v6
	s_delay_alu instid0(VALU_DEP_1) | instskip(NEXT) | instid1(VALU_DEP_1)
	v_add_nc_u32_e32 v7, v6, v7
	v_lshrrev_b32_e32 v7, s2, v7
	s_delay_alu instid0(VALU_DEP_1) | instskip(NEXT) | instid1(VALU_DEP_1)
	v_mul_lo_u32 v7, v7, s0
	v_sub_nc_u32_e32 v6, v6, v7
	s_delay_alu instid0(VALU_DEP_1)
	v_mad_u32 v1, v6, s3, v1
	v_mad_u32 v3, v6, s4, v3
	;; [unrolled: 1-line block ×3, first 2 shown]
	s_branch .LBB53_67
.LBB53_66:
	v_dual_mov_b32 v4, 0 :: v_dual_mov_b32 v3, 0
	v_mov_b32_e32 v1, 0
	s_and_not1_b32 vcc_lo, exec_lo, s4
	s_cbranch_vccz .LBB53_64
.LBB53_67:
	v_cmp_ne_u32_e32 vcc_lo, 1, v5
	v_add_nc_u32_e32 v9, 0x80, v0
	s_cbranch_vccnz .LBB53_73
; %bb.68:
	s_cmp_lg_u32 s11, 0
	s_mov_b32 s4, 0
	s_cbranch_scc0 .LBB53_77
; %bb.69:
	s_min_u32 s5, s28, 15
	v_dual_mov_b32 v6, 0 :: v_dual_mov_b32 v10, v9
	v_dual_mov_b32 v8, 0 :: v_dual_mov_b32 v7, 0
	s_add_co_i32 s2, s5, 1
	s_mov_b64 s[0:1], 0xffffffffffffffe0
	s_and_b32 s6, s2, 30
	s_add_nc_u64 s[0:1], s[12:13], s[0:1]
	s_mov_b64 s[2:3], s[12:13]
.LBB53_70:                              ; =>This Inner Loop Header: Depth=1
	s_clause 0x1
	s_load_b128 s[16:19], s[2:3], 0x4
	s_load_b64 s[14:15], s[2:3], 0x14
	s_clause 0x1
	s_load_b32 s7, s[0:1], 0xe4
	s_load_b96 s[8:10], s[0:1], 0xec
	s_add_co_i32 s6, s6, -2
	s_wait_xcnt 0x0
	s_add_nc_u64 s[2:3], s[2:3], 24
	s_cmp_lg_u32 s6, 0
	s_wait_kmcnt 0x0
	v_mul_hi_u32 v11, s17, v10
	s_delay_alu instid0(VALU_DEP_1) | instskip(NEXT) | instid1(VALU_DEP_1)
	v_add_nc_u32_e32 v11, v10, v11
	v_lshrrev_b32_e32 v11, s18, v11
	s_delay_alu instid0(VALU_DEP_1) | instskip(SKIP_1) | instid1(VALU_DEP_1)
	v_mul_hi_u32 v12, s14, v11
	v_mul_lo_u32 v13, v11, s16
	v_dual_add_nc_u32 v12, v11, v12 :: v_dual_sub_nc_u32 v13, v10, v13
	s_delay_alu instid0(VALU_DEP_1) | instskip(SKIP_1) | instid1(VALU_DEP_2)
	v_lshrrev_b32_e32 v10, s15, v12
	s_load_b64 s[14:15], s[0:1], 0xfc
	v_mad_u32 v6, v13, s7, v6
	v_mad_u32 v7, v13, s9, v7
	;; [unrolled: 1-line block ×3, first 2 shown]
	v_mul_lo_u32 v12, v10, s19
	s_wait_xcnt 0x0
	s_add_nc_u64 s[0:1], s[0:1], 32
	s_delay_alu instid0(VALU_DEP_1) | instskip(NEXT) | instid1(VALU_DEP_1)
	v_sub_nc_u32_e32 v11, v11, v12
	v_mad_u32 v6, v11, s10, v6
	s_wait_kmcnt 0x0
	v_mad_u32 v7, v11, s15, v7
	v_mad_u32 v8, v11, s14, v8
	s_cbranch_scc1 .LBB53_70
; %bb.71:
	s_bitcmp1_b32 s5, 0
	s_cselect_b32 s5, -1, 0
	s_delay_alu instid0(SALU_CYCLE_1)
	s_and_b32 vcc_lo, exec_lo, s5
	s_cbranch_vccnz .LBB53_74
; %bb.72:
	s_load_b96 s[8:10], s[2:3], 0x4
	s_load_b32 s5, s[0:1], 0xe4
	s_wait_xcnt 0x0
	s_load_b64 s[2:3], s[0:1], 0xec
	s_wait_kmcnt 0x0
	v_mul_hi_u32 v11, s9, v10
	s_delay_alu instid0(VALU_DEP_1) | instskip(NEXT) | instid1(VALU_DEP_1)
	v_add_nc_u32_e32 v11, v10, v11
	v_lshrrev_b32_e32 v11, s10, v11
	s_delay_alu instid0(VALU_DEP_1) | instskip(NEXT) | instid1(VALU_DEP_1)
	v_mul_lo_u32 v11, v11, s8
	v_sub_nc_u32_e32 v10, v10, v11
	s_delay_alu instid0(VALU_DEP_1)
	v_mad_u32 v6, v10, s5, v6
	v_mad_u32 v8, v10, s2, v8
	;; [unrolled: 1-line block ×3, first 2 shown]
	s_and_not1_b32 vcc_lo, exec_lo, s4
	s_cbranch_vccz .LBB53_75
	s_branch .LBB53_78
.LBB53_73:
	s_mov_b32 s4, -1
                                        ; implicit-def: $vgpr7
                                        ; implicit-def: $vgpr8
                                        ; implicit-def: $vgpr6
.LBB53_74:
	s_delay_alu instid0(SALU_CYCLE_1)
	s_and_not1_b32 vcc_lo, exec_lo, s4
	s_cbranch_vccnz .LBB53_78
.LBB53_75:
	s_clause 0x2
	s_load_b96 s[0:2], s[12:13], 0x4
	s_load_b32 s3, s[12:13], 0xc4
	s_load_b64 s[4:5], s[12:13], 0xcc
	s_cmp_lt_u32 s11, 2
	s_wait_kmcnt 0x0
	v_mul_hi_u32 v6, s1, v9
	s_delay_alu instid0(VALU_DEP_1) | instskip(NEXT) | instid1(VALU_DEP_1)
	v_add_nc_u32_e32 v6, v9, v6
	v_lshrrev_b32_e32 v10, s2, v6
	s_delay_alu instid0(VALU_DEP_1) | instskip(NEXT) | instid1(VALU_DEP_1)
	v_mul_lo_u32 v6, v10, s0
	v_sub_nc_u32_e32 v8, v9, v6
	s_delay_alu instid0(VALU_DEP_1)
	v_mul_lo_u32 v6, v8, s3
	v_mul_lo_u32 v7, v8, s5
	v_mul_lo_u32 v8, v8, s4
	s_cbranch_scc1 .LBB53_78
; %bb.76:
	s_clause 0x2
	s_load_b96 s[0:2], s[12:13], 0x10
	s_load_b32 s3, s[12:13], 0xd4
	s_load_b64 s[4:5], s[12:13], 0xdc
	s_wait_kmcnt 0x0
	v_mul_hi_u32 v9, s1, v10
	s_delay_alu instid0(VALU_DEP_1) | instskip(NEXT) | instid1(VALU_DEP_1)
	v_add_nc_u32_e32 v9, v10, v9
	v_lshrrev_b32_e32 v9, s2, v9
	s_delay_alu instid0(VALU_DEP_1) | instskip(NEXT) | instid1(VALU_DEP_1)
	v_mul_lo_u32 v9, v9, s0
	v_sub_nc_u32_e32 v9, v10, v9
	s_delay_alu instid0(VALU_DEP_1)
	v_mad_u32 v6, v9, s3, v6
	v_mad_u32 v8, v9, s4, v8
	;; [unrolled: 1-line block ×3, first 2 shown]
	s_branch .LBB53_78
.LBB53_77:
	v_dual_mov_b32 v7, 0 :: v_dual_mov_b32 v8, 0
	v_mov_b32_e32 v6, 0
	s_and_not1_b32 vcc_lo, exec_lo, s4
	s_cbranch_vccz .LBB53_75
.LBB53_78:
	v_cmp_ne_u32_e32 vcc_lo, 1, v5
	v_add_nc_u32_e32 v11, 0x100, v0
	s_cbranch_vccnz .LBB53_84
; %bb.79:
	s_cmp_lg_u32 s11, 0
	s_mov_b32 s4, 0
	s_cbranch_scc0 .LBB53_88
; %bb.80:
	s_min_u32 s5, s28, 15
	v_dual_mov_b32 v0, 0 :: v_dual_mov_b32 v12, v11
	v_dual_mov_b32 v10, 0 :: v_dual_mov_b32 v9, 0
	s_add_co_i32 s2, s5, 1
	s_mov_b64 s[0:1], 0xffffffffffffffe0
	s_and_b32 s6, s2, 30
	s_add_nc_u64 s[0:1], s[12:13], s[0:1]
	s_mov_b64 s[2:3], s[12:13]
.LBB53_81:                              ; =>This Inner Loop Header: Depth=1
	s_clause 0x1
	s_load_b128 s[16:19], s[2:3], 0x4
	s_load_b64 s[14:15], s[2:3], 0x14
	s_clause 0x1
	s_load_b32 s7, s[0:1], 0xe4
	s_load_b96 s[8:10], s[0:1], 0xec
	s_add_co_i32 s6, s6, -2
	s_wait_xcnt 0x0
	s_add_nc_u64 s[2:3], s[2:3], 24
	s_cmp_lg_u32 s6, 0
	s_wait_kmcnt 0x0
	v_mul_hi_u32 v13, s17, v12
	s_delay_alu instid0(VALU_DEP_1) | instskip(NEXT) | instid1(VALU_DEP_1)
	v_add_nc_u32_e32 v13, v12, v13
	v_lshrrev_b32_e32 v13, s18, v13
	s_delay_alu instid0(VALU_DEP_1) | instskip(SKIP_1) | instid1(VALU_DEP_1)
	v_mul_hi_u32 v14, s14, v13
	v_mul_lo_u32 v15, v13, s16
	v_dual_add_nc_u32 v14, v13, v14 :: v_dual_sub_nc_u32 v15, v12, v15
	s_delay_alu instid0(VALU_DEP_1) | instskip(SKIP_1) | instid1(VALU_DEP_2)
	v_lshrrev_b32_e32 v12, s15, v14
	s_load_b64 s[14:15], s[0:1], 0xfc
	v_mad_u32 v0, v15, s7, v0
	v_mad_u32 v9, v15, s9, v9
	;; [unrolled: 1-line block ×3, first 2 shown]
	v_mul_lo_u32 v14, v12, s19
	s_wait_xcnt 0x0
	s_add_nc_u64 s[0:1], s[0:1], 32
	s_delay_alu instid0(VALU_DEP_1) | instskip(NEXT) | instid1(VALU_DEP_1)
	v_sub_nc_u32_e32 v13, v13, v14
	v_mad_u32 v0, v13, s10, v0
	s_wait_kmcnt 0x0
	v_mad_u32 v9, v13, s15, v9
	v_mad_u32 v10, v13, s14, v10
	s_cbranch_scc1 .LBB53_81
; %bb.82:
	s_bitcmp1_b32 s5, 0
	s_cselect_b32 s5, -1, 0
	s_delay_alu instid0(SALU_CYCLE_1)
	s_and_b32 vcc_lo, exec_lo, s5
	s_cbranch_vccnz .LBB53_85
; %bb.83:
	s_load_b96 s[8:10], s[2:3], 0x4
	s_load_b32 s5, s[0:1], 0xe4
	s_wait_xcnt 0x0
	s_load_b64 s[2:3], s[0:1], 0xec
	s_wait_kmcnt 0x0
	v_mul_hi_u32 v13, s9, v12
	s_delay_alu instid0(VALU_DEP_1) | instskip(NEXT) | instid1(VALU_DEP_1)
	v_add_nc_u32_e32 v13, v12, v13
	v_lshrrev_b32_e32 v13, s10, v13
	s_delay_alu instid0(VALU_DEP_1) | instskip(NEXT) | instid1(VALU_DEP_1)
	v_mul_lo_u32 v13, v13, s8
	v_sub_nc_u32_e32 v12, v12, v13
	s_delay_alu instid0(VALU_DEP_1)
	v_mad_u32 v0, v12, s5, v0
	v_mad_u32 v10, v12, s2, v10
	;; [unrolled: 1-line block ×3, first 2 shown]
	s_and_not1_b32 vcc_lo, exec_lo, s4
	s_cbranch_vccz .LBB53_86
	s_branch .LBB53_89
.LBB53_84:
	s_mov_b32 s4, -1
                                        ; implicit-def: $vgpr9
                                        ; implicit-def: $vgpr10
                                        ; implicit-def: $vgpr0
.LBB53_85:
	s_delay_alu instid0(SALU_CYCLE_1)
	s_and_not1_b32 vcc_lo, exec_lo, s4
	s_cbranch_vccnz .LBB53_89
.LBB53_86:
	s_clause 0x2
	s_load_b96 s[0:2], s[12:13], 0x4
	s_load_b32 s3, s[12:13], 0xc4
	s_load_b64 s[4:5], s[12:13], 0xcc
	s_cmp_lt_u32 s11, 2
	s_wait_kmcnt 0x0
	v_mul_hi_u32 v0, s1, v11
	s_delay_alu instid0(VALU_DEP_1) | instskip(NEXT) | instid1(VALU_DEP_1)
	v_add_nc_u32_e32 v0, v11, v0
	v_lshrrev_b32_e32 v12, s2, v0
	s_delay_alu instid0(VALU_DEP_1) | instskip(NEXT) | instid1(VALU_DEP_1)
	v_mul_lo_u32 v0, v12, s0
	v_sub_nc_u32_e32 v10, v11, v0
	s_delay_alu instid0(VALU_DEP_1)
	v_mul_lo_u32 v0, v10, s3
	v_mul_lo_u32 v9, v10, s5
	;; [unrolled: 1-line block ×3, first 2 shown]
	s_cbranch_scc1 .LBB53_89
; %bb.87:
	s_clause 0x2
	s_load_b96 s[0:2], s[12:13], 0x10
	s_load_b32 s3, s[12:13], 0xd4
	s_load_b64 s[4:5], s[12:13], 0xdc
	s_wait_kmcnt 0x0
	v_mul_hi_u32 v11, s1, v12
	s_delay_alu instid0(VALU_DEP_1) | instskip(NEXT) | instid1(VALU_DEP_1)
	v_add_nc_u32_e32 v11, v12, v11
	v_lshrrev_b32_e32 v11, s2, v11
	s_delay_alu instid0(VALU_DEP_1) | instskip(NEXT) | instid1(VALU_DEP_1)
	v_mul_lo_u32 v11, v11, s0
	v_sub_nc_u32_e32 v11, v12, v11
	s_delay_alu instid0(VALU_DEP_1)
	v_mad_u32 v0, v11, s3, v0
	v_mad_u32 v10, v11, s4, v10
	v_mad_u32 v9, v11, s5, v9
	s_branch .LBB53_89
.LBB53_88:
	v_dual_mov_b32 v9, 0 :: v_dual_mov_b32 v10, 0
	v_mov_b32_e32 v0, 0
	s_and_not1_b32 vcc_lo, exec_lo, s4
	s_cbranch_vccz .LBB53_86
.LBB53_89:
	v_cmp_ne_u32_e32 vcc_lo, 1, v5
	s_cbranch_vccnz .LBB53_95
; %bb.90:
	s_cmp_lg_u32 s11, 0
	s_mov_b32 s4, 0
	s_cbranch_scc0 .LBB53_99
; %bb.91:
	s_min_u32 s5, s28, 15
	v_dual_mov_b32 v5, 0 :: v_dual_mov_b32 v13, v2
	v_dual_mov_b32 v11, 0 :: v_dual_mov_b32 v12, 0
	s_add_co_i32 s2, s5, 1
	s_mov_b64 s[0:1], 0xffffffffffffffe0
	s_and_b32 s6, s2, 30
	s_add_nc_u64 s[0:1], s[12:13], s[0:1]
	s_mov_b64 s[2:3], s[12:13]
.LBB53_92:                              ; =>This Inner Loop Header: Depth=1
	s_clause 0x1
	s_load_b128 s[16:19], s[2:3], 0x4
	s_load_b64 s[14:15], s[2:3], 0x14
	s_clause 0x1
	s_load_b32 s7, s[0:1], 0xe4
	s_load_b96 s[8:10], s[0:1], 0xec
	s_add_co_i32 s6, s6, -2
	s_wait_xcnt 0x0
	s_add_nc_u64 s[2:3], s[2:3], 24
	s_cmp_lg_u32 s6, 0
	s_wait_kmcnt 0x0
	v_mul_hi_u32 v14, s17, v13
	s_delay_alu instid0(VALU_DEP_1) | instskip(NEXT) | instid1(VALU_DEP_1)
	v_add_nc_u32_e32 v14, v13, v14
	v_lshrrev_b32_e32 v14, s18, v14
	s_delay_alu instid0(VALU_DEP_1) | instskip(SKIP_1) | instid1(VALU_DEP_1)
	v_mul_hi_u32 v15, s14, v14
	v_mul_lo_u32 v16, v14, s16
	v_dual_add_nc_u32 v15, v14, v15 :: v_dual_sub_nc_u32 v16, v13, v16
	s_delay_alu instid0(VALU_DEP_1) | instskip(SKIP_1) | instid1(VALU_DEP_2)
	v_lshrrev_b32_e32 v13, s15, v15
	s_load_b64 s[14:15], s[0:1], 0xfc
	v_mad_u32 v5, v16, s7, v5
	v_mad_u32 v12, v16, s9, v12
	;; [unrolled: 1-line block ×3, first 2 shown]
	v_mul_lo_u32 v15, v13, s19
	s_wait_xcnt 0x0
	s_add_nc_u64 s[0:1], s[0:1], 32
	s_delay_alu instid0(VALU_DEP_1) | instskip(NEXT) | instid1(VALU_DEP_1)
	v_sub_nc_u32_e32 v14, v14, v15
	v_mad_u32 v5, v14, s10, v5
	s_wait_kmcnt 0x0
	v_mad_u32 v12, v14, s15, v12
	v_mad_u32 v11, v14, s14, v11
	s_cbranch_scc1 .LBB53_92
; %bb.93:
	s_bitcmp1_b32 s5, 0
	s_cselect_b32 s5, -1, 0
	s_delay_alu instid0(SALU_CYCLE_1)
	s_and_b32 vcc_lo, exec_lo, s5
	s_cbranch_vccnz .LBB53_96
; %bb.94:
	s_load_b96 s[8:10], s[2:3], 0x4
	s_load_b32 s5, s[0:1], 0xe4
	s_wait_xcnt 0x0
	s_load_b64 s[2:3], s[0:1], 0xec
	s_wait_kmcnt 0x0
	v_mul_hi_u32 v14, s9, v13
	s_delay_alu instid0(VALU_DEP_1) | instskip(NEXT) | instid1(VALU_DEP_1)
	v_add_nc_u32_e32 v14, v13, v14
	v_lshrrev_b32_e32 v14, s10, v14
	s_delay_alu instid0(VALU_DEP_1) | instskip(NEXT) | instid1(VALU_DEP_1)
	v_mul_lo_u32 v14, v14, s8
	v_sub_nc_u32_e32 v13, v13, v14
	s_delay_alu instid0(VALU_DEP_1)
	v_mad_u32 v5, v13, s5, v5
	v_mad_u32 v11, v13, s2, v11
	;; [unrolled: 1-line block ×3, first 2 shown]
	s_and_not1_b32 vcc_lo, exec_lo, s4
	s_cbranch_vccz .LBB53_97
	s_branch .LBB53_100
.LBB53_95:
	s_mov_b32 s4, -1
                                        ; implicit-def: $vgpr12
                                        ; implicit-def: $vgpr11
                                        ; implicit-def: $vgpr5
.LBB53_96:
	s_delay_alu instid0(SALU_CYCLE_1)
	s_and_not1_b32 vcc_lo, exec_lo, s4
	s_cbranch_vccnz .LBB53_100
.LBB53_97:
	s_clause 0x2
	s_load_b96 s[0:2], s[12:13], 0x4
	s_load_b32 s3, s[12:13], 0xc4
	s_load_b64 s[4:5], s[12:13], 0xcc
	s_cmp_lt_u32 s11, 2
	s_wait_kmcnt 0x0
	v_mul_hi_u32 v5, s1, v2
	s_delay_alu instid0(VALU_DEP_1) | instskip(NEXT) | instid1(VALU_DEP_1)
	v_add_nc_u32_e32 v5, v2, v5
	v_lshrrev_b32_e32 v13, s2, v5
	s_delay_alu instid0(VALU_DEP_1) | instskip(NEXT) | instid1(VALU_DEP_1)
	v_mul_lo_u32 v5, v13, s0
	v_sub_nc_u32_e32 v2, v2, v5
	s_delay_alu instid0(VALU_DEP_1)
	v_mul_lo_u32 v5, v2, s3
	v_mul_lo_u32 v12, v2, s5
	;; [unrolled: 1-line block ×3, first 2 shown]
	s_cbranch_scc1 .LBB53_100
; %bb.98:
	s_clause 0x2
	s_load_b96 s[0:2], s[12:13], 0x10
	s_load_b32 s3, s[12:13], 0xd4
	s_load_b64 s[4:5], s[12:13], 0xdc
	s_wait_kmcnt 0x0
	v_mul_hi_u32 v2, s1, v13
	s_delay_alu instid0(VALU_DEP_1) | instskip(NEXT) | instid1(VALU_DEP_1)
	v_add_nc_u32_e32 v2, v13, v2
	v_lshrrev_b32_e32 v2, s2, v2
	s_delay_alu instid0(VALU_DEP_1) | instskip(NEXT) | instid1(VALU_DEP_1)
	v_mul_lo_u32 v2, v2, s0
	v_sub_nc_u32_e32 v2, v13, v2
	s_delay_alu instid0(VALU_DEP_1)
	v_mad_u32 v5, v2, s3, v5
	v_mad_u32 v11, v2, s4, v11
	;; [unrolled: 1-line block ×3, first 2 shown]
	s_branch .LBB53_100
.LBB53_99:
	v_dual_mov_b32 v12, 0 :: v_dual_mov_b32 v11, 0
	v_mov_b32_e32 v5, 0
	s_and_not1_b32 vcc_lo, exec_lo, s4
	s_cbranch_vccz .LBB53_97
.LBB53_100:
	s_load_b128 s[0:3], s[12:13], 0x1d8
	s_wait_kmcnt 0x0
	s_clause 0x3
	global_load_b32 v2, v3, s[0:1]
	global_load_b32 v13, v8, s[0:1]
	;; [unrolled: 1-line block ×4, first 2 shown]
	s_clause 0x3
	global_load_b32 v16, v4, s[2:3]
	global_load_b32 v17, v7, s[2:3]
	;; [unrolled: 1-line block ×4, first 2 shown]
	s_wait_xcnt 0x0
	s_clause 0x1
	s_load_b32 s2, s[12:13], 0x1e8
	s_load_b64 s[0:1], s[12:13], 0x1c8
	s_wait_loadcnt 0x7
	s_wait_kmcnt 0x0
	v_mul_lo_u32 v2, v2, s2
	s_wait_loadcnt 0x6
	v_mul_lo_u32 v3, v13, s2
	s_wait_loadcnt 0x5
	;; [unrolled: 2-line block ×4, first 2 shown]
	s_delay_alu instid0(VALU_DEP_4) | instskip(SKIP_1) | instid1(VALU_DEP_4)
	v_mul_lo_u32 v2, v2, v16
	s_wait_loadcnt 0x2
	v_mul_lo_u32 v3, v3, v17
	s_wait_loadcnt 0x1
	s_delay_alu instid0(VALU_DEP_4) | instskip(SKIP_1) | instid1(VALU_DEP_4)
	v_mul_lo_u32 v4, v4, v18
	s_wait_loadcnt 0x0
	v_mul_lo_u32 v7, v7, v19
	s_clause 0x3
	global_store_b32 v1, v2, s[0:1]
	global_store_b32 v6, v3, s[0:1]
	;; [unrolled: 1-line block ×4, first 2 shown]
	s_endpgm
	.section	.rodata,"a",@progbits
	.p2align	6, 0x0
	.amdhsa_kernel _ZN2at6native32elementwise_kernel_manual_unrollILi128ELi4EZNS0_22gpu_kernel_impl_nocastIZZZNS0_12_GLOBAL__N_116addr_kernel_cudaERNS_14TensorIteratorERKN3c106ScalarES9_ENKUlvE_clEvENKUlvE1_clEvEUliiiE_EEvRNS_18TensorIteratorBaseERKT_EUlibE_EEviT1_
		.amdhsa_group_segment_fixed_size 0
		.amdhsa_private_segment_fixed_size 0
		.amdhsa_kernarg_size 504
		.amdhsa_user_sgpr_count 2
		.amdhsa_user_sgpr_dispatch_ptr 0
		.amdhsa_user_sgpr_queue_ptr 0
		.amdhsa_user_sgpr_kernarg_segment_ptr 1
		.amdhsa_user_sgpr_dispatch_id 0
		.amdhsa_user_sgpr_kernarg_preload_length 0
		.amdhsa_user_sgpr_kernarg_preload_offset 0
		.amdhsa_user_sgpr_private_segment_size 0
		.amdhsa_wavefront_size32 1
		.amdhsa_uses_dynamic_stack 0
		.amdhsa_enable_private_segment 0
		.amdhsa_system_sgpr_workgroup_id_x 1
		.amdhsa_system_sgpr_workgroup_id_y 0
		.amdhsa_system_sgpr_workgroup_id_z 0
		.amdhsa_system_sgpr_workgroup_info 0
		.amdhsa_system_vgpr_workitem_id 0
		.amdhsa_next_free_vgpr 20
		.amdhsa_next_free_sgpr 45
		.amdhsa_named_barrier_count 0
		.amdhsa_reserve_vcc 1
		.amdhsa_float_round_mode_32 0
		.amdhsa_float_round_mode_16_64 0
		.amdhsa_float_denorm_mode_32 3
		.amdhsa_float_denorm_mode_16_64 3
		.amdhsa_fp16_overflow 0
		.amdhsa_memory_ordered 1
		.amdhsa_forward_progress 1
		.amdhsa_inst_pref_size 45
		.amdhsa_round_robin_scheduling 0
		.amdhsa_exception_fp_ieee_invalid_op 0
		.amdhsa_exception_fp_denorm_src 0
		.amdhsa_exception_fp_ieee_div_zero 0
		.amdhsa_exception_fp_ieee_overflow 0
		.amdhsa_exception_fp_ieee_underflow 0
		.amdhsa_exception_fp_ieee_inexact 0
		.amdhsa_exception_int_div_zero 0
	.end_amdhsa_kernel
	.section	.text._ZN2at6native32elementwise_kernel_manual_unrollILi128ELi4EZNS0_22gpu_kernel_impl_nocastIZZZNS0_12_GLOBAL__N_116addr_kernel_cudaERNS_14TensorIteratorERKN3c106ScalarES9_ENKUlvE_clEvENKUlvE1_clEvEUliiiE_EEvRNS_18TensorIteratorBaseERKT_EUlibE_EEviT1_,"axG",@progbits,_ZN2at6native32elementwise_kernel_manual_unrollILi128ELi4EZNS0_22gpu_kernel_impl_nocastIZZZNS0_12_GLOBAL__N_116addr_kernel_cudaERNS_14TensorIteratorERKN3c106ScalarES9_ENKUlvE_clEvENKUlvE1_clEvEUliiiE_EEvRNS_18TensorIteratorBaseERKT_EUlibE_EEviT1_,comdat
.Lfunc_end53:
	.size	_ZN2at6native32elementwise_kernel_manual_unrollILi128ELi4EZNS0_22gpu_kernel_impl_nocastIZZZNS0_12_GLOBAL__N_116addr_kernel_cudaERNS_14TensorIteratorERKN3c106ScalarES9_ENKUlvE_clEvENKUlvE1_clEvEUliiiE_EEvRNS_18TensorIteratorBaseERKT_EUlibE_EEviT1_, .Lfunc_end53-_ZN2at6native32elementwise_kernel_manual_unrollILi128ELi4EZNS0_22gpu_kernel_impl_nocastIZZZNS0_12_GLOBAL__N_116addr_kernel_cudaERNS_14TensorIteratorERKN3c106ScalarES9_ENKUlvE_clEvENKUlvE1_clEvEUliiiE_EEvRNS_18TensorIteratorBaseERKT_EUlibE_EEviT1_
                                        ; -- End function
	.set _ZN2at6native32elementwise_kernel_manual_unrollILi128ELi4EZNS0_22gpu_kernel_impl_nocastIZZZNS0_12_GLOBAL__N_116addr_kernel_cudaERNS_14TensorIteratorERKN3c106ScalarES9_ENKUlvE_clEvENKUlvE1_clEvEUliiiE_EEvRNS_18TensorIteratorBaseERKT_EUlibE_EEviT1_.num_vgpr, 20
	.set _ZN2at6native32elementwise_kernel_manual_unrollILi128ELi4EZNS0_22gpu_kernel_impl_nocastIZZZNS0_12_GLOBAL__N_116addr_kernel_cudaERNS_14TensorIteratorERKN3c106ScalarES9_ENKUlvE_clEvENKUlvE1_clEvEUliiiE_EEvRNS_18TensorIteratorBaseERKT_EUlibE_EEviT1_.num_agpr, 0
	.set _ZN2at6native32elementwise_kernel_manual_unrollILi128ELi4EZNS0_22gpu_kernel_impl_nocastIZZZNS0_12_GLOBAL__N_116addr_kernel_cudaERNS_14TensorIteratorERKN3c106ScalarES9_ENKUlvE_clEvENKUlvE1_clEvEUliiiE_EEvRNS_18TensorIteratorBaseERKT_EUlibE_EEviT1_.numbered_sgpr, 45
	.set _ZN2at6native32elementwise_kernel_manual_unrollILi128ELi4EZNS0_22gpu_kernel_impl_nocastIZZZNS0_12_GLOBAL__N_116addr_kernel_cudaERNS_14TensorIteratorERKN3c106ScalarES9_ENKUlvE_clEvENKUlvE1_clEvEUliiiE_EEvRNS_18TensorIteratorBaseERKT_EUlibE_EEviT1_.num_named_barrier, 0
	.set _ZN2at6native32elementwise_kernel_manual_unrollILi128ELi4EZNS0_22gpu_kernel_impl_nocastIZZZNS0_12_GLOBAL__N_116addr_kernel_cudaERNS_14TensorIteratorERKN3c106ScalarES9_ENKUlvE_clEvENKUlvE1_clEvEUliiiE_EEvRNS_18TensorIteratorBaseERKT_EUlibE_EEviT1_.private_seg_size, 0
	.set _ZN2at6native32elementwise_kernel_manual_unrollILi128ELi4EZNS0_22gpu_kernel_impl_nocastIZZZNS0_12_GLOBAL__N_116addr_kernel_cudaERNS_14TensorIteratorERKN3c106ScalarES9_ENKUlvE_clEvENKUlvE1_clEvEUliiiE_EEvRNS_18TensorIteratorBaseERKT_EUlibE_EEviT1_.uses_vcc, 1
	.set _ZN2at6native32elementwise_kernel_manual_unrollILi128ELi4EZNS0_22gpu_kernel_impl_nocastIZZZNS0_12_GLOBAL__N_116addr_kernel_cudaERNS_14TensorIteratorERKN3c106ScalarES9_ENKUlvE_clEvENKUlvE1_clEvEUliiiE_EEvRNS_18TensorIteratorBaseERKT_EUlibE_EEviT1_.uses_flat_scratch, 0
	.set _ZN2at6native32elementwise_kernel_manual_unrollILi128ELi4EZNS0_22gpu_kernel_impl_nocastIZZZNS0_12_GLOBAL__N_116addr_kernel_cudaERNS_14TensorIteratorERKN3c106ScalarES9_ENKUlvE_clEvENKUlvE1_clEvEUliiiE_EEvRNS_18TensorIteratorBaseERKT_EUlibE_EEviT1_.has_dyn_sized_stack, 0
	.set _ZN2at6native32elementwise_kernel_manual_unrollILi128ELi4EZNS0_22gpu_kernel_impl_nocastIZZZNS0_12_GLOBAL__N_116addr_kernel_cudaERNS_14TensorIteratorERKN3c106ScalarES9_ENKUlvE_clEvENKUlvE1_clEvEUliiiE_EEvRNS_18TensorIteratorBaseERKT_EUlibE_EEviT1_.has_recursion, 0
	.set _ZN2at6native32elementwise_kernel_manual_unrollILi128ELi4EZNS0_22gpu_kernel_impl_nocastIZZZNS0_12_GLOBAL__N_116addr_kernel_cudaERNS_14TensorIteratorERKN3c106ScalarES9_ENKUlvE_clEvENKUlvE1_clEvEUliiiE_EEvRNS_18TensorIteratorBaseERKT_EUlibE_EEviT1_.has_indirect_call, 0
	.section	.AMDGPU.csdata,"",@progbits
; Kernel info:
; codeLenInByte = 5756
; TotalNumSgprs: 47
; NumVgprs: 20
; ScratchSize: 0
; MemoryBound: 0
; FloatMode: 240
; IeeeMode: 1
; LDSByteSize: 0 bytes/workgroup (compile time only)
; SGPRBlocks: 0
; VGPRBlocks: 1
; NumSGPRsForWavesPerEU: 47
; NumVGPRsForWavesPerEU: 20
; NamedBarCnt: 0
; Occupancy: 16
; WaveLimiterHint : 1
; COMPUTE_PGM_RSRC2:SCRATCH_EN: 0
; COMPUTE_PGM_RSRC2:USER_SGPR: 2
; COMPUTE_PGM_RSRC2:TRAP_HANDLER: 0
; COMPUTE_PGM_RSRC2:TGID_X_EN: 1
; COMPUTE_PGM_RSRC2:TGID_Y_EN: 0
; COMPUTE_PGM_RSRC2:TGID_Z_EN: 0
; COMPUTE_PGM_RSRC2:TIDIG_COMP_CNT: 0
	.section	.text._ZN2at6native32elementwise_kernel_manual_unrollILi128ELi4EZNS0_15gpu_kernel_implIZZZNS0_12_GLOBAL__N_116addr_kernel_cudaERNS_14TensorIteratorERKN3c106ScalarES9_ENKUlvE_clEvENKUlvE1_clEvEUliiiE_EEvRNS_18TensorIteratorBaseERKT_EUlibE_EEviT1_,"axG",@progbits,_ZN2at6native32elementwise_kernel_manual_unrollILi128ELi4EZNS0_15gpu_kernel_implIZZZNS0_12_GLOBAL__N_116addr_kernel_cudaERNS_14TensorIteratorERKN3c106ScalarES9_ENKUlvE_clEvENKUlvE1_clEvEUliiiE_EEvRNS_18TensorIteratorBaseERKT_EUlibE_EEviT1_,comdat
	.globl	_ZN2at6native32elementwise_kernel_manual_unrollILi128ELi4EZNS0_15gpu_kernel_implIZZZNS0_12_GLOBAL__N_116addr_kernel_cudaERNS_14TensorIteratorERKN3c106ScalarES9_ENKUlvE_clEvENKUlvE1_clEvEUliiiE_EEvRNS_18TensorIteratorBaseERKT_EUlibE_EEviT1_ ; -- Begin function _ZN2at6native32elementwise_kernel_manual_unrollILi128ELi4EZNS0_15gpu_kernel_implIZZZNS0_12_GLOBAL__N_116addr_kernel_cudaERNS_14TensorIteratorERKN3c106ScalarES9_ENKUlvE_clEvENKUlvE1_clEvEUliiiE_EEvRNS_18TensorIteratorBaseERKT_EUlibE_EEviT1_
	.p2align	8
	.type	_ZN2at6native32elementwise_kernel_manual_unrollILi128ELi4EZNS0_15gpu_kernel_implIZZZNS0_12_GLOBAL__N_116addr_kernel_cudaERNS_14TensorIteratorERKN3c106ScalarES9_ENKUlvE_clEvENKUlvE1_clEvEUliiiE_EEvRNS_18TensorIteratorBaseERKT_EUlibE_EEviT1_,@function
_ZN2at6native32elementwise_kernel_manual_unrollILi128ELi4EZNS0_15gpu_kernel_implIZZZNS0_12_GLOBAL__N_116addr_kernel_cudaERNS_14TensorIteratorERKN3c106ScalarES9_ENKUlvE_clEvENKUlvE1_clEvEUliiiE_EEvRNS_18TensorIteratorBaseERKT_EUlibE_EEviT1_: ; @_ZN2at6native32elementwise_kernel_manual_unrollILi128ELi4EZNS0_15gpu_kernel_implIZZZNS0_12_GLOBAL__N_116addr_kernel_cudaERNS_14TensorIteratorERKN3c106ScalarES9_ENKUlvE_clEvENKUlvE1_clEvEUliiiE_EEvRNS_18TensorIteratorBaseERKT_EUlibE_EEviT1_
; %bb.0:
	s_load_b128 s[4:7], s[0:1], 0x30
	s_bfe_u32 s8, ttmp6, 0x4000c
	s_clause 0x1
	s_load_b32 s18, s[0:1], 0x0
	s_load_b64 s[2:3], s[0:1], 0x8
	s_add_co_i32 s13, s8, 1
	s_clause 0x1
	s_load_b128 s[8:11], s[0:1], 0x18
	s_load_b32 s12, s[0:1], 0x28
	s_and_b32 s14, ttmp6, 15
	s_wait_xcnt 0x0
	s_mul_i32 s0, ttmp9, s13
	s_getreg_b32 s16, hwreg(HW_REG_IB_STS2, 6, 4)
	s_add_co_i32 s14, s14, s0
	s_mov_b32 s17, 0
	s_wait_kmcnt 0x0
	s_lshr_b32 s13, s7, 16
	s_lshr_b32 s15, s7, 8
	;; [unrolled: 1-line block ×3, first 2 shown]
	s_cmp_eq_u32 s16, 0
	s_cselect_b32 s0, ttmp9, s14
	s_mov_b32 s14, 0
	v_lshl_or_b32 v6, s0, 9, v0
	s_mov_b32 s0, exec_lo
	s_delay_alu instid0(VALU_DEP_1) | instskip(NEXT) | instid1(VALU_DEP_1)
	v_or_b32_e32 v0, 0x180, v6
	v_cmpx_le_i32_e64 s18, v0
	s_xor_b32 s16, exec_lo, s0
	s_cbranch_execz .LBB54_1592
; %bb.1:
	s_mov_b32 s0, -1
	s_mov_b32 s23, 0
	s_mov_b32 s21, 0
	;; [unrolled: 1-line block ×4, first 2 shown]
	s_mov_b32 s22, exec_lo
	v_cmpx_gt_i32_e64 s18, v6
	s_cbranch_execz .LBB54_394
; %bb.2:
	s_and_b32 s17, s15, 0xff
	s_delay_alu instid0(SALU_CYCLE_1)
	s_cmp_lt_i32 s17, 23
	s_cbranch_scc1 .LBB54_6
; %bb.3:
	s_and_b32 s19, 0xffff, s17
	s_delay_alu instid0(SALU_CYCLE_1)
	s_cmp_gt_i32 s19, 43
	s_cbranch_scc0 .LBB54_7
; %bb.4:
	s_cmp_gt_i32 s19, 45
	s_cbranch_scc0 .LBB54_8
; %bb.5:
	s_cmp_eq_u32 s19, 46
	s_mov_b32 s21, -1
	s_cselect_b32 s0, -1, 0
	s_branch .LBB54_9
.LBB54_6:
	s_mov_b32 s0, 0
	s_cbranch_execnz .LBB54_14
	s_branch .LBB54_18
.LBB54_7:
	s_mov_b32 s0, 0
	s_cbranch_execnz .LBB54_12
	s_branch .LBB54_13
.LBB54_8:
	s_mov_b32 s20, -1
	s_mov_b32 s0, 0
.LBB54_9:
	s_and_not1_b32 vcc_lo, exec_lo, s20
	s_cbranch_vccnz .LBB54_11
; %bb.10:
	s_cmp_eq_u32 s19, 44
	s_cselect_b32 s0, -1, 0
	s_cmp_lg_u32 s19, 44
	s_cselect_b32 s21, -1, 0
.LBB54_11:
	s_branch .LBB54_13
.LBB54_12:
	s_cmp_lt_i32 s19, 30
	s_cselect_b32 s0, -1, 0
	s_cmp_gt_i32 s19, 29
	s_cselect_b32 s21, -1, 0
.LBB54_13:
	s_branch .LBB54_18
.LBB54_14:
	s_and_b32 s17, 0xffff, s17
	s_mov_b32 s19, -1
	s_cmp_gt_i32 s17, 14
	s_cbranch_scc0 .LBB54_16
; %bb.15:
	s_cmp_eq_u32 s17, 15
	s_mov_b32 s19, 0
	s_cselect_b32 s0, -1, 0
	s_cmp_lg_u32 s17, 15
	s_cselect_b32 s21, -1, 0
.LBB54_16:
	s_and_not1_b32 vcc_lo, exec_lo, s19
	s_cbranch_vccnz .LBB54_18
; %bb.17:
	s_cmp_lt_i32 s17, 12
	s_cselect_b32 s0, -1, 0
	s_cmp_gt_i32 s17, 11
	s_cselect_b32 s21, -1, 0
.LBB54_18:
	s_and_b32 vcc_lo, exec_lo, s0
	s_cbranch_vccz .LBB54_26
; %bb.19:
	v_mul_lo_u32 v0, v6, s4
	s_and_b32 s0, s13, 0xff
	s_delay_alu instid0(SALU_CYCLE_1) | instskip(NEXT) | instid1(VALU_DEP_1)
	s_cmp_lt_i32 s0, 11
	v_ashrrev_i32_e32 v1, 31, v0
	s_delay_alu instid0(VALU_DEP_1)
	v_add_nc_u64_e32 v[0:1], s[8:9], v[0:1]
	s_cbranch_scc1 .LBB54_28
; %bb.20:
	s_and_b32 s17, 0xffff, s0
	s_delay_alu instid0(SALU_CYCLE_1)
	s_cmp_gt_i32 s17, 25
	s_cbranch_scc0 .LBB54_29
; %bb.21:
	s_cmp_gt_i32 s17, 28
	s_cbranch_scc0 .LBB54_30
; %bb.22:
	;; [unrolled: 3-line block ×4, first 2 shown]
	s_cmp_eq_u32 s17, 46
	s_mov_b32 s21, 0
	s_cbranch_scc0 .LBB54_33
; %bb.25:
	global_load_b32 v2, v[0:1], off
	s_mov_b32 s19, -1
	s_mov_b32 s20, 0
	s_wait_loadcnt 0x0
	v_lshlrev_b32_e32 v2, 16, v2
	s_delay_alu instid0(VALU_DEP_1)
	v_cvt_i32_f32_e32 v2, v2
	s_branch .LBB54_35
.LBB54_26:
	s_mov_b32 s0, 0
	s_mov_b32 s19, 0
	;; [unrolled: 1-line block ×3, first 2 shown]
.LBB54_27:
	s_mov_b32 s24, 0
                                        ; implicit-def: $vgpr6
	s_branch .LBB54_393
.LBB54_28:
	s_mov_b32 s20, 0
	s_mov_b32 s19, 0
                                        ; implicit-def: $vgpr2
	s_cbranch_execnz .LBB54_96
	s_branch .LBB54_144
.LBB54_29:
	s_mov_b32 s21, -1
	s_mov_b32 s20, 0
	s_mov_b32 s19, 0
                                        ; implicit-def: $vgpr2
	s_branch .LBB54_62
.LBB54_30:
	s_mov_b32 s21, -1
	s_mov_b32 s20, 0
	s_mov_b32 s19, 0
                                        ; implicit-def: $vgpr2
	s_branch .LBB54_45
.LBB54_31:
	s_mov_b32 s21, -1
	s_mov_b32 s20, 0
	s_mov_b32 s19, 0
                                        ; implicit-def: $vgpr2
	s_branch .LBB54_40
.LBB54_32:
	s_mov_b32 s21, -1
	s_mov_b32 s20, 0
	s_branch .LBB54_34
.LBB54_33:
	s_mov_b32 s20, -1
.LBB54_34:
	s_mov_b32 s19, 0
                                        ; implicit-def: $vgpr2
.LBB54_35:
	s_and_b32 vcc_lo, exec_lo, s21
	s_cbranch_vccz .LBB54_39
; %bb.36:
	s_cmp_eq_u32 s17, 44
	s_cbranch_scc0 .LBB54_38
; %bb.37:
	global_load_u8 v2, v[0:1], off
	s_mov_b32 s20, 0
	s_mov_b32 s19, -1
	s_wait_loadcnt 0x0
	v_lshlrev_b32_e32 v3, 23, v2
	v_cmp_ne_u32_e32 vcc_lo, 0, v2
	s_delay_alu instid0(VALU_DEP_2) | instskip(NEXT) | instid1(VALU_DEP_1)
	v_cvt_i32_f32_e32 v3, v3
	v_cndmask_b32_e32 v2, 0, v3, vcc_lo
	s_branch .LBB54_39
.LBB54_38:
	s_mov_b32 s20, -1
                                        ; implicit-def: $vgpr2
.LBB54_39:
	s_mov_b32 s21, 0
.LBB54_40:
	s_delay_alu instid0(SALU_CYCLE_1)
	s_and_b32 vcc_lo, exec_lo, s21
	s_cbranch_vccz .LBB54_44
; %bb.41:
	s_cmp_eq_u32 s17, 29
	s_cbranch_scc0 .LBB54_43
; %bb.42:
	global_load_b32 v2, v[0:1], off
	s_mov_b32 s19, -1
	s_mov_b32 s20, 0
	s_branch .LBB54_44
.LBB54_43:
	s_mov_b32 s20, -1
                                        ; implicit-def: $vgpr2
.LBB54_44:
	s_mov_b32 s21, 0
.LBB54_45:
	s_delay_alu instid0(SALU_CYCLE_1)
	s_and_b32 vcc_lo, exec_lo, s21
	s_cbranch_vccz .LBB54_61
; %bb.46:
	s_cmp_lt_i32 s17, 27
	s_cbranch_scc1 .LBB54_49
; %bb.47:
	s_cmp_gt_i32 s17, 27
	s_cbranch_scc0 .LBB54_50
; %bb.48:
	s_wait_loadcnt 0x0
	global_load_b32 v2, v[0:1], off
	s_mov_b32 s19, 0
	s_branch .LBB54_51
.LBB54_49:
	s_mov_b32 s19, -1
                                        ; implicit-def: $vgpr2
	s_branch .LBB54_54
.LBB54_50:
	s_mov_b32 s19, -1
                                        ; implicit-def: $vgpr2
.LBB54_51:
	s_delay_alu instid0(SALU_CYCLE_1)
	s_and_not1_b32 vcc_lo, exec_lo, s19
	s_cbranch_vccnz .LBB54_53
; %bb.52:
	s_wait_loadcnt 0x0
	global_load_u16 v2, v[0:1], off
.LBB54_53:
	s_mov_b32 s19, 0
.LBB54_54:
	s_delay_alu instid0(SALU_CYCLE_1)
	s_and_not1_b32 vcc_lo, exec_lo, s19
	s_cbranch_vccnz .LBB54_60
; %bb.55:
	global_load_u8 v3, v[0:1], off
	s_mov_b32 s21, 0
	s_mov_b32 s19, exec_lo
	s_wait_loadcnt 0x0
	v_cmpx_lt_i16_e32 0x7f, v3
	s_xor_b32 s19, exec_lo, s19
	s_cbranch_execz .LBB54_72
; %bb.56:
	v_cmp_ne_u16_e32 vcc_lo, 0x80, v3
	s_and_b32 s21, vcc_lo, exec_lo
	s_and_not1_saveexec_b32 s19, s19
	s_cbranch_execnz .LBB54_73
.LBB54_57:
	s_or_b32 exec_lo, exec_lo, s19
	v_mov_b32_e32 v2, 0
	s_and_saveexec_b32 s19, s21
	s_cbranch_execz .LBB54_59
.LBB54_58:
	v_and_b32_e32 v2, 0xffff, v3
	s_delay_alu instid0(VALU_DEP_1) | instskip(SKIP_1) | instid1(VALU_DEP_2)
	v_and_b32_e32 v4, 7, v2
	v_bfe_u32 v8, v2, 3, 4
	v_clz_i32_u32_e32 v5, v4
	s_delay_alu instid0(VALU_DEP_2) | instskip(NEXT) | instid1(VALU_DEP_2)
	v_cmp_eq_u32_e32 vcc_lo, 0, v8
	v_min_u32_e32 v5, 32, v5
	s_delay_alu instid0(VALU_DEP_1) | instskip(NEXT) | instid1(VALU_DEP_1)
	v_subrev_nc_u32_e32 v7, 28, v5
	v_dual_lshlrev_b32 v2, v7, v2 :: v_dual_sub_nc_u32 v5, 29, v5
	s_delay_alu instid0(VALU_DEP_1) | instskip(NEXT) | instid1(VALU_DEP_2)
	v_dual_lshlrev_b32 v3, 24, v3 :: v_dual_bitop2_b32 v2, 7, v2 bitop3:0x40
	v_cndmask_b32_e32 v5, v8, v5, vcc_lo
	s_delay_alu instid0(VALU_DEP_2) | instskip(NEXT) | instid1(VALU_DEP_3)
	v_cndmask_b32_e32 v2, v4, v2, vcc_lo
	v_and_b32_e32 v3, 0x80000000, v3
	s_delay_alu instid0(VALU_DEP_3) | instskip(NEXT) | instid1(VALU_DEP_3)
	v_lshl_add_u32 v4, v5, 23, 0x3b800000
	v_lshlrev_b32_e32 v2, 20, v2
	s_delay_alu instid0(VALU_DEP_1) | instskip(NEXT) | instid1(VALU_DEP_1)
	v_or3_b32 v2, v3, v4, v2
	v_cvt_i32_f32_e32 v2, v2
.LBB54_59:
	s_or_b32 exec_lo, exec_lo, s19
.LBB54_60:
	s_mov_b32 s19, -1
.LBB54_61:
	s_mov_b32 s21, 0
.LBB54_62:
	s_delay_alu instid0(SALU_CYCLE_1)
	s_and_b32 vcc_lo, exec_lo, s21
	s_cbranch_vccz .LBB54_95
; %bb.63:
	s_cmp_gt_i32 s17, 22
	s_cbranch_scc0 .LBB54_71
; %bb.64:
	s_cmp_lt_i32 s17, 24
	s_cbranch_scc1 .LBB54_74
; %bb.65:
	s_cmp_gt_i32 s17, 24
	s_cbranch_scc0 .LBB54_75
; %bb.66:
	global_load_u8 v3, v[0:1], off
	s_mov_b32 s21, 0
	s_mov_b32 s19, exec_lo
	s_wait_loadcnt 0x0
	v_cmpx_lt_i16_e32 0x7f, v3
	s_xor_b32 s19, exec_lo, s19
	s_cbranch_execz .LBB54_87
; %bb.67:
	v_cmp_ne_u16_e32 vcc_lo, 0x80, v3
	s_and_b32 s21, vcc_lo, exec_lo
	s_and_not1_saveexec_b32 s19, s19
	s_cbranch_execnz .LBB54_88
.LBB54_68:
	s_or_b32 exec_lo, exec_lo, s19
	v_mov_b32_e32 v2, 0
	s_and_saveexec_b32 s19, s21
	s_cbranch_execz .LBB54_70
.LBB54_69:
	v_and_b32_e32 v2, 0xffff, v3
	s_delay_alu instid0(VALU_DEP_1) | instskip(SKIP_1) | instid1(VALU_DEP_2)
	v_and_b32_e32 v4, 3, v2
	v_bfe_u32 v8, v2, 2, 5
	v_clz_i32_u32_e32 v5, v4
	s_delay_alu instid0(VALU_DEP_2) | instskip(NEXT) | instid1(VALU_DEP_2)
	v_cmp_eq_u32_e32 vcc_lo, 0, v8
	v_min_u32_e32 v5, 32, v5
	s_delay_alu instid0(VALU_DEP_1) | instskip(NEXT) | instid1(VALU_DEP_1)
	v_subrev_nc_u32_e32 v7, 29, v5
	v_dual_lshlrev_b32 v2, v7, v2 :: v_dual_sub_nc_u32 v5, 30, v5
	s_delay_alu instid0(VALU_DEP_1) | instskip(NEXT) | instid1(VALU_DEP_2)
	v_dual_lshlrev_b32 v3, 24, v3 :: v_dual_bitop2_b32 v2, 3, v2 bitop3:0x40
	v_cndmask_b32_e32 v5, v8, v5, vcc_lo
	s_delay_alu instid0(VALU_DEP_2) | instskip(NEXT) | instid1(VALU_DEP_3)
	v_cndmask_b32_e32 v2, v4, v2, vcc_lo
	v_and_b32_e32 v3, 0x80000000, v3
	s_delay_alu instid0(VALU_DEP_3) | instskip(NEXT) | instid1(VALU_DEP_3)
	v_lshl_add_u32 v4, v5, 23, 0x37800000
	v_lshlrev_b32_e32 v2, 21, v2
	s_delay_alu instid0(VALU_DEP_1) | instskip(NEXT) | instid1(VALU_DEP_1)
	v_or3_b32 v2, v3, v4, v2
	v_cvt_i32_f32_e32 v2, v2
.LBB54_70:
	s_or_b32 exec_lo, exec_lo, s19
	s_mov_b32 s19, 0
	s_branch .LBB54_76
.LBB54_71:
	s_mov_b32 s21, -1
                                        ; implicit-def: $vgpr2
	s_branch .LBB54_82
.LBB54_72:
	s_and_not1_saveexec_b32 s19, s19
	s_cbranch_execz .LBB54_57
.LBB54_73:
	v_cmp_ne_u16_e32 vcc_lo, 0, v3
	s_and_not1_b32 s21, s21, exec_lo
	s_and_b32 s24, vcc_lo, exec_lo
	s_delay_alu instid0(SALU_CYCLE_1)
	s_or_b32 s21, s21, s24
	s_or_b32 exec_lo, exec_lo, s19
	v_mov_b32_e32 v2, 0
	s_and_saveexec_b32 s19, s21
	s_cbranch_execnz .LBB54_58
	s_branch .LBB54_59
.LBB54_74:
	s_mov_b32 s19, -1
                                        ; implicit-def: $vgpr2
	s_branch .LBB54_79
.LBB54_75:
	s_mov_b32 s19, -1
                                        ; implicit-def: $vgpr2
.LBB54_76:
	s_delay_alu instid0(SALU_CYCLE_1)
	s_and_b32 vcc_lo, exec_lo, s19
	s_cbranch_vccz .LBB54_78
; %bb.77:
	s_wait_loadcnt 0x0
	global_load_u8 v2, v[0:1], off
	s_wait_loadcnt 0x0
	v_lshlrev_b32_e32 v2, 24, v2
	s_delay_alu instid0(VALU_DEP_1) | instskip(NEXT) | instid1(VALU_DEP_1)
	v_and_b32_e32 v3, 0x7f000000, v2
	v_clz_i32_u32_e32 v4, v3
	v_add_nc_u32_e32 v7, 0x1000000, v3
	v_cmp_ne_u32_e32 vcc_lo, 0, v3
	s_delay_alu instid0(VALU_DEP_3) | instskip(NEXT) | instid1(VALU_DEP_1)
	v_min_u32_e32 v4, 32, v4
	v_sub_nc_u32_e64 v4, v4, 4 clamp
	s_delay_alu instid0(VALU_DEP_1) | instskip(NEXT) | instid1(VALU_DEP_1)
	v_dual_lshlrev_b32 v5, v4, v3 :: v_dual_lshlrev_b32 v4, 23, v4
	v_lshrrev_b32_e32 v5, 4, v5
	s_delay_alu instid0(VALU_DEP_1) | instskip(NEXT) | instid1(VALU_DEP_1)
	v_dual_sub_nc_u32 v4, v5, v4 :: v_dual_ashrrev_i32 v5, 8, v7
	v_add_nc_u32_e32 v4, 0x3c000000, v4
	s_delay_alu instid0(VALU_DEP_1) | instskip(NEXT) | instid1(VALU_DEP_1)
	v_and_or_b32 v4, 0x7f800000, v5, v4
	v_cndmask_b32_e32 v3, 0, v4, vcc_lo
	s_delay_alu instid0(VALU_DEP_1) | instskip(NEXT) | instid1(VALU_DEP_1)
	v_and_or_b32 v2, 0x80000000, v2, v3
	v_cvt_i32_f32_e32 v2, v2
.LBB54_78:
	s_mov_b32 s19, 0
.LBB54_79:
	s_delay_alu instid0(SALU_CYCLE_1)
	s_and_not1_b32 vcc_lo, exec_lo, s19
	s_cbranch_vccnz .LBB54_81
; %bb.80:
	s_wait_loadcnt 0x0
	global_load_u8 v2, v[0:1], off
	s_wait_loadcnt 0x0
	v_lshlrev_b32_e32 v3, 25, v2
	v_lshlrev_b16 v2, 8, v2
	s_delay_alu instid0(VALU_DEP_1) | instskip(SKIP_1) | instid1(VALU_DEP_2)
	v_and_or_b32 v5, 0x7f00, v2, 0.5
	v_bfe_i32 v2, v2, 0, 16
	v_dual_add_f32 v5, -0.5, v5 :: v_dual_lshrrev_b32 v4, 4, v3
	v_cmp_gt_u32_e32 vcc_lo, 0x8000000, v3
	s_delay_alu instid0(VALU_DEP_2) | instskip(NEXT) | instid1(VALU_DEP_1)
	v_or_b32_e32 v4, 0x70000000, v4
	v_mul_f32_e32 v4, 0x7800000, v4
	s_delay_alu instid0(VALU_DEP_1) | instskip(NEXT) | instid1(VALU_DEP_1)
	v_cndmask_b32_e32 v3, v4, v5, vcc_lo
	v_and_or_b32 v2, 0x80000000, v2, v3
	s_delay_alu instid0(VALU_DEP_1)
	v_cvt_i32_f32_e32 v2, v2
.LBB54_81:
	s_mov_b32 s21, 0
	s_mov_b32 s19, -1
.LBB54_82:
	s_and_not1_b32 vcc_lo, exec_lo, s21
	s_cbranch_vccnz .LBB54_95
; %bb.83:
	s_cmp_gt_i32 s17, 14
	s_cbranch_scc0 .LBB54_86
; %bb.84:
	s_cmp_eq_u32 s17, 15
	s_cbranch_scc0 .LBB54_89
; %bb.85:
	s_wait_loadcnt 0x0
	global_load_u16 v2, v[0:1], off
	s_mov_b32 s19, -1
	s_mov_b32 s20, 0
	s_wait_loadcnt 0x0
	v_lshlrev_b32_e32 v2, 16, v2
	s_delay_alu instid0(VALU_DEP_1)
	v_cvt_i32_f32_e32 v2, v2
	s_branch .LBB54_90
.LBB54_86:
	s_mov_b32 s21, -1
                                        ; implicit-def: $vgpr2
	s_branch .LBB54_91
.LBB54_87:
	s_and_not1_saveexec_b32 s19, s19
	s_cbranch_execz .LBB54_68
.LBB54_88:
	v_cmp_ne_u16_e32 vcc_lo, 0, v3
	s_and_not1_b32 s21, s21, exec_lo
	s_and_b32 s24, vcc_lo, exec_lo
	s_delay_alu instid0(SALU_CYCLE_1)
	s_or_b32 s21, s21, s24
	s_or_b32 exec_lo, exec_lo, s19
	v_mov_b32_e32 v2, 0
	s_and_saveexec_b32 s19, s21
	s_cbranch_execnz .LBB54_69
	s_branch .LBB54_70
.LBB54_89:
	s_mov_b32 s20, -1
                                        ; implicit-def: $vgpr2
.LBB54_90:
	s_mov_b32 s21, 0
.LBB54_91:
	s_delay_alu instid0(SALU_CYCLE_1)
	s_and_b32 vcc_lo, exec_lo, s21
	s_cbranch_vccz .LBB54_95
; %bb.92:
	s_cmp_eq_u32 s17, 11
	s_cbranch_scc0 .LBB54_94
; %bb.93:
	s_wait_loadcnt 0x0
	global_load_u8 v2, v[0:1], off
	s_mov_b32 s20, 0
	s_mov_b32 s19, -1
	s_wait_loadcnt 0x0
	v_cmp_ne_u16_e32 vcc_lo, 0, v2
	v_cndmask_b32_e64 v2, 0, 1, vcc_lo
	s_branch .LBB54_95
.LBB54_94:
	s_mov_b32 s20, -1
                                        ; implicit-def: $vgpr2
.LBB54_95:
	s_branch .LBB54_144
.LBB54_96:
	s_and_b32 s0, 0xffff, s0
	s_delay_alu instid0(SALU_CYCLE_1)
	s_cmp_lt_i32 s0, 5
	s_cbranch_scc1 .LBB54_101
; %bb.97:
	s_cmp_lt_i32 s0, 8
	s_cbranch_scc1 .LBB54_102
; %bb.98:
	;; [unrolled: 3-line block ×3, first 2 shown]
	s_cmp_gt_i32 s0, 9
	s_cbranch_scc0 .LBB54_104
; %bb.100:
	s_wait_loadcnt 0x0
	global_load_b64 v[2:3], v[0:1], off
	s_mov_b32 s17, 0
	s_wait_loadcnt 0x0
	v_cvt_i32_f64_e32 v2, v[2:3]
	s_branch .LBB54_105
.LBB54_101:
	s_mov_b32 s17, -1
                                        ; implicit-def: $vgpr2
	s_branch .LBB54_123
.LBB54_102:
	s_mov_b32 s17, -1
                                        ; implicit-def: $vgpr2
	s_branch .LBB54_111
.LBB54_103:
	s_mov_b32 s17, -1
                                        ; implicit-def: $vgpr2
	s_branch .LBB54_108
.LBB54_104:
	s_mov_b32 s17, -1
                                        ; implicit-def: $vgpr2
.LBB54_105:
	s_delay_alu instid0(SALU_CYCLE_1)
	s_and_not1_b32 vcc_lo, exec_lo, s17
	s_cbranch_vccnz .LBB54_107
; %bb.106:
	s_wait_loadcnt 0x0
	global_load_b32 v2, v[0:1], off
	s_wait_loadcnt 0x0
	v_cvt_i32_f32_e32 v2, v2
.LBB54_107:
	s_mov_b32 s17, 0
.LBB54_108:
	s_delay_alu instid0(SALU_CYCLE_1)
	s_and_not1_b32 vcc_lo, exec_lo, s17
	s_cbranch_vccnz .LBB54_110
; %bb.109:
	s_wait_loadcnt 0x0
	global_load_b32 v2, v[0:1], off
	s_wait_loadcnt 0x0
	v_cvt_f32_f16_e32 v2, v2
	s_delay_alu instid0(VALU_DEP_1)
	v_cvt_i32_f32_e32 v2, v2
.LBB54_110:
	s_mov_b32 s17, 0
.LBB54_111:
	s_delay_alu instid0(SALU_CYCLE_1)
	s_and_not1_b32 vcc_lo, exec_lo, s17
	s_cbranch_vccnz .LBB54_122
; %bb.112:
	s_cmp_lt_i32 s0, 6
	s_cbranch_scc1 .LBB54_115
; %bb.113:
	s_cmp_gt_i32 s0, 6
	s_cbranch_scc0 .LBB54_116
; %bb.114:
	s_wait_loadcnt 0x0
	global_load_b64 v[2:3], v[0:1], off
	s_mov_b32 s17, 0
	s_wait_loadcnt 0x0
	v_cvt_i32_f64_e32 v2, v[2:3]
	s_branch .LBB54_117
.LBB54_115:
	s_mov_b32 s17, -1
                                        ; implicit-def: $vgpr2
	s_branch .LBB54_120
.LBB54_116:
	s_mov_b32 s17, -1
                                        ; implicit-def: $vgpr2
.LBB54_117:
	s_delay_alu instid0(SALU_CYCLE_1)
	s_and_not1_b32 vcc_lo, exec_lo, s17
	s_cbranch_vccnz .LBB54_119
; %bb.118:
	s_wait_loadcnt 0x0
	global_load_b32 v2, v[0:1], off
	s_wait_loadcnt 0x0
	v_cvt_i32_f32_e32 v2, v2
.LBB54_119:
	s_mov_b32 s17, 0
.LBB54_120:
	s_delay_alu instid0(SALU_CYCLE_1)
	s_and_not1_b32 vcc_lo, exec_lo, s17
	s_cbranch_vccnz .LBB54_122
; %bb.121:
	s_wait_loadcnt 0x0
	global_load_u16 v2, v[0:1], off
	s_wait_loadcnt 0x0
	v_cvt_f32_f16_e32 v2, v2
	s_delay_alu instid0(VALU_DEP_1)
	v_cvt_i32_f32_e32 v2, v2
.LBB54_122:
	s_mov_b32 s17, 0
.LBB54_123:
	s_delay_alu instid0(SALU_CYCLE_1)
	s_and_not1_b32 vcc_lo, exec_lo, s17
	s_cbranch_vccnz .LBB54_143
; %bb.124:
	s_cmp_lt_i32 s0, 2
	s_cbranch_scc1 .LBB54_128
; %bb.125:
	s_cmp_lt_i32 s0, 3
	s_cbranch_scc1 .LBB54_129
; %bb.126:
	s_cmp_gt_i32 s0, 3
	s_cbranch_scc0 .LBB54_130
; %bb.127:
	s_wait_loadcnt 0x0
	global_load_b32 v2, v[0:1], off
	s_mov_b32 s17, 0
	s_branch .LBB54_131
.LBB54_128:
	s_mov_b32 s17, -1
                                        ; implicit-def: $vgpr2
	s_branch .LBB54_137
.LBB54_129:
	s_mov_b32 s17, -1
                                        ; implicit-def: $vgpr2
	s_branch .LBB54_134
.LBB54_130:
	s_mov_b32 s17, -1
                                        ; implicit-def: $vgpr2
.LBB54_131:
	s_delay_alu instid0(SALU_CYCLE_1)
	s_and_not1_b32 vcc_lo, exec_lo, s17
	s_cbranch_vccnz .LBB54_133
; %bb.132:
	s_wait_loadcnt 0x0
	global_load_b32 v2, v[0:1], off
.LBB54_133:
	s_mov_b32 s17, 0
.LBB54_134:
	s_delay_alu instid0(SALU_CYCLE_1)
	s_and_not1_b32 vcc_lo, exec_lo, s17
	s_cbranch_vccnz .LBB54_136
; %bb.135:
	s_wait_loadcnt 0x0
	global_load_i16 v2, v[0:1], off
.LBB54_136:
	s_mov_b32 s17, 0
.LBB54_137:
	s_delay_alu instid0(SALU_CYCLE_1)
	s_and_not1_b32 vcc_lo, exec_lo, s17
	s_cbranch_vccnz .LBB54_143
; %bb.138:
	s_cmp_gt_i32 s0, 0
	s_mov_b32 s0, 0
	s_cbranch_scc0 .LBB54_140
; %bb.139:
	s_wait_loadcnt 0x0
	global_load_i8 v2, v[0:1], off
	s_branch .LBB54_141
.LBB54_140:
	s_mov_b32 s0, -1
                                        ; implicit-def: $vgpr2
.LBB54_141:
	s_delay_alu instid0(SALU_CYCLE_1)
	s_and_not1_b32 vcc_lo, exec_lo, s0
	s_cbranch_vccnz .LBB54_143
; %bb.142:
	s_wait_loadcnt 0x0
	global_load_u8 v2, v[0:1], off
.LBB54_143:
	s_mov_b32 s19, -1
.LBB54_144:
	s_mov_b32 s21, 0
	s_mov_b32 s0, 0
	s_and_not1_b32 vcc_lo, exec_lo, s19
	s_mov_b32 s19, 0
	s_mov_b32 s24, 0
	s_cbranch_vccnz .LBB54_393
; %bb.145:
	s_wait_xcnt 0x0
	v_mul_lo_u32 v0, v6, s5
	s_and_b32 s0, 0xffff, s1
	s_delay_alu instid0(SALU_CYCLE_1) | instskip(NEXT) | instid1(VALU_DEP_1)
	s_cmp_lt_i32 s0, 11
	v_ashrrev_i32_e32 v1, 31, v0
	s_delay_alu instid0(VALU_DEP_1)
	v_add_nc_u64_e32 v[0:1], s[10:11], v[0:1]
	s_cbranch_scc1 .LBB54_152
; %bb.146:
	s_cmp_gt_i32 s0, 25
	s_cbranch_scc0 .LBB54_153
; %bb.147:
	s_cmp_gt_i32 s0, 28
	s_cbranch_scc0 .LBB54_154
	;; [unrolled: 3-line block ×4, first 2 shown]
; %bb.150:
	s_cmp_eq_u32 s0, 46
	s_cbranch_scc0 .LBB54_157
; %bb.151:
	global_load_b32 v3, v[0:1], off
	s_mov_b32 s17, -1
	s_wait_loadcnt 0x0
	v_lshlrev_b32_e32 v3, 16, v3
	s_delay_alu instid0(VALU_DEP_1)
	v_cvt_i32_f32_e32 v3, v3
	s_branch .LBB54_159
.LBB54_152:
	s_mov_b32 s24, -1
	s_mov_b32 s17, 0
                                        ; implicit-def: $vgpr3
	s_branch .LBB54_220
.LBB54_153:
	s_mov_b32 s24, -1
	s_mov_b32 s17, 0
                                        ; implicit-def: $vgpr3
	s_branch .LBB54_186
.LBB54_154:
	s_mov_b32 s24, -1
	s_mov_b32 s17, 0
                                        ; implicit-def: $vgpr3
	s_branch .LBB54_169
.LBB54_155:
	s_mov_b32 s24, -1
	s_mov_b32 s17, 0
                                        ; implicit-def: $vgpr3
	s_branch .LBB54_164
.LBB54_156:
	s_mov_b32 s24, -1
	s_branch .LBB54_158
.LBB54_157:
	s_mov_b32 s19, -1
.LBB54_158:
	s_mov_b32 s17, 0
                                        ; implicit-def: $vgpr3
.LBB54_159:
	s_and_b32 vcc_lo, exec_lo, s24
	s_cbranch_vccz .LBB54_163
; %bb.160:
	s_cmp_eq_u32 s0, 44
	s_cbranch_scc0 .LBB54_162
; %bb.161:
	global_load_u8 v3, v[0:1], off
	s_mov_b32 s19, 0
	s_mov_b32 s17, -1
	s_wait_loadcnt 0x0
	v_lshlrev_b32_e32 v4, 23, v3
	v_cmp_ne_u32_e32 vcc_lo, 0, v3
	s_delay_alu instid0(VALU_DEP_2) | instskip(NEXT) | instid1(VALU_DEP_1)
	v_cvt_i32_f32_e32 v4, v4
	v_cndmask_b32_e32 v3, 0, v4, vcc_lo
	s_branch .LBB54_163
.LBB54_162:
	s_mov_b32 s19, -1
                                        ; implicit-def: $vgpr3
.LBB54_163:
	s_mov_b32 s24, 0
.LBB54_164:
	s_delay_alu instid0(SALU_CYCLE_1)
	s_and_b32 vcc_lo, exec_lo, s24
	s_cbranch_vccz .LBB54_168
; %bb.165:
	s_cmp_eq_u32 s0, 29
	s_cbranch_scc0 .LBB54_167
; %bb.166:
	global_load_b32 v3, v[0:1], off
	s_mov_b32 s17, -1
	s_mov_b32 s19, 0
	s_branch .LBB54_168
.LBB54_167:
	s_mov_b32 s19, -1
                                        ; implicit-def: $vgpr3
.LBB54_168:
	s_mov_b32 s24, 0
.LBB54_169:
	s_delay_alu instid0(SALU_CYCLE_1)
	s_and_b32 vcc_lo, exec_lo, s24
	s_cbranch_vccz .LBB54_185
; %bb.170:
	s_cmp_lt_i32 s0, 27
	s_cbranch_scc1 .LBB54_173
; %bb.171:
	s_cmp_gt_i32 s0, 27
	s_cbranch_scc0 .LBB54_174
; %bb.172:
	s_wait_loadcnt 0x0
	global_load_b32 v3, v[0:1], off
	s_mov_b32 s17, 0
	s_branch .LBB54_175
.LBB54_173:
	s_mov_b32 s17, -1
                                        ; implicit-def: $vgpr3
	s_branch .LBB54_178
.LBB54_174:
	s_mov_b32 s17, -1
                                        ; implicit-def: $vgpr3
.LBB54_175:
	s_delay_alu instid0(SALU_CYCLE_1)
	s_and_not1_b32 vcc_lo, exec_lo, s17
	s_cbranch_vccnz .LBB54_177
; %bb.176:
	s_wait_loadcnt 0x0
	global_load_u16 v3, v[0:1], off
.LBB54_177:
	s_mov_b32 s17, 0
.LBB54_178:
	s_delay_alu instid0(SALU_CYCLE_1)
	s_and_not1_b32 vcc_lo, exec_lo, s17
	s_cbranch_vccnz .LBB54_184
; %bb.179:
	global_load_u8 v4, v[0:1], off
	s_mov_b32 s24, 0
	s_mov_b32 s17, exec_lo
	s_wait_loadcnt 0x0
	v_cmpx_lt_i16_e32 0x7f, v4
	s_xor_b32 s17, exec_lo, s17
	s_cbranch_execz .LBB54_196
; %bb.180:
	v_cmp_ne_u16_e32 vcc_lo, 0x80, v4
	s_and_b32 s24, vcc_lo, exec_lo
	s_and_not1_saveexec_b32 s17, s17
	s_cbranch_execnz .LBB54_197
.LBB54_181:
	s_or_b32 exec_lo, exec_lo, s17
	v_mov_b32_e32 v3, 0
	s_and_saveexec_b32 s17, s24
	s_cbranch_execz .LBB54_183
.LBB54_182:
	v_and_b32_e32 v3, 0xffff, v4
	s_delay_alu instid0(VALU_DEP_1) | instskip(SKIP_1) | instid1(VALU_DEP_2)
	v_dual_lshlrev_b32 v4, 24, v4 :: v_dual_bitop2_b32 v5, 7, v3 bitop3:0x40
	v_bfe_u32 v9, v3, 3, 4
	v_and_b32_e32 v4, 0x80000000, v4
	s_delay_alu instid0(VALU_DEP_3) | instskip(NEXT) | instid1(VALU_DEP_3)
	v_clz_i32_u32_e32 v7, v5
	v_cmp_eq_u32_e32 vcc_lo, 0, v9
	s_delay_alu instid0(VALU_DEP_2) | instskip(NEXT) | instid1(VALU_DEP_1)
	v_min_u32_e32 v7, 32, v7
	v_subrev_nc_u32_e32 v8, 28, v7
	v_sub_nc_u32_e32 v7, 29, v7
	s_delay_alu instid0(VALU_DEP_2) | instskip(NEXT) | instid1(VALU_DEP_2)
	v_lshlrev_b32_e32 v3, v8, v3
	v_cndmask_b32_e32 v7, v9, v7, vcc_lo
	s_delay_alu instid0(VALU_DEP_2) | instskip(NEXT) | instid1(VALU_DEP_1)
	v_and_b32_e32 v3, 7, v3
	v_cndmask_b32_e32 v3, v5, v3, vcc_lo
	s_delay_alu instid0(VALU_DEP_3) | instskip(NEXT) | instid1(VALU_DEP_2)
	v_lshl_add_u32 v5, v7, 23, 0x3b800000
	v_lshlrev_b32_e32 v3, 20, v3
	s_delay_alu instid0(VALU_DEP_1) | instskip(NEXT) | instid1(VALU_DEP_1)
	v_or3_b32 v3, v4, v5, v3
	v_cvt_i32_f32_e32 v3, v3
.LBB54_183:
	s_or_b32 exec_lo, exec_lo, s17
.LBB54_184:
	s_mov_b32 s17, -1
.LBB54_185:
	s_mov_b32 s24, 0
.LBB54_186:
	s_delay_alu instid0(SALU_CYCLE_1)
	s_and_b32 vcc_lo, exec_lo, s24
	s_cbranch_vccz .LBB54_219
; %bb.187:
	s_cmp_gt_i32 s0, 22
	s_cbranch_scc0 .LBB54_195
; %bb.188:
	s_cmp_lt_i32 s0, 24
	s_cbranch_scc1 .LBB54_198
; %bb.189:
	s_cmp_gt_i32 s0, 24
	s_cbranch_scc0 .LBB54_199
; %bb.190:
	global_load_u8 v4, v[0:1], off
	s_mov_b32 s24, 0
	s_mov_b32 s17, exec_lo
	s_wait_loadcnt 0x0
	v_cmpx_lt_i16_e32 0x7f, v4
	s_xor_b32 s17, exec_lo, s17
	s_cbranch_execz .LBB54_211
; %bb.191:
	v_cmp_ne_u16_e32 vcc_lo, 0x80, v4
	s_and_b32 s24, vcc_lo, exec_lo
	s_and_not1_saveexec_b32 s17, s17
	s_cbranch_execnz .LBB54_212
.LBB54_192:
	s_or_b32 exec_lo, exec_lo, s17
	v_mov_b32_e32 v3, 0
	s_and_saveexec_b32 s17, s24
	s_cbranch_execz .LBB54_194
.LBB54_193:
	v_and_b32_e32 v3, 0xffff, v4
	s_delay_alu instid0(VALU_DEP_1) | instskip(SKIP_1) | instid1(VALU_DEP_2)
	v_dual_lshlrev_b32 v4, 24, v4 :: v_dual_bitop2_b32 v5, 3, v3 bitop3:0x40
	v_bfe_u32 v9, v3, 2, 5
	v_and_b32_e32 v4, 0x80000000, v4
	s_delay_alu instid0(VALU_DEP_3) | instskip(NEXT) | instid1(VALU_DEP_3)
	v_clz_i32_u32_e32 v7, v5
	v_cmp_eq_u32_e32 vcc_lo, 0, v9
	s_delay_alu instid0(VALU_DEP_2) | instskip(NEXT) | instid1(VALU_DEP_1)
	v_min_u32_e32 v7, 32, v7
	v_subrev_nc_u32_e32 v8, 29, v7
	v_sub_nc_u32_e32 v7, 30, v7
	s_delay_alu instid0(VALU_DEP_2) | instskip(NEXT) | instid1(VALU_DEP_2)
	v_lshlrev_b32_e32 v3, v8, v3
	v_cndmask_b32_e32 v7, v9, v7, vcc_lo
	s_delay_alu instid0(VALU_DEP_2) | instskip(NEXT) | instid1(VALU_DEP_1)
	v_and_b32_e32 v3, 3, v3
	v_cndmask_b32_e32 v3, v5, v3, vcc_lo
	s_delay_alu instid0(VALU_DEP_3) | instskip(NEXT) | instid1(VALU_DEP_2)
	v_lshl_add_u32 v5, v7, 23, 0x37800000
	v_lshlrev_b32_e32 v3, 21, v3
	s_delay_alu instid0(VALU_DEP_1) | instskip(NEXT) | instid1(VALU_DEP_1)
	v_or3_b32 v3, v4, v5, v3
	v_cvt_i32_f32_e32 v3, v3
.LBB54_194:
	s_or_b32 exec_lo, exec_lo, s17
	s_mov_b32 s17, 0
	s_branch .LBB54_200
.LBB54_195:
	s_mov_b32 s24, -1
                                        ; implicit-def: $vgpr3
	s_branch .LBB54_206
.LBB54_196:
	s_and_not1_saveexec_b32 s17, s17
	s_cbranch_execz .LBB54_181
.LBB54_197:
	v_cmp_ne_u16_e32 vcc_lo, 0, v4
	s_and_not1_b32 s24, s24, exec_lo
	s_and_b32 s25, vcc_lo, exec_lo
	s_delay_alu instid0(SALU_CYCLE_1)
	s_or_b32 s24, s24, s25
	s_or_b32 exec_lo, exec_lo, s17
	v_mov_b32_e32 v3, 0
	s_and_saveexec_b32 s17, s24
	s_cbranch_execnz .LBB54_182
	s_branch .LBB54_183
.LBB54_198:
	s_mov_b32 s17, -1
                                        ; implicit-def: $vgpr3
	s_branch .LBB54_203
.LBB54_199:
	s_mov_b32 s17, -1
                                        ; implicit-def: $vgpr3
.LBB54_200:
	s_delay_alu instid0(SALU_CYCLE_1)
	s_and_b32 vcc_lo, exec_lo, s17
	s_cbranch_vccz .LBB54_202
; %bb.201:
	s_wait_loadcnt 0x0
	global_load_u8 v3, v[0:1], off
	s_wait_loadcnt 0x0
	v_lshlrev_b32_e32 v3, 24, v3
	s_delay_alu instid0(VALU_DEP_1) | instskip(NEXT) | instid1(VALU_DEP_1)
	v_and_b32_e32 v4, 0x7f000000, v3
	v_clz_i32_u32_e32 v5, v4
	v_add_nc_u32_e32 v8, 0x1000000, v4
	v_cmp_ne_u32_e32 vcc_lo, 0, v4
	s_delay_alu instid0(VALU_DEP_3) | instskip(NEXT) | instid1(VALU_DEP_1)
	v_min_u32_e32 v5, 32, v5
	v_sub_nc_u32_e64 v5, v5, 4 clamp
	s_delay_alu instid0(VALU_DEP_1) | instskip(NEXT) | instid1(VALU_DEP_1)
	v_dual_lshlrev_b32 v7, v5, v4 :: v_dual_lshlrev_b32 v5, 23, v5
	v_lshrrev_b32_e32 v7, 4, v7
	s_delay_alu instid0(VALU_DEP_1) | instskip(NEXT) | instid1(VALU_DEP_1)
	v_dual_sub_nc_u32 v5, v7, v5 :: v_dual_ashrrev_i32 v7, 8, v8
	v_add_nc_u32_e32 v5, 0x3c000000, v5
	s_delay_alu instid0(VALU_DEP_1) | instskip(NEXT) | instid1(VALU_DEP_1)
	v_and_or_b32 v5, 0x7f800000, v7, v5
	v_cndmask_b32_e32 v4, 0, v5, vcc_lo
	s_delay_alu instid0(VALU_DEP_1) | instskip(NEXT) | instid1(VALU_DEP_1)
	v_and_or_b32 v3, 0x80000000, v3, v4
	v_cvt_i32_f32_e32 v3, v3
.LBB54_202:
	s_mov_b32 s17, 0
.LBB54_203:
	s_delay_alu instid0(SALU_CYCLE_1)
	s_and_not1_b32 vcc_lo, exec_lo, s17
	s_cbranch_vccnz .LBB54_205
; %bb.204:
	s_wait_loadcnt 0x0
	global_load_u8 v3, v[0:1], off
	s_wait_loadcnt 0x0
	v_lshlrev_b32_e32 v4, 25, v3
	v_lshlrev_b16 v3, 8, v3
	s_delay_alu instid0(VALU_DEP_1) | instskip(NEXT) | instid1(VALU_DEP_3)
	v_and_or_b32 v7, 0x7f00, v3, 0.5
	v_lshrrev_b32_e32 v5, 4, v4
	v_bfe_i32 v3, v3, 0, 16
	s_delay_alu instid0(VALU_DEP_3) | instskip(NEXT) | instid1(VALU_DEP_3)
	v_add_f32_e32 v7, -0.5, v7
	v_or_b32_e32 v5, 0x70000000, v5
	s_delay_alu instid0(VALU_DEP_1) | instskip(SKIP_1) | instid1(VALU_DEP_2)
	v_mul_f32_e32 v5, 0x7800000, v5
	v_cmp_gt_u32_e32 vcc_lo, 0x8000000, v4
	v_cndmask_b32_e32 v4, v5, v7, vcc_lo
	s_delay_alu instid0(VALU_DEP_1) | instskip(NEXT) | instid1(VALU_DEP_1)
	v_and_or_b32 v3, 0x80000000, v3, v4
	v_cvt_i32_f32_e32 v3, v3
.LBB54_205:
	s_mov_b32 s24, 0
	s_mov_b32 s17, -1
.LBB54_206:
	s_and_not1_b32 vcc_lo, exec_lo, s24
	s_cbranch_vccnz .LBB54_219
; %bb.207:
	s_cmp_gt_i32 s0, 14
	s_cbranch_scc0 .LBB54_210
; %bb.208:
	s_cmp_eq_u32 s0, 15
	s_cbranch_scc0 .LBB54_213
; %bb.209:
	s_wait_loadcnt 0x0
	global_load_u16 v3, v[0:1], off
	s_mov_b32 s17, -1
	s_mov_b32 s19, 0
	s_wait_loadcnt 0x0
	v_lshlrev_b32_e32 v3, 16, v3
	s_delay_alu instid0(VALU_DEP_1)
	v_cvt_i32_f32_e32 v3, v3
	s_branch .LBB54_214
.LBB54_210:
	s_mov_b32 s24, -1
                                        ; implicit-def: $vgpr3
	s_branch .LBB54_215
.LBB54_211:
	s_and_not1_saveexec_b32 s17, s17
	s_cbranch_execz .LBB54_192
.LBB54_212:
	v_cmp_ne_u16_e32 vcc_lo, 0, v4
	s_and_not1_b32 s24, s24, exec_lo
	s_and_b32 s25, vcc_lo, exec_lo
	s_delay_alu instid0(SALU_CYCLE_1)
	s_or_b32 s24, s24, s25
	s_or_b32 exec_lo, exec_lo, s17
	v_mov_b32_e32 v3, 0
	s_and_saveexec_b32 s17, s24
	s_cbranch_execnz .LBB54_193
	s_branch .LBB54_194
.LBB54_213:
	s_mov_b32 s19, -1
                                        ; implicit-def: $vgpr3
.LBB54_214:
	s_mov_b32 s24, 0
.LBB54_215:
	s_delay_alu instid0(SALU_CYCLE_1)
	s_and_b32 vcc_lo, exec_lo, s24
	s_cbranch_vccz .LBB54_219
; %bb.216:
	s_cmp_eq_u32 s0, 11
	s_cbranch_scc0 .LBB54_218
; %bb.217:
	s_wait_loadcnt 0x0
	global_load_u8 v3, v[0:1], off
	s_mov_b32 s19, 0
	s_mov_b32 s17, -1
	s_wait_loadcnt 0x0
	v_cmp_ne_u16_e32 vcc_lo, 0, v3
	v_cndmask_b32_e64 v3, 0, 1, vcc_lo
	s_branch .LBB54_219
.LBB54_218:
	s_mov_b32 s19, -1
                                        ; implicit-def: $vgpr3
.LBB54_219:
	s_mov_b32 s24, 0
.LBB54_220:
	s_delay_alu instid0(SALU_CYCLE_1)
	s_and_b32 vcc_lo, exec_lo, s24
	s_cbranch_vccz .LBB54_269
; %bb.221:
	s_cmp_lt_i32 s0, 5
	s_cbranch_scc1 .LBB54_226
; %bb.222:
	s_cmp_lt_i32 s0, 8
	s_cbranch_scc1 .LBB54_227
	;; [unrolled: 3-line block ×3, first 2 shown]
; %bb.224:
	s_cmp_gt_i32 s0, 9
	s_cbranch_scc0 .LBB54_229
; %bb.225:
	global_load_b64 v[4:5], v[0:1], off
	s_mov_b32 s17, 0
	s_wait_loadcnt 0x0
	v_cvt_i32_f64_e32 v3, v[4:5]
	s_branch .LBB54_230
.LBB54_226:
	s_mov_b32 s17, -1
                                        ; implicit-def: $vgpr3
	s_branch .LBB54_248
.LBB54_227:
	s_mov_b32 s17, -1
                                        ; implicit-def: $vgpr3
	s_branch .LBB54_236
.LBB54_228:
	s_mov_b32 s17, -1
                                        ; implicit-def: $vgpr3
	s_branch .LBB54_233
.LBB54_229:
	s_mov_b32 s17, -1
                                        ; implicit-def: $vgpr3
.LBB54_230:
	s_delay_alu instid0(SALU_CYCLE_1)
	s_and_not1_b32 vcc_lo, exec_lo, s17
	s_cbranch_vccnz .LBB54_232
; %bb.231:
	s_wait_loadcnt 0x0
	global_load_b32 v3, v[0:1], off
	s_wait_loadcnt 0x0
	v_cvt_i32_f32_e32 v3, v3
.LBB54_232:
	s_mov_b32 s17, 0
.LBB54_233:
	s_delay_alu instid0(SALU_CYCLE_1)
	s_and_not1_b32 vcc_lo, exec_lo, s17
	s_cbranch_vccnz .LBB54_235
; %bb.234:
	s_wait_loadcnt 0x0
	global_load_b32 v3, v[0:1], off
	s_wait_loadcnt 0x0
	v_cvt_f32_f16_e32 v3, v3
	s_delay_alu instid0(VALU_DEP_1)
	v_cvt_i32_f32_e32 v3, v3
.LBB54_235:
	s_mov_b32 s17, 0
.LBB54_236:
	s_delay_alu instid0(SALU_CYCLE_1)
	s_and_not1_b32 vcc_lo, exec_lo, s17
	s_cbranch_vccnz .LBB54_247
; %bb.237:
	s_cmp_lt_i32 s0, 6
	s_cbranch_scc1 .LBB54_240
; %bb.238:
	s_cmp_gt_i32 s0, 6
	s_cbranch_scc0 .LBB54_241
; %bb.239:
	global_load_b64 v[4:5], v[0:1], off
	s_mov_b32 s17, 0
	s_wait_loadcnt 0x0
	v_cvt_i32_f64_e32 v3, v[4:5]
	s_branch .LBB54_242
.LBB54_240:
	s_mov_b32 s17, -1
                                        ; implicit-def: $vgpr3
	s_branch .LBB54_245
.LBB54_241:
	s_mov_b32 s17, -1
                                        ; implicit-def: $vgpr3
.LBB54_242:
	s_delay_alu instid0(SALU_CYCLE_1)
	s_and_not1_b32 vcc_lo, exec_lo, s17
	s_cbranch_vccnz .LBB54_244
; %bb.243:
	s_wait_loadcnt 0x0
	global_load_b32 v3, v[0:1], off
	s_wait_loadcnt 0x0
	v_cvt_i32_f32_e32 v3, v3
.LBB54_244:
	s_mov_b32 s17, 0
.LBB54_245:
	s_delay_alu instid0(SALU_CYCLE_1)
	s_and_not1_b32 vcc_lo, exec_lo, s17
	s_cbranch_vccnz .LBB54_247
; %bb.246:
	s_wait_loadcnt 0x0
	global_load_u16 v3, v[0:1], off
	s_wait_loadcnt 0x0
	v_cvt_f32_f16_e32 v3, v3
	s_delay_alu instid0(VALU_DEP_1)
	v_cvt_i32_f32_e32 v3, v3
.LBB54_247:
	s_mov_b32 s17, 0
.LBB54_248:
	s_delay_alu instid0(SALU_CYCLE_1)
	s_and_not1_b32 vcc_lo, exec_lo, s17
	s_cbranch_vccnz .LBB54_268
; %bb.249:
	s_cmp_lt_i32 s0, 2
	s_cbranch_scc1 .LBB54_253
; %bb.250:
	s_cmp_lt_i32 s0, 3
	s_cbranch_scc1 .LBB54_254
; %bb.251:
	s_cmp_gt_i32 s0, 3
	s_cbranch_scc0 .LBB54_255
; %bb.252:
	s_wait_loadcnt 0x0
	global_load_b32 v3, v[0:1], off
	s_mov_b32 s17, 0
	s_branch .LBB54_256
.LBB54_253:
	s_mov_b32 s17, -1
                                        ; implicit-def: $vgpr3
	s_branch .LBB54_262
.LBB54_254:
	s_mov_b32 s17, -1
                                        ; implicit-def: $vgpr3
	s_branch .LBB54_259
.LBB54_255:
	s_mov_b32 s17, -1
                                        ; implicit-def: $vgpr3
.LBB54_256:
	s_delay_alu instid0(SALU_CYCLE_1)
	s_and_not1_b32 vcc_lo, exec_lo, s17
	s_cbranch_vccnz .LBB54_258
; %bb.257:
	s_wait_loadcnt 0x0
	global_load_b32 v3, v[0:1], off
.LBB54_258:
	s_mov_b32 s17, 0
.LBB54_259:
	s_delay_alu instid0(SALU_CYCLE_1)
	s_and_not1_b32 vcc_lo, exec_lo, s17
	s_cbranch_vccnz .LBB54_261
; %bb.260:
	s_wait_loadcnt 0x0
	global_load_i16 v3, v[0:1], off
.LBB54_261:
	s_mov_b32 s17, 0
.LBB54_262:
	s_delay_alu instid0(SALU_CYCLE_1)
	s_and_not1_b32 vcc_lo, exec_lo, s17
	s_cbranch_vccnz .LBB54_268
; %bb.263:
	s_cmp_gt_i32 s0, 0
	s_mov_b32 s0, 0
	s_cbranch_scc0 .LBB54_265
; %bb.264:
	s_wait_loadcnt 0x0
	global_load_i8 v3, v[0:1], off
	s_branch .LBB54_266
.LBB54_265:
	s_mov_b32 s0, -1
                                        ; implicit-def: $vgpr3
.LBB54_266:
	s_delay_alu instid0(SALU_CYCLE_1)
	s_and_not1_b32 vcc_lo, exec_lo, s0
	s_cbranch_vccnz .LBB54_268
; %bb.267:
	s_wait_loadcnt 0x0
	global_load_u8 v3, v[0:1], off
.LBB54_268:
	s_mov_b32 s17, -1
.LBB54_269:
	s_delay_alu instid0(SALU_CYCLE_1)
	s_and_not1_b32 vcc_lo, exec_lo, s17
	s_cbranch_vccnz .LBB54_277
; %bb.270:
	v_mul_lo_u32 v4, v6, s12
	s_wait_loadcnt 0x0
	v_mul_lo_u32 v0, v2, s6
	s_and_b32 s17, s7, 0xff
	s_delay_alu instid0(SALU_CYCLE_1) | instskip(NEXT) | instid1(VALU_DEP_2)
	s_cmp_lt_i32 s17, 11
	v_ashrrev_i32_e32 v5, 31, v4
	s_delay_alu instid0(VALU_DEP_2) | instskip(NEXT) | instid1(VALU_DEP_2)
	v_mul_lo_u32 v0, v0, v3
	v_add_nc_u64_e32 v[2:3], s[2:3], v[4:5]
	s_cbranch_scc1 .LBB54_278
; %bb.271:
	s_and_b32 s24, 0xffff, s17
	s_delay_alu instid0(SALU_CYCLE_1)
	s_cmp_gt_i32 s24, 25
	s_cbranch_scc0 .LBB54_279
; %bb.272:
	s_cmp_gt_i32 s24, 28
	s_cbranch_scc0 .LBB54_280
; %bb.273:
	;; [unrolled: 3-line block ×4, first 2 shown]
	s_mov_b32 s26, 0
	s_mov_b32 s0, -1
	s_cmp_eq_u32 s24, 46
	s_mov_b32 s25, 0
	s_cbranch_scc0 .LBB54_283
; %bb.276:
	v_cvt_f32_i32_e32 v1, v0
	s_mov_b32 s25, -1
	s_mov_b32 s0, 0
	s_delay_alu instid0(VALU_DEP_1) | instskip(NEXT) | instid1(VALU_DEP_1)
	v_bfe_u32 v4, v1, 16, 1
	v_add3_u32 v1, v1, v4, 0x7fff
	s_delay_alu instid0(VALU_DEP_1)
	v_lshrrev_b32_e32 v1, 16, v1
	global_store_b32 v[2:3], v1, off
	s_branch .LBB54_283
.LBB54_277:
	s_mov_b32 s0, 0
	s_mov_b32 s24, 0
                                        ; implicit-def: $vgpr6
	s_branch .LBB54_393
.LBB54_278:
	s_mov_b32 s24, -1
	s_mov_b32 s0, 0
	s_mov_b32 s25, 0
	s_branch .LBB54_352
.LBB54_279:
	s_mov_b32 s26, -1
	s_mov_b32 s0, 0
	s_mov_b32 s25, 0
	s_branch .LBB54_310
.LBB54_280:
	s_mov_b32 s26, -1
	s_mov_b32 s0, 0
	s_mov_b32 s25, 0
	s_branch .LBB54_293
.LBB54_281:
	s_mov_b32 s26, -1
	s_mov_b32 s0, 0
	s_mov_b32 s25, 0
	s_branch .LBB54_289
.LBB54_282:
	s_mov_b32 s26, -1
	s_mov_b32 s0, 0
	s_mov_b32 s25, 0
.LBB54_283:
	s_and_b32 vcc_lo, exec_lo, s26
	s_cbranch_vccz .LBB54_288
; %bb.284:
	s_cmp_eq_u32 s24, 44
	s_mov_b32 s0, -1
	s_cbranch_scc0 .LBB54_288
; %bb.285:
	s_wait_xcnt 0x0
	v_cvt_f32_i32_e32 v1, v0
	v_mov_b32_e32 v4, 0xff
	s_mov_b32 s25, exec_lo
	s_delay_alu instid0(VALU_DEP_2) | instskip(NEXT) | instid1(VALU_DEP_1)
	v_bfe_u32 v5, v1, 23, 8
	v_cmpx_ne_u32_e32 0xff, v5
	s_cbranch_execz .LBB54_287
; %bb.286:
	v_and_b32_e32 v4, 0x400000, v1
	v_and_or_b32 v5, 0x3fffff, v1, v5
	v_lshrrev_b32_e32 v1, 23, v1
	s_delay_alu instid0(VALU_DEP_3) | instskip(NEXT) | instid1(VALU_DEP_3)
	v_cmp_ne_u32_e32 vcc_lo, 0, v4
	v_cmp_ne_u32_e64 s0, 0, v5
	s_and_b32 s0, vcc_lo, s0
	s_delay_alu instid0(SALU_CYCLE_1) | instskip(NEXT) | instid1(VALU_DEP_1)
	v_cndmask_b32_e64 v4, 0, 1, s0
	v_add_nc_u32_e32 v4, v1, v4
.LBB54_287:
	s_or_b32 exec_lo, exec_lo, s25
	s_mov_b32 s25, -1
	s_mov_b32 s0, 0
	global_store_b8 v[2:3], v4, off
.LBB54_288:
	s_mov_b32 s26, 0
.LBB54_289:
	s_delay_alu instid0(SALU_CYCLE_1)
	s_and_b32 vcc_lo, exec_lo, s26
	s_cbranch_vccz .LBB54_292
; %bb.290:
	s_cmp_eq_u32 s24, 29
	s_mov_b32 s0, -1
	s_cbranch_scc0 .LBB54_292
; %bb.291:
	s_wait_xcnt 0x0
	v_ashrrev_i32_e32 v1, 31, v0
	s_mov_b32 s25, -1
	s_mov_b32 s0, 0
	s_mov_b32 s26, 0
	global_store_b64 v[2:3], v[0:1], off
	s_branch .LBB54_293
.LBB54_292:
	s_mov_b32 s26, 0
.LBB54_293:
	s_delay_alu instid0(SALU_CYCLE_1)
	s_and_b32 vcc_lo, exec_lo, s26
	s_cbranch_vccz .LBB54_309
; %bb.294:
	s_cmp_lt_i32 s24, 27
	s_mov_b32 s25, -1
	s_cbranch_scc1 .LBB54_300
; %bb.295:
	s_cmp_gt_i32 s24, 27
	s_cbranch_scc0 .LBB54_297
; %bb.296:
	s_mov_b32 s25, 0
	global_store_b32 v[2:3], v0, off
.LBB54_297:
	s_and_not1_b32 vcc_lo, exec_lo, s25
	s_cbranch_vccnz .LBB54_299
; %bb.298:
	global_store_b16 v[2:3], v0, off
.LBB54_299:
	s_mov_b32 s25, 0
.LBB54_300:
	s_delay_alu instid0(SALU_CYCLE_1)
	s_and_not1_b32 vcc_lo, exec_lo, s25
	s_cbranch_vccnz .LBB54_308
; %bb.301:
	s_wait_xcnt 0x0
	v_cvt_f32_i32_e32 v1, v0
	v_mov_b32_e32 v5, 0x80
	s_mov_b32 s25, exec_lo
	s_delay_alu instid0(VALU_DEP_2) | instskip(NEXT) | instid1(VALU_DEP_1)
	v_and_b32_e32 v4, 0x7fffffff, v1
	v_cmpx_gt_u32_e32 0x43800000, v4
	s_cbranch_execz .LBB54_307
; %bb.302:
	v_cmp_lt_u32_e32 vcc_lo, 0x3bffffff, v4
	s_mov_b32 s26, 0
                                        ; implicit-def: $vgpr4
	s_and_saveexec_b32 s27, vcc_lo
	s_delay_alu instid0(SALU_CYCLE_1)
	s_xor_b32 s27, exec_lo, s27
	s_cbranch_execz .LBB54_428
; %bb.303:
	v_bfe_u32 v4, v1, 20, 1
	s_mov_b32 s26, exec_lo
	s_delay_alu instid0(VALU_DEP_1) | instskip(NEXT) | instid1(VALU_DEP_1)
	v_add3_u32 v4, v1, v4, 0x487ffff
	v_lshrrev_b32_e32 v4, 20, v4
	s_and_not1_saveexec_b32 s27, s27
	s_cbranch_execnz .LBB54_429
.LBB54_304:
	s_or_b32 exec_lo, exec_lo, s27
	v_mov_b32_e32 v5, 0
	s_and_saveexec_b32 s27, s26
.LBB54_305:
	v_lshrrev_b32_e32 v1, 24, v1
	s_delay_alu instid0(VALU_DEP_1)
	v_and_or_b32 v5, 0x80, v1, v4
.LBB54_306:
	s_or_b32 exec_lo, exec_lo, s27
.LBB54_307:
	s_delay_alu instid0(SALU_CYCLE_1)
	s_or_b32 exec_lo, exec_lo, s25
	global_store_b8 v[2:3], v5, off
.LBB54_308:
	s_mov_b32 s25, -1
.LBB54_309:
	s_mov_b32 s26, 0
.LBB54_310:
	s_delay_alu instid0(SALU_CYCLE_1)
	s_and_b32 vcc_lo, exec_lo, s26
	s_cbranch_vccz .LBB54_351
; %bb.311:
	s_cmp_gt_i32 s24, 22
	s_mov_b32 s26, -1
	s_cbranch_scc0 .LBB54_343
; %bb.312:
	s_cmp_lt_i32 s24, 24
	s_mov_b32 s25, -1
	s_cbranch_scc1 .LBB54_332
; %bb.313:
	s_cmp_gt_i32 s24, 24
	s_cbranch_scc0 .LBB54_321
; %bb.314:
	s_wait_xcnt 0x0
	v_cvt_f32_i32_e32 v1, v0
	v_mov_b32_e32 v5, 0x80
	s_mov_b32 s25, exec_lo
	s_delay_alu instid0(VALU_DEP_2) | instskip(NEXT) | instid1(VALU_DEP_1)
	v_and_b32_e32 v4, 0x7fffffff, v1
	v_cmpx_gt_u32_e32 0x47800000, v4
	s_cbranch_execz .LBB54_320
; %bb.315:
	v_cmp_lt_u32_e32 vcc_lo, 0x37ffffff, v4
	s_mov_b32 s26, 0
                                        ; implicit-def: $vgpr4
	s_and_saveexec_b32 s27, vcc_lo
	s_delay_alu instid0(SALU_CYCLE_1)
	s_xor_b32 s27, exec_lo, s27
	s_cbranch_execz .LBB54_555
; %bb.316:
	v_bfe_u32 v4, v1, 21, 1
	s_mov_b32 s26, exec_lo
	s_delay_alu instid0(VALU_DEP_1) | instskip(NEXT) | instid1(VALU_DEP_1)
	v_add3_u32 v4, v1, v4, 0x88fffff
	v_lshrrev_b32_e32 v4, 21, v4
	s_and_not1_saveexec_b32 s27, s27
	s_cbranch_execnz .LBB54_556
.LBB54_317:
	s_or_b32 exec_lo, exec_lo, s27
	v_mov_b32_e32 v5, 0
	s_and_saveexec_b32 s27, s26
.LBB54_318:
	v_lshrrev_b32_e32 v1, 24, v1
	s_delay_alu instid0(VALU_DEP_1)
	v_and_or_b32 v5, 0x80, v1, v4
.LBB54_319:
	s_or_b32 exec_lo, exec_lo, s27
.LBB54_320:
	s_delay_alu instid0(SALU_CYCLE_1)
	s_or_b32 exec_lo, exec_lo, s25
	s_mov_b32 s25, 0
	global_store_b8 v[2:3], v5, off
.LBB54_321:
	s_and_b32 vcc_lo, exec_lo, s25
	s_cbranch_vccz .LBB54_331
; %bb.322:
	s_wait_xcnt 0x0
	v_cvt_f32_i32_e32 v1, v0
	s_mov_b32 s25, exec_lo
                                        ; implicit-def: $vgpr4
	s_delay_alu instid0(VALU_DEP_1) | instskip(NEXT) | instid1(VALU_DEP_1)
	v_and_b32_e32 v5, 0x7fffffff, v1
	v_cmpx_gt_u32_e32 0x43f00000, v5
	s_xor_b32 s25, exec_lo, s25
	s_cbranch_execz .LBB54_328
; %bb.323:
	s_mov_b32 s26, exec_lo
                                        ; implicit-def: $vgpr4
	v_cmpx_lt_u32_e32 0x3c7fffff, v5
	s_xor_b32 s26, exec_lo, s26
; %bb.324:
	v_bfe_u32 v4, v1, 20, 1
	s_delay_alu instid0(VALU_DEP_1) | instskip(NEXT) | instid1(VALU_DEP_1)
	v_add3_u32 v4, v1, v4, 0x407ffff
	v_and_b32_e32 v5, 0xff00000, v4
	v_lshrrev_b32_e32 v4, 20, v4
	s_delay_alu instid0(VALU_DEP_2) | instskip(NEXT) | instid1(VALU_DEP_2)
	v_cmp_ne_u32_e32 vcc_lo, 0x7f00000, v5
	v_cndmask_b32_e32 v4, 0x7e, v4, vcc_lo
; %bb.325:
	s_and_not1_saveexec_b32 s26, s26
; %bb.326:
	v_add_f32_e64 v4, 0x46800000, |v1|
; %bb.327:
	s_or_b32 exec_lo, exec_lo, s26
                                        ; implicit-def: $vgpr5
.LBB54_328:
	s_and_not1_saveexec_b32 s25, s25
; %bb.329:
	v_mov_b32_e32 v4, 0x7f
	v_cmp_lt_u32_e32 vcc_lo, 0x7f800000, v5
	s_delay_alu instid0(VALU_DEP_2)
	v_cndmask_b32_e32 v4, 0x7e, v4, vcc_lo
; %bb.330:
	s_or_b32 exec_lo, exec_lo, s25
	v_lshrrev_b32_e32 v1, 24, v1
	s_delay_alu instid0(VALU_DEP_1)
	v_and_or_b32 v1, 0x80, v1, v4
	global_store_b8 v[2:3], v1, off
.LBB54_331:
	s_mov_b32 s25, 0
.LBB54_332:
	s_delay_alu instid0(SALU_CYCLE_1)
	s_and_not1_b32 vcc_lo, exec_lo, s25
	s_cbranch_vccnz .LBB54_342
; %bb.333:
	s_wait_xcnt 0x0
	v_cvt_f32_i32_e32 v1, v0
	s_mov_b32 s25, exec_lo
                                        ; implicit-def: $vgpr4
	s_delay_alu instid0(VALU_DEP_1) | instskip(NEXT) | instid1(VALU_DEP_1)
	v_and_b32_e32 v5, 0x7fffffff, v1
	v_cmpx_gt_u32_e32 0x47800000, v5
	s_xor_b32 s25, exec_lo, s25
	s_cbranch_execz .LBB54_339
; %bb.334:
	s_mov_b32 s26, exec_lo
                                        ; implicit-def: $vgpr4
	v_cmpx_lt_u32_e32 0x387fffff, v5
	s_xor_b32 s26, exec_lo, s26
; %bb.335:
	v_bfe_u32 v4, v1, 21, 1
	s_delay_alu instid0(VALU_DEP_1) | instskip(NEXT) | instid1(VALU_DEP_1)
	v_add3_u32 v4, v1, v4, 0x80fffff
	v_lshrrev_b32_e32 v4, 21, v4
; %bb.336:
	s_and_not1_saveexec_b32 s26, s26
; %bb.337:
	v_add_f32_e64 v4, 0x43000000, |v1|
; %bb.338:
	s_or_b32 exec_lo, exec_lo, s26
                                        ; implicit-def: $vgpr5
.LBB54_339:
	s_and_not1_saveexec_b32 s25, s25
; %bb.340:
	v_mov_b32_e32 v4, 0x7f
	v_cmp_lt_u32_e32 vcc_lo, 0x7f800000, v5
	s_delay_alu instid0(VALU_DEP_2)
	v_cndmask_b32_e32 v4, 0x7c, v4, vcc_lo
; %bb.341:
	s_or_b32 exec_lo, exec_lo, s25
	v_lshrrev_b32_e32 v1, 24, v1
	s_delay_alu instid0(VALU_DEP_1)
	v_and_or_b32 v1, 0x80, v1, v4
	global_store_b8 v[2:3], v1, off
.LBB54_342:
	s_mov_b32 s26, 0
	s_mov_b32 s25, -1
.LBB54_343:
	s_and_not1_b32 vcc_lo, exec_lo, s26
	s_cbranch_vccnz .LBB54_351
; %bb.344:
	s_cmp_gt_i32 s24, 14
	s_mov_b32 s26, -1
	s_cbranch_scc0 .LBB54_348
; %bb.345:
	s_cmp_eq_u32 s24, 15
	s_mov_b32 s0, -1
	s_cbranch_scc0 .LBB54_347
; %bb.346:
	s_wait_xcnt 0x0
	v_cvt_f32_i32_e32 v1, v0
	s_mov_b32 s25, -1
	s_mov_b32 s0, 0
	s_delay_alu instid0(VALU_DEP_1) | instskip(NEXT) | instid1(VALU_DEP_1)
	v_bfe_u32 v4, v1, 16, 1
	v_add3_u32 v1, v1, v4, 0x7fff
	global_store_d16_hi_b16 v[2:3], v1, off
.LBB54_347:
	s_mov_b32 s26, 0
.LBB54_348:
	s_delay_alu instid0(SALU_CYCLE_1)
	s_and_b32 vcc_lo, exec_lo, s26
	s_cbranch_vccz .LBB54_351
; %bb.349:
	s_cmp_eq_u32 s24, 11
	s_mov_b32 s0, -1
	s_cbranch_scc0 .LBB54_351
; %bb.350:
	v_cmp_ne_u32_e32 vcc_lo, 0, v0
	s_mov_b32 s0, 0
	s_mov_b32 s25, -1
	s_wait_xcnt 0x0
	v_cndmask_b32_e64 v1, 0, 1, vcc_lo
	global_store_b8 v[2:3], v1, off
.LBB54_351:
	s_mov_b32 s24, 0
.LBB54_352:
	s_delay_alu instid0(SALU_CYCLE_1)
	s_and_b32 vcc_lo, exec_lo, s24
	s_cbranch_vccz .LBB54_391
; %bb.353:
	s_and_b32 s17, 0xffff, s17
	s_mov_b32 s24, -1
	s_cmp_lt_i32 s17, 5
	s_cbranch_scc1 .LBB54_374
; %bb.354:
	s_cmp_lt_i32 s17, 8
	s_cbranch_scc1 .LBB54_364
; %bb.355:
	s_cmp_lt_i32 s17, 9
	s_cbranch_scc1 .LBB54_361
; %bb.356:
	s_cmp_gt_i32 s17, 9
	s_cbranch_scc0 .LBB54_358
; %bb.357:
	v_cvt_f64_i32_e32 v[8:9], v0
	v_mov_b32_e32 v10, 0
	s_mov_b32 s24, 0
	s_delay_alu instid0(VALU_DEP_1)
	v_mov_b32_e32 v11, v10
	global_store_b128 v[2:3], v[8:11], off
.LBB54_358:
	s_and_not1_b32 vcc_lo, exec_lo, s24
	s_cbranch_vccnz .LBB54_360
; %bb.359:
	s_wait_xcnt 0x0
	v_cvt_f32_i32_e32 v4, v0
	v_mov_b32_e32 v5, 0
	global_store_b64 v[2:3], v[4:5], off
.LBB54_360:
	s_mov_b32 s24, 0
.LBB54_361:
	s_delay_alu instid0(SALU_CYCLE_1)
	s_and_not1_b32 vcc_lo, exec_lo, s24
	s_cbranch_vccnz .LBB54_363
; %bb.362:
	s_wait_xcnt 0x0
	v_cvt_f32_i32_e32 v1, v0
	s_delay_alu instid0(VALU_DEP_1) | instskip(NEXT) | instid1(VALU_DEP_1)
	v_cvt_f16_f32_e32 v1, v1
	v_and_b32_e32 v1, 0xffff, v1
	global_store_b32 v[2:3], v1, off
.LBB54_363:
	s_mov_b32 s24, 0
.LBB54_364:
	s_delay_alu instid0(SALU_CYCLE_1)
	s_and_not1_b32 vcc_lo, exec_lo, s24
	s_cbranch_vccnz .LBB54_373
; %bb.365:
	s_cmp_lt_i32 s17, 6
	s_mov_b32 s24, -1
	s_cbranch_scc1 .LBB54_371
; %bb.366:
	s_cmp_gt_i32 s17, 6
	s_cbranch_scc0 .LBB54_368
; %bb.367:
	s_wait_xcnt 0x0
	v_cvt_f64_i32_e32 v[4:5], v0
	s_mov_b32 s24, 0
	global_store_b64 v[2:3], v[4:5], off
.LBB54_368:
	s_and_not1_b32 vcc_lo, exec_lo, s24
	s_cbranch_vccnz .LBB54_370
; %bb.369:
	s_wait_xcnt 0x0
	v_cvt_f32_i32_e32 v1, v0
	global_store_b32 v[2:3], v1, off
.LBB54_370:
	s_mov_b32 s24, 0
.LBB54_371:
	s_delay_alu instid0(SALU_CYCLE_1)
	s_and_not1_b32 vcc_lo, exec_lo, s24
	s_cbranch_vccnz .LBB54_373
; %bb.372:
	s_wait_xcnt 0x0
	v_cvt_f32_i32_e32 v1, v0
	s_delay_alu instid0(VALU_DEP_1)
	v_cvt_f16_f32_e32 v1, v1
	global_store_b16 v[2:3], v1, off
.LBB54_373:
	s_mov_b32 s24, 0
.LBB54_374:
	s_delay_alu instid0(SALU_CYCLE_1)
	s_and_not1_b32 vcc_lo, exec_lo, s24
	s_cbranch_vccnz .LBB54_390
; %bb.375:
	s_cmp_lt_i32 s17, 2
	s_mov_b32 s24, -1
	s_cbranch_scc1 .LBB54_385
; %bb.376:
	s_cmp_lt_i32 s17, 3
	s_cbranch_scc1 .LBB54_382
; %bb.377:
	s_cmp_gt_i32 s17, 3
	s_cbranch_scc0 .LBB54_379
; %bb.378:
	s_wait_xcnt 0x0
	v_ashrrev_i32_e32 v1, 31, v0
	s_mov_b32 s24, 0
	global_store_b64 v[2:3], v[0:1], off
.LBB54_379:
	s_and_not1_b32 vcc_lo, exec_lo, s24
	s_cbranch_vccnz .LBB54_381
; %bb.380:
	global_store_b32 v[2:3], v0, off
.LBB54_381:
	s_mov_b32 s24, 0
.LBB54_382:
	s_delay_alu instid0(SALU_CYCLE_1)
	s_and_not1_b32 vcc_lo, exec_lo, s24
	s_cbranch_vccnz .LBB54_384
; %bb.383:
	global_store_b16 v[2:3], v0, off
.LBB54_384:
	s_mov_b32 s24, 0
.LBB54_385:
	s_delay_alu instid0(SALU_CYCLE_1)
	s_and_not1_b32 vcc_lo, exec_lo, s24
	s_cbranch_vccnz .LBB54_390
; %bb.386:
	s_cmp_gt_i32 s17, 0
	s_mov_b32 s17, -1
	s_cbranch_scc0 .LBB54_388
; %bb.387:
	s_mov_b32 s17, 0
	global_store_b8 v[2:3], v0, off
.LBB54_388:
	s_and_not1_b32 vcc_lo, exec_lo, s17
	s_cbranch_vccnz .LBB54_390
; %bb.389:
	global_store_b8 v[2:3], v0, off
.LBB54_390:
	s_mov_b32 s25, -1
.LBB54_391:
	s_delay_alu instid0(SALU_CYCLE_1)
	s_and_not1_b32 vcc_lo, exec_lo, s25
	s_cbranch_vccnz .LBB54_27
; %bb.392:
	v_add_nc_u32_e32 v6, 0x80, v6
	s_mov_b32 s24, -1
.LBB54_393:
	s_and_b32 s17, s0, exec_lo
	s_and_b32 s19, s19, exec_lo
	;; [unrolled: 1-line block ×4, first 2 shown]
	s_or_not1_b32 s0, s24, exec_lo
.LBB54_394:
	s_wait_xcnt 0x0
	s_or_b32 exec_lo, exec_lo, s22
	s_and_saveexec_b32 s22, s0
	s_cbranch_execz .LBB54_1221
; %bb.395:
	s_mov_b32 s28, -1
	s_mov_b32 s23, s21
	s_mov_b32 s26, s20
	s_mov_b32 s25, s19
	s_mov_b32 s24, s17
	s_mov_b32 s27, exec_lo
	v_cmpx_gt_i32_e64 s18, v6
	s_cbranch_execz .LBB54_794
; %bb.396:
	s_and_b32 s23, s15, 0xff
	s_delay_alu instid0(SALU_CYCLE_1)
	s_cmp_lt_i32 s23, 23
	s_cbranch_scc1 .LBB54_400
; %bb.397:
	s_and_b32 s24, 0xffff, s23
	s_delay_alu instid0(SALU_CYCLE_1)
	s_cmp_gt_i32 s24, 43
	s_cbranch_scc0 .LBB54_401
; %bb.398:
	s_cmp_gt_i32 s24, 45
	s_cbranch_scc0 .LBB54_402
; %bb.399:
	s_cmp_eq_u32 s24, 46
	s_mov_b32 s25, 0
	s_cselect_b32 s0, -1, 0
	s_or_b32 s26, s21, exec_lo
	s_branch .LBB54_403
.LBB54_400:
	s_mov_b32 s0, 0
	s_mov_b32 s26, s21
	s_cbranch_execnz .LBB54_409
	s_branch .LBB54_413
.LBB54_401:
	s_mov_b32 s25, -1
	s_mov_b32 s0, 0
	s_mov_b32 s26, s21
	s_branch .LBB54_406
.LBB54_402:
	s_mov_b32 s25, -1
	s_mov_b32 s0, 0
	s_mov_b32 s26, s21
.LBB54_403:
	s_and_not1_b32 vcc_lo, exec_lo, s25
	s_cbranch_vccnz .LBB54_405
; %bb.404:
	s_cmp_eq_u32 s24, 44
	s_cselect_b32 s0, -1, 0
	s_cmp_lg_u32 s24, 44
	s_cselect_b32 s25, -1, 0
	s_and_not1_b32 s26, s26, exec_lo
	s_and_b32 s25, s25, exec_lo
	s_delay_alu instid0(SALU_CYCLE_1)
	s_or_b32 s26, s26, s25
.LBB54_405:
	s_mov_b32 s25, 0
.LBB54_406:
	s_delay_alu instid0(SALU_CYCLE_1)
	s_and_b32 vcc_lo, exec_lo, s25
	s_cbranch_vccz .LBB54_408
; %bb.407:
	s_cmp_lt_i32 s24, 30
	s_cselect_b32 s0, -1, 0
	s_cmp_gt_i32 s24, 29
	s_cselect_b32 s24, -1, 0
	s_and_not1_b32 s25, s26, exec_lo
	s_and_b32 s24, s24, exec_lo
	s_delay_alu instid0(SALU_CYCLE_1)
	s_or_b32 s26, s25, s24
.LBB54_408:
	s_branch .LBB54_413
.LBB54_409:
	s_and_b32 s23, 0xffff, s23
	s_mov_b32 s24, -1
	s_cmp_gt_i32 s23, 14
	s_cbranch_scc0 .LBB54_411
; %bb.410:
	s_cmp_eq_u32 s23, 15
	s_cselect_b32 s0, -1, 0
	s_cmp_lg_u32 s23, 15
	s_cselect_b32 s24, -1, 0
	s_and_not1_b32 s25, s26, exec_lo
	s_and_b32 s26, s24, exec_lo
	s_mov_b32 s24, 0
	s_or_b32 s26, s25, s26
.LBB54_411:
	s_and_not1_b32 vcc_lo, exec_lo, s24
	s_cbranch_vccnz .LBB54_413
; %bb.412:
	s_cmp_lt_i32 s23, 12
	s_cselect_b32 s0, -1, 0
	s_cmp_gt_i32 s23, 11
	s_cselect_b32 s23, -1, 0
	s_and_not1_b32 s24, s26, exec_lo
	s_and_b32 s23, s23, exec_lo
	s_delay_alu instid0(SALU_CYCLE_1)
	s_or_b32 s26, s24, s23
.LBB54_413:
	s_and_b32 vcc_lo, exec_lo, s0
	s_cbranch_vccz .LBB54_421
; %bb.414:
	v_mul_lo_u32 v0, v6, s4
	s_and_b32 s0, s13, 0xff
	s_delay_alu instid0(SALU_CYCLE_1) | instskip(NEXT) | instid1(VALU_DEP_1)
	s_cmp_lt_i32 s0, 11
	v_ashrrev_i32_e32 v1, 31, v0
	s_delay_alu instid0(VALU_DEP_1)
	v_add_nc_u64_e32 v[0:1], s[8:9], v[0:1]
	s_cbranch_scc1 .LBB54_423
; %bb.415:
	s_and_b32 s24, 0xffff, s0
	s_delay_alu instid0(SALU_CYCLE_1)
	s_cmp_gt_i32 s24, 25
	s_cbranch_scc0 .LBB54_424
; %bb.416:
	s_cmp_gt_i32 s24, 28
	s_cbranch_scc0 .LBB54_425
; %bb.417:
	;; [unrolled: 3-line block ×4, first 2 shown]
	s_cmp_eq_u32 s24, 46
	s_mov_b32 s26, 0
	s_cbranch_scc0 .LBB54_430
; %bb.420:
	s_wait_loadcnt 0x0
	global_load_b32 v2, v[0:1], off
	s_mov_b32 s25, -1
	s_mov_b32 s23, 0
	s_wait_loadcnt 0x0
	v_lshlrev_b32_e32 v2, 16, v2
	s_delay_alu instid0(VALU_DEP_1)
	v_cvt_i32_f32_e32 v2, v2
	s_branch .LBB54_432
.LBB54_421:
	s_mov_b32 s28, 0
	s_mov_b32 s0, s17
	;; [unrolled: 1-line block ×4, first 2 shown]
.LBB54_422:
                                        ; implicit-def: $vgpr6
	s_branch .LBB54_793
.LBB54_423:
	s_mov_b32 s24, -1
	s_mov_b32 s25, 0
	s_mov_b32 s23, s20
                                        ; implicit-def: $vgpr2
	s_branch .LBB54_493
.LBB54_424:
	s_mov_b32 s26, -1
	s_mov_b32 s25, 0
	s_mov_b32 s23, s20
                                        ; implicit-def: $vgpr2
	s_branch .LBB54_459
.LBB54_425:
	s_mov_b32 s26, -1
	s_mov_b32 s25, 0
	s_mov_b32 s23, s20
                                        ; implicit-def: $vgpr2
	s_branch .LBB54_442
.LBB54_426:
	s_mov_b32 s26, -1
	s_mov_b32 s25, 0
	s_mov_b32 s23, s20
                                        ; implicit-def: $vgpr2
	s_branch .LBB54_437
.LBB54_427:
	s_mov_b32 s26, -1
	s_mov_b32 s25, 0
	s_mov_b32 s23, s20
	s_branch .LBB54_431
.LBB54_428:
	s_and_not1_saveexec_b32 s27, s27
	s_cbranch_execz .LBB54_304
.LBB54_429:
	v_add_f32_e64 v4, 0x46000000, |v1|
	s_and_not1_b32 s26, s26, exec_lo
	s_delay_alu instid0(VALU_DEP_1) | instskip(NEXT) | instid1(VALU_DEP_1)
	v_and_b32_e32 v4, 0xff, v4
	v_cmp_ne_u32_e32 vcc_lo, 0, v4
	s_and_b32 s28, vcc_lo, exec_lo
	s_delay_alu instid0(SALU_CYCLE_1)
	s_or_b32 s26, s26, s28
	s_or_b32 exec_lo, exec_lo, s27
	v_mov_b32_e32 v5, 0
	s_and_saveexec_b32 s27, s26
	s_cbranch_execnz .LBB54_305
	s_branch .LBB54_306
.LBB54_430:
	s_mov_b32 s23, -1
	s_mov_b32 s25, 0
.LBB54_431:
                                        ; implicit-def: $vgpr2
.LBB54_432:
	s_and_b32 vcc_lo, exec_lo, s26
	s_cbranch_vccz .LBB54_436
; %bb.433:
	s_cmp_eq_u32 s24, 44
	s_cbranch_scc0 .LBB54_435
; %bb.434:
	s_wait_loadcnt 0x0
	global_load_u8 v2, v[0:1], off
	s_mov_b32 s23, 0
	s_mov_b32 s25, -1
	s_wait_loadcnt 0x0
	v_lshlrev_b32_e32 v3, 23, v2
	v_cmp_ne_u32_e32 vcc_lo, 0, v2
	s_delay_alu instid0(VALU_DEP_2) | instskip(NEXT) | instid1(VALU_DEP_1)
	v_cvt_i32_f32_e32 v3, v3
	v_cndmask_b32_e32 v2, 0, v3, vcc_lo
	s_branch .LBB54_436
.LBB54_435:
	s_mov_b32 s23, -1
                                        ; implicit-def: $vgpr2
.LBB54_436:
	s_mov_b32 s26, 0
.LBB54_437:
	s_delay_alu instid0(SALU_CYCLE_1)
	s_and_b32 vcc_lo, exec_lo, s26
	s_cbranch_vccz .LBB54_441
; %bb.438:
	s_cmp_eq_u32 s24, 29
	s_cbranch_scc0 .LBB54_440
; %bb.439:
	s_wait_loadcnt 0x0
	global_load_b32 v2, v[0:1], off
	s_mov_b32 s25, -1
	s_mov_b32 s23, 0
	s_branch .LBB54_441
.LBB54_440:
	s_mov_b32 s23, -1
                                        ; implicit-def: $vgpr2
.LBB54_441:
	s_mov_b32 s26, 0
.LBB54_442:
	s_delay_alu instid0(SALU_CYCLE_1)
	s_and_b32 vcc_lo, exec_lo, s26
	s_cbranch_vccz .LBB54_458
; %bb.443:
	s_cmp_lt_i32 s24, 27
	s_cbranch_scc1 .LBB54_446
; %bb.444:
	s_cmp_gt_i32 s24, 27
	s_cbranch_scc0 .LBB54_447
; %bb.445:
	s_wait_loadcnt 0x0
	global_load_b32 v2, v[0:1], off
	s_mov_b32 s25, 0
	s_branch .LBB54_448
.LBB54_446:
	s_mov_b32 s25, -1
                                        ; implicit-def: $vgpr2
	s_branch .LBB54_451
.LBB54_447:
	s_mov_b32 s25, -1
                                        ; implicit-def: $vgpr2
.LBB54_448:
	s_delay_alu instid0(SALU_CYCLE_1)
	s_and_not1_b32 vcc_lo, exec_lo, s25
	s_cbranch_vccnz .LBB54_450
; %bb.449:
	s_wait_loadcnt 0x0
	global_load_u16 v2, v[0:1], off
.LBB54_450:
	s_mov_b32 s25, 0
.LBB54_451:
	s_delay_alu instid0(SALU_CYCLE_1)
	s_and_not1_b32 vcc_lo, exec_lo, s25
	s_cbranch_vccnz .LBB54_457
; %bb.452:
	s_wait_loadcnt 0x0
	global_load_u8 v3, v[0:1], off
	s_mov_b32 s26, 0
	s_mov_b32 s25, exec_lo
	s_wait_loadcnt 0x0
	v_cmpx_lt_i16_e32 0x7f, v3
	s_xor_b32 s25, exec_lo, s25
	s_cbranch_execz .LBB54_469
; %bb.453:
	v_cmp_ne_u16_e32 vcc_lo, 0x80, v3
	s_and_b32 s26, vcc_lo, exec_lo
	s_and_not1_saveexec_b32 s25, s25
	s_cbranch_execnz .LBB54_470
.LBB54_454:
	s_or_b32 exec_lo, exec_lo, s25
	v_mov_b32_e32 v2, 0
	s_and_saveexec_b32 s25, s26
	s_cbranch_execz .LBB54_456
.LBB54_455:
	v_and_b32_e32 v2, 0xffff, v3
	s_delay_alu instid0(VALU_DEP_1) | instskip(SKIP_1) | instid1(VALU_DEP_2)
	v_and_b32_e32 v4, 7, v2
	v_bfe_u32 v8, v2, 3, 4
	v_clz_i32_u32_e32 v5, v4
	s_delay_alu instid0(VALU_DEP_2) | instskip(NEXT) | instid1(VALU_DEP_2)
	v_cmp_eq_u32_e32 vcc_lo, 0, v8
	v_min_u32_e32 v5, 32, v5
	s_delay_alu instid0(VALU_DEP_1) | instskip(NEXT) | instid1(VALU_DEP_1)
	v_subrev_nc_u32_e32 v7, 28, v5
	v_dual_lshlrev_b32 v2, v7, v2 :: v_dual_sub_nc_u32 v5, 29, v5
	s_delay_alu instid0(VALU_DEP_1) | instskip(NEXT) | instid1(VALU_DEP_2)
	v_dual_lshlrev_b32 v3, 24, v3 :: v_dual_bitop2_b32 v2, 7, v2 bitop3:0x40
	v_cndmask_b32_e32 v5, v8, v5, vcc_lo
	s_delay_alu instid0(VALU_DEP_2) | instskip(NEXT) | instid1(VALU_DEP_3)
	v_cndmask_b32_e32 v2, v4, v2, vcc_lo
	v_and_b32_e32 v3, 0x80000000, v3
	s_delay_alu instid0(VALU_DEP_3) | instskip(NEXT) | instid1(VALU_DEP_3)
	v_lshl_add_u32 v4, v5, 23, 0x3b800000
	v_lshlrev_b32_e32 v2, 20, v2
	s_delay_alu instid0(VALU_DEP_1) | instskip(NEXT) | instid1(VALU_DEP_1)
	v_or3_b32 v2, v3, v4, v2
	v_cvt_i32_f32_e32 v2, v2
.LBB54_456:
	s_or_b32 exec_lo, exec_lo, s25
.LBB54_457:
	s_mov_b32 s25, -1
.LBB54_458:
	s_mov_b32 s26, 0
.LBB54_459:
	s_delay_alu instid0(SALU_CYCLE_1)
	s_and_b32 vcc_lo, exec_lo, s26
	s_cbranch_vccz .LBB54_492
; %bb.460:
	s_cmp_gt_i32 s24, 22
	s_cbranch_scc0 .LBB54_468
; %bb.461:
	s_cmp_lt_i32 s24, 24
	s_cbranch_scc1 .LBB54_471
; %bb.462:
	s_cmp_gt_i32 s24, 24
	s_cbranch_scc0 .LBB54_472
; %bb.463:
	s_wait_loadcnt 0x0
	global_load_u8 v3, v[0:1], off
	s_mov_b32 s26, 0
	s_mov_b32 s25, exec_lo
	s_wait_loadcnt 0x0
	v_cmpx_lt_i16_e32 0x7f, v3
	s_xor_b32 s25, exec_lo, s25
	s_cbranch_execz .LBB54_484
; %bb.464:
	v_cmp_ne_u16_e32 vcc_lo, 0x80, v3
	s_and_b32 s26, vcc_lo, exec_lo
	s_and_not1_saveexec_b32 s25, s25
	s_cbranch_execnz .LBB54_485
.LBB54_465:
	s_or_b32 exec_lo, exec_lo, s25
	v_mov_b32_e32 v2, 0
	s_and_saveexec_b32 s25, s26
	s_cbranch_execz .LBB54_467
.LBB54_466:
	v_and_b32_e32 v2, 0xffff, v3
	s_delay_alu instid0(VALU_DEP_1) | instskip(SKIP_1) | instid1(VALU_DEP_2)
	v_and_b32_e32 v4, 3, v2
	v_bfe_u32 v8, v2, 2, 5
	v_clz_i32_u32_e32 v5, v4
	s_delay_alu instid0(VALU_DEP_2) | instskip(NEXT) | instid1(VALU_DEP_2)
	v_cmp_eq_u32_e32 vcc_lo, 0, v8
	v_min_u32_e32 v5, 32, v5
	s_delay_alu instid0(VALU_DEP_1) | instskip(NEXT) | instid1(VALU_DEP_1)
	v_subrev_nc_u32_e32 v7, 29, v5
	v_dual_lshlrev_b32 v2, v7, v2 :: v_dual_sub_nc_u32 v5, 30, v5
	s_delay_alu instid0(VALU_DEP_1) | instskip(NEXT) | instid1(VALU_DEP_2)
	v_dual_lshlrev_b32 v3, 24, v3 :: v_dual_bitop2_b32 v2, 3, v2 bitop3:0x40
	v_cndmask_b32_e32 v5, v8, v5, vcc_lo
	s_delay_alu instid0(VALU_DEP_2) | instskip(NEXT) | instid1(VALU_DEP_3)
	v_cndmask_b32_e32 v2, v4, v2, vcc_lo
	v_and_b32_e32 v3, 0x80000000, v3
	s_delay_alu instid0(VALU_DEP_3) | instskip(NEXT) | instid1(VALU_DEP_3)
	v_lshl_add_u32 v4, v5, 23, 0x37800000
	v_lshlrev_b32_e32 v2, 21, v2
	s_delay_alu instid0(VALU_DEP_1) | instskip(NEXT) | instid1(VALU_DEP_1)
	v_or3_b32 v2, v3, v4, v2
	v_cvt_i32_f32_e32 v2, v2
.LBB54_467:
	s_or_b32 exec_lo, exec_lo, s25
	s_mov_b32 s25, 0
	s_branch .LBB54_473
.LBB54_468:
	s_mov_b32 s26, -1
                                        ; implicit-def: $vgpr2
	s_branch .LBB54_479
.LBB54_469:
	s_and_not1_saveexec_b32 s25, s25
	s_cbranch_execz .LBB54_454
.LBB54_470:
	v_cmp_ne_u16_e32 vcc_lo, 0, v3
	s_and_not1_b32 s26, s26, exec_lo
	s_and_b32 s28, vcc_lo, exec_lo
	s_delay_alu instid0(SALU_CYCLE_1)
	s_or_b32 s26, s26, s28
	s_or_b32 exec_lo, exec_lo, s25
	v_mov_b32_e32 v2, 0
	s_and_saveexec_b32 s25, s26
	s_cbranch_execnz .LBB54_455
	s_branch .LBB54_456
.LBB54_471:
	s_mov_b32 s25, -1
                                        ; implicit-def: $vgpr2
	s_branch .LBB54_476
.LBB54_472:
	s_mov_b32 s25, -1
                                        ; implicit-def: $vgpr2
.LBB54_473:
	s_delay_alu instid0(SALU_CYCLE_1)
	s_and_b32 vcc_lo, exec_lo, s25
	s_cbranch_vccz .LBB54_475
; %bb.474:
	s_wait_loadcnt 0x0
	global_load_u8 v2, v[0:1], off
	s_wait_loadcnt 0x0
	v_lshlrev_b32_e32 v2, 24, v2
	s_delay_alu instid0(VALU_DEP_1) | instskip(NEXT) | instid1(VALU_DEP_1)
	v_and_b32_e32 v3, 0x7f000000, v2
	v_clz_i32_u32_e32 v4, v3
	v_add_nc_u32_e32 v7, 0x1000000, v3
	v_cmp_ne_u32_e32 vcc_lo, 0, v3
	s_delay_alu instid0(VALU_DEP_3) | instskip(NEXT) | instid1(VALU_DEP_1)
	v_min_u32_e32 v4, 32, v4
	v_sub_nc_u32_e64 v4, v4, 4 clamp
	s_delay_alu instid0(VALU_DEP_1) | instskip(NEXT) | instid1(VALU_DEP_1)
	v_dual_lshlrev_b32 v5, v4, v3 :: v_dual_lshlrev_b32 v4, 23, v4
	v_lshrrev_b32_e32 v5, 4, v5
	s_delay_alu instid0(VALU_DEP_1) | instskip(NEXT) | instid1(VALU_DEP_1)
	v_dual_sub_nc_u32 v4, v5, v4 :: v_dual_ashrrev_i32 v5, 8, v7
	v_add_nc_u32_e32 v4, 0x3c000000, v4
	s_delay_alu instid0(VALU_DEP_1) | instskip(NEXT) | instid1(VALU_DEP_1)
	v_and_or_b32 v4, 0x7f800000, v5, v4
	v_cndmask_b32_e32 v3, 0, v4, vcc_lo
	s_delay_alu instid0(VALU_DEP_1) | instskip(NEXT) | instid1(VALU_DEP_1)
	v_and_or_b32 v2, 0x80000000, v2, v3
	v_cvt_i32_f32_e32 v2, v2
.LBB54_475:
	s_mov_b32 s25, 0
.LBB54_476:
	s_delay_alu instid0(SALU_CYCLE_1)
	s_and_not1_b32 vcc_lo, exec_lo, s25
	s_cbranch_vccnz .LBB54_478
; %bb.477:
	s_wait_loadcnt 0x0
	global_load_u8 v2, v[0:1], off
	s_wait_loadcnt 0x0
	v_lshlrev_b32_e32 v3, 25, v2
	v_lshlrev_b16 v2, 8, v2
	s_delay_alu instid0(VALU_DEP_1) | instskip(SKIP_1) | instid1(VALU_DEP_2)
	v_and_or_b32 v5, 0x7f00, v2, 0.5
	v_bfe_i32 v2, v2, 0, 16
	v_dual_add_f32 v5, -0.5, v5 :: v_dual_lshrrev_b32 v4, 4, v3
	v_cmp_gt_u32_e32 vcc_lo, 0x8000000, v3
	s_delay_alu instid0(VALU_DEP_2) | instskip(NEXT) | instid1(VALU_DEP_1)
	v_or_b32_e32 v4, 0x70000000, v4
	v_mul_f32_e32 v4, 0x7800000, v4
	s_delay_alu instid0(VALU_DEP_1) | instskip(NEXT) | instid1(VALU_DEP_1)
	v_cndmask_b32_e32 v3, v4, v5, vcc_lo
	v_and_or_b32 v2, 0x80000000, v2, v3
	s_delay_alu instid0(VALU_DEP_1)
	v_cvt_i32_f32_e32 v2, v2
.LBB54_478:
	s_mov_b32 s26, 0
	s_mov_b32 s25, -1
.LBB54_479:
	s_and_not1_b32 vcc_lo, exec_lo, s26
	s_cbranch_vccnz .LBB54_492
; %bb.480:
	s_cmp_gt_i32 s24, 14
	s_cbranch_scc0 .LBB54_483
; %bb.481:
	s_cmp_eq_u32 s24, 15
	s_cbranch_scc0 .LBB54_486
; %bb.482:
	s_wait_loadcnt 0x0
	global_load_u16 v2, v[0:1], off
	s_mov_b32 s25, -1
	s_mov_b32 s23, 0
	s_wait_loadcnt 0x0
	v_lshlrev_b32_e32 v2, 16, v2
	s_delay_alu instid0(VALU_DEP_1)
	v_cvt_i32_f32_e32 v2, v2
	s_branch .LBB54_487
.LBB54_483:
	s_mov_b32 s26, -1
                                        ; implicit-def: $vgpr2
	s_branch .LBB54_488
.LBB54_484:
	s_and_not1_saveexec_b32 s25, s25
	s_cbranch_execz .LBB54_465
.LBB54_485:
	v_cmp_ne_u16_e32 vcc_lo, 0, v3
	s_and_not1_b32 s26, s26, exec_lo
	s_and_b32 s28, vcc_lo, exec_lo
	s_delay_alu instid0(SALU_CYCLE_1)
	s_or_b32 s26, s26, s28
	s_or_b32 exec_lo, exec_lo, s25
	v_mov_b32_e32 v2, 0
	s_and_saveexec_b32 s25, s26
	s_cbranch_execnz .LBB54_466
	s_branch .LBB54_467
.LBB54_486:
	s_mov_b32 s23, -1
                                        ; implicit-def: $vgpr2
.LBB54_487:
	s_mov_b32 s26, 0
.LBB54_488:
	s_delay_alu instid0(SALU_CYCLE_1)
	s_and_b32 vcc_lo, exec_lo, s26
	s_cbranch_vccz .LBB54_492
; %bb.489:
	s_cmp_eq_u32 s24, 11
	s_cbranch_scc0 .LBB54_491
; %bb.490:
	s_wait_loadcnt 0x0
	global_load_u8 v2, v[0:1], off
	s_mov_b32 s23, 0
	s_mov_b32 s25, -1
	s_wait_loadcnt 0x0
	v_cmp_ne_u16_e32 vcc_lo, 0, v2
	v_cndmask_b32_e64 v2, 0, 1, vcc_lo
	s_branch .LBB54_492
.LBB54_491:
	s_mov_b32 s23, -1
                                        ; implicit-def: $vgpr2
.LBB54_492:
	s_mov_b32 s24, 0
.LBB54_493:
	s_delay_alu instid0(SALU_CYCLE_1)
	s_and_b32 vcc_lo, exec_lo, s24
	s_cbranch_vccz .LBB54_542
; %bb.494:
	s_and_b32 s0, 0xffff, s0
	s_delay_alu instid0(SALU_CYCLE_1)
	s_cmp_lt_i32 s0, 5
	s_cbranch_scc1 .LBB54_499
; %bb.495:
	s_cmp_lt_i32 s0, 8
	s_cbranch_scc1 .LBB54_500
; %bb.496:
	;; [unrolled: 3-line block ×3, first 2 shown]
	s_cmp_gt_i32 s0, 9
	s_cbranch_scc0 .LBB54_502
; %bb.498:
	s_wait_loadcnt 0x0
	global_load_b64 v[2:3], v[0:1], off
	s_mov_b32 s24, 0
	s_wait_loadcnt 0x0
	v_cvt_i32_f64_e32 v2, v[2:3]
	s_branch .LBB54_503
.LBB54_499:
	s_mov_b32 s24, -1
                                        ; implicit-def: $vgpr2
	s_branch .LBB54_521
.LBB54_500:
	s_mov_b32 s24, -1
                                        ; implicit-def: $vgpr2
	s_branch .LBB54_509
.LBB54_501:
	s_mov_b32 s24, -1
                                        ; implicit-def: $vgpr2
	s_branch .LBB54_506
.LBB54_502:
	s_mov_b32 s24, -1
                                        ; implicit-def: $vgpr2
.LBB54_503:
	s_delay_alu instid0(SALU_CYCLE_1)
	s_and_not1_b32 vcc_lo, exec_lo, s24
	s_cbranch_vccnz .LBB54_505
; %bb.504:
	s_wait_loadcnt 0x0
	global_load_b32 v2, v[0:1], off
	s_wait_loadcnt 0x0
	v_cvt_i32_f32_e32 v2, v2
.LBB54_505:
	s_mov_b32 s24, 0
.LBB54_506:
	s_delay_alu instid0(SALU_CYCLE_1)
	s_and_not1_b32 vcc_lo, exec_lo, s24
	s_cbranch_vccnz .LBB54_508
; %bb.507:
	s_wait_loadcnt 0x0
	global_load_b32 v2, v[0:1], off
	s_wait_loadcnt 0x0
	v_cvt_f32_f16_e32 v2, v2
	s_delay_alu instid0(VALU_DEP_1)
	v_cvt_i32_f32_e32 v2, v2
.LBB54_508:
	s_mov_b32 s24, 0
.LBB54_509:
	s_delay_alu instid0(SALU_CYCLE_1)
	s_and_not1_b32 vcc_lo, exec_lo, s24
	s_cbranch_vccnz .LBB54_520
; %bb.510:
	s_cmp_lt_i32 s0, 6
	s_cbranch_scc1 .LBB54_513
; %bb.511:
	s_cmp_gt_i32 s0, 6
	s_cbranch_scc0 .LBB54_514
; %bb.512:
	s_wait_loadcnt 0x0
	global_load_b64 v[2:3], v[0:1], off
	s_mov_b32 s24, 0
	s_wait_loadcnt 0x0
	v_cvt_i32_f64_e32 v2, v[2:3]
	s_branch .LBB54_515
.LBB54_513:
	s_mov_b32 s24, -1
                                        ; implicit-def: $vgpr2
	s_branch .LBB54_518
.LBB54_514:
	s_mov_b32 s24, -1
                                        ; implicit-def: $vgpr2
.LBB54_515:
	s_delay_alu instid0(SALU_CYCLE_1)
	s_and_not1_b32 vcc_lo, exec_lo, s24
	s_cbranch_vccnz .LBB54_517
; %bb.516:
	s_wait_loadcnt 0x0
	global_load_b32 v2, v[0:1], off
	s_wait_loadcnt 0x0
	v_cvt_i32_f32_e32 v2, v2
.LBB54_517:
	s_mov_b32 s24, 0
.LBB54_518:
	s_delay_alu instid0(SALU_CYCLE_1)
	s_and_not1_b32 vcc_lo, exec_lo, s24
	s_cbranch_vccnz .LBB54_520
; %bb.519:
	s_wait_loadcnt 0x0
	global_load_u16 v2, v[0:1], off
	s_wait_loadcnt 0x0
	v_cvt_f32_f16_e32 v2, v2
	s_delay_alu instid0(VALU_DEP_1)
	v_cvt_i32_f32_e32 v2, v2
.LBB54_520:
	s_mov_b32 s24, 0
.LBB54_521:
	s_delay_alu instid0(SALU_CYCLE_1)
	s_and_not1_b32 vcc_lo, exec_lo, s24
	s_cbranch_vccnz .LBB54_541
; %bb.522:
	s_cmp_lt_i32 s0, 2
	s_cbranch_scc1 .LBB54_526
; %bb.523:
	s_cmp_lt_i32 s0, 3
	s_cbranch_scc1 .LBB54_527
; %bb.524:
	s_cmp_gt_i32 s0, 3
	s_cbranch_scc0 .LBB54_528
; %bb.525:
	s_wait_loadcnt 0x0
	global_load_b32 v2, v[0:1], off
	s_mov_b32 s24, 0
	s_branch .LBB54_529
.LBB54_526:
	s_mov_b32 s24, -1
                                        ; implicit-def: $vgpr2
	s_branch .LBB54_535
.LBB54_527:
	s_mov_b32 s24, -1
                                        ; implicit-def: $vgpr2
	s_branch .LBB54_532
.LBB54_528:
	s_mov_b32 s24, -1
                                        ; implicit-def: $vgpr2
.LBB54_529:
	s_delay_alu instid0(SALU_CYCLE_1)
	s_and_not1_b32 vcc_lo, exec_lo, s24
	s_cbranch_vccnz .LBB54_531
; %bb.530:
	s_wait_loadcnt 0x0
	global_load_b32 v2, v[0:1], off
.LBB54_531:
	s_mov_b32 s24, 0
.LBB54_532:
	s_delay_alu instid0(SALU_CYCLE_1)
	s_and_not1_b32 vcc_lo, exec_lo, s24
	s_cbranch_vccnz .LBB54_534
; %bb.533:
	s_wait_loadcnt 0x0
	global_load_i16 v2, v[0:1], off
.LBB54_534:
	s_mov_b32 s24, 0
.LBB54_535:
	s_delay_alu instid0(SALU_CYCLE_1)
	s_and_not1_b32 vcc_lo, exec_lo, s24
	s_cbranch_vccnz .LBB54_541
; %bb.536:
	s_cmp_gt_i32 s0, 0
	s_mov_b32 s0, 0
	s_cbranch_scc0 .LBB54_538
; %bb.537:
	s_wait_loadcnt 0x0
	global_load_i8 v2, v[0:1], off
	s_branch .LBB54_539
.LBB54_538:
	s_mov_b32 s0, -1
                                        ; implicit-def: $vgpr2
.LBB54_539:
	s_delay_alu instid0(SALU_CYCLE_1)
	s_and_not1_b32 vcc_lo, exec_lo, s0
	s_cbranch_vccnz .LBB54_541
; %bb.540:
	s_wait_loadcnt 0x0
	global_load_u8 v2, v[0:1], off
.LBB54_541:
	s_mov_b32 s25, -1
.LBB54_542:
	s_mov_b32 s26, 0
	s_mov_b32 s0, s17
	s_and_not1_b32 vcc_lo, exec_lo, s25
	s_mov_b32 s24, s19
	s_mov_b32 s28, 0
	s_cbranch_vccnz .LBB54_793
; %bb.543:
	s_wait_xcnt 0x0
	v_mul_lo_u32 v0, v6, s5
	s_and_b32 s0, 0xffff, s1
	s_delay_alu instid0(SALU_CYCLE_1) | instskip(NEXT) | instid1(VALU_DEP_1)
	s_cmp_lt_i32 s0, 11
	v_ashrrev_i32_e32 v1, 31, v0
	s_delay_alu instid0(VALU_DEP_1)
	v_add_nc_u64_e32 v[0:1], s[10:11], v[0:1]
	s_cbranch_scc1 .LBB54_550
; %bb.544:
	s_cmp_gt_i32 s0, 25
	s_cbranch_scc0 .LBB54_551
; %bb.545:
	s_cmp_gt_i32 s0, 28
	s_cbranch_scc0 .LBB54_552
	;; [unrolled: 3-line block ×4, first 2 shown]
; %bb.548:
	s_cmp_eq_u32 s0, 46
	s_cbranch_scc0 .LBB54_557
; %bb.549:
	s_wait_loadcnt 0x0
	global_load_b32 v3, v[0:1], off
	s_mov_b32 s25, -1
	s_mov_b32 s24, 0
	s_wait_loadcnt 0x0
	v_lshlrev_b32_e32 v3, 16, v3
	s_delay_alu instid0(VALU_DEP_1)
	v_cvt_i32_f32_e32 v3, v3
	s_branch .LBB54_559
.LBB54_550:
	s_mov_b32 s28, -1
	s_mov_b32 s25, 0
	s_mov_b32 s24, s19
                                        ; implicit-def: $vgpr3
	s_branch .LBB54_620
.LBB54_551:
	s_mov_b32 s28, -1
	s_mov_b32 s25, 0
	s_mov_b32 s24, s19
                                        ; implicit-def: $vgpr3
	s_branch .LBB54_586
.LBB54_552:
	s_mov_b32 s28, -1
	s_mov_b32 s25, 0
	s_mov_b32 s24, s19
                                        ; implicit-def: $vgpr3
	s_branch .LBB54_569
.LBB54_553:
	s_mov_b32 s28, -1
	s_mov_b32 s25, 0
	s_mov_b32 s24, s19
                                        ; implicit-def: $vgpr3
	s_branch .LBB54_564
.LBB54_554:
	s_mov_b32 s28, -1
	s_mov_b32 s25, 0
	s_mov_b32 s24, s19
	s_branch .LBB54_558
.LBB54_555:
	s_and_not1_saveexec_b32 s27, s27
	s_cbranch_execz .LBB54_317
.LBB54_556:
	v_add_f32_e64 v4, 0x42800000, |v1|
	s_and_not1_b32 s26, s26, exec_lo
	s_delay_alu instid0(VALU_DEP_1) | instskip(NEXT) | instid1(VALU_DEP_1)
	v_and_b32_e32 v4, 0xff, v4
	v_cmp_ne_u32_e32 vcc_lo, 0, v4
	s_and_b32 s28, vcc_lo, exec_lo
	s_delay_alu instid0(SALU_CYCLE_1)
	s_or_b32 s26, s26, s28
	s_or_b32 exec_lo, exec_lo, s27
	v_mov_b32_e32 v5, 0
	s_and_saveexec_b32 s27, s26
	s_cbranch_execnz .LBB54_318
	s_branch .LBB54_319
.LBB54_557:
	s_mov_b32 s24, -1
	s_mov_b32 s25, 0
.LBB54_558:
                                        ; implicit-def: $vgpr3
.LBB54_559:
	s_and_b32 vcc_lo, exec_lo, s28
	s_cbranch_vccz .LBB54_563
; %bb.560:
	s_cmp_eq_u32 s0, 44
	s_cbranch_scc0 .LBB54_562
; %bb.561:
	s_wait_loadcnt 0x0
	global_load_u8 v3, v[0:1], off
	s_mov_b32 s24, 0
	s_mov_b32 s25, -1
	s_wait_loadcnt 0x0
	v_lshlrev_b32_e32 v4, 23, v3
	v_cmp_ne_u32_e32 vcc_lo, 0, v3
	s_delay_alu instid0(VALU_DEP_2) | instskip(NEXT) | instid1(VALU_DEP_1)
	v_cvt_i32_f32_e32 v4, v4
	v_cndmask_b32_e32 v3, 0, v4, vcc_lo
	s_branch .LBB54_563
.LBB54_562:
	s_mov_b32 s24, -1
                                        ; implicit-def: $vgpr3
.LBB54_563:
	s_mov_b32 s28, 0
.LBB54_564:
	s_delay_alu instid0(SALU_CYCLE_1)
	s_and_b32 vcc_lo, exec_lo, s28
	s_cbranch_vccz .LBB54_568
; %bb.565:
	s_cmp_eq_u32 s0, 29
	s_cbranch_scc0 .LBB54_567
; %bb.566:
	s_wait_loadcnt 0x0
	global_load_b32 v3, v[0:1], off
	s_mov_b32 s25, -1
	s_mov_b32 s24, 0
	s_branch .LBB54_568
.LBB54_567:
	s_mov_b32 s24, -1
                                        ; implicit-def: $vgpr3
.LBB54_568:
	s_mov_b32 s28, 0
.LBB54_569:
	s_delay_alu instid0(SALU_CYCLE_1)
	s_and_b32 vcc_lo, exec_lo, s28
	s_cbranch_vccz .LBB54_585
; %bb.570:
	s_cmp_lt_i32 s0, 27
	s_cbranch_scc1 .LBB54_573
; %bb.571:
	s_cmp_gt_i32 s0, 27
	s_cbranch_scc0 .LBB54_574
; %bb.572:
	s_wait_loadcnt 0x0
	global_load_b32 v3, v[0:1], off
	s_mov_b32 s25, 0
	s_branch .LBB54_575
.LBB54_573:
	s_mov_b32 s25, -1
                                        ; implicit-def: $vgpr3
	s_branch .LBB54_578
.LBB54_574:
	s_mov_b32 s25, -1
                                        ; implicit-def: $vgpr3
.LBB54_575:
	s_delay_alu instid0(SALU_CYCLE_1)
	s_and_not1_b32 vcc_lo, exec_lo, s25
	s_cbranch_vccnz .LBB54_577
; %bb.576:
	s_wait_loadcnt 0x0
	global_load_u16 v3, v[0:1], off
.LBB54_577:
	s_mov_b32 s25, 0
.LBB54_578:
	s_delay_alu instid0(SALU_CYCLE_1)
	s_and_not1_b32 vcc_lo, exec_lo, s25
	s_cbranch_vccnz .LBB54_584
; %bb.579:
	global_load_u8 v4, v[0:1], off
	s_mov_b32 s28, 0
	s_mov_b32 s25, exec_lo
	s_wait_loadcnt 0x0
	v_cmpx_lt_i16_e32 0x7f, v4
	s_xor_b32 s25, exec_lo, s25
	s_cbranch_execz .LBB54_596
; %bb.580:
	v_cmp_ne_u16_e32 vcc_lo, 0x80, v4
	s_and_b32 s28, vcc_lo, exec_lo
	s_and_not1_saveexec_b32 s25, s25
	s_cbranch_execnz .LBB54_597
.LBB54_581:
	s_or_b32 exec_lo, exec_lo, s25
	v_mov_b32_e32 v3, 0
	s_and_saveexec_b32 s25, s28
	s_cbranch_execz .LBB54_583
.LBB54_582:
	v_and_b32_e32 v3, 0xffff, v4
	s_delay_alu instid0(VALU_DEP_1) | instskip(SKIP_1) | instid1(VALU_DEP_2)
	v_dual_lshlrev_b32 v4, 24, v4 :: v_dual_bitop2_b32 v5, 7, v3 bitop3:0x40
	v_bfe_u32 v9, v3, 3, 4
	v_and_b32_e32 v4, 0x80000000, v4
	s_delay_alu instid0(VALU_DEP_3) | instskip(NEXT) | instid1(VALU_DEP_3)
	v_clz_i32_u32_e32 v7, v5
	v_cmp_eq_u32_e32 vcc_lo, 0, v9
	s_delay_alu instid0(VALU_DEP_2) | instskip(NEXT) | instid1(VALU_DEP_1)
	v_min_u32_e32 v7, 32, v7
	v_subrev_nc_u32_e32 v8, 28, v7
	v_sub_nc_u32_e32 v7, 29, v7
	s_delay_alu instid0(VALU_DEP_2) | instskip(NEXT) | instid1(VALU_DEP_2)
	v_lshlrev_b32_e32 v3, v8, v3
	v_cndmask_b32_e32 v7, v9, v7, vcc_lo
	s_delay_alu instid0(VALU_DEP_2) | instskip(NEXT) | instid1(VALU_DEP_1)
	v_and_b32_e32 v3, 7, v3
	v_cndmask_b32_e32 v3, v5, v3, vcc_lo
	s_delay_alu instid0(VALU_DEP_3) | instskip(NEXT) | instid1(VALU_DEP_2)
	v_lshl_add_u32 v5, v7, 23, 0x3b800000
	v_lshlrev_b32_e32 v3, 20, v3
	s_delay_alu instid0(VALU_DEP_1) | instskip(NEXT) | instid1(VALU_DEP_1)
	v_or3_b32 v3, v4, v5, v3
	v_cvt_i32_f32_e32 v3, v3
.LBB54_583:
	s_or_b32 exec_lo, exec_lo, s25
.LBB54_584:
	s_mov_b32 s25, -1
.LBB54_585:
	s_mov_b32 s28, 0
.LBB54_586:
	s_delay_alu instid0(SALU_CYCLE_1)
	s_and_b32 vcc_lo, exec_lo, s28
	s_cbranch_vccz .LBB54_619
; %bb.587:
	s_cmp_gt_i32 s0, 22
	s_cbranch_scc0 .LBB54_595
; %bb.588:
	s_cmp_lt_i32 s0, 24
	s_cbranch_scc1 .LBB54_598
; %bb.589:
	s_cmp_gt_i32 s0, 24
	s_cbranch_scc0 .LBB54_599
; %bb.590:
	global_load_u8 v4, v[0:1], off
	s_mov_b32 s28, 0
	s_mov_b32 s25, exec_lo
	s_wait_loadcnt 0x0
	v_cmpx_lt_i16_e32 0x7f, v4
	s_xor_b32 s25, exec_lo, s25
	s_cbranch_execz .LBB54_611
; %bb.591:
	v_cmp_ne_u16_e32 vcc_lo, 0x80, v4
	s_and_b32 s28, vcc_lo, exec_lo
	s_and_not1_saveexec_b32 s25, s25
	s_cbranch_execnz .LBB54_612
.LBB54_592:
	s_or_b32 exec_lo, exec_lo, s25
	v_mov_b32_e32 v3, 0
	s_and_saveexec_b32 s25, s28
	s_cbranch_execz .LBB54_594
.LBB54_593:
	v_and_b32_e32 v3, 0xffff, v4
	s_delay_alu instid0(VALU_DEP_1) | instskip(SKIP_1) | instid1(VALU_DEP_2)
	v_dual_lshlrev_b32 v4, 24, v4 :: v_dual_bitop2_b32 v5, 3, v3 bitop3:0x40
	v_bfe_u32 v9, v3, 2, 5
	v_and_b32_e32 v4, 0x80000000, v4
	s_delay_alu instid0(VALU_DEP_3) | instskip(NEXT) | instid1(VALU_DEP_3)
	v_clz_i32_u32_e32 v7, v5
	v_cmp_eq_u32_e32 vcc_lo, 0, v9
	s_delay_alu instid0(VALU_DEP_2) | instskip(NEXT) | instid1(VALU_DEP_1)
	v_min_u32_e32 v7, 32, v7
	v_subrev_nc_u32_e32 v8, 29, v7
	v_sub_nc_u32_e32 v7, 30, v7
	s_delay_alu instid0(VALU_DEP_2) | instskip(NEXT) | instid1(VALU_DEP_2)
	v_lshlrev_b32_e32 v3, v8, v3
	v_cndmask_b32_e32 v7, v9, v7, vcc_lo
	s_delay_alu instid0(VALU_DEP_2) | instskip(NEXT) | instid1(VALU_DEP_1)
	v_and_b32_e32 v3, 3, v3
	v_cndmask_b32_e32 v3, v5, v3, vcc_lo
	s_delay_alu instid0(VALU_DEP_3) | instskip(NEXT) | instid1(VALU_DEP_2)
	v_lshl_add_u32 v5, v7, 23, 0x37800000
	v_lshlrev_b32_e32 v3, 21, v3
	s_delay_alu instid0(VALU_DEP_1) | instskip(NEXT) | instid1(VALU_DEP_1)
	v_or3_b32 v3, v4, v5, v3
	v_cvt_i32_f32_e32 v3, v3
.LBB54_594:
	s_or_b32 exec_lo, exec_lo, s25
	s_mov_b32 s25, 0
	s_branch .LBB54_600
.LBB54_595:
	s_mov_b32 s28, -1
                                        ; implicit-def: $vgpr3
	s_branch .LBB54_606
.LBB54_596:
	s_and_not1_saveexec_b32 s25, s25
	s_cbranch_execz .LBB54_581
.LBB54_597:
	v_cmp_ne_u16_e32 vcc_lo, 0, v4
	s_and_not1_b32 s28, s28, exec_lo
	s_and_b32 s29, vcc_lo, exec_lo
	s_delay_alu instid0(SALU_CYCLE_1)
	s_or_b32 s28, s28, s29
	s_or_b32 exec_lo, exec_lo, s25
	v_mov_b32_e32 v3, 0
	s_and_saveexec_b32 s25, s28
	s_cbranch_execnz .LBB54_582
	s_branch .LBB54_583
.LBB54_598:
	s_mov_b32 s25, -1
                                        ; implicit-def: $vgpr3
	s_branch .LBB54_603
.LBB54_599:
	s_mov_b32 s25, -1
                                        ; implicit-def: $vgpr3
.LBB54_600:
	s_delay_alu instid0(SALU_CYCLE_1)
	s_and_b32 vcc_lo, exec_lo, s25
	s_cbranch_vccz .LBB54_602
; %bb.601:
	s_wait_loadcnt 0x0
	global_load_u8 v3, v[0:1], off
	s_wait_loadcnt 0x0
	v_lshlrev_b32_e32 v3, 24, v3
	s_delay_alu instid0(VALU_DEP_1) | instskip(NEXT) | instid1(VALU_DEP_1)
	v_and_b32_e32 v4, 0x7f000000, v3
	v_clz_i32_u32_e32 v5, v4
	v_add_nc_u32_e32 v8, 0x1000000, v4
	v_cmp_ne_u32_e32 vcc_lo, 0, v4
	s_delay_alu instid0(VALU_DEP_3) | instskip(NEXT) | instid1(VALU_DEP_1)
	v_min_u32_e32 v5, 32, v5
	v_sub_nc_u32_e64 v5, v5, 4 clamp
	s_delay_alu instid0(VALU_DEP_1) | instskip(NEXT) | instid1(VALU_DEP_1)
	v_dual_lshlrev_b32 v7, v5, v4 :: v_dual_lshlrev_b32 v5, 23, v5
	v_lshrrev_b32_e32 v7, 4, v7
	s_delay_alu instid0(VALU_DEP_1) | instskip(NEXT) | instid1(VALU_DEP_1)
	v_dual_sub_nc_u32 v5, v7, v5 :: v_dual_ashrrev_i32 v7, 8, v8
	v_add_nc_u32_e32 v5, 0x3c000000, v5
	s_delay_alu instid0(VALU_DEP_1) | instskip(NEXT) | instid1(VALU_DEP_1)
	v_and_or_b32 v5, 0x7f800000, v7, v5
	v_cndmask_b32_e32 v4, 0, v5, vcc_lo
	s_delay_alu instid0(VALU_DEP_1) | instskip(NEXT) | instid1(VALU_DEP_1)
	v_and_or_b32 v3, 0x80000000, v3, v4
	v_cvt_i32_f32_e32 v3, v3
.LBB54_602:
	s_mov_b32 s25, 0
.LBB54_603:
	s_delay_alu instid0(SALU_CYCLE_1)
	s_and_not1_b32 vcc_lo, exec_lo, s25
	s_cbranch_vccnz .LBB54_605
; %bb.604:
	s_wait_loadcnt 0x0
	global_load_u8 v3, v[0:1], off
	s_wait_loadcnt 0x0
	v_lshlrev_b32_e32 v4, 25, v3
	v_lshlrev_b16 v3, 8, v3
	s_delay_alu instid0(VALU_DEP_1) | instskip(NEXT) | instid1(VALU_DEP_3)
	v_and_or_b32 v7, 0x7f00, v3, 0.5
	v_lshrrev_b32_e32 v5, 4, v4
	v_bfe_i32 v3, v3, 0, 16
	s_delay_alu instid0(VALU_DEP_3) | instskip(NEXT) | instid1(VALU_DEP_3)
	v_add_f32_e32 v7, -0.5, v7
	v_or_b32_e32 v5, 0x70000000, v5
	s_delay_alu instid0(VALU_DEP_1) | instskip(SKIP_1) | instid1(VALU_DEP_2)
	v_mul_f32_e32 v5, 0x7800000, v5
	v_cmp_gt_u32_e32 vcc_lo, 0x8000000, v4
	v_cndmask_b32_e32 v4, v5, v7, vcc_lo
	s_delay_alu instid0(VALU_DEP_1) | instskip(NEXT) | instid1(VALU_DEP_1)
	v_and_or_b32 v3, 0x80000000, v3, v4
	v_cvt_i32_f32_e32 v3, v3
.LBB54_605:
	s_mov_b32 s28, 0
	s_mov_b32 s25, -1
.LBB54_606:
	s_and_not1_b32 vcc_lo, exec_lo, s28
	s_cbranch_vccnz .LBB54_619
; %bb.607:
	s_cmp_gt_i32 s0, 14
	s_cbranch_scc0 .LBB54_610
; %bb.608:
	s_cmp_eq_u32 s0, 15
	s_cbranch_scc0 .LBB54_613
; %bb.609:
	s_wait_loadcnt 0x0
	global_load_u16 v3, v[0:1], off
	s_mov_b32 s25, -1
	s_mov_b32 s24, 0
	s_wait_loadcnt 0x0
	v_lshlrev_b32_e32 v3, 16, v3
	s_delay_alu instid0(VALU_DEP_1)
	v_cvt_i32_f32_e32 v3, v3
	s_branch .LBB54_614
.LBB54_610:
	s_mov_b32 s28, -1
                                        ; implicit-def: $vgpr3
	s_branch .LBB54_615
.LBB54_611:
	s_and_not1_saveexec_b32 s25, s25
	s_cbranch_execz .LBB54_592
.LBB54_612:
	v_cmp_ne_u16_e32 vcc_lo, 0, v4
	s_and_not1_b32 s28, s28, exec_lo
	s_and_b32 s29, vcc_lo, exec_lo
	s_delay_alu instid0(SALU_CYCLE_1)
	s_or_b32 s28, s28, s29
	s_or_b32 exec_lo, exec_lo, s25
	v_mov_b32_e32 v3, 0
	s_and_saveexec_b32 s25, s28
	s_cbranch_execnz .LBB54_593
	s_branch .LBB54_594
.LBB54_613:
	s_mov_b32 s24, -1
                                        ; implicit-def: $vgpr3
.LBB54_614:
	s_mov_b32 s28, 0
.LBB54_615:
	s_delay_alu instid0(SALU_CYCLE_1)
	s_and_b32 vcc_lo, exec_lo, s28
	s_cbranch_vccz .LBB54_619
; %bb.616:
	s_cmp_eq_u32 s0, 11
	s_cbranch_scc0 .LBB54_618
; %bb.617:
	s_wait_loadcnt 0x0
	global_load_u8 v3, v[0:1], off
	s_mov_b32 s24, 0
	s_mov_b32 s25, -1
	s_wait_loadcnt 0x0
	v_cmp_ne_u16_e32 vcc_lo, 0, v3
	v_cndmask_b32_e64 v3, 0, 1, vcc_lo
	s_branch .LBB54_619
.LBB54_618:
	s_mov_b32 s24, -1
                                        ; implicit-def: $vgpr3
.LBB54_619:
	s_mov_b32 s28, 0
.LBB54_620:
	s_delay_alu instid0(SALU_CYCLE_1)
	s_and_b32 vcc_lo, exec_lo, s28
	s_cbranch_vccz .LBB54_669
; %bb.621:
	s_cmp_lt_i32 s0, 5
	s_cbranch_scc1 .LBB54_626
; %bb.622:
	s_cmp_lt_i32 s0, 8
	s_cbranch_scc1 .LBB54_627
	;; [unrolled: 3-line block ×3, first 2 shown]
; %bb.624:
	s_cmp_gt_i32 s0, 9
	s_cbranch_scc0 .LBB54_629
; %bb.625:
	global_load_b64 v[4:5], v[0:1], off
	s_mov_b32 s25, 0
	s_wait_loadcnt 0x0
	v_cvt_i32_f64_e32 v3, v[4:5]
	s_branch .LBB54_630
.LBB54_626:
	s_mov_b32 s25, -1
                                        ; implicit-def: $vgpr3
	s_branch .LBB54_648
.LBB54_627:
	s_mov_b32 s25, -1
                                        ; implicit-def: $vgpr3
	s_branch .LBB54_636
.LBB54_628:
	s_mov_b32 s25, -1
                                        ; implicit-def: $vgpr3
	s_branch .LBB54_633
.LBB54_629:
	s_mov_b32 s25, -1
                                        ; implicit-def: $vgpr3
.LBB54_630:
	s_delay_alu instid0(SALU_CYCLE_1)
	s_and_not1_b32 vcc_lo, exec_lo, s25
	s_cbranch_vccnz .LBB54_632
; %bb.631:
	s_wait_loadcnt 0x0
	global_load_b32 v3, v[0:1], off
	s_wait_loadcnt 0x0
	v_cvt_i32_f32_e32 v3, v3
.LBB54_632:
	s_mov_b32 s25, 0
.LBB54_633:
	s_delay_alu instid0(SALU_CYCLE_1)
	s_and_not1_b32 vcc_lo, exec_lo, s25
	s_cbranch_vccnz .LBB54_635
; %bb.634:
	s_wait_loadcnt 0x0
	global_load_b32 v3, v[0:1], off
	s_wait_loadcnt 0x0
	v_cvt_f32_f16_e32 v3, v3
	s_delay_alu instid0(VALU_DEP_1)
	v_cvt_i32_f32_e32 v3, v3
.LBB54_635:
	s_mov_b32 s25, 0
.LBB54_636:
	s_delay_alu instid0(SALU_CYCLE_1)
	s_and_not1_b32 vcc_lo, exec_lo, s25
	s_cbranch_vccnz .LBB54_647
; %bb.637:
	s_cmp_lt_i32 s0, 6
	s_cbranch_scc1 .LBB54_640
; %bb.638:
	s_cmp_gt_i32 s0, 6
	s_cbranch_scc0 .LBB54_641
; %bb.639:
	global_load_b64 v[4:5], v[0:1], off
	s_mov_b32 s25, 0
	s_wait_loadcnt 0x0
	v_cvt_i32_f64_e32 v3, v[4:5]
	s_branch .LBB54_642
.LBB54_640:
	s_mov_b32 s25, -1
                                        ; implicit-def: $vgpr3
	s_branch .LBB54_645
.LBB54_641:
	s_mov_b32 s25, -1
                                        ; implicit-def: $vgpr3
.LBB54_642:
	s_delay_alu instid0(SALU_CYCLE_1)
	s_and_not1_b32 vcc_lo, exec_lo, s25
	s_cbranch_vccnz .LBB54_644
; %bb.643:
	s_wait_loadcnt 0x0
	global_load_b32 v3, v[0:1], off
	s_wait_loadcnt 0x0
	v_cvt_i32_f32_e32 v3, v3
.LBB54_644:
	s_mov_b32 s25, 0
.LBB54_645:
	s_delay_alu instid0(SALU_CYCLE_1)
	s_and_not1_b32 vcc_lo, exec_lo, s25
	s_cbranch_vccnz .LBB54_647
; %bb.646:
	s_wait_loadcnt 0x0
	global_load_u16 v3, v[0:1], off
	s_wait_loadcnt 0x0
	v_cvt_f32_f16_e32 v3, v3
	s_delay_alu instid0(VALU_DEP_1)
	v_cvt_i32_f32_e32 v3, v3
.LBB54_647:
	s_mov_b32 s25, 0
.LBB54_648:
	s_delay_alu instid0(SALU_CYCLE_1)
	s_and_not1_b32 vcc_lo, exec_lo, s25
	s_cbranch_vccnz .LBB54_668
; %bb.649:
	s_cmp_lt_i32 s0, 2
	s_cbranch_scc1 .LBB54_653
; %bb.650:
	s_cmp_lt_i32 s0, 3
	s_cbranch_scc1 .LBB54_654
; %bb.651:
	s_cmp_gt_i32 s0, 3
	s_cbranch_scc0 .LBB54_655
; %bb.652:
	s_wait_loadcnt 0x0
	global_load_b32 v3, v[0:1], off
	s_mov_b32 s25, 0
	s_branch .LBB54_656
.LBB54_653:
	s_mov_b32 s25, -1
                                        ; implicit-def: $vgpr3
	s_branch .LBB54_662
.LBB54_654:
	s_mov_b32 s25, -1
                                        ; implicit-def: $vgpr3
	s_branch .LBB54_659
.LBB54_655:
	s_mov_b32 s25, -1
                                        ; implicit-def: $vgpr3
.LBB54_656:
	s_delay_alu instid0(SALU_CYCLE_1)
	s_and_not1_b32 vcc_lo, exec_lo, s25
	s_cbranch_vccnz .LBB54_658
; %bb.657:
	s_wait_loadcnt 0x0
	global_load_b32 v3, v[0:1], off
.LBB54_658:
	s_mov_b32 s25, 0
.LBB54_659:
	s_delay_alu instid0(SALU_CYCLE_1)
	s_and_not1_b32 vcc_lo, exec_lo, s25
	s_cbranch_vccnz .LBB54_661
; %bb.660:
	s_wait_loadcnt 0x0
	global_load_i16 v3, v[0:1], off
.LBB54_661:
	s_mov_b32 s25, 0
.LBB54_662:
	s_delay_alu instid0(SALU_CYCLE_1)
	s_and_not1_b32 vcc_lo, exec_lo, s25
	s_cbranch_vccnz .LBB54_668
; %bb.663:
	s_cmp_gt_i32 s0, 0
	s_mov_b32 s0, 0
	s_cbranch_scc0 .LBB54_665
; %bb.664:
	s_wait_loadcnt 0x0
	global_load_i8 v3, v[0:1], off
	s_branch .LBB54_666
.LBB54_665:
	s_mov_b32 s0, -1
                                        ; implicit-def: $vgpr3
.LBB54_666:
	s_delay_alu instid0(SALU_CYCLE_1)
	s_and_not1_b32 vcc_lo, exec_lo, s0
	s_cbranch_vccnz .LBB54_668
; %bb.667:
	s_wait_loadcnt 0x0
	global_load_u8 v3, v[0:1], off
.LBB54_668:
	s_mov_b32 s25, -1
.LBB54_669:
	s_delay_alu instid0(SALU_CYCLE_1)
	s_and_not1_b32 vcc_lo, exec_lo, s25
	s_cbranch_vccnz .LBB54_677
; %bb.670:
	v_mul_lo_u32 v4, v6, s12
	s_wait_loadcnt 0x0
	v_mul_lo_u32 v0, v2, s6
	s_and_b32 s25, s7, 0xff
	s_delay_alu instid0(SALU_CYCLE_1) | instskip(NEXT) | instid1(VALU_DEP_2)
	s_cmp_lt_i32 s25, 11
	v_ashrrev_i32_e32 v5, 31, v4
	s_delay_alu instid0(VALU_DEP_2) | instskip(NEXT) | instid1(VALU_DEP_2)
	v_mul_lo_u32 v0, v0, v3
	v_add_nc_u64_e32 v[2:3], s[2:3], v[4:5]
	s_cbranch_scc1 .LBB54_678
; %bb.671:
	s_and_b32 s28, 0xffff, s25
	s_delay_alu instid0(SALU_CYCLE_1)
	s_cmp_gt_i32 s28, 25
	s_cbranch_scc0 .LBB54_679
; %bb.672:
	s_cmp_gt_i32 s28, 28
	s_cbranch_scc0 .LBB54_680
; %bb.673:
	;; [unrolled: 3-line block ×4, first 2 shown]
	s_mov_b32 s30, 0
	s_mov_b32 s0, -1
	s_cmp_eq_u32 s28, 46
	s_mov_b32 s29, 0
	s_cbranch_scc0 .LBB54_683
; %bb.676:
	v_cvt_f32_i32_e32 v1, v0
	s_mov_b32 s29, -1
	s_mov_b32 s0, 0
	s_delay_alu instid0(VALU_DEP_1) | instskip(NEXT) | instid1(VALU_DEP_1)
	v_bfe_u32 v4, v1, 16, 1
	v_add3_u32 v1, v1, v4, 0x7fff
	s_delay_alu instid0(VALU_DEP_1)
	v_lshrrev_b32_e32 v1, 16, v1
	global_store_b32 v[2:3], v1, off
	s_branch .LBB54_683
.LBB54_677:
	s_mov_b32 s28, 0
	s_mov_b32 s0, s17
	s_branch .LBB54_422
.LBB54_678:
	s_mov_b32 s28, -1
	s_mov_b32 s29, 0
	s_mov_b32 s0, s17
	s_branch .LBB54_752
.LBB54_679:
	s_mov_b32 s30, -1
	s_mov_b32 s29, 0
	s_mov_b32 s0, s17
	s_branch .LBB54_710
.LBB54_680:
	s_mov_b32 s30, -1
	s_mov_b32 s29, 0
	s_mov_b32 s0, s17
	s_branch .LBB54_693
.LBB54_681:
	s_mov_b32 s30, -1
	s_mov_b32 s29, 0
	s_mov_b32 s0, s17
	s_branch .LBB54_689
.LBB54_682:
	s_mov_b32 s30, -1
	s_mov_b32 s29, 0
	s_mov_b32 s0, s17
.LBB54_683:
	s_and_b32 vcc_lo, exec_lo, s30
	s_cbranch_vccz .LBB54_688
; %bb.684:
	s_cmp_eq_u32 s28, 44
	s_mov_b32 s0, -1
	s_cbranch_scc0 .LBB54_688
; %bb.685:
	s_wait_xcnt 0x0
	v_cvt_f32_i32_e32 v1, v0
	v_mov_b32_e32 v4, 0xff
	s_mov_b32 s29, exec_lo
	s_delay_alu instid0(VALU_DEP_2) | instskip(NEXT) | instid1(VALU_DEP_1)
	v_bfe_u32 v5, v1, 23, 8
	v_cmpx_ne_u32_e32 0xff, v5
	s_cbranch_execz .LBB54_687
; %bb.686:
	v_and_b32_e32 v4, 0x400000, v1
	v_and_or_b32 v5, 0x3fffff, v1, v5
	v_lshrrev_b32_e32 v1, 23, v1
	s_delay_alu instid0(VALU_DEP_3) | instskip(NEXT) | instid1(VALU_DEP_3)
	v_cmp_ne_u32_e32 vcc_lo, 0, v4
	v_cmp_ne_u32_e64 s0, 0, v5
	s_and_b32 s0, vcc_lo, s0
	s_delay_alu instid0(SALU_CYCLE_1) | instskip(NEXT) | instid1(VALU_DEP_1)
	v_cndmask_b32_e64 v4, 0, 1, s0
	v_add_nc_u32_e32 v4, v1, v4
.LBB54_687:
	s_or_b32 exec_lo, exec_lo, s29
	s_mov_b32 s29, -1
	s_mov_b32 s0, 0
	global_store_b8 v[2:3], v4, off
.LBB54_688:
	s_mov_b32 s30, 0
.LBB54_689:
	s_delay_alu instid0(SALU_CYCLE_1)
	s_and_b32 vcc_lo, exec_lo, s30
	s_cbranch_vccz .LBB54_692
; %bb.690:
	s_cmp_eq_u32 s28, 29
	s_mov_b32 s0, -1
	s_cbranch_scc0 .LBB54_692
; %bb.691:
	s_wait_xcnt 0x0
	v_ashrrev_i32_e32 v1, 31, v0
	s_mov_b32 s29, -1
	s_mov_b32 s0, 0
	s_mov_b32 s30, 0
	global_store_b64 v[2:3], v[0:1], off
	s_branch .LBB54_693
.LBB54_692:
	s_mov_b32 s30, 0
.LBB54_693:
	s_delay_alu instid0(SALU_CYCLE_1)
	s_and_b32 vcc_lo, exec_lo, s30
	s_cbranch_vccz .LBB54_709
; %bb.694:
	s_cmp_lt_i32 s28, 27
	s_mov_b32 s29, -1
	s_cbranch_scc1 .LBB54_700
; %bb.695:
	s_cmp_gt_i32 s28, 27
	s_cbranch_scc0 .LBB54_697
; %bb.696:
	s_mov_b32 s29, 0
	global_store_b32 v[2:3], v0, off
.LBB54_697:
	s_and_not1_b32 vcc_lo, exec_lo, s29
	s_cbranch_vccnz .LBB54_699
; %bb.698:
	global_store_b16 v[2:3], v0, off
.LBB54_699:
	s_mov_b32 s29, 0
.LBB54_700:
	s_delay_alu instid0(SALU_CYCLE_1)
	s_and_not1_b32 vcc_lo, exec_lo, s29
	s_cbranch_vccnz .LBB54_708
; %bb.701:
	s_wait_xcnt 0x0
	v_cvt_f32_i32_e32 v1, v0
	v_mov_b32_e32 v5, 0x80
	s_mov_b32 s29, exec_lo
	s_delay_alu instid0(VALU_DEP_2) | instskip(NEXT) | instid1(VALU_DEP_1)
	v_and_b32_e32 v4, 0x7fffffff, v1
	v_cmpx_gt_u32_e32 0x43800000, v4
	s_cbranch_execz .LBB54_707
; %bb.702:
	v_cmp_lt_u32_e32 vcc_lo, 0x3bffffff, v4
	s_mov_b32 s30, 0
                                        ; implicit-def: $vgpr4
	s_and_saveexec_b32 s31, vcc_lo
	s_delay_alu instid0(SALU_CYCLE_1)
	s_xor_b32 s31, exec_lo, s31
	s_cbranch_execz .LBB54_830
; %bb.703:
	v_bfe_u32 v4, v1, 20, 1
	s_mov_b32 s30, exec_lo
	s_delay_alu instid0(VALU_DEP_1) | instskip(NEXT) | instid1(VALU_DEP_1)
	v_add3_u32 v4, v1, v4, 0x487ffff
	v_lshrrev_b32_e32 v4, 20, v4
	s_and_not1_saveexec_b32 s31, s31
	s_cbranch_execnz .LBB54_831
.LBB54_704:
	s_or_b32 exec_lo, exec_lo, s31
	v_mov_b32_e32 v5, 0
	s_and_saveexec_b32 s31, s30
.LBB54_705:
	v_lshrrev_b32_e32 v1, 24, v1
	s_delay_alu instid0(VALU_DEP_1)
	v_and_or_b32 v5, 0x80, v1, v4
.LBB54_706:
	s_or_b32 exec_lo, exec_lo, s31
.LBB54_707:
	s_delay_alu instid0(SALU_CYCLE_1)
	s_or_b32 exec_lo, exec_lo, s29
	global_store_b8 v[2:3], v5, off
.LBB54_708:
	s_mov_b32 s29, -1
.LBB54_709:
	s_mov_b32 s30, 0
.LBB54_710:
	s_delay_alu instid0(SALU_CYCLE_1)
	s_and_b32 vcc_lo, exec_lo, s30
	s_cbranch_vccz .LBB54_751
; %bb.711:
	s_cmp_gt_i32 s28, 22
	s_mov_b32 s30, -1
	s_cbranch_scc0 .LBB54_743
; %bb.712:
	s_cmp_lt_i32 s28, 24
	s_mov_b32 s29, -1
	s_cbranch_scc1 .LBB54_732
; %bb.713:
	s_cmp_gt_i32 s28, 24
	s_cbranch_scc0 .LBB54_721
; %bb.714:
	s_wait_xcnt 0x0
	v_cvt_f32_i32_e32 v1, v0
	v_mov_b32_e32 v5, 0x80
	s_mov_b32 s29, exec_lo
	s_delay_alu instid0(VALU_DEP_2) | instskip(NEXT) | instid1(VALU_DEP_1)
	v_and_b32_e32 v4, 0x7fffffff, v1
	v_cmpx_gt_u32_e32 0x47800000, v4
	s_cbranch_execz .LBB54_720
; %bb.715:
	v_cmp_lt_u32_e32 vcc_lo, 0x37ffffff, v4
	s_mov_b32 s30, 0
                                        ; implicit-def: $vgpr4
	s_and_saveexec_b32 s31, vcc_lo
	s_delay_alu instid0(SALU_CYCLE_1)
	s_xor_b32 s31, exec_lo, s31
	s_cbranch_execz .LBB54_957
; %bb.716:
	v_bfe_u32 v4, v1, 21, 1
	s_mov_b32 s30, exec_lo
	s_delay_alu instid0(VALU_DEP_1) | instskip(NEXT) | instid1(VALU_DEP_1)
	v_add3_u32 v4, v1, v4, 0x88fffff
	v_lshrrev_b32_e32 v4, 21, v4
	s_and_not1_saveexec_b32 s31, s31
	s_cbranch_execnz .LBB54_958
.LBB54_717:
	s_or_b32 exec_lo, exec_lo, s31
	v_mov_b32_e32 v5, 0
	s_and_saveexec_b32 s31, s30
.LBB54_718:
	v_lshrrev_b32_e32 v1, 24, v1
	s_delay_alu instid0(VALU_DEP_1)
	v_and_or_b32 v5, 0x80, v1, v4
.LBB54_719:
	s_or_b32 exec_lo, exec_lo, s31
.LBB54_720:
	s_delay_alu instid0(SALU_CYCLE_1)
	s_or_b32 exec_lo, exec_lo, s29
	s_mov_b32 s29, 0
	global_store_b8 v[2:3], v5, off
.LBB54_721:
	s_and_b32 vcc_lo, exec_lo, s29
	s_cbranch_vccz .LBB54_731
; %bb.722:
	s_wait_xcnt 0x0
	v_cvt_f32_i32_e32 v1, v0
	s_mov_b32 s29, exec_lo
                                        ; implicit-def: $vgpr4
	s_delay_alu instid0(VALU_DEP_1) | instskip(NEXT) | instid1(VALU_DEP_1)
	v_and_b32_e32 v5, 0x7fffffff, v1
	v_cmpx_gt_u32_e32 0x43f00000, v5
	s_xor_b32 s29, exec_lo, s29
	s_cbranch_execz .LBB54_728
; %bb.723:
	s_mov_b32 s30, exec_lo
                                        ; implicit-def: $vgpr4
	v_cmpx_lt_u32_e32 0x3c7fffff, v5
	s_xor_b32 s30, exec_lo, s30
; %bb.724:
	v_bfe_u32 v4, v1, 20, 1
	s_delay_alu instid0(VALU_DEP_1) | instskip(NEXT) | instid1(VALU_DEP_1)
	v_add3_u32 v4, v1, v4, 0x407ffff
	v_and_b32_e32 v5, 0xff00000, v4
	v_lshrrev_b32_e32 v4, 20, v4
	s_delay_alu instid0(VALU_DEP_2) | instskip(NEXT) | instid1(VALU_DEP_2)
	v_cmp_ne_u32_e32 vcc_lo, 0x7f00000, v5
	v_cndmask_b32_e32 v4, 0x7e, v4, vcc_lo
; %bb.725:
	s_and_not1_saveexec_b32 s30, s30
; %bb.726:
	v_add_f32_e64 v4, 0x46800000, |v1|
; %bb.727:
	s_or_b32 exec_lo, exec_lo, s30
                                        ; implicit-def: $vgpr5
.LBB54_728:
	s_and_not1_saveexec_b32 s29, s29
; %bb.729:
	v_mov_b32_e32 v4, 0x7f
	v_cmp_lt_u32_e32 vcc_lo, 0x7f800000, v5
	s_delay_alu instid0(VALU_DEP_2)
	v_cndmask_b32_e32 v4, 0x7e, v4, vcc_lo
; %bb.730:
	s_or_b32 exec_lo, exec_lo, s29
	v_lshrrev_b32_e32 v1, 24, v1
	s_delay_alu instid0(VALU_DEP_1)
	v_and_or_b32 v1, 0x80, v1, v4
	global_store_b8 v[2:3], v1, off
.LBB54_731:
	s_mov_b32 s29, 0
.LBB54_732:
	s_delay_alu instid0(SALU_CYCLE_1)
	s_and_not1_b32 vcc_lo, exec_lo, s29
	s_cbranch_vccnz .LBB54_742
; %bb.733:
	s_wait_xcnt 0x0
	v_cvt_f32_i32_e32 v1, v0
	s_mov_b32 s29, exec_lo
                                        ; implicit-def: $vgpr4
	s_delay_alu instid0(VALU_DEP_1) | instskip(NEXT) | instid1(VALU_DEP_1)
	v_and_b32_e32 v5, 0x7fffffff, v1
	v_cmpx_gt_u32_e32 0x47800000, v5
	s_xor_b32 s29, exec_lo, s29
	s_cbranch_execz .LBB54_739
; %bb.734:
	s_mov_b32 s30, exec_lo
                                        ; implicit-def: $vgpr4
	v_cmpx_lt_u32_e32 0x387fffff, v5
	s_xor_b32 s30, exec_lo, s30
; %bb.735:
	v_bfe_u32 v4, v1, 21, 1
	s_delay_alu instid0(VALU_DEP_1) | instskip(NEXT) | instid1(VALU_DEP_1)
	v_add3_u32 v4, v1, v4, 0x80fffff
	v_lshrrev_b32_e32 v4, 21, v4
; %bb.736:
	s_and_not1_saveexec_b32 s30, s30
; %bb.737:
	v_add_f32_e64 v4, 0x43000000, |v1|
; %bb.738:
	s_or_b32 exec_lo, exec_lo, s30
                                        ; implicit-def: $vgpr5
.LBB54_739:
	s_and_not1_saveexec_b32 s29, s29
; %bb.740:
	v_mov_b32_e32 v4, 0x7f
	v_cmp_lt_u32_e32 vcc_lo, 0x7f800000, v5
	s_delay_alu instid0(VALU_DEP_2)
	v_cndmask_b32_e32 v4, 0x7c, v4, vcc_lo
; %bb.741:
	s_or_b32 exec_lo, exec_lo, s29
	v_lshrrev_b32_e32 v1, 24, v1
	s_delay_alu instid0(VALU_DEP_1)
	v_and_or_b32 v1, 0x80, v1, v4
	global_store_b8 v[2:3], v1, off
.LBB54_742:
	s_mov_b32 s30, 0
	s_mov_b32 s29, -1
.LBB54_743:
	s_and_not1_b32 vcc_lo, exec_lo, s30
	s_cbranch_vccnz .LBB54_751
; %bb.744:
	s_cmp_gt_i32 s28, 14
	s_mov_b32 s30, -1
	s_cbranch_scc0 .LBB54_748
; %bb.745:
	s_cmp_eq_u32 s28, 15
	s_mov_b32 s0, -1
	s_cbranch_scc0 .LBB54_747
; %bb.746:
	s_wait_xcnt 0x0
	v_cvt_f32_i32_e32 v1, v0
	s_mov_b32 s29, -1
	s_mov_b32 s0, 0
	s_delay_alu instid0(VALU_DEP_1) | instskip(NEXT) | instid1(VALU_DEP_1)
	v_bfe_u32 v4, v1, 16, 1
	v_add3_u32 v1, v1, v4, 0x7fff
	global_store_d16_hi_b16 v[2:3], v1, off
.LBB54_747:
	s_mov_b32 s30, 0
.LBB54_748:
	s_delay_alu instid0(SALU_CYCLE_1)
	s_and_b32 vcc_lo, exec_lo, s30
	s_cbranch_vccz .LBB54_751
; %bb.749:
	s_cmp_eq_u32 s28, 11
	s_mov_b32 s0, -1
	s_cbranch_scc0 .LBB54_751
; %bb.750:
	v_cmp_ne_u32_e32 vcc_lo, 0, v0
	s_mov_b32 s0, 0
	s_mov_b32 s29, -1
	s_wait_xcnt 0x0
	v_cndmask_b32_e64 v1, 0, 1, vcc_lo
	global_store_b8 v[2:3], v1, off
.LBB54_751:
	s_mov_b32 s28, 0
.LBB54_752:
	s_delay_alu instid0(SALU_CYCLE_1)
	s_and_b32 vcc_lo, exec_lo, s28
	s_cbranch_vccz .LBB54_791
; %bb.753:
	s_and_b32 s25, 0xffff, s25
	s_mov_b32 s28, -1
	s_cmp_lt_i32 s25, 5
	s_cbranch_scc1 .LBB54_774
; %bb.754:
	s_cmp_lt_i32 s25, 8
	s_cbranch_scc1 .LBB54_764
; %bb.755:
	;; [unrolled: 3-line block ×3, first 2 shown]
	s_cmp_gt_i32 s25, 9
	s_cbranch_scc0 .LBB54_758
; %bb.757:
	v_cvt_f64_i32_e32 v[8:9], v0
	v_mov_b32_e32 v10, 0
	s_mov_b32 s28, 0
	s_delay_alu instid0(VALU_DEP_1)
	v_mov_b32_e32 v11, v10
	global_store_b128 v[2:3], v[8:11], off
.LBB54_758:
	s_and_not1_b32 vcc_lo, exec_lo, s28
	s_cbranch_vccnz .LBB54_760
; %bb.759:
	s_wait_xcnt 0x0
	v_cvt_f32_i32_e32 v4, v0
	v_mov_b32_e32 v5, 0
	global_store_b64 v[2:3], v[4:5], off
.LBB54_760:
	s_mov_b32 s28, 0
.LBB54_761:
	s_delay_alu instid0(SALU_CYCLE_1)
	s_and_not1_b32 vcc_lo, exec_lo, s28
	s_cbranch_vccnz .LBB54_763
; %bb.762:
	s_wait_xcnt 0x0
	v_cvt_f32_i32_e32 v1, v0
	s_delay_alu instid0(VALU_DEP_1) | instskip(NEXT) | instid1(VALU_DEP_1)
	v_cvt_f16_f32_e32 v1, v1
	v_and_b32_e32 v1, 0xffff, v1
	global_store_b32 v[2:3], v1, off
.LBB54_763:
	s_mov_b32 s28, 0
.LBB54_764:
	s_delay_alu instid0(SALU_CYCLE_1)
	s_and_not1_b32 vcc_lo, exec_lo, s28
	s_cbranch_vccnz .LBB54_773
; %bb.765:
	s_cmp_lt_i32 s25, 6
	s_mov_b32 s28, -1
	s_cbranch_scc1 .LBB54_771
; %bb.766:
	s_cmp_gt_i32 s25, 6
	s_cbranch_scc0 .LBB54_768
; %bb.767:
	s_wait_xcnt 0x0
	v_cvt_f64_i32_e32 v[4:5], v0
	s_mov_b32 s28, 0
	global_store_b64 v[2:3], v[4:5], off
.LBB54_768:
	s_and_not1_b32 vcc_lo, exec_lo, s28
	s_cbranch_vccnz .LBB54_770
; %bb.769:
	s_wait_xcnt 0x0
	v_cvt_f32_i32_e32 v1, v0
	global_store_b32 v[2:3], v1, off
.LBB54_770:
	s_mov_b32 s28, 0
.LBB54_771:
	s_delay_alu instid0(SALU_CYCLE_1)
	s_and_not1_b32 vcc_lo, exec_lo, s28
	s_cbranch_vccnz .LBB54_773
; %bb.772:
	s_wait_xcnt 0x0
	v_cvt_f32_i32_e32 v1, v0
	s_delay_alu instid0(VALU_DEP_1)
	v_cvt_f16_f32_e32 v1, v1
	global_store_b16 v[2:3], v1, off
.LBB54_773:
	s_mov_b32 s28, 0
.LBB54_774:
	s_delay_alu instid0(SALU_CYCLE_1)
	s_and_not1_b32 vcc_lo, exec_lo, s28
	s_cbranch_vccnz .LBB54_790
; %bb.775:
	s_cmp_lt_i32 s25, 2
	s_mov_b32 s28, -1
	s_cbranch_scc1 .LBB54_785
; %bb.776:
	s_cmp_lt_i32 s25, 3
	s_cbranch_scc1 .LBB54_782
; %bb.777:
	s_cmp_gt_i32 s25, 3
	s_cbranch_scc0 .LBB54_779
; %bb.778:
	s_wait_xcnt 0x0
	v_ashrrev_i32_e32 v1, 31, v0
	s_mov_b32 s28, 0
	global_store_b64 v[2:3], v[0:1], off
.LBB54_779:
	s_and_not1_b32 vcc_lo, exec_lo, s28
	s_cbranch_vccnz .LBB54_781
; %bb.780:
	global_store_b32 v[2:3], v0, off
.LBB54_781:
	s_mov_b32 s28, 0
.LBB54_782:
	s_delay_alu instid0(SALU_CYCLE_1)
	s_and_not1_b32 vcc_lo, exec_lo, s28
	s_cbranch_vccnz .LBB54_784
; %bb.783:
	global_store_b16 v[2:3], v0, off
.LBB54_784:
	s_mov_b32 s28, 0
.LBB54_785:
	s_delay_alu instid0(SALU_CYCLE_1)
	s_and_not1_b32 vcc_lo, exec_lo, s28
	s_cbranch_vccnz .LBB54_790
; %bb.786:
	s_cmp_gt_i32 s25, 0
	s_mov_b32 s25, -1
	s_cbranch_scc0 .LBB54_788
; %bb.787:
	s_mov_b32 s25, 0
	global_store_b8 v[2:3], v0, off
.LBB54_788:
	s_and_not1_b32 vcc_lo, exec_lo, s25
	s_cbranch_vccnz .LBB54_790
; %bb.789:
	global_store_b8 v[2:3], v0, off
.LBB54_790:
	s_mov_b32 s29, -1
.LBB54_791:
	s_delay_alu instid0(SALU_CYCLE_1)
	s_and_not1_b32 vcc_lo, exec_lo, s29
	s_cbranch_vccnz .LBB54_802
; %bb.792:
	v_add_nc_u32_e32 v6, 0x80, v6
	s_mov_b32 s28, -1
.LBB54_793:
	s_and_not1_b32 s25, s17, exec_lo
	s_and_b32 s0, s0, exec_lo
	s_and_not1_b32 s29, s19, exec_lo
	s_and_b32 s30, s24, exec_lo
	s_or_b32 s24, s25, s0
	s_or_b32 s25, s29, s30
	s_and_not1_b32 s0, s20, exec_lo
	s_and_b32 s23, s23, exec_lo
	s_and_not1_b32 s29, s21, exec_lo
	s_and_b32 s30, s26, exec_lo
	s_or_b32 s26, s0, s23
	s_or_b32 s23, s29, s30
	s_or_not1_b32 s28, s28, exec_lo
.LBB54_794:
	s_wait_xcnt 0x0
	s_or_b32 exec_lo, exec_lo, s27
	s_mov_b32 s0, 0
	s_and_saveexec_b32 s27, s28
	s_cbranch_execz .LBB54_1220
; %bb.795:
	s_mov_b32 s30, -1
	s_mov_b32 s0, s23
	s_mov_b32 s29, s26
	;; [unrolled: 1-line block ×4, first 2 shown]
	s_mov_b32 s28, exec_lo
	v_cmpx_gt_i32_e64 s18, v6
	s_cbranch_execz .LBB54_1196
; %bb.796:
	s_and_b32 s29, s15, 0xff
	s_delay_alu instid0(SALU_CYCLE_1)
	s_cmp_lt_i32 s29, 23
	s_cbranch_scc1 .LBB54_800
; %bb.797:
	s_and_b32 s31, 0xffff, s29
	s_delay_alu instid0(SALU_CYCLE_1)
	s_cmp_gt_i32 s31, 43
	s_cbranch_scc0 .LBB54_801
; %bb.798:
	s_cmp_gt_i32 s31, 45
	s_cbranch_scc0 .LBB54_803
; %bb.799:
	s_cmp_eq_u32 s31, 46
	s_mov_b32 s33, 0
	s_cselect_b32 s0, -1, 0
	s_or_b32 s30, s23, exec_lo
	s_branch .LBB54_804
.LBB54_800:
	s_mov_b32 s31, -1
	s_mov_b32 s0, 0
	s_mov_b32 s30, s23
	s_branch .LBB54_810
.LBB54_801:
	s_mov_b32 s33, -1
	s_mov_b32 s0, 0
	s_mov_b32 s30, s23
	s_branch .LBB54_807
.LBB54_802:
	s_mov_b32 s28, 0
	s_branch .LBB54_422
.LBB54_803:
	s_mov_b32 s33, -1
	s_mov_b32 s0, 0
	s_mov_b32 s30, s23
.LBB54_804:
	s_and_not1_b32 vcc_lo, exec_lo, s33
	s_cbranch_vccnz .LBB54_806
; %bb.805:
	s_cmp_eq_u32 s31, 44
	s_cselect_b32 s0, -1, 0
	s_cmp_lg_u32 s31, 44
	s_cselect_b32 s33, -1, 0
	s_and_not1_b32 s30, s30, exec_lo
	s_and_b32 s33, s33, exec_lo
	s_delay_alu instid0(SALU_CYCLE_1)
	s_or_b32 s30, s30, s33
.LBB54_806:
	s_mov_b32 s33, 0
.LBB54_807:
	s_delay_alu instid0(SALU_CYCLE_1)
	s_and_b32 vcc_lo, exec_lo, s33
	s_cbranch_vccz .LBB54_809
; %bb.808:
	s_cmp_lt_i32 s31, 30
	s_cselect_b32 s0, -1, 0
	s_cmp_gt_i32 s31, 29
	s_cselect_b32 s31, -1, 0
	s_and_not1_b32 s30, s30, exec_lo
	s_and_b32 s31, s31, exec_lo
	s_delay_alu instid0(SALU_CYCLE_1)
	s_or_b32 s30, s30, s31
.LBB54_809:
	s_mov_b32 s31, 0
.LBB54_810:
	s_delay_alu instid0(SALU_CYCLE_1)
	s_and_b32 vcc_lo, exec_lo, s31
	s_cbranch_vccz .LBB54_815
; %bb.811:
	s_and_b32 s29, 0xffff, s29
	s_mov_b32 s31, -1
	s_cmp_gt_i32 s29, 14
	s_cbranch_scc0 .LBB54_813
; %bb.812:
	s_cmp_eq_u32 s29, 15
	s_cselect_b32 s0, -1, 0
	s_cmp_lg_u32 s29, 15
	s_cselect_b32 s31, -1, 0
	s_and_not1_b32 s30, s30, exec_lo
	s_and_b32 s33, s31, exec_lo
	s_mov_b32 s31, 0
	s_or_b32 s30, s30, s33
.LBB54_813:
	s_and_not1_b32 vcc_lo, exec_lo, s31
	s_cbranch_vccnz .LBB54_815
; %bb.814:
	s_cmp_lt_i32 s29, 12
	s_cselect_b32 s0, -1, 0
	s_cmp_gt_i32 s29, 11
	s_cselect_b32 s29, -1, 0
	s_and_not1_b32 s30, s30, exec_lo
	s_and_b32 s29, s29, exec_lo
	s_delay_alu instid0(SALU_CYCLE_1)
	s_or_b32 s30, s30, s29
.LBB54_815:
	s_and_b32 vcc_lo, exec_lo, s0
	s_cbranch_vccz .LBB54_823
; %bb.816:
	v_mul_lo_u32 v0, v6, s4
	s_and_b32 s0, s13, 0xff
	s_delay_alu instid0(SALU_CYCLE_1) | instskip(NEXT) | instid1(VALU_DEP_1)
	s_cmp_lt_i32 s0, 11
	v_ashrrev_i32_e32 v1, 31, v0
	s_delay_alu instid0(VALU_DEP_1)
	v_add_nc_u64_e32 v[0:1], s[8:9], v[0:1]
	s_cbranch_scc1 .LBB54_825
; %bb.817:
	s_and_b32 s30, 0xffff, s0
	s_delay_alu instid0(SALU_CYCLE_1)
	s_cmp_gt_i32 s30, 25
	s_cbranch_scc0 .LBB54_826
; %bb.818:
	s_cmp_gt_i32 s30, 28
	s_cbranch_scc0 .LBB54_827
; %bb.819:
	;; [unrolled: 3-line block ×4, first 2 shown]
	s_cmp_eq_u32 s30, 46
	s_mov_b32 s33, 0
	s_cbranch_scc0 .LBB54_832
; %bb.822:
	s_wait_loadcnt 0x0
	global_load_b32 v2, v[0:1], off
	s_mov_b32 s31, -1
	s_mov_b32 s29, 0
	s_wait_loadcnt 0x0
	v_lshlrev_b32_e32 v2, 16, v2
	s_delay_alu instid0(VALU_DEP_1)
	v_cvt_i32_f32_e32 v2, v2
	s_branch .LBB54_834
.LBB54_823:
	s_mov_b32 s34, 0
	s_mov_b32 s0, s24
	;; [unrolled: 1-line block ×4, first 2 shown]
.LBB54_824:
                                        ; implicit-def: $vgpr6
	s_branch .LBB54_1195
.LBB54_825:
	s_mov_b32 s30, -1
	s_mov_b32 s31, 0
	s_mov_b32 s29, s26
                                        ; implicit-def: $vgpr2
	s_branch .LBB54_895
.LBB54_826:
	s_mov_b32 s33, -1
	s_mov_b32 s31, 0
	s_mov_b32 s29, s26
                                        ; implicit-def: $vgpr2
	s_branch .LBB54_861
.LBB54_827:
	s_mov_b32 s33, -1
	s_mov_b32 s31, 0
	s_mov_b32 s29, s26
                                        ; implicit-def: $vgpr2
	s_branch .LBB54_844
.LBB54_828:
	s_mov_b32 s33, -1
	s_mov_b32 s31, 0
	s_mov_b32 s29, s26
                                        ; implicit-def: $vgpr2
	s_branch .LBB54_839
.LBB54_829:
	s_mov_b32 s33, -1
	s_mov_b32 s31, 0
	s_mov_b32 s29, s26
	s_branch .LBB54_833
.LBB54_830:
	s_and_not1_saveexec_b32 s31, s31
	s_cbranch_execz .LBB54_704
.LBB54_831:
	v_add_f32_e64 v4, 0x46000000, |v1|
	s_and_not1_b32 s30, s30, exec_lo
	s_delay_alu instid0(VALU_DEP_1) | instskip(NEXT) | instid1(VALU_DEP_1)
	v_and_b32_e32 v4, 0xff, v4
	v_cmp_ne_u32_e32 vcc_lo, 0, v4
	s_and_b32 s33, vcc_lo, exec_lo
	s_delay_alu instid0(SALU_CYCLE_1)
	s_or_b32 s30, s30, s33
	s_or_b32 exec_lo, exec_lo, s31
	v_mov_b32_e32 v5, 0
	s_and_saveexec_b32 s31, s30
	s_cbranch_execnz .LBB54_705
	s_branch .LBB54_706
.LBB54_832:
	s_mov_b32 s29, -1
	s_mov_b32 s31, 0
.LBB54_833:
                                        ; implicit-def: $vgpr2
.LBB54_834:
	s_and_b32 vcc_lo, exec_lo, s33
	s_cbranch_vccz .LBB54_838
; %bb.835:
	s_cmp_eq_u32 s30, 44
	s_cbranch_scc0 .LBB54_837
; %bb.836:
	s_wait_loadcnt 0x0
	global_load_u8 v2, v[0:1], off
	s_mov_b32 s29, 0
	s_mov_b32 s31, -1
	s_wait_loadcnt 0x0
	v_lshlrev_b32_e32 v3, 23, v2
	v_cmp_ne_u32_e32 vcc_lo, 0, v2
	s_delay_alu instid0(VALU_DEP_2) | instskip(NEXT) | instid1(VALU_DEP_1)
	v_cvt_i32_f32_e32 v3, v3
	v_cndmask_b32_e32 v2, 0, v3, vcc_lo
	s_branch .LBB54_838
.LBB54_837:
	s_mov_b32 s29, -1
                                        ; implicit-def: $vgpr2
.LBB54_838:
	s_mov_b32 s33, 0
.LBB54_839:
	s_delay_alu instid0(SALU_CYCLE_1)
	s_and_b32 vcc_lo, exec_lo, s33
	s_cbranch_vccz .LBB54_843
; %bb.840:
	s_cmp_eq_u32 s30, 29
	s_cbranch_scc0 .LBB54_842
; %bb.841:
	s_wait_loadcnt 0x0
	global_load_b32 v2, v[0:1], off
	s_mov_b32 s31, -1
	s_mov_b32 s29, 0
	s_branch .LBB54_843
.LBB54_842:
	s_mov_b32 s29, -1
                                        ; implicit-def: $vgpr2
.LBB54_843:
	s_mov_b32 s33, 0
.LBB54_844:
	s_delay_alu instid0(SALU_CYCLE_1)
	s_and_b32 vcc_lo, exec_lo, s33
	s_cbranch_vccz .LBB54_860
; %bb.845:
	s_cmp_lt_i32 s30, 27
	s_cbranch_scc1 .LBB54_848
; %bb.846:
	s_cmp_gt_i32 s30, 27
	s_cbranch_scc0 .LBB54_849
; %bb.847:
	s_wait_loadcnt 0x0
	global_load_b32 v2, v[0:1], off
	s_mov_b32 s31, 0
	s_branch .LBB54_850
.LBB54_848:
	s_mov_b32 s31, -1
                                        ; implicit-def: $vgpr2
	s_branch .LBB54_853
.LBB54_849:
	s_mov_b32 s31, -1
                                        ; implicit-def: $vgpr2
.LBB54_850:
	s_delay_alu instid0(SALU_CYCLE_1)
	s_and_not1_b32 vcc_lo, exec_lo, s31
	s_cbranch_vccnz .LBB54_852
; %bb.851:
	s_wait_loadcnt 0x0
	global_load_u16 v2, v[0:1], off
.LBB54_852:
	s_mov_b32 s31, 0
.LBB54_853:
	s_delay_alu instid0(SALU_CYCLE_1)
	s_and_not1_b32 vcc_lo, exec_lo, s31
	s_cbranch_vccnz .LBB54_859
; %bb.854:
	s_wait_loadcnt 0x0
	global_load_u8 v3, v[0:1], off
	s_mov_b32 s33, 0
	s_mov_b32 s31, exec_lo
	s_wait_loadcnt 0x0
	v_cmpx_lt_i16_e32 0x7f, v3
	s_xor_b32 s31, exec_lo, s31
	s_cbranch_execz .LBB54_871
; %bb.855:
	v_cmp_ne_u16_e32 vcc_lo, 0x80, v3
	s_and_b32 s33, vcc_lo, exec_lo
	s_and_not1_saveexec_b32 s31, s31
	s_cbranch_execnz .LBB54_872
.LBB54_856:
	s_or_b32 exec_lo, exec_lo, s31
	v_mov_b32_e32 v2, 0
	s_and_saveexec_b32 s31, s33
	s_cbranch_execz .LBB54_858
.LBB54_857:
	v_and_b32_e32 v2, 0xffff, v3
	s_delay_alu instid0(VALU_DEP_1) | instskip(SKIP_1) | instid1(VALU_DEP_2)
	v_and_b32_e32 v4, 7, v2
	v_bfe_u32 v8, v2, 3, 4
	v_clz_i32_u32_e32 v5, v4
	s_delay_alu instid0(VALU_DEP_2) | instskip(NEXT) | instid1(VALU_DEP_2)
	v_cmp_eq_u32_e32 vcc_lo, 0, v8
	v_min_u32_e32 v5, 32, v5
	s_delay_alu instid0(VALU_DEP_1) | instskip(NEXT) | instid1(VALU_DEP_1)
	v_subrev_nc_u32_e32 v7, 28, v5
	v_dual_lshlrev_b32 v2, v7, v2 :: v_dual_sub_nc_u32 v5, 29, v5
	s_delay_alu instid0(VALU_DEP_1) | instskip(NEXT) | instid1(VALU_DEP_2)
	v_dual_lshlrev_b32 v3, 24, v3 :: v_dual_bitop2_b32 v2, 7, v2 bitop3:0x40
	v_cndmask_b32_e32 v5, v8, v5, vcc_lo
	s_delay_alu instid0(VALU_DEP_2) | instskip(NEXT) | instid1(VALU_DEP_3)
	v_cndmask_b32_e32 v2, v4, v2, vcc_lo
	v_and_b32_e32 v3, 0x80000000, v3
	s_delay_alu instid0(VALU_DEP_3) | instskip(NEXT) | instid1(VALU_DEP_3)
	v_lshl_add_u32 v4, v5, 23, 0x3b800000
	v_lshlrev_b32_e32 v2, 20, v2
	s_delay_alu instid0(VALU_DEP_1) | instskip(NEXT) | instid1(VALU_DEP_1)
	v_or3_b32 v2, v3, v4, v2
	v_cvt_i32_f32_e32 v2, v2
.LBB54_858:
	s_or_b32 exec_lo, exec_lo, s31
.LBB54_859:
	s_mov_b32 s31, -1
.LBB54_860:
	s_mov_b32 s33, 0
.LBB54_861:
	s_delay_alu instid0(SALU_CYCLE_1)
	s_and_b32 vcc_lo, exec_lo, s33
	s_cbranch_vccz .LBB54_894
; %bb.862:
	s_cmp_gt_i32 s30, 22
	s_cbranch_scc0 .LBB54_870
; %bb.863:
	s_cmp_lt_i32 s30, 24
	s_cbranch_scc1 .LBB54_873
; %bb.864:
	s_cmp_gt_i32 s30, 24
	s_cbranch_scc0 .LBB54_874
; %bb.865:
	s_wait_loadcnt 0x0
	global_load_u8 v3, v[0:1], off
	s_mov_b32 s33, 0
	s_mov_b32 s31, exec_lo
	s_wait_loadcnt 0x0
	v_cmpx_lt_i16_e32 0x7f, v3
	s_xor_b32 s31, exec_lo, s31
	s_cbranch_execz .LBB54_886
; %bb.866:
	v_cmp_ne_u16_e32 vcc_lo, 0x80, v3
	s_and_b32 s33, vcc_lo, exec_lo
	s_and_not1_saveexec_b32 s31, s31
	s_cbranch_execnz .LBB54_887
.LBB54_867:
	s_or_b32 exec_lo, exec_lo, s31
	v_mov_b32_e32 v2, 0
	s_and_saveexec_b32 s31, s33
	s_cbranch_execz .LBB54_869
.LBB54_868:
	v_and_b32_e32 v2, 0xffff, v3
	s_delay_alu instid0(VALU_DEP_1) | instskip(SKIP_1) | instid1(VALU_DEP_2)
	v_and_b32_e32 v4, 3, v2
	v_bfe_u32 v8, v2, 2, 5
	v_clz_i32_u32_e32 v5, v4
	s_delay_alu instid0(VALU_DEP_2) | instskip(NEXT) | instid1(VALU_DEP_2)
	v_cmp_eq_u32_e32 vcc_lo, 0, v8
	v_min_u32_e32 v5, 32, v5
	s_delay_alu instid0(VALU_DEP_1) | instskip(NEXT) | instid1(VALU_DEP_1)
	v_subrev_nc_u32_e32 v7, 29, v5
	v_dual_lshlrev_b32 v2, v7, v2 :: v_dual_sub_nc_u32 v5, 30, v5
	s_delay_alu instid0(VALU_DEP_1) | instskip(NEXT) | instid1(VALU_DEP_2)
	v_dual_lshlrev_b32 v3, 24, v3 :: v_dual_bitop2_b32 v2, 3, v2 bitop3:0x40
	v_cndmask_b32_e32 v5, v8, v5, vcc_lo
	s_delay_alu instid0(VALU_DEP_2) | instskip(NEXT) | instid1(VALU_DEP_3)
	v_cndmask_b32_e32 v2, v4, v2, vcc_lo
	v_and_b32_e32 v3, 0x80000000, v3
	s_delay_alu instid0(VALU_DEP_3) | instskip(NEXT) | instid1(VALU_DEP_3)
	v_lshl_add_u32 v4, v5, 23, 0x37800000
	v_lshlrev_b32_e32 v2, 21, v2
	s_delay_alu instid0(VALU_DEP_1) | instskip(NEXT) | instid1(VALU_DEP_1)
	v_or3_b32 v2, v3, v4, v2
	v_cvt_i32_f32_e32 v2, v2
.LBB54_869:
	s_or_b32 exec_lo, exec_lo, s31
	s_mov_b32 s31, 0
	s_branch .LBB54_875
.LBB54_870:
	s_mov_b32 s33, -1
                                        ; implicit-def: $vgpr2
	s_branch .LBB54_881
.LBB54_871:
	s_and_not1_saveexec_b32 s31, s31
	s_cbranch_execz .LBB54_856
.LBB54_872:
	v_cmp_ne_u16_e32 vcc_lo, 0, v3
	s_and_not1_b32 s33, s33, exec_lo
	s_and_b32 s34, vcc_lo, exec_lo
	s_delay_alu instid0(SALU_CYCLE_1)
	s_or_b32 s33, s33, s34
	s_or_b32 exec_lo, exec_lo, s31
	v_mov_b32_e32 v2, 0
	s_and_saveexec_b32 s31, s33
	s_cbranch_execnz .LBB54_857
	s_branch .LBB54_858
.LBB54_873:
	s_mov_b32 s31, -1
                                        ; implicit-def: $vgpr2
	s_branch .LBB54_878
.LBB54_874:
	s_mov_b32 s31, -1
                                        ; implicit-def: $vgpr2
.LBB54_875:
	s_delay_alu instid0(SALU_CYCLE_1)
	s_and_b32 vcc_lo, exec_lo, s31
	s_cbranch_vccz .LBB54_877
; %bb.876:
	s_wait_loadcnt 0x0
	global_load_u8 v2, v[0:1], off
	s_wait_loadcnt 0x0
	v_lshlrev_b32_e32 v2, 24, v2
	s_delay_alu instid0(VALU_DEP_1) | instskip(NEXT) | instid1(VALU_DEP_1)
	v_and_b32_e32 v3, 0x7f000000, v2
	v_clz_i32_u32_e32 v4, v3
	v_add_nc_u32_e32 v7, 0x1000000, v3
	v_cmp_ne_u32_e32 vcc_lo, 0, v3
	s_delay_alu instid0(VALU_DEP_3) | instskip(NEXT) | instid1(VALU_DEP_1)
	v_min_u32_e32 v4, 32, v4
	v_sub_nc_u32_e64 v4, v4, 4 clamp
	s_delay_alu instid0(VALU_DEP_1) | instskip(NEXT) | instid1(VALU_DEP_1)
	v_dual_lshlrev_b32 v5, v4, v3 :: v_dual_lshlrev_b32 v4, 23, v4
	v_lshrrev_b32_e32 v5, 4, v5
	s_delay_alu instid0(VALU_DEP_1) | instskip(NEXT) | instid1(VALU_DEP_1)
	v_dual_sub_nc_u32 v4, v5, v4 :: v_dual_ashrrev_i32 v5, 8, v7
	v_add_nc_u32_e32 v4, 0x3c000000, v4
	s_delay_alu instid0(VALU_DEP_1) | instskip(NEXT) | instid1(VALU_DEP_1)
	v_and_or_b32 v4, 0x7f800000, v5, v4
	v_cndmask_b32_e32 v3, 0, v4, vcc_lo
	s_delay_alu instid0(VALU_DEP_1) | instskip(NEXT) | instid1(VALU_DEP_1)
	v_and_or_b32 v2, 0x80000000, v2, v3
	v_cvt_i32_f32_e32 v2, v2
.LBB54_877:
	s_mov_b32 s31, 0
.LBB54_878:
	s_delay_alu instid0(SALU_CYCLE_1)
	s_and_not1_b32 vcc_lo, exec_lo, s31
	s_cbranch_vccnz .LBB54_880
; %bb.879:
	s_wait_loadcnt 0x0
	global_load_u8 v2, v[0:1], off
	s_wait_loadcnt 0x0
	v_lshlrev_b32_e32 v3, 25, v2
	v_lshlrev_b16 v2, 8, v2
	s_delay_alu instid0(VALU_DEP_1) | instskip(SKIP_1) | instid1(VALU_DEP_2)
	v_and_or_b32 v5, 0x7f00, v2, 0.5
	v_bfe_i32 v2, v2, 0, 16
	v_dual_add_f32 v5, -0.5, v5 :: v_dual_lshrrev_b32 v4, 4, v3
	v_cmp_gt_u32_e32 vcc_lo, 0x8000000, v3
	s_delay_alu instid0(VALU_DEP_2) | instskip(NEXT) | instid1(VALU_DEP_1)
	v_or_b32_e32 v4, 0x70000000, v4
	v_mul_f32_e32 v4, 0x7800000, v4
	s_delay_alu instid0(VALU_DEP_1) | instskip(NEXT) | instid1(VALU_DEP_1)
	v_cndmask_b32_e32 v3, v4, v5, vcc_lo
	v_and_or_b32 v2, 0x80000000, v2, v3
	s_delay_alu instid0(VALU_DEP_1)
	v_cvt_i32_f32_e32 v2, v2
.LBB54_880:
	s_mov_b32 s33, 0
	s_mov_b32 s31, -1
.LBB54_881:
	s_and_not1_b32 vcc_lo, exec_lo, s33
	s_cbranch_vccnz .LBB54_894
; %bb.882:
	s_cmp_gt_i32 s30, 14
	s_cbranch_scc0 .LBB54_885
; %bb.883:
	s_cmp_eq_u32 s30, 15
	s_cbranch_scc0 .LBB54_888
; %bb.884:
	s_wait_loadcnt 0x0
	global_load_u16 v2, v[0:1], off
	s_mov_b32 s31, -1
	s_mov_b32 s29, 0
	s_wait_loadcnt 0x0
	v_lshlrev_b32_e32 v2, 16, v2
	s_delay_alu instid0(VALU_DEP_1)
	v_cvt_i32_f32_e32 v2, v2
	s_branch .LBB54_889
.LBB54_885:
	s_mov_b32 s33, -1
                                        ; implicit-def: $vgpr2
	s_branch .LBB54_890
.LBB54_886:
	s_and_not1_saveexec_b32 s31, s31
	s_cbranch_execz .LBB54_867
.LBB54_887:
	v_cmp_ne_u16_e32 vcc_lo, 0, v3
	s_and_not1_b32 s33, s33, exec_lo
	s_and_b32 s34, vcc_lo, exec_lo
	s_delay_alu instid0(SALU_CYCLE_1)
	s_or_b32 s33, s33, s34
	s_or_b32 exec_lo, exec_lo, s31
	v_mov_b32_e32 v2, 0
	s_and_saveexec_b32 s31, s33
	s_cbranch_execnz .LBB54_868
	s_branch .LBB54_869
.LBB54_888:
	s_mov_b32 s29, -1
                                        ; implicit-def: $vgpr2
.LBB54_889:
	s_mov_b32 s33, 0
.LBB54_890:
	s_delay_alu instid0(SALU_CYCLE_1)
	s_and_b32 vcc_lo, exec_lo, s33
	s_cbranch_vccz .LBB54_894
; %bb.891:
	s_cmp_eq_u32 s30, 11
	s_cbranch_scc0 .LBB54_893
; %bb.892:
	s_wait_loadcnt 0x0
	global_load_u8 v2, v[0:1], off
	s_mov_b32 s29, 0
	s_mov_b32 s31, -1
	s_wait_loadcnt 0x0
	v_cmp_ne_u16_e32 vcc_lo, 0, v2
	v_cndmask_b32_e64 v2, 0, 1, vcc_lo
	s_branch .LBB54_894
.LBB54_893:
	s_mov_b32 s29, -1
                                        ; implicit-def: $vgpr2
.LBB54_894:
	s_mov_b32 s30, 0
.LBB54_895:
	s_delay_alu instid0(SALU_CYCLE_1)
	s_and_b32 vcc_lo, exec_lo, s30
	s_cbranch_vccz .LBB54_944
; %bb.896:
	s_and_b32 s0, 0xffff, s0
	s_delay_alu instid0(SALU_CYCLE_1)
	s_cmp_lt_i32 s0, 5
	s_cbranch_scc1 .LBB54_901
; %bb.897:
	s_cmp_lt_i32 s0, 8
	s_cbranch_scc1 .LBB54_902
; %bb.898:
	;; [unrolled: 3-line block ×3, first 2 shown]
	s_cmp_gt_i32 s0, 9
	s_cbranch_scc0 .LBB54_904
; %bb.900:
	s_wait_loadcnt 0x0
	global_load_b64 v[2:3], v[0:1], off
	s_mov_b32 s30, 0
	s_wait_loadcnt 0x0
	v_cvt_i32_f64_e32 v2, v[2:3]
	s_branch .LBB54_905
.LBB54_901:
	s_mov_b32 s30, -1
                                        ; implicit-def: $vgpr2
	s_branch .LBB54_923
.LBB54_902:
	s_mov_b32 s30, -1
                                        ; implicit-def: $vgpr2
	s_branch .LBB54_911
.LBB54_903:
	s_mov_b32 s30, -1
                                        ; implicit-def: $vgpr2
	s_branch .LBB54_908
.LBB54_904:
	s_mov_b32 s30, -1
                                        ; implicit-def: $vgpr2
.LBB54_905:
	s_delay_alu instid0(SALU_CYCLE_1)
	s_and_not1_b32 vcc_lo, exec_lo, s30
	s_cbranch_vccnz .LBB54_907
; %bb.906:
	s_wait_loadcnt 0x0
	global_load_b32 v2, v[0:1], off
	s_wait_loadcnt 0x0
	v_cvt_i32_f32_e32 v2, v2
.LBB54_907:
	s_mov_b32 s30, 0
.LBB54_908:
	s_delay_alu instid0(SALU_CYCLE_1)
	s_and_not1_b32 vcc_lo, exec_lo, s30
	s_cbranch_vccnz .LBB54_910
; %bb.909:
	s_wait_loadcnt 0x0
	global_load_b32 v2, v[0:1], off
	s_wait_loadcnt 0x0
	v_cvt_f32_f16_e32 v2, v2
	s_delay_alu instid0(VALU_DEP_1)
	v_cvt_i32_f32_e32 v2, v2
.LBB54_910:
	s_mov_b32 s30, 0
.LBB54_911:
	s_delay_alu instid0(SALU_CYCLE_1)
	s_and_not1_b32 vcc_lo, exec_lo, s30
	s_cbranch_vccnz .LBB54_922
; %bb.912:
	s_cmp_lt_i32 s0, 6
	s_cbranch_scc1 .LBB54_915
; %bb.913:
	s_cmp_gt_i32 s0, 6
	s_cbranch_scc0 .LBB54_916
; %bb.914:
	s_wait_loadcnt 0x0
	global_load_b64 v[2:3], v[0:1], off
	s_mov_b32 s30, 0
	s_wait_loadcnt 0x0
	v_cvt_i32_f64_e32 v2, v[2:3]
	s_branch .LBB54_917
.LBB54_915:
	s_mov_b32 s30, -1
                                        ; implicit-def: $vgpr2
	s_branch .LBB54_920
.LBB54_916:
	s_mov_b32 s30, -1
                                        ; implicit-def: $vgpr2
.LBB54_917:
	s_delay_alu instid0(SALU_CYCLE_1)
	s_and_not1_b32 vcc_lo, exec_lo, s30
	s_cbranch_vccnz .LBB54_919
; %bb.918:
	s_wait_loadcnt 0x0
	global_load_b32 v2, v[0:1], off
	s_wait_loadcnt 0x0
	v_cvt_i32_f32_e32 v2, v2
.LBB54_919:
	s_mov_b32 s30, 0
.LBB54_920:
	s_delay_alu instid0(SALU_CYCLE_1)
	s_and_not1_b32 vcc_lo, exec_lo, s30
	s_cbranch_vccnz .LBB54_922
; %bb.921:
	s_wait_loadcnt 0x0
	global_load_u16 v2, v[0:1], off
	s_wait_loadcnt 0x0
	v_cvt_f32_f16_e32 v2, v2
	s_delay_alu instid0(VALU_DEP_1)
	v_cvt_i32_f32_e32 v2, v2
.LBB54_922:
	s_mov_b32 s30, 0
.LBB54_923:
	s_delay_alu instid0(SALU_CYCLE_1)
	s_and_not1_b32 vcc_lo, exec_lo, s30
	s_cbranch_vccnz .LBB54_943
; %bb.924:
	s_cmp_lt_i32 s0, 2
	s_cbranch_scc1 .LBB54_928
; %bb.925:
	s_cmp_lt_i32 s0, 3
	s_cbranch_scc1 .LBB54_929
; %bb.926:
	s_cmp_gt_i32 s0, 3
	s_cbranch_scc0 .LBB54_930
; %bb.927:
	s_wait_loadcnt 0x0
	global_load_b32 v2, v[0:1], off
	s_mov_b32 s30, 0
	s_branch .LBB54_931
.LBB54_928:
	s_mov_b32 s30, -1
                                        ; implicit-def: $vgpr2
	s_branch .LBB54_937
.LBB54_929:
	s_mov_b32 s30, -1
                                        ; implicit-def: $vgpr2
	s_branch .LBB54_934
.LBB54_930:
	s_mov_b32 s30, -1
                                        ; implicit-def: $vgpr2
.LBB54_931:
	s_delay_alu instid0(SALU_CYCLE_1)
	s_and_not1_b32 vcc_lo, exec_lo, s30
	s_cbranch_vccnz .LBB54_933
; %bb.932:
	s_wait_loadcnt 0x0
	global_load_b32 v2, v[0:1], off
.LBB54_933:
	s_mov_b32 s30, 0
.LBB54_934:
	s_delay_alu instid0(SALU_CYCLE_1)
	s_and_not1_b32 vcc_lo, exec_lo, s30
	s_cbranch_vccnz .LBB54_936
; %bb.935:
	s_wait_loadcnt 0x0
	global_load_i16 v2, v[0:1], off
.LBB54_936:
	s_mov_b32 s30, 0
.LBB54_937:
	s_delay_alu instid0(SALU_CYCLE_1)
	s_and_not1_b32 vcc_lo, exec_lo, s30
	s_cbranch_vccnz .LBB54_943
; %bb.938:
	s_cmp_gt_i32 s0, 0
	s_mov_b32 s0, 0
	s_cbranch_scc0 .LBB54_940
; %bb.939:
	s_wait_loadcnt 0x0
	global_load_i8 v2, v[0:1], off
	s_branch .LBB54_941
.LBB54_940:
	s_mov_b32 s0, -1
                                        ; implicit-def: $vgpr2
.LBB54_941:
	s_delay_alu instid0(SALU_CYCLE_1)
	s_and_not1_b32 vcc_lo, exec_lo, s0
	s_cbranch_vccnz .LBB54_943
; %bb.942:
	s_wait_loadcnt 0x0
	global_load_u8 v2, v[0:1], off
.LBB54_943:
	s_mov_b32 s31, -1
.LBB54_944:
	s_mov_b32 s30, 0
	s_mov_b32 s0, s24
	s_and_not1_b32 vcc_lo, exec_lo, s31
	s_mov_b32 s31, s25
	s_mov_b32 s34, 0
	s_cbranch_vccnz .LBB54_1195
; %bb.945:
	s_wait_xcnt 0x0
	v_mul_lo_u32 v0, v6, s5
	s_and_b32 s0, 0xffff, s1
	s_delay_alu instid0(SALU_CYCLE_1) | instskip(NEXT) | instid1(VALU_DEP_1)
	s_cmp_lt_i32 s0, 11
	v_ashrrev_i32_e32 v1, 31, v0
	s_delay_alu instid0(VALU_DEP_1)
	v_add_nc_u64_e32 v[0:1], s[10:11], v[0:1]
	s_cbranch_scc1 .LBB54_952
; %bb.946:
	s_cmp_gt_i32 s0, 25
	s_cbranch_scc0 .LBB54_953
; %bb.947:
	s_cmp_gt_i32 s0, 28
	s_cbranch_scc0 .LBB54_954
; %bb.948:
	s_cmp_gt_i32 s0, 43
	s_cbranch_scc0 .LBB54_955
; %bb.949:
	s_cmp_gt_i32 s0, 45
	s_cbranch_scc0 .LBB54_956
; %bb.950:
	s_cmp_eq_u32 s0, 46
	s_cbranch_scc0 .LBB54_959
; %bb.951:
	s_wait_loadcnt 0x0
	global_load_b32 v3, v[0:1], off
	s_mov_b32 s33, -1
	s_mov_b32 s31, 0
	s_wait_loadcnt 0x0
	v_lshlrev_b32_e32 v3, 16, v3
	s_delay_alu instid0(VALU_DEP_1)
	v_cvt_i32_f32_e32 v3, v3
	s_branch .LBB54_961
.LBB54_952:
	s_mov_b32 s34, -1
	s_mov_b32 s33, 0
	s_mov_b32 s31, s25
                                        ; implicit-def: $vgpr3
	s_branch .LBB54_1022
.LBB54_953:
	s_mov_b32 s34, -1
	s_mov_b32 s33, 0
	s_mov_b32 s31, s25
                                        ; implicit-def: $vgpr3
	s_branch .LBB54_988
.LBB54_954:
	s_mov_b32 s34, -1
	s_mov_b32 s33, 0
	s_mov_b32 s31, s25
                                        ; implicit-def: $vgpr3
	s_branch .LBB54_971
.LBB54_955:
	s_mov_b32 s34, -1
	s_mov_b32 s33, 0
	s_mov_b32 s31, s25
                                        ; implicit-def: $vgpr3
	s_branch .LBB54_966
.LBB54_956:
	s_mov_b32 s34, -1
	s_mov_b32 s33, 0
	s_mov_b32 s31, s25
	s_branch .LBB54_960
.LBB54_957:
	s_and_not1_saveexec_b32 s31, s31
	s_cbranch_execz .LBB54_717
.LBB54_958:
	v_add_f32_e64 v4, 0x42800000, |v1|
	s_and_not1_b32 s30, s30, exec_lo
	s_delay_alu instid0(VALU_DEP_1) | instskip(NEXT) | instid1(VALU_DEP_1)
	v_and_b32_e32 v4, 0xff, v4
	v_cmp_ne_u32_e32 vcc_lo, 0, v4
	s_and_b32 s33, vcc_lo, exec_lo
	s_delay_alu instid0(SALU_CYCLE_1)
	s_or_b32 s30, s30, s33
	s_or_b32 exec_lo, exec_lo, s31
	v_mov_b32_e32 v5, 0
	s_and_saveexec_b32 s31, s30
	s_cbranch_execnz .LBB54_718
	s_branch .LBB54_719
.LBB54_959:
	s_mov_b32 s31, -1
	s_mov_b32 s33, 0
.LBB54_960:
                                        ; implicit-def: $vgpr3
.LBB54_961:
	s_and_b32 vcc_lo, exec_lo, s34
	s_cbranch_vccz .LBB54_965
; %bb.962:
	s_cmp_eq_u32 s0, 44
	s_cbranch_scc0 .LBB54_964
; %bb.963:
	s_wait_loadcnt 0x0
	global_load_u8 v3, v[0:1], off
	s_mov_b32 s31, 0
	s_mov_b32 s33, -1
	s_wait_loadcnt 0x0
	v_lshlrev_b32_e32 v4, 23, v3
	v_cmp_ne_u32_e32 vcc_lo, 0, v3
	s_delay_alu instid0(VALU_DEP_2) | instskip(NEXT) | instid1(VALU_DEP_1)
	v_cvt_i32_f32_e32 v4, v4
	v_cndmask_b32_e32 v3, 0, v4, vcc_lo
	s_branch .LBB54_965
.LBB54_964:
	s_mov_b32 s31, -1
                                        ; implicit-def: $vgpr3
.LBB54_965:
	s_mov_b32 s34, 0
.LBB54_966:
	s_delay_alu instid0(SALU_CYCLE_1)
	s_and_b32 vcc_lo, exec_lo, s34
	s_cbranch_vccz .LBB54_970
; %bb.967:
	s_cmp_eq_u32 s0, 29
	s_cbranch_scc0 .LBB54_969
; %bb.968:
	s_wait_loadcnt 0x0
	global_load_b32 v3, v[0:1], off
	s_mov_b32 s33, -1
	s_mov_b32 s31, 0
	s_branch .LBB54_970
.LBB54_969:
	s_mov_b32 s31, -1
                                        ; implicit-def: $vgpr3
.LBB54_970:
	s_mov_b32 s34, 0
.LBB54_971:
	s_delay_alu instid0(SALU_CYCLE_1)
	s_and_b32 vcc_lo, exec_lo, s34
	s_cbranch_vccz .LBB54_987
; %bb.972:
	s_cmp_lt_i32 s0, 27
	s_cbranch_scc1 .LBB54_975
; %bb.973:
	s_cmp_gt_i32 s0, 27
	s_cbranch_scc0 .LBB54_976
; %bb.974:
	s_wait_loadcnt 0x0
	global_load_b32 v3, v[0:1], off
	s_mov_b32 s33, 0
	s_branch .LBB54_977
.LBB54_975:
	s_mov_b32 s33, -1
                                        ; implicit-def: $vgpr3
	s_branch .LBB54_980
.LBB54_976:
	s_mov_b32 s33, -1
                                        ; implicit-def: $vgpr3
.LBB54_977:
	s_delay_alu instid0(SALU_CYCLE_1)
	s_and_not1_b32 vcc_lo, exec_lo, s33
	s_cbranch_vccnz .LBB54_979
; %bb.978:
	s_wait_loadcnt 0x0
	global_load_u16 v3, v[0:1], off
.LBB54_979:
	s_mov_b32 s33, 0
.LBB54_980:
	s_delay_alu instid0(SALU_CYCLE_1)
	s_and_not1_b32 vcc_lo, exec_lo, s33
	s_cbranch_vccnz .LBB54_986
; %bb.981:
	global_load_u8 v4, v[0:1], off
	s_mov_b32 s34, 0
	s_mov_b32 s33, exec_lo
	s_wait_loadcnt 0x0
	v_cmpx_lt_i16_e32 0x7f, v4
	s_xor_b32 s33, exec_lo, s33
	s_cbranch_execz .LBB54_998
; %bb.982:
	v_cmp_ne_u16_e32 vcc_lo, 0x80, v4
	s_and_b32 s34, vcc_lo, exec_lo
	s_and_not1_saveexec_b32 s33, s33
	s_cbranch_execnz .LBB54_999
.LBB54_983:
	s_or_b32 exec_lo, exec_lo, s33
	v_mov_b32_e32 v3, 0
	s_and_saveexec_b32 s33, s34
	s_cbranch_execz .LBB54_985
.LBB54_984:
	v_and_b32_e32 v3, 0xffff, v4
	s_delay_alu instid0(VALU_DEP_1) | instskip(SKIP_1) | instid1(VALU_DEP_2)
	v_dual_lshlrev_b32 v4, 24, v4 :: v_dual_bitop2_b32 v5, 7, v3 bitop3:0x40
	v_bfe_u32 v9, v3, 3, 4
	v_and_b32_e32 v4, 0x80000000, v4
	s_delay_alu instid0(VALU_DEP_3) | instskip(NEXT) | instid1(VALU_DEP_3)
	v_clz_i32_u32_e32 v7, v5
	v_cmp_eq_u32_e32 vcc_lo, 0, v9
	s_delay_alu instid0(VALU_DEP_2) | instskip(NEXT) | instid1(VALU_DEP_1)
	v_min_u32_e32 v7, 32, v7
	v_subrev_nc_u32_e32 v8, 28, v7
	v_sub_nc_u32_e32 v7, 29, v7
	s_delay_alu instid0(VALU_DEP_2) | instskip(NEXT) | instid1(VALU_DEP_2)
	v_lshlrev_b32_e32 v3, v8, v3
	v_cndmask_b32_e32 v7, v9, v7, vcc_lo
	s_delay_alu instid0(VALU_DEP_2) | instskip(NEXT) | instid1(VALU_DEP_1)
	v_and_b32_e32 v3, 7, v3
	v_cndmask_b32_e32 v3, v5, v3, vcc_lo
	s_delay_alu instid0(VALU_DEP_3) | instskip(NEXT) | instid1(VALU_DEP_2)
	v_lshl_add_u32 v5, v7, 23, 0x3b800000
	v_lshlrev_b32_e32 v3, 20, v3
	s_delay_alu instid0(VALU_DEP_1) | instskip(NEXT) | instid1(VALU_DEP_1)
	v_or3_b32 v3, v4, v5, v3
	v_cvt_i32_f32_e32 v3, v3
.LBB54_985:
	s_or_b32 exec_lo, exec_lo, s33
.LBB54_986:
	s_mov_b32 s33, -1
.LBB54_987:
	s_mov_b32 s34, 0
.LBB54_988:
	s_delay_alu instid0(SALU_CYCLE_1)
	s_and_b32 vcc_lo, exec_lo, s34
	s_cbranch_vccz .LBB54_1021
; %bb.989:
	s_cmp_gt_i32 s0, 22
	s_cbranch_scc0 .LBB54_997
; %bb.990:
	s_cmp_lt_i32 s0, 24
	s_cbranch_scc1 .LBB54_1000
; %bb.991:
	s_cmp_gt_i32 s0, 24
	s_cbranch_scc0 .LBB54_1001
; %bb.992:
	global_load_u8 v4, v[0:1], off
	s_mov_b32 s34, 0
	s_mov_b32 s33, exec_lo
	s_wait_loadcnt 0x0
	v_cmpx_lt_i16_e32 0x7f, v4
	s_xor_b32 s33, exec_lo, s33
	s_cbranch_execz .LBB54_1013
; %bb.993:
	v_cmp_ne_u16_e32 vcc_lo, 0x80, v4
	s_and_b32 s34, vcc_lo, exec_lo
	s_and_not1_saveexec_b32 s33, s33
	s_cbranch_execnz .LBB54_1014
.LBB54_994:
	s_or_b32 exec_lo, exec_lo, s33
	v_mov_b32_e32 v3, 0
	s_and_saveexec_b32 s33, s34
	s_cbranch_execz .LBB54_996
.LBB54_995:
	v_and_b32_e32 v3, 0xffff, v4
	s_delay_alu instid0(VALU_DEP_1) | instskip(SKIP_1) | instid1(VALU_DEP_2)
	v_dual_lshlrev_b32 v4, 24, v4 :: v_dual_bitop2_b32 v5, 3, v3 bitop3:0x40
	v_bfe_u32 v9, v3, 2, 5
	v_and_b32_e32 v4, 0x80000000, v4
	s_delay_alu instid0(VALU_DEP_3) | instskip(NEXT) | instid1(VALU_DEP_3)
	v_clz_i32_u32_e32 v7, v5
	v_cmp_eq_u32_e32 vcc_lo, 0, v9
	s_delay_alu instid0(VALU_DEP_2) | instskip(NEXT) | instid1(VALU_DEP_1)
	v_min_u32_e32 v7, 32, v7
	v_subrev_nc_u32_e32 v8, 29, v7
	v_sub_nc_u32_e32 v7, 30, v7
	s_delay_alu instid0(VALU_DEP_2) | instskip(NEXT) | instid1(VALU_DEP_2)
	v_lshlrev_b32_e32 v3, v8, v3
	v_cndmask_b32_e32 v7, v9, v7, vcc_lo
	s_delay_alu instid0(VALU_DEP_2) | instskip(NEXT) | instid1(VALU_DEP_1)
	v_and_b32_e32 v3, 3, v3
	v_cndmask_b32_e32 v3, v5, v3, vcc_lo
	s_delay_alu instid0(VALU_DEP_3) | instskip(NEXT) | instid1(VALU_DEP_2)
	v_lshl_add_u32 v5, v7, 23, 0x37800000
	v_lshlrev_b32_e32 v3, 21, v3
	s_delay_alu instid0(VALU_DEP_1) | instskip(NEXT) | instid1(VALU_DEP_1)
	v_or3_b32 v3, v4, v5, v3
	v_cvt_i32_f32_e32 v3, v3
.LBB54_996:
	s_or_b32 exec_lo, exec_lo, s33
	s_mov_b32 s33, 0
	s_branch .LBB54_1002
.LBB54_997:
	s_mov_b32 s34, -1
                                        ; implicit-def: $vgpr3
	s_branch .LBB54_1008
.LBB54_998:
	s_and_not1_saveexec_b32 s33, s33
	s_cbranch_execz .LBB54_983
.LBB54_999:
	v_cmp_ne_u16_e32 vcc_lo, 0, v4
	s_and_not1_b32 s34, s34, exec_lo
	s_and_b32 s35, vcc_lo, exec_lo
	s_delay_alu instid0(SALU_CYCLE_1)
	s_or_b32 s34, s34, s35
	s_or_b32 exec_lo, exec_lo, s33
	v_mov_b32_e32 v3, 0
	s_and_saveexec_b32 s33, s34
	s_cbranch_execnz .LBB54_984
	s_branch .LBB54_985
.LBB54_1000:
	s_mov_b32 s33, -1
                                        ; implicit-def: $vgpr3
	s_branch .LBB54_1005
.LBB54_1001:
	s_mov_b32 s33, -1
                                        ; implicit-def: $vgpr3
.LBB54_1002:
	s_delay_alu instid0(SALU_CYCLE_1)
	s_and_b32 vcc_lo, exec_lo, s33
	s_cbranch_vccz .LBB54_1004
; %bb.1003:
	s_wait_loadcnt 0x0
	global_load_u8 v3, v[0:1], off
	s_wait_loadcnt 0x0
	v_lshlrev_b32_e32 v3, 24, v3
	s_delay_alu instid0(VALU_DEP_1) | instskip(NEXT) | instid1(VALU_DEP_1)
	v_and_b32_e32 v4, 0x7f000000, v3
	v_clz_i32_u32_e32 v5, v4
	v_add_nc_u32_e32 v8, 0x1000000, v4
	v_cmp_ne_u32_e32 vcc_lo, 0, v4
	s_delay_alu instid0(VALU_DEP_3) | instskip(NEXT) | instid1(VALU_DEP_1)
	v_min_u32_e32 v5, 32, v5
	v_sub_nc_u32_e64 v5, v5, 4 clamp
	s_delay_alu instid0(VALU_DEP_1) | instskip(NEXT) | instid1(VALU_DEP_1)
	v_dual_lshlrev_b32 v7, v5, v4 :: v_dual_lshlrev_b32 v5, 23, v5
	v_lshrrev_b32_e32 v7, 4, v7
	s_delay_alu instid0(VALU_DEP_1) | instskip(NEXT) | instid1(VALU_DEP_1)
	v_dual_sub_nc_u32 v5, v7, v5 :: v_dual_ashrrev_i32 v7, 8, v8
	v_add_nc_u32_e32 v5, 0x3c000000, v5
	s_delay_alu instid0(VALU_DEP_1) | instskip(NEXT) | instid1(VALU_DEP_1)
	v_and_or_b32 v5, 0x7f800000, v7, v5
	v_cndmask_b32_e32 v4, 0, v5, vcc_lo
	s_delay_alu instid0(VALU_DEP_1) | instskip(NEXT) | instid1(VALU_DEP_1)
	v_and_or_b32 v3, 0x80000000, v3, v4
	v_cvt_i32_f32_e32 v3, v3
.LBB54_1004:
	s_mov_b32 s33, 0
.LBB54_1005:
	s_delay_alu instid0(SALU_CYCLE_1)
	s_and_not1_b32 vcc_lo, exec_lo, s33
	s_cbranch_vccnz .LBB54_1007
; %bb.1006:
	s_wait_loadcnt 0x0
	global_load_u8 v3, v[0:1], off
	s_wait_loadcnt 0x0
	v_lshlrev_b32_e32 v4, 25, v3
	v_lshlrev_b16 v3, 8, v3
	s_delay_alu instid0(VALU_DEP_1) | instskip(NEXT) | instid1(VALU_DEP_3)
	v_and_or_b32 v7, 0x7f00, v3, 0.5
	v_lshrrev_b32_e32 v5, 4, v4
	v_bfe_i32 v3, v3, 0, 16
	s_delay_alu instid0(VALU_DEP_3) | instskip(NEXT) | instid1(VALU_DEP_3)
	v_add_f32_e32 v7, -0.5, v7
	v_or_b32_e32 v5, 0x70000000, v5
	s_delay_alu instid0(VALU_DEP_1) | instskip(SKIP_1) | instid1(VALU_DEP_2)
	v_mul_f32_e32 v5, 0x7800000, v5
	v_cmp_gt_u32_e32 vcc_lo, 0x8000000, v4
	v_cndmask_b32_e32 v4, v5, v7, vcc_lo
	s_delay_alu instid0(VALU_DEP_1) | instskip(NEXT) | instid1(VALU_DEP_1)
	v_and_or_b32 v3, 0x80000000, v3, v4
	v_cvt_i32_f32_e32 v3, v3
.LBB54_1007:
	s_mov_b32 s34, 0
	s_mov_b32 s33, -1
.LBB54_1008:
	s_and_not1_b32 vcc_lo, exec_lo, s34
	s_cbranch_vccnz .LBB54_1021
; %bb.1009:
	s_cmp_gt_i32 s0, 14
	s_cbranch_scc0 .LBB54_1012
; %bb.1010:
	s_cmp_eq_u32 s0, 15
	s_cbranch_scc0 .LBB54_1015
; %bb.1011:
	s_wait_loadcnt 0x0
	global_load_u16 v3, v[0:1], off
	s_mov_b32 s33, -1
	s_mov_b32 s31, 0
	s_wait_loadcnt 0x0
	v_lshlrev_b32_e32 v3, 16, v3
	s_delay_alu instid0(VALU_DEP_1)
	v_cvt_i32_f32_e32 v3, v3
	s_branch .LBB54_1016
.LBB54_1012:
	s_mov_b32 s34, -1
                                        ; implicit-def: $vgpr3
	s_branch .LBB54_1017
.LBB54_1013:
	s_and_not1_saveexec_b32 s33, s33
	s_cbranch_execz .LBB54_994
.LBB54_1014:
	v_cmp_ne_u16_e32 vcc_lo, 0, v4
	s_and_not1_b32 s34, s34, exec_lo
	s_and_b32 s35, vcc_lo, exec_lo
	s_delay_alu instid0(SALU_CYCLE_1)
	s_or_b32 s34, s34, s35
	s_or_b32 exec_lo, exec_lo, s33
	v_mov_b32_e32 v3, 0
	s_and_saveexec_b32 s33, s34
	s_cbranch_execnz .LBB54_995
	s_branch .LBB54_996
.LBB54_1015:
	s_mov_b32 s31, -1
                                        ; implicit-def: $vgpr3
.LBB54_1016:
	s_mov_b32 s34, 0
.LBB54_1017:
	s_delay_alu instid0(SALU_CYCLE_1)
	s_and_b32 vcc_lo, exec_lo, s34
	s_cbranch_vccz .LBB54_1021
; %bb.1018:
	s_cmp_eq_u32 s0, 11
	s_cbranch_scc0 .LBB54_1020
; %bb.1019:
	s_wait_loadcnt 0x0
	global_load_u8 v3, v[0:1], off
	s_mov_b32 s31, 0
	s_mov_b32 s33, -1
	s_wait_loadcnt 0x0
	v_cmp_ne_u16_e32 vcc_lo, 0, v3
	v_cndmask_b32_e64 v3, 0, 1, vcc_lo
	s_branch .LBB54_1021
.LBB54_1020:
	s_mov_b32 s31, -1
                                        ; implicit-def: $vgpr3
.LBB54_1021:
	s_mov_b32 s34, 0
.LBB54_1022:
	s_delay_alu instid0(SALU_CYCLE_1)
	s_and_b32 vcc_lo, exec_lo, s34
	s_cbranch_vccz .LBB54_1071
; %bb.1023:
	s_cmp_lt_i32 s0, 5
	s_cbranch_scc1 .LBB54_1028
; %bb.1024:
	s_cmp_lt_i32 s0, 8
	s_cbranch_scc1 .LBB54_1029
	;; [unrolled: 3-line block ×3, first 2 shown]
; %bb.1026:
	s_cmp_gt_i32 s0, 9
	s_cbranch_scc0 .LBB54_1031
; %bb.1027:
	global_load_b64 v[4:5], v[0:1], off
	s_mov_b32 s33, 0
	s_wait_loadcnt 0x0
	v_cvt_i32_f64_e32 v3, v[4:5]
	s_branch .LBB54_1032
.LBB54_1028:
	s_mov_b32 s33, -1
                                        ; implicit-def: $vgpr3
	s_branch .LBB54_1050
.LBB54_1029:
	s_mov_b32 s33, -1
                                        ; implicit-def: $vgpr3
	s_branch .LBB54_1038
.LBB54_1030:
	s_mov_b32 s33, -1
                                        ; implicit-def: $vgpr3
	s_branch .LBB54_1035
.LBB54_1031:
	s_mov_b32 s33, -1
                                        ; implicit-def: $vgpr3
.LBB54_1032:
	s_delay_alu instid0(SALU_CYCLE_1)
	s_and_not1_b32 vcc_lo, exec_lo, s33
	s_cbranch_vccnz .LBB54_1034
; %bb.1033:
	s_wait_loadcnt 0x0
	global_load_b32 v3, v[0:1], off
	s_wait_loadcnt 0x0
	v_cvt_i32_f32_e32 v3, v3
.LBB54_1034:
	s_mov_b32 s33, 0
.LBB54_1035:
	s_delay_alu instid0(SALU_CYCLE_1)
	s_and_not1_b32 vcc_lo, exec_lo, s33
	s_cbranch_vccnz .LBB54_1037
; %bb.1036:
	s_wait_loadcnt 0x0
	global_load_b32 v3, v[0:1], off
	s_wait_loadcnt 0x0
	v_cvt_f32_f16_e32 v3, v3
	s_delay_alu instid0(VALU_DEP_1)
	v_cvt_i32_f32_e32 v3, v3
.LBB54_1037:
	s_mov_b32 s33, 0
.LBB54_1038:
	s_delay_alu instid0(SALU_CYCLE_1)
	s_and_not1_b32 vcc_lo, exec_lo, s33
	s_cbranch_vccnz .LBB54_1049
; %bb.1039:
	s_cmp_lt_i32 s0, 6
	s_cbranch_scc1 .LBB54_1042
; %bb.1040:
	s_cmp_gt_i32 s0, 6
	s_cbranch_scc0 .LBB54_1043
; %bb.1041:
	global_load_b64 v[4:5], v[0:1], off
	s_mov_b32 s33, 0
	s_wait_loadcnt 0x0
	v_cvt_i32_f64_e32 v3, v[4:5]
	s_branch .LBB54_1044
.LBB54_1042:
	s_mov_b32 s33, -1
                                        ; implicit-def: $vgpr3
	s_branch .LBB54_1047
.LBB54_1043:
	s_mov_b32 s33, -1
                                        ; implicit-def: $vgpr3
.LBB54_1044:
	s_delay_alu instid0(SALU_CYCLE_1)
	s_and_not1_b32 vcc_lo, exec_lo, s33
	s_cbranch_vccnz .LBB54_1046
; %bb.1045:
	s_wait_loadcnt 0x0
	global_load_b32 v3, v[0:1], off
	s_wait_loadcnt 0x0
	v_cvt_i32_f32_e32 v3, v3
.LBB54_1046:
	s_mov_b32 s33, 0
.LBB54_1047:
	s_delay_alu instid0(SALU_CYCLE_1)
	s_and_not1_b32 vcc_lo, exec_lo, s33
	s_cbranch_vccnz .LBB54_1049
; %bb.1048:
	s_wait_loadcnt 0x0
	global_load_u16 v3, v[0:1], off
	s_wait_loadcnt 0x0
	v_cvt_f32_f16_e32 v3, v3
	s_delay_alu instid0(VALU_DEP_1)
	v_cvt_i32_f32_e32 v3, v3
.LBB54_1049:
	s_mov_b32 s33, 0
.LBB54_1050:
	s_delay_alu instid0(SALU_CYCLE_1)
	s_and_not1_b32 vcc_lo, exec_lo, s33
	s_cbranch_vccnz .LBB54_1070
; %bb.1051:
	s_cmp_lt_i32 s0, 2
	s_cbranch_scc1 .LBB54_1055
; %bb.1052:
	s_cmp_lt_i32 s0, 3
	s_cbranch_scc1 .LBB54_1056
; %bb.1053:
	s_cmp_gt_i32 s0, 3
	s_cbranch_scc0 .LBB54_1057
; %bb.1054:
	s_wait_loadcnt 0x0
	global_load_b32 v3, v[0:1], off
	s_mov_b32 s33, 0
	s_branch .LBB54_1058
.LBB54_1055:
	s_mov_b32 s33, -1
                                        ; implicit-def: $vgpr3
	s_branch .LBB54_1064
.LBB54_1056:
	s_mov_b32 s33, -1
                                        ; implicit-def: $vgpr3
	s_branch .LBB54_1061
.LBB54_1057:
	s_mov_b32 s33, -1
                                        ; implicit-def: $vgpr3
.LBB54_1058:
	s_delay_alu instid0(SALU_CYCLE_1)
	s_and_not1_b32 vcc_lo, exec_lo, s33
	s_cbranch_vccnz .LBB54_1060
; %bb.1059:
	s_wait_loadcnt 0x0
	global_load_b32 v3, v[0:1], off
.LBB54_1060:
	s_mov_b32 s33, 0
.LBB54_1061:
	s_delay_alu instid0(SALU_CYCLE_1)
	s_and_not1_b32 vcc_lo, exec_lo, s33
	s_cbranch_vccnz .LBB54_1063
; %bb.1062:
	s_wait_loadcnt 0x0
	global_load_i16 v3, v[0:1], off
.LBB54_1063:
	s_mov_b32 s33, 0
.LBB54_1064:
	s_delay_alu instid0(SALU_CYCLE_1)
	s_and_not1_b32 vcc_lo, exec_lo, s33
	s_cbranch_vccnz .LBB54_1070
; %bb.1065:
	s_cmp_gt_i32 s0, 0
	s_mov_b32 s0, 0
	s_cbranch_scc0 .LBB54_1067
; %bb.1066:
	s_wait_loadcnt 0x0
	global_load_i8 v3, v[0:1], off
	s_branch .LBB54_1068
.LBB54_1067:
	s_mov_b32 s0, -1
                                        ; implicit-def: $vgpr3
.LBB54_1068:
	s_delay_alu instid0(SALU_CYCLE_1)
	s_and_not1_b32 vcc_lo, exec_lo, s0
	s_cbranch_vccnz .LBB54_1070
; %bb.1069:
	s_wait_loadcnt 0x0
	global_load_u8 v3, v[0:1], off
.LBB54_1070:
	s_mov_b32 s33, -1
.LBB54_1071:
	s_delay_alu instid0(SALU_CYCLE_1)
	s_and_not1_b32 vcc_lo, exec_lo, s33
	s_cbranch_vccnz .LBB54_1079
; %bb.1072:
	v_mul_lo_u32 v4, v6, s12
	s_wait_loadcnt 0x0
	v_mul_lo_u32 v0, v2, s6
	s_and_b32 s33, s7, 0xff
	s_delay_alu instid0(SALU_CYCLE_1) | instskip(NEXT) | instid1(VALU_DEP_2)
	s_cmp_lt_i32 s33, 11
	v_ashrrev_i32_e32 v5, 31, v4
	s_delay_alu instid0(VALU_DEP_2) | instskip(NEXT) | instid1(VALU_DEP_2)
	v_mul_lo_u32 v0, v0, v3
	v_add_nc_u64_e32 v[2:3], s[2:3], v[4:5]
	s_cbranch_scc1 .LBB54_1080
; %bb.1073:
	s_and_b32 s34, 0xffff, s33
	s_delay_alu instid0(SALU_CYCLE_1)
	s_cmp_gt_i32 s34, 25
	s_cbranch_scc0 .LBB54_1081
; %bb.1074:
	s_cmp_gt_i32 s34, 28
	s_cbranch_scc0 .LBB54_1082
; %bb.1075:
	;; [unrolled: 3-line block ×4, first 2 shown]
	s_mov_b32 s36, 0
	s_mov_b32 s0, -1
	s_cmp_eq_u32 s34, 46
	s_mov_b32 s35, 0
	s_cbranch_scc0 .LBB54_1085
; %bb.1078:
	v_cvt_f32_i32_e32 v1, v0
	s_mov_b32 s35, -1
	s_mov_b32 s0, 0
	s_delay_alu instid0(VALU_DEP_1) | instskip(NEXT) | instid1(VALU_DEP_1)
	v_bfe_u32 v4, v1, 16, 1
	v_add3_u32 v1, v1, v4, 0x7fff
	s_delay_alu instid0(VALU_DEP_1)
	v_lshrrev_b32_e32 v1, 16, v1
	global_store_b32 v[2:3], v1, off
	s_branch .LBB54_1085
.LBB54_1079:
	s_mov_b32 s34, 0
	s_mov_b32 s0, s24
	s_branch .LBB54_824
.LBB54_1080:
	s_mov_b32 s34, -1
	s_mov_b32 s35, 0
	s_mov_b32 s0, s24
	s_branch .LBB54_1154
.LBB54_1081:
	s_mov_b32 s36, -1
	s_mov_b32 s35, 0
	s_mov_b32 s0, s24
	s_branch .LBB54_1112
.LBB54_1082:
	s_mov_b32 s36, -1
	s_mov_b32 s35, 0
	s_mov_b32 s0, s24
	s_branch .LBB54_1095
.LBB54_1083:
	s_mov_b32 s36, -1
	s_mov_b32 s35, 0
	s_mov_b32 s0, s24
	s_branch .LBB54_1091
.LBB54_1084:
	s_mov_b32 s36, -1
	s_mov_b32 s35, 0
	s_mov_b32 s0, s24
.LBB54_1085:
	s_and_b32 vcc_lo, exec_lo, s36
	s_cbranch_vccz .LBB54_1090
; %bb.1086:
	s_cmp_eq_u32 s34, 44
	s_mov_b32 s0, -1
	s_cbranch_scc0 .LBB54_1090
; %bb.1087:
	s_wait_xcnt 0x0
	v_cvt_f32_i32_e32 v1, v0
	v_mov_b32_e32 v4, 0xff
	s_mov_b32 s35, exec_lo
	s_delay_alu instid0(VALU_DEP_2) | instskip(NEXT) | instid1(VALU_DEP_1)
	v_bfe_u32 v5, v1, 23, 8
	v_cmpx_ne_u32_e32 0xff, v5
	s_cbranch_execz .LBB54_1089
; %bb.1088:
	v_and_b32_e32 v4, 0x400000, v1
	v_and_or_b32 v5, 0x3fffff, v1, v5
	v_lshrrev_b32_e32 v1, 23, v1
	s_delay_alu instid0(VALU_DEP_3) | instskip(NEXT) | instid1(VALU_DEP_3)
	v_cmp_ne_u32_e32 vcc_lo, 0, v4
	v_cmp_ne_u32_e64 s0, 0, v5
	s_and_b32 s0, vcc_lo, s0
	s_delay_alu instid0(SALU_CYCLE_1) | instskip(NEXT) | instid1(VALU_DEP_1)
	v_cndmask_b32_e64 v4, 0, 1, s0
	v_add_nc_u32_e32 v4, v1, v4
.LBB54_1089:
	s_or_b32 exec_lo, exec_lo, s35
	s_mov_b32 s35, -1
	s_mov_b32 s0, 0
	global_store_b8 v[2:3], v4, off
.LBB54_1090:
	s_mov_b32 s36, 0
.LBB54_1091:
	s_delay_alu instid0(SALU_CYCLE_1)
	s_and_b32 vcc_lo, exec_lo, s36
	s_cbranch_vccz .LBB54_1094
; %bb.1092:
	s_cmp_eq_u32 s34, 29
	s_mov_b32 s0, -1
	s_cbranch_scc0 .LBB54_1094
; %bb.1093:
	s_wait_xcnt 0x0
	v_ashrrev_i32_e32 v1, 31, v0
	s_mov_b32 s35, -1
	s_mov_b32 s0, 0
	s_mov_b32 s36, 0
	global_store_b64 v[2:3], v[0:1], off
	s_branch .LBB54_1095
.LBB54_1094:
	s_mov_b32 s36, 0
.LBB54_1095:
	s_delay_alu instid0(SALU_CYCLE_1)
	s_and_b32 vcc_lo, exec_lo, s36
	s_cbranch_vccz .LBB54_1111
; %bb.1096:
	s_cmp_lt_i32 s34, 27
	s_mov_b32 s35, -1
	s_cbranch_scc1 .LBB54_1102
; %bb.1097:
	s_cmp_gt_i32 s34, 27
	s_cbranch_scc0 .LBB54_1099
; %bb.1098:
	s_mov_b32 s35, 0
	global_store_b32 v[2:3], v0, off
.LBB54_1099:
	s_and_not1_b32 vcc_lo, exec_lo, s35
	s_cbranch_vccnz .LBB54_1101
; %bb.1100:
	global_store_b16 v[2:3], v0, off
.LBB54_1101:
	s_mov_b32 s35, 0
.LBB54_1102:
	s_delay_alu instid0(SALU_CYCLE_1)
	s_and_not1_b32 vcc_lo, exec_lo, s35
	s_cbranch_vccnz .LBB54_1110
; %bb.1103:
	s_wait_xcnt 0x0
	v_cvt_f32_i32_e32 v1, v0
	v_mov_b32_e32 v5, 0x80
	s_mov_b32 s35, exec_lo
	s_delay_alu instid0(VALU_DEP_2) | instskip(NEXT) | instid1(VALU_DEP_1)
	v_and_b32_e32 v4, 0x7fffffff, v1
	v_cmpx_gt_u32_e32 0x43800000, v4
	s_cbranch_execz .LBB54_1109
; %bb.1104:
	v_cmp_lt_u32_e32 vcc_lo, 0x3bffffff, v4
	s_mov_b32 s36, 0
                                        ; implicit-def: $vgpr4
	s_and_saveexec_b32 s37, vcc_lo
	s_delay_alu instid0(SALU_CYCLE_1)
	s_xor_b32 s37, exec_lo, s37
	s_cbranch_execz .LBB54_2025
; %bb.1105:
	v_bfe_u32 v4, v1, 20, 1
	s_mov_b32 s36, exec_lo
	s_delay_alu instid0(VALU_DEP_1) | instskip(NEXT) | instid1(VALU_DEP_1)
	v_add3_u32 v4, v1, v4, 0x487ffff
	v_lshrrev_b32_e32 v4, 20, v4
	s_and_not1_saveexec_b32 s37, s37
	s_cbranch_execnz .LBB54_2026
.LBB54_1106:
	s_or_b32 exec_lo, exec_lo, s37
	v_mov_b32_e32 v5, 0
	s_and_saveexec_b32 s37, s36
.LBB54_1107:
	v_lshrrev_b32_e32 v1, 24, v1
	s_delay_alu instid0(VALU_DEP_1)
	v_and_or_b32 v5, 0x80, v1, v4
.LBB54_1108:
	s_or_b32 exec_lo, exec_lo, s37
.LBB54_1109:
	s_delay_alu instid0(SALU_CYCLE_1)
	s_or_b32 exec_lo, exec_lo, s35
	global_store_b8 v[2:3], v5, off
.LBB54_1110:
	s_mov_b32 s35, -1
.LBB54_1111:
	s_mov_b32 s36, 0
.LBB54_1112:
	s_delay_alu instid0(SALU_CYCLE_1)
	s_and_b32 vcc_lo, exec_lo, s36
	s_cbranch_vccz .LBB54_1153
; %bb.1113:
	s_cmp_gt_i32 s34, 22
	s_mov_b32 s36, -1
	s_cbranch_scc0 .LBB54_1145
; %bb.1114:
	s_cmp_lt_i32 s34, 24
	s_mov_b32 s35, -1
	s_cbranch_scc1 .LBB54_1134
; %bb.1115:
	s_cmp_gt_i32 s34, 24
	s_cbranch_scc0 .LBB54_1123
; %bb.1116:
	s_wait_xcnt 0x0
	v_cvt_f32_i32_e32 v1, v0
	v_mov_b32_e32 v5, 0x80
	s_mov_b32 s35, exec_lo
	s_delay_alu instid0(VALU_DEP_2) | instskip(NEXT) | instid1(VALU_DEP_1)
	v_and_b32_e32 v4, 0x7fffffff, v1
	v_cmpx_gt_u32_e32 0x47800000, v4
	s_cbranch_execz .LBB54_1122
; %bb.1117:
	v_cmp_lt_u32_e32 vcc_lo, 0x37ffffff, v4
	s_mov_b32 s36, 0
                                        ; implicit-def: $vgpr4
	s_and_saveexec_b32 s37, vcc_lo
	s_delay_alu instid0(SALU_CYCLE_1)
	s_xor_b32 s37, exec_lo, s37
	s_cbranch_execz .LBB54_2174
; %bb.1118:
	v_bfe_u32 v4, v1, 21, 1
	s_mov_b32 s36, exec_lo
	s_delay_alu instid0(VALU_DEP_1) | instskip(NEXT) | instid1(VALU_DEP_1)
	v_add3_u32 v4, v1, v4, 0x88fffff
	v_lshrrev_b32_e32 v4, 21, v4
	s_and_not1_saveexec_b32 s37, s37
	s_cbranch_execnz .LBB54_2175
.LBB54_1119:
	s_or_b32 exec_lo, exec_lo, s37
	v_mov_b32_e32 v5, 0
	s_and_saveexec_b32 s37, s36
.LBB54_1120:
	v_lshrrev_b32_e32 v1, 24, v1
	s_delay_alu instid0(VALU_DEP_1)
	v_and_or_b32 v5, 0x80, v1, v4
.LBB54_1121:
	s_or_b32 exec_lo, exec_lo, s37
.LBB54_1122:
	s_delay_alu instid0(SALU_CYCLE_1)
	s_or_b32 exec_lo, exec_lo, s35
	s_mov_b32 s35, 0
	global_store_b8 v[2:3], v5, off
.LBB54_1123:
	s_and_b32 vcc_lo, exec_lo, s35
	s_cbranch_vccz .LBB54_1133
; %bb.1124:
	s_wait_xcnt 0x0
	v_cvt_f32_i32_e32 v1, v0
	s_mov_b32 s35, exec_lo
                                        ; implicit-def: $vgpr4
	s_delay_alu instid0(VALU_DEP_1) | instskip(NEXT) | instid1(VALU_DEP_1)
	v_and_b32_e32 v5, 0x7fffffff, v1
	v_cmpx_gt_u32_e32 0x43f00000, v5
	s_xor_b32 s35, exec_lo, s35
	s_cbranch_execz .LBB54_1130
; %bb.1125:
	s_mov_b32 s36, exec_lo
                                        ; implicit-def: $vgpr4
	v_cmpx_lt_u32_e32 0x3c7fffff, v5
	s_xor_b32 s36, exec_lo, s36
; %bb.1126:
	v_bfe_u32 v4, v1, 20, 1
	s_delay_alu instid0(VALU_DEP_1) | instskip(NEXT) | instid1(VALU_DEP_1)
	v_add3_u32 v4, v1, v4, 0x407ffff
	v_and_b32_e32 v5, 0xff00000, v4
	v_lshrrev_b32_e32 v4, 20, v4
	s_delay_alu instid0(VALU_DEP_2) | instskip(NEXT) | instid1(VALU_DEP_2)
	v_cmp_ne_u32_e32 vcc_lo, 0x7f00000, v5
	v_cndmask_b32_e32 v4, 0x7e, v4, vcc_lo
; %bb.1127:
	s_and_not1_saveexec_b32 s36, s36
; %bb.1128:
	v_add_f32_e64 v4, 0x46800000, |v1|
; %bb.1129:
	s_or_b32 exec_lo, exec_lo, s36
                                        ; implicit-def: $vgpr5
.LBB54_1130:
	s_and_not1_saveexec_b32 s35, s35
; %bb.1131:
	v_mov_b32_e32 v4, 0x7f
	v_cmp_lt_u32_e32 vcc_lo, 0x7f800000, v5
	s_delay_alu instid0(VALU_DEP_2)
	v_cndmask_b32_e32 v4, 0x7e, v4, vcc_lo
; %bb.1132:
	s_or_b32 exec_lo, exec_lo, s35
	v_lshrrev_b32_e32 v1, 24, v1
	s_delay_alu instid0(VALU_DEP_1)
	v_and_or_b32 v1, 0x80, v1, v4
	global_store_b8 v[2:3], v1, off
.LBB54_1133:
	s_mov_b32 s35, 0
.LBB54_1134:
	s_delay_alu instid0(SALU_CYCLE_1)
	s_and_not1_b32 vcc_lo, exec_lo, s35
	s_cbranch_vccnz .LBB54_1144
; %bb.1135:
	s_wait_xcnt 0x0
	v_cvt_f32_i32_e32 v1, v0
	s_mov_b32 s35, exec_lo
                                        ; implicit-def: $vgpr4
	s_delay_alu instid0(VALU_DEP_1) | instskip(NEXT) | instid1(VALU_DEP_1)
	v_and_b32_e32 v5, 0x7fffffff, v1
	v_cmpx_gt_u32_e32 0x47800000, v5
	s_xor_b32 s35, exec_lo, s35
	s_cbranch_execz .LBB54_1141
; %bb.1136:
	s_mov_b32 s36, exec_lo
                                        ; implicit-def: $vgpr4
	v_cmpx_lt_u32_e32 0x387fffff, v5
	s_xor_b32 s36, exec_lo, s36
; %bb.1137:
	v_bfe_u32 v4, v1, 21, 1
	s_delay_alu instid0(VALU_DEP_1) | instskip(NEXT) | instid1(VALU_DEP_1)
	v_add3_u32 v4, v1, v4, 0x80fffff
	v_lshrrev_b32_e32 v4, 21, v4
; %bb.1138:
	s_and_not1_saveexec_b32 s36, s36
; %bb.1139:
	v_add_f32_e64 v4, 0x43000000, |v1|
; %bb.1140:
	s_or_b32 exec_lo, exec_lo, s36
                                        ; implicit-def: $vgpr5
.LBB54_1141:
	s_and_not1_saveexec_b32 s35, s35
; %bb.1142:
	v_mov_b32_e32 v4, 0x7f
	v_cmp_lt_u32_e32 vcc_lo, 0x7f800000, v5
	s_delay_alu instid0(VALU_DEP_2)
	v_cndmask_b32_e32 v4, 0x7c, v4, vcc_lo
; %bb.1143:
	s_or_b32 exec_lo, exec_lo, s35
	v_lshrrev_b32_e32 v1, 24, v1
	s_delay_alu instid0(VALU_DEP_1)
	v_and_or_b32 v1, 0x80, v1, v4
	global_store_b8 v[2:3], v1, off
.LBB54_1144:
	s_mov_b32 s36, 0
	s_mov_b32 s35, -1
.LBB54_1145:
	s_and_not1_b32 vcc_lo, exec_lo, s36
	s_cbranch_vccnz .LBB54_1153
; %bb.1146:
	s_cmp_gt_i32 s34, 14
	s_mov_b32 s36, -1
	s_cbranch_scc0 .LBB54_1150
; %bb.1147:
	s_cmp_eq_u32 s34, 15
	s_mov_b32 s0, -1
	s_cbranch_scc0 .LBB54_1149
; %bb.1148:
	s_wait_xcnt 0x0
	v_cvt_f32_i32_e32 v1, v0
	s_mov_b32 s35, -1
	s_mov_b32 s0, 0
	s_delay_alu instid0(VALU_DEP_1) | instskip(NEXT) | instid1(VALU_DEP_1)
	v_bfe_u32 v4, v1, 16, 1
	v_add3_u32 v1, v1, v4, 0x7fff
	global_store_d16_hi_b16 v[2:3], v1, off
.LBB54_1149:
	s_mov_b32 s36, 0
.LBB54_1150:
	s_delay_alu instid0(SALU_CYCLE_1)
	s_and_b32 vcc_lo, exec_lo, s36
	s_cbranch_vccz .LBB54_1153
; %bb.1151:
	s_cmp_eq_u32 s34, 11
	s_mov_b32 s0, -1
	s_cbranch_scc0 .LBB54_1153
; %bb.1152:
	v_cmp_ne_u32_e32 vcc_lo, 0, v0
	s_mov_b32 s0, 0
	s_mov_b32 s35, -1
	s_wait_xcnt 0x0
	v_cndmask_b32_e64 v1, 0, 1, vcc_lo
	global_store_b8 v[2:3], v1, off
.LBB54_1153:
	s_mov_b32 s34, 0
.LBB54_1154:
	s_delay_alu instid0(SALU_CYCLE_1)
	s_and_b32 vcc_lo, exec_lo, s34
	s_cbranch_vccz .LBB54_1193
; %bb.1155:
	s_and_b32 s33, 0xffff, s33
	s_mov_b32 s34, -1
	s_cmp_lt_i32 s33, 5
	s_cbranch_scc1 .LBB54_1176
; %bb.1156:
	s_cmp_lt_i32 s33, 8
	s_cbranch_scc1 .LBB54_1166
; %bb.1157:
	s_cmp_lt_i32 s33, 9
	s_cbranch_scc1 .LBB54_1163
; %bb.1158:
	s_cmp_gt_i32 s33, 9
	s_cbranch_scc0 .LBB54_1160
; %bb.1159:
	v_cvt_f64_i32_e32 v[8:9], v0
	v_mov_b32_e32 v10, 0
	s_mov_b32 s34, 0
	s_delay_alu instid0(VALU_DEP_1)
	v_mov_b32_e32 v11, v10
	global_store_b128 v[2:3], v[8:11], off
.LBB54_1160:
	s_and_not1_b32 vcc_lo, exec_lo, s34
	s_cbranch_vccnz .LBB54_1162
; %bb.1161:
	s_wait_xcnt 0x0
	v_cvt_f32_i32_e32 v4, v0
	v_mov_b32_e32 v5, 0
	global_store_b64 v[2:3], v[4:5], off
.LBB54_1162:
	s_mov_b32 s34, 0
.LBB54_1163:
	s_delay_alu instid0(SALU_CYCLE_1)
	s_and_not1_b32 vcc_lo, exec_lo, s34
	s_cbranch_vccnz .LBB54_1165
; %bb.1164:
	s_wait_xcnt 0x0
	v_cvt_f32_i32_e32 v1, v0
	s_delay_alu instid0(VALU_DEP_1) | instskip(NEXT) | instid1(VALU_DEP_1)
	v_cvt_f16_f32_e32 v1, v1
	v_and_b32_e32 v1, 0xffff, v1
	global_store_b32 v[2:3], v1, off
.LBB54_1165:
	s_mov_b32 s34, 0
.LBB54_1166:
	s_delay_alu instid0(SALU_CYCLE_1)
	s_and_not1_b32 vcc_lo, exec_lo, s34
	s_cbranch_vccnz .LBB54_1175
; %bb.1167:
	s_cmp_lt_i32 s33, 6
	s_mov_b32 s34, -1
	s_cbranch_scc1 .LBB54_1173
; %bb.1168:
	s_cmp_gt_i32 s33, 6
	s_cbranch_scc0 .LBB54_1170
; %bb.1169:
	s_wait_xcnt 0x0
	v_cvt_f64_i32_e32 v[4:5], v0
	s_mov_b32 s34, 0
	global_store_b64 v[2:3], v[4:5], off
.LBB54_1170:
	s_and_not1_b32 vcc_lo, exec_lo, s34
	s_cbranch_vccnz .LBB54_1172
; %bb.1171:
	s_wait_xcnt 0x0
	v_cvt_f32_i32_e32 v1, v0
	global_store_b32 v[2:3], v1, off
.LBB54_1172:
	s_mov_b32 s34, 0
.LBB54_1173:
	s_delay_alu instid0(SALU_CYCLE_1)
	s_and_not1_b32 vcc_lo, exec_lo, s34
	s_cbranch_vccnz .LBB54_1175
; %bb.1174:
	s_wait_xcnt 0x0
	v_cvt_f32_i32_e32 v1, v0
	s_delay_alu instid0(VALU_DEP_1)
	v_cvt_f16_f32_e32 v1, v1
	global_store_b16 v[2:3], v1, off
.LBB54_1175:
	s_mov_b32 s34, 0
.LBB54_1176:
	s_delay_alu instid0(SALU_CYCLE_1)
	s_and_not1_b32 vcc_lo, exec_lo, s34
	s_cbranch_vccnz .LBB54_1192
; %bb.1177:
	s_cmp_lt_i32 s33, 2
	s_mov_b32 s34, -1
	s_cbranch_scc1 .LBB54_1187
; %bb.1178:
	s_cmp_lt_i32 s33, 3
	s_cbranch_scc1 .LBB54_1184
; %bb.1179:
	s_cmp_gt_i32 s33, 3
	s_cbranch_scc0 .LBB54_1181
; %bb.1180:
	s_wait_xcnt 0x0
	v_ashrrev_i32_e32 v1, 31, v0
	s_mov_b32 s34, 0
	global_store_b64 v[2:3], v[0:1], off
.LBB54_1181:
	s_and_not1_b32 vcc_lo, exec_lo, s34
	s_cbranch_vccnz .LBB54_1183
; %bb.1182:
	global_store_b32 v[2:3], v0, off
.LBB54_1183:
	s_mov_b32 s34, 0
.LBB54_1184:
	s_delay_alu instid0(SALU_CYCLE_1)
	s_and_not1_b32 vcc_lo, exec_lo, s34
	s_cbranch_vccnz .LBB54_1186
; %bb.1185:
	global_store_b16 v[2:3], v0, off
.LBB54_1186:
	s_mov_b32 s34, 0
.LBB54_1187:
	s_delay_alu instid0(SALU_CYCLE_1)
	s_and_not1_b32 vcc_lo, exec_lo, s34
	s_cbranch_vccnz .LBB54_1192
; %bb.1188:
	s_cmp_gt_i32 s33, 0
	s_mov_b32 s33, -1
	s_cbranch_scc0 .LBB54_1190
; %bb.1189:
	s_mov_b32 s33, 0
	global_store_b8 v[2:3], v0, off
.LBB54_1190:
	s_and_not1_b32 vcc_lo, exec_lo, s33
	s_cbranch_vccnz .LBB54_1192
; %bb.1191:
	global_store_b8 v[2:3], v0, off
.LBB54_1192:
	s_mov_b32 s35, -1
.LBB54_1193:
	s_delay_alu instid0(SALU_CYCLE_1)
	s_and_not1_b32 vcc_lo, exec_lo, s35
	s_cbranch_vccnz .LBB54_1204
; %bb.1194:
	v_add_nc_u32_e32 v6, 0x80, v6
	s_mov_b32 s34, -1
.LBB54_1195:
	s_and_not1_b32 s33, s24, exec_lo
	s_and_b32 s0, s0, exec_lo
	s_and_not1_b32 s35, s25, exec_lo
	s_and_b32 s31, s31, exec_lo
	s_or_b32 s33, s33, s0
	s_or_b32 s31, s35, s31
	s_and_not1_b32 s0, s26, exec_lo
	s_and_b32 s29, s29, exec_lo
	s_and_not1_b32 s35, s23, exec_lo
	s_and_b32 s30, s30, exec_lo
	s_or_b32 s29, s0, s29
	s_or_b32 s0, s35, s30
	s_or_not1_b32 s30, s34, exec_lo
.LBB54_1196:
	s_wait_xcnt 0x0
	s_or_b32 exec_lo, exec_lo, s28
	s_mov_b32 s34, 0
	s_and_saveexec_b32 s28, s30
	s_cbranch_execz .LBB54_1219
; %bb.1197:
	v_cmp_gt_i32_e32 vcc_lo, s18, v6
	s_mov_b32 s30, 0
	s_mov_b32 s34, s0
	s_and_saveexec_b32 s18, vcc_lo
	s_cbranch_execz .LBB54_1218
; %bb.1198:
	s_and_b32 s35, s15, 0xff
	s_delay_alu instid0(SALU_CYCLE_1)
	s_cmp_lt_i32 s35, 23
	s_cbranch_scc1 .LBB54_1202
; %bb.1199:
	s_and_b32 s36, 0xffff, s35
	s_delay_alu instid0(SALU_CYCLE_1)
	s_cmp_gt_i32 s36, 43
	s_cbranch_scc0 .LBB54_1203
; %bb.1200:
	s_cmp_gt_i32 s36, 45
	s_cbranch_scc0 .LBB54_1205
; %bb.1201:
	s_cmp_lg_u32 s36, 46
	s_mov_b32 s37, 0
	s_cselect_b32 s30, -1, 0
	s_and_not1_b32 s34, s0, exec_lo
	s_and_b32 s38, s30, exec_lo
	s_mov_b32 s30, -1
	s_or_b32 s34, s34, s38
	s_branch .LBB54_1206
.LBB54_1202:
	s_mov_b32 s36, -1
	s_mov_b32 s34, s0
	s_branch .LBB54_1212
.LBB54_1203:
	s_mov_b32 s37, -1
	s_mov_b32 s34, s0
	s_branch .LBB54_1209
.LBB54_1204:
	s_mov_b32 s34, 0
	s_branch .LBB54_824
.LBB54_1205:
	s_mov_b32 s37, -1
	s_mov_b32 s34, s0
.LBB54_1206:
	s_and_not1_b32 vcc_lo, exec_lo, s37
	s_cbranch_vccnz .LBB54_1208
; %bb.1207:
	s_cmp_eq_u32 s36, 44
	s_cselect_b32 s30, -1, 0
	s_cmp_lg_u32 s36, 44
	s_cselect_b32 s37, -1, 0
	s_and_not1_b32 s34, s34, exec_lo
	s_and_b32 s37, s37, exec_lo
	s_delay_alu instid0(SALU_CYCLE_1)
	s_or_b32 s34, s34, s37
.LBB54_1208:
	s_mov_b32 s37, 0
.LBB54_1209:
	s_delay_alu instid0(SALU_CYCLE_1)
	s_and_b32 vcc_lo, exec_lo, s37
	s_cbranch_vccz .LBB54_1211
; %bb.1210:
	s_cmp_lt_i32 s36, 30
	s_cselect_b32 s30, -1, 0
	s_cmp_gt_i32 s36, 29
	s_cselect_b32 s36, -1, 0
	s_and_not1_b32 s34, s34, exec_lo
	s_and_b32 s36, s36, exec_lo
	s_delay_alu instid0(SALU_CYCLE_1)
	s_or_b32 s34, s34, s36
.LBB54_1211:
	s_mov_b32 s36, 0
.LBB54_1212:
	s_delay_alu instid0(SALU_CYCLE_1)
	s_and_b32 vcc_lo, exec_lo, s36
	s_cbranch_vccz .LBB54_1217
; %bb.1213:
	s_and_b32 s35, 0xffff, s35
	s_mov_b32 s36, -1
	s_cmp_gt_i32 s35, 14
	s_cbranch_scc0 .LBB54_1215
; %bb.1214:
	s_cmp_eq_u32 s35, 15
	s_cselect_b32 s30, -1, 0
	s_cmp_lg_u32 s35, 15
	s_cselect_b32 s36, -1, 0
	s_and_not1_b32 s34, s34, exec_lo
	s_and_b32 s37, s36, exec_lo
	s_mov_b32 s36, 0
	s_or_b32 s34, s34, s37
.LBB54_1215:
	s_and_not1_b32 vcc_lo, exec_lo, s36
	s_cbranch_vccnz .LBB54_1217
; %bb.1216:
	s_cmp_lt_i32 s35, 12
	s_cselect_b32 s30, -1, 0
	s_cmp_gt_i32 s35, 11
	s_cselect_b32 s35, -1, 0
	s_and_not1_b32 s34, s34, exec_lo
	s_and_b32 s35, s35, exec_lo
	s_delay_alu instid0(SALU_CYCLE_1)
	s_or_b32 s34, s34, s35
.LBB54_1217:
	s_and_not1_b32 s35, s0, exec_lo
	s_and_b32 s34, s34, exec_lo
	s_and_b32 s30, s30, exec_lo
	s_or_b32 s34, s35, s34
.LBB54_1218:
	s_or_b32 exec_lo, exec_lo, s18
	s_delay_alu instid0(SALU_CYCLE_1)
	s_and_not1_b32 s0, s0, exec_lo
	s_and_b32 s18, s34, exec_lo
	s_and_b32 s34, s30, exec_lo
	s_or_b32 s0, s0, s18
.LBB54_1219:
	s_or_b32 exec_lo, exec_lo, s28
	s_delay_alu instid0(SALU_CYCLE_1)
	s_and_not1_b32 s18, s24, exec_lo
	s_and_b32 s24, s33, exec_lo
	s_and_not1_b32 s26, s26, exec_lo
	s_or_b32 s24, s18, s24
	s_and_not1_b32 s18, s25, exec_lo
	s_and_b32 s25, s31, exec_lo
	s_and_b32 s28, s29, exec_lo
	s_or_b32 s25, s18, s25
	s_and_not1_b32 s18, s23, exec_lo
	s_and_b32 s23, s0, exec_lo
	s_or_b32 s26, s26, s28
	s_and_b32 s0, s34, exec_lo
	s_or_b32 s23, s18, s23
.LBB54_1220:
	s_or_b32 exec_lo, exec_lo, s27
	s_delay_alu instid0(SALU_CYCLE_1)
	s_and_not1_b32 s17, s17, exec_lo
	s_and_b32 s18, s24, exec_lo
	s_and_not1_b32 s20, s20, exec_lo
	s_or_b32 s17, s17, s18
	s_and_not1_b32 s18, s19, exec_lo
	s_and_b32 s19, s25, exec_lo
	s_and_b32 s24, s26, exec_lo
	s_or_b32 s19, s18, s19
	s_and_not1_b32 s18, s21, exec_lo
	s_and_b32 s21, s23, exec_lo
	s_or_b32 s20, s20, s24
	s_and_b32 s23, s0, exec_lo
	s_or_b32 s21, s18, s21
.LBB54_1221:
	s_or_b32 exec_lo, exec_lo, s22
	s_mov_b32 s22, 0
	s_mov_b32 s18, 0
	s_and_saveexec_b32 s0, s21
	s_cbranch_execnz .LBB54_1236
.LBB54_1222:
	s_or_b32 exec_lo, exec_lo, s0
	s_mov_b32 s26, 0
	s_mov_b32 s24, 0
                                        ; implicit-def: $sgpr0
                                        ; implicit-def: $vgpr0_vgpr1
                                        ; implicit-def: $vgpr4
	s_and_saveexec_b32 s21, s23
	s_cbranch_execz .LBB54_1230
; %bb.1223:
	v_mul_lo_u32 v0, v6, s4
	s_and_b32 s0, s13, 0xff
	s_delay_alu instid0(SALU_CYCLE_1) | instskip(NEXT) | instid1(VALU_DEP_1)
	s_cmp_lt_i32 s0, 11
	v_ashrrev_i32_e32 v1, 31, v0
	s_delay_alu instid0(VALU_DEP_1)
	v_add_nc_u64_e32 v[0:1], s[8:9], v[0:1]
	s_cbranch_scc1 .LBB54_1233
; %bb.1224:
	s_and_b32 s23, 0xffff, s0
	s_mov_b32 s25, 0
	s_cmp_gt_i32 s23, 25
	s_cbranch_scc0 .LBB54_1234
; %bb.1225:
	s_cmp_gt_i32 s23, 28
	s_cbranch_scc0 .LBB54_1235
; %bb.1226:
	;; [unrolled: 3-line block ×4, first 2 shown]
	s_cmp_eq_u32 s23, 46
	s_cbranch_scc0 .LBB54_1239
; %bb.1229:
	s_wait_loadcnt 0x0
	global_load_b32 v2, v[0:1], off
	s_mov_b32 s24, -1
	s_wait_loadcnt 0x0
	v_lshlrev_b32_e32 v2, 16, v2
	s_delay_alu instid0(VALU_DEP_1)
	v_cvt_i32_f32_e32 v4, v2
	s_branch .LBB54_1241
.LBB54_1230:
	s_or_b32 exec_lo, exec_lo, s21
	s_and_saveexec_b32 s21, s20
	s_cbranch_execnz .LBB54_1300
.LBB54_1231:
	s_or_b32 exec_lo, exec_lo, s21
	s_and_saveexec_b32 s20, s22
	s_delay_alu instid0(SALU_CYCLE_1)
	s_xor_b32 s20, exec_lo, s20
	s_cbranch_execz .LBB54_1301
.LBB54_1232:
	s_wait_loadcnt 0x0
	global_load_u8 v2, v[0:1], off
	s_or_b32 s24, s24, exec_lo
	s_wait_loadcnt 0x0
	v_cmp_ne_u16_e32 vcc_lo, 0, v2
	v_cndmask_b32_e64 v4, 0, 1, vcc_lo
	s_wait_xcnt 0x0
	s_or_b32 exec_lo, exec_lo, s20
	s_and_saveexec_b32 s20, s26
	s_cbranch_execz .LBB54_1347
	s_branch .LBB54_1302
.LBB54_1233:
	s_mov_b32 s23, -1
	s_mov_b32 s25, 0
	s_mov_b32 s22, s20
                                        ; implicit-def: $vgpr4
	s_branch .LBB54_1299
.LBB54_1234:
	s_mov_b32 s22, s20
                                        ; implicit-def: $vgpr4
	s_cbranch_execnz .LBB54_1268
	s_branch .LBB54_1298
.LBB54_1235:
	s_mov_b32 s26, -1
	s_mov_b32 s22, s20
                                        ; implicit-def: $vgpr4
	s_branch .LBB54_1251
.LBB54_1236:
	s_mov_b32 s18, exec_lo
	s_and_not1_b32 s23, s23, exec_lo
	s_trap 2
	s_branch .LBB54_1222
.LBB54_1237:
	s_mov_b32 s26, -1
	s_mov_b32 s22, s20
                                        ; implicit-def: $vgpr4
	s_branch .LBB54_1246
.LBB54_1238:
	s_mov_b32 s26, -1
	s_mov_b32 s22, s20
	s_branch .LBB54_1240
.LBB54_1239:
	s_mov_b32 s22, -1
.LBB54_1240:
                                        ; implicit-def: $vgpr4
.LBB54_1241:
	s_and_b32 vcc_lo, exec_lo, s26
	s_cbranch_vccz .LBB54_1245
; %bb.1242:
	s_cmp_eq_u32 s23, 44
	s_cbranch_scc0 .LBB54_1244
; %bb.1243:
	s_wait_loadcnt 0x0
	global_load_u8 v2, v[0:1], off
	s_mov_b32 s22, 0
	s_mov_b32 s24, -1
	s_wait_loadcnt 0x0
	v_lshlrev_b32_e32 v3, 23, v2
	v_cmp_ne_u32_e32 vcc_lo, 0, v2
	s_delay_alu instid0(VALU_DEP_2) | instskip(NEXT) | instid1(VALU_DEP_1)
	v_cvt_i32_f32_e32 v3, v3
	v_cndmask_b32_e32 v4, 0, v3, vcc_lo
	s_branch .LBB54_1245
.LBB54_1244:
	s_mov_b32 s22, -1
                                        ; implicit-def: $vgpr4
.LBB54_1245:
	s_mov_b32 s26, 0
.LBB54_1246:
	s_delay_alu instid0(SALU_CYCLE_1)
	s_and_b32 vcc_lo, exec_lo, s26
	s_cbranch_vccz .LBB54_1250
; %bb.1247:
	s_cmp_eq_u32 s23, 29
	s_cbranch_scc0 .LBB54_1249
; %bb.1248:
	global_load_b32 v4, v[0:1], off
	s_mov_b32 s22, 0
	s_mov_b32 s24, -1
	s_branch .LBB54_1250
.LBB54_1249:
	s_mov_b32 s22, -1
                                        ; implicit-def: $vgpr4
.LBB54_1250:
	s_mov_b32 s26, 0
.LBB54_1251:
	s_delay_alu instid0(SALU_CYCLE_1)
	s_and_b32 vcc_lo, exec_lo, s26
	s_cbranch_vccz .LBB54_1267
; %bb.1252:
	s_cmp_lt_i32 s23, 27
	s_cbranch_scc1 .LBB54_1255
; %bb.1253:
	s_cmp_gt_i32 s23, 27
	s_cbranch_scc0 .LBB54_1256
; %bb.1254:
	s_wait_loadcnt 0x0
	global_load_b32 v4, v[0:1], off
	s_mov_b32 s24, 0
	s_branch .LBB54_1257
.LBB54_1255:
	s_mov_b32 s24, -1
                                        ; implicit-def: $vgpr4
	s_branch .LBB54_1260
.LBB54_1256:
	s_mov_b32 s24, -1
                                        ; implicit-def: $vgpr4
.LBB54_1257:
	s_delay_alu instid0(SALU_CYCLE_1)
	s_and_not1_b32 vcc_lo, exec_lo, s24
	s_cbranch_vccnz .LBB54_1259
; %bb.1258:
	s_wait_loadcnt 0x0
	global_load_u16 v4, v[0:1], off
.LBB54_1259:
	s_mov_b32 s24, 0
.LBB54_1260:
	s_delay_alu instid0(SALU_CYCLE_1)
	s_and_not1_b32 vcc_lo, exec_lo, s24
	s_cbranch_vccnz .LBB54_1266
; %bb.1261:
	s_wait_loadcnt 0x0
	global_load_u8 v2, v[0:1], off
	s_mov_b32 s26, 0
	s_mov_b32 s24, exec_lo
	s_wait_loadcnt 0x0
	v_cmpx_lt_i16_e32 0x7f, v2
	s_xor_b32 s24, exec_lo, s24
	s_cbranch_execz .LBB54_1277
; %bb.1262:
	v_cmp_ne_u16_e32 vcc_lo, 0x80, v2
	s_and_b32 s26, vcc_lo, exec_lo
	s_and_not1_saveexec_b32 s24, s24
	s_cbranch_execnz .LBB54_1278
.LBB54_1263:
	s_or_b32 exec_lo, exec_lo, s24
	v_mov_b32_e32 v4, 0
	s_and_saveexec_b32 s24, s26
	s_cbranch_execz .LBB54_1265
.LBB54_1264:
	v_and_b32_e32 v3, 0xffff, v2
	s_delay_alu instid0(VALU_DEP_1) | instskip(SKIP_1) | instid1(VALU_DEP_2)
	v_and_b32_e32 v4, 7, v3
	v_bfe_u32 v8, v3, 3, 4
	v_clz_i32_u32_e32 v5, v4
	s_delay_alu instid0(VALU_DEP_2) | instskip(NEXT) | instid1(VALU_DEP_2)
	v_cmp_eq_u32_e32 vcc_lo, 0, v8
	v_min_u32_e32 v5, 32, v5
	s_delay_alu instid0(VALU_DEP_1) | instskip(NEXT) | instid1(VALU_DEP_1)
	v_subrev_nc_u32_e32 v7, 28, v5
	v_dual_lshlrev_b32 v3, v7, v3 :: v_dual_sub_nc_u32 v5, 29, v5
	s_delay_alu instid0(VALU_DEP_1) | instskip(NEXT) | instid1(VALU_DEP_2)
	v_dual_lshlrev_b32 v2, 24, v2 :: v_dual_bitop2_b32 v3, 7, v3 bitop3:0x40
	v_cndmask_b32_e32 v5, v8, v5, vcc_lo
	s_delay_alu instid0(VALU_DEP_2) | instskip(NEXT) | instid1(VALU_DEP_3)
	v_cndmask_b32_e32 v3, v4, v3, vcc_lo
	v_and_b32_e32 v2, 0x80000000, v2
	s_delay_alu instid0(VALU_DEP_3) | instskip(NEXT) | instid1(VALU_DEP_3)
	v_lshl_add_u32 v4, v5, 23, 0x3b800000
	v_lshlrev_b32_e32 v3, 20, v3
	s_delay_alu instid0(VALU_DEP_1) | instskip(NEXT) | instid1(VALU_DEP_1)
	v_or3_b32 v2, v2, v4, v3
	v_cvt_i32_f32_e32 v4, v2
.LBB54_1265:
	s_or_b32 exec_lo, exec_lo, s24
.LBB54_1266:
	s_mov_b32 s24, -1
.LBB54_1267:
	s_branch .LBB54_1298
.LBB54_1268:
	s_cmp_gt_i32 s23, 22
	s_cbranch_scc0 .LBB54_1276
; %bb.1269:
	s_cmp_lt_i32 s23, 24
	s_cbranch_scc1 .LBB54_1279
; %bb.1270:
	s_cmp_gt_i32 s23, 24
	s_cbranch_scc0 .LBB54_1280
; %bb.1271:
	s_wait_loadcnt 0x0
	global_load_u8 v2, v[0:1], off
	s_mov_b32 s24, exec_lo
	s_wait_loadcnt 0x0
	v_cmpx_lt_i16_e32 0x7f, v2
	s_xor_b32 s24, exec_lo, s24
	s_cbranch_execz .LBB54_1292
; %bb.1272:
	v_cmp_ne_u16_e32 vcc_lo, 0x80, v2
	s_and_b32 s25, vcc_lo, exec_lo
	s_and_not1_saveexec_b32 s24, s24
	s_cbranch_execnz .LBB54_1293
.LBB54_1273:
	s_or_b32 exec_lo, exec_lo, s24
	v_mov_b32_e32 v4, 0
	s_and_saveexec_b32 s24, s25
	s_cbranch_execz .LBB54_1275
.LBB54_1274:
	v_and_b32_e32 v3, 0xffff, v2
	s_delay_alu instid0(VALU_DEP_1) | instskip(SKIP_1) | instid1(VALU_DEP_2)
	v_and_b32_e32 v4, 3, v3
	v_bfe_u32 v8, v3, 2, 5
	v_clz_i32_u32_e32 v5, v4
	s_delay_alu instid0(VALU_DEP_2) | instskip(NEXT) | instid1(VALU_DEP_2)
	v_cmp_eq_u32_e32 vcc_lo, 0, v8
	v_min_u32_e32 v5, 32, v5
	s_delay_alu instid0(VALU_DEP_1) | instskip(NEXT) | instid1(VALU_DEP_1)
	v_subrev_nc_u32_e32 v7, 29, v5
	v_dual_lshlrev_b32 v3, v7, v3 :: v_dual_sub_nc_u32 v5, 30, v5
	s_delay_alu instid0(VALU_DEP_1) | instskip(NEXT) | instid1(VALU_DEP_2)
	v_dual_lshlrev_b32 v2, 24, v2 :: v_dual_bitop2_b32 v3, 3, v3 bitop3:0x40
	v_cndmask_b32_e32 v5, v8, v5, vcc_lo
	s_delay_alu instid0(VALU_DEP_2) | instskip(NEXT) | instid1(VALU_DEP_3)
	v_cndmask_b32_e32 v3, v4, v3, vcc_lo
	v_and_b32_e32 v2, 0x80000000, v2
	s_delay_alu instid0(VALU_DEP_3) | instskip(NEXT) | instid1(VALU_DEP_3)
	v_lshl_add_u32 v4, v5, 23, 0x37800000
	v_lshlrev_b32_e32 v3, 21, v3
	s_delay_alu instid0(VALU_DEP_1) | instskip(NEXT) | instid1(VALU_DEP_1)
	v_or3_b32 v2, v2, v4, v3
	v_cvt_i32_f32_e32 v4, v2
.LBB54_1275:
	s_or_b32 exec_lo, exec_lo, s24
	s_mov_b32 s24, 0
	s_branch .LBB54_1281
.LBB54_1276:
	s_mov_b32 s25, -1
                                        ; implicit-def: $vgpr4
	s_branch .LBB54_1287
.LBB54_1277:
	s_and_not1_saveexec_b32 s24, s24
	s_cbranch_execz .LBB54_1263
.LBB54_1278:
	v_cmp_ne_u16_e32 vcc_lo, 0, v2
	s_and_not1_b32 s26, s26, exec_lo
	s_and_b32 s27, vcc_lo, exec_lo
	s_delay_alu instid0(SALU_CYCLE_1)
	s_or_b32 s26, s26, s27
	s_or_b32 exec_lo, exec_lo, s24
	v_mov_b32_e32 v4, 0
	s_and_saveexec_b32 s24, s26
	s_cbranch_execnz .LBB54_1264
	s_branch .LBB54_1265
.LBB54_1279:
	s_mov_b32 s24, -1
                                        ; implicit-def: $vgpr4
	s_branch .LBB54_1284
.LBB54_1280:
	s_mov_b32 s24, -1
                                        ; implicit-def: $vgpr4
.LBB54_1281:
	s_delay_alu instid0(SALU_CYCLE_1)
	s_and_b32 vcc_lo, exec_lo, s24
	s_cbranch_vccz .LBB54_1283
; %bb.1282:
	s_wait_loadcnt 0x0
	global_load_u8 v2, v[0:1], off
	s_wait_loadcnt 0x0
	v_lshlrev_b32_e32 v2, 24, v2
	s_delay_alu instid0(VALU_DEP_1) | instskip(NEXT) | instid1(VALU_DEP_1)
	v_and_b32_e32 v3, 0x7f000000, v2
	v_clz_i32_u32_e32 v4, v3
	v_add_nc_u32_e32 v7, 0x1000000, v3
	v_cmp_ne_u32_e32 vcc_lo, 0, v3
	s_delay_alu instid0(VALU_DEP_3) | instskip(NEXT) | instid1(VALU_DEP_1)
	v_min_u32_e32 v4, 32, v4
	v_sub_nc_u32_e64 v4, v4, 4 clamp
	s_delay_alu instid0(VALU_DEP_1) | instskip(NEXT) | instid1(VALU_DEP_1)
	v_dual_lshlrev_b32 v5, v4, v3 :: v_dual_lshlrev_b32 v4, 23, v4
	v_lshrrev_b32_e32 v5, 4, v5
	s_delay_alu instid0(VALU_DEP_1) | instskip(NEXT) | instid1(VALU_DEP_1)
	v_dual_sub_nc_u32 v4, v5, v4 :: v_dual_ashrrev_i32 v5, 8, v7
	v_add_nc_u32_e32 v4, 0x3c000000, v4
	s_delay_alu instid0(VALU_DEP_1) | instskip(NEXT) | instid1(VALU_DEP_1)
	v_and_or_b32 v4, 0x7f800000, v5, v4
	v_cndmask_b32_e32 v3, 0, v4, vcc_lo
	s_delay_alu instid0(VALU_DEP_1) | instskip(NEXT) | instid1(VALU_DEP_1)
	v_and_or_b32 v2, 0x80000000, v2, v3
	v_cvt_i32_f32_e32 v4, v2
.LBB54_1283:
	s_mov_b32 s24, 0
.LBB54_1284:
	s_delay_alu instid0(SALU_CYCLE_1)
	s_and_not1_b32 vcc_lo, exec_lo, s24
	s_cbranch_vccnz .LBB54_1286
; %bb.1285:
	s_wait_loadcnt 0x0
	global_load_u8 v2, v[0:1], off
	s_wait_loadcnt 0x0
	v_lshlrev_b32_e32 v3, 25, v2
	v_lshlrev_b16 v2, 8, v2
	s_delay_alu instid0(VALU_DEP_1) | instskip(SKIP_1) | instid1(VALU_DEP_2)
	v_and_or_b32 v5, 0x7f00, v2, 0.5
	v_bfe_i32 v2, v2, 0, 16
	v_dual_add_f32 v5, -0.5, v5 :: v_dual_lshrrev_b32 v4, 4, v3
	v_cmp_gt_u32_e32 vcc_lo, 0x8000000, v3
	s_delay_alu instid0(VALU_DEP_2) | instskip(NEXT) | instid1(VALU_DEP_1)
	v_or_b32_e32 v4, 0x70000000, v4
	v_mul_f32_e32 v4, 0x7800000, v4
	s_delay_alu instid0(VALU_DEP_1) | instskip(NEXT) | instid1(VALU_DEP_1)
	v_cndmask_b32_e32 v3, v4, v5, vcc_lo
	v_and_or_b32 v2, 0x80000000, v2, v3
	s_delay_alu instid0(VALU_DEP_1)
	v_cvt_i32_f32_e32 v4, v2
.LBB54_1286:
	s_mov_b32 s25, 0
	s_mov_b32 s24, -1
.LBB54_1287:
	s_and_not1_b32 vcc_lo, exec_lo, s25
	s_mov_b32 s25, 0
	s_cbranch_vccnz .LBB54_1298
; %bb.1288:
	s_cmp_gt_i32 s23, 14
	s_cbranch_scc0 .LBB54_1291
; %bb.1289:
	s_cmp_eq_u32 s23, 15
	s_cbranch_scc0 .LBB54_1294
; %bb.1290:
	s_wait_loadcnt 0x0
	global_load_u16 v2, v[0:1], off
	s_mov_b32 s22, 0
	s_mov_b32 s24, -1
	s_wait_loadcnt 0x0
	v_lshlrev_b32_e32 v2, 16, v2
	s_delay_alu instid0(VALU_DEP_1)
	v_cvt_i32_f32_e32 v4, v2
	s_branch .LBB54_1296
.LBB54_1291:
	s_mov_b32 s25, -1
	s_branch .LBB54_1295
.LBB54_1292:
	s_and_not1_saveexec_b32 s24, s24
	s_cbranch_execz .LBB54_1273
.LBB54_1293:
	v_cmp_ne_u16_e32 vcc_lo, 0, v2
	s_and_not1_b32 s25, s25, exec_lo
	s_and_b32 s26, vcc_lo, exec_lo
	s_delay_alu instid0(SALU_CYCLE_1)
	s_or_b32 s25, s25, s26
	s_or_b32 exec_lo, exec_lo, s24
	v_mov_b32_e32 v4, 0
	s_and_saveexec_b32 s24, s25
	s_cbranch_execnz .LBB54_1274
	s_branch .LBB54_1275
.LBB54_1294:
	s_mov_b32 s22, -1
.LBB54_1295:
                                        ; implicit-def: $vgpr4
.LBB54_1296:
	s_and_b32 vcc_lo, exec_lo, s25
	s_mov_b32 s25, 0
	s_cbranch_vccz .LBB54_1298
; %bb.1297:
	s_cmp_lg_u32 s23, 11
	s_mov_b32 s25, -1
	s_cselect_b32 s23, -1, 0
	s_and_not1_b32 s22, s22, exec_lo
	s_and_b32 s23, s23, exec_lo
	s_delay_alu instid0(SALU_CYCLE_1)
	s_or_b32 s22, s22, s23
.LBB54_1298:
	s_mov_b32 s23, 0
.LBB54_1299:
	s_delay_alu instid0(SALU_CYCLE_1)
	s_and_b32 s26, s23, exec_lo
	s_and_not1_b32 s20, s20, exec_lo
	s_and_b32 s23, s22, exec_lo
	s_and_b32 s24, s24, exec_lo
	;; [unrolled: 1-line block ×3, first 2 shown]
	s_or_b32 s20, s20, s23
	s_wait_xcnt 0x0
	s_or_b32 exec_lo, exec_lo, s21
	s_and_saveexec_b32 s21, s20
	s_cbranch_execz .LBB54_1231
.LBB54_1300:
	s_or_b32 s18, s18, exec_lo
	s_and_not1_b32 s22, s22, exec_lo
	s_trap 2
	s_or_b32 exec_lo, exec_lo, s21
	s_and_saveexec_b32 s20, s22
	s_delay_alu instid0(SALU_CYCLE_1)
	s_xor_b32 s20, exec_lo, s20
	s_cbranch_execnz .LBB54_1232
.LBB54_1301:
	s_or_b32 exec_lo, exec_lo, s20
	s_and_saveexec_b32 s20, s26
	s_cbranch_execz .LBB54_1347
.LBB54_1302:
	s_sext_i32_i16 s21, s0
	s_delay_alu instid0(SALU_CYCLE_1)
	s_cmp_lt_i32 s21, 5
	s_cbranch_scc1 .LBB54_1307
; %bb.1303:
	s_cmp_lt_i32 s21, 8
	s_cbranch_scc1 .LBB54_1308
; %bb.1304:
	;; [unrolled: 3-line block ×3, first 2 shown]
	s_cmp_gt_i32 s21, 9
	s_cbranch_scc0 .LBB54_1310
; %bb.1306:
	s_wait_loadcnt 0x0
	global_load_b64 v[2:3], v[0:1], off
	s_mov_b32 s21, 0
	s_wait_loadcnt 0x0
	v_cvt_i32_f64_e32 v4, v[2:3]
	s_branch .LBB54_1311
.LBB54_1307:
                                        ; implicit-def: $vgpr4
	s_branch .LBB54_1328
.LBB54_1308:
                                        ; implicit-def: $vgpr4
	s_branch .LBB54_1317
.LBB54_1309:
	s_mov_b32 s21, -1
                                        ; implicit-def: $vgpr4
	s_branch .LBB54_1314
.LBB54_1310:
	s_mov_b32 s21, -1
                                        ; implicit-def: $vgpr4
.LBB54_1311:
	s_delay_alu instid0(SALU_CYCLE_1)
	s_and_not1_b32 vcc_lo, exec_lo, s21
	s_cbranch_vccnz .LBB54_1313
; %bb.1312:
	s_wait_loadcnt 0x0
	global_load_b32 v2, v[0:1], off
	s_wait_loadcnt 0x0
	v_cvt_i32_f32_e32 v4, v2
.LBB54_1313:
	s_mov_b32 s21, 0
.LBB54_1314:
	s_delay_alu instid0(SALU_CYCLE_1)
	s_and_not1_b32 vcc_lo, exec_lo, s21
	s_cbranch_vccnz .LBB54_1316
; %bb.1315:
	s_wait_loadcnt 0x0
	global_load_b32 v2, v[0:1], off
	s_wait_loadcnt 0x0
	v_cvt_f32_f16_e32 v2, v2
	s_delay_alu instid0(VALU_DEP_1)
	v_cvt_i32_f32_e32 v4, v2
.LBB54_1316:
	s_cbranch_execnz .LBB54_1327
.LBB54_1317:
	s_sext_i32_i16 s21, s0
	s_delay_alu instid0(SALU_CYCLE_1)
	s_cmp_lt_i32 s21, 6
	s_cbranch_scc1 .LBB54_1320
; %bb.1318:
	s_cmp_gt_i32 s21, 6
	s_cbranch_scc0 .LBB54_1321
; %bb.1319:
	s_wait_loadcnt 0x0
	global_load_b64 v[2:3], v[0:1], off
	s_mov_b32 s21, 0
	s_wait_loadcnt 0x0
	v_cvt_i32_f64_e32 v4, v[2:3]
	s_branch .LBB54_1322
.LBB54_1320:
	s_mov_b32 s21, -1
                                        ; implicit-def: $vgpr4
	s_branch .LBB54_1325
.LBB54_1321:
	s_mov_b32 s21, -1
                                        ; implicit-def: $vgpr4
.LBB54_1322:
	s_delay_alu instid0(SALU_CYCLE_1)
	s_and_not1_b32 vcc_lo, exec_lo, s21
	s_cbranch_vccnz .LBB54_1324
; %bb.1323:
	s_wait_loadcnt 0x0
	global_load_b32 v2, v[0:1], off
	s_wait_loadcnt 0x0
	v_cvt_i32_f32_e32 v4, v2
.LBB54_1324:
	s_mov_b32 s21, 0
.LBB54_1325:
	s_delay_alu instid0(SALU_CYCLE_1)
	s_and_not1_b32 vcc_lo, exec_lo, s21
	s_cbranch_vccnz .LBB54_1327
; %bb.1326:
	s_wait_loadcnt 0x0
	global_load_u16 v2, v[0:1], off
	s_wait_loadcnt 0x0
	v_cvt_f32_f16_e32 v2, v2
	s_delay_alu instid0(VALU_DEP_1)
	v_cvt_i32_f32_e32 v4, v2
.LBB54_1327:
	s_cbranch_execnz .LBB54_1346
.LBB54_1328:
	s_sext_i32_i16 s21, s0
	s_delay_alu instid0(SALU_CYCLE_1)
	s_cmp_lt_i32 s21, 2
	s_cbranch_scc1 .LBB54_1332
; %bb.1329:
	s_cmp_lt_i32 s21, 3
	s_cbranch_scc1 .LBB54_1333
; %bb.1330:
	s_cmp_gt_i32 s21, 3
	s_cbranch_scc0 .LBB54_1334
; %bb.1331:
	s_wait_loadcnt 0x0
	global_load_b32 v4, v[0:1], off
	s_mov_b32 s21, 0
	s_branch .LBB54_1335
.LBB54_1332:
                                        ; implicit-def: $vgpr4
	s_branch .LBB54_1341
.LBB54_1333:
	s_mov_b32 s21, -1
                                        ; implicit-def: $vgpr4
	s_branch .LBB54_1338
.LBB54_1334:
	s_mov_b32 s21, -1
                                        ; implicit-def: $vgpr4
.LBB54_1335:
	s_delay_alu instid0(SALU_CYCLE_1)
	s_and_not1_b32 vcc_lo, exec_lo, s21
	s_cbranch_vccnz .LBB54_1337
; %bb.1336:
	s_wait_loadcnt 0x0
	global_load_b32 v4, v[0:1], off
.LBB54_1337:
	s_mov_b32 s21, 0
.LBB54_1338:
	s_delay_alu instid0(SALU_CYCLE_1)
	s_and_not1_b32 vcc_lo, exec_lo, s21
	s_cbranch_vccnz .LBB54_1340
; %bb.1339:
	s_wait_loadcnt 0x0
	global_load_i16 v4, v[0:1], off
.LBB54_1340:
	s_cbranch_execnz .LBB54_1346
.LBB54_1341:
	s_sext_i32_i16 s0, s0
	s_delay_alu instid0(SALU_CYCLE_1)
	s_cmp_gt_i32 s0, 0
	s_mov_b32 s0, 0
	s_cbranch_scc0 .LBB54_1343
; %bb.1342:
	s_wait_loadcnt 0x0
	global_load_i8 v4, v[0:1], off
	s_branch .LBB54_1344
.LBB54_1343:
	s_mov_b32 s0, -1
                                        ; implicit-def: $vgpr4
.LBB54_1344:
	s_delay_alu instid0(SALU_CYCLE_1)
	s_and_not1_b32 vcc_lo, exec_lo, s0
	s_cbranch_vccnz .LBB54_1346
; %bb.1345:
	s_wait_loadcnt 0x0
	global_load_u8 v4, v[0:1], off
.LBB54_1346:
	s_or_b32 s24, s24, exec_lo
.LBB54_1347:
	s_wait_xcnt 0x0
	s_or_b32 exec_lo, exec_lo, s20
	s_mov_b32 s21, 0
	s_mov_b32 s20, 0
	;; [unrolled: 1-line block ×3, first 2 shown]
                                        ; implicit-def: $vgpr0_vgpr1
                                        ; implicit-def: $vgpr5
	s_and_saveexec_b32 s0, s24
	s_cbranch_execz .LBB54_1355
; %bb.1348:
	v_mul_lo_u32 v0, v6, s5
	s_and_b32 s20, 0xffff, s1
	s_delay_alu instid0(SALU_CYCLE_1) | instskip(NEXT) | instid1(VALU_DEP_1)
	s_cmp_lt_i32 s20, 11
	v_ashrrev_i32_e32 v1, 31, v0
	s_delay_alu instid0(VALU_DEP_1)
	v_add_nc_u64_e32 v[0:1], s[10:11], v[0:1]
	s_cbranch_scc1 .LBB54_1358
; %bb.1349:
	s_cmp_gt_i32 s20, 25
	s_mov_b32 s23, 0
	s_cbranch_scc0 .LBB54_1359
; %bb.1350:
	s_cmp_gt_i32 s20, 28
	s_cbranch_scc0 .LBB54_1360
; %bb.1351:
	s_cmp_gt_i32 s20, 43
	;; [unrolled: 3-line block ×3, first 2 shown]
	s_cbranch_scc0 .LBB54_1362
; %bb.1353:
	s_cmp_eq_u32 s20, 46
	s_mov_b32 s24, 0
	s_cbranch_scc0 .LBB54_1363
; %bb.1354:
	s_wait_loadcnt 0x0
	global_load_b32 v2, v[0:1], off
	s_mov_b32 s22, -1
	s_wait_loadcnt 0x0
	v_lshlrev_b32_e32 v2, 16, v2
	s_delay_alu instid0(VALU_DEP_1)
	v_cvt_i32_f32_e32 v5, v2
	s_branch .LBB54_1365
.LBB54_1355:
	s_or_b32 exec_lo, exec_lo, s0
	s_and_saveexec_b32 s0, s19
	s_cbranch_execnz .LBB54_1424
.LBB54_1356:
	s_or_b32 exec_lo, exec_lo, s0
	s_and_saveexec_b32 s0, s21
	s_delay_alu instid0(SALU_CYCLE_1)
	s_xor_b32 s0, exec_lo, s0
	s_cbranch_execz .LBB54_1425
.LBB54_1357:
	s_wait_loadcnt 0x0
	global_load_u8 v2, v[0:1], off
	s_or_b32 s22, s22, exec_lo
	s_wait_loadcnt 0x0
	v_cmp_ne_u16_e32 vcc_lo, 0, v2
	v_cndmask_b32_e64 v5, 0, 1, vcc_lo
	s_wait_xcnt 0x0
	s_or_b32 exec_lo, exec_lo, s0
	s_and_saveexec_b32 s0, s20
	s_cbranch_execz .LBB54_1471
	s_branch .LBB54_1426
.LBB54_1358:
	s_mov_b32 s20, -1
	s_mov_b32 s23, 0
	s_mov_b32 s21, s19
                                        ; implicit-def: $vgpr5
	s_branch .LBB54_1423
.LBB54_1359:
	s_mov_b32 s21, s19
                                        ; implicit-def: $vgpr5
	s_cbranch_execnz .LBB54_1392
	s_branch .LBB54_1422
.LBB54_1360:
	s_mov_b32 s24, -1
	s_mov_b32 s21, s19
                                        ; implicit-def: $vgpr5
	s_branch .LBB54_1375
.LBB54_1361:
	s_mov_b32 s24, -1
	s_mov_b32 s21, s19
                                        ; implicit-def: $vgpr5
	s_branch .LBB54_1370
.LBB54_1362:
	s_mov_b32 s24, -1
	s_mov_b32 s21, s19
	s_branch .LBB54_1364
.LBB54_1363:
	s_mov_b32 s21, -1
.LBB54_1364:
                                        ; implicit-def: $vgpr5
.LBB54_1365:
	s_and_b32 vcc_lo, exec_lo, s24
	s_cbranch_vccz .LBB54_1369
; %bb.1366:
	s_cmp_eq_u32 s20, 44
	s_cbranch_scc0 .LBB54_1368
; %bb.1367:
	s_wait_loadcnt 0x0
	global_load_u8 v2, v[0:1], off
	s_mov_b32 s21, 0
	s_mov_b32 s22, -1
	s_wait_loadcnt 0x0
	v_lshlrev_b32_e32 v3, 23, v2
	v_cmp_ne_u32_e32 vcc_lo, 0, v2
	s_delay_alu instid0(VALU_DEP_2) | instskip(NEXT) | instid1(VALU_DEP_1)
	v_cvt_i32_f32_e32 v3, v3
	v_cndmask_b32_e32 v5, 0, v3, vcc_lo
	s_branch .LBB54_1369
.LBB54_1368:
	s_mov_b32 s21, -1
                                        ; implicit-def: $vgpr5
.LBB54_1369:
	s_mov_b32 s24, 0
.LBB54_1370:
	s_delay_alu instid0(SALU_CYCLE_1)
	s_and_b32 vcc_lo, exec_lo, s24
	s_cbranch_vccz .LBB54_1374
; %bb.1371:
	s_cmp_eq_u32 s20, 29
	s_cbranch_scc0 .LBB54_1373
; %bb.1372:
	global_load_b32 v5, v[0:1], off
	s_mov_b32 s21, 0
	s_mov_b32 s22, -1
	s_branch .LBB54_1374
.LBB54_1373:
	s_mov_b32 s21, -1
                                        ; implicit-def: $vgpr5
.LBB54_1374:
	s_mov_b32 s24, 0
.LBB54_1375:
	s_delay_alu instid0(SALU_CYCLE_1)
	s_and_b32 vcc_lo, exec_lo, s24
	s_cbranch_vccz .LBB54_1391
; %bb.1376:
	s_cmp_lt_i32 s20, 27
	s_cbranch_scc1 .LBB54_1379
; %bb.1377:
	s_cmp_gt_i32 s20, 27
	s_cbranch_scc0 .LBB54_1380
; %bb.1378:
	s_wait_loadcnt 0x0
	global_load_b32 v5, v[0:1], off
	s_mov_b32 s22, 0
	s_branch .LBB54_1381
.LBB54_1379:
	s_mov_b32 s22, -1
                                        ; implicit-def: $vgpr5
	s_branch .LBB54_1384
.LBB54_1380:
	s_mov_b32 s22, -1
                                        ; implicit-def: $vgpr5
.LBB54_1381:
	s_delay_alu instid0(SALU_CYCLE_1)
	s_and_not1_b32 vcc_lo, exec_lo, s22
	s_cbranch_vccnz .LBB54_1383
; %bb.1382:
	s_wait_loadcnt 0x0
	global_load_u16 v5, v[0:1], off
.LBB54_1383:
	s_mov_b32 s22, 0
.LBB54_1384:
	s_delay_alu instid0(SALU_CYCLE_1)
	s_and_not1_b32 vcc_lo, exec_lo, s22
	s_cbranch_vccnz .LBB54_1390
; %bb.1385:
	s_wait_loadcnt 0x0
	global_load_u8 v2, v[0:1], off
	s_mov_b32 s24, 0
	s_mov_b32 s22, exec_lo
	s_wait_loadcnt 0x0
	v_cmpx_lt_i16_e32 0x7f, v2
	s_xor_b32 s22, exec_lo, s22
	s_cbranch_execz .LBB54_1401
; %bb.1386:
	v_cmp_ne_u16_e32 vcc_lo, 0x80, v2
	s_and_b32 s24, vcc_lo, exec_lo
	s_and_not1_saveexec_b32 s22, s22
	s_cbranch_execnz .LBB54_1402
.LBB54_1387:
	s_or_b32 exec_lo, exec_lo, s22
	v_mov_b32_e32 v5, 0
	s_and_saveexec_b32 s22, s24
	s_cbranch_execz .LBB54_1389
.LBB54_1388:
	v_and_b32_e32 v3, 0xffff, v2
	s_delay_alu instid0(VALU_DEP_1) | instskip(SKIP_1) | instid1(VALU_DEP_2)
	v_dual_lshlrev_b32 v2, 24, v2 :: v_dual_bitop2_b32 v5, 7, v3 bitop3:0x40
	v_bfe_u32 v9, v3, 3, 4
	v_and_b32_e32 v2, 0x80000000, v2
	s_delay_alu instid0(VALU_DEP_3) | instskip(NEXT) | instid1(VALU_DEP_3)
	v_clz_i32_u32_e32 v7, v5
	v_cmp_eq_u32_e32 vcc_lo, 0, v9
	s_delay_alu instid0(VALU_DEP_2) | instskip(NEXT) | instid1(VALU_DEP_1)
	v_min_u32_e32 v7, 32, v7
	v_subrev_nc_u32_e32 v8, 28, v7
	v_sub_nc_u32_e32 v7, 29, v7
	s_delay_alu instid0(VALU_DEP_2) | instskip(NEXT) | instid1(VALU_DEP_2)
	v_lshlrev_b32_e32 v3, v8, v3
	v_cndmask_b32_e32 v7, v9, v7, vcc_lo
	s_delay_alu instid0(VALU_DEP_2) | instskip(NEXT) | instid1(VALU_DEP_1)
	v_and_b32_e32 v3, 7, v3
	v_cndmask_b32_e32 v3, v5, v3, vcc_lo
	s_delay_alu instid0(VALU_DEP_3) | instskip(NEXT) | instid1(VALU_DEP_2)
	v_lshl_add_u32 v5, v7, 23, 0x3b800000
	v_lshlrev_b32_e32 v3, 20, v3
	s_delay_alu instid0(VALU_DEP_1) | instskip(NEXT) | instid1(VALU_DEP_1)
	v_or3_b32 v2, v2, v5, v3
	v_cvt_i32_f32_e32 v5, v2
.LBB54_1389:
	s_or_b32 exec_lo, exec_lo, s22
.LBB54_1390:
	s_mov_b32 s22, -1
.LBB54_1391:
	s_branch .LBB54_1422
.LBB54_1392:
	s_cmp_gt_i32 s20, 22
	s_cbranch_scc0 .LBB54_1400
; %bb.1393:
	s_cmp_lt_i32 s20, 24
	s_cbranch_scc1 .LBB54_1403
; %bb.1394:
	s_cmp_gt_i32 s20, 24
	s_cbranch_scc0 .LBB54_1404
; %bb.1395:
	s_wait_loadcnt 0x0
	global_load_u8 v2, v[0:1], off
	s_mov_b32 s22, exec_lo
	s_wait_loadcnt 0x0
	v_cmpx_lt_i16_e32 0x7f, v2
	s_xor_b32 s22, exec_lo, s22
	s_cbranch_execz .LBB54_1416
; %bb.1396:
	v_cmp_ne_u16_e32 vcc_lo, 0x80, v2
	s_and_b32 s23, vcc_lo, exec_lo
	s_and_not1_saveexec_b32 s22, s22
	s_cbranch_execnz .LBB54_1417
.LBB54_1397:
	s_or_b32 exec_lo, exec_lo, s22
	v_mov_b32_e32 v5, 0
	s_and_saveexec_b32 s22, s23
	s_cbranch_execz .LBB54_1399
.LBB54_1398:
	v_and_b32_e32 v3, 0xffff, v2
	s_delay_alu instid0(VALU_DEP_1) | instskip(SKIP_1) | instid1(VALU_DEP_2)
	v_dual_lshlrev_b32 v2, 24, v2 :: v_dual_bitop2_b32 v5, 3, v3 bitop3:0x40
	v_bfe_u32 v9, v3, 2, 5
	v_and_b32_e32 v2, 0x80000000, v2
	s_delay_alu instid0(VALU_DEP_3) | instskip(NEXT) | instid1(VALU_DEP_3)
	v_clz_i32_u32_e32 v7, v5
	v_cmp_eq_u32_e32 vcc_lo, 0, v9
	s_delay_alu instid0(VALU_DEP_2) | instskip(NEXT) | instid1(VALU_DEP_1)
	v_min_u32_e32 v7, 32, v7
	v_subrev_nc_u32_e32 v8, 29, v7
	v_sub_nc_u32_e32 v7, 30, v7
	s_delay_alu instid0(VALU_DEP_2) | instskip(NEXT) | instid1(VALU_DEP_2)
	v_lshlrev_b32_e32 v3, v8, v3
	v_cndmask_b32_e32 v7, v9, v7, vcc_lo
	s_delay_alu instid0(VALU_DEP_2) | instskip(NEXT) | instid1(VALU_DEP_1)
	v_and_b32_e32 v3, 3, v3
	v_cndmask_b32_e32 v3, v5, v3, vcc_lo
	s_delay_alu instid0(VALU_DEP_3) | instskip(NEXT) | instid1(VALU_DEP_2)
	v_lshl_add_u32 v5, v7, 23, 0x37800000
	v_lshlrev_b32_e32 v3, 21, v3
	s_delay_alu instid0(VALU_DEP_1) | instskip(NEXT) | instid1(VALU_DEP_1)
	v_or3_b32 v2, v2, v5, v3
	v_cvt_i32_f32_e32 v5, v2
.LBB54_1399:
	s_or_b32 exec_lo, exec_lo, s22
	s_mov_b32 s22, 0
	s_branch .LBB54_1405
.LBB54_1400:
	s_mov_b32 s23, -1
                                        ; implicit-def: $vgpr5
	s_branch .LBB54_1411
.LBB54_1401:
	s_and_not1_saveexec_b32 s22, s22
	s_cbranch_execz .LBB54_1387
.LBB54_1402:
	v_cmp_ne_u16_e32 vcc_lo, 0, v2
	s_and_not1_b32 s24, s24, exec_lo
	s_and_b32 s25, vcc_lo, exec_lo
	s_delay_alu instid0(SALU_CYCLE_1)
	s_or_b32 s24, s24, s25
	s_or_b32 exec_lo, exec_lo, s22
	v_mov_b32_e32 v5, 0
	s_and_saveexec_b32 s22, s24
	s_cbranch_execnz .LBB54_1388
	s_branch .LBB54_1389
.LBB54_1403:
	s_mov_b32 s22, -1
                                        ; implicit-def: $vgpr5
	s_branch .LBB54_1408
.LBB54_1404:
	s_mov_b32 s22, -1
                                        ; implicit-def: $vgpr5
.LBB54_1405:
	s_delay_alu instid0(SALU_CYCLE_1)
	s_and_b32 vcc_lo, exec_lo, s22
	s_cbranch_vccz .LBB54_1407
; %bb.1406:
	s_wait_loadcnt 0x0
	global_load_u8 v2, v[0:1], off
	s_wait_loadcnt 0x0
	v_lshlrev_b32_e32 v2, 24, v2
	s_delay_alu instid0(VALU_DEP_1) | instskip(NEXT) | instid1(VALU_DEP_1)
	v_and_b32_e32 v3, 0x7f000000, v2
	v_clz_i32_u32_e32 v5, v3
	v_cmp_ne_u32_e32 vcc_lo, 0, v3
	v_add_nc_u32_e32 v8, 0x1000000, v3
	s_delay_alu instid0(VALU_DEP_3) | instskip(NEXT) | instid1(VALU_DEP_1)
	v_min_u32_e32 v5, 32, v5
	v_sub_nc_u32_e64 v5, v5, 4 clamp
	s_delay_alu instid0(VALU_DEP_1) | instskip(NEXT) | instid1(VALU_DEP_1)
	v_dual_lshlrev_b32 v7, v5, v3 :: v_dual_lshlrev_b32 v5, 23, v5
	v_lshrrev_b32_e32 v7, 4, v7
	s_delay_alu instid0(VALU_DEP_1) | instskip(NEXT) | instid1(VALU_DEP_1)
	v_dual_sub_nc_u32 v5, v7, v5 :: v_dual_ashrrev_i32 v7, 8, v8
	v_add_nc_u32_e32 v5, 0x3c000000, v5
	s_delay_alu instid0(VALU_DEP_1) | instskip(NEXT) | instid1(VALU_DEP_1)
	v_and_or_b32 v5, 0x7f800000, v7, v5
	v_cndmask_b32_e32 v3, 0, v5, vcc_lo
	s_delay_alu instid0(VALU_DEP_1) | instskip(NEXT) | instid1(VALU_DEP_1)
	v_and_or_b32 v2, 0x80000000, v2, v3
	v_cvt_i32_f32_e32 v5, v2
.LBB54_1407:
	s_mov_b32 s22, 0
.LBB54_1408:
	s_delay_alu instid0(SALU_CYCLE_1)
	s_and_not1_b32 vcc_lo, exec_lo, s22
	s_cbranch_vccnz .LBB54_1410
; %bb.1409:
	s_wait_loadcnt 0x0
	global_load_u8 v2, v[0:1], off
	s_wait_loadcnt 0x0
	v_lshlrev_b32_e32 v3, 25, v2
	v_lshlrev_b16 v2, 8, v2
	s_delay_alu instid0(VALU_DEP_1) | instskip(SKIP_1) | instid1(VALU_DEP_2)
	v_and_or_b32 v7, 0x7f00, v2, 0.5
	v_bfe_i32 v2, v2, 0, 16
	v_add_f32_e32 v7, -0.5, v7
	v_lshrrev_b32_e32 v5, 4, v3
	v_cmp_gt_u32_e32 vcc_lo, 0x8000000, v3
	s_delay_alu instid0(VALU_DEP_2) | instskip(NEXT) | instid1(VALU_DEP_1)
	v_or_b32_e32 v5, 0x70000000, v5
	v_mul_f32_e32 v5, 0x7800000, v5
	s_delay_alu instid0(VALU_DEP_1) | instskip(NEXT) | instid1(VALU_DEP_1)
	v_cndmask_b32_e32 v3, v5, v7, vcc_lo
	v_and_or_b32 v2, 0x80000000, v2, v3
	s_delay_alu instid0(VALU_DEP_1)
	v_cvt_i32_f32_e32 v5, v2
.LBB54_1410:
	s_mov_b32 s23, 0
	s_mov_b32 s22, -1
.LBB54_1411:
	s_and_not1_b32 vcc_lo, exec_lo, s23
	s_mov_b32 s23, 0
	s_cbranch_vccnz .LBB54_1422
; %bb.1412:
	s_cmp_gt_i32 s20, 14
	s_cbranch_scc0 .LBB54_1415
; %bb.1413:
	s_cmp_eq_u32 s20, 15
	s_cbranch_scc0 .LBB54_1418
; %bb.1414:
	s_wait_loadcnt 0x0
	global_load_u16 v2, v[0:1], off
	s_mov_b32 s21, 0
	s_mov_b32 s22, -1
	s_wait_loadcnt 0x0
	v_lshlrev_b32_e32 v2, 16, v2
	s_delay_alu instid0(VALU_DEP_1)
	v_cvt_i32_f32_e32 v5, v2
	s_branch .LBB54_1420
.LBB54_1415:
	s_mov_b32 s23, -1
	s_branch .LBB54_1419
.LBB54_1416:
	s_and_not1_saveexec_b32 s22, s22
	s_cbranch_execz .LBB54_1397
.LBB54_1417:
	v_cmp_ne_u16_e32 vcc_lo, 0, v2
	s_and_not1_b32 s23, s23, exec_lo
	s_and_b32 s24, vcc_lo, exec_lo
	s_delay_alu instid0(SALU_CYCLE_1)
	s_or_b32 s23, s23, s24
	s_or_b32 exec_lo, exec_lo, s22
	v_mov_b32_e32 v5, 0
	s_and_saveexec_b32 s22, s23
	s_cbranch_execnz .LBB54_1398
	s_branch .LBB54_1399
.LBB54_1418:
	s_mov_b32 s21, -1
.LBB54_1419:
                                        ; implicit-def: $vgpr5
.LBB54_1420:
	s_and_b32 vcc_lo, exec_lo, s23
	s_mov_b32 s23, 0
	s_cbranch_vccz .LBB54_1422
; %bb.1421:
	s_cmp_lg_u32 s20, 11
	s_mov_b32 s23, -1
	s_cselect_b32 s20, -1, 0
	s_and_not1_b32 s21, s21, exec_lo
	s_and_b32 s20, s20, exec_lo
	s_delay_alu instid0(SALU_CYCLE_1)
	s_or_b32 s21, s21, s20
.LBB54_1422:
	s_mov_b32 s20, 0
.LBB54_1423:
	s_and_not1_b32 s19, s19, exec_lo
	s_and_b32 s24, s21, exec_lo
	s_and_b32 s22, s22, exec_lo
	;; [unrolled: 1-line block ×4, first 2 shown]
	s_or_b32 s19, s19, s24
	s_wait_xcnt 0x0
	s_or_b32 exec_lo, exec_lo, s0
	s_and_saveexec_b32 s0, s19
	s_cbranch_execz .LBB54_1356
.LBB54_1424:
	s_or_b32 s18, s18, exec_lo
	s_and_not1_b32 s21, s21, exec_lo
	s_trap 2
	s_or_b32 exec_lo, exec_lo, s0
	s_and_saveexec_b32 s0, s21
	s_delay_alu instid0(SALU_CYCLE_1)
	s_xor_b32 s0, exec_lo, s0
	s_cbranch_execnz .LBB54_1357
.LBB54_1425:
	s_or_b32 exec_lo, exec_lo, s0
	s_and_saveexec_b32 s0, s20
	s_cbranch_execz .LBB54_1471
.LBB54_1426:
	s_sext_i32_i16 s19, s1
	s_delay_alu instid0(SALU_CYCLE_1)
	s_cmp_lt_i32 s19, 5
	s_cbranch_scc1 .LBB54_1431
; %bb.1427:
	s_cmp_lt_i32 s19, 8
	s_cbranch_scc1 .LBB54_1432
; %bb.1428:
	;; [unrolled: 3-line block ×3, first 2 shown]
	s_cmp_gt_i32 s19, 9
	s_cbranch_scc0 .LBB54_1434
; %bb.1430:
	s_wait_loadcnt 0x0
	global_load_b64 v[2:3], v[0:1], off
	s_mov_b32 s19, 0
	s_wait_loadcnt 0x0
	v_cvt_i32_f64_e32 v5, v[2:3]
	s_branch .LBB54_1435
.LBB54_1431:
                                        ; implicit-def: $vgpr5
	s_branch .LBB54_1452
.LBB54_1432:
                                        ; implicit-def: $vgpr5
	s_branch .LBB54_1441
.LBB54_1433:
	s_mov_b32 s19, -1
                                        ; implicit-def: $vgpr5
	s_branch .LBB54_1438
.LBB54_1434:
	s_mov_b32 s19, -1
                                        ; implicit-def: $vgpr5
.LBB54_1435:
	s_delay_alu instid0(SALU_CYCLE_1)
	s_and_not1_b32 vcc_lo, exec_lo, s19
	s_cbranch_vccnz .LBB54_1437
; %bb.1436:
	s_wait_loadcnt 0x0
	global_load_b32 v2, v[0:1], off
	s_wait_loadcnt 0x0
	v_cvt_i32_f32_e32 v5, v2
.LBB54_1437:
	s_mov_b32 s19, 0
.LBB54_1438:
	s_delay_alu instid0(SALU_CYCLE_1)
	s_and_not1_b32 vcc_lo, exec_lo, s19
	s_cbranch_vccnz .LBB54_1440
; %bb.1439:
	s_wait_loadcnt 0x0
	global_load_b32 v2, v[0:1], off
	s_wait_loadcnt 0x0
	v_cvt_f32_f16_e32 v2, v2
	s_delay_alu instid0(VALU_DEP_1)
	v_cvt_i32_f32_e32 v5, v2
.LBB54_1440:
	s_cbranch_execnz .LBB54_1451
.LBB54_1441:
	s_sext_i32_i16 s19, s1
	s_delay_alu instid0(SALU_CYCLE_1)
	s_cmp_lt_i32 s19, 6
	s_cbranch_scc1 .LBB54_1444
; %bb.1442:
	s_cmp_gt_i32 s19, 6
	s_cbranch_scc0 .LBB54_1445
; %bb.1443:
	s_wait_loadcnt 0x0
	global_load_b64 v[2:3], v[0:1], off
	s_mov_b32 s19, 0
	s_wait_loadcnt 0x0
	v_cvt_i32_f64_e32 v5, v[2:3]
	s_branch .LBB54_1446
.LBB54_1444:
	s_mov_b32 s19, -1
                                        ; implicit-def: $vgpr5
	s_branch .LBB54_1449
.LBB54_1445:
	s_mov_b32 s19, -1
                                        ; implicit-def: $vgpr5
.LBB54_1446:
	s_delay_alu instid0(SALU_CYCLE_1)
	s_and_not1_b32 vcc_lo, exec_lo, s19
	s_cbranch_vccnz .LBB54_1448
; %bb.1447:
	s_wait_loadcnt 0x0
	global_load_b32 v2, v[0:1], off
	s_wait_loadcnt 0x0
	v_cvt_i32_f32_e32 v5, v2
.LBB54_1448:
	s_mov_b32 s19, 0
.LBB54_1449:
	s_delay_alu instid0(SALU_CYCLE_1)
	s_and_not1_b32 vcc_lo, exec_lo, s19
	s_cbranch_vccnz .LBB54_1451
; %bb.1450:
	s_wait_loadcnt 0x0
	global_load_u16 v2, v[0:1], off
	s_wait_loadcnt 0x0
	v_cvt_f32_f16_e32 v2, v2
	s_delay_alu instid0(VALU_DEP_1)
	v_cvt_i32_f32_e32 v5, v2
.LBB54_1451:
	s_cbranch_execnz .LBB54_1470
.LBB54_1452:
	s_sext_i32_i16 s19, s1
	s_delay_alu instid0(SALU_CYCLE_1)
	s_cmp_lt_i32 s19, 2
	s_cbranch_scc1 .LBB54_1456
; %bb.1453:
	s_cmp_lt_i32 s19, 3
	s_cbranch_scc1 .LBB54_1457
; %bb.1454:
	s_cmp_gt_i32 s19, 3
	s_cbranch_scc0 .LBB54_1458
; %bb.1455:
	s_wait_loadcnt 0x0
	global_load_b32 v5, v[0:1], off
	s_mov_b32 s19, 0
	s_branch .LBB54_1459
.LBB54_1456:
                                        ; implicit-def: $vgpr5
	s_branch .LBB54_1465
.LBB54_1457:
	s_mov_b32 s19, -1
                                        ; implicit-def: $vgpr5
	s_branch .LBB54_1462
.LBB54_1458:
	s_mov_b32 s19, -1
                                        ; implicit-def: $vgpr5
.LBB54_1459:
	s_delay_alu instid0(SALU_CYCLE_1)
	s_and_not1_b32 vcc_lo, exec_lo, s19
	s_cbranch_vccnz .LBB54_1461
; %bb.1460:
	s_wait_loadcnt 0x0
	global_load_b32 v5, v[0:1], off
.LBB54_1461:
	s_mov_b32 s19, 0
.LBB54_1462:
	s_delay_alu instid0(SALU_CYCLE_1)
	s_and_not1_b32 vcc_lo, exec_lo, s19
	s_cbranch_vccnz .LBB54_1464
; %bb.1463:
	s_wait_loadcnt 0x0
	global_load_i16 v5, v[0:1], off
.LBB54_1464:
	s_cbranch_execnz .LBB54_1470
.LBB54_1465:
	s_sext_i32_i16 s19, s1
	s_delay_alu instid0(SALU_CYCLE_1)
	s_cmp_gt_i32 s19, 0
	s_mov_b32 s19, 0
	s_cbranch_scc0 .LBB54_1467
; %bb.1466:
	s_wait_loadcnt 0x0
	global_load_i8 v5, v[0:1], off
	s_branch .LBB54_1468
.LBB54_1467:
	s_mov_b32 s19, -1
                                        ; implicit-def: $vgpr5
.LBB54_1468:
	s_delay_alu instid0(SALU_CYCLE_1)
	s_and_not1_b32 vcc_lo, exec_lo, s19
	s_cbranch_vccnz .LBB54_1470
; %bb.1469:
	s_wait_loadcnt 0x0
	global_load_u8 v5, v[0:1], off
.LBB54_1470:
	s_or_b32 s22, s22, exec_lo
.LBB54_1471:
	s_wait_xcnt 0x0
	s_or_b32 exec_lo, exec_lo, s0
	s_mov_b32 s0, 0
	s_mov_b32 s21, 0
                                        ; implicit-def: $sgpr19
                                        ; implicit-def: $vgpr2_vgpr3
                                        ; implicit-def: $vgpr0
	s_and_saveexec_b32 s20, s22
	s_cbranch_execz .LBB54_1479
; %bb.1472:
	s_wait_loadcnt 0x0
	v_mul_lo_u32 v2, v6, s12
	v_mul_lo_u32 v0, v4, s6
	s_and_b32 s19, s7, 0xff
	s_delay_alu instid0(SALU_CYCLE_1) | instskip(NEXT) | instid1(VALU_DEP_2)
	s_cmp_lt_i32 s19, 11
	v_ashrrev_i32_e32 v3, 31, v2
	s_delay_alu instid0(VALU_DEP_2) | instskip(NEXT) | instid1(VALU_DEP_2)
	v_mul_lo_u32 v0, v0, v5
	v_add_nc_u64_e32 v[2:3], s[2:3], v[2:3]
	s_cbranch_scc1 .LBB54_1482
; %bb.1473:
	s_and_b32 s21, 0xffff, s19
	s_mov_b32 s22, -1
	s_cmp_gt_i32 s21, 25
	s_mov_b32 s0, s17
	s_cbranch_scc0 .LBB54_1510
; %bb.1474:
	s_cmp_gt_i32 s21, 28
	s_mov_b32 s0, s17
	s_cbranch_scc0 .LBB54_1494
; %bb.1475:
	s_cmp_gt_i32 s21, 43
	s_mov_b32 s0, s17
	s_cbranch_scc0 .LBB54_1490
; %bb.1476:
	s_cmp_gt_i32 s21, 45
	s_mov_b32 s0, s17
	s_cbranch_scc0 .LBB54_1484
; %bb.1477:
	s_cmp_eq_u32 s21, 46
	s_mov_b32 s0, -1
	s_cbranch_scc0 .LBB54_1483
; %bb.1478:
	v_cvt_f32_i32_e32 v1, v0
	s_mov_b32 s0, 0
	s_mov_b32 s22, 0
	s_delay_alu instid0(VALU_DEP_1) | instskip(NEXT) | instid1(VALU_DEP_1)
	v_bfe_u32 v4, v1, 16, 1
	v_add3_u32 v1, v1, v4, 0x7fff
	s_delay_alu instid0(VALU_DEP_1)
	v_lshrrev_b32_e32 v1, 16, v1
	global_store_b32 v[2:3], v1, off
	s_branch .LBB54_1484
.LBB54_1479:
	s_or_b32 exec_lo, exec_lo, s20
	s_and_saveexec_b32 s20, s17
	s_cbranch_execnz .LBB54_1552
.LBB54_1480:
	s_or_b32 exec_lo, exec_lo, s20
	s_and_saveexec_b32 s17, s0
	s_delay_alu instid0(SALU_CYCLE_1)
	s_xor_b32 s0, exec_lo, s17
	s_cbranch_execz .LBB54_1553
.LBB54_1481:
	v_cmp_ne_u32_e32 vcc_lo, 0, v0
	v_cndmask_b32_e64 v1, 0, 1, vcc_lo
	s_wait_loadcnt 0x0
	global_store_b8 v[2:3], v1, off
	s_wait_xcnt 0x0
	s_or_b32 exec_lo, exec_lo, s0
	s_and_saveexec_b32 s0, s21
	s_delay_alu instid0(SALU_CYCLE_1)
	s_xor_b32 s0, exec_lo, s0
	s_cbranch_execz .LBB54_1591
	s_branch .LBB54_1554
.LBB54_1482:
	s_mov_b32 s23, 0
	s_mov_b32 s22, -1
	s_mov_b32 s0, s17
	s_branch .LBB54_1551
.LBB54_1483:
	s_mov_b32 s22, 0
.LBB54_1484:
	s_delay_alu instid0(SALU_CYCLE_1)
	s_and_b32 vcc_lo, exec_lo, s22
	s_cbranch_vccz .LBB54_1489
; %bb.1485:
	s_cmp_eq_u32 s21, 44
	s_mov_b32 s0, -1
	s_cbranch_scc0 .LBB54_1489
; %bb.1486:
	s_wait_xcnt 0x0
	v_cvt_f32_i32_e32 v1, v0
	v_mov_b32_e32 v4, 0xff
	s_mov_b32 s22, exec_lo
	s_delay_alu instid0(VALU_DEP_2) | instskip(NEXT) | instid1(VALU_DEP_1)
	v_bfe_u32 v5, v1, 23, 8
	v_cmpx_ne_u32_e32 0xff, v5
	s_cbranch_execz .LBB54_1488
; %bb.1487:
	v_and_b32_e32 v4, 0x400000, v1
	v_and_or_b32 v5, 0x3fffff, v1, v5
	v_lshrrev_b32_e32 v1, 23, v1
	s_delay_alu instid0(VALU_DEP_3) | instskip(NEXT) | instid1(VALU_DEP_3)
	v_cmp_ne_u32_e32 vcc_lo, 0, v4
	v_cmp_ne_u32_e64 s0, 0, v5
	s_and_b32 s0, vcc_lo, s0
	s_delay_alu instid0(SALU_CYCLE_1) | instskip(NEXT) | instid1(VALU_DEP_1)
	v_cndmask_b32_e64 v4, 0, 1, s0
	v_add_nc_u32_e32 v4, v1, v4
.LBB54_1488:
	s_or_b32 exec_lo, exec_lo, s22
	s_mov_b32 s0, 0
	global_store_b8 v[2:3], v4, off
.LBB54_1489:
	s_mov_b32 s22, 0
.LBB54_1490:
	s_delay_alu instid0(SALU_CYCLE_1)
	s_and_b32 vcc_lo, exec_lo, s22
	s_cbranch_vccz .LBB54_1493
; %bb.1491:
	s_cmp_eq_u32 s21, 29
	s_mov_b32 s0, -1
	s_cbranch_scc0 .LBB54_1493
; %bb.1492:
	s_wait_xcnt 0x0
	v_ashrrev_i32_e32 v1, 31, v0
	s_mov_b32 s0, 0
	s_mov_b32 s22, 0
	global_store_b64 v[2:3], v[0:1], off
	s_branch .LBB54_1494
.LBB54_1493:
	s_mov_b32 s22, 0
.LBB54_1494:
	s_delay_alu instid0(SALU_CYCLE_1)
	s_and_b32 vcc_lo, exec_lo, s22
	s_cbranch_vccz .LBB54_1509
; %bb.1495:
	s_cmp_lt_i32 s21, 27
	s_mov_b32 s22, -1
	s_cbranch_scc1 .LBB54_1501
; %bb.1496:
	s_cmp_gt_i32 s21, 27
	s_cbranch_scc0 .LBB54_1498
; %bb.1497:
	s_mov_b32 s22, 0
	global_store_b32 v[2:3], v0, off
.LBB54_1498:
	s_and_not1_b32 vcc_lo, exec_lo, s22
	s_cbranch_vccnz .LBB54_1500
; %bb.1499:
	global_store_b16 v[2:3], v0, off
.LBB54_1500:
	s_mov_b32 s22, 0
.LBB54_1501:
	s_delay_alu instid0(SALU_CYCLE_1)
	s_and_not1_b32 vcc_lo, exec_lo, s22
	s_cbranch_vccnz .LBB54_1509
; %bb.1502:
	s_wait_xcnt 0x0
	v_cvt_f32_i32_e32 v1, v0
	v_mov_b32_e32 v5, 0x80
	s_mov_b32 s22, exec_lo
	s_delay_alu instid0(VALU_DEP_2) | instskip(NEXT) | instid1(VALU_DEP_1)
	v_and_b32_e32 v4, 0x7fffffff, v1
	v_cmpx_gt_u32_e32 0x43800000, v4
	s_cbranch_execz .LBB54_1508
; %bb.1503:
	v_cmp_lt_u32_e32 vcc_lo, 0x3bffffff, v4
	s_mov_b32 s23, 0
                                        ; implicit-def: $vgpr4
	s_and_saveexec_b32 s24, vcc_lo
	s_delay_alu instid0(SALU_CYCLE_1)
	s_xor_b32 s24, exec_lo, s24
	s_cbranch_execz .LBB54_1623
; %bb.1504:
	v_bfe_u32 v4, v1, 20, 1
	s_mov_b32 s23, exec_lo
	s_delay_alu instid0(VALU_DEP_1) | instskip(NEXT) | instid1(VALU_DEP_1)
	v_add3_u32 v4, v1, v4, 0x487ffff
	v_lshrrev_b32_e32 v4, 20, v4
	s_and_not1_saveexec_b32 s24, s24
	s_cbranch_execnz .LBB54_1624
.LBB54_1505:
	s_or_b32 exec_lo, exec_lo, s24
	v_mov_b32_e32 v5, 0
	s_and_saveexec_b32 s24, s23
.LBB54_1506:
	v_lshrrev_b32_e32 v1, 24, v1
	s_delay_alu instid0(VALU_DEP_1)
	v_and_or_b32 v5, 0x80, v1, v4
.LBB54_1507:
	s_or_b32 exec_lo, exec_lo, s24
.LBB54_1508:
	s_delay_alu instid0(SALU_CYCLE_1)
	s_or_b32 exec_lo, exec_lo, s22
	global_store_b8 v[2:3], v5, off
.LBB54_1509:
	s_mov_b32 s22, 0
.LBB54_1510:
	s_delay_alu instid0(SALU_CYCLE_1)
	s_and_b32 vcc_lo, exec_lo, s22
	s_mov_b32 s22, 0
	s_cbranch_vccz .LBB54_1550
; %bb.1511:
	s_cmp_gt_i32 s21, 22
	s_mov_b32 s23, -1
	s_cbranch_scc0 .LBB54_1543
; %bb.1512:
	s_cmp_lt_i32 s21, 24
	s_cbranch_scc1 .LBB54_1532
; %bb.1513:
	s_cmp_gt_i32 s21, 24
	s_cbranch_scc0 .LBB54_1521
; %bb.1514:
	s_wait_xcnt 0x0
	v_cvt_f32_i32_e32 v1, v0
	v_mov_b32_e32 v5, 0x80
	s_mov_b32 s23, exec_lo
	s_delay_alu instid0(VALU_DEP_2) | instskip(NEXT) | instid1(VALU_DEP_1)
	v_and_b32_e32 v4, 0x7fffffff, v1
	v_cmpx_gt_u32_e32 0x47800000, v4
	s_cbranch_execz .LBB54_1520
; %bb.1515:
	v_cmp_lt_u32_e32 vcc_lo, 0x37ffffff, v4
	s_mov_b32 s24, 0
                                        ; implicit-def: $vgpr4
	s_and_saveexec_b32 s25, vcc_lo
	s_delay_alu instid0(SALU_CYCLE_1)
	s_xor_b32 s25, exec_lo, s25
	s_cbranch_execz .LBB54_1626
; %bb.1516:
	v_bfe_u32 v4, v1, 21, 1
	s_mov_b32 s24, exec_lo
	s_delay_alu instid0(VALU_DEP_1) | instskip(NEXT) | instid1(VALU_DEP_1)
	v_add3_u32 v4, v1, v4, 0x88fffff
	v_lshrrev_b32_e32 v4, 21, v4
	s_and_not1_saveexec_b32 s25, s25
	s_cbranch_execnz .LBB54_1627
.LBB54_1517:
	s_or_b32 exec_lo, exec_lo, s25
	v_mov_b32_e32 v5, 0
	s_and_saveexec_b32 s25, s24
.LBB54_1518:
	v_lshrrev_b32_e32 v1, 24, v1
	s_delay_alu instid0(VALU_DEP_1)
	v_and_or_b32 v5, 0x80, v1, v4
.LBB54_1519:
	s_or_b32 exec_lo, exec_lo, s25
.LBB54_1520:
	s_delay_alu instid0(SALU_CYCLE_1)
	s_or_b32 exec_lo, exec_lo, s23
	s_mov_b32 s23, 0
	global_store_b8 v[2:3], v5, off
.LBB54_1521:
	s_and_b32 vcc_lo, exec_lo, s23
	s_cbranch_vccz .LBB54_1531
; %bb.1522:
	s_wait_xcnt 0x0
	v_cvt_f32_i32_e32 v1, v0
	s_mov_b32 s23, exec_lo
                                        ; implicit-def: $vgpr4
	s_delay_alu instid0(VALU_DEP_1) | instskip(NEXT) | instid1(VALU_DEP_1)
	v_and_b32_e32 v5, 0x7fffffff, v1
	v_cmpx_gt_u32_e32 0x43f00000, v5
	s_xor_b32 s23, exec_lo, s23
	s_cbranch_execz .LBB54_1528
; %bb.1523:
	s_mov_b32 s24, exec_lo
                                        ; implicit-def: $vgpr4
	v_cmpx_lt_u32_e32 0x3c7fffff, v5
	s_xor_b32 s24, exec_lo, s24
; %bb.1524:
	v_bfe_u32 v4, v1, 20, 1
	s_delay_alu instid0(VALU_DEP_1) | instskip(NEXT) | instid1(VALU_DEP_1)
	v_add3_u32 v4, v1, v4, 0x407ffff
	v_and_b32_e32 v5, 0xff00000, v4
	v_lshrrev_b32_e32 v4, 20, v4
	s_delay_alu instid0(VALU_DEP_2) | instskip(NEXT) | instid1(VALU_DEP_2)
	v_cmp_ne_u32_e32 vcc_lo, 0x7f00000, v5
	v_cndmask_b32_e32 v4, 0x7e, v4, vcc_lo
; %bb.1525:
	s_and_not1_saveexec_b32 s24, s24
; %bb.1526:
	v_add_f32_e64 v4, 0x46800000, |v1|
; %bb.1527:
	s_or_b32 exec_lo, exec_lo, s24
                                        ; implicit-def: $vgpr5
.LBB54_1528:
	s_and_not1_saveexec_b32 s23, s23
; %bb.1529:
	v_mov_b32_e32 v4, 0x7f
	v_cmp_lt_u32_e32 vcc_lo, 0x7f800000, v5
	s_delay_alu instid0(VALU_DEP_2)
	v_cndmask_b32_e32 v4, 0x7e, v4, vcc_lo
; %bb.1530:
	s_or_b32 exec_lo, exec_lo, s23
	v_lshrrev_b32_e32 v1, 24, v1
	s_delay_alu instid0(VALU_DEP_1)
	v_and_or_b32 v1, 0x80, v1, v4
	global_store_b8 v[2:3], v1, off
.LBB54_1531:
	s_mov_b32 s23, 0
.LBB54_1532:
	s_delay_alu instid0(SALU_CYCLE_1)
	s_and_not1_b32 vcc_lo, exec_lo, s23
	s_cbranch_vccnz .LBB54_1542
; %bb.1533:
	s_wait_xcnt 0x0
	v_cvt_f32_i32_e32 v1, v0
	s_mov_b32 s23, exec_lo
                                        ; implicit-def: $vgpr4
	s_delay_alu instid0(VALU_DEP_1) | instskip(NEXT) | instid1(VALU_DEP_1)
	v_and_b32_e32 v5, 0x7fffffff, v1
	v_cmpx_gt_u32_e32 0x47800000, v5
	s_xor_b32 s23, exec_lo, s23
	s_cbranch_execz .LBB54_1539
; %bb.1534:
	s_mov_b32 s24, exec_lo
                                        ; implicit-def: $vgpr4
	v_cmpx_lt_u32_e32 0x387fffff, v5
	s_xor_b32 s24, exec_lo, s24
; %bb.1535:
	v_bfe_u32 v4, v1, 21, 1
	s_delay_alu instid0(VALU_DEP_1) | instskip(NEXT) | instid1(VALU_DEP_1)
	v_add3_u32 v4, v1, v4, 0x80fffff
	v_lshrrev_b32_e32 v4, 21, v4
; %bb.1536:
	s_and_not1_saveexec_b32 s24, s24
; %bb.1537:
	v_add_f32_e64 v4, 0x43000000, |v1|
; %bb.1538:
	s_or_b32 exec_lo, exec_lo, s24
                                        ; implicit-def: $vgpr5
.LBB54_1539:
	s_and_not1_saveexec_b32 s23, s23
; %bb.1540:
	v_mov_b32_e32 v4, 0x7f
	v_cmp_lt_u32_e32 vcc_lo, 0x7f800000, v5
	s_delay_alu instid0(VALU_DEP_2)
	v_cndmask_b32_e32 v4, 0x7c, v4, vcc_lo
; %bb.1541:
	s_or_b32 exec_lo, exec_lo, s23
	v_lshrrev_b32_e32 v1, 24, v1
	s_delay_alu instid0(VALU_DEP_1)
	v_and_or_b32 v1, 0x80, v1, v4
	global_store_b8 v[2:3], v1, off
.LBB54_1542:
	s_mov_b32 s23, 0
.LBB54_1543:
	s_delay_alu instid0(SALU_CYCLE_1)
	s_and_not1_b32 vcc_lo, exec_lo, s23
	s_mov_b32 s23, 0
	s_cbranch_vccnz .LBB54_1551
; %bb.1544:
	s_cmp_gt_i32 s21, 14
	s_mov_b32 s23, -1
	s_cbranch_scc0 .LBB54_1548
; %bb.1545:
	s_cmp_eq_u32 s21, 15
	s_mov_b32 s0, -1
	s_cbranch_scc0 .LBB54_1547
; %bb.1546:
	s_wait_xcnt 0x0
	v_cvt_f32_i32_e32 v1, v0
	s_mov_b32 s0, 0
	s_delay_alu instid0(VALU_DEP_1) | instskip(NEXT) | instid1(VALU_DEP_1)
	v_bfe_u32 v4, v1, 16, 1
	v_add3_u32 v1, v1, v4, 0x7fff
	global_store_d16_hi_b16 v[2:3], v1, off
.LBB54_1547:
	s_mov_b32 s23, 0
.LBB54_1548:
	s_delay_alu instid0(SALU_CYCLE_1)
	s_and_b32 vcc_lo, exec_lo, s23
	s_mov_b32 s23, 0
	s_cbranch_vccz .LBB54_1551
; %bb.1549:
	s_cmp_lg_u32 s21, 11
	s_mov_b32 s23, -1
	s_cselect_b32 s21, -1, 0
	s_and_not1_b32 s0, s0, exec_lo
	s_and_b32 s21, s21, exec_lo
	s_delay_alu instid0(SALU_CYCLE_1)
	s_or_b32 s0, s0, s21
	s_branch .LBB54_1551
.LBB54_1550:
	s_mov_b32 s23, 0
.LBB54_1551:
	s_and_b32 s21, s22, exec_lo
	s_and_not1_b32 s17, s17, exec_lo
	s_and_b32 s22, s0, exec_lo
	s_and_b32 s0, s23, exec_lo
	s_or_b32 s17, s17, s22
	s_wait_xcnt 0x0
	s_or_b32 exec_lo, exec_lo, s20
	s_and_saveexec_b32 s20, s17
	s_cbranch_execz .LBB54_1480
.LBB54_1552:
	s_or_b32 s18, s18, exec_lo
	s_and_not1_b32 s0, s0, exec_lo
	s_trap 2
	s_or_b32 exec_lo, exec_lo, s20
	s_and_saveexec_b32 s17, s0
	s_delay_alu instid0(SALU_CYCLE_1)
	s_xor_b32 s0, exec_lo, s17
	s_cbranch_execnz .LBB54_1481
.LBB54_1553:
	s_or_b32 exec_lo, exec_lo, s0
	s_and_saveexec_b32 s0, s21
	s_delay_alu instid0(SALU_CYCLE_1)
	s_xor_b32 s0, exec_lo, s0
	s_cbranch_execz .LBB54_1591
.LBB54_1554:
	s_sext_i32_i16 s20, s19
	s_mov_b32 s17, -1
	s_cmp_lt_i32 s20, 5
	s_cbranch_scc1 .LBB54_1575
; %bb.1555:
	s_cmp_lt_i32 s20, 8
	s_cbranch_scc1 .LBB54_1565
; %bb.1556:
	;; [unrolled: 3-line block ×3, first 2 shown]
	s_cmp_gt_i32 s20, 9
	s_cbranch_scc0 .LBB54_1559
; %bb.1558:
	s_wait_loadcnt 0x0
	v_cvt_f64_i32_e32 v[4:5], v0
	v_mov_b32_e32 v6, 0
	s_mov_b32 s17, 0
	s_delay_alu instid0(VALU_DEP_1)
	v_mov_b32_e32 v7, v6
	global_store_b128 v[2:3], v[4:7], off
.LBB54_1559:
	s_and_not1_b32 vcc_lo, exec_lo, s17
	s_cbranch_vccnz .LBB54_1561
; %bb.1560:
	s_wait_loadcnt 0x0
	v_cvt_f32_i32_e32 v4, v0
	v_mov_b32_e32 v5, 0
	global_store_b64 v[2:3], v[4:5], off
.LBB54_1561:
	s_mov_b32 s17, 0
.LBB54_1562:
	s_delay_alu instid0(SALU_CYCLE_1)
	s_and_not1_b32 vcc_lo, exec_lo, s17
	s_cbranch_vccnz .LBB54_1564
; %bb.1563:
	v_cvt_f32_i32_e32 v1, v0
	s_delay_alu instid0(VALU_DEP_1) | instskip(NEXT) | instid1(VALU_DEP_1)
	v_cvt_f16_f32_e32 v1, v1
	v_and_b32_e32 v1, 0xffff, v1
	s_wait_loadcnt 0x0
	global_store_b32 v[2:3], v1, off
.LBB54_1564:
	s_mov_b32 s17, 0
.LBB54_1565:
	s_delay_alu instid0(SALU_CYCLE_1)
	s_and_not1_b32 vcc_lo, exec_lo, s17
	s_cbranch_vccnz .LBB54_1574
; %bb.1566:
	s_sext_i32_i16 s20, s19
	s_mov_b32 s17, -1
	s_cmp_lt_i32 s20, 6
	s_cbranch_scc1 .LBB54_1572
; %bb.1567:
	s_cmp_gt_i32 s20, 6
	s_cbranch_scc0 .LBB54_1569
; %bb.1568:
	s_wait_loadcnt 0x0
	v_cvt_f64_i32_e32 v[4:5], v0
	s_mov_b32 s17, 0
	global_store_b64 v[2:3], v[4:5], off
.LBB54_1569:
	s_and_not1_b32 vcc_lo, exec_lo, s17
	s_cbranch_vccnz .LBB54_1571
; %bb.1570:
	s_wait_xcnt 0x0
	v_cvt_f32_i32_e32 v1, v0
	s_wait_loadcnt 0x0
	global_store_b32 v[2:3], v1, off
.LBB54_1571:
	s_mov_b32 s17, 0
.LBB54_1572:
	s_delay_alu instid0(SALU_CYCLE_1)
	s_and_not1_b32 vcc_lo, exec_lo, s17
	s_cbranch_vccnz .LBB54_1574
; %bb.1573:
	s_wait_xcnt 0x0
	v_cvt_f32_i32_e32 v1, v0
	s_delay_alu instid0(VALU_DEP_1)
	v_cvt_f16_f32_e32 v1, v1
	s_wait_loadcnt 0x0
	global_store_b16 v[2:3], v1, off
.LBB54_1574:
	s_mov_b32 s17, 0
.LBB54_1575:
	s_delay_alu instid0(SALU_CYCLE_1)
	s_and_not1_b32 vcc_lo, exec_lo, s17
	s_cbranch_vccnz .LBB54_1591
; %bb.1576:
	s_sext_i32_i16 s20, s19
	s_mov_b32 s17, -1
	s_cmp_lt_i32 s20, 2
	s_cbranch_scc1 .LBB54_1586
; %bb.1577:
	s_cmp_lt_i32 s20, 3
	s_cbranch_scc1 .LBB54_1583
; %bb.1578:
	s_cmp_gt_i32 s20, 3
	s_cbranch_scc0 .LBB54_1580
; %bb.1579:
	s_wait_xcnt 0x0
	v_ashrrev_i32_e32 v1, 31, v0
	s_mov_b32 s17, 0
	s_wait_loadcnt 0x0
	global_store_b64 v[2:3], v[0:1], off
.LBB54_1580:
	s_and_not1_b32 vcc_lo, exec_lo, s17
	s_cbranch_vccnz .LBB54_1582
; %bb.1581:
	s_wait_loadcnt 0x0
	global_store_b32 v[2:3], v0, off
.LBB54_1582:
	s_mov_b32 s17, 0
.LBB54_1583:
	s_delay_alu instid0(SALU_CYCLE_1)
	s_and_not1_b32 vcc_lo, exec_lo, s17
	s_cbranch_vccnz .LBB54_1585
; %bb.1584:
	s_wait_loadcnt 0x0
	global_store_b16 v[2:3], v0, off
.LBB54_1585:
	s_mov_b32 s17, 0
.LBB54_1586:
	s_delay_alu instid0(SALU_CYCLE_1)
	s_and_not1_b32 vcc_lo, exec_lo, s17
	s_cbranch_vccnz .LBB54_1591
; %bb.1587:
	s_sext_i32_i16 s17, s19
	s_delay_alu instid0(SALU_CYCLE_1)
	s_cmp_gt_i32 s17, 0
	s_mov_b32 s17, -1
	s_cbranch_scc0 .LBB54_1589
; %bb.1588:
	s_mov_b32 s17, 0
	s_wait_loadcnt 0x0
	global_store_b8 v[2:3], v0, off
.LBB54_1589:
	s_and_not1_b32 vcc_lo, exec_lo, s17
	s_cbranch_vccnz .LBB54_1591
; %bb.1590:
	s_wait_loadcnt 0x0
	global_store_b8 v[2:3], v0, off
.LBB54_1591:
	s_wait_xcnt 0x0
	s_or_b32 exec_lo, exec_lo, s0
	s_delay_alu instid0(SALU_CYCLE_1)
	s_and_b32 s17, s18, exec_lo
                                        ; implicit-def: $vgpr6
.LBB54_1592:
	s_or_saveexec_b32 s16, s16
	s_mov_b32 s0, 0
                                        ; implicit-def: $sgpr18
                                        ; implicit-def: $vgpr0_vgpr1
                                        ; implicit-def: $vgpr2
	s_xor_b32 exec_lo, exec_lo, s16
	s_cbranch_execz .LBB54_3128
; %bb.1593:
	s_and_b32 s15, s15, 0xff
	s_delay_alu instid0(SALU_CYCLE_1)
	s_cmp_lt_i32 s15, 23
	s_cbranch_scc1 .LBB54_1597
; %bb.1594:
	s_and_b32 s18, 0xffff, s15
	s_delay_alu instid0(SALU_CYCLE_1)
	s_cmp_gt_i32 s18, 43
	s_cbranch_scc0 .LBB54_1598
; %bb.1595:
	s_cmp_gt_i32 s18, 45
	s_cbranch_scc0 .LBB54_1599
; %bb.1596:
	s_cmp_lg_u32 s18, 46
	s_mov_b32 s0, -1
	s_cselect_b32 s14, -1, 0
	s_cbranch_execz .LBB54_1600
	s_branch .LBB54_1601
.LBB54_1597:
	s_cbranch_execnz .LBB54_1604
	s_branch .LBB54_1608
.LBB54_1598:
	s_cbranch_execnz .LBB54_1602
	s_branch .LBB54_1603
.LBB54_1599:
.LBB54_1600:
	s_cmp_eq_u32 s18, 44
	s_cselect_b32 s0, -1, 0
	s_cmp_lg_u32 s18, 44
	s_cselect_b32 s14, -1, 0
.LBB54_1601:
	s_branch .LBB54_1603
.LBB54_1602:
	s_cmp_lt_i32 s18, 30
	s_cselect_b32 s0, -1, 0
	s_cmp_gt_i32 s18, 29
	s_cselect_b32 s14, -1, 0
.LBB54_1603:
	s_branch .LBB54_1608
.LBB54_1604:
	s_and_b32 s18, 0xffff, s15
	s_mov_b32 s19, -1
	s_cmp_gt_i32 s18, 14
	s_cbranch_scc0 .LBB54_1606
; %bb.1605:
	s_cmp_eq_u32 s18, 15
	s_mov_b32 s19, 0
	s_cselect_b32 s0, -1, 0
	s_cmp_lg_u32 s18, 15
	s_cselect_b32 s14, -1, 0
.LBB54_1606:
	s_and_not1_b32 vcc_lo, exec_lo, s19
	s_cbranch_vccnz .LBB54_1608
; %bb.1607:
	s_cmp_lt_i32 s18, 12
	s_cselect_b32 s0, -1, 0
	s_cmp_gt_i32 s18, 11
	s_cselect_b32 s14, -1, 0
.LBB54_1608:
	s_delay_alu instid0(SALU_CYCLE_1)
	s_and_b32 vcc_lo, exec_lo, s14
	s_mov_b32 s14, s17
	s_cbranch_vccnz .LBB54_1621
; %bb.1609:
	s_and_not1_b32 vcc_lo, exec_lo, s0
	s_cbranch_vccnz .LBB54_3126
.LBB54_1610:
	v_mul_lo_u32 v0, s4, v6
	s_and_b32 s13, s13, 0xff
	s_delay_alu instid0(SALU_CYCLE_1) | instskip(NEXT) | instid1(VALU_DEP_1)
	s_cmp_lt_i32 s13, 11
	v_ashrrev_i32_e32 v1, 31, v0
	s_wait_loadcnt 0x0
	s_delay_alu instid0(VALU_DEP_1)
	v_add_nc_u64_e32 v[2:3], s[8:9], v[0:1]
	s_cbranch_scc1 .LBB54_1617
; %bb.1611:
	s_and_b32 s0, 0xffff, s13
	s_mov_b32 s19, 0
	s_cmp_gt_i32 s0, 25
	s_cbranch_scc0 .LBB54_1619
; %bb.1612:
	s_cmp_gt_i32 s0, 28
	s_cbranch_scc0 .LBB54_1620
; %bb.1613:
	;; [unrolled: 3-line block ×4, first 2 shown]
	s_cmp_eq_u32 s0, 46
	s_mov_b32 s21, 0
	s_cbranch_scc0 .LBB54_1628
; %bb.1616:
	global_load_b32 v1, v[2:3], off
	s_mov_b32 s18, 0
	s_mov_b32 s20, -1
	s_wait_loadcnt 0x0
	v_lshlrev_b32_e32 v1, 16, v1
	s_delay_alu instid0(VALU_DEP_1)
	v_cvt_i32_f32_e32 v7, v1
	s_branch .LBB54_1630
.LBB54_1617:
	s_mov_b32 s20, 0
                                        ; implicit-def: $vgpr7
	s_cbranch_execnz .LBB54_1691
.LBB54_1618:
	s_and_not1_b32 vcc_lo, exec_lo, s20
	s_cbranch_vccz .LBB54_1738
	s_branch .LBB54_3126
.LBB54_1619:
	s_mov_b32 s20, 0
	s_mov_b32 s18, 0
                                        ; implicit-def: $vgpr7
	s_cbranch_execnz .LBB54_1657
	s_branch .LBB54_1687
.LBB54_1620:
	s_mov_b32 s21, -1
	s_mov_b32 s20, 0
	s_mov_b32 s18, 0
                                        ; implicit-def: $vgpr7
	s_branch .LBB54_1640
.LBB54_1621:
	s_or_b32 s14, s17, exec_lo
	s_trap 2
	s_cbranch_execz .LBB54_1610
	s_branch .LBB54_3126
.LBB54_1622:
	s_mov_b32 s21, -1
	s_mov_b32 s20, 0
	s_mov_b32 s18, 0
                                        ; implicit-def: $vgpr7
	s_branch .LBB54_1635
.LBB54_1623:
	s_and_not1_saveexec_b32 s24, s24
	s_cbranch_execz .LBB54_1505
.LBB54_1624:
	v_add_f32_e64 v4, 0x46000000, |v1|
	s_and_not1_b32 s23, s23, exec_lo
	s_delay_alu instid0(VALU_DEP_1) | instskip(NEXT) | instid1(VALU_DEP_1)
	v_and_b32_e32 v4, 0xff, v4
	v_cmp_ne_u32_e32 vcc_lo, 0, v4
	s_and_b32 s25, vcc_lo, exec_lo
	s_delay_alu instid0(SALU_CYCLE_1)
	s_or_b32 s23, s23, s25
	s_or_b32 exec_lo, exec_lo, s24
	v_mov_b32_e32 v5, 0
	s_and_saveexec_b32 s24, s23
	s_cbranch_execnz .LBB54_1506
	s_branch .LBB54_1507
.LBB54_1625:
	s_mov_b32 s21, -1
	s_mov_b32 s20, 0
	s_mov_b32 s18, 0
	s_branch .LBB54_1629
.LBB54_1626:
	s_and_not1_saveexec_b32 s25, s25
	s_cbranch_execz .LBB54_1517
.LBB54_1627:
	v_add_f32_e64 v4, 0x42800000, |v1|
	s_and_not1_b32 s24, s24, exec_lo
	s_delay_alu instid0(VALU_DEP_1) | instskip(NEXT) | instid1(VALU_DEP_1)
	v_and_b32_e32 v4, 0xff, v4
	v_cmp_ne_u32_e32 vcc_lo, 0, v4
	s_and_b32 s26, vcc_lo, exec_lo
	s_delay_alu instid0(SALU_CYCLE_1)
	s_or_b32 s24, s24, s26
	s_or_b32 exec_lo, exec_lo, s25
	v_mov_b32_e32 v5, 0
	s_and_saveexec_b32 s25, s24
	s_cbranch_execnz .LBB54_1518
	s_branch .LBB54_1519
.LBB54_1628:
	s_mov_b32 s18, -1
	s_mov_b32 s20, 0
.LBB54_1629:
                                        ; implicit-def: $vgpr7
.LBB54_1630:
	s_and_b32 vcc_lo, exec_lo, s21
	s_cbranch_vccz .LBB54_1634
; %bb.1631:
	s_cmp_eq_u32 s0, 44
	s_cbranch_scc0 .LBB54_1633
; %bb.1632:
	global_load_u8 v1, v[2:3], off
	s_mov_b32 s18, 0
	s_mov_b32 s20, -1
	s_wait_loadcnt 0x0
	v_lshlrev_b32_e32 v4, 23, v1
	v_cmp_ne_u32_e32 vcc_lo, 0, v1
	s_delay_alu instid0(VALU_DEP_2) | instskip(NEXT) | instid1(VALU_DEP_1)
	v_cvt_i32_f32_e32 v4, v4
	v_cndmask_b32_e32 v7, 0, v4, vcc_lo
	s_branch .LBB54_1634
.LBB54_1633:
	s_mov_b32 s18, -1
                                        ; implicit-def: $vgpr7
.LBB54_1634:
	s_mov_b32 s21, 0
.LBB54_1635:
	s_delay_alu instid0(SALU_CYCLE_1)
	s_and_b32 vcc_lo, exec_lo, s21
	s_cbranch_vccz .LBB54_1639
; %bb.1636:
	s_cmp_eq_u32 s0, 29
	s_cbranch_scc0 .LBB54_1638
; %bb.1637:
	global_load_b32 v7, v[2:3], off
	s_mov_b32 s18, 0
	s_mov_b32 s20, -1
	s_branch .LBB54_1639
.LBB54_1638:
	s_mov_b32 s18, -1
                                        ; implicit-def: $vgpr7
.LBB54_1639:
	s_mov_b32 s21, 0
.LBB54_1640:
	s_delay_alu instid0(SALU_CYCLE_1)
	s_and_b32 vcc_lo, exec_lo, s21
	s_cbranch_vccz .LBB54_1656
; %bb.1641:
	s_cmp_lt_i32 s0, 27
	s_cbranch_scc1 .LBB54_1644
; %bb.1642:
	s_cmp_gt_i32 s0, 27
	s_cbranch_scc0 .LBB54_1645
; %bb.1643:
	s_wait_loadcnt 0x0
	global_load_b32 v7, v[2:3], off
	s_mov_b32 s20, 0
	s_branch .LBB54_1646
.LBB54_1644:
	s_mov_b32 s20, -1
                                        ; implicit-def: $vgpr7
	s_branch .LBB54_1649
.LBB54_1645:
	s_mov_b32 s20, -1
                                        ; implicit-def: $vgpr7
.LBB54_1646:
	s_delay_alu instid0(SALU_CYCLE_1)
	s_and_not1_b32 vcc_lo, exec_lo, s20
	s_cbranch_vccnz .LBB54_1648
; %bb.1647:
	s_wait_loadcnt 0x0
	global_load_u16 v7, v[2:3], off
.LBB54_1648:
	s_mov_b32 s20, 0
.LBB54_1649:
	s_delay_alu instid0(SALU_CYCLE_1)
	s_and_not1_b32 vcc_lo, exec_lo, s20
	s_cbranch_vccnz .LBB54_1655
; %bb.1650:
	global_load_u8 v1, v[2:3], off
	s_mov_b32 s21, 0
	s_mov_b32 s20, exec_lo
	s_wait_loadcnt 0x0
	v_cmpx_lt_i16_e32 0x7f, v1
	s_xor_b32 s20, exec_lo, s20
	s_cbranch_execz .LBB54_1666
; %bb.1651:
	v_cmp_ne_u16_e32 vcc_lo, 0x80, v1
	s_and_b32 s21, vcc_lo, exec_lo
	s_and_not1_saveexec_b32 s20, s20
	s_cbranch_execnz .LBB54_1667
.LBB54_1652:
	s_or_b32 exec_lo, exec_lo, s20
	v_mov_b32_e32 v7, 0
	s_and_saveexec_b32 s20, s21
	s_cbranch_execz .LBB54_1654
.LBB54_1653:
	v_and_b32_e32 v4, 0xffff, v1
	s_delay_alu instid0(VALU_DEP_1) | instskip(SKIP_1) | instid1(VALU_DEP_2)
	v_and_b32_e32 v5, 7, v4
	v_bfe_u32 v9, v4, 3, 4
	v_clz_i32_u32_e32 v7, v5
	s_delay_alu instid0(VALU_DEP_2) | instskip(NEXT) | instid1(VALU_DEP_2)
	v_cmp_eq_u32_e32 vcc_lo, 0, v9
	v_min_u32_e32 v7, 32, v7
	s_delay_alu instid0(VALU_DEP_1) | instskip(NEXT) | instid1(VALU_DEP_1)
	v_subrev_nc_u32_e32 v8, 28, v7
	v_dual_lshlrev_b32 v4, v8, v4 :: v_dual_sub_nc_u32 v7, 29, v7
	s_delay_alu instid0(VALU_DEP_1) | instskip(NEXT) | instid1(VALU_DEP_2)
	v_dual_lshlrev_b32 v1, 24, v1 :: v_dual_bitop2_b32 v4, 7, v4 bitop3:0x40
	v_cndmask_b32_e32 v7, v9, v7, vcc_lo
	s_delay_alu instid0(VALU_DEP_2) | instskip(NEXT) | instid1(VALU_DEP_3)
	v_cndmask_b32_e32 v4, v5, v4, vcc_lo
	v_and_b32_e32 v1, 0x80000000, v1
	s_delay_alu instid0(VALU_DEP_3) | instskip(NEXT) | instid1(VALU_DEP_3)
	v_lshl_add_u32 v5, v7, 23, 0x3b800000
	v_lshlrev_b32_e32 v4, 20, v4
	s_delay_alu instid0(VALU_DEP_1) | instskip(NEXT) | instid1(VALU_DEP_1)
	v_or3_b32 v1, v1, v5, v4
	v_cvt_i32_f32_e32 v7, v1
.LBB54_1654:
	s_or_b32 exec_lo, exec_lo, s20
.LBB54_1655:
	s_mov_b32 s20, -1
.LBB54_1656:
	s_branch .LBB54_1687
.LBB54_1657:
	s_cmp_gt_i32 s0, 22
	s_cbranch_scc0 .LBB54_1665
; %bb.1658:
	s_cmp_lt_i32 s0, 24
	s_cbranch_scc1 .LBB54_1668
; %bb.1659:
	s_cmp_gt_i32 s0, 24
	s_cbranch_scc0 .LBB54_1669
; %bb.1660:
	global_load_u8 v1, v[2:3], off
	s_mov_b32 s20, 0
	s_mov_b32 s19, exec_lo
	s_wait_loadcnt 0x0
	v_cmpx_lt_i16_e32 0x7f, v1
	s_xor_b32 s19, exec_lo, s19
	s_cbranch_execz .LBB54_1681
; %bb.1661:
	v_cmp_ne_u16_e32 vcc_lo, 0x80, v1
	s_and_b32 s20, vcc_lo, exec_lo
	s_and_not1_saveexec_b32 s19, s19
	s_cbranch_execnz .LBB54_1682
.LBB54_1662:
	s_or_b32 exec_lo, exec_lo, s19
	v_mov_b32_e32 v7, 0
	s_and_saveexec_b32 s19, s20
	s_cbranch_execz .LBB54_1664
.LBB54_1663:
	v_and_b32_e32 v4, 0xffff, v1
	s_delay_alu instid0(VALU_DEP_1) | instskip(SKIP_1) | instid1(VALU_DEP_2)
	v_and_b32_e32 v5, 3, v4
	v_bfe_u32 v9, v4, 2, 5
	v_clz_i32_u32_e32 v7, v5
	s_delay_alu instid0(VALU_DEP_2) | instskip(NEXT) | instid1(VALU_DEP_2)
	v_cmp_eq_u32_e32 vcc_lo, 0, v9
	v_min_u32_e32 v7, 32, v7
	s_delay_alu instid0(VALU_DEP_1) | instskip(NEXT) | instid1(VALU_DEP_1)
	v_subrev_nc_u32_e32 v8, 29, v7
	v_dual_lshlrev_b32 v4, v8, v4 :: v_dual_sub_nc_u32 v7, 30, v7
	s_delay_alu instid0(VALU_DEP_1) | instskip(NEXT) | instid1(VALU_DEP_2)
	v_dual_lshlrev_b32 v1, 24, v1 :: v_dual_bitop2_b32 v4, 3, v4 bitop3:0x40
	v_cndmask_b32_e32 v7, v9, v7, vcc_lo
	s_delay_alu instid0(VALU_DEP_2) | instskip(NEXT) | instid1(VALU_DEP_3)
	v_cndmask_b32_e32 v4, v5, v4, vcc_lo
	v_and_b32_e32 v1, 0x80000000, v1
	s_delay_alu instid0(VALU_DEP_3) | instskip(NEXT) | instid1(VALU_DEP_3)
	v_lshl_add_u32 v5, v7, 23, 0x37800000
	v_lshlrev_b32_e32 v4, 21, v4
	s_delay_alu instid0(VALU_DEP_1) | instskip(NEXT) | instid1(VALU_DEP_1)
	v_or3_b32 v1, v1, v5, v4
	v_cvt_i32_f32_e32 v7, v1
.LBB54_1664:
	s_or_b32 exec_lo, exec_lo, s19
	s_mov_b32 s19, 0
	s_branch .LBB54_1670
.LBB54_1665:
	s_mov_b32 s19, -1
                                        ; implicit-def: $vgpr7
	s_branch .LBB54_1676
.LBB54_1666:
	s_and_not1_saveexec_b32 s20, s20
	s_cbranch_execz .LBB54_1652
.LBB54_1667:
	v_cmp_ne_u16_e32 vcc_lo, 0, v1
	s_and_not1_b32 s21, s21, exec_lo
	s_and_b32 s22, vcc_lo, exec_lo
	s_delay_alu instid0(SALU_CYCLE_1)
	s_or_b32 s21, s21, s22
	s_or_b32 exec_lo, exec_lo, s20
	v_mov_b32_e32 v7, 0
	s_and_saveexec_b32 s20, s21
	s_cbranch_execnz .LBB54_1653
	s_branch .LBB54_1654
.LBB54_1668:
	s_mov_b32 s19, -1
                                        ; implicit-def: $vgpr7
	s_branch .LBB54_1673
.LBB54_1669:
	s_mov_b32 s19, -1
                                        ; implicit-def: $vgpr7
.LBB54_1670:
	s_delay_alu instid0(SALU_CYCLE_1)
	s_and_b32 vcc_lo, exec_lo, s19
	s_cbranch_vccz .LBB54_1672
; %bb.1671:
	global_load_u8 v1, v[2:3], off
	s_wait_loadcnt 0x0
	v_lshlrev_b32_e32 v1, 24, v1
	s_delay_alu instid0(VALU_DEP_1) | instskip(NEXT) | instid1(VALU_DEP_1)
	v_and_b32_e32 v4, 0x7f000000, v1
	v_clz_i32_u32_e32 v5, v4
	v_add_nc_u32_e32 v8, 0x1000000, v4
	v_cmp_ne_u32_e32 vcc_lo, 0, v4
	s_delay_alu instid0(VALU_DEP_3) | instskip(NEXT) | instid1(VALU_DEP_1)
	v_min_u32_e32 v5, 32, v5
	v_sub_nc_u32_e64 v5, v5, 4 clamp
	s_delay_alu instid0(VALU_DEP_1) | instskip(NEXT) | instid1(VALU_DEP_1)
	v_dual_lshlrev_b32 v7, v5, v4 :: v_dual_lshlrev_b32 v5, 23, v5
	v_lshrrev_b32_e32 v7, 4, v7
	s_delay_alu instid0(VALU_DEP_1) | instskip(NEXT) | instid1(VALU_DEP_1)
	v_dual_sub_nc_u32 v5, v7, v5 :: v_dual_ashrrev_i32 v7, 8, v8
	v_add_nc_u32_e32 v5, 0x3c000000, v5
	s_delay_alu instid0(VALU_DEP_1) | instskip(NEXT) | instid1(VALU_DEP_1)
	v_and_or_b32 v5, 0x7f800000, v7, v5
	v_cndmask_b32_e32 v4, 0, v5, vcc_lo
	s_delay_alu instid0(VALU_DEP_1) | instskip(NEXT) | instid1(VALU_DEP_1)
	v_and_or_b32 v1, 0x80000000, v1, v4
	v_cvt_i32_f32_e32 v7, v1
.LBB54_1672:
	s_mov_b32 s19, 0
.LBB54_1673:
	s_delay_alu instid0(SALU_CYCLE_1)
	s_and_not1_b32 vcc_lo, exec_lo, s19
	s_cbranch_vccnz .LBB54_1675
; %bb.1674:
	global_load_u8 v1, v[2:3], off
	s_wait_loadcnt 0x0
	v_lshlrev_b32_e32 v4, 25, v1
	v_lshlrev_b16 v1, 8, v1
	s_delay_alu instid0(VALU_DEP_1) | instskip(SKIP_1) | instid1(VALU_DEP_2)
	v_and_or_b32 v7, 0x7f00, v1, 0.5
	v_bfe_i32 v1, v1, 0, 16
	v_dual_add_f32 v7, -0.5, v7 :: v_dual_lshrrev_b32 v5, 4, v4
	v_cmp_gt_u32_e32 vcc_lo, 0x8000000, v4
	s_delay_alu instid0(VALU_DEP_2) | instskip(NEXT) | instid1(VALU_DEP_1)
	v_or_b32_e32 v5, 0x70000000, v5
	v_mul_f32_e32 v5, 0x7800000, v5
	s_delay_alu instid0(VALU_DEP_1) | instskip(NEXT) | instid1(VALU_DEP_1)
	v_cndmask_b32_e32 v4, v5, v7, vcc_lo
	v_and_or_b32 v1, 0x80000000, v1, v4
	s_delay_alu instid0(VALU_DEP_1)
	v_cvt_i32_f32_e32 v7, v1
.LBB54_1675:
	s_mov_b32 s19, 0
	s_mov_b32 s20, -1
.LBB54_1676:
	s_and_not1_b32 vcc_lo, exec_lo, s19
	s_mov_b32 s19, 0
	s_cbranch_vccnz .LBB54_1687
; %bb.1677:
	s_cmp_gt_i32 s0, 14
	s_cbranch_scc0 .LBB54_1680
; %bb.1678:
	s_cmp_eq_u32 s0, 15
	s_cbranch_scc0 .LBB54_1683
; %bb.1679:
	global_load_u16 v1, v[2:3], off
	s_mov_b32 s18, 0
	s_mov_b32 s20, -1
	s_wait_loadcnt 0x0
	v_lshlrev_b32_e32 v1, 16, v1
	s_delay_alu instid0(VALU_DEP_1)
	v_cvt_i32_f32_e32 v7, v1
	s_branch .LBB54_1685
.LBB54_1680:
	s_mov_b32 s19, -1
	s_branch .LBB54_1684
.LBB54_1681:
	s_and_not1_saveexec_b32 s19, s19
	s_cbranch_execz .LBB54_1662
.LBB54_1682:
	v_cmp_ne_u16_e32 vcc_lo, 0, v1
	s_and_not1_b32 s20, s20, exec_lo
	s_and_b32 s21, vcc_lo, exec_lo
	s_delay_alu instid0(SALU_CYCLE_1)
	s_or_b32 s20, s20, s21
	s_or_b32 exec_lo, exec_lo, s19
	v_mov_b32_e32 v7, 0
	s_and_saveexec_b32 s19, s20
	s_cbranch_execnz .LBB54_1663
	s_branch .LBB54_1664
.LBB54_1683:
	s_mov_b32 s18, -1
.LBB54_1684:
                                        ; implicit-def: $vgpr7
.LBB54_1685:
	s_and_b32 vcc_lo, exec_lo, s19
	s_mov_b32 s19, 0
	s_cbranch_vccz .LBB54_1687
; %bb.1686:
	s_cmp_lg_u32 s0, 11
	s_mov_b32 s19, -1
	s_cselect_b32 s18, -1, 0
.LBB54_1687:
	s_delay_alu instid0(SALU_CYCLE_1)
	s_and_b32 vcc_lo, exec_lo, s18
	s_cbranch_vccnz .LBB54_1750
; %bb.1688:
	s_and_not1_b32 vcc_lo, exec_lo, s19
	s_cbranch_vccnz .LBB54_1690
.LBB54_1689:
	global_load_u8 v1, v[2:3], off
	s_mov_b32 s20, -1
	s_wait_loadcnt 0x0
	v_cmp_ne_u16_e32 vcc_lo, 0, v1
	v_cndmask_b32_e64 v7, 0, 1, vcc_lo
.LBB54_1690:
	s_branch .LBB54_1618
.LBB54_1691:
	s_and_b32 s0, 0xffff, s13
	s_delay_alu instid0(SALU_CYCLE_1)
	s_cmp_lt_i32 s0, 5
	s_cbranch_scc1 .LBB54_1696
; %bb.1692:
	s_cmp_lt_i32 s0, 8
	s_cbranch_scc1 .LBB54_1697
; %bb.1693:
	s_cmp_lt_i32 s0, 9
	s_cbranch_scc1 .LBB54_1698
; %bb.1694:
	s_cmp_gt_i32 s0, 9
	s_cbranch_scc0 .LBB54_1699
; %bb.1695:
	global_load_b64 v[4:5], v[2:3], off
	s_mov_b32 s18, 0
	s_wait_loadcnt 0x0
	v_cvt_i32_f64_e32 v7, v[4:5]
	s_branch .LBB54_1700
.LBB54_1696:
                                        ; implicit-def: $vgpr7
	s_branch .LBB54_1718
.LBB54_1697:
	s_mov_b32 s18, -1
                                        ; implicit-def: $vgpr7
	s_branch .LBB54_1706
.LBB54_1698:
	s_mov_b32 s18, -1
                                        ; implicit-def: $vgpr7
	s_branch .LBB54_1703
.LBB54_1699:
	s_mov_b32 s18, -1
                                        ; implicit-def: $vgpr7
.LBB54_1700:
	s_delay_alu instid0(SALU_CYCLE_1)
	s_and_not1_b32 vcc_lo, exec_lo, s18
	s_cbranch_vccnz .LBB54_1702
; %bb.1701:
	global_load_b32 v1, v[2:3], off
	s_wait_loadcnt 0x0
	v_cvt_i32_f32_e32 v7, v1
.LBB54_1702:
	s_mov_b32 s18, 0
.LBB54_1703:
	s_delay_alu instid0(SALU_CYCLE_1)
	s_and_not1_b32 vcc_lo, exec_lo, s18
	s_cbranch_vccnz .LBB54_1705
; %bb.1704:
	global_load_b32 v1, v[2:3], off
	s_wait_loadcnt 0x0
	v_cvt_f32_f16_e32 v1, v1
	s_delay_alu instid0(VALU_DEP_1)
	v_cvt_i32_f32_e32 v7, v1
.LBB54_1705:
	s_mov_b32 s18, 0
.LBB54_1706:
	s_delay_alu instid0(SALU_CYCLE_1)
	s_and_not1_b32 vcc_lo, exec_lo, s18
	s_cbranch_vccnz .LBB54_1717
; %bb.1707:
	s_cmp_lt_i32 s0, 6
	s_cbranch_scc1 .LBB54_1710
; %bb.1708:
	s_cmp_gt_i32 s0, 6
	s_cbranch_scc0 .LBB54_1711
; %bb.1709:
	global_load_b64 v[4:5], v[2:3], off
	s_mov_b32 s18, 0
	s_wait_loadcnt 0x0
	v_cvt_i32_f64_e32 v7, v[4:5]
	s_branch .LBB54_1712
.LBB54_1710:
	s_mov_b32 s18, -1
                                        ; implicit-def: $vgpr7
	s_branch .LBB54_1715
.LBB54_1711:
	s_mov_b32 s18, -1
                                        ; implicit-def: $vgpr7
.LBB54_1712:
	s_delay_alu instid0(SALU_CYCLE_1)
	s_and_not1_b32 vcc_lo, exec_lo, s18
	s_cbranch_vccnz .LBB54_1714
; %bb.1713:
	global_load_b32 v1, v[2:3], off
	s_wait_loadcnt 0x0
	v_cvt_i32_f32_e32 v7, v1
.LBB54_1714:
	s_mov_b32 s18, 0
.LBB54_1715:
	s_delay_alu instid0(SALU_CYCLE_1)
	s_and_not1_b32 vcc_lo, exec_lo, s18
	s_cbranch_vccnz .LBB54_1717
; %bb.1716:
	global_load_u16 v1, v[2:3], off
	s_wait_loadcnt 0x0
	v_cvt_f32_f16_e32 v1, v1
	s_delay_alu instid0(VALU_DEP_1)
	v_cvt_i32_f32_e32 v7, v1
.LBB54_1717:
	s_cbranch_execnz .LBB54_1737
.LBB54_1718:
	s_cmp_lt_i32 s0, 2
	s_cbranch_scc1 .LBB54_1722
; %bb.1719:
	s_cmp_lt_i32 s0, 3
	s_cbranch_scc1 .LBB54_1723
; %bb.1720:
	s_cmp_gt_i32 s0, 3
	s_cbranch_scc0 .LBB54_1724
; %bb.1721:
	s_wait_loadcnt 0x0
	global_load_b32 v7, v[2:3], off
	s_mov_b32 s18, 0
	s_branch .LBB54_1725
.LBB54_1722:
	s_mov_b32 s18, -1
                                        ; implicit-def: $vgpr7
	s_branch .LBB54_1731
.LBB54_1723:
	s_mov_b32 s18, -1
                                        ; implicit-def: $vgpr7
	s_branch .LBB54_1728
.LBB54_1724:
	s_mov_b32 s18, -1
                                        ; implicit-def: $vgpr7
.LBB54_1725:
	s_delay_alu instid0(SALU_CYCLE_1)
	s_and_not1_b32 vcc_lo, exec_lo, s18
	s_cbranch_vccnz .LBB54_1727
; %bb.1726:
	s_wait_loadcnt 0x0
	global_load_b32 v7, v[2:3], off
.LBB54_1727:
	s_mov_b32 s18, 0
.LBB54_1728:
	s_delay_alu instid0(SALU_CYCLE_1)
	s_and_not1_b32 vcc_lo, exec_lo, s18
	s_cbranch_vccnz .LBB54_1730
; %bb.1729:
	s_wait_loadcnt 0x0
	global_load_i16 v7, v[2:3], off
.LBB54_1730:
	s_mov_b32 s18, 0
.LBB54_1731:
	s_delay_alu instid0(SALU_CYCLE_1)
	s_and_not1_b32 vcc_lo, exec_lo, s18
	s_cbranch_vccnz .LBB54_1737
; %bb.1732:
	s_cmp_gt_i32 s0, 0
	s_mov_b32 s0, 0
	s_cbranch_scc0 .LBB54_1734
; %bb.1733:
	s_wait_loadcnt 0x0
	global_load_i8 v7, v[2:3], off
	s_branch .LBB54_1735
.LBB54_1734:
	s_mov_b32 s0, -1
                                        ; implicit-def: $vgpr7
.LBB54_1735:
	s_delay_alu instid0(SALU_CYCLE_1)
	s_and_not1_b32 vcc_lo, exec_lo, s0
	s_cbranch_vccnz .LBB54_1737
; %bb.1736:
	s_wait_loadcnt 0x0
	global_load_u8 v7, v[2:3], off
.LBB54_1737:
.LBB54_1738:
	s_wait_xcnt 0x0
	v_mul_lo_u32 v2, s5, v6
	s_and_b32 s0, 0xffff, s1
	s_delay_alu instid0(SALU_CYCLE_1) | instskip(NEXT) | instid1(VALU_DEP_1)
	s_cmp_lt_i32 s0, 11
	v_ashrrev_i32_e32 v3, 31, v2
	s_delay_alu instid0(VALU_DEP_1)
	v_add_nc_u64_e32 v[4:5], s[10:11], v[2:3]
	s_cbranch_scc1 .LBB54_1745
; %bb.1739:
	s_cmp_gt_i32 s0, 25
	s_mov_b32 s18, 0
	s_cbranch_scc0 .LBB54_1747
; %bb.1740:
	s_cmp_gt_i32 s0, 28
	s_cbranch_scc0 .LBB54_1748
; %bb.1741:
	s_cmp_gt_i32 s0, 43
	;; [unrolled: 3-line block ×3, first 2 shown]
	s_cbranch_scc0 .LBB54_1751
; %bb.1743:
	s_cmp_eq_u32 s0, 46
	s_mov_b32 s20, 0
	s_cbranch_scc0 .LBB54_1752
; %bb.1744:
	global_load_b32 v1, v[4:5], off
	s_mov_b32 s1, 0
	s_mov_b32 s19, -1
	s_wait_loadcnt 0x0
	v_lshlrev_b32_e32 v1, 16, v1
	s_delay_alu instid0(VALU_DEP_1)
	v_cvt_i32_f32_e32 v8, v1
	s_branch .LBB54_1754
.LBB54_1745:
	s_mov_b32 s19, 0
                                        ; implicit-def: $vgpr8
	s_cbranch_execnz .LBB54_1816
.LBB54_1746:
	s_and_not1_b32 vcc_lo, exec_lo, s19
	s_cbranch_vccz .LBB54_1864
	s_branch .LBB54_3126
.LBB54_1747:
	s_mov_b32 s20, -1
	s_mov_b32 s19, 0
	s_mov_b32 s1, 0
                                        ; implicit-def: $vgpr8
	s_branch .LBB54_1781
.LBB54_1748:
	s_mov_b32 s20, -1
	s_mov_b32 s19, 0
	s_mov_b32 s1, 0
                                        ; implicit-def: $vgpr8
	s_branch .LBB54_1764
.LBB54_1749:
	s_mov_b32 s20, -1
	s_mov_b32 s19, 0
	s_mov_b32 s1, 0
                                        ; implicit-def: $vgpr8
	s_branch .LBB54_1759
.LBB54_1750:
	s_or_b32 s14, s14, exec_lo
	s_trap 2
	s_cbranch_execz .LBB54_1689
	s_branch .LBB54_1690
.LBB54_1751:
	s_mov_b32 s20, -1
	s_mov_b32 s19, 0
	s_mov_b32 s1, 0
	s_branch .LBB54_1753
.LBB54_1752:
	s_mov_b32 s1, -1
	s_mov_b32 s19, 0
.LBB54_1753:
                                        ; implicit-def: $vgpr8
.LBB54_1754:
	s_and_b32 vcc_lo, exec_lo, s20
	s_cbranch_vccz .LBB54_1758
; %bb.1755:
	s_cmp_eq_u32 s0, 44
	s_cbranch_scc0 .LBB54_1757
; %bb.1756:
	global_load_u8 v1, v[4:5], off
	s_mov_b32 s1, 0
	s_mov_b32 s19, -1
	s_wait_loadcnt 0x0
	v_lshlrev_b32_e32 v3, 23, v1
	v_cmp_ne_u32_e32 vcc_lo, 0, v1
	s_delay_alu instid0(VALU_DEP_2) | instskip(NEXT) | instid1(VALU_DEP_1)
	v_cvt_i32_f32_e32 v3, v3
	v_cndmask_b32_e32 v8, 0, v3, vcc_lo
	s_branch .LBB54_1758
.LBB54_1757:
	s_mov_b32 s1, -1
                                        ; implicit-def: $vgpr8
.LBB54_1758:
	s_mov_b32 s20, 0
.LBB54_1759:
	s_delay_alu instid0(SALU_CYCLE_1)
	s_and_b32 vcc_lo, exec_lo, s20
	s_cbranch_vccz .LBB54_1763
; %bb.1760:
	s_cmp_eq_u32 s0, 29
	s_cbranch_scc0 .LBB54_1762
; %bb.1761:
	global_load_b32 v8, v[4:5], off
	s_mov_b32 s1, 0
	s_mov_b32 s19, -1
	s_branch .LBB54_1763
.LBB54_1762:
	s_mov_b32 s1, -1
                                        ; implicit-def: $vgpr8
.LBB54_1763:
	s_mov_b32 s20, 0
.LBB54_1764:
	s_delay_alu instid0(SALU_CYCLE_1)
	s_and_b32 vcc_lo, exec_lo, s20
	s_cbranch_vccz .LBB54_1780
; %bb.1765:
	s_cmp_lt_i32 s0, 27
	s_cbranch_scc1 .LBB54_1768
; %bb.1766:
	s_cmp_gt_i32 s0, 27
	s_cbranch_scc0 .LBB54_1769
; %bb.1767:
	s_wait_loadcnt 0x0
	global_load_b32 v8, v[4:5], off
	s_mov_b32 s19, 0
	s_branch .LBB54_1770
.LBB54_1768:
	s_mov_b32 s19, -1
                                        ; implicit-def: $vgpr8
	s_branch .LBB54_1773
.LBB54_1769:
	s_mov_b32 s19, -1
                                        ; implicit-def: $vgpr8
.LBB54_1770:
	s_delay_alu instid0(SALU_CYCLE_1)
	s_and_not1_b32 vcc_lo, exec_lo, s19
	s_cbranch_vccnz .LBB54_1772
; %bb.1771:
	s_wait_loadcnt 0x0
	global_load_u16 v8, v[4:5], off
.LBB54_1772:
	s_mov_b32 s19, 0
.LBB54_1773:
	s_delay_alu instid0(SALU_CYCLE_1)
	s_and_not1_b32 vcc_lo, exec_lo, s19
	s_cbranch_vccnz .LBB54_1779
; %bb.1774:
	global_load_u8 v1, v[4:5], off
	s_mov_b32 s20, 0
	s_mov_b32 s19, exec_lo
	s_wait_loadcnt 0x0
	v_cmpx_lt_i16_e32 0x7f, v1
	s_xor_b32 s19, exec_lo, s19
	s_cbranch_execz .LBB54_1791
; %bb.1775:
	v_cmp_ne_u16_e32 vcc_lo, 0x80, v1
	s_and_b32 s20, vcc_lo, exec_lo
	s_and_not1_saveexec_b32 s19, s19
	s_cbranch_execnz .LBB54_1792
.LBB54_1776:
	s_or_b32 exec_lo, exec_lo, s19
	v_mov_b32_e32 v8, 0
	s_and_saveexec_b32 s19, s20
	s_cbranch_execz .LBB54_1778
.LBB54_1777:
	v_and_b32_e32 v3, 0xffff, v1
	s_delay_alu instid0(VALU_DEP_1) | instskip(SKIP_1) | instid1(VALU_DEP_2)
	v_and_b32_e32 v8, 7, v3
	v_bfe_u32 v11, v3, 3, 4
	v_clz_i32_u32_e32 v9, v8
	s_delay_alu instid0(VALU_DEP_2) | instskip(NEXT) | instid1(VALU_DEP_2)
	v_cmp_eq_u32_e32 vcc_lo, 0, v11
	v_min_u32_e32 v9, 32, v9
	s_delay_alu instid0(VALU_DEP_1) | instskip(NEXT) | instid1(VALU_DEP_1)
	v_subrev_nc_u32_e32 v10, 28, v9
	v_dual_lshlrev_b32 v3, v10, v3 :: v_dual_sub_nc_u32 v9, 29, v9
	s_delay_alu instid0(VALU_DEP_1) | instskip(NEXT) | instid1(VALU_DEP_1)
	v_dual_lshlrev_b32 v1, 24, v1 :: v_dual_bitop2_b32 v3, 7, v3 bitop3:0x40
	v_dual_cndmask_b32 v3, v8, v3, vcc_lo :: v_dual_cndmask_b32 v9, v11, v9, vcc_lo
	s_delay_alu instid0(VALU_DEP_2) | instskip(NEXT) | instid1(VALU_DEP_2)
	v_and_b32_e32 v1, 0x80000000, v1
	v_lshlrev_b32_e32 v3, 20, v3
	s_delay_alu instid0(VALU_DEP_3) | instskip(NEXT) | instid1(VALU_DEP_1)
	v_lshl_add_u32 v8, v9, 23, 0x3b800000
	v_or3_b32 v1, v1, v8, v3
	s_delay_alu instid0(VALU_DEP_1)
	v_cvt_i32_f32_e32 v8, v1
.LBB54_1778:
	s_or_b32 exec_lo, exec_lo, s19
.LBB54_1779:
	s_mov_b32 s19, -1
.LBB54_1780:
	s_mov_b32 s20, 0
.LBB54_1781:
	s_delay_alu instid0(SALU_CYCLE_1)
	s_and_b32 vcc_lo, exec_lo, s20
	s_cbranch_vccz .LBB54_1812
; %bb.1782:
	s_cmp_gt_i32 s0, 22
	s_cbranch_scc0 .LBB54_1790
; %bb.1783:
	s_cmp_lt_i32 s0, 24
	s_cbranch_scc1 .LBB54_1793
; %bb.1784:
	s_cmp_gt_i32 s0, 24
	s_cbranch_scc0 .LBB54_1794
; %bb.1785:
	global_load_u8 v1, v[4:5], off
	s_mov_b32 s19, 0
	s_mov_b32 s18, exec_lo
	s_wait_loadcnt 0x0
	v_cmpx_lt_i16_e32 0x7f, v1
	s_xor_b32 s18, exec_lo, s18
	s_cbranch_execz .LBB54_1806
; %bb.1786:
	v_cmp_ne_u16_e32 vcc_lo, 0x80, v1
	s_and_b32 s19, vcc_lo, exec_lo
	s_and_not1_saveexec_b32 s18, s18
	s_cbranch_execnz .LBB54_1807
.LBB54_1787:
	s_or_b32 exec_lo, exec_lo, s18
	v_mov_b32_e32 v8, 0
	s_and_saveexec_b32 s18, s19
	s_cbranch_execz .LBB54_1789
.LBB54_1788:
	v_and_b32_e32 v3, 0xffff, v1
	s_delay_alu instid0(VALU_DEP_1) | instskip(SKIP_1) | instid1(VALU_DEP_2)
	v_and_b32_e32 v8, 3, v3
	v_bfe_u32 v11, v3, 2, 5
	v_clz_i32_u32_e32 v9, v8
	s_delay_alu instid0(VALU_DEP_2) | instskip(NEXT) | instid1(VALU_DEP_2)
	v_cmp_eq_u32_e32 vcc_lo, 0, v11
	v_min_u32_e32 v9, 32, v9
	s_delay_alu instid0(VALU_DEP_1) | instskip(NEXT) | instid1(VALU_DEP_1)
	v_subrev_nc_u32_e32 v10, 29, v9
	v_dual_lshlrev_b32 v3, v10, v3 :: v_dual_sub_nc_u32 v9, 30, v9
	s_delay_alu instid0(VALU_DEP_1) | instskip(NEXT) | instid1(VALU_DEP_1)
	v_dual_lshlrev_b32 v1, 24, v1 :: v_dual_bitop2_b32 v3, 3, v3 bitop3:0x40
	v_dual_cndmask_b32 v3, v8, v3, vcc_lo :: v_dual_cndmask_b32 v9, v11, v9, vcc_lo
	s_delay_alu instid0(VALU_DEP_2) | instskip(NEXT) | instid1(VALU_DEP_2)
	v_and_b32_e32 v1, 0x80000000, v1
	v_lshlrev_b32_e32 v3, 21, v3
	s_delay_alu instid0(VALU_DEP_3) | instskip(NEXT) | instid1(VALU_DEP_1)
	v_lshl_add_u32 v8, v9, 23, 0x37800000
	v_or3_b32 v1, v1, v8, v3
	s_delay_alu instid0(VALU_DEP_1)
	v_cvt_i32_f32_e32 v8, v1
.LBB54_1789:
	s_or_b32 exec_lo, exec_lo, s18
	s_mov_b32 s18, 0
	s_branch .LBB54_1795
.LBB54_1790:
	s_mov_b32 s18, -1
                                        ; implicit-def: $vgpr8
	s_branch .LBB54_1801
.LBB54_1791:
	s_and_not1_saveexec_b32 s19, s19
	s_cbranch_execz .LBB54_1776
.LBB54_1792:
	v_cmp_ne_u16_e32 vcc_lo, 0, v1
	s_and_not1_b32 s20, s20, exec_lo
	s_and_b32 s21, vcc_lo, exec_lo
	s_delay_alu instid0(SALU_CYCLE_1)
	s_or_b32 s20, s20, s21
	s_or_b32 exec_lo, exec_lo, s19
	v_mov_b32_e32 v8, 0
	s_and_saveexec_b32 s19, s20
	s_cbranch_execnz .LBB54_1777
	s_branch .LBB54_1778
.LBB54_1793:
	s_mov_b32 s18, -1
                                        ; implicit-def: $vgpr8
	s_branch .LBB54_1798
.LBB54_1794:
	s_mov_b32 s18, -1
                                        ; implicit-def: $vgpr8
.LBB54_1795:
	s_delay_alu instid0(SALU_CYCLE_1)
	s_and_b32 vcc_lo, exec_lo, s18
	s_cbranch_vccz .LBB54_1797
; %bb.1796:
	global_load_u8 v1, v[4:5], off
	s_wait_loadcnt 0x0
	v_lshlrev_b32_e32 v1, 24, v1
	s_delay_alu instid0(VALU_DEP_1) | instskip(NEXT) | instid1(VALU_DEP_1)
	v_and_b32_e32 v3, 0x7f000000, v1
	v_clz_i32_u32_e32 v8, v3
	v_cmp_ne_u32_e32 vcc_lo, 0, v3
	v_add_nc_u32_e32 v10, 0x1000000, v3
	s_delay_alu instid0(VALU_DEP_3) | instskip(NEXT) | instid1(VALU_DEP_1)
	v_min_u32_e32 v8, 32, v8
	v_sub_nc_u32_e64 v8, v8, 4 clamp
	s_delay_alu instid0(VALU_DEP_1) | instskip(NEXT) | instid1(VALU_DEP_1)
	v_dual_lshlrev_b32 v9, v8, v3 :: v_dual_lshlrev_b32 v8, 23, v8
	v_lshrrev_b32_e32 v9, 4, v9
	s_delay_alu instid0(VALU_DEP_1) | instskip(NEXT) | instid1(VALU_DEP_1)
	v_dual_sub_nc_u32 v8, v9, v8 :: v_dual_ashrrev_i32 v9, 8, v10
	v_add_nc_u32_e32 v8, 0x3c000000, v8
	s_delay_alu instid0(VALU_DEP_1) | instskip(NEXT) | instid1(VALU_DEP_1)
	v_and_or_b32 v8, 0x7f800000, v9, v8
	v_cndmask_b32_e32 v3, 0, v8, vcc_lo
	s_delay_alu instid0(VALU_DEP_1) | instskip(NEXT) | instid1(VALU_DEP_1)
	v_and_or_b32 v1, 0x80000000, v1, v3
	v_cvt_i32_f32_e32 v8, v1
.LBB54_1797:
	s_mov_b32 s18, 0
.LBB54_1798:
	s_delay_alu instid0(SALU_CYCLE_1)
	s_and_not1_b32 vcc_lo, exec_lo, s18
	s_cbranch_vccnz .LBB54_1800
; %bb.1799:
	global_load_u8 v1, v[4:5], off
	s_wait_loadcnt 0x0
	v_lshlrev_b32_e32 v3, 25, v1
	v_lshlrev_b16 v1, 8, v1
	s_delay_alu instid0(VALU_DEP_1) | instskip(NEXT) | instid1(VALU_DEP_3)
	v_and_or_b32 v9, 0x7f00, v1, 0.5
	v_lshrrev_b32_e32 v8, 4, v3
	v_bfe_i32 v1, v1, 0, 16
	s_delay_alu instid0(VALU_DEP_3) | instskip(NEXT) | instid1(VALU_DEP_3)
	v_add_f32_e32 v9, -0.5, v9
	v_or_b32_e32 v8, 0x70000000, v8
	s_delay_alu instid0(VALU_DEP_1) | instskip(SKIP_1) | instid1(VALU_DEP_2)
	v_mul_f32_e32 v8, 0x7800000, v8
	v_cmp_gt_u32_e32 vcc_lo, 0x8000000, v3
	v_cndmask_b32_e32 v3, v8, v9, vcc_lo
	s_delay_alu instid0(VALU_DEP_1) | instskip(NEXT) | instid1(VALU_DEP_1)
	v_and_or_b32 v1, 0x80000000, v1, v3
	v_cvt_i32_f32_e32 v8, v1
.LBB54_1800:
	s_mov_b32 s18, 0
	s_mov_b32 s19, -1
.LBB54_1801:
	s_and_not1_b32 vcc_lo, exec_lo, s18
	s_mov_b32 s18, 0
	s_cbranch_vccnz .LBB54_1812
; %bb.1802:
	s_cmp_gt_i32 s0, 14
	s_cbranch_scc0 .LBB54_1805
; %bb.1803:
	s_cmp_eq_u32 s0, 15
	s_cbranch_scc0 .LBB54_1808
; %bb.1804:
	global_load_u16 v1, v[4:5], off
	s_mov_b32 s1, 0
	s_mov_b32 s19, -1
	s_wait_loadcnt 0x0
	v_lshlrev_b32_e32 v1, 16, v1
	s_delay_alu instid0(VALU_DEP_1)
	v_cvt_i32_f32_e32 v8, v1
	s_branch .LBB54_1810
.LBB54_1805:
	s_mov_b32 s18, -1
	s_branch .LBB54_1809
.LBB54_1806:
	s_and_not1_saveexec_b32 s18, s18
	s_cbranch_execz .LBB54_1787
.LBB54_1807:
	v_cmp_ne_u16_e32 vcc_lo, 0, v1
	s_and_not1_b32 s19, s19, exec_lo
	s_and_b32 s20, vcc_lo, exec_lo
	s_delay_alu instid0(SALU_CYCLE_1)
	s_or_b32 s19, s19, s20
	s_or_b32 exec_lo, exec_lo, s18
	v_mov_b32_e32 v8, 0
	s_and_saveexec_b32 s18, s19
	s_cbranch_execnz .LBB54_1788
	s_branch .LBB54_1789
.LBB54_1808:
	s_mov_b32 s1, -1
.LBB54_1809:
                                        ; implicit-def: $vgpr8
.LBB54_1810:
	s_and_b32 vcc_lo, exec_lo, s18
	s_mov_b32 s18, 0
	s_cbranch_vccz .LBB54_1812
; %bb.1811:
	s_cmp_lg_u32 s0, 11
	s_mov_b32 s18, -1
	s_cselect_b32 s1, -1, 0
.LBB54_1812:
	s_delay_alu instid0(SALU_CYCLE_1)
	s_and_b32 vcc_lo, exec_lo, s1
	s_cbranch_vccnz .LBB54_1894
; %bb.1813:
	s_and_not1_b32 vcc_lo, exec_lo, s18
	s_cbranch_vccnz .LBB54_1815
.LBB54_1814:
	global_load_u8 v1, v[4:5], off
	s_mov_b32 s19, -1
	s_wait_loadcnt 0x0
	v_cmp_ne_u16_e32 vcc_lo, 0, v1
	v_cndmask_b32_e64 v8, 0, 1, vcc_lo
.LBB54_1815:
	s_branch .LBB54_1746
.LBB54_1816:
	s_cmp_lt_i32 s0, 5
	s_cbranch_scc1 .LBB54_1821
; %bb.1817:
	s_cmp_lt_i32 s0, 8
	s_cbranch_scc1 .LBB54_1822
; %bb.1818:
	;; [unrolled: 3-line block ×3, first 2 shown]
	s_cmp_gt_i32 s0, 9
	s_cbranch_scc0 .LBB54_1824
; %bb.1820:
	s_wait_loadcnt 0x0
	global_load_b64 v[8:9], v[4:5], off
	s_mov_b32 s1, 0
	s_wait_loadcnt 0x0
	v_cvt_i32_f64_e32 v8, v[8:9]
	s_branch .LBB54_1825
.LBB54_1821:
	s_mov_b32 s1, -1
                                        ; implicit-def: $vgpr8
	s_branch .LBB54_1843
.LBB54_1822:
	s_mov_b32 s1, -1
                                        ; implicit-def: $vgpr8
	s_branch .LBB54_1831
.LBB54_1823:
	s_mov_b32 s1, -1
                                        ; implicit-def: $vgpr8
	s_branch .LBB54_1828
.LBB54_1824:
	s_mov_b32 s1, -1
                                        ; implicit-def: $vgpr8
.LBB54_1825:
	s_delay_alu instid0(SALU_CYCLE_1)
	s_and_not1_b32 vcc_lo, exec_lo, s1
	s_cbranch_vccnz .LBB54_1827
; %bb.1826:
	global_load_b32 v1, v[4:5], off
	s_wait_loadcnt 0x0
	v_cvt_i32_f32_e32 v8, v1
.LBB54_1827:
	s_mov_b32 s1, 0
.LBB54_1828:
	s_delay_alu instid0(SALU_CYCLE_1)
	s_and_not1_b32 vcc_lo, exec_lo, s1
	s_cbranch_vccnz .LBB54_1830
; %bb.1829:
	global_load_b32 v1, v[4:5], off
	s_wait_loadcnt 0x0
	v_cvt_f32_f16_e32 v1, v1
	s_delay_alu instid0(VALU_DEP_1)
	v_cvt_i32_f32_e32 v8, v1
.LBB54_1830:
	s_mov_b32 s1, 0
.LBB54_1831:
	s_delay_alu instid0(SALU_CYCLE_1)
	s_and_not1_b32 vcc_lo, exec_lo, s1
	s_cbranch_vccnz .LBB54_1842
; %bb.1832:
	s_cmp_lt_i32 s0, 6
	s_cbranch_scc1 .LBB54_1835
; %bb.1833:
	s_cmp_gt_i32 s0, 6
	s_cbranch_scc0 .LBB54_1836
; %bb.1834:
	s_wait_loadcnt 0x0
	global_load_b64 v[8:9], v[4:5], off
	s_mov_b32 s1, 0
	s_wait_loadcnt 0x0
	v_cvt_i32_f64_e32 v8, v[8:9]
	s_branch .LBB54_1837
.LBB54_1835:
	s_mov_b32 s1, -1
                                        ; implicit-def: $vgpr8
	s_branch .LBB54_1840
.LBB54_1836:
	s_mov_b32 s1, -1
                                        ; implicit-def: $vgpr8
.LBB54_1837:
	s_delay_alu instid0(SALU_CYCLE_1)
	s_and_not1_b32 vcc_lo, exec_lo, s1
	s_cbranch_vccnz .LBB54_1839
; %bb.1838:
	global_load_b32 v1, v[4:5], off
	s_wait_loadcnt 0x0
	v_cvt_i32_f32_e32 v8, v1
.LBB54_1839:
	s_mov_b32 s1, 0
.LBB54_1840:
	s_delay_alu instid0(SALU_CYCLE_1)
	s_and_not1_b32 vcc_lo, exec_lo, s1
	s_cbranch_vccnz .LBB54_1842
; %bb.1841:
	global_load_u16 v1, v[4:5], off
	s_wait_loadcnt 0x0
	v_cvt_f32_f16_e32 v1, v1
	s_delay_alu instid0(VALU_DEP_1)
	v_cvt_i32_f32_e32 v8, v1
.LBB54_1842:
	s_mov_b32 s1, 0
.LBB54_1843:
	s_delay_alu instid0(SALU_CYCLE_1)
	s_and_not1_b32 vcc_lo, exec_lo, s1
	s_cbranch_vccnz .LBB54_1863
; %bb.1844:
	s_cmp_lt_i32 s0, 2
	s_cbranch_scc1 .LBB54_1848
; %bb.1845:
	s_cmp_lt_i32 s0, 3
	s_cbranch_scc1 .LBB54_1849
; %bb.1846:
	s_cmp_gt_i32 s0, 3
	s_cbranch_scc0 .LBB54_1850
; %bb.1847:
	s_wait_loadcnt 0x0
	global_load_b32 v8, v[4:5], off
	s_mov_b32 s1, 0
	s_branch .LBB54_1851
.LBB54_1848:
	s_mov_b32 s1, -1
                                        ; implicit-def: $vgpr8
	s_branch .LBB54_1857
.LBB54_1849:
	s_mov_b32 s1, -1
                                        ; implicit-def: $vgpr8
	s_branch .LBB54_1854
.LBB54_1850:
	s_mov_b32 s1, -1
                                        ; implicit-def: $vgpr8
.LBB54_1851:
	s_delay_alu instid0(SALU_CYCLE_1)
	s_and_not1_b32 vcc_lo, exec_lo, s1
	s_cbranch_vccnz .LBB54_1853
; %bb.1852:
	s_wait_loadcnt 0x0
	global_load_b32 v8, v[4:5], off
.LBB54_1853:
	s_mov_b32 s1, 0
.LBB54_1854:
	s_delay_alu instid0(SALU_CYCLE_1)
	s_and_not1_b32 vcc_lo, exec_lo, s1
	s_cbranch_vccnz .LBB54_1856
; %bb.1855:
	s_wait_loadcnt 0x0
	global_load_i16 v8, v[4:5], off
.LBB54_1856:
	s_mov_b32 s1, 0
.LBB54_1857:
	s_delay_alu instid0(SALU_CYCLE_1)
	s_and_not1_b32 vcc_lo, exec_lo, s1
	s_cbranch_vccnz .LBB54_1863
; %bb.1858:
	s_cmp_gt_i32 s0, 0
	s_mov_b32 s1, 0
	s_cbranch_scc0 .LBB54_1860
; %bb.1859:
	s_wait_loadcnt 0x0
	global_load_i8 v8, v[4:5], off
	s_branch .LBB54_1861
.LBB54_1860:
	s_mov_b32 s1, -1
                                        ; implicit-def: $vgpr8
.LBB54_1861:
	s_delay_alu instid0(SALU_CYCLE_1)
	s_and_not1_b32 vcc_lo, exec_lo, s1
	s_cbranch_vccnz .LBB54_1863
; %bb.1862:
	s_wait_loadcnt 0x0
	global_load_u8 v8, v[4:5], off
.LBB54_1863:
.LBB54_1864:
	s_cmp_lt_i32 s15, 23
	s_cbranch_scc1 .LBB54_1868
; %bb.1865:
	s_and_b32 s19, 0xffff, s15
	s_delay_alu instid0(SALU_CYCLE_1)
	s_cmp_gt_i32 s19, 43
	s_cbranch_scc0 .LBB54_1869
; %bb.1866:
	s_cmp_gt_i32 s19, 45
	s_cbranch_scc0 .LBB54_1870
; %bb.1867:
	s_cmp_lg_u32 s19, 46
	s_mov_b32 s20, 0
	s_mov_b32 s1, -1
	s_cselect_b32 s18, -1, 0
	s_branch .LBB54_1871
.LBB54_1868:
	s_mov_b32 s19, -1
	s_mov_b32 s1, 0
	s_mov_b32 s18, 0
	s_branch .LBB54_1877
.LBB54_1869:
	s_mov_b32 s20, -1
	s_mov_b32 s1, 0
	s_mov_b32 s18, 0
	s_branch .LBB54_1874
.LBB54_1870:
	s_mov_b32 s20, -1
	s_mov_b32 s1, 0
	s_mov_b32 s18, 0
.LBB54_1871:
	s_and_not1_b32 vcc_lo, exec_lo, s20
	s_cbranch_vccnz .LBB54_1873
; %bb.1872:
	s_cmp_eq_u32 s19, 44
	s_cselect_b32 s1, -1, 0
	s_cmp_lg_u32 s19, 44
	s_cselect_b32 s18, -1, 0
.LBB54_1873:
	s_mov_b32 s20, 0
.LBB54_1874:
	s_delay_alu instid0(SALU_CYCLE_1)
	s_and_b32 vcc_lo, exec_lo, s20
	s_cbranch_vccz .LBB54_1876
; %bb.1875:
	s_cmp_lt_i32 s19, 30
	s_cselect_b32 s1, -1, 0
	s_cmp_gt_i32 s19, 29
	s_cselect_b32 s18, -1, 0
.LBB54_1876:
	s_mov_b32 s19, 0
.LBB54_1877:
	s_delay_alu instid0(SALU_CYCLE_1)
	s_and_b32 vcc_lo, exec_lo, s19
	s_cbranch_vccz .LBB54_1882
; %bb.1878:
	s_and_b32 s19, 0xffff, s15
	s_mov_b32 s20, -1
	s_cmp_gt_i32 s19, 14
	s_cbranch_scc0 .LBB54_1880
; %bb.1879:
	s_cmp_eq_u32 s19, 15
	s_mov_b32 s20, 0
	s_cselect_b32 s1, -1, 0
	s_cmp_lg_u32 s19, 15
	s_cselect_b32 s18, -1, 0
.LBB54_1880:
	s_and_not1_b32 vcc_lo, exec_lo, s20
	s_cbranch_vccnz .LBB54_1882
; %bb.1881:
	s_cmp_lt_i32 s19, 12
	s_cselect_b32 s1, -1, 0
	s_cmp_gt_i32 s19, 11
	s_cselect_b32 s18, -1, 0
.LBB54_1882:
	s_delay_alu instid0(SALU_CYCLE_1)
	s_and_b32 vcc_lo, exec_lo, s18
	s_cbranch_vccnz .LBB54_1895
; %bb.1883:
	s_and_not1_b32 vcc_lo, exec_lo, s1
	s_cbranch_vccnz .LBB54_3126
.LBB54_1884:
	s_lshl_b32 s1, s4, 7
	s_cmp_lt_i32 s13, 11
	v_add_nc_u32_e32 v0, s1, v0
	s_delay_alu instid0(VALU_DEP_1) | instskip(SKIP_1) | instid1(VALU_DEP_1)
	v_ashrrev_i32_e32 v1, 31, v0
	s_wait_xcnt 0x0
	v_add_nc_u64_e32 v[4:5], s[8:9], v[0:1]
	s_cbranch_scc1 .LBB54_1891
; %bb.1885:
	s_and_b32 s4, 0xffff, s13
	s_mov_b32 s19, 0
	s_cmp_gt_i32 s4, 25
	s_cbranch_scc0 .LBB54_1892
; %bb.1886:
	s_cmp_gt_i32 s4, 28
	s_cbranch_scc0 .LBB54_1893
; %bb.1887:
	;; [unrolled: 3-line block ×4, first 2 shown]
	s_cmp_eq_u32 s4, 46
	s_mov_b32 s21, 0
	s_cbranch_scc0 .LBB54_1898
; %bb.1890:
	global_load_b32 v1, v[4:5], off
	s_mov_b32 s18, 0
	s_mov_b32 s20, -1
	s_wait_loadcnt 0x0
	v_lshlrev_b32_e32 v1, 16, v1
	s_delay_alu instid0(VALU_DEP_1)
	v_cvt_i32_f32_e32 v9, v1
	s_branch .LBB54_1900
.LBB54_1891:
	s_mov_b32 s4, -1
	s_mov_b32 s20, 0
                                        ; implicit-def: $vgpr9
	s_branch .LBB54_1962
.LBB54_1892:
	s_mov_b32 s21, -1
	s_mov_b32 s20, 0
	s_mov_b32 s18, 0
                                        ; implicit-def: $vgpr9
	s_branch .LBB54_1927
.LBB54_1893:
	s_mov_b32 s21, -1
	s_mov_b32 s20, 0
	s_mov_b32 s18, 0
                                        ; implicit-def: $vgpr9
	s_branch .LBB54_1910
.LBB54_1894:
	s_or_b32 s14, s14, exec_lo
	s_trap 2
	s_cbranch_execz .LBB54_1814
	s_branch .LBB54_1815
.LBB54_1895:
	s_or_b32 s14, s14, exec_lo
	s_trap 2
	s_cbranch_execz .LBB54_1884
	s_branch .LBB54_3126
.LBB54_1896:
	s_mov_b32 s21, -1
	s_mov_b32 s20, 0
	s_mov_b32 s18, 0
                                        ; implicit-def: $vgpr9
	s_branch .LBB54_1905
.LBB54_1897:
	s_mov_b32 s21, -1
	s_mov_b32 s20, 0
	s_mov_b32 s18, 0
	s_branch .LBB54_1899
.LBB54_1898:
	s_mov_b32 s18, -1
	s_mov_b32 s20, 0
.LBB54_1899:
                                        ; implicit-def: $vgpr9
.LBB54_1900:
	s_and_b32 vcc_lo, exec_lo, s21
	s_cbranch_vccz .LBB54_1904
; %bb.1901:
	s_cmp_eq_u32 s4, 44
	s_cbranch_scc0 .LBB54_1903
; %bb.1902:
	global_load_u8 v1, v[4:5], off
	s_mov_b32 s18, 0
	s_mov_b32 s20, -1
	s_wait_loadcnt 0x0
	v_lshlrev_b32_e32 v3, 23, v1
	v_cmp_ne_u32_e32 vcc_lo, 0, v1
	s_delay_alu instid0(VALU_DEP_2) | instskip(NEXT) | instid1(VALU_DEP_1)
	v_cvt_i32_f32_e32 v3, v3
	v_cndmask_b32_e32 v9, 0, v3, vcc_lo
	s_branch .LBB54_1904
.LBB54_1903:
	s_mov_b32 s18, -1
                                        ; implicit-def: $vgpr9
.LBB54_1904:
	s_mov_b32 s21, 0
.LBB54_1905:
	s_delay_alu instid0(SALU_CYCLE_1)
	s_and_b32 vcc_lo, exec_lo, s21
	s_cbranch_vccz .LBB54_1909
; %bb.1906:
	s_cmp_eq_u32 s4, 29
	s_cbranch_scc0 .LBB54_1908
; %bb.1907:
	global_load_b32 v9, v[4:5], off
	s_mov_b32 s18, 0
	s_mov_b32 s20, -1
	s_branch .LBB54_1909
.LBB54_1908:
	s_mov_b32 s18, -1
                                        ; implicit-def: $vgpr9
.LBB54_1909:
	s_mov_b32 s21, 0
.LBB54_1910:
	s_delay_alu instid0(SALU_CYCLE_1)
	s_and_b32 vcc_lo, exec_lo, s21
	s_cbranch_vccz .LBB54_1926
; %bb.1911:
	s_cmp_lt_i32 s4, 27
	s_cbranch_scc1 .LBB54_1914
; %bb.1912:
	s_cmp_gt_i32 s4, 27
	s_cbranch_scc0 .LBB54_1915
; %bb.1913:
	s_wait_loadcnt 0x0
	global_load_b32 v9, v[4:5], off
	s_mov_b32 s20, 0
	s_branch .LBB54_1916
.LBB54_1914:
	s_mov_b32 s20, -1
                                        ; implicit-def: $vgpr9
	s_branch .LBB54_1919
.LBB54_1915:
	s_mov_b32 s20, -1
                                        ; implicit-def: $vgpr9
.LBB54_1916:
	s_delay_alu instid0(SALU_CYCLE_1)
	s_and_not1_b32 vcc_lo, exec_lo, s20
	s_cbranch_vccnz .LBB54_1918
; %bb.1917:
	s_wait_loadcnt 0x0
	global_load_u16 v9, v[4:5], off
.LBB54_1918:
	s_mov_b32 s20, 0
.LBB54_1919:
	s_delay_alu instid0(SALU_CYCLE_1)
	s_and_not1_b32 vcc_lo, exec_lo, s20
	s_cbranch_vccnz .LBB54_1925
; %bb.1920:
	global_load_u8 v1, v[4:5], off
	s_mov_b32 s21, 0
	s_mov_b32 s20, exec_lo
	s_wait_loadcnt 0x0
	v_cmpx_lt_i16_e32 0x7f, v1
	s_xor_b32 s20, exec_lo, s20
	s_cbranch_execz .LBB54_1937
; %bb.1921:
	v_cmp_ne_u16_e32 vcc_lo, 0x80, v1
	s_and_b32 s21, vcc_lo, exec_lo
	s_and_not1_saveexec_b32 s20, s20
	s_cbranch_execnz .LBB54_1938
.LBB54_1922:
	s_or_b32 exec_lo, exec_lo, s20
	v_mov_b32_e32 v9, 0
	s_and_saveexec_b32 s20, s21
	s_cbranch_execz .LBB54_1924
.LBB54_1923:
	v_and_b32_e32 v3, 0xffff, v1
	s_delay_alu instid0(VALU_DEP_1) | instskip(SKIP_1) | instid1(VALU_DEP_2)
	v_and_b32_e32 v9, 7, v3
	v_bfe_u32 v12, v3, 3, 4
	v_clz_i32_u32_e32 v10, v9
	s_delay_alu instid0(VALU_DEP_2) | instskip(NEXT) | instid1(VALU_DEP_2)
	v_cmp_eq_u32_e32 vcc_lo, 0, v12
	v_min_u32_e32 v10, 32, v10
	s_delay_alu instid0(VALU_DEP_1) | instskip(NEXT) | instid1(VALU_DEP_1)
	v_subrev_nc_u32_e32 v11, 28, v10
	v_dual_lshlrev_b32 v3, v11, v3 :: v_dual_sub_nc_u32 v10, 29, v10
	s_delay_alu instid0(VALU_DEP_1) | instskip(NEXT) | instid1(VALU_DEP_1)
	v_dual_lshlrev_b32 v1, 24, v1 :: v_dual_bitop2_b32 v3, 7, v3 bitop3:0x40
	v_dual_cndmask_b32 v10, v12, v10 :: v_dual_cndmask_b32 v3, v9, v3
	s_delay_alu instid0(VALU_DEP_2) | instskip(NEXT) | instid1(VALU_DEP_2)
	v_and_b32_e32 v1, 0x80000000, v1
	v_lshl_add_u32 v9, v10, 23, 0x3b800000
	s_delay_alu instid0(VALU_DEP_3) | instskip(NEXT) | instid1(VALU_DEP_1)
	v_lshlrev_b32_e32 v3, 20, v3
	v_or3_b32 v1, v1, v9, v3
	s_delay_alu instid0(VALU_DEP_1)
	v_cvt_i32_f32_e32 v9, v1
.LBB54_1924:
	s_or_b32 exec_lo, exec_lo, s20
.LBB54_1925:
	s_mov_b32 s20, -1
.LBB54_1926:
	s_mov_b32 s21, 0
.LBB54_1927:
	s_delay_alu instid0(SALU_CYCLE_1)
	s_and_b32 vcc_lo, exec_lo, s21
	s_cbranch_vccz .LBB54_1958
; %bb.1928:
	s_cmp_gt_i32 s4, 22
	s_cbranch_scc0 .LBB54_1936
; %bb.1929:
	s_cmp_lt_i32 s4, 24
	s_cbranch_scc1 .LBB54_1939
; %bb.1930:
	s_cmp_gt_i32 s4, 24
	s_cbranch_scc0 .LBB54_1940
; %bb.1931:
	global_load_u8 v1, v[4:5], off
	s_mov_b32 s20, 0
	s_mov_b32 s19, exec_lo
	s_wait_loadcnt 0x0
	v_cmpx_lt_i16_e32 0x7f, v1
	s_xor_b32 s19, exec_lo, s19
	s_cbranch_execz .LBB54_1952
; %bb.1932:
	v_cmp_ne_u16_e32 vcc_lo, 0x80, v1
	s_and_b32 s20, vcc_lo, exec_lo
	s_and_not1_saveexec_b32 s19, s19
	s_cbranch_execnz .LBB54_1953
.LBB54_1933:
	s_or_b32 exec_lo, exec_lo, s19
	v_mov_b32_e32 v9, 0
	s_and_saveexec_b32 s19, s20
	s_cbranch_execz .LBB54_1935
.LBB54_1934:
	v_and_b32_e32 v3, 0xffff, v1
	s_delay_alu instid0(VALU_DEP_1) | instskip(SKIP_1) | instid1(VALU_DEP_2)
	v_and_b32_e32 v9, 3, v3
	v_bfe_u32 v12, v3, 2, 5
	v_clz_i32_u32_e32 v10, v9
	s_delay_alu instid0(VALU_DEP_2) | instskip(NEXT) | instid1(VALU_DEP_2)
	v_cmp_eq_u32_e32 vcc_lo, 0, v12
	v_min_u32_e32 v10, 32, v10
	s_delay_alu instid0(VALU_DEP_1) | instskip(NEXT) | instid1(VALU_DEP_1)
	v_subrev_nc_u32_e32 v11, 29, v10
	v_dual_lshlrev_b32 v3, v11, v3 :: v_dual_sub_nc_u32 v10, 30, v10
	s_delay_alu instid0(VALU_DEP_1) | instskip(NEXT) | instid1(VALU_DEP_1)
	v_dual_lshlrev_b32 v1, 24, v1 :: v_dual_bitop2_b32 v3, 3, v3 bitop3:0x40
	v_dual_cndmask_b32 v10, v12, v10 :: v_dual_cndmask_b32 v3, v9, v3
	s_delay_alu instid0(VALU_DEP_2) | instskip(NEXT) | instid1(VALU_DEP_2)
	v_and_b32_e32 v1, 0x80000000, v1
	v_lshl_add_u32 v9, v10, 23, 0x37800000
	s_delay_alu instid0(VALU_DEP_3) | instskip(NEXT) | instid1(VALU_DEP_1)
	v_lshlrev_b32_e32 v3, 21, v3
	v_or3_b32 v1, v1, v9, v3
	s_delay_alu instid0(VALU_DEP_1)
	v_cvt_i32_f32_e32 v9, v1
.LBB54_1935:
	s_or_b32 exec_lo, exec_lo, s19
	s_mov_b32 s19, 0
	s_branch .LBB54_1941
.LBB54_1936:
	s_mov_b32 s19, -1
                                        ; implicit-def: $vgpr9
	s_branch .LBB54_1947
.LBB54_1937:
	s_and_not1_saveexec_b32 s20, s20
	s_cbranch_execz .LBB54_1922
.LBB54_1938:
	v_cmp_ne_u16_e32 vcc_lo, 0, v1
	s_and_not1_b32 s21, s21, exec_lo
	s_and_b32 s22, vcc_lo, exec_lo
	s_delay_alu instid0(SALU_CYCLE_1)
	s_or_b32 s21, s21, s22
	s_or_b32 exec_lo, exec_lo, s20
	v_mov_b32_e32 v9, 0
	s_and_saveexec_b32 s20, s21
	s_cbranch_execnz .LBB54_1923
	s_branch .LBB54_1924
.LBB54_1939:
	s_mov_b32 s19, -1
                                        ; implicit-def: $vgpr9
	s_branch .LBB54_1944
.LBB54_1940:
	s_mov_b32 s19, -1
                                        ; implicit-def: $vgpr9
.LBB54_1941:
	s_delay_alu instid0(SALU_CYCLE_1)
	s_and_b32 vcc_lo, exec_lo, s19
	s_cbranch_vccz .LBB54_1943
; %bb.1942:
	global_load_u8 v1, v[4:5], off
	s_wait_loadcnt 0x0
	v_lshlrev_b32_e32 v1, 24, v1
	s_delay_alu instid0(VALU_DEP_1) | instskip(NEXT) | instid1(VALU_DEP_1)
	v_and_b32_e32 v3, 0x7f000000, v1
	v_clz_i32_u32_e32 v9, v3
	v_add_nc_u32_e32 v11, 0x1000000, v3
	v_cmp_ne_u32_e32 vcc_lo, 0, v3
	s_delay_alu instid0(VALU_DEP_3) | instskip(NEXT) | instid1(VALU_DEP_1)
	v_min_u32_e32 v9, 32, v9
	v_sub_nc_u32_e64 v9, v9, 4 clamp
	s_delay_alu instid0(VALU_DEP_1) | instskip(NEXT) | instid1(VALU_DEP_1)
	v_dual_lshlrev_b32 v10, v9, v3 :: v_dual_lshlrev_b32 v9, 23, v9
	v_lshrrev_b32_e32 v10, 4, v10
	s_delay_alu instid0(VALU_DEP_1) | instskip(NEXT) | instid1(VALU_DEP_1)
	v_dual_sub_nc_u32 v9, v10, v9 :: v_dual_ashrrev_i32 v10, 8, v11
	v_add_nc_u32_e32 v9, 0x3c000000, v9
	s_delay_alu instid0(VALU_DEP_1) | instskip(NEXT) | instid1(VALU_DEP_1)
	v_and_or_b32 v9, 0x7f800000, v10, v9
	v_cndmask_b32_e32 v3, 0, v9, vcc_lo
	s_delay_alu instid0(VALU_DEP_1) | instskip(NEXT) | instid1(VALU_DEP_1)
	v_and_or_b32 v1, 0x80000000, v1, v3
	v_cvt_i32_f32_e32 v9, v1
.LBB54_1943:
	s_mov_b32 s19, 0
.LBB54_1944:
	s_delay_alu instid0(SALU_CYCLE_1)
	s_and_not1_b32 vcc_lo, exec_lo, s19
	s_cbranch_vccnz .LBB54_1946
; %bb.1945:
	global_load_u8 v1, v[4:5], off
	s_wait_loadcnt 0x0
	v_lshlrev_b32_e32 v3, 25, v1
	v_lshlrev_b16 v1, 8, v1
	s_delay_alu instid0(VALU_DEP_1) | instskip(SKIP_1) | instid1(VALU_DEP_2)
	v_and_or_b32 v10, 0x7f00, v1, 0.5
	v_bfe_i32 v1, v1, 0, 16
	v_dual_add_f32 v10, -0.5, v10 :: v_dual_lshrrev_b32 v9, 4, v3
	v_cmp_gt_u32_e32 vcc_lo, 0x8000000, v3
	s_delay_alu instid0(VALU_DEP_2) | instskip(NEXT) | instid1(VALU_DEP_1)
	v_or_b32_e32 v9, 0x70000000, v9
	v_mul_f32_e32 v9, 0x7800000, v9
	s_delay_alu instid0(VALU_DEP_1) | instskip(NEXT) | instid1(VALU_DEP_1)
	v_cndmask_b32_e32 v3, v9, v10, vcc_lo
	v_and_or_b32 v1, 0x80000000, v1, v3
	s_delay_alu instid0(VALU_DEP_1)
	v_cvt_i32_f32_e32 v9, v1
.LBB54_1946:
	s_mov_b32 s19, 0
	s_mov_b32 s20, -1
.LBB54_1947:
	s_and_not1_b32 vcc_lo, exec_lo, s19
	s_mov_b32 s19, 0
	s_cbranch_vccnz .LBB54_1958
; %bb.1948:
	s_cmp_gt_i32 s4, 14
	s_cbranch_scc0 .LBB54_1951
; %bb.1949:
	s_cmp_eq_u32 s4, 15
	s_cbranch_scc0 .LBB54_1954
; %bb.1950:
	global_load_u16 v1, v[4:5], off
	s_mov_b32 s18, 0
	s_mov_b32 s20, -1
	s_wait_loadcnt 0x0
	v_lshlrev_b32_e32 v1, 16, v1
	s_delay_alu instid0(VALU_DEP_1)
	v_cvt_i32_f32_e32 v9, v1
	s_branch .LBB54_1956
.LBB54_1951:
	s_mov_b32 s19, -1
	s_branch .LBB54_1955
.LBB54_1952:
	s_and_not1_saveexec_b32 s19, s19
	s_cbranch_execz .LBB54_1933
.LBB54_1953:
	v_cmp_ne_u16_e32 vcc_lo, 0, v1
	s_and_not1_b32 s20, s20, exec_lo
	s_and_b32 s21, vcc_lo, exec_lo
	s_delay_alu instid0(SALU_CYCLE_1)
	s_or_b32 s20, s20, s21
	s_or_b32 exec_lo, exec_lo, s19
	v_mov_b32_e32 v9, 0
	s_and_saveexec_b32 s19, s20
	s_cbranch_execnz .LBB54_1934
	s_branch .LBB54_1935
.LBB54_1954:
	s_mov_b32 s18, -1
.LBB54_1955:
                                        ; implicit-def: $vgpr9
.LBB54_1956:
	s_and_b32 vcc_lo, exec_lo, s19
	s_mov_b32 s19, 0
	s_cbranch_vccz .LBB54_1958
; %bb.1957:
	s_cmp_lg_u32 s4, 11
	s_mov_b32 s19, -1
	s_cselect_b32 s18, -1, 0
.LBB54_1958:
	s_delay_alu instid0(SALU_CYCLE_1)
	s_and_b32 vcc_lo, exec_lo, s18
	s_cbranch_vccnz .LBB54_2023
; %bb.1959:
	s_and_not1_b32 vcc_lo, exec_lo, s19
	s_cbranch_vccnz .LBB54_1961
.LBB54_1960:
	global_load_u8 v1, v[4:5], off
	s_mov_b32 s20, -1
	s_wait_loadcnt 0x0
	v_cmp_ne_u16_e32 vcc_lo, 0, v1
	v_cndmask_b32_e64 v9, 0, 1, vcc_lo
.LBB54_1961:
	s_mov_b32 s4, 0
.LBB54_1962:
	s_delay_alu instid0(SALU_CYCLE_1)
	s_and_b32 vcc_lo, exec_lo, s4
	s_cbranch_vccz .LBB54_2011
; %bb.1963:
	s_and_b32 s4, 0xffff, s13
	s_delay_alu instid0(SALU_CYCLE_1)
	s_cmp_lt_i32 s4, 5
	s_cbranch_scc1 .LBB54_1968
; %bb.1964:
	s_cmp_lt_i32 s4, 8
	s_cbranch_scc1 .LBB54_1969
; %bb.1965:
	s_cmp_lt_i32 s4, 9
	s_cbranch_scc1 .LBB54_1970
; %bb.1966:
	s_cmp_gt_i32 s4, 9
	s_cbranch_scc0 .LBB54_1971
; %bb.1967:
	global_load_b64 v[10:11], v[4:5], off
	s_mov_b32 s18, 0
	s_wait_loadcnt 0x0
	v_cvt_i32_f64_e32 v9, v[10:11]
	s_branch .LBB54_1972
.LBB54_1968:
	s_mov_b32 s18, -1
                                        ; implicit-def: $vgpr9
	s_branch .LBB54_1990
.LBB54_1969:
	s_mov_b32 s18, -1
                                        ; implicit-def: $vgpr9
	s_branch .LBB54_1978
.LBB54_1970:
	s_mov_b32 s18, -1
                                        ; implicit-def: $vgpr9
	s_branch .LBB54_1975
.LBB54_1971:
	s_mov_b32 s18, -1
                                        ; implicit-def: $vgpr9
.LBB54_1972:
	s_delay_alu instid0(SALU_CYCLE_1)
	s_and_not1_b32 vcc_lo, exec_lo, s18
	s_cbranch_vccnz .LBB54_1974
; %bb.1973:
	global_load_b32 v1, v[4:5], off
	s_wait_loadcnt 0x0
	v_cvt_i32_f32_e32 v9, v1
.LBB54_1974:
	s_mov_b32 s18, 0
.LBB54_1975:
	s_delay_alu instid0(SALU_CYCLE_1)
	s_and_not1_b32 vcc_lo, exec_lo, s18
	s_cbranch_vccnz .LBB54_1977
; %bb.1976:
	global_load_b32 v1, v[4:5], off
	s_wait_loadcnt 0x0
	v_cvt_f32_f16_e32 v1, v1
	s_delay_alu instid0(VALU_DEP_1)
	v_cvt_i32_f32_e32 v9, v1
.LBB54_1977:
	s_mov_b32 s18, 0
.LBB54_1978:
	s_delay_alu instid0(SALU_CYCLE_1)
	s_and_not1_b32 vcc_lo, exec_lo, s18
	s_cbranch_vccnz .LBB54_1989
; %bb.1979:
	s_cmp_lt_i32 s4, 6
	s_cbranch_scc1 .LBB54_1982
; %bb.1980:
	s_cmp_gt_i32 s4, 6
	s_cbranch_scc0 .LBB54_1983
; %bb.1981:
	global_load_b64 v[10:11], v[4:5], off
	s_mov_b32 s18, 0
	s_wait_loadcnt 0x0
	v_cvt_i32_f64_e32 v9, v[10:11]
	s_branch .LBB54_1984
.LBB54_1982:
	s_mov_b32 s18, -1
                                        ; implicit-def: $vgpr9
	s_branch .LBB54_1987
.LBB54_1983:
	s_mov_b32 s18, -1
                                        ; implicit-def: $vgpr9
.LBB54_1984:
	s_delay_alu instid0(SALU_CYCLE_1)
	s_and_not1_b32 vcc_lo, exec_lo, s18
	s_cbranch_vccnz .LBB54_1986
; %bb.1985:
	global_load_b32 v1, v[4:5], off
	s_wait_loadcnt 0x0
	v_cvt_i32_f32_e32 v9, v1
.LBB54_1986:
	s_mov_b32 s18, 0
.LBB54_1987:
	s_delay_alu instid0(SALU_CYCLE_1)
	s_and_not1_b32 vcc_lo, exec_lo, s18
	s_cbranch_vccnz .LBB54_1989
; %bb.1988:
	global_load_u16 v1, v[4:5], off
	s_wait_loadcnt 0x0
	v_cvt_f32_f16_e32 v1, v1
	s_delay_alu instid0(VALU_DEP_1)
	v_cvt_i32_f32_e32 v9, v1
.LBB54_1989:
	s_mov_b32 s18, 0
.LBB54_1990:
	s_delay_alu instid0(SALU_CYCLE_1)
	s_and_not1_b32 vcc_lo, exec_lo, s18
	s_cbranch_vccnz .LBB54_2010
; %bb.1991:
	s_cmp_lt_i32 s4, 2
	s_cbranch_scc1 .LBB54_1995
; %bb.1992:
	s_cmp_lt_i32 s4, 3
	s_cbranch_scc1 .LBB54_1996
; %bb.1993:
	s_cmp_gt_i32 s4, 3
	s_cbranch_scc0 .LBB54_1997
; %bb.1994:
	s_wait_loadcnt 0x0
	global_load_b32 v9, v[4:5], off
	s_mov_b32 s18, 0
	s_branch .LBB54_1998
.LBB54_1995:
	s_mov_b32 s18, -1
                                        ; implicit-def: $vgpr9
	s_branch .LBB54_2004
.LBB54_1996:
	s_mov_b32 s18, -1
                                        ; implicit-def: $vgpr9
	s_branch .LBB54_2001
.LBB54_1997:
	s_mov_b32 s18, -1
                                        ; implicit-def: $vgpr9
.LBB54_1998:
	s_delay_alu instid0(SALU_CYCLE_1)
	s_and_not1_b32 vcc_lo, exec_lo, s18
	s_cbranch_vccnz .LBB54_2000
; %bb.1999:
	s_wait_loadcnt 0x0
	global_load_b32 v9, v[4:5], off
.LBB54_2000:
	s_mov_b32 s18, 0
.LBB54_2001:
	s_delay_alu instid0(SALU_CYCLE_1)
	s_and_not1_b32 vcc_lo, exec_lo, s18
	s_cbranch_vccnz .LBB54_2003
; %bb.2002:
	s_wait_loadcnt 0x0
	global_load_i16 v9, v[4:5], off
.LBB54_2003:
	s_mov_b32 s18, 0
.LBB54_2004:
	s_delay_alu instid0(SALU_CYCLE_1)
	s_and_not1_b32 vcc_lo, exec_lo, s18
	s_cbranch_vccnz .LBB54_2010
; %bb.2005:
	s_cmp_gt_i32 s4, 0
	s_mov_b32 s4, 0
	s_cbranch_scc0 .LBB54_2007
; %bb.2006:
	s_wait_loadcnt 0x0
	global_load_i8 v9, v[4:5], off
	s_branch .LBB54_2008
.LBB54_2007:
	s_mov_b32 s4, -1
                                        ; implicit-def: $vgpr9
.LBB54_2008:
	s_delay_alu instid0(SALU_CYCLE_1)
	s_and_not1_b32 vcc_lo, exec_lo, s4
	s_cbranch_vccnz .LBB54_2010
; %bb.2009:
	s_wait_loadcnt 0x0
	global_load_u8 v9, v[4:5], off
.LBB54_2010:
	s_mov_b32 s20, -1
.LBB54_2011:
	s_delay_alu instid0(SALU_CYCLE_1)
	s_and_not1_b32 vcc_lo, exec_lo, s20
	s_cbranch_vccnz .LBB54_3126
; %bb.2012:
	s_lshl_b32 s4, s5, 7
	s_cmp_lt_i32 s0, 11
	v_add_nc_u32_e32 v2, s4, v2
	s_delay_alu instid0(VALU_DEP_1) | instskip(SKIP_1) | instid1(VALU_DEP_1)
	v_ashrrev_i32_e32 v3, 31, v2
	s_wait_xcnt 0x0
	v_add_nc_u64_e32 v[4:5], s[10:11], v[2:3]
	s_cbranch_scc1 .LBB54_2019
; %bb.2013:
	s_cmp_gt_i32 s0, 25
	s_mov_b32 s18, 0
	s_cbranch_scc0 .LBB54_2020
; %bb.2014:
	s_cmp_gt_i32 s0, 28
	s_cbranch_scc0 .LBB54_2021
; %bb.2015:
	s_cmp_gt_i32 s0, 43
	;; [unrolled: 3-line block ×3, first 2 shown]
	s_cbranch_scc0 .LBB54_2024
; %bb.2017:
	s_cmp_eq_u32 s0, 46
	s_mov_b32 s20, 0
	s_cbranch_scc0 .LBB54_2027
; %bb.2018:
	global_load_b32 v1, v[4:5], off
	s_mov_b32 s5, 0
	s_mov_b32 s19, -1
	s_wait_loadcnt 0x0
	v_lshlrev_b32_e32 v1, 16, v1
	s_delay_alu instid0(VALU_DEP_1)
	v_cvt_i32_f32_e32 v10, v1
	s_branch .LBB54_2029
.LBB54_2019:
	s_mov_b32 s5, -1
	s_mov_b32 s19, 0
                                        ; implicit-def: $vgpr10
	s_branch .LBB54_2091
.LBB54_2020:
	s_mov_b32 s20, -1
	s_mov_b32 s19, 0
	s_mov_b32 s5, 0
                                        ; implicit-def: $vgpr10
	s_branch .LBB54_2056
.LBB54_2021:
	s_mov_b32 s20, -1
	s_mov_b32 s19, 0
	s_mov_b32 s5, 0
                                        ; implicit-def: $vgpr10
	s_branch .LBB54_2039
.LBB54_2022:
	s_mov_b32 s20, -1
	s_mov_b32 s19, 0
	s_mov_b32 s5, 0
                                        ; implicit-def: $vgpr10
	s_branch .LBB54_2034
.LBB54_2023:
	s_or_b32 s14, s14, exec_lo
	s_trap 2
	s_cbranch_execz .LBB54_1960
	s_branch .LBB54_1961
.LBB54_2024:
	s_mov_b32 s20, -1
	s_mov_b32 s19, 0
	s_mov_b32 s5, 0
	s_branch .LBB54_2028
.LBB54_2025:
	s_and_not1_saveexec_b32 s37, s37
	s_cbranch_execz .LBB54_1106
.LBB54_2026:
	v_add_f32_e64 v4, 0x46000000, |v1|
	s_and_not1_b32 s36, s36, exec_lo
	s_delay_alu instid0(VALU_DEP_1) | instskip(NEXT) | instid1(VALU_DEP_1)
	v_and_b32_e32 v4, 0xff, v4
	v_cmp_ne_u32_e32 vcc_lo, 0, v4
	s_and_b32 s38, vcc_lo, exec_lo
	s_delay_alu instid0(SALU_CYCLE_1)
	s_or_b32 s36, s36, s38
	s_or_b32 exec_lo, exec_lo, s37
	v_mov_b32_e32 v5, 0
	s_and_saveexec_b32 s37, s36
	s_cbranch_execnz .LBB54_1107
	s_branch .LBB54_1108
.LBB54_2027:
	s_mov_b32 s5, -1
	s_mov_b32 s19, 0
.LBB54_2028:
                                        ; implicit-def: $vgpr10
.LBB54_2029:
	s_and_b32 vcc_lo, exec_lo, s20
	s_cbranch_vccz .LBB54_2033
; %bb.2030:
	s_cmp_eq_u32 s0, 44
	s_cbranch_scc0 .LBB54_2032
; %bb.2031:
	global_load_u8 v1, v[4:5], off
	s_mov_b32 s5, 0
	s_mov_b32 s19, -1
	s_wait_loadcnt 0x0
	v_lshlrev_b32_e32 v3, 23, v1
	v_cmp_ne_u32_e32 vcc_lo, 0, v1
	s_delay_alu instid0(VALU_DEP_2) | instskip(NEXT) | instid1(VALU_DEP_1)
	v_cvt_i32_f32_e32 v3, v3
	v_cndmask_b32_e32 v10, 0, v3, vcc_lo
	s_branch .LBB54_2033
.LBB54_2032:
	s_mov_b32 s5, -1
                                        ; implicit-def: $vgpr10
.LBB54_2033:
	s_mov_b32 s20, 0
.LBB54_2034:
	s_delay_alu instid0(SALU_CYCLE_1)
	s_and_b32 vcc_lo, exec_lo, s20
	s_cbranch_vccz .LBB54_2038
; %bb.2035:
	s_cmp_eq_u32 s0, 29
	s_cbranch_scc0 .LBB54_2037
; %bb.2036:
	global_load_b32 v10, v[4:5], off
	s_mov_b32 s5, 0
	s_mov_b32 s19, -1
	s_branch .LBB54_2038
.LBB54_2037:
	s_mov_b32 s5, -1
                                        ; implicit-def: $vgpr10
.LBB54_2038:
	s_mov_b32 s20, 0
.LBB54_2039:
	s_delay_alu instid0(SALU_CYCLE_1)
	s_and_b32 vcc_lo, exec_lo, s20
	s_cbranch_vccz .LBB54_2055
; %bb.2040:
	s_cmp_lt_i32 s0, 27
	s_cbranch_scc1 .LBB54_2043
; %bb.2041:
	s_cmp_gt_i32 s0, 27
	s_cbranch_scc0 .LBB54_2044
; %bb.2042:
	s_wait_loadcnt 0x0
	global_load_b32 v10, v[4:5], off
	s_mov_b32 s19, 0
	s_branch .LBB54_2045
.LBB54_2043:
	s_mov_b32 s19, -1
                                        ; implicit-def: $vgpr10
	s_branch .LBB54_2048
.LBB54_2044:
	s_mov_b32 s19, -1
                                        ; implicit-def: $vgpr10
.LBB54_2045:
	s_delay_alu instid0(SALU_CYCLE_1)
	s_and_not1_b32 vcc_lo, exec_lo, s19
	s_cbranch_vccnz .LBB54_2047
; %bb.2046:
	s_wait_loadcnt 0x0
	global_load_u16 v10, v[4:5], off
.LBB54_2047:
	s_mov_b32 s19, 0
.LBB54_2048:
	s_delay_alu instid0(SALU_CYCLE_1)
	s_and_not1_b32 vcc_lo, exec_lo, s19
	s_cbranch_vccnz .LBB54_2054
; %bb.2049:
	global_load_u8 v1, v[4:5], off
	s_mov_b32 s20, 0
	s_mov_b32 s19, exec_lo
	s_wait_loadcnt 0x0
	v_cmpx_lt_i16_e32 0x7f, v1
	s_xor_b32 s19, exec_lo, s19
	s_cbranch_execz .LBB54_2066
; %bb.2050:
	v_cmp_ne_u16_e32 vcc_lo, 0x80, v1
	s_and_b32 s20, vcc_lo, exec_lo
	s_and_not1_saveexec_b32 s19, s19
	s_cbranch_execnz .LBB54_2067
.LBB54_2051:
	s_or_b32 exec_lo, exec_lo, s19
	v_mov_b32_e32 v10, 0
	s_and_saveexec_b32 s19, s20
	s_cbranch_execz .LBB54_2053
.LBB54_2052:
	v_and_b32_e32 v3, 0xffff, v1
	s_delay_alu instid0(VALU_DEP_1) | instskip(SKIP_1) | instid1(VALU_DEP_2)
	v_dual_lshlrev_b32 v1, 24, v1 :: v_dual_bitop2_b32 v10, 7, v3 bitop3:0x40
	v_bfe_u32 v13, v3, 3, 4
	v_and_b32_e32 v1, 0x80000000, v1
	s_delay_alu instid0(VALU_DEP_3) | instskip(NEXT) | instid1(VALU_DEP_3)
	v_clz_i32_u32_e32 v11, v10
	v_cmp_eq_u32_e32 vcc_lo, 0, v13
	s_delay_alu instid0(VALU_DEP_2) | instskip(NEXT) | instid1(VALU_DEP_1)
	v_min_u32_e32 v11, 32, v11
	v_subrev_nc_u32_e32 v12, 28, v11
	v_sub_nc_u32_e32 v11, 29, v11
	s_delay_alu instid0(VALU_DEP_2) | instskip(NEXT) | instid1(VALU_DEP_2)
	v_lshlrev_b32_e32 v3, v12, v3
	v_cndmask_b32_e32 v11, v13, v11, vcc_lo
	s_delay_alu instid0(VALU_DEP_2) | instskip(NEXT) | instid1(VALU_DEP_1)
	v_and_b32_e32 v3, 7, v3
	v_cndmask_b32_e32 v3, v10, v3, vcc_lo
	s_delay_alu instid0(VALU_DEP_3) | instskip(NEXT) | instid1(VALU_DEP_2)
	v_lshl_add_u32 v10, v11, 23, 0x3b800000
	v_lshlrev_b32_e32 v3, 20, v3
	s_delay_alu instid0(VALU_DEP_1) | instskip(NEXT) | instid1(VALU_DEP_1)
	v_or3_b32 v1, v1, v10, v3
	v_cvt_i32_f32_e32 v10, v1
.LBB54_2053:
	s_or_b32 exec_lo, exec_lo, s19
.LBB54_2054:
	s_mov_b32 s19, -1
.LBB54_2055:
	s_mov_b32 s20, 0
.LBB54_2056:
	s_delay_alu instid0(SALU_CYCLE_1)
	s_and_b32 vcc_lo, exec_lo, s20
	s_cbranch_vccz .LBB54_2087
; %bb.2057:
	s_cmp_gt_i32 s0, 22
	s_cbranch_scc0 .LBB54_2065
; %bb.2058:
	s_cmp_lt_i32 s0, 24
	s_cbranch_scc1 .LBB54_2068
; %bb.2059:
	s_cmp_gt_i32 s0, 24
	s_cbranch_scc0 .LBB54_2069
; %bb.2060:
	global_load_u8 v1, v[4:5], off
	s_mov_b32 s19, 0
	s_mov_b32 s18, exec_lo
	s_wait_loadcnt 0x0
	v_cmpx_lt_i16_e32 0x7f, v1
	s_xor_b32 s18, exec_lo, s18
	s_cbranch_execz .LBB54_2081
; %bb.2061:
	v_cmp_ne_u16_e32 vcc_lo, 0x80, v1
	s_and_b32 s19, vcc_lo, exec_lo
	s_and_not1_saveexec_b32 s18, s18
	s_cbranch_execnz .LBB54_2082
.LBB54_2062:
	s_or_b32 exec_lo, exec_lo, s18
	v_mov_b32_e32 v10, 0
	s_and_saveexec_b32 s18, s19
	s_cbranch_execz .LBB54_2064
.LBB54_2063:
	v_and_b32_e32 v3, 0xffff, v1
	s_delay_alu instid0(VALU_DEP_1) | instskip(SKIP_1) | instid1(VALU_DEP_2)
	v_dual_lshlrev_b32 v1, 24, v1 :: v_dual_bitop2_b32 v10, 3, v3 bitop3:0x40
	v_bfe_u32 v13, v3, 2, 5
	v_and_b32_e32 v1, 0x80000000, v1
	s_delay_alu instid0(VALU_DEP_3) | instskip(NEXT) | instid1(VALU_DEP_3)
	v_clz_i32_u32_e32 v11, v10
	v_cmp_eq_u32_e32 vcc_lo, 0, v13
	s_delay_alu instid0(VALU_DEP_2) | instskip(NEXT) | instid1(VALU_DEP_1)
	v_min_u32_e32 v11, 32, v11
	v_subrev_nc_u32_e32 v12, 29, v11
	v_sub_nc_u32_e32 v11, 30, v11
	s_delay_alu instid0(VALU_DEP_2) | instskip(NEXT) | instid1(VALU_DEP_2)
	v_lshlrev_b32_e32 v3, v12, v3
	v_cndmask_b32_e32 v11, v13, v11, vcc_lo
	s_delay_alu instid0(VALU_DEP_2) | instskip(NEXT) | instid1(VALU_DEP_1)
	v_and_b32_e32 v3, 3, v3
	v_cndmask_b32_e32 v3, v10, v3, vcc_lo
	s_delay_alu instid0(VALU_DEP_3) | instskip(NEXT) | instid1(VALU_DEP_2)
	v_lshl_add_u32 v10, v11, 23, 0x37800000
	v_lshlrev_b32_e32 v3, 21, v3
	s_delay_alu instid0(VALU_DEP_1) | instskip(NEXT) | instid1(VALU_DEP_1)
	v_or3_b32 v1, v1, v10, v3
	v_cvt_i32_f32_e32 v10, v1
.LBB54_2064:
	s_or_b32 exec_lo, exec_lo, s18
	s_mov_b32 s18, 0
	s_branch .LBB54_2070
.LBB54_2065:
	s_mov_b32 s18, -1
                                        ; implicit-def: $vgpr10
	s_branch .LBB54_2076
.LBB54_2066:
	s_and_not1_saveexec_b32 s19, s19
	s_cbranch_execz .LBB54_2051
.LBB54_2067:
	v_cmp_ne_u16_e32 vcc_lo, 0, v1
	s_and_not1_b32 s20, s20, exec_lo
	s_and_b32 s21, vcc_lo, exec_lo
	s_delay_alu instid0(SALU_CYCLE_1)
	s_or_b32 s20, s20, s21
	s_or_b32 exec_lo, exec_lo, s19
	v_mov_b32_e32 v10, 0
	s_and_saveexec_b32 s19, s20
	s_cbranch_execnz .LBB54_2052
	s_branch .LBB54_2053
.LBB54_2068:
	s_mov_b32 s18, -1
                                        ; implicit-def: $vgpr10
	s_branch .LBB54_2073
.LBB54_2069:
	s_mov_b32 s18, -1
                                        ; implicit-def: $vgpr10
.LBB54_2070:
	s_delay_alu instid0(SALU_CYCLE_1)
	s_and_b32 vcc_lo, exec_lo, s18
	s_cbranch_vccz .LBB54_2072
; %bb.2071:
	global_load_u8 v1, v[4:5], off
	s_wait_loadcnt 0x0
	v_lshlrev_b32_e32 v1, 24, v1
	s_delay_alu instid0(VALU_DEP_1) | instskip(NEXT) | instid1(VALU_DEP_1)
	v_and_b32_e32 v3, 0x7f000000, v1
	v_clz_i32_u32_e32 v10, v3
	v_cmp_ne_u32_e32 vcc_lo, 0, v3
	v_add_nc_u32_e32 v12, 0x1000000, v3
	s_delay_alu instid0(VALU_DEP_3) | instskip(NEXT) | instid1(VALU_DEP_1)
	v_min_u32_e32 v10, 32, v10
	v_sub_nc_u32_e64 v10, v10, 4 clamp
	s_delay_alu instid0(VALU_DEP_1) | instskip(NEXT) | instid1(VALU_DEP_1)
	v_dual_lshlrev_b32 v11, v10, v3 :: v_dual_lshlrev_b32 v10, 23, v10
	v_lshrrev_b32_e32 v11, 4, v11
	s_delay_alu instid0(VALU_DEP_1) | instskip(NEXT) | instid1(VALU_DEP_1)
	v_dual_sub_nc_u32 v10, v11, v10 :: v_dual_ashrrev_i32 v11, 8, v12
	v_add_nc_u32_e32 v10, 0x3c000000, v10
	s_delay_alu instid0(VALU_DEP_1) | instskip(NEXT) | instid1(VALU_DEP_1)
	v_and_or_b32 v10, 0x7f800000, v11, v10
	v_cndmask_b32_e32 v3, 0, v10, vcc_lo
	s_delay_alu instid0(VALU_DEP_1) | instskip(NEXT) | instid1(VALU_DEP_1)
	v_and_or_b32 v1, 0x80000000, v1, v3
	v_cvt_i32_f32_e32 v10, v1
.LBB54_2072:
	s_mov_b32 s18, 0
.LBB54_2073:
	s_delay_alu instid0(SALU_CYCLE_1)
	s_and_not1_b32 vcc_lo, exec_lo, s18
	s_cbranch_vccnz .LBB54_2075
; %bb.2074:
	global_load_u8 v1, v[4:5], off
	s_wait_loadcnt 0x0
	v_lshlrev_b32_e32 v3, 25, v1
	v_lshlrev_b16 v1, 8, v1
	s_delay_alu instid0(VALU_DEP_1) | instskip(SKIP_1) | instid1(VALU_DEP_2)
	v_and_or_b32 v11, 0x7f00, v1, 0.5
	v_bfe_i32 v1, v1, 0, 16
	v_add_f32_e32 v11, -0.5, v11
	v_lshrrev_b32_e32 v10, 4, v3
	v_cmp_gt_u32_e32 vcc_lo, 0x8000000, v3
	s_delay_alu instid0(VALU_DEP_2) | instskip(NEXT) | instid1(VALU_DEP_1)
	v_or_b32_e32 v10, 0x70000000, v10
	v_mul_f32_e32 v10, 0x7800000, v10
	s_delay_alu instid0(VALU_DEP_1) | instskip(NEXT) | instid1(VALU_DEP_1)
	v_cndmask_b32_e32 v3, v10, v11, vcc_lo
	v_and_or_b32 v1, 0x80000000, v1, v3
	s_delay_alu instid0(VALU_DEP_1)
	v_cvt_i32_f32_e32 v10, v1
.LBB54_2075:
	s_mov_b32 s18, 0
	s_mov_b32 s19, -1
.LBB54_2076:
	s_and_not1_b32 vcc_lo, exec_lo, s18
	s_mov_b32 s18, 0
	s_cbranch_vccnz .LBB54_2087
; %bb.2077:
	s_cmp_gt_i32 s0, 14
	s_cbranch_scc0 .LBB54_2080
; %bb.2078:
	s_cmp_eq_u32 s0, 15
	s_cbranch_scc0 .LBB54_2083
; %bb.2079:
	global_load_u16 v1, v[4:5], off
	s_mov_b32 s5, 0
	s_mov_b32 s19, -1
	s_wait_loadcnt 0x0
	v_lshlrev_b32_e32 v1, 16, v1
	s_delay_alu instid0(VALU_DEP_1)
	v_cvt_i32_f32_e32 v10, v1
	s_branch .LBB54_2085
.LBB54_2080:
	s_mov_b32 s18, -1
	s_branch .LBB54_2084
.LBB54_2081:
	s_and_not1_saveexec_b32 s18, s18
	s_cbranch_execz .LBB54_2062
.LBB54_2082:
	v_cmp_ne_u16_e32 vcc_lo, 0, v1
	s_and_not1_b32 s19, s19, exec_lo
	s_and_b32 s20, vcc_lo, exec_lo
	s_delay_alu instid0(SALU_CYCLE_1)
	s_or_b32 s19, s19, s20
	s_or_b32 exec_lo, exec_lo, s18
	v_mov_b32_e32 v10, 0
	s_and_saveexec_b32 s18, s19
	s_cbranch_execnz .LBB54_2063
	s_branch .LBB54_2064
.LBB54_2083:
	s_mov_b32 s5, -1
.LBB54_2084:
                                        ; implicit-def: $vgpr10
.LBB54_2085:
	s_and_b32 vcc_lo, exec_lo, s18
	s_mov_b32 s18, 0
	s_cbranch_vccz .LBB54_2087
; %bb.2086:
	s_cmp_lg_u32 s0, 11
	s_mov_b32 s18, -1
	s_cselect_b32 s5, -1, 0
.LBB54_2087:
	s_delay_alu instid0(SALU_CYCLE_1)
	s_and_b32 vcc_lo, exec_lo, s5
	s_cbranch_vccnz .LBB54_2171
; %bb.2088:
	s_and_not1_b32 vcc_lo, exec_lo, s18
	s_cbranch_vccnz .LBB54_2090
.LBB54_2089:
	global_load_u8 v1, v[4:5], off
	s_mov_b32 s19, -1
	s_wait_loadcnt 0x0
	v_cmp_ne_u16_e32 vcc_lo, 0, v1
	v_cndmask_b32_e64 v10, 0, 1, vcc_lo
.LBB54_2090:
	s_mov_b32 s5, 0
.LBB54_2091:
	s_delay_alu instid0(SALU_CYCLE_1)
	s_and_b32 vcc_lo, exec_lo, s5
	s_cbranch_vccz .LBB54_2140
; %bb.2092:
	s_cmp_lt_i32 s0, 5
	s_cbranch_scc1 .LBB54_2097
; %bb.2093:
	s_cmp_lt_i32 s0, 8
	s_cbranch_scc1 .LBB54_2098
	;; [unrolled: 3-line block ×3, first 2 shown]
; %bb.2095:
	s_cmp_gt_i32 s0, 9
	s_cbranch_scc0 .LBB54_2100
; %bb.2096:
	s_wait_loadcnt 0x0
	global_load_b64 v[10:11], v[4:5], off
	s_mov_b32 s5, 0
	s_wait_loadcnt 0x0
	v_cvt_i32_f64_e32 v10, v[10:11]
	s_branch .LBB54_2101
.LBB54_2097:
	s_mov_b32 s5, -1
                                        ; implicit-def: $vgpr10
	s_branch .LBB54_2119
.LBB54_2098:
	s_mov_b32 s5, -1
                                        ; implicit-def: $vgpr10
	s_branch .LBB54_2107
.LBB54_2099:
	s_mov_b32 s5, -1
                                        ; implicit-def: $vgpr10
	s_branch .LBB54_2104
.LBB54_2100:
	s_mov_b32 s5, -1
                                        ; implicit-def: $vgpr10
.LBB54_2101:
	s_delay_alu instid0(SALU_CYCLE_1)
	s_and_not1_b32 vcc_lo, exec_lo, s5
	s_cbranch_vccnz .LBB54_2103
; %bb.2102:
	global_load_b32 v1, v[4:5], off
	s_wait_loadcnt 0x0
	v_cvt_i32_f32_e32 v10, v1
.LBB54_2103:
	s_mov_b32 s5, 0
.LBB54_2104:
	s_delay_alu instid0(SALU_CYCLE_1)
	s_and_not1_b32 vcc_lo, exec_lo, s5
	s_cbranch_vccnz .LBB54_2106
; %bb.2105:
	global_load_b32 v1, v[4:5], off
	s_wait_loadcnt 0x0
	v_cvt_f32_f16_e32 v1, v1
	s_delay_alu instid0(VALU_DEP_1)
	v_cvt_i32_f32_e32 v10, v1
.LBB54_2106:
	s_mov_b32 s5, 0
.LBB54_2107:
	s_delay_alu instid0(SALU_CYCLE_1)
	s_and_not1_b32 vcc_lo, exec_lo, s5
	s_cbranch_vccnz .LBB54_2118
; %bb.2108:
	s_cmp_lt_i32 s0, 6
	s_cbranch_scc1 .LBB54_2111
; %bb.2109:
	s_cmp_gt_i32 s0, 6
	s_cbranch_scc0 .LBB54_2112
; %bb.2110:
	s_wait_loadcnt 0x0
	global_load_b64 v[10:11], v[4:5], off
	s_mov_b32 s5, 0
	s_wait_loadcnt 0x0
	v_cvt_i32_f64_e32 v10, v[10:11]
	s_branch .LBB54_2113
.LBB54_2111:
	s_mov_b32 s5, -1
                                        ; implicit-def: $vgpr10
	s_branch .LBB54_2116
.LBB54_2112:
	s_mov_b32 s5, -1
                                        ; implicit-def: $vgpr10
.LBB54_2113:
	s_delay_alu instid0(SALU_CYCLE_1)
	s_and_not1_b32 vcc_lo, exec_lo, s5
	s_cbranch_vccnz .LBB54_2115
; %bb.2114:
	global_load_b32 v1, v[4:5], off
	s_wait_loadcnt 0x0
	v_cvt_i32_f32_e32 v10, v1
.LBB54_2115:
	s_mov_b32 s5, 0
.LBB54_2116:
	s_delay_alu instid0(SALU_CYCLE_1)
	s_and_not1_b32 vcc_lo, exec_lo, s5
	s_cbranch_vccnz .LBB54_2118
; %bb.2117:
	global_load_u16 v1, v[4:5], off
	s_wait_loadcnt 0x0
	v_cvt_f32_f16_e32 v1, v1
	s_delay_alu instid0(VALU_DEP_1)
	v_cvt_i32_f32_e32 v10, v1
.LBB54_2118:
	s_mov_b32 s5, 0
.LBB54_2119:
	s_delay_alu instid0(SALU_CYCLE_1)
	s_and_not1_b32 vcc_lo, exec_lo, s5
	s_cbranch_vccnz .LBB54_2139
; %bb.2120:
	s_cmp_lt_i32 s0, 2
	s_cbranch_scc1 .LBB54_2124
; %bb.2121:
	s_cmp_lt_i32 s0, 3
	s_cbranch_scc1 .LBB54_2125
; %bb.2122:
	s_cmp_gt_i32 s0, 3
	s_cbranch_scc0 .LBB54_2126
; %bb.2123:
	s_wait_loadcnt 0x0
	global_load_b32 v10, v[4:5], off
	s_mov_b32 s5, 0
	s_branch .LBB54_2127
.LBB54_2124:
	s_mov_b32 s5, -1
                                        ; implicit-def: $vgpr10
	s_branch .LBB54_2133
.LBB54_2125:
	s_mov_b32 s5, -1
                                        ; implicit-def: $vgpr10
	s_branch .LBB54_2130
.LBB54_2126:
	s_mov_b32 s5, -1
                                        ; implicit-def: $vgpr10
.LBB54_2127:
	s_delay_alu instid0(SALU_CYCLE_1)
	s_and_not1_b32 vcc_lo, exec_lo, s5
	s_cbranch_vccnz .LBB54_2129
; %bb.2128:
	s_wait_loadcnt 0x0
	global_load_b32 v10, v[4:5], off
.LBB54_2129:
	s_mov_b32 s5, 0
.LBB54_2130:
	s_delay_alu instid0(SALU_CYCLE_1)
	s_and_not1_b32 vcc_lo, exec_lo, s5
	s_cbranch_vccnz .LBB54_2132
; %bb.2131:
	s_wait_loadcnt 0x0
	global_load_i16 v10, v[4:5], off
.LBB54_2132:
	s_mov_b32 s5, 0
.LBB54_2133:
	s_delay_alu instid0(SALU_CYCLE_1)
	s_and_not1_b32 vcc_lo, exec_lo, s5
	s_cbranch_vccnz .LBB54_2139
; %bb.2134:
	s_cmp_gt_i32 s0, 0
	s_mov_b32 s5, 0
	s_cbranch_scc0 .LBB54_2136
; %bb.2135:
	s_wait_loadcnt 0x0
	global_load_i8 v10, v[4:5], off
	s_branch .LBB54_2137
.LBB54_2136:
	s_mov_b32 s5, -1
                                        ; implicit-def: $vgpr10
.LBB54_2137:
	s_delay_alu instid0(SALU_CYCLE_1)
	s_and_not1_b32 vcc_lo, exec_lo, s5
	s_cbranch_vccnz .LBB54_2139
; %bb.2138:
	s_wait_loadcnt 0x0
	global_load_u8 v10, v[4:5], off
.LBB54_2139:
	s_mov_b32 s19, -1
.LBB54_2140:
	s_delay_alu instid0(SALU_CYCLE_1)
	s_and_not1_b32 vcc_lo, exec_lo, s19
	s_cbranch_vccnz .LBB54_3126
; %bb.2141:
	s_cmp_lt_i32 s15, 23
	s_cbranch_scc1 .LBB54_2145
; %bb.2142:
	s_and_b32 s19, 0xffff, s15
	s_delay_alu instid0(SALU_CYCLE_1)
	s_cmp_gt_i32 s19, 43
	s_cbranch_scc0 .LBB54_2146
; %bb.2143:
	s_cmp_gt_i32 s19, 45
	s_cbranch_scc0 .LBB54_2147
; %bb.2144:
	s_cmp_lg_u32 s19, 46
	s_mov_b32 s20, 0
	s_mov_b32 s5, -1
	s_cselect_b32 s18, -1, 0
	s_branch .LBB54_2148
.LBB54_2145:
	s_mov_b32 s19, -1
	s_mov_b32 s5, 0
	s_mov_b32 s18, 0
	s_branch .LBB54_2154
.LBB54_2146:
	s_mov_b32 s20, -1
	s_mov_b32 s5, 0
	s_mov_b32 s18, 0
	s_branch .LBB54_2151
.LBB54_2147:
	s_mov_b32 s20, -1
	s_mov_b32 s5, 0
	s_mov_b32 s18, 0
.LBB54_2148:
	s_and_not1_b32 vcc_lo, exec_lo, s20
	s_cbranch_vccnz .LBB54_2150
; %bb.2149:
	s_cmp_eq_u32 s19, 44
	s_cselect_b32 s5, -1, 0
	s_cmp_lg_u32 s19, 44
	s_cselect_b32 s18, -1, 0
.LBB54_2150:
	s_mov_b32 s20, 0
.LBB54_2151:
	s_delay_alu instid0(SALU_CYCLE_1)
	s_and_b32 vcc_lo, exec_lo, s20
	s_cbranch_vccz .LBB54_2153
; %bb.2152:
	s_cmp_lt_i32 s19, 30
	s_cselect_b32 s5, -1, 0
	s_cmp_gt_i32 s19, 29
	s_cselect_b32 s18, -1, 0
.LBB54_2153:
	s_mov_b32 s19, 0
.LBB54_2154:
	s_delay_alu instid0(SALU_CYCLE_1)
	s_and_b32 vcc_lo, exec_lo, s19
	s_cbranch_vccz .LBB54_2159
; %bb.2155:
	s_and_b32 s19, 0xffff, s15
	s_mov_b32 s20, -1
	s_cmp_gt_i32 s19, 14
	s_cbranch_scc0 .LBB54_2157
; %bb.2156:
	s_cmp_eq_u32 s19, 15
	s_mov_b32 s20, 0
	s_cselect_b32 s5, -1, 0
	s_cmp_lg_u32 s19, 15
	s_cselect_b32 s18, -1, 0
.LBB54_2157:
	s_and_not1_b32 vcc_lo, exec_lo, s20
	s_cbranch_vccnz .LBB54_2159
; %bb.2158:
	s_cmp_lt_i32 s19, 12
	s_cselect_b32 s5, -1, 0
	s_cmp_gt_i32 s19, 11
	s_cselect_b32 s18, -1, 0
.LBB54_2159:
	s_delay_alu instid0(SALU_CYCLE_1)
	s_and_b32 vcc_lo, exec_lo, s18
	s_cbranch_vccnz .LBB54_2172
; %bb.2160:
	s_and_not1_b32 vcc_lo, exec_lo, s5
	s_cbranch_vccnz .LBB54_3126
.LBB54_2161:
	v_add_nc_u32_e32 v0, s1, v0
	s_cmp_lt_i32 s13, 11
	s_delay_alu instid0(VALU_DEP_1) | instskip(SKIP_1) | instid1(VALU_DEP_1)
	v_ashrrev_i32_e32 v1, 31, v0
	s_wait_xcnt 0x0
	v_add_nc_u64_e32 v[4:5], s[8:9], v[0:1]
	s_cbranch_scc1 .LBB54_2168
; %bb.2162:
	s_and_b32 s5, 0xffff, s13
	s_mov_b32 s19, 0
	s_cmp_gt_i32 s5, 25
	s_cbranch_scc0 .LBB54_2169
; %bb.2163:
	s_cmp_gt_i32 s5, 28
	s_cbranch_scc0 .LBB54_2170
; %bb.2164:
	;; [unrolled: 3-line block ×4, first 2 shown]
	s_cmp_eq_u32 s5, 46
	s_mov_b32 s21, 0
	s_cbranch_scc0 .LBB54_2177
; %bb.2167:
	global_load_b32 v1, v[4:5], off
	s_mov_b32 s18, 0
	s_mov_b32 s20, -1
	s_wait_loadcnt 0x0
	v_lshlrev_b32_e32 v1, 16, v1
	s_delay_alu instid0(VALU_DEP_1)
	v_cvt_i32_f32_e32 v11, v1
	s_branch .LBB54_2179
.LBB54_2168:
	s_mov_b32 s5, -1
	s_mov_b32 s20, 0
                                        ; implicit-def: $vgpr11
	s_branch .LBB54_2241
.LBB54_2169:
	s_mov_b32 s21, -1
	s_mov_b32 s20, 0
	s_mov_b32 s18, 0
                                        ; implicit-def: $vgpr11
	s_branch .LBB54_2206
.LBB54_2170:
	s_mov_b32 s21, -1
	s_mov_b32 s20, 0
	s_mov_b32 s18, 0
                                        ; implicit-def: $vgpr11
	s_branch .LBB54_2189
.LBB54_2171:
	s_or_b32 s14, s14, exec_lo
	s_trap 2
	s_cbranch_execz .LBB54_2089
	s_branch .LBB54_2090
.LBB54_2172:
	s_or_b32 s14, s14, exec_lo
	s_trap 2
	s_cbranch_execz .LBB54_2161
	s_branch .LBB54_3126
.LBB54_2173:
	s_mov_b32 s21, -1
	s_mov_b32 s20, 0
	s_mov_b32 s18, 0
                                        ; implicit-def: $vgpr11
	s_branch .LBB54_2184
.LBB54_2174:
	s_and_not1_saveexec_b32 s37, s37
	s_cbranch_execz .LBB54_1119
.LBB54_2175:
	v_add_f32_e64 v4, 0x42800000, |v1|
	s_and_not1_b32 s36, s36, exec_lo
	s_delay_alu instid0(VALU_DEP_1) | instskip(NEXT) | instid1(VALU_DEP_1)
	v_and_b32_e32 v4, 0xff, v4
	v_cmp_ne_u32_e32 vcc_lo, 0, v4
	s_and_b32 s38, vcc_lo, exec_lo
	s_delay_alu instid0(SALU_CYCLE_1)
	s_or_b32 s36, s36, s38
	s_or_b32 exec_lo, exec_lo, s37
	v_mov_b32_e32 v5, 0
	s_and_saveexec_b32 s37, s36
	s_cbranch_execnz .LBB54_1120
	s_branch .LBB54_1121
.LBB54_2176:
	s_mov_b32 s21, -1
	s_mov_b32 s20, 0
	s_mov_b32 s18, 0
	s_branch .LBB54_2178
.LBB54_2177:
	s_mov_b32 s18, -1
	s_mov_b32 s20, 0
.LBB54_2178:
                                        ; implicit-def: $vgpr11
.LBB54_2179:
	s_and_b32 vcc_lo, exec_lo, s21
	s_cbranch_vccz .LBB54_2183
; %bb.2180:
	s_cmp_eq_u32 s5, 44
	s_cbranch_scc0 .LBB54_2182
; %bb.2181:
	global_load_u8 v1, v[4:5], off
	s_mov_b32 s18, 0
	s_mov_b32 s20, -1
	s_wait_loadcnt 0x0
	v_lshlrev_b32_e32 v3, 23, v1
	v_cmp_ne_u32_e32 vcc_lo, 0, v1
	s_delay_alu instid0(VALU_DEP_2) | instskip(NEXT) | instid1(VALU_DEP_1)
	v_cvt_i32_f32_e32 v3, v3
	v_cndmask_b32_e32 v11, 0, v3, vcc_lo
	s_branch .LBB54_2183
.LBB54_2182:
	s_mov_b32 s18, -1
                                        ; implicit-def: $vgpr11
.LBB54_2183:
	s_mov_b32 s21, 0
.LBB54_2184:
	s_delay_alu instid0(SALU_CYCLE_1)
	s_and_b32 vcc_lo, exec_lo, s21
	s_cbranch_vccz .LBB54_2188
; %bb.2185:
	s_cmp_eq_u32 s5, 29
	s_cbranch_scc0 .LBB54_2187
; %bb.2186:
	global_load_b32 v11, v[4:5], off
	s_mov_b32 s18, 0
	s_mov_b32 s20, -1
	s_branch .LBB54_2188
.LBB54_2187:
	s_mov_b32 s18, -1
                                        ; implicit-def: $vgpr11
.LBB54_2188:
	s_mov_b32 s21, 0
.LBB54_2189:
	s_delay_alu instid0(SALU_CYCLE_1)
	s_and_b32 vcc_lo, exec_lo, s21
	s_cbranch_vccz .LBB54_2205
; %bb.2190:
	s_cmp_lt_i32 s5, 27
	s_cbranch_scc1 .LBB54_2193
; %bb.2191:
	s_cmp_gt_i32 s5, 27
	s_cbranch_scc0 .LBB54_2194
; %bb.2192:
	s_wait_loadcnt 0x0
	global_load_b32 v11, v[4:5], off
	s_mov_b32 s20, 0
	s_branch .LBB54_2195
.LBB54_2193:
	s_mov_b32 s20, -1
                                        ; implicit-def: $vgpr11
	s_branch .LBB54_2198
.LBB54_2194:
	s_mov_b32 s20, -1
                                        ; implicit-def: $vgpr11
.LBB54_2195:
	s_delay_alu instid0(SALU_CYCLE_1)
	s_and_not1_b32 vcc_lo, exec_lo, s20
	s_cbranch_vccnz .LBB54_2197
; %bb.2196:
	s_wait_loadcnt 0x0
	global_load_u16 v11, v[4:5], off
.LBB54_2197:
	s_mov_b32 s20, 0
.LBB54_2198:
	s_delay_alu instid0(SALU_CYCLE_1)
	s_and_not1_b32 vcc_lo, exec_lo, s20
	s_cbranch_vccnz .LBB54_2204
; %bb.2199:
	global_load_u8 v1, v[4:5], off
	s_mov_b32 s21, 0
	s_mov_b32 s20, exec_lo
	s_wait_loadcnt 0x0
	v_cmpx_lt_i16_e32 0x7f, v1
	s_xor_b32 s20, exec_lo, s20
	s_cbranch_execz .LBB54_2216
; %bb.2200:
	v_cmp_ne_u16_e32 vcc_lo, 0x80, v1
	s_and_b32 s21, vcc_lo, exec_lo
	s_and_not1_saveexec_b32 s20, s20
	s_cbranch_execnz .LBB54_2217
.LBB54_2201:
	s_or_b32 exec_lo, exec_lo, s20
	v_mov_b32_e32 v11, 0
	s_and_saveexec_b32 s20, s21
	s_cbranch_execz .LBB54_2203
.LBB54_2202:
	v_and_b32_e32 v3, 0xffff, v1
	s_delay_alu instid0(VALU_DEP_1) | instskip(SKIP_1) | instid1(VALU_DEP_2)
	v_and_b32_e32 v11, 7, v3
	v_bfe_u32 v14, v3, 3, 4
	v_clz_i32_u32_e32 v12, v11
	s_delay_alu instid0(VALU_DEP_2) | instskip(NEXT) | instid1(VALU_DEP_2)
	v_cmp_eq_u32_e32 vcc_lo, 0, v14
	v_min_u32_e32 v12, 32, v12
	s_delay_alu instid0(VALU_DEP_1) | instskip(NEXT) | instid1(VALU_DEP_1)
	v_subrev_nc_u32_e32 v13, 28, v12
	v_dual_lshlrev_b32 v3, v13, v3 :: v_dual_sub_nc_u32 v12, 29, v12
	s_delay_alu instid0(VALU_DEP_1) | instskip(NEXT) | instid1(VALU_DEP_1)
	v_dual_lshlrev_b32 v1, 24, v1 :: v_dual_bitop2_b32 v3, 7, v3 bitop3:0x40
	v_dual_cndmask_b32 v12, v14, v12 :: v_dual_cndmask_b32 v3, v11, v3
	s_delay_alu instid0(VALU_DEP_2) | instskip(NEXT) | instid1(VALU_DEP_2)
	v_and_b32_e32 v1, 0x80000000, v1
	v_lshl_add_u32 v11, v12, 23, 0x3b800000
	s_delay_alu instid0(VALU_DEP_3) | instskip(NEXT) | instid1(VALU_DEP_1)
	v_lshlrev_b32_e32 v3, 20, v3
	v_or3_b32 v1, v1, v11, v3
	s_delay_alu instid0(VALU_DEP_1)
	v_cvt_i32_f32_e32 v11, v1
.LBB54_2203:
	s_or_b32 exec_lo, exec_lo, s20
.LBB54_2204:
	s_mov_b32 s20, -1
.LBB54_2205:
	s_mov_b32 s21, 0
.LBB54_2206:
	s_delay_alu instid0(SALU_CYCLE_1)
	s_and_b32 vcc_lo, exec_lo, s21
	s_cbranch_vccz .LBB54_2237
; %bb.2207:
	s_cmp_gt_i32 s5, 22
	s_cbranch_scc0 .LBB54_2215
; %bb.2208:
	s_cmp_lt_i32 s5, 24
	s_cbranch_scc1 .LBB54_2218
; %bb.2209:
	s_cmp_gt_i32 s5, 24
	s_cbranch_scc0 .LBB54_2219
; %bb.2210:
	global_load_u8 v1, v[4:5], off
	s_mov_b32 s20, 0
	s_mov_b32 s19, exec_lo
	s_wait_loadcnt 0x0
	v_cmpx_lt_i16_e32 0x7f, v1
	s_xor_b32 s19, exec_lo, s19
	s_cbranch_execz .LBB54_2231
; %bb.2211:
	v_cmp_ne_u16_e32 vcc_lo, 0x80, v1
	s_and_b32 s20, vcc_lo, exec_lo
	s_and_not1_saveexec_b32 s19, s19
	s_cbranch_execnz .LBB54_2232
.LBB54_2212:
	s_or_b32 exec_lo, exec_lo, s19
	v_mov_b32_e32 v11, 0
	s_and_saveexec_b32 s19, s20
	s_cbranch_execz .LBB54_2214
.LBB54_2213:
	v_and_b32_e32 v3, 0xffff, v1
	s_delay_alu instid0(VALU_DEP_1) | instskip(SKIP_1) | instid1(VALU_DEP_2)
	v_and_b32_e32 v11, 3, v3
	v_bfe_u32 v14, v3, 2, 5
	v_clz_i32_u32_e32 v12, v11
	s_delay_alu instid0(VALU_DEP_2) | instskip(NEXT) | instid1(VALU_DEP_2)
	v_cmp_eq_u32_e32 vcc_lo, 0, v14
	v_min_u32_e32 v12, 32, v12
	s_delay_alu instid0(VALU_DEP_1) | instskip(NEXT) | instid1(VALU_DEP_1)
	v_subrev_nc_u32_e32 v13, 29, v12
	v_dual_lshlrev_b32 v3, v13, v3 :: v_dual_sub_nc_u32 v12, 30, v12
	s_delay_alu instid0(VALU_DEP_1) | instskip(NEXT) | instid1(VALU_DEP_1)
	v_dual_lshlrev_b32 v1, 24, v1 :: v_dual_bitop2_b32 v3, 3, v3 bitop3:0x40
	v_dual_cndmask_b32 v12, v14, v12 :: v_dual_cndmask_b32 v3, v11, v3
	s_delay_alu instid0(VALU_DEP_2) | instskip(NEXT) | instid1(VALU_DEP_2)
	v_and_b32_e32 v1, 0x80000000, v1
	v_lshl_add_u32 v11, v12, 23, 0x37800000
	s_delay_alu instid0(VALU_DEP_3) | instskip(NEXT) | instid1(VALU_DEP_1)
	v_lshlrev_b32_e32 v3, 21, v3
	v_or3_b32 v1, v1, v11, v3
	s_delay_alu instid0(VALU_DEP_1)
	v_cvt_i32_f32_e32 v11, v1
.LBB54_2214:
	s_or_b32 exec_lo, exec_lo, s19
	s_mov_b32 s19, 0
	s_branch .LBB54_2220
.LBB54_2215:
	s_mov_b32 s19, -1
                                        ; implicit-def: $vgpr11
	s_branch .LBB54_2226
.LBB54_2216:
	s_and_not1_saveexec_b32 s20, s20
	s_cbranch_execz .LBB54_2201
.LBB54_2217:
	v_cmp_ne_u16_e32 vcc_lo, 0, v1
	s_and_not1_b32 s21, s21, exec_lo
	s_and_b32 s22, vcc_lo, exec_lo
	s_delay_alu instid0(SALU_CYCLE_1)
	s_or_b32 s21, s21, s22
	s_or_b32 exec_lo, exec_lo, s20
	v_mov_b32_e32 v11, 0
	s_and_saveexec_b32 s20, s21
	s_cbranch_execnz .LBB54_2202
	s_branch .LBB54_2203
.LBB54_2218:
	s_mov_b32 s19, -1
                                        ; implicit-def: $vgpr11
	s_branch .LBB54_2223
.LBB54_2219:
	s_mov_b32 s19, -1
                                        ; implicit-def: $vgpr11
.LBB54_2220:
	s_delay_alu instid0(SALU_CYCLE_1)
	s_and_b32 vcc_lo, exec_lo, s19
	s_cbranch_vccz .LBB54_2222
; %bb.2221:
	global_load_u8 v1, v[4:5], off
	s_wait_loadcnt 0x0
	v_lshlrev_b32_e32 v1, 24, v1
	s_delay_alu instid0(VALU_DEP_1) | instskip(NEXT) | instid1(VALU_DEP_1)
	v_and_b32_e32 v3, 0x7f000000, v1
	v_clz_i32_u32_e32 v11, v3
	v_add_nc_u32_e32 v13, 0x1000000, v3
	v_cmp_ne_u32_e32 vcc_lo, 0, v3
	s_delay_alu instid0(VALU_DEP_3) | instskip(NEXT) | instid1(VALU_DEP_1)
	v_min_u32_e32 v11, 32, v11
	v_sub_nc_u32_e64 v11, v11, 4 clamp
	s_delay_alu instid0(VALU_DEP_1) | instskip(NEXT) | instid1(VALU_DEP_1)
	v_lshlrev_b32_e32 v12, v11, v3
	v_dual_lshlrev_b32 v11, 23, v11 :: v_dual_lshrrev_b32 v12, 4, v12
	s_delay_alu instid0(VALU_DEP_1) | instskip(NEXT) | instid1(VALU_DEP_1)
	v_dual_sub_nc_u32 v11, v12, v11 :: v_dual_ashrrev_i32 v12, 8, v13
	v_add_nc_u32_e32 v11, 0x3c000000, v11
	s_delay_alu instid0(VALU_DEP_1) | instskip(NEXT) | instid1(VALU_DEP_1)
	v_and_or_b32 v11, 0x7f800000, v12, v11
	v_cndmask_b32_e32 v3, 0, v11, vcc_lo
	s_delay_alu instid0(VALU_DEP_1) | instskip(NEXT) | instid1(VALU_DEP_1)
	v_and_or_b32 v1, 0x80000000, v1, v3
	v_cvt_i32_f32_e32 v11, v1
.LBB54_2222:
	s_mov_b32 s19, 0
.LBB54_2223:
	s_delay_alu instid0(SALU_CYCLE_1)
	s_and_not1_b32 vcc_lo, exec_lo, s19
	s_cbranch_vccnz .LBB54_2225
; %bb.2224:
	global_load_u8 v1, v[4:5], off
	s_wait_loadcnt 0x0
	v_lshlrev_b32_e32 v3, 25, v1
	v_lshlrev_b16 v1, 8, v1
	s_delay_alu instid0(VALU_DEP_1) | instskip(SKIP_1) | instid1(VALU_DEP_2)
	v_and_or_b32 v12, 0x7f00, v1, 0.5
	v_bfe_i32 v1, v1, 0, 16
	v_dual_add_f32 v12, -0.5, v12 :: v_dual_lshrrev_b32 v11, 4, v3
	v_cmp_gt_u32_e32 vcc_lo, 0x8000000, v3
	s_delay_alu instid0(VALU_DEP_2) | instskip(NEXT) | instid1(VALU_DEP_1)
	v_or_b32_e32 v11, 0x70000000, v11
	v_mul_f32_e32 v11, 0x7800000, v11
	s_delay_alu instid0(VALU_DEP_1) | instskip(NEXT) | instid1(VALU_DEP_1)
	v_cndmask_b32_e32 v3, v11, v12, vcc_lo
	v_and_or_b32 v1, 0x80000000, v1, v3
	s_delay_alu instid0(VALU_DEP_1)
	v_cvt_i32_f32_e32 v11, v1
.LBB54_2225:
	s_mov_b32 s19, 0
	s_mov_b32 s20, -1
.LBB54_2226:
	s_and_not1_b32 vcc_lo, exec_lo, s19
	s_mov_b32 s19, 0
	s_cbranch_vccnz .LBB54_2237
; %bb.2227:
	s_cmp_gt_i32 s5, 14
	s_cbranch_scc0 .LBB54_2230
; %bb.2228:
	s_cmp_eq_u32 s5, 15
	s_cbranch_scc0 .LBB54_2233
; %bb.2229:
	global_load_u16 v1, v[4:5], off
	s_mov_b32 s18, 0
	s_mov_b32 s20, -1
	s_wait_loadcnt 0x0
	v_lshlrev_b32_e32 v1, 16, v1
	s_delay_alu instid0(VALU_DEP_1)
	v_cvt_i32_f32_e32 v11, v1
	s_branch .LBB54_2235
.LBB54_2230:
	s_mov_b32 s19, -1
	s_branch .LBB54_2234
.LBB54_2231:
	s_and_not1_saveexec_b32 s19, s19
	s_cbranch_execz .LBB54_2212
.LBB54_2232:
	v_cmp_ne_u16_e32 vcc_lo, 0, v1
	s_and_not1_b32 s20, s20, exec_lo
	s_and_b32 s21, vcc_lo, exec_lo
	s_delay_alu instid0(SALU_CYCLE_1)
	s_or_b32 s20, s20, s21
	s_or_b32 exec_lo, exec_lo, s19
	v_mov_b32_e32 v11, 0
	s_and_saveexec_b32 s19, s20
	s_cbranch_execnz .LBB54_2213
	s_branch .LBB54_2214
.LBB54_2233:
	s_mov_b32 s18, -1
.LBB54_2234:
                                        ; implicit-def: $vgpr11
.LBB54_2235:
	s_and_b32 vcc_lo, exec_lo, s19
	s_mov_b32 s19, 0
	s_cbranch_vccz .LBB54_2237
; %bb.2236:
	s_cmp_lg_u32 s5, 11
	s_mov_b32 s19, -1
	s_cselect_b32 s18, -1, 0
.LBB54_2237:
	s_delay_alu instid0(SALU_CYCLE_1)
	s_and_b32 vcc_lo, exec_lo, s18
	s_cbranch_vccnz .LBB54_2302
; %bb.2238:
	s_and_not1_b32 vcc_lo, exec_lo, s19
	s_cbranch_vccnz .LBB54_2240
.LBB54_2239:
	global_load_u8 v1, v[4:5], off
	s_mov_b32 s20, -1
	s_wait_loadcnt 0x0
	v_cmp_ne_u16_e32 vcc_lo, 0, v1
	v_cndmask_b32_e64 v11, 0, 1, vcc_lo
.LBB54_2240:
	s_mov_b32 s5, 0
.LBB54_2241:
	s_delay_alu instid0(SALU_CYCLE_1)
	s_and_b32 vcc_lo, exec_lo, s5
	s_cbranch_vccz .LBB54_2290
; %bb.2242:
	s_and_b32 s5, 0xffff, s13
	s_delay_alu instid0(SALU_CYCLE_1)
	s_cmp_lt_i32 s5, 5
	s_cbranch_scc1 .LBB54_2247
; %bb.2243:
	s_cmp_lt_i32 s5, 8
	s_cbranch_scc1 .LBB54_2248
; %bb.2244:
	;; [unrolled: 3-line block ×3, first 2 shown]
	s_cmp_gt_i32 s5, 9
	s_cbranch_scc0 .LBB54_2250
; %bb.2246:
	global_load_b64 v[12:13], v[4:5], off
	s_mov_b32 s18, 0
	s_wait_loadcnt 0x0
	v_cvt_i32_f64_e32 v11, v[12:13]
	s_branch .LBB54_2251
.LBB54_2247:
	s_mov_b32 s18, -1
                                        ; implicit-def: $vgpr11
	s_branch .LBB54_2269
.LBB54_2248:
	s_mov_b32 s18, -1
                                        ; implicit-def: $vgpr11
	s_branch .LBB54_2257
.LBB54_2249:
	s_mov_b32 s18, -1
                                        ; implicit-def: $vgpr11
	s_branch .LBB54_2254
.LBB54_2250:
	s_mov_b32 s18, -1
                                        ; implicit-def: $vgpr11
.LBB54_2251:
	s_delay_alu instid0(SALU_CYCLE_1)
	s_and_not1_b32 vcc_lo, exec_lo, s18
	s_cbranch_vccnz .LBB54_2253
; %bb.2252:
	global_load_b32 v1, v[4:5], off
	s_wait_loadcnt 0x0
	v_cvt_i32_f32_e32 v11, v1
.LBB54_2253:
	s_mov_b32 s18, 0
.LBB54_2254:
	s_delay_alu instid0(SALU_CYCLE_1)
	s_and_not1_b32 vcc_lo, exec_lo, s18
	s_cbranch_vccnz .LBB54_2256
; %bb.2255:
	global_load_b32 v1, v[4:5], off
	s_wait_loadcnt 0x0
	v_cvt_f32_f16_e32 v1, v1
	s_delay_alu instid0(VALU_DEP_1)
	v_cvt_i32_f32_e32 v11, v1
.LBB54_2256:
	s_mov_b32 s18, 0
.LBB54_2257:
	s_delay_alu instid0(SALU_CYCLE_1)
	s_and_not1_b32 vcc_lo, exec_lo, s18
	s_cbranch_vccnz .LBB54_2268
; %bb.2258:
	s_cmp_lt_i32 s5, 6
	s_cbranch_scc1 .LBB54_2261
; %bb.2259:
	s_cmp_gt_i32 s5, 6
	s_cbranch_scc0 .LBB54_2262
; %bb.2260:
	global_load_b64 v[12:13], v[4:5], off
	s_mov_b32 s18, 0
	s_wait_loadcnt 0x0
	v_cvt_i32_f64_e32 v11, v[12:13]
	s_branch .LBB54_2263
.LBB54_2261:
	s_mov_b32 s18, -1
                                        ; implicit-def: $vgpr11
	s_branch .LBB54_2266
.LBB54_2262:
	s_mov_b32 s18, -1
                                        ; implicit-def: $vgpr11
.LBB54_2263:
	s_delay_alu instid0(SALU_CYCLE_1)
	s_and_not1_b32 vcc_lo, exec_lo, s18
	s_cbranch_vccnz .LBB54_2265
; %bb.2264:
	global_load_b32 v1, v[4:5], off
	s_wait_loadcnt 0x0
	v_cvt_i32_f32_e32 v11, v1
.LBB54_2265:
	s_mov_b32 s18, 0
.LBB54_2266:
	s_delay_alu instid0(SALU_CYCLE_1)
	s_and_not1_b32 vcc_lo, exec_lo, s18
	s_cbranch_vccnz .LBB54_2268
; %bb.2267:
	global_load_u16 v1, v[4:5], off
	s_wait_loadcnt 0x0
	v_cvt_f32_f16_e32 v1, v1
	s_delay_alu instid0(VALU_DEP_1)
	v_cvt_i32_f32_e32 v11, v1
.LBB54_2268:
	s_mov_b32 s18, 0
.LBB54_2269:
	s_delay_alu instid0(SALU_CYCLE_1)
	s_and_not1_b32 vcc_lo, exec_lo, s18
	s_cbranch_vccnz .LBB54_2289
; %bb.2270:
	s_cmp_lt_i32 s5, 2
	s_cbranch_scc1 .LBB54_2274
; %bb.2271:
	s_cmp_lt_i32 s5, 3
	s_cbranch_scc1 .LBB54_2275
; %bb.2272:
	s_cmp_gt_i32 s5, 3
	s_cbranch_scc0 .LBB54_2276
; %bb.2273:
	s_wait_loadcnt 0x0
	global_load_b32 v11, v[4:5], off
	s_mov_b32 s18, 0
	s_branch .LBB54_2277
.LBB54_2274:
	s_mov_b32 s18, -1
                                        ; implicit-def: $vgpr11
	s_branch .LBB54_2283
.LBB54_2275:
	s_mov_b32 s18, -1
                                        ; implicit-def: $vgpr11
	s_branch .LBB54_2280
.LBB54_2276:
	s_mov_b32 s18, -1
                                        ; implicit-def: $vgpr11
.LBB54_2277:
	s_delay_alu instid0(SALU_CYCLE_1)
	s_and_not1_b32 vcc_lo, exec_lo, s18
	s_cbranch_vccnz .LBB54_2279
; %bb.2278:
	s_wait_loadcnt 0x0
	global_load_b32 v11, v[4:5], off
.LBB54_2279:
	s_mov_b32 s18, 0
.LBB54_2280:
	s_delay_alu instid0(SALU_CYCLE_1)
	s_and_not1_b32 vcc_lo, exec_lo, s18
	s_cbranch_vccnz .LBB54_2282
; %bb.2281:
	s_wait_loadcnt 0x0
	global_load_i16 v11, v[4:5], off
.LBB54_2282:
	s_mov_b32 s18, 0
.LBB54_2283:
	s_delay_alu instid0(SALU_CYCLE_1)
	s_and_not1_b32 vcc_lo, exec_lo, s18
	s_cbranch_vccnz .LBB54_2289
; %bb.2284:
	s_cmp_gt_i32 s5, 0
	s_mov_b32 s5, 0
	s_cbranch_scc0 .LBB54_2286
; %bb.2285:
	s_wait_loadcnt 0x0
	global_load_i8 v11, v[4:5], off
	s_branch .LBB54_2287
.LBB54_2286:
	s_mov_b32 s5, -1
                                        ; implicit-def: $vgpr11
.LBB54_2287:
	s_delay_alu instid0(SALU_CYCLE_1)
	s_and_not1_b32 vcc_lo, exec_lo, s5
	s_cbranch_vccnz .LBB54_2289
; %bb.2288:
	s_wait_loadcnt 0x0
	global_load_u8 v11, v[4:5], off
.LBB54_2289:
	s_mov_b32 s20, -1
.LBB54_2290:
	s_delay_alu instid0(SALU_CYCLE_1)
	s_and_not1_b32 vcc_lo, exec_lo, s20
	s_cbranch_vccnz .LBB54_3126
; %bb.2291:
	v_add_nc_u32_e32 v2, s4, v2
	s_cmp_lt_i32 s0, 11
	s_delay_alu instid0(VALU_DEP_1) | instskip(SKIP_1) | instid1(VALU_DEP_1)
	v_ashrrev_i32_e32 v3, 31, v2
	s_wait_xcnt 0x0
	v_add_nc_u64_e32 v[4:5], s[10:11], v[2:3]
	s_cbranch_scc1 .LBB54_2298
; %bb.2292:
	s_cmp_gt_i32 s0, 25
	s_mov_b32 s18, 0
	s_cbranch_scc0 .LBB54_2299
; %bb.2293:
	s_cmp_gt_i32 s0, 28
	s_cbranch_scc0 .LBB54_2300
; %bb.2294:
	s_cmp_gt_i32 s0, 43
	;; [unrolled: 3-line block ×3, first 2 shown]
	s_cbranch_scc0 .LBB54_2303
; %bb.2296:
	s_cmp_eq_u32 s0, 46
	s_mov_b32 s20, 0
	s_cbranch_scc0 .LBB54_2304
; %bb.2297:
	global_load_b32 v1, v[4:5], off
	s_mov_b32 s5, 0
	s_mov_b32 s19, -1
	s_wait_loadcnt 0x0
	v_lshlrev_b32_e32 v1, 16, v1
	s_delay_alu instid0(VALU_DEP_1)
	v_cvt_i32_f32_e32 v12, v1
	s_branch .LBB54_2306
.LBB54_2298:
	s_mov_b32 s5, -1
	s_mov_b32 s19, 0
                                        ; implicit-def: $vgpr12
	s_branch .LBB54_2368
.LBB54_2299:
	s_mov_b32 s20, -1
	s_mov_b32 s19, 0
	s_mov_b32 s5, 0
                                        ; implicit-def: $vgpr12
	s_branch .LBB54_2333
.LBB54_2300:
	s_mov_b32 s20, -1
	s_mov_b32 s19, 0
	s_mov_b32 s5, 0
                                        ; implicit-def: $vgpr12
	s_branch .LBB54_2316
.LBB54_2301:
	s_mov_b32 s20, -1
	s_mov_b32 s19, 0
	s_mov_b32 s5, 0
                                        ; implicit-def: $vgpr12
	s_branch .LBB54_2311
.LBB54_2302:
	s_or_b32 s14, s14, exec_lo
	s_trap 2
	s_cbranch_execz .LBB54_2239
	s_branch .LBB54_2240
.LBB54_2303:
	s_mov_b32 s20, -1
	s_mov_b32 s19, 0
	s_mov_b32 s5, 0
	s_branch .LBB54_2305
.LBB54_2304:
	s_mov_b32 s5, -1
	s_mov_b32 s19, 0
.LBB54_2305:
                                        ; implicit-def: $vgpr12
.LBB54_2306:
	s_and_b32 vcc_lo, exec_lo, s20
	s_cbranch_vccz .LBB54_2310
; %bb.2307:
	s_cmp_eq_u32 s0, 44
	s_cbranch_scc0 .LBB54_2309
; %bb.2308:
	global_load_u8 v1, v[4:5], off
	s_mov_b32 s5, 0
	s_mov_b32 s19, -1
	s_wait_loadcnt 0x0
	v_lshlrev_b32_e32 v3, 23, v1
	v_cmp_ne_u32_e32 vcc_lo, 0, v1
	s_delay_alu instid0(VALU_DEP_2) | instskip(NEXT) | instid1(VALU_DEP_1)
	v_cvt_i32_f32_e32 v3, v3
	v_cndmask_b32_e32 v12, 0, v3, vcc_lo
	s_branch .LBB54_2310
.LBB54_2309:
	s_mov_b32 s5, -1
                                        ; implicit-def: $vgpr12
.LBB54_2310:
	s_mov_b32 s20, 0
.LBB54_2311:
	s_delay_alu instid0(SALU_CYCLE_1)
	s_and_b32 vcc_lo, exec_lo, s20
	s_cbranch_vccz .LBB54_2315
; %bb.2312:
	s_cmp_eq_u32 s0, 29
	s_cbranch_scc0 .LBB54_2314
; %bb.2313:
	global_load_b32 v12, v[4:5], off
	s_mov_b32 s5, 0
	s_mov_b32 s19, -1
	s_branch .LBB54_2315
.LBB54_2314:
	s_mov_b32 s5, -1
                                        ; implicit-def: $vgpr12
.LBB54_2315:
	s_mov_b32 s20, 0
.LBB54_2316:
	s_delay_alu instid0(SALU_CYCLE_1)
	s_and_b32 vcc_lo, exec_lo, s20
	s_cbranch_vccz .LBB54_2332
; %bb.2317:
	s_cmp_lt_i32 s0, 27
	s_cbranch_scc1 .LBB54_2320
; %bb.2318:
	s_cmp_gt_i32 s0, 27
	s_cbranch_scc0 .LBB54_2321
; %bb.2319:
	s_wait_loadcnt 0x0
	global_load_b32 v12, v[4:5], off
	s_mov_b32 s19, 0
	s_branch .LBB54_2322
.LBB54_2320:
	s_mov_b32 s19, -1
                                        ; implicit-def: $vgpr12
	s_branch .LBB54_2325
.LBB54_2321:
	s_mov_b32 s19, -1
                                        ; implicit-def: $vgpr12
.LBB54_2322:
	s_delay_alu instid0(SALU_CYCLE_1)
	s_and_not1_b32 vcc_lo, exec_lo, s19
	s_cbranch_vccnz .LBB54_2324
; %bb.2323:
	s_wait_loadcnt 0x0
	global_load_u16 v12, v[4:5], off
.LBB54_2324:
	s_mov_b32 s19, 0
.LBB54_2325:
	s_delay_alu instid0(SALU_CYCLE_1)
	s_and_not1_b32 vcc_lo, exec_lo, s19
	s_cbranch_vccnz .LBB54_2331
; %bb.2326:
	global_load_u8 v1, v[4:5], off
	s_mov_b32 s20, 0
	s_mov_b32 s19, exec_lo
	s_wait_loadcnt 0x0
	v_cmpx_lt_i16_e32 0x7f, v1
	s_xor_b32 s19, exec_lo, s19
	s_cbranch_execz .LBB54_2343
; %bb.2327:
	v_cmp_ne_u16_e32 vcc_lo, 0x80, v1
	s_and_b32 s20, vcc_lo, exec_lo
	s_and_not1_saveexec_b32 s19, s19
	s_cbranch_execnz .LBB54_2344
.LBB54_2328:
	s_or_b32 exec_lo, exec_lo, s19
	v_mov_b32_e32 v12, 0
	s_and_saveexec_b32 s19, s20
	s_cbranch_execz .LBB54_2330
.LBB54_2329:
	v_and_b32_e32 v3, 0xffff, v1
	s_delay_alu instid0(VALU_DEP_1) | instskip(SKIP_1) | instid1(VALU_DEP_2)
	v_and_b32_e32 v12, 7, v3
	v_bfe_u32 v15, v3, 3, 4
	v_clz_i32_u32_e32 v13, v12
	s_delay_alu instid0(VALU_DEP_2) | instskip(NEXT) | instid1(VALU_DEP_2)
	v_cmp_eq_u32_e32 vcc_lo, 0, v15
	v_min_u32_e32 v13, 32, v13
	s_delay_alu instid0(VALU_DEP_1) | instskip(NEXT) | instid1(VALU_DEP_1)
	v_subrev_nc_u32_e32 v14, 28, v13
	v_dual_lshlrev_b32 v3, v14, v3 :: v_dual_sub_nc_u32 v13, 29, v13
	s_delay_alu instid0(VALU_DEP_1) | instskip(NEXT) | instid1(VALU_DEP_1)
	v_dual_lshlrev_b32 v1, 24, v1 :: v_dual_bitop2_b32 v3, 7, v3 bitop3:0x40
	v_dual_cndmask_b32 v3, v12, v3, vcc_lo :: v_dual_cndmask_b32 v13, v15, v13, vcc_lo
	s_delay_alu instid0(VALU_DEP_2) | instskip(NEXT) | instid1(VALU_DEP_2)
	v_and_b32_e32 v1, 0x80000000, v1
	v_lshlrev_b32_e32 v3, 20, v3
	s_delay_alu instid0(VALU_DEP_3) | instskip(NEXT) | instid1(VALU_DEP_1)
	v_lshl_add_u32 v12, v13, 23, 0x3b800000
	v_or3_b32 v1, v1, v12, v3
	s_delay_alu instid0(VALU_DEP_1)
	v_cvt_i32_f32_e32 v12, v1
.LBB54_2330:
	s_or_b32 exec_lo, exec_lo, s19
.LBB54_2331:
	s_mov_b32 s19, -1
.LBB54_2332:
	s_mov_b32 s20, 0
.LBB54_2333:
	s_delay_alu instid0(SALU_CYCLE_1)
	s_and_b32 vcc_lo, exec_lo, s20
	s_cbranch_vccz .LBB54_2364
; %bb.2334:
	s_cmp_gt_i32 s0, 22
	s_cbranch_scc0 .LBB54_2342
; %bb.2335:
	s_cmp_lt_i32 s0, 24
	s_cbranch_scc1 .LBB54_2345
; %bb.2336:
	s_cmp_gt_i32 s0, 24
	s_cbranch_scc0 .LBB54_2346
; %bb.2337:
	global_load_u8 v1, v[4:5], off
	s_mov_b32 s19, 0
	s_mov_b32 s18, exec_lo
	s_wait_loadcnt 0x0
	v_cmpx_lt_i16_e32 0x7f, v1
	s_xor_b32 s18, exec_lo, s18
	s_cbranch_execz .LBB54_2358
; %bb.2338:
	v_cmp_ne_u16_e32 vcc_lo, 0x80, v1
	s_and_b32 s19, vcc_lo, exec_lo
	s_and_not1_saveexec_b32 s18, s18
	s_cbranch_execnz .LBB54_2359
.LBB54_2339:
	s_or_b32 exec_lo, exec_lo, s18
	v_mov_b32_e32 v12, 0
	s_and_saveexec_b32 s18, s19
	s_cbranch_execz .LBB54_2341
.LBB54_2340:
	v_and_b32_e32 v3, 0xffff, v1
	s_delay_alu instid0(VALU_DEP_1) | instskip(SKIP_1) | instid1(VALU_DEP_2)
	v_and_b32_e32 v12, 3, v3
	v_bfe_u32 v15, v3, 2, 5
	v_clz_i32_u32_e32 v13, v12
	s_delay_alu instid0(VALU_DEP_2) | instskip(NEXT) | instid1(VALU_DEP_2)
	v_cmp_eq_u32_e32 vcc_lo, 0, v15
	v_min_u32_e32 v13, 32, v13
	s_delay_alu instid0(VALU_DEP_1) | instskip(NEXT) | instid1(VALU_DEP_1)
	v_subrev_nc_u32_e32 v14, 29, v13
	v_dual_lshlrev_b32 v3, v14, v3 :: v_dual_sub_nc_u32 v13, 30, v13
	s_delay_alu instid0(VALU_DEP_1) | instskip(NEXT) | instid1(VALU_DEP_1)
	v_dual_lshlrev_b32 v1, 24, v1 :: v_dual_bitop2_b32 v3, 3, v3 bitop3:0x40
	v_dual_cndmask_b32 v3, v12, v3, vcc_lo :: v_dual_cndmask_b32 v13, v15, v13, vcc_lo
	s_delay_alu instid0(VALU_DEP_2) | instskip(NEXT) | instid1(VALU_DEP_2)
	v_and_b32_e32 v1, 0x80000000, v1
	v_lshlrev_b32_e32 v3, 21, v3
	s_delay_alu instid0(VALU_DEP_3) | instskip(NEXT) | instid1(VALU_DEP_1)
	v_lshl_add_u32 v12, v13, 23, 0x37800000
	v_or3_b32 v1, v1, v12, v3
	s_delay_alu instid0(VALU_DEP_1)
	v_cvt_i32_f32_e32 v12, v1
.LBB54_2341:
	s_or_b32 exec_lo, exec_lo, s18
	s_mov_b32 s18, 0
	s_branch .LBB54_2347
.LBB54_2342:
	s_mov_b32 s18, -1
                                        ; implicit-def: $vgpr12
	s_branch .LBB54_2353
.LBB54_2343:
	s_and_not1_saveexec_b32 s19, s19
	s_cbranch_execz .LBB54_2328
.LBB54_2344:
	v_cmp_ne_u16_e32 vcc_lo, 0, v1
	s_and_not1_b32 s20, s20, exec_lo
	s_and_b32 s21, vcc_lo, exec_lo
	s_delay_alu instid0(SALU_CYCLE_1)
	s_or_b32 s20, s20, s21
	s_or_b32 exec_lo, exec_lo, s19
	v_mov_b32_e32 v12, 0
	s_and_saveexec_b32 s19, s20
	s_cbranch_execnz .LBB54_2329
	s_branch .LBB54_2330
.LBB54_2345:
	s_mov_b32 s18, -1
                                        ; implicit-def: $vgpr12
	s_branch .LBB54_2350
.LBB54_2346:
	s_mov_b32 s18, -1
                                        ; implicit-def: $vgpr12
.LBB54_2347:
	s_delay_alu instid0(SALU_CYCLE_1)
	s_and_b32 vcc_lo, exec_lo, s18
	s_cbranch_vccz .LBB54_2349
; %bb.2348:
	global_load_u8 v1, v[4:5], off
	s_wait_loadcnt 0x0
	v_lshlrev_b32_e32 v1, 24, v1
	s_delay_alu instid0(VALU_DEP_1) | instskip(NEXT) | instid1(VALU_DEP_1)
	v_and_b32_e32 v3, 0x7f000000, v1
	v_clz_i32_u32_e32 v12, v3
	v_cmp_ne_u32_e32 vcc_lo, 0, v3
	v_add_nc_u32_e32 v14, 0x1000000, v3
	s_delay_alu instid0(VALU_DEP_3) | instskip(NEXT) | instid1(VALU_DEP_1)
	v_min_u32_e32 v12, 32, v12
	v_sub_nc_u32_e64 v12, v12, 4 clamp
	s_delay_alu instid0(VALU_DEP_1) | instskip(NEXT) | instid1(VALU_DEP_1)
	v_dual_lshlrev_b32 v13, v12, v3 :: v_dual_lshlrev_b32 v12, 23, v12
	v_lshrrev_b32_e32 v13, 4, v13
	s_delay_alu instid0(VALU_DEP_1) | instskip(NEXT) | instid1(VALU_DEP_1)
	v_dual_sub_nc_u32 v12, v13, v12 :: v_dual_ashrrev_i32 v13, 8, v14
	v_add_nc_u32_e32 v12, 0x3c000000, v12
	s_delay_alu instid0(VALU_DEP_1) | instskip(NEXT) | instid1(VALU_DEP_1)
	v_and_or_b32 v12, 0x7f800000, v13, v12
	v_cndmask_b32_e32 v3, 0, v12, vcc_lo
	s_delay_alu instid0(VALU_DEP_1) | instskip(NEXT) | instid1(VALU_DEP_1)
	v_and_or_b32 v1, 0x80000000, v1, v3
	v_cvt_i32_f32_e32 v12, v1
.LBB54_2349:
	s_mov_b32 s18, 0
.LBB54_2350:
	s_delay_alu instid0(SALU_CYCLE_1)
	s_and_not1_b32 vcc_lo, exec_lo, s18
	s_cbranch_vccnz .LBB54_2352
; %bb.2351:
	global_load_u8 v1, v[4:5], off
	s_wait_loadcnt 0x0
	v_lshlrev_b32_e32 v3, 25, v1
	v_lshlrev_b16 v1, 8, v1
	s_delay_alu instid0(VALU_DEP_1) | instskip(NEXT) | instid1(VALU_DEP_3)
	v_and_or_b32 v13, 0x7f00, v1, 0.5
	v_lshrrev_b32_e32 v12, 4, v3
	v_bfe_i32 v1, v1, 0, 16
	s_delay_alu instid0(VALU_DEP_3) | instskip(NEXT) | instid1(VALU_DEP_3)
	v_add_f32_e32 v13, -0.5, v13
	v_or_b32_e32 v12, 0x70000000, v12
	s_delay_alu instid0(VALU_DEP_1) | instskip(SKIP_1) | instid1(VALU_DEP_2)
	v_mul_f32_e32 v12, 0x7800000, v12
	v_cmp_gt_u32_e32 vcc_lo, 0x8000000, v3
	v_cndmask_b32_e32 v3, v12, v13, vcc_lo
	s_delay_alu instid0(VALU_DEP_1) | instskip(NEXT) | instid1(VALU_DEP_1)
	v_and_or_b32 v1, 0x80000000, v1, v3
	v_cvt_i32_f32_e32 v12, v1
.LBB54_2352:
	s_mov_b32 s18, 0
	s_mov_b32 s19, -1
.LBB54_2353:
	s_and_not1_b32 vcc_lo, exec_lo, s18
	s_mov_b32 s18, 0
	s_cbranch_vccnz .LBB54_2364
; %bb.2354:
	s_cmp_gt_i32 s0, 14
	s_cbranch_scc0 .LBB54_2357
; %bb.2355:
	s_cmp_eq_u32 s0, 15
	s_cbranch_scc0 .LBB54_2360
; %bb.2356:
	global_load_u16 v1, v[4:5], off
	s_mov_b32 s5, 0
	s_mov_b32 s19, -1
	s_wait_loadcnt 0x0
	v_lshlrev_b32_e32 v1, 16, v1
	s_delay_alu instid0(VALU_DEP_1)
	v_cvt_i32_f32_e32 v12, v1
	s_branch .LBB54_2362
.LBB54_2357:
	s_mov_b32 s18, -1
	s_branch .LBB54_2361
.LBB54_2358:
	s_and_not1_saveexec_b32 s18, s18
	s_cbranch_execz .LBB54_2339
.LBB54_2359:
	v_cmp_ne_u16_e32 vcc_lo, 0, v1
	s_and_not1_b32 s19, s19, exec_lo
	s_and_b32 s20, vcc_lo, exec_lo
	s_delay_alu instid0(SALU_CYCLE_1)
	s_or_b32 s19, s19, s20
	s_or_b32 exec_lo, exec_lo, s18
	v_mov_b32_e32 v12, 0
	s_and_saveexec_b32 s18, s19
	s_cbranch_execnz .LBB54_2340
	s_branch .LBB54_2341
.LBB54_2360:
	s_mov_b32 s5, -1
.LBB54_2361:
                                        ; implicit-def: $vgpr12
.LBB54_2362:
	s_and_b32 vcc_lo, exec_lo, s18
	s_mov_b32 s18, 0
	s_cbranch_vccz .LBB54_2364
; %bb.2363:
	s_cmp_lg_u32 s0, 11
	s_mov_b32 s18, -1
	s_cselect_b32 s5, -1, 0
.LBB54_2364:
	s_delay_alu instid0(SALU_CYCLE_1)
	s_and_b32 vcc_lo, exec_lo, s5
	s_cbranch_vccnz .LBB54_2448
; %bb.2365:
	s_and_not1_b32 vcc_lo, exec_lo, s18
	s_cbranch_vccnz .LBB54_2367
.LBB54_2366:
	global_load_u8 v1, v[4:5], off
	s_mov_b32 s19, -1
	s_wait_loadcnt 0x0
	v_cmp_ne_u16_e32 vcc_lo, 0, v1
	v_cndmask_b32_e64 v12, 0, 1, vcc_lo
.LBB54_2367:
	s_mov_b32 s5, 0
.LBB54_2368:
	s_delay_alu instid0(SALU_CYCLE_1)
	s_and_b32 vcc_lo, exec_lo, s5
	s_cbranch_vccz .LBB54_2417
; %bb.2369:
	s_cmp_lt_i32 s0, 5
	s_cbranch_scc1 .LBB54_2374
; %bb.2370:
	s_cmp_lt_i32 s0, 8
	s_cbranch_scc1 .LBB54_2375
	;; [unrolled: 3-line block ×3, first 2 shown]
; %bb.2372:
	s_cmp_gt_i32 s0, 9
	s_cbranch_scc0 .LBB54_2377
; %bb.2373:
	s_wait_loadcnt 0x0
	global_load_b64 v[12:13], v[4:5], off
	s_mov_b32 s5, 0
	s_wait_loadcnt 0x0
	v_cvt_i32_f64_e32 v12, v[12:13]
	s_branch .LBB54_2378
.LBB54_2374:
	s_mov_b32 s5, -1
                                        ; implicit-def: $vgpr12
	s_branch .LBB54_2396
.LBB54_2375:
	s_mov_b32 s5, -1
                                        ; implicit-def: $vgpr12
	s_branch .LBB54_2384
.LBB54_2376:
	s_mov_b32 s5, -1
                                        ; implicit-def: $vgpr12
	s_branch .LBB54_2381
.LBB54_2377:
	s_mov_b32 s5, -1
                                        ; implicit-def: $vgpr12
.LBB54_2378:
	s_delay_alu instid0(SALU_CYCLE_1)
	s_and_not1_b32 vcc_lo, exec_lo, s5
	s_cbranch_vccnz .LBB54_2380
; %bb.2379:
	global_load_b32 v1, v[4:5], off
	s_wait_loadcnt 0x0
	v_cvt_i32_f32_e32 v12, v1
.LBB54_2380:
	s_mov_b32 s5, 0
.LBB54_2381:
	s_delay_alu instid0(SALU_CYCLE_1)
	s_and_not1_b32 vcc_lo, exec_lo, s5
	s_cbranch_vccnz .LBB54_2383
; %bb.2382:
	global_load_b32 v1, v[4:5], off
	s_wait_loadcnt 0x0
	v_cvt_f32_f16_e32 v1, v1
	s_delay_alu instid0(VALU_DEP_1)
	v_cvt_i32_f32_e32 v12, v1
.LBB54_2383:
	s_mov_b32 s5, 0
.LBB54_2384:
	s_delay_alu instid0(SALU_CYCLE_1)
	s_and_not1_b32 vcc_lo, exec_lo, s5
	s_cbranch_vccnz .LBB54_2395
; %bb.2385:
	s_cmp_lt_i32 s0, 6
	s_cbranch_scc1 .LBB54_2388
; %bb.2386:
	s_cmp_gt_i32 s0, 6
	s_cbranch_scc0 .LBB54_2389
; %bb.2387:
	s_wait_loadcnt 0x0
	global_load_b64 v[12:13], v[4:5], off
	s_mov_b32 s5, 0
	s_wait_loadcnt 0x0
	v_cvt_i32_f64_e32 v12, v[12:13]
	s_branch .LBB54_2390
.LBB54_2388:
	s_mov_b32 s5, -1
                                        ; implicit-def: $vgpr12
	s_branch .LBB54_2393
.LBB54_2389:
	s_mov_b32 s5, -1
                                        ; implicit-def: $vgpr12
.LBB54_2390:
	s_delay_alu instid0(SALU_CYCLE_1)
	s_and_not1_b32 vcc_lo, exec_lo, s5
	s_cbranch_vccnz .LBB54_2392
; %bb.2391:
	global_load_b32 v1, v[4:5], off
	s_wait_loadcnt 0x0
	v_cvt_i32_f32_e32 v12, v1
.LBB54_2392:
	s_mov_b32 s5, 0
.LBB54_2393:
	s_delay_alu instid0(SALU_CYCLE_1)
	s_and_not1_b32 vcc_lo, exec_lo, s5
	s_cbranch_vccnz .LBB54_2395
; %bb.2394:
	global_load_u16 v1, v[4:5], off
	s_wait_loadcnt 0x0
	v_cvt_f32_f16_e32 v1, v1
	s_delay_alu instid0(VALU_DEP_1)
	v_cvt_i32_f32_e32 v12, v1
.LBB54_2395:
	s_mov_b32 s5, 0
.LBB54_2396:
	s_delay_alu instid0(SALU_CYCLE_1)
	s_and_not1_b32 vcc_lo, exec_lo, s5
	s_cbranch_vccnz .LBB54_2416
; %bb.2397:
	s_cmp_lt_i32 s0, 2
	s_cbranch_scc1 .LBB54_2401
; %bb.2398:
	s_cmp_lt_i32 s0, 3
	s_cbranch_scc1 .LBB54_2402
; %bb.2399:
	s_cmp_gt_i32 s0, 3
	s_cbranch_scc0 .LBB54_2403
; %bb.2400:
	s_wait_loadcnt 0x0
	global_load_b32 v12, v[4:5], off
	s_mov_b32 s5, 0
	s_branch .LBB54_2404
.LBB54_2401:
	s_mov_b32 s5, -1
                                        ; implicit-def: $vgpr12
	s_branch .LBB54_2410
.LBB54_2402:
	s_mov_b32 s5, -1
                                        ; implicit-def: $vgpr12
	s_branch .LBB54_2407
.LBB54_2403:
	s_mov_b32 s5, -1
                                        ; implicit-def: $vgpr12
.LBB54_2404:
	s_delay_alu instid0(SALU_CYCLE_1)
	s_and_not1_b32 vcc_lo, exec_lo, s5
	s_cbranch_vccnz .LBB54_2406
; %bb.2405:
	s_wait_loadcnt 0x0
	global_load_b32 v12, v[4:5], off
.LBB54_2406:
	s_mov_b32 s5, 0
.LBB54_2407:
	s_delay_alu instid0(SALU_CYCLE_1)
	s_and_not1_b32 vcc_lo, exec_lo, s5
	s_cbranch_vccnz .LBB54_2409
; %bb.2408:
	s_wait_loadcnt 0x0
	global_load_i16 v12, v[4:5], off
.LBB54_2409:
	s_mov_b32 s5, 0
.LBB54_2410:
	s_delay_alu instid0(SALU_CYCLE_1)
	s_and_not1_b32 vcc_lo, exec_lo, s5
	s_cbranch_vccnz .LBB54_2416
; %bb.2411:
	s_cmp_gt_i32 s0, 0
	s_mov_b32 s5, 0
	s_cbranch_scc0 .LBB54_2413
; %bb.2412:
	s_wait_loadcnt 0x0
	global_load_i8 v12, v[4:5], off
	s_branch .LBB54_2414
.LBB54_2413:
	s_mov_b32 s5, -1
                                        ; implicit-def: $vgpr12
.LBB54_2414:
	s_delay_alu instid0(SALU_CYCLE_1)
	s_and_not1_b32 vcc_lo, exec_lo, s5
	s_cbranch_vccnz .LBB54_2416
; %bb.2415:
	s_wait_loadcnt 0x0
	global_load_u8 v12, v[4:5], off
.LBB54_2416:
	s_mov_b32 s19, -1
.LBB54_2417:
	s_delay_alu instid0(SALU_CYCLE_1)
	s_and_not1_b32 vcc_lo, exec_lo, s19
	s_cbranch_vccnz .LBB54_3126
; %bb.2418:
	s_cmp_lt_i32 s15, 23
	s_cbranch_scc1 .LBB54_2422
; %bb.2419:
	s_and_b32 s19, 0xffff, s15
	s_delay_alu instid0(SALU_CYCLE_1)
	s_cmp_gt_i32 s19, 43
	s_cbranch_scc0 .LBB54_2423
; %bb.2420:
	s_cmp_gt_i32 s19, 45
	s_cbranch_scc0 .LBB54_2424
; %bb.2421:
	s_cmp_lg_u32 s19, 46
	s_mov_b32 s20, 0
	s_mov_b32 s5, -1
	s_cselect_b32 s18, -1, 0
	s_branch .LBB54_2425
.LBB54_2422:
	s_mov_b32 s19, -1
	s_mov_b32 s5, 0
	s_mov_b32 s18, 0
	s_branch .LBB54_2431
.LBB54_2423:
	s_mov_b32 s20, -1
	s_mov_b32 s5, 0
	s_mov_b32 s18, 0
	s_branch .LBB54_2428
.LBB54_2424:
	s_mov_b32 s20, -1
	s_mov_b32 s5, 0
	s_mov_b32 s18, 0
.LBB54_2425:
	s_and_not1_b32 vcc_lo, exec_lo, s20
	s_cbranch_vccnz .LBB54_2427
; %bb.2426:
	s_cmp_eq_u32 s19, 44
	s_cselect_b32 s5, -1, 0
	s_cmp_lg_u32 s19, 44
	s_cselect_b32 s18, -1, 0
.LBB54_2427:
	s_mov_b32 s20, 0
.LBB54_2428:
	s_delay_alu instid0(SALU_CYCLE_1)
	s_and_b32 vcc_lo, exec_lo, s20
	s_cbranch_vccz .LBB54_2430
; %bb.2429:
	s_cmp_lt_i32 s19, 30
	s_cselect_b32 s5, -1, 0
	s_cmp_gt_i32 s19, 29
	s_cselect_b32 s18, -1, 0
.LBB54_2430:
	s_mov_b32 s19, 0
.LBB54_2431:
	s_delay_alu instid0(SALU_CYCLE_1)
	s_and_b32 vcc_lo, exec_lo, s19
	s_cbranch_vccz .LBB54_2436
; %bb.2432:
	s_and_b32 s15, 0xffff, s15
	s_mov_b32 s19, -1
	s_cmp_gt_i32 s15, 14
	s_cbranch_scc0 .LBB54_2434
; %bb.2433:
	s_cmp_eq_u32 s15, 15
	s_mov_b32 s19, 0
	s_cselect_b32 s5, -1, 0
	s_cmp_lg_u32 s15, 15
	s_cselect_b32 s18, -1, 0
.LBB54_2434:
	s_and_not1_b32 vcc_lo, exec_lo, s19
	s_cbranch_vccnz .LBB54_2436
; %bb.2435:
	s_cmp_lt_i32 s15, 12
	s_cselect_b32 s5, -1, 0
	s_cmp_gt_i32 s15, 11
	s_cselect_b32 s18, -1, 0
.LBB54_2436:
	s_delay_alu instid0(SALU_CYCLE_1)
	s_and_b32 vcc_lo, exec_lo, s18
	s_cbranch_vccnz .LBB54_2449
; %bb.2437:
	s_and_not1_b32 vcc_lo, exec_lo, s5
	s_cbranch_vccnz .LBB54_3126
.LBB54_2438:
	v_add_nc_u32_e32 v0, s1, v0
	s_cmp_lt_i32 s13, 11
	s_delay_alu instid0(VALU_DEP_1) | instskip(NEXT) | instid1(VALU_DEP_1)
	v_ashrrev_i32_e32 v1, 31, v0
	v_add_nc_u64_e32 v[0:1], s[8:9], v[0:1]
	s_cbranch_scc1 .LBB54_2445
; %bb.2439:
	s_and_b32 s1, 0xffff, s13
	s_mov_b32 s8, 0
	s_cmp_gt_i32 s1, 25
	s_cbranch_scc0 .LBB54_2446
; %bb.2440:
	s_cmp_gt_i32 s1, 28
	s_cbranch_scc0 .LBB54_2447
; %bb.2441:
	;; [unrolled: 3-line block ×4, first 2 shown]
	s_cmp_eq_u32 s1, 46
	s_mov_b32 s15, 0
	s_cbranch_scc0 .LBB54_2452
; %bb.2444:
	global_load_b32 v3, v[0:1], off
	s_mov_b32 s5, 0
	s_mov_b32 s9, -1
	s_wait_loadcnt 0x0
	v_lshlrev_b32_e32 v3, 16, v3
	s_delay_alu instid0(VALU_DEP_1)
	v_cvt_i32_f32_e32 v13, v3
	s_branch .LBB54_2454
.LBB54_2445:
	s_mov_b32 s1, -1
	s_mov_b32 s9, 0
                                        ; implicit-def: $vgpr13
	s_branch .LBB54_2516
.LBB54_2446:
	s_mov_b32 s15, -1
	s_mov_b32 s9, 0
	s_mov_b32 s5, 0
                                        ; implicit-def: $vgpr13
	s_branch .LBB54_2481
.LBB54_2447:
	s_mov_b32 s15, -1
	s_mov_b32 s9, 0
	s_mov_b32 s5, 0
                                        ; implicit-def: $vgpr13
	s_branch .LBB54_2464
.LBB54_2448:
	s_or_b32 s14, s14, exec_lo
	s_trap 2
	s_cbranch_execz .LBB54_2366
	s_branch .LBB54_2367
.LBB54_2449:
	s_or_b32 s14, s14, exec_lo
	s_trap 2
	s_cbranch_execz .LBB54_2438
	s_branch .LBB54_3126
.LBB54_2450:
	s_mov_b32 s15, -1
	s_mov_b32 s9, 0
	s_mov_b32 s5, 0
                                        ; implicit-def: $vgpr13
	s_branch .LBB54_2459
.LBB54_2451:
	s_mov_b32 s15, -1
	s_mov_b32 s9, 0
	s_mov_b32 s5, 0
	s_branch .LBB54_2453
.LBB54_2452:
	s_mov_b32 s5, -1
	s_mov_b32 s9, 0
.LBB54_2453:
                                        ; implicit-def: $vgpr13
.LBB54_2454:
	s_and_b32 vcc_lo, exec_lo, s15
	s_cbranch_vccz .LBB54_2458
; %bb.2455:
	s_cmp_eq_u32 s1, 44
	s_cbranch_scc0 .LBB54_2457
; %bb.2456:
	global_load_u8 v3, v[0:1], off
	s_mov_b32 s5, 0
	s_mov_b32 s9, -1
	s_wait_loadcnt 0x0
	s_wait_xcnt 0x1
	v_lshlrev_b32_e32 v4, 23, v3
	v_cmp_ne_u32_e32 vcc_lo, 0, v3
	s_delay_alu instid0(VALU_DEP_2) | instskip(NEXT) | instid1(VALU_DEP_1)
	v_cvt_i32_f32_e32 v4, v4
	v_cndmask_b32_e32 v13, 0, v4, vcc_lo
	s_branch .LBB54_2458
.LBB54_2457:
	s_mov_b32 s5, -1
                                        ; implicit-def: $vgpr13
.LBB54_2458:
	s_mov_b32 s15, 0
.LBB54_2459:
	s_delay_alu instid0(SALU_CYCLE_1)
	s_and_b32 vcc_lo, exec_lo, s15
	s_cbranch_vccz .LBB54_2463
; %bb.2460:
	s_cmp_eq_u32 s1, 29
	s_cbranch_scc0 .LBB54_2462
; %bb.2461:
	global_load_b32 v13, v[0:1], off
	s_mov_b32 s5, 0
	s_mov_b32 s9, -1
	s_branch .LBB54_2463
.LBB54_2462:
	s_mov_b32 s5, -1
                                        ; implicit-def: $vgpr13
.LBB54_2463:
	s_mov_b32 s15, 0
.LBB54_2464:
	s_delay_alu instid0(SALU_CYCLE_1)
	s_and_b32 vcc_lo, exec_lo, s15
	s_cbranch_vccz .LBB54_2480
; %bb.2465:
	s_cmp_lt_i32 s1, 27
	s_cbranch_scc1 .LBB54_2468
; %bb.2466:
	s_cmp_gt_i32 s1, 27
	s_cbranch_scc0 .LBB54_2469
; %bb.2467:
	s_wait_loadcnt 0x0
	global_load_b32 v13, v[0:1], off
	s_mov_b32 s9, 0
	s_branch .LBB54_2470
.LBB54_2468:
	s_mov_b32 s9, -1
                                        ; implicit-def: $vgpr13
	s_branch .LBB54_2473
.LBB54_2469:
	s_mov_b32 s9, -1
                                        ; implicit-def: $vgpr13
.LBB54_2470:
	s_delay_alu instid0(SALU_CYCLE_1)
	s_and_not1_b32 vcc_lo, exec_lo, s9
	s_cbranch_vccnz .LBB54_2472
; %bb.2471:
	s_wait_loadcnt 0x0
	global_load_u16 v13, v[0:1], off
.LBB54_2472:
	s_mov_b32 s9, 0
.LBB54_2473:
	s_delay_alu instid0(SALU_CYCLE_1)
	s_and_not1_b32 vcc_lo, exec_lo, s9
	s_cbranch_vccnz .LBB54_2479
; %bb.2474:
	global_load_u8 v3, v[0:1], off
	s_mov_b32 s15, 0
	s_mov_b32 s9, exec_lo
	s_wait_loadcnt 0x0
	v_cmpx_lt_i16_e32 0x7f, v3
	s_xor_b32 s9, exec_lo, s9
	s_cbranch_execz .LBB54_2491
; %bb.2475:
	v_cmp_ne_u16_e32 vcc_lo, 0x80, v3
	s_and_b32 s15, vcc_lo, exec_lo
	s_and_not1_saveexec_b32 s9, s9
	s_cbranch_execnz .LBB54_2492
.LBB54_2476:
	s_or_b32 exec_lo, exec_lo, s9
	v_mov_b32_e32 v13, 0
	s_and_saveexec_b32 s9, s15
	s_cbranch_execz .LBB54_2478
.LBB54_2477:
	v_and_b32_e32 v4, 0xffff, v3
	s_delay_alu instid0(VALU_DEP_1) | instskip(SKIP_1) | instid1(VALU_DEP_2)
	v_and_b32_e32 v5, 7, v4
	v_bfe_u32 v15, v4, 3, 4
	v_clz_i32_u32_e32 v13, v5
	s_delay_alu instid0(VALU_DEP_2) | instskip(NEXT) | instid1(VALU_DEP_2)
	v_cmp_eq_u32_e32 vcc_lo, 0, v15
	v_min_u32_e32 v13, 32, v13
	s_delay_alu instid0(VALU_DEP_1) | instskip(NEXT) | instid1(VALU_DEP_1)
	v_subrev_nc_u32_e32 v14, 28, v13
	v_dual_lshlrev_b32 v4, v14, v4 :: v_dual_sub_nc_u32 v13, 29, v13
	s_delay_alu instid0(VALU_DEP_1) | instskip(NEXT) | instid1(VALU_DEP_1)
	v_dual_lshlrev_b32 v3, 24, v3 :: v_dual_bitop2_b32 v4, 7, v4 bitop3:0x40
	v_dual_cndmask_b32 v13, v15, v13 :: v_dual_cndmask_b32 v4, v5, v4
	s_delay_alu instid0(VALU_DEP_2) | instskip(NEXT) | instid1(VALU_DEP_2)
	v_and_b32_e32 v3, 0x80000000, v3
	v_lshl_add_u32 v5, v13, 23, 0x3b800000
	s_delay_alu instid0(VALU_DEP_3) | instskip(NEXT) | instid1(VALU_DEP_1)
	v_lshlrev_b32_e32 v4, 20, v4
	v_or3_b32 v3, v3, v5, v4
	s_delay_alu instid0(VALU_DEP_1)
	v_cvt_i32_f32_e32 v13, v3
.LBB54_2478:
	s_or_b32 exec_lo, exec_lo, s9
.LBB54_2479:
	s_mov_b32 s9, -1
.LBB54_2480:
	s_mov_b32 s15, 0
.LBB54_2481:
	s_delay_alu instid0(SALU_CYCLE_1)
	s_and_b32 vcc_lo, exec_lo, s15
	s_cbranch_vccz .LBB54_2512
; %bb.2482:
	s_cmp_gt_i32 s1, 22
	s_cbranch_scc0 .LBB54_2490
; %bb.2483:
	s_cmp_lt_i32 s1, 24
	s_cbranch_scc1 .LBB54_2493
; %bb.2484:
	s_cmp_gt_i32 s1, 24
	s_cbranch_scc0 .LBB54_2494
; %bb.2485:
	global_load_u8 v3, v[0:1], off
	s_mov_b32 s9, 0
	s_mov_b32 s8, exec_lo
	s_wait_loadcnt 0x0
	v_cmpx_lt_i16_e32 0x7f, v3
	s_xor_b32 s8, exec_lo, s8
	s_cbranch_execz .LBB54_2506
; %bb.2486:
	v_cmp_ne_u16_e32 vcc_lo, 0x80, v3
	s_and_b32 s9, vcc_lo, exec_lo
	s_and_not1_saveexec_b32 s8, s8
	s_cbranch_execnz .LBB54_2507
.LBB54_2487:
	s_or_b32 exec_lo, exec_lo, s8
	v_mov_b32_e32 v13, 0
	s_and_saveexec_b32 s8, s9
	s_cbranch_execz .LBB54_2489
.LBB54_2488:
	v_and_b32_e32 v4, 0xffff, v3
	s_delay_alu instid0(VALU_DEP_1) | instskip(SKIP_1) | instid1(VALU_DEP_2)
	v_and_b32_e32 v5, 3, v4
	v_bfe_u32 v15, v4, 2, 5
	v_clz_i32_u32_e32 v13, v5
	s_delay_alu instid0(VALU_DEP_2) | instskip(NEXT) | instid1(VALU_DEP_2)
	v_cmp_eq_u32_e32 vcc_lo, 0, v15
	v_min_u32_e32 v13, 32, v13
	s_delay_alu instid0(VALU_DEP_1) | instskip(NEXT) | instid1(VALU_DEP_1)
	v_subrev_nc_u32_e32 v14, 29, v13
	v_dual_lshlrev_b32 v4, v14, v4 :: v_dual_sub_nc_u32 v13, 30, v13
	s_delay_alu instid0(VALU_DEP_1) | instskip(NEXT) | instid1(VALU_DEP_1)
	v_dual_lshlrev_b32 v3, 24, v3 :: v_dual_bitop2_b32 v4, 3, v4 bitop3:0x40
	v_dual_cndmask_b32 v13, v15, v13 :: v_dual_cndmask_b32 v4, v5, v4
	s_delay_alu instid0(VALU_DEP_2) | instskip(NEXT) | instid1(VALU_DEP_2)
	v_and_b32_e32 v3, 0x80000000, v3
	v_lshl_add_u32 v5, v13, 23, 0x37800000
	s_delay_alu instid0(VALU_DEP_3) | instskip(NEXT) | instid1(VALU_DEP_1)
	v_lshlrev_b32_e32 v4, 21, v4
	v_or3_b32 v3, v3, v5, v4
	s_delay_alu instid0(VALU_DEP_1)
	v_cvt_i32_f32_e32 v13, v3
.LBB54_2489:
	s_or_b32 exec_lo, exec_lo, s8
	s_mov_b32 s8, 0
	s_branch .LBB54_2495
.LBB54_2490:
	s_mov_b32 s8, -1
                                        ; implicit-def: $vgpr13
	s_branch .LBB54_2501
.LBB54_2491:
	s_and_not1_saveexec_b32 s9, s9
	s_cbranch_execz .LBB54_2476
.LBB54_2492:
	v_cmp_ne_u16_e32 vcc_lo, 0, v3
	s_and_not1_b32 s15, s15, exec_lo
	s_and_b32 s18, vcc_lo, exec_lo
	s_delay_alu instid0(SALU_CYCLE_1)
	s_or_b32 s15, s15, s18
	s_or_b32 exec_lo, exec_lo, s9
	v_mov_b32_e32 v13, 0
	s_and_saveexec_b32 s9, s15
	s_cbranch_execnz .LBB54_2477
	s_branch .LBB54_2478
.LBB54_2493:
	s_mov_b32 s8, -1
                                        ; implicit-def: $vgpr13
	s_branch .LBB54_2498
.LBB54_2494:
	s_mov_b32 s8, -1
                                        ; implicit-def: $vgpr13
.LBB54_2495:
	s_delay_alu instid0(SALU_CYCLE_1)
	s_and_b32 vcc_lo, exec_lo, s8
	s_cbranch_vccz .LBB54_2497
; %bb.2496:
	global_load_u8 v3, v[0:1], off
	s_wait_loadcnt 0x0
	v_lshlrev_b32_e32 v3, 24, v3
	s_wait_xcnt 0x1
	s_delay_alu instid0(VALU_DEP_1) | instskip(NEXT) | instid1(VALU_DEP_1)
	v_and_b32_e32 v4, 0x7f000000, v3
	v_clz_i32_u32_e32 v5, v4
	v_add_nc_u32_e32 v14, 0x1000000, v4
	v_cmp_ne_u32_e32 vcc_lo, 0, v4
	s_delay_alu instid0(VALU_DEP_3) | instskip(NEXT) | instid1(VALU_DEP_1)
	v_min_u32_e32 v5, 32, v5
	v_sub_nc_u32_e64 v5, v5, 4 clamp
	s_delay_alu instid0(VALU_DEP_1) | instskip(NEXT) | instid1(VALU_DEP_1)
	v_dual_lshlrev_b32 v13, v5, v4 :: v_dual_lshlrev_b32 v5, 23, v5
	v_lshrrev_b32_e32 v13, 4, v13
	s_delay_alu instid0(VALU_DEP_1) | instskip(NEXT) | instid1(VALU_DEP_1)
	v_dual_sub_nc_u32 v5, v13, v5 :: v_dual_ashrrev_i32 v13, 8, v14
	v_add_nc_u32_e32 v5, 0x3c000000, v5
	s_delay_alu instid0(VALU_DEP_1) | instskip(NEXT) | instid1(VALU_DEP_1)
	v_and_or_b32 v5, 0x7f800000, v13, v5
	v_cndmask_b32_e32 v4, 0, v5, vcc_lo
	s_delay_alu instid0(VALU_DEP_1) | instskip(NEXT) | instid1(VALU_DEP_1)
	v_and_or_b32 v3, 0x80000000, v3, v4
	v_cvt_i32_f32_e32 v13, v3
.LBB54_2497:
	s_mov_b32 s8, 0
.LBB54_2498:
	s_delay_alu instid0(SALU_CYCLE_1)
	s_and_not1_b32 vcc_lo, exec_lo, s8
	s_cbranch_vccnz .LBB54_2500
; %bb.2499:
	global_load_u8 v3, v[0:1], off
	s_wait_loadcnt 0x0
	s_wait_xcnt 0x1
	v_lshlrev_b32_e32 v4, 25, v3
	v_lshlrev_b16 v3, 8, v3
	s_delay_alu instid0(VALU_DEP_1) | instskip(SKIP_1) | instid1(VALU_DEP_2)
	v_and_or_b32 v13, 0x7f00, v3, 0.5
	v_bfe_i32 v3, v3, 0, 16
	v_dual_add_f32 v13, -0.5, v13 :: v_dual_lshrrev_b32 v5, 4, v4
	v_cmp_gt_u32_e32 vcc_lo, 0x8000000, v4
	s_delay_alu instid0(VALU_DEP_2) | instskip(NEXT) | instid1(VALU_DEP_1)
	v_or_b32_e32 v5, 0x70000000, v5
	v_mul_f32_e32 v5, 0x7800000, v5
	s_delay_alu instid0(VALU_DEP_1) | instskip(NEXT) | instid1(VALU_DEP_1)
	v_cndmask_b32_e32 v4, v5, v13, vcc_lo
	v_and_or_b32 v3, 0x80000000, v3, v4
	s_delay_alu instid0(VALU_DEP_1)
	v_cvt_i32_f32_e32 v13, v3
.LBB54_2500:
	s_mov_b32 s8, 0
	s_mov_b32 s9, -1
.LBB54_2501:
	s_and_not1_b32 vcc_lo, exec_lo, s8
	s_mov_b32 s8, 0
	s_cbranch_vccnz .LBB54_2512
; %bb.2502:
	s_cmp_gt_i32 s1, 14
	s_cbranch_scc0 .LBB54_2505
; %bb.2503:
	s_cmp_eq_u32 s1, 15
	s_cbranch_scc0 .LBB54_2508
; %bb.2504:
	global_load_u16 v3, v[0:1], off
	s_mov_b32 s5, 0
	s_mov_b32 s9, -1
	s_wait_loadcnt 0x0
	v_lshlrev_b32_e32 v3, 16, v3
	s_delay_alu instid0(VALU_DEP_1)
	v_cvt_i32_f32_e32 v13, v3
	s_branch .LBB54_2510
.LBB54_2505:
	s_mov_b32 s8, -1
	s_branch .LBB54_2509
.LBB54_2506:
	s_and_not1_saveexec_b32 s8, s8
	s_cbranch_execz .LBB54_2487
.LBB54_2507:
	v_cmp_ne_u16_e32 vcc_lo, 0, v3
	s_and_not1_b32 s9, s9, exec_lo
	s_and_b32 s15, vcc_lo, exec_lo
	s_delay_alu instid0(SALU_CYCLE_1)
	s_or_b32 s9, s9, s15
	s_or_b32 exec_lo, exec_lo, s8
	v_mov_b32_e32 v13, 0
	s_and_saveexec_b32 s8, s9
	s_cbranch_execnz .LBB54_2488
	s_branch .LBB54_2489
.LBB54_2508:
	s_mov_b32 s5, -1
.LBB54_2509:
                                        ; implicit-def: $vgpr13
.LBB54_2510:
	s_and_b32 vcc_lo, exec_lo, s8
	s_mov_b32 s8, 0
	s_cbranch_vccz .LBB54_2512
; %bb.2511:
	s_cmp_lg_u32 s1, 11
	s_mov_b32 s8, -1
	s_cselect_b32 s5, -1, 0
.LBB54_2512:
	s_delay_alu instid0(SALU_CYCLE_1)
	s_and_b32 vcc_lo, exec_lo, s5
	s_cbranch_vccnz .LBB54_2577
; %bb.2513:
	s_and_not1_b32 vcc_lo, exec_lo, s8
	s_cbranch_vccnz .LBB54_2515
.LBB54_2514:
	global_load_u8 v3, v[0:1], off
	s_mov_b32 s9, -1
	s_wait_loadcnt 0x0
	v_cmp_ne_u16_e32 vcc_lo, 0, v3
	v_cndmask_b32_e64 v13, 0, 1, vcc_lo
.LBB54_2515:
	s_mov_b32 s1, 0
.LBB54_2516:
	s_delay_alu instid0(SALU_CYCLE_1)
	s_and_b32 vcc_lo, exec_lo, s1
	s_cbranch_vccz .LBB54_2565
; %bb.2517:
	s_and_b32 s1, 0xffff, s13
	s_delay_alu instid0(SALU_CYCLE_1)
	s_cmp_lt_i32 s1, 5
	s_cbranch_scc1 .LBB54_2522
; %bb.2518:
	s_cmp_lt_i32 s1, 8
	s_cbranch_scc1 .LBB54_2523
; %bb.2519:
	;; [unrolled: 3-line block ×3, first 2 shown]
	s_cmp_gt_i32 s1, 9
	s_cbranch_scc0 .LBB54_2525
; %bb.2521:
	global_load_b64 v[4:5], v[0:1], off
	s_mov_b32 s5, 0
	s_wait_loadcnt 0x0
	v_cvt_i32_f64_e32 v13, v[4:5]
	s_branch .LBB54_2526
.LBB54_2522:
	s_mov_b32 s5, -1
                                        ; implicit-def: $vgpr13
	s_branch .LBB54_2544
.LBB54_2523:
	s_mov_b32 s5, -1
                                        ; implicit-def: $vgpr13
	s_branch .LBB54_2532
.LBB54_2524:
	s_mov_b32 s5, -1
                                        ; implicit-def: $vgpr13
	s_branch .LBB54_2529
.LBB54_2525:
	s_mov_b32 s5, -1
                                        ; implicit-def: $vgpr13
.LBB54_2526:
	s_delay_alu instid0(SALU_CYCLE_1)
	s_and_not1_b32 vcc_lo, exec_lo, s5
	s_cbranch_vccnz .LBB54_2528
; %bb.2527:
	global_load_b32 v3, v[0:1], off
	s_wait_loadcnt 0x0
	v_cvt_i32_f32_e32 v13, v3
.LBB54_2528:
	s_mov_b32 s5, 0
.LBB54_2529:
	s_delay_alu instid0(SALU_CYCLE_1)
	s_and_not1_b32 vcc_lo, exec_lo, s5
	s_cbranch_vccnz .LBB54_2531
; %bb.2530:
	global_load_b32 v3, v[0:1], off
	s_wait_loadcnt 0x0
	v_cvt_f32_f16_e32 v3, v3
	s_delay_alu instid0(VALU_DEP_1)
	v_cvt_i32_f32_e32 v13, v3
.LBB54_2531:
	s_mov_b32 s5, 0
.LBB54_2532:
	s_delay_alu instid0(SALU_CYCLE_1)
	s_and_not1_b32 vcc_lo, exec_lo, s5
	s_cbranch_vccnz .LBB54_2543
; %bb.2533:
	s_cmp_lt_i32 s1, 6
	s_cbranch_scc1 .LBB54_2536
; %bb.2534:
	s_cmp_gt_i32 s1, 6
	s_cbranch_scc0 .LBB54_2537
; %bb.2535:
	global_load_b64 v[4:5], v[0:1], off
	s_mov_b32 s5, 0
	s_wait_loadcnt 0x0
	v_cvt_i32_f64_e32 v13, v[4:5]
	s_branch .LBB54_2538
.LBB54_2536:
	s_mov_b32 s5, -1
                                        ; implicit-def: $vgpr13
	s_branch .LBB54_2541
.LBB54_2537:
	s_mov_b32 s5, -1
                                        ; implicit-def: $vgpr13
.LBB54_2538:
	s_delay_alu instid0(SALU_CYCLE_1)
	s_and_not1_b32 vcc_lo, exec_lo, s5
	s_cbranch_vccnz .LBB54_2540
; %bb.2539:
	global_load_b32 v3, v[0:1], off
	s_wait_loadcnt 0x0
	v_cvt_i32_f32_e32 v13, v3
.LBB54_2540:
	s_mov_b32 s5, 0
.LBB54_2541:
	s_delay_alu instid0(SALU_CYCLE_1)
	s_and_not1_b32 vcc_lo, exec_lo, s5
	s_cbranch_vccnz .LBB54_2543
; %bb.2542:
	global_load_u16 v3, v[0:1], off
	s_wait_loadcnt 0x0
	v_cvt_f32_f16_e32 v3, v3
	s_delay_alu instid0(VALU_DEP_1)
	v_cvt_i32_f32_e32 v13, v3
.LBB54_2543:
	s_mov_b32 s5, 0
.LBB54_2544:
	s_delay_alu instid0(SALU_CYCLE_1)
	s_and_not1_b32 vcc_lo, exec_lo, s5
	s_cbranch_vccnz .LBB54_2564
; %bb.2545:
	s_cmp_lt_i32 s1, 2
	s_cbranch_scc1 .LBB54_2549
; %bb.2546:
	s_cmp_lt_i32 s1, 3
	s_cbranch_scc1 .LBB54_2550
; %bb.2547:
	s_cmp_gt_i32 s1, 3
	s_cbranch_scc0 .LBB54_2551
; %bb.2548:
	s_wait_loadcnt 0x0
	global_load_b32 v13, v[0:1], off
	s_mov_b32 s5, 0
	s_branch .LBB54_2552
.LBB54_2549:
	s_mov_b32 s5, -1
                                        ; implicit-def: $vgpr13
	s_branch .LBB54_2558
.LBB54_2550:
	s_mov_b32 s5, -1
                                        ; implicit-def: $vgpr13
	s_branch .LBB54_2555
.LBB54_2551:
	s_mov_b32 s5, -1
                                        ; implicit-def: $vgpr13
.LBB54_2552:
	s_delay_alu instid0(SALU_CYCLE_1)
	s_and_not1_b32 vcc_lo, exec_lo, s5
	s_cbranch_vccnz .LBB54_2554
; %bb.2553:
	s_wait_loadcnt 0x0
	global_load_b32 v13, v[0:1], off
.LBB54_2554:
	s_mov_b32 s5, 0
.LBB54_2555:
	s_delay_alu instid0(SALU_CYCLE_1)
	s_and_not1_b32 vcc_lo, exec_lo, s5
	s_cbranch_vccnz .LBB54_2557
; %bb.2556:
	s_wait_loadcnt 0x0
	global_load_i16 v13, v[0:1], off
.LBB54_2557:
	s_mov_b32 s5, 0
.LBB54_2558:
	s_delay_alu instid0(SALU_CYCLE_1)
	s_and_not1_b32 vcc_lo, exec_lo, s5
	s_cbranch_vccnz .LBB54_2564
; %bb.2559:
	s_cmp_gt_i32 s1, 0
	s_mov_b32 s1, 0
	s_cbranch_scc0 .LBB54_2561
; %bb.2560:
	s_wait_loadcnt 0x0
	global_load_i8 v13, v[0:1], off
	s_branch .LBB54_2562
.LBB54_2561:
	s_mov_b32 s1, -1
                                        ; implicit-def: $vgpr13
.LBB54_2562:
	s_delay_alu instid0(SALU_CYCLE_1)
	s_and_not1_b32 vcc_lo, exec_lo, s1
	s_cbranch_vccnz .LBB54_2564
; %bb.2563:
	s_wait_loadcnt 0x0
	global_load_u8 v13, v[0:1], off
.LBB54_2564:
	s_mov_b32 s9, -1
.LBB54_2565:
	s_delay_alu instid0(SALU_CYCLE_1)
	s_and_not1_b32 vcc_lo, exec_lo, s9
	s_cbranch_vccnz .LBB54_3126
; %bb.2566:
	s_wait_xcnt 0x0
	v_add_nc_u32_e32 v0, s4, v2
	s_cmp_lt_i32 s0, 11
	s_delay_alu instid0(VALU_DEP_1) | instskip(NEXT) | instid1(VALU_DEP_1)
	v_ashrrev_i32_e32 v1, 31, v0
	v_add_nc_u64_e32 v[0:1], s[10:11], v[0:1]
	s_cbranch_scc1 .LBB54_2573
; %bb.2567:
	s_cmp_gt_i32 s0, 25
	s_mov_b32 s4, 0
	s_cbranch_scc0 .LBB54_2574
; %bb.2568:
	s_cmp_gt_i32 s0, 28
	s_cbranch_scc0 .LBB54_2575
; %bb.2569:
	s_cmp_gt_i32 s0, 43
	;; [unrolled: 3-line block ×3, first 2 shown]
	s_cbranch_scc0 .LBB54_2578
; %bb.2571:
	s_cmp_eq_u32 s0, 46
	s_mov_b32 s8, 0
	s_cbranch_scc0 .LBB54_2579
; %bb.2572:
	global_load_b32 v2, v[0:1], off
	s_mov_b32 s1, 0
	s_mov_b32 s5, -1
	s_wait_loadcnt 0x0
	v_lshlrev_b32_e32 v2, 16, v2
	s_delay_alu instid0(VALU_DEP_1)
	v_cvt_i32_f32_e32 v14, v2
	s_branch .LBB54_2581
.LBB54_2573:
	s_mov_b32 s1, -1
	s_mov_b32 s5, 0
                                        ; implicit-def: $vgpr14
	s_branch .LBB54_2643
.LBB54_2574:
	s_mov_b32 s8, -1
	s_mov_b32 s5, 0
	s_mov_b32 s1, 0
                                        ; implicit-def: $vgpr14
	s_branch .LBB54_2608
.LBB54_2575:
	s_mov_b32 s8, -1
	s_mov_b32 s5, 0
	s_mov_b32 s1, 0
                                        ; implicit-def: $vgpr14
	s_branch .LBB54_2591
.LBB54_2576:
	s_mov_b32 s8, -1
	s_mov_b32 s5, 0
	s_mov_b32 s1, 0
                                        ; implicit-def: $vgpr14
	s_branch .LBB54_2586
.LBB54_2577:
	s_or_b32 s14, s14, exec_lo
	s_trap 2
	s_cbranch_execz .LBB54_2514
	s_branch .LBB54_2515
.LBB54_2578:
	s_mov_b32 s8, -1
	s_mov_b32 s5, 0
	s_mov_b32 s1, 0
	s_branch .LBB54_2580
.LBB54_2579:
	s_mov_b32 s1, -1
	s_mov_b32 s5, 0
.LBB54_2580:
                                        ; implicit-def: $vgpr14
.LBB54_2581:
	s_and_b32 vcc_lo, exec_lo, s8
	s_cbranch_vccz .LBB54_2585
; %bb.2582:
	s_cmp_eq_u32 s0, 44
	s_cbranch_scc0 .LBB54_2584
; %bb.2583:
	global_load_u8 v2, v[0:1], off
	s_mov_b32 s1, 0
	s_mov_b32 s5, -1
	s_wait_loadcnt 0x0
	v_lshlrev_b32_e32 v3, 23, v2
	v_cmp_ne_u32_e32 vcc_lo, 0, v2
	s_delay_alu instid0(VALU_DEP_2) | instskip(NEXT) | instid1(VALU_DEP_1)
	v_cvt_i32_f32_e32 v3, v3
	v_cndmask_b32_e32 v14, 0, v3, vcc_lo
	s_branch .LBB54_2585
.LBB54_2584:
	s_mov_b32 s1, -1
                                        ; implicit-def: $vgpr14
.LBB54_2585:
	s_mov_b32 s8, 0
.LBB54_2586:
	s_delay_alu instid0(SALU_CYCLE_1)
	s_and_b32 vcc_lo, exec_lo, s8
	s_cbranch_vccz .LBB54_2590
; %bb.2587:
	s_cmp_eq_u32 s0, 29
	s_cbranch_scc0 .LBB54_2589
; %bb.2588:
	global_load_b32 v14, v[0:1], off
	s_mov_b32 s1, 0
	s_mov_b32 s5, -1
	s_branch .LBB54_2590
.LBB54_2589:
	s_mov_b32 s1, -1
                                        ; implicit-def: $vgpr14
.LBB54_2590:
	s_mov_b32 s8, 0
.LBB54_2591:
	s_delay_alu instid0(SALU_CYCLE_1)
	s_and_b32 vcc_lo, exec_lo, s8
	s_cbranch_vccz .LBB54_2607
; %bb.2592:
	s_cmp_lt_i32 s0, 27
	s_cbranch_scc1 .LBB54_2595
; %bb.2593:
	s_cmp_gt_i32 s0, 27
	s_cbranch_scc0 .LBB54_2596
; %bb.2594:
	s_wait_loadcnt 0x0
	global_load_b32 v14, v[0:1], off
	s_mov_b32 s5, 0
	s_branch .LBB54_2597
.LBB54_2595:
	s_mov_b32 s5, -1
                                        ; implicit-def: $vgpr14
	s_branch .LBB54_2600
.LBB54_2596:
	s_mov_b32 s5, -1
                                        ; implicit-def: $vgpr14
.LBB54_2597:
	s_delay_alu instid0(SALU_CYCLE_1)
	s_and_not1_b32 vcc_lo, exec_lo, s5
	s_cbranch_vccnz .LBB54_2599
; %bb.2598:
	s_wait_loadcnt 0x0
	global_load_u16 v14, v[0:1], off
.LBB54_2599:
	s_mov_b32 s5, 0
.LBB54_2600:
	s_delay_alu instid0(SALU_CYCLE_1)
	s_and_not1_b32 vcc_lo, exec_lo, s5
	s_cbranch_vccnz .LBB54_2606
; %bb.2601:
	global_load_u8 v2, v[0:1], off
	s_mov_b32 s8, 0
	s_mov_b32 s5, exec_lo
	s_wait_loadcnt 0x0
	v_cmpx_lt_i16_e32 0x7f, v2
	s_xor_b32 s5, exec_lo, s5
	s_cbranch_execz .LBB54_2618
; %bb.2602:
	v_cmp_ne_u16_e32 vcc_lo, 0x80, v2
	s_and_b32 s8, vcc_lo, exec_lo
	s_and_not1_saveexec_b32 s5, s5
	s_cbranch_execnz .LBB54_2619
.LBB54_2603:
	s_or_b32 exec_lo, exec_lo, s5
	v_mov_b32_e32 v14, 0
	s_and_saveexec_b32 s5, s8
	s_cbranch_execz .LBB54_2605
.LBB54_2604:
	v_and_b32_e32 v3, 0xffff, v2
	s_delay_alu instid0(VALU_DEP_1) | instskip(SKIP_1) | instid1(VALU_DEP_2)
	v_and_b32_e32 v4, 7, v3
	v_bfe_u32 v15, v3, 3, 4
	v_clz_i32_u32_e32 v5, v4
	s_delay_alu instid0(VALU_DEP_2) | instskip(NEXT) | instid1(VALU_DEP_2)
	v_cmp_eq_u32_e32 vcc_lo, 0, v15
	v_min_u32_e32 v5, 32, v5
	s_delay_alu instid0(VALU_DEP_1) | instskip(NEXT) | instid1(VALU_DEP_1)
	v_subrev_nc_u32_e32 v14, 28, v5
	v_dual_lshlrev_b32 v3, v14, v3 :: v_dual_sub_nc_u32 v5, 29, v5
	s_delay_alu instid0(VALU_DEP_1) | instskip(NEXT) | instid1(VALU_DEP_1)
	v_dual_lshlrev_b32 v2, 24, v2 :: v_dual_bitop2_b32 v3, 7, v3 bitop3:0x40
	v_dual_cndmask_b32 v5, v15, v5, vcc_lo :: v_dual_cndmask_b32 v3, v4, v3, vcc_lo
	s_delay_alu instid0(VALU_DEP_2) | instskip(NEXT) | instid1(VALU_DEP_2)
	v_and_b32_e32 v2, 0x80000000, v2
	v_lshl_add_u32 v4, v5, 23, 0x3b800000
	s_delay_alu instid0(VALU_DEP_3) | instskip(NEXT) | instid1(VALU_DEP_1)
	v_lshlrev_b32_e32 v3, 20, v3
	v_or3_b32 v2, v2, v4, v3
	s_delay_alu instid0(VALU_DEP_1)
	v_cvt_i32_f32_e32 v14, v2
.LBB54_2605:
	s_or_b32 exec_lo, exec_lo, s5
.LBB54_2606:
	s_mov_b32 s5, -1
.LBB54_2607:
	s_mov_b32 s8, 0
.LBB54_2608:
	s_delay_alu instid0(SALU_CYCLE_1)
	s_and_b32 vcc_lo, exec_lo, s8
	s_cbranch_vccz .LBB54_2639
; %bb.2609:
	s_cmp_gt_i32 s0, 22
	s_cbranch_scc0 .LBB54_2617
; %bb.2610:
	s_cmp_lt_i32 s0, 24
	s_cbranch_scc1 .LBB54_2620
; %bb.2611:
	s_cmp_gt_i32 s0, 24
	s_cbranch_scc0 .LBB54_2621
; %bb.2612:
	global_load_u8 v2, v[0:1], off
	s_mov_b32 s5, 0
	s_mov_b32 s4, exec_lo
	s_wait_loadcnt 0x0
	v_cmpx_lt_i16_e32 0x7f, v2
	s_xor_b32 s4, exec_lo, s4
	s_cbranch_execz .LBB54_2633
; %bb.2613:
	v_cmp_ne_u16_e32 vcc_lo, 0x80, v2
	s_and_b32 s5, vcc_lo, exec_lo
	s_and_not1_saveexec_b32 s4, s4
	s_cbranch_execnz .LBB54_2634
.LBB54_2614:
	s_or_b32 exec_lo, exec_lo, s4
	v_mov_b32_e32 v14, 0
	s_and_saveexec_b32 s4, s5
	s_cbranch_execz .LBB54_2616
.LBB54_2615:
	v_and_b32_e32 v3, 0xffff, v2
	s_delay_alu instid0(VALU_DEP_1) | instskip(SKIP_1) | instid1(VALU_DEP_2)
	v_and_b32_e32 v4, 3, v3
	v_bfe_u32 v15, v3, 2, 5
	v_clz_i32_u32_e32 v5, v4
	s_delay_alu instid0(VALU_DEP_2) | instskip(NEXT) | instid1(VALU_DEP_2)
	v_cmp_eq_u32_e32 vcc_lo, 0, v15
	v_min_u32_e32 v5, 32, v5
	s_delay_alu instid0(VALU_DEP_1) | instskip(NEXT) | instid1(VALU_DEP_1)
	v_subrev_nc_u32_e32 v14, 29, v5
	v_dual_lshlrev_b32 v3, v14, v3 :: v_dual_sub_nc_u32 v5, 30, v5
	s_delay_alu instid0(VALU_DEP_1) | instskip(NEXT) | instid1(VALU_DEP_1)
	v_dual_lshlrev_b32 v2, 24, v2 :: v_dual_bitop2_b32 v3, 3, v3 bitop3:0x40
	v_dual_cndmask_b32 v5, v15, v5, vcc_lo :: v_dual_cndmask_b32 v3, v4, v3, vcc_lo
	s_delay_alu instid0(VALU_DEP_2) | instskip(NEXT) | instid1(VALU_DEP_2)
	v_and_b32_e32 v2, 0x80000000, v2
	v_lshl_add_u32 v4, v5, 23, 0x37800000
	s_delay_alu instid0(VALU_DEP_3) | instskip(NEXT) | instid1(VALU_DEP_1)
	v_lshlrev_b32_e32 v3, 21, v3
	v_or3_b32 v2, v2, v4, v3
	s_delay_alu instid0(VALU_DEP_1)
	v_cvt_i32_f32_e32 v14, v2
.LBB54_2616:
	s_or_b32 exec_lo, exec_lo, s4
	s_mov_b32 s4, 0
	s_branch .LBB54_2622
.LBB54_2617:
	s_mov_b32 s4, -1
                                        ; implicit-def: $vgpr14
	s_branch .LBB54_2628
.LBB54_2618:
	s_and_not1_saveexec_b32 s5, s5
	s_cbranch_execz .LBB54_2603
.LBB54_2619:
	v_cmp_ne_u16_e32 vcc_lo, 0, v2
	s_and_not1_b32 s8, s8, exec_lo
	s_and_b32 s9, vcc_lo, exec_lo
	s_delay_alu instid0(SALU_CYCLE_1)
	s_or_b32 s8, s8, s9
	s_or_b32 exec_lo, exec_lo, s5
	v_mov_b32_e32 v14, 0
	s_and_saveexec_b32 s5, s8
	s_cbranch_execnz .LBB54_2604
	s_branch .LBB54_2605
.LBB54_2620:
	s_mov_b32 s4, -1
                                        ; implicit-def: $vgpr14
	s_branch .LBB54_2625
.LBB54_2621:
	s_mov_b32 s4, -1
                                        ; implicit-def: $vgpr14
.LBB54_2622:
	s_delay_alu instid0(SALU_CYCLE_1)
	s_and_b32 vcc_lo, exec_lo, s4
	s_cbranch_vccz .LBB54_2624
; %bb.2623:
	global_load_u8 v2, v[0:1], off
	s_wait_loadcnt 0x0
	v_lshlrev_b32_e32 v2, 24, v2
	s_delay_alu instid0(VALU_DEP_1) | instskip(NEXT) | instid1(VALU_DEP_1)
	v_and_b32_e32 v3, 0x7f000000, v2
	v_clz_i32_u32_e32 v4, v3
	v_cmp_ne_u32_e32 vcc_lo, 0, v3
	v_add_nc_u32_e32 v14, 0x1000000, v3
	s_delay_alu instid0(VALU_DEP_3) | instskip(NEXT) | instid1(VALU_DEP_1)
	v_min_u32_e32 v4, 32, v4
	v_sub_nc_u32_e64 v4, v4, 4 clamp
	s_delay_alu instid0(VALU_DEP_1) | instskip(NEXT) | instid1(VALU_DEP_1)
	v_dual_lshlrev_b32 v5, v4, v3 :: v_dual_lshlrev_b32 v4, 23, v4
	v_lshrrev_b32_e32 v5, 4, v5
	s_delay_alu instid0(VALU_DEP_1) | instskip(NEXT) | instid1(VALU_DEP_1)
	v_dual_sub_nc_u32 v4, v5, v4 :: v_dual_ashrrev_i32 v5, 8, v14
	v_add_nc_u32_e32 v4, 0x3c000000, v4
	s_delay_alu instid0(VALU_DEP_1) | instskip(NEXT) | instid1(VALU_DEP_1)
	v_and_or_b32 v4, 0x7f800000, v5, v4
	v_cndmask_b32_e32 v3, 0, v4, vcc_lo
	s_delay_alu instid0(VALU_DEP_1) | instskip(NEXT) | instid1(VALU_DEP_1)
	v_and_or_b32 v2, 0x80000000, v2, v3
	v_cvt_i32_f32_e32 v14, v2
.LBB54_2624:
	s_mov_b32 s4, 0
.LBB54_2625:
	s_delay_alu instid0(SALU_CYCLE_1)
	s_and_not1_b32 vcc_lo, exec_lo, s4
	s_cbranch_vccnz .LBB54_2627
; %bb.2626:
	global_load_u8 v2, v[0:1], off
	s_wait_loadcnt 0x0
	v_lshlrev_b32_e32 v3, 25, v2
	v_lshlrev_b16 v2, 8, v2
	s_delay_alu instid0(VALU_DEP_1) | instskip(SKIP_1) | instid1(VALU_DEP_2)
	v_and_or_b32 v5, 0x7f00, v2, 0.5
	v_bfe_i32 v2, v2, 0, 16
	v_dual_add_f32 v5, -0.5, v5 :: v_dual_lshrrev_b32 v4, 4, v3
	v_cmp_gt_u32_e32 vcc_lo, 0x8000000, v3
	s_delay_alu instid0(VALU_DEP_2) | instskip(NEXT) | instid1(VALU_DEP_1)
	v_or_b32_e32 v4, 0x70000000, v4
	v_mul_f32_e32 v4, 0x7800000, v4
	s_delay_alu instid0(VALU_DEP_1) | instskip(NEXT) | instid1(VALU_DEP_1)
	v_cndmask_b32_e32 v3, v4, v5, vcc_lo
	v_and_or_b32 v2, 0x80000000, v2, v3
	s_delay_alu instid0(VALU_DEP_1)
	v_cvt_i32_f32_e32 v14, v2
.LBB54_2627:
	s_mov_b32 s4, 0
	s_mov_b32 s5, -1
.LBB54_2628:
	s_and_not1_b32 vcc_lo, exec_lo, s4
	s_mov_b32 s4, 0
	s_cbranch_vccnz .LBB54_2639
; %bb.2629:
	s_cmp_gt_i32 s0, 14
	s_cbranch_scc0 .LBB54_2632
; %bb.2630:
	s_cmp_eq_u32 s0, 15
	s_cbranch_scc0 .LBB54_2635
; %bb.2631:
	global_load_u16 v2, v[0:1], off
	s_mov_b32 s1, 0
	s_mov_b32 s5, -1
	s_wait_loadcnt 0x0
	v_lshlrev_b32_e32 v2, 16, v2
	s_delay_alu instid0(VALU_DEP_1)
	v_cvt_i32_f32_e32 v14, v2
	s_branch .LBB54_2637
.LBB54_2632:
	s_mov_b32 s4, -1
	s_branch .LBB54_2636
.LBB54_2633:
	s_and_not1_saveexec_b32 s4, s4
	s_cbranch_execz .LBB54_2614
.LBB54_2634:
	v_cmp_ne_u16_e32 vcc_lo, 0, v2
	s_and_not1_b32 s5, s5, exec_lo
	s_and_b32 s8, vcc_lo, exec_lo
	s_delay_alu instid0(SALU_CYCLE_1)
	s_or_b32 s5, s5, s8
	s_or_b32 exec_lo, exec_lo, s4
	v_mov_b32_e32 v14, 0
	s_and_saveexec_b32 s4, s5
	s_cbranch_execnz .LBB54_2615
	s_branch .LBB54_2616
.LBB54_2635:
	s_mov_b32 s1, -1
.LBB54_2636:
                                        ; implicit-def: $vgpr14
.LBB54_2637:
	s_and_b32 vcc_lo, exec_lo, s4
	s_mov_b32 s4, 0
	s_cbranch_vccz .LBB54_2639
; %bb.2638:
	s_cmp_lg_u32 s0, 11
	s_mov_b32 s4, -1
	s_cselect_b32 s1, -1, 0
.LBB54_2639:
	s_delay_alu instid0(SALU_CYCLE_1)
	s_and_b32 vcc_lo, exec_lo, s1
	s_cbranch_vccnz .LBB54_3172
; %bb.2640:
	s_and_not1_b32 vcc_lo, exec_lo, s4
	s_cbranch_vccnz .LBB54_2642
.LBB54_2641:
	global_load_u8 v2, v[0:1], off
	s_mov_b32 s5, -1
	s_wait_loadcnt 0x0
	v_cmp_ne_u16_e32 vcc_lo, 0, v2
	v_cndmask_b32_e64 v14, 0, 1, vcc_lo
.LBB54_2642:
	s_mov_b32 s1, 0
.LBB54_2643:
	s_delay_alu instid0(SALU_CYCLE_1)
	s_and_b32 vcc_lo, exec_lo, s1
	s_cbranch_vccz .LBB54_2692
; %bb.2644:
	s_cmp_lt_i32 s0, 5
	s_cbranch_scc1 .LBB54_2649
; %bb.2645:
	s_cmp_lt_i32 s0, 8
	s_cbranch_scc1 .LBB54_2650
	;; [unrolled: 3-line block ×3, first 2 shown]
; %bb.2647:
	s_cmp_gt_i32 s0, 9
	s_cbranch_scc0 .LBB54_2652
; %bb.2648:
	global_load_b64 v[2:3], v[0:1], off
	s_mov_b32 s1, 0
	s_wait_loadcnt 0x0
	v_cvt_i32_f64_e32 v14, v[2:3]
	s_branch .LBB54_2653
.LBB54_2649:
	s_mov_b32 s1, -1
                                        ; implicit-def: $vgpr14
	s_branch .LBB54_2671
.LBB54_2650:
	s_mov_b32 s1, -1
                                        ; implicit-def: $vgpr14
	s_branch .LBB54_2659
.LBB54_2651:
	s_mov_b32 s1, -1
                                        ; implicit-def: $vgpr14
	s_branch .LBB54_2656
.LBB54_2652:
	s_mov_b32 s1, -1
                                        ; implicit-def: $vgpr14
.LBB54_2653:
	s_delay_alu instid0(SALU_CYCLE_1)
	s_and_not1_b32 vcc_lo, exec_lo, s1
	s_cbranch_vccnz .LBB54_2655
; %bb.2654:
	global_load_b32 v2, v[0:1], off
	s_wait_loadcnt 0x0
	v_cvt_i32_f32_e32 v14, v2
.LBB54_2655:
	s_mov_b32 s1, 0
.LBB54_2656:
	s_delay_alu instid0(SALU_CYCLE_1)
	s_and_not1_b32 vcc_lo, exec_lo, s1
	s_cbranch_vccnz .LBB54_2658
; %bb.2657:
	global_load_b32 v2, v[0:1], off
	s_wait_loadcnt 0x0
	v_cvt_f32_f16_e32 v2, v2
	s_delay_alu instid0(VALU_DEP_1)
	v_cvt_i32_f32_e32 v14, v2
.LBB54_2658:
	s_mov_b32 s1, 0
.LBB54_2659:
	s_delay_alu instid0(SALU_CYCLE_1)
	s_and_not1_b32 vcc_lo, exec_lo, s1
	s_cbranch_vccnz .LBB54_2670
; %bb.2660:
	s_cmp_lt_i32 s0, 6
	s_cbranch_scc1 .LBB54_2663
; %bb.2661:
	s_cmp_gt_i32 s0, 6
	s_cbranch_scc0 .LBB54_2664
; %bb.2662:
	global_load_b64 v[2:3], v[0:1], off
	s_mov_b32 s1, 0
	s_wait_loadcnt 0x0
	v_cvt_i32_f64_e32 v14, v[2:3]
	s_branch .LBB54_2665
.LBB54_2663:
	s_mov_b32 s1, -1
                                        ; implicit-def: $vgpr14
	s_branch .LBB54_2668
.LBB54_2664:
	s_mov_b32 s1, -1
                                        ; implicit-def: $vgpr14
.LBB54_2665:
	s_delay_alu instid0(SALU_CYCLE_1)
	s_and_not1_b32 vcc_lo, exec_lo, s1
	s_cbranch_vccnz .LBB54_2667
; %bb.2666:
	global_load_b32 v2, v[0:1], off
	s_wait_loadcnt 0x0
	v_cvt_i32_f32_e32 v14, v2
.LBB54_2667:
	s_mov_b32 s1, 0
.LBB54_2668:
	s_delay_alu instid0(SALU_CYCLE_1)
	s_and_not1_b32 vcc_lo, exec_lo, s1
	s_cbranch_vccnz .LBB54_2670
; %bb.2669:
	global_load_u16 v2, v[0:1], off
	s_wait_loadcnt 0x0
	v_cvt_f32_f16_e32 v2, v2
	s_delay_alu instid0(VALU_DEP_1)
	v_cvt_i32_f32_e32 v14, v2
.LBB54_2670:
	s_mov_b32 s1, 0
.LBB54_2671:
	s_delay_alu instid0(SALU_CYCLE_1)
	s_and_not1_b32 vcc_lo, exec_lo, s1
	s_cbranch_vccnz .LBB54_2691
; %bb.2672:
	s_cmp_lt_i32 s0, 2
	s_cbranch_scc1 .LBB54_2676
; %bb.2673:
	s_cmp_lt_i32 s0, 3
	s_cbranch_scc1 .LBB54_2677
; %bb.2674:
	s_cmp_gt_i32 s0, 3
	s_cbranch_scc0 .LBB54_2678
; %bb.2675:
	s_wait_loadcnt 0x0
	global_load_b32 v14, v[0:1], off
	s_mov_b32 s1, 0
	s_branch .LBB54_2679
.LBB54_2676:
	s_mov_b32 s1, -1
                                        ; implicit-def: $vgpr14
	s_branch .LBB54_2685
.LBB54_2677:
	s_mov_b32 s1, -1
                                        ; implicit-def: $vgpr14
	s_branch .LBB54_2682
.LBB54_2678:
	s_mov_b32 s1, -1
                                        ; implicit-def: $vgpr14
.LBB54_2679:
	s_delay_alu instid0(SALU_CYCLE_1)
	s_and_not1_b32 vcc_lo, exec_lo, s1
	s_cbranch_vccnz .LBB54_2681
; %bb.2680:
	s_wait_loadcnt 0x0
	global_load_b32 v14, v[0:1], off
.LBB54_2681:
	s_mov_b32 s1, 0
.LBB54_2682:
	s_delay_alu instid0(SALU_CYCLE_1)
	s_and_not1_b32 vcc_lo, exec_lo, s1
	s_cbranch_vccnz .LBB54_2684
; %bb.2683:
	s_wait_loadcnt 0x0
	global_load_i16 v14, v[0:1], off
.LBB54_2684:
	s_mov_b32 s1, 0
.LBB54_2685:
	s_delay_alu instid0(SALU_CYCLE_1)
	s_and_not1_b32 vcc_lo, exec_lo, s1
	s_cbranch_vccnz .LBB54_2691
; %bb.2686:
	s_cmp_gt_i32 s0, 0
	s_mov_b32 s0, 0
	s_cbranch_scc0 .LBB54_2688
; %bb.2687:
	s_wait_loadcnt 0x0
	global_load_i8 v14, v[0:1], off
	s_branch .LBB54_2689
.LBB54_2688:
	s_mov_b32 s0, -1
                                        ; implicit-def: $vgpr14
.LBB54_2689:
	s_delay_alu instid0(SALU_CYCLE_1)
	s_and_not1_b32 vcc_lo, exec_lo, s0
	s_cbranch_vccnz .LBB54_2691
; %bb.2690:
	s_wait_loadcnt 0x0
	global_load_u8 v14, v[0:1], off
.LBB54_2691:
	s_mov_b32 s5, -1
.LBB54_2692:
	s_delay_alu instid0(SALU_CYCLE_1)
	s_and_not1_b32 vcc_lo, exec_lo, s5
	s_cbranch_vccnz .LBB54_3126
; %bb.2693:
	s_wait_xcnt 0x0
	v_mul_lo_u32 v0, s12, v6
	s_wait_loadcnt 0x0
	v_mul_lo_u32 v2, v7, s6
	s_and_b32 s18, s7, 0xff
	s_delay_alu instid0(SALU_CYCLE_1) | instskip(NEXT) | instid1(VALU_DEP_2)
	s_cmp_lt_i32 s18, 11
	v_ashrrev_i32_e32 v1, 31, v0
	s_delay_alu instid0(VALU_DEP_2) | instskip(NEXT) | instid1(VALU_DEP_2)
	v_mul_lo_u32 v2, v2, v8
	v_add_nc_u64_e32 v[4:5], s[2:3], v[0:1]
	s_cbranch_scc1 .LBB54_2771
; %bb.2694:
	s_and_b32 s1, 0xffff, s18
	s_mov_b32 s7, -1
	s_mov_b32 s4, 0
	s_cmp_gt_i32 s1, 25
	s_mov_b32 s5, 0
	s_mov_b32 s0, 0
	s_cbranch_scc0 .LBB54_2727
; %bb.2695:
	s_cmp_gt_i32 s1, 28
	s_cbranch_scc0 .LBB54_2710
; %bb.2696:
	s_cmp_gt_i32 s1, 43
	;; [unrolled: 3-line block ×3, first 2 shown]
	s_cbranch_scc0 .LBB54_2700
; %bb.2698:
	s_mov_b32 s0, -1
	s_mov_b32 s7, 0
	s_cmp_eq_u32 s1, 46
	s_cbranch_scc0 .LBB54_2700
; %bb.2699:
	v_cvt_f32_i32_e32 v1, v2
	s_mov_b32 s0, 0
	s_mov_b32 s5, -1
	s_delay_alu instid0(VALU_DEP_1) | instskip(NEXT) | instid1(VALU_DEP_1)
	v_bfe_u32 v3, v1, 16, 1
	v_add3_u32 v1, v1, v3, 0x7fff
	s_delay_alu instid0(VALU_DEP_1)
	v_lshrrev_b32_e32 v1, 16, v1
	global_store_b32 v[4:5], v1, off
.LBB54_2700:
	s_and_b32 vcc_lo, exec_lo, s7
	s_cbranch_vccz .LBB54_2705
; %bb.2701:
	s_cmp_eq_u32 s1, 44
	s_mov_b32 s0, -1
	s_cbranch_scc0 .LBB54_2705
; %bb.2702:
	s_wait_xcnt 0x0
	v_cvt_f32_i32_e32 v1, v2
	v_mov_b32_e32 v3, 0xff
	s_mov_b32 s5, exec_lo
	s_delay_alu instid0(VALU_DEP_2) | instskip(NEXT) | instid1(VALU_DEP_1)
	v_bfe_u32 v6, v1, 23, 8
	v_cmpx_ne_u32_e32 0xff, v6
	s_cbranch_execz .LBB54_2704
; %bb.2703:
	v_and_b32_e32 v3, 0x400000, v1
	v_and_or_b32 v6, 0x3fffff, v1, v6
	v_lshrrev_b32_e32 v1, 23, v1
	s_delay_alu instid0(VALU_DEP_3) | instskip(NEXT) | instid1(VALU_DEP_3)
	v_cmp_ne_u32_e32 vcc_lo, 0, v3
	v_cmp_ne_u32_e64 s0, 0, v6
	s_and_b32 s0, vcc_lo, s0
	s_delay_alu instid0(SALU_CYCLE_1) | instskip(NEXT) | instid1(VALU_DEP_1)
	v_cndmask_b32_e64 v3, 0, 1, s0
	v_add_nc_u32_e32 v3, v1, v3
.LBB54_2704:
	s_or_b32 exec_lo, exec_lo, s5
	s_mov_b32 s0, 0
	s_mov_b32 s5, -1
	global_store_b8 v[4:5], v3, off
.LBB54_2705:
	s_mov_b32 s7, 0
.LBB54_2706:
	s_delay_alu instid0(SALU_CYCLE_1)
	s_and_b32 vcc_lo, exec_lo, s7
	s_cbranch_vccz .LBB54_2709
; %bb.2707:
	s_cmp_eq_u32 s1, 29
	s_mov_b32 s0, -1
	s_cbranch_scc0 .LBB54_2709
; %bb.2708:
	s_wait_xcnt 0x0
	v_ashrrev_i32_e32 v3, 31, v2
	s_mov_b32 s0, 0
	s_mov_b32 s5, -1
	global_store_b64 v[4:5], v[2:3], off
.LBB54_2709:
	s_mov_b32 s7, 0
.LBB54_2710:
	s_delay_alu instid0(SALU_CYCLE_1)
	s_and_b32 vcc_lo, exec_lo, s7
	s_cbranch_vccz .LBB54_2726
; %bb.2711:
	s_cmp_lt_i32 s1, 27
	s_mov_b32 s5, -1
	s_cbranch_scc1 .LBB54_2717
; %bb.2712:
	s_cmp_gt_i32 s1, 27
	s_cbranch_scc0 .LBB54_2714
; %bb.2713:
	s_mov_b32 s5, 0
	global_store_b32 v[4:5], v2, off
.LBB54_2714:
	s_and_not1_b32 vcc_lo, exec_lo, s5
	s_cbranch_vccnz .LBB54_2716
; %bb.2715:
	global_store_b16 v[4:5], v2, off
.LBB54_2716:
	s_mov_b32 s5, 0
.LBB54_2717:
	s_delay_alu instid0(SALU_CYCLE_1)
	s_and_not1_b32 vcc_lo, exec_lo, s5
	s_cbranch_vccnz .LBB54_2725
; %bb.2718:
	s_wait_xcnt 0x0
	v_cvt_f32_i32_e32 v1, v2
	v_mov_b32_e32 v6, 0x80
	s_mov_b32 s5, exec_lo
	s_delay_alu instid0(VALU_DEP_2) | instskip(NEXT) | instid1(VALU_DEP_1)
	v_and_b32_e32 v3, 0x7fffffff, v1
	v_cmpx_gt_u32_e32 0x43800000, v3
	s_cbranch_execz .LBB54_2724
; %bb.2719:
	v_cmp_lt_u32_e32 vcc_lo, 0x3bffffff, v3
	s_mov_b32 s7, 0
                                        ; implicit-def: $vgpr3
	s_and_saveexec_b32 s8, vcc_lo
	s_delay_alu instid0(SALU_CYCLE_1)
	s_xor_b32 s8, exec_lo, s8
	s_cbranch_execz .LBB54_3173
; %bb.2720:
	v_bfe_u32 v3, v1, 20, 1
	s_mov_b32 s7, exec_lo
	s_delay_alu instid0(VALU_DEP_1) | instskip(NEXT) | instid1(VALU_DEP_1)
	v_add3_u32 v3, v1, v3, 0x487ffff
	v_lshrrev_b32_e32 v3, 20, v3
	s_and_not1_saveexec_b32 s8, s8
	s_cbranch_execnz .LBB54_3174
.LBB54_2721:
	s_or_b32 exec_lo, exec_lo, s8
	v_mov_b32_e32 v6, 0
	s_and_saveexec_b32 s8, s7
.LBB54_2722:
	v_lshrrev_b32_e32 v1, 24, v1
	s_delay_alu instid0(VALU_DEP_1)
	v_and_or_b32 v6, 0x80, v1, v3
.LBB54_2723:
	s_or_b32 exec_lo, exec_lo, s8
.LBB54_2724:
	s_delay_alu instid0(SALU_CYCLE_1)
	s_or_b32 exec_lo, exec_lo, s5
	global_store_b8 v[4:5], v6, off
.LBB54_2725:
	s_mov_b32 s5, -1
.LBB54_2726:
	s_mov_b32 s7, 0
.LBB54_2727:
	s_delay_alu instid0(SALU_CYCLE_1)
	s_and_b32 vcc_lo, exec_lo, s7
	s_cbranch_vccz .LBB54_2767
; %bb.2728:
	s_cmp_gt_i32 s1, 22
	s_mov_b32 s4, -1
	s_cbranch_scc0 .LBB54_2760
; %bb.2729:
	s_cmp_lt_i32 s1, 24
	s_cbranch_scc1 .LBB54_2749
; %bb.2730:
	s_cmp_gt_i32 s1, 24
	s_cbranch_scc0 .LBB54_2738
; %bb.2731:
	s_wait_xcnt 0x0
	v_cvt_f32_i32_e32 v1, v2
	v_mov_b32_e32 v6, 0x80
	s_mov_b32 s4, exec_lo
	s_delay_alu instid0(VALU_DEP_2) | instskip(NEXT) | instid1(VALU_DEP_1)
	v_and_b32_e32 v3, 0x7fffffff, v1
	v_cmpx_gt_u32_e32 0x47800000, v3
	s_cbranch_execz .LBB54_2737
; %bb.2732:
	v_cmp_lt_u32_e32 vcc_lo, 0x37ffffff, v3
	s_mov_b32 s5, 0
                                        ; implicit-def: $vgpr3
	s_and_saveexec_b32 s7, vcc_lo
	s_delay_alu instid0(SALU_CYCLE_1)
	s_xor_b32 s7, exec_lo, s7
	s_cbranch_execz .LBB54_3176
; %bb.2733:
	v_bfe_u32 v3, v1, 21, 1
	s_mov_b32 s5, exec_lo
	s_delay_alu instid0(VALU_DEP_1) | instskip(NEXT) | instid1(VALU_DEP_1)
	v_add3_u32 v3, v1, v3, 0x88fffff
	v_lshrrev_b32_e32 v3, 21, v3
	s_and_not1_saveexec_b32 s7, s7
	s_cbranch_execnz .LBB54_3177
.LBB54_2734:
	s_or_b32 exec_lo, exec_lo, s7
	v_mov_b32_e32 v6, 0
	s_and_saveexec_b32 s7, s5
.LBB54_2735:
	v_lshrrev_b32_e32 v1, 24, v1
	s_delay_alu instid0(VALU_DEP_1)
	v_and_or_b32 v6, 0x80, v1, v3
.LBB54_2736:
	s_or_b32 exec_lo, exec_lo, s7
.LBB54_2737:
	s_delay_alu instid0(SALU_CYCLE_1)
	s_or_b32 exec_lo, exec_lo, s4
	s_mov_b32 s4, 0
	global_store_b8 v[4:5], v6, off
.LBB54_2738:
	s_and_b32 vcc_lo, exec_lo, s4
	s_cbranch_vccz .LBB54_2748
; %bb.2739:
	s_wait_xcnt 0x0
	v_cvt_f32_i32_e32 v1, v2
	s_mov_b32 s4, exec_lo
                                        ; implicit-def: $vgpr3
	s_delay_alu instid0(VALU_DEP_1) | instskip(NEXT) | instid1(VALU_DEP_1)
	v_and_b32_e32 v6, 0x7fffffff, v1
	v_cmpx_gt_u32_e32 0x43f00000, v6
	s_xor_b32 s4, exec_lo, s4
	s_cbranch_execz .LBB54_2745
; %bb.2740:
	s_mov_b32 s5, exec_lo
                                        ; implicit-def: $vgpr3
	v_cmpx_lt_u32_e32 0x3c7fffff, v6
	s_xor_b32 s5, exec_lo, s5
; %bb.2741:
	v_bfe_u32 v3, v1, 20, 1
	s_delay_alu instid0(VALU_DEP_1) | instskip(NEXT) | instid1(VALU_DEP_1)
	v_add3_u32 v3, v1, v3, 0x407ffff
	v_and_b32_e32 v6, 0xff00000, v3
	v_lshrrev_b32_e32 v3, 20, v3
	s_delay_alu instid0(VALU_DEP_2) | instskip(NEXT) | instid1(VALU_DEP_2)
	v_cmp_ne_u32_e32 vcc_lo, 0x7f00000, v6
	v_cndmask_b32_e32 v3, 0x7e, v3, vcc_lo
; %bb.2742:
	s_and_not1_saveexec_b32 s5, s5
; %bb.2743:
	v_add_f32_e64 v3, 0x46800000, |v1|
; %bb.2744:
	s_or_b32 exec_lo, exec_lo, s5
                                        ; implicit-def: $vgpr6
.LBB54_2745:
	s_and_not1_saveexec_b32 s4, s4
; %bb.2746:
	v_mov_b32_e32 v3, 0x7f
	v_cmp_lt_u32_e32 vcc_lo, 0x7f800000, v6
	s_delay_alu instid0(VALU_DEP_2)
	v_cndmask_b32_e32 v3, 0x7e, v3, vcc_lo
; %bb.2747:
	s_or_b32 exec_lo, exec_lo, s4
	v_lshrrev_b32_e32 v1, 24, v1
	s_delay_alu instid0(VALU_DEP_1)
	v_and_or_b32 v1, 0x80, v1, v3
	global_store_b8 v[4:5], v1, off
.LBB54_2748:
	s_mov_b32 s4, 0
.LBB54_2749:
	s_delay_alu instid0(SALU_CYCLE_1)
	s_and_not1_b32 vcc_lo, exec_lo, s4
	s_cbranch_vccnz .LBB54_2759
; %bb.2750:
	s_wait_xcnt 0x0
	v_cvt_f32_i32_e32 v1, v2
	s_mov_b32 s4, exec_lo
                                        ; implicit-def: $vgpr3
	s_delay_alu instid0(VALU_DEP_1) | instskip(NEXT) | instid1(VALU_DEP_1)
	v_and_b32_e32 v6, 0x7fffffff, v1
	v_cmpx_gt_u32_e32 0x47800000, v6
	s_xor_b32 s4, exec_lo, s4
	s_cbranch_execz .LBB54_2756
; %bb.2751:
	s_mov_b32 s5, exec_lo
                                        ; implicit-def: $vgpr3
	v_cmpx_lt_u32_e32 0x387fffff, v6
	s_xor_b32 s5, exec_lo, s5
; %bb.2752:
	v_bfe_u32 v3, v1, 21, 1
	s_delay_alu instid0(VALU_DEP_1) | instskip(NEXT) | instid1(VALU_DEP_1)
	v_add3_u32 v3, v1, v3, 0x80fffff
	v_lshrrev_b32_e32 v3, 21, v3
; %bb.2753:
	s_and_not1_saveexec_b32 s5, s5
; %bb.2754:
	v_add_f32_e64 v3, 0x43000000, |v1|
; %bb.2755:
	s_or_b32 exec_lo, exec_lo, s5
                                        ; implicit-def: $vgpr6
.LBB54_2756:
	s_and_not1_saveexec_b32 s4, s4
; %bb.2757:
	v_mov_b32_e32 v3, 0x7f
	v_cmp_lt_u32_e32 vcc_lo, 0x7f800000, v6
	s_delay_alu instid0(VALU_DEP_2)
	v_cndmask_b32_e32 v3, 0x7c, v3, vcc_lo
; %bb.2758:
	s_or_b32 exec_lo, exec_lo, s4
	v_lshrrev_b32_e32 v1, 24, v1
	s_delay_alu instid0(VALU_DEP_1)
	v_and_or_b32 v1, 0x80, v1, v3
	global_store_b8 v[4:5], v1, off
.LBB54_2759:
	s_mov_b32 s4, 0
	s_mov_b32 s5, -1
.LBB54_2760:
	s_and_not1_b32 vcc_lo, exec_lo, s4
	s_mov_b32 s4, 0
	s_cbranch_vccnz .LBB54_2767
; %bb.2761:
	s_cmp_gt_i32 s1, 14
	s_mov_b32 s4, -1
	s_cbranch_scc0 .LBB54_2765
; %bb.2762:
	s_cmp_eq_u32 s1, 15
	s_mov_b32 s0, -1
	s_cbranch_scc0 .LBB54_2764
; %bb.2763:
	s_wait_xcnt 0x0
	v_cvt_f32_i32_e32 v1, v2
	s_mov_b32 s0, 0
	s_mov_b32 s5, -1
	s_delay_alu instid0(VALU_DEP_1) | instskip(NEXT) | instid1(VALU_DEP_1)
	v_bfe_u32 v3, v1, 16, 1
	v_add3_u32 v1, v1, v3, 0x7fff
	global_store_d16_hi_b16 v[4:5], v1, off
.LBB54_2764:
	s_mov_b32 s4, 0
.LBB54_2765:
	s_delay_alu instid0(SALU_CYCLE_1)
	s_and_b32 vcc_lo, exec_lo, s4
	s_mov_b32 s4, 0
	s_cbranch_vccz .LBB54_2767
; %bb.2766:
	s_cmp_lg_u32 s1, 11
	s_mov_b32 s4, -1
	s_cselect_b32 s0, -1, 0
.LBB54_2767:
	s_delay_alu instid0(SALU_CYCLE_1)
	s_and_b32 vcc_lo, exec_lo, s0
	s_cbranch_vccnz .LBB54_3175
; %bb.2768:
	s_and_not1_b32 vcc_lo, exec_lo, s4
	s_cbranch_vccnz .LBB54_2770
.LBB54_2769:
	v_cmp_ne_u32_e32 vcc_lo, 0, v2
	s_mov_b32 s5, -1
	s_wait_xcnt 0x0
	v_cndmask_b32_e64 v1, 0, 1, vcc_lo
	global_store_b8 v[4:5], v1, off
.LBB54_2770:
	s_mov_b32 s0, 0
	s_branch .LBB54_2772
.LBB54_2771:
	s_mov_b32 s0, -1
	s_mov_b32 s5, 0
.LBB54_2772:
	s_and_b32 vcc_lo, exec_lo, s0
	s_cbranch_vccz .LBB54_2811
; %bb.2773:
	s_and_b32 s0, 0xffff, s18
	s_mov_b32 s1, -1
	s_cmp_lt_i32 s0, 5
	s_cbranch_scc1 .LBB54_2794
; %bb.2774:
	s_cmp_lt_i32 s0, 8
	s_cbranch_scc1 .LBB54_2784
; %bb.2775:
	;; [unrolled: 3-line block ×3, first 2 shown]
	s_cmp_gt_i32 s0, 9
	s_cbranch_scc0 .LBB54_2778
; %bb.2777:
	v_cvt_f64_i32_e32 v[16:17], v2
	v_mov_b32_e32 v18, 0
	s_mov_b32 s1, 0
	s_delay_alu instid0(VALU_DEP_1)
	v_mov_b32_e32 v19, v18
	global_store_b128 v[4:5], v[16:19], off
.LBB54_2778:
	s_and_not1_b32 vcc_lo, exec_lo, s1
	s_cbranch_vccnz .LBB54_2780
; %bb.2779:
	s_wait_xcnt 0x0
	v_cvt_f32_i32_e32 v6, v2
	v_mov_b32_e32 v7, 0
	global_store_b64 v[4:5], v[6:7], off
.LBB54_2780:
	s_mov_b32 s1, 0
.LBB54_2781:
	s_delay_alu instid0(SALU_CYCLE_1)
	s_and_not1_b32 vcc_lo, exec_lo, s1
	s_cbranch_vccnz .LBB54_2783
; %bb.2782:
	s_wait_xcnt 0x0
	v_cvt_f32_i32_e32 v1, v2
	s_delay_alu instid0(VALU_DEP_1) | instskip(NEXT) | instid1(VALU_DEP_1)
	v_cvt_f16_f32_e32 v1, v1
	v_and_b32_e32 v1, 0xffff, v1
	global_store_b32 v[4:5], v1, off
.LBB54_2783:
	s_mov_b32 s1, 0
.LBB54_2784:
	s_delay_alu instid0(SALU_CYCLE_1)
	s_and_not1_b32 vcc_lo, exec_lo, s1
	s_cbranch_vccnz .LBB54_2793
; %bb.2785:
	s_cmp_lt_i32 s0, 6
	s_mov_b32 s1, -1
	s_cbranch_scc1 .LBB54_2791
; %bb.2786:
	s_cmp_gt_i32 s0, 6
	s_cbranch_scc0 .LBB54_2788
; %bb.2787:
	s_wait_xcnt 0x0
	v_cvt_f64_i32_e32 v[6:7], v2
	s_mov_b32 s1, 0
	global_store_b64 v[4:5], v[6:7], off
.LBB54_2788:
	s_and_not1_b32 vcc_lo, exec_lo, s1
	s_cbranch_vccnz .LBB54_2790
; %bb.2789:
	s_wait_xcnt 0x0
	v_cvt_f32_i32_e32 v1, v2
	global_store_b32 v[4:5], v1, off
.LBB54_2790:
	s_mov_b32 s1, 0
.LBB54_2791:
	s_delay_alu instid0(SALU_CYCLE_1)
	s_and_not1_b32 vcc_lo, exec_lo, s1
	s_cbranch_vccnz .LBB54_2793
; %bb.2792:
	s_wait_xcnt 0x0
	v_cvt_f32_i32_e32 v1, v2
	s_delay_alu instid0(VALU_DEP_1)
	v_cvt_f16_f32_e32 v1, v1
	global_store_b16 v[4:5], v1, off
.LBB54_2793:
	s_mov_b32 s1, 0
.LBB54_2794:
	s_delay_alu instid0(SALU_CYCLE_1)
	s_and_not1_b32 vcc_lo, exec_lo, s1
	s_cbranch_vccnz .LBB54_2810
; %bb.2795:
	s_cmp_lt_i32 s0, 2
	s_mov_b32 s1, -1
	s_cbranch_scc1 .LBB54_2805
; %bb.2796:
	s_cmp_lt_i32 s0, 3
	s_cbranch_scc1 .LBB54_2802
; %bb.2797:
	s_cmp_gt_i32 s0, 3
	s_cbranch_scc0 .LBB54_2799
; %bb.2798:
	s_wait_xcnt 0x0
	v_ashrrev_i32_e32 v3, 31, v2
	s_mov_b32 s1, 0
	global_store_b64 v[4:5], v[2:3], off
.LBB54_2799:
	s_and_not1_b32 vcc_lo, exec_lo, s1
	s_cbranch_vccnz .LBB54_2801
; %bb.2800:
	global_store_b32 v[4:5], v2, off
.LBB54_2801:
	s_mov_b32 s1, 0
.LBB54_2802:
	s_delay_alu instid0(SALU_CYCLE_1)
	s_and_not1_b32 vcc_lo, exec_lo, s1
	s_cbranch_vccnz .LBB54_2804
; %bb.2803:
	global_store_b16 v[4:5], v2, off
.LBB54_2804:
	s_mov_b32 s1, 0
.LBB54_2805:
	s_delay_alu instid0(SALU_CYCLE_1)
	s_and_not1_b32 vcc_lo, exec_lo, s1
	s_cbranch_vccnz .LBB54_2810
; %bb.2806:
	s_cmp_gt_i32 s0, 0
	s_mov_b32 s0, -1
	s_cbranch_scc0 .LBB54_2808
; %bb.2807:
	s_mov_b32 s0, 0
	global_store_b8 v[4:5], v2, off
.LBB54_2808:
	s_and_not1_b32 vcc_lo, exec_lo, s0
	s_cbranch_vccnz .LBB54_2810
; %bb.2809:
	global_store_b8 v[4:5], v2, off
.LBB54_2810:
	s_mov_b32 s5, -1
.LBB54_2811:
	s_delay_alu instid0(SALU_CYCLE_1)
	s_and_not1_b32 vcc_lo, exec_lo, s5
	s_cbranch_vccnz .LBB54_3126
; %bb.2812:
	s_wait_xcnt 0x0
	v_mul_lo_u32 v2, v9, s6
	s_lshl_b32 s1, s12, 7
	s_cmp_lt_i32 s18, 11
	v_add_nc_u32_e32 v0, s1, v0
	s_delay_alu instid0(VALU_DEP_1) | instskip(NEXT) | instid1(VALU_DEP_3)
	v_ashrrev_i32_e32 v1, 31, v0
	v_mul_lo_u32 v2, v2, v10
	s_delay_alu instid0(VALU_DEP_2)
	v_add_nc_u64_e32 v[4:5], s[2:3], v[0:1]
	s_cbranch_scc1 .LBB54_2890
; %bb.2813:
	s_and_b32 s4, 0xffff, s18
	s_mov_b32 s8, -1
	s_mov_b32 s5, 0
	s_cmp_gt_i32 s4, 25
	s_mov_b32 s7, 0
	s_mov_b32 s0, 0
	s_cbranch_scc0 .LBB54_2846
; %bb.2814:
	s_cmp_gt_i32 s4, 28
	s_cbranch_scc0 .LBB54_2829
; %bb.2815:
	s_cmp_gt_i32 s4, 43
	;; [unrolled: 3-line block ×3, first 2 shown]
	s_cbranch_scc0 .LBB54_2819
; %bb.2817:
	s_mov_b32 s0, -1
	s_mov_b32 s8, 0
	s_cmp_eq_u32 s4, 46
	s_cbranch_scc0 .LBB54_2819
; %bb.2818:
	v_cvt_f32_i32_e32 v1, v2
	s_mov_b32 s0, 0
	s_mov_b32 s7, -1
	s_delay_alu instid0(VALU_DEP_1) | instskip(NEXT) | instid1(VALU_DEP_1)
	v_bfe_u32 v3, v1, 16, 1
	v_add3_u32 v1, v1, v3, 0x7fff
	s_delay_alu instid0(VALU_DEP_1)
	v_lshrrev_b32_e32 v1, 16, v1
	global_store_b32 v[4:5], v1, off
.LBB54_2819:
	s_and_b32 vcc_lo, exec_lo, s8
	s_cbranch_vccz .LBB54_2824
; %bb.2820:
	s_cmp_eq_u32 s4, 44
	s_mov_b32 s0, -1
	s_cbranch_scc0 .LBB54_2824
; %bb.2821:
	s_wait_xcnt 0x0
	v_cvt_f32_i32_e32 v1, v2
	v_mov_b32_e32 v3, 0xff
	s_mov_b32 s7, exec_lo
	s_delay_alu instid0(VALU_DEP_2) | instskip(NEXT) | instid1(VALU_DEP_1)
	v_bfe_u32 v6, v1, 23, 8
	v_cmpx_ne_u32_e32 0xff, v6
	s_cbranch_execz .LBB54_2823
; %bb.2822:
	v_and_b32_e32 v3, 0x400000, v1
	v_and_or_b32 v6, 0x3fffff, v1, v6
	v_lshrrev_b32_e32 v1, 23, v1
	s_delay_alu instid0(VALU_DEP_3) | instskip(NEXT) | instid1(VALU_DEP_3)
	v_cmp_ne_u32_e32 vcc_lo, 0, v3
	v_cmp_ne_u32_e64 s0, 0, v6
	s_and_b32 s0, vcc_lo, s0
	s_delay_alu instid0(SALU_CYCLE_1) | instskip(NEXT) | instid1(VALU_DEP_1)
	v_cndmask_b32_e64 v3, 0, 1, s0
	v_add_nc_u32_e32 v3, v1, v3
.LBB54_2823:
	s_or_b32 exec_lo, exec_lo, s7
	s_mov_b32 s0, 0
	s_mov_b32 s7, -1
	global_store_b8 v[4:5], v3, off
.LBB54_2824:
	s_mov_b32 s8, 0
.LBB54_2825:
	s_delay_alu instid0(SALU_CYCLE_1)
	s_and_b32 vcc_lo, exec_lo, s8
	s_cbranch_vccz .LBB54_2828
; %bb.2826:
	s_cmp_eq_u32 s4, 29
	s_mov_b32 s0, -1
	s_cbranch_scc0 .LBB54_2828
; %bb.2827:
	s_wait_xcnt 0x0
	v_ashrrev_i32_e32 v3, 31, v2
	s_mov_b32 s0, 0
	s_mov_b32 s7, -1
	global_store_b64 v[4:5], v[2:3], off
.LBB54_2828:
	s_mov_b32 s8, 0
.LBB54_2829:
	s_delay_alu instid0(SALU_CYCLE_1)
	s_and_b32 vcc_lo, exec_lo, s8
	s_cbranch_vccz .LBB54_2845
; %bb.2830:
	s_cmp_lt_i32 s4, 27
	s_mov_b32 s7, -1
	s_cbranch_scc1 .LBB54_2836
; %bb.2831:
	s_cmp_gt_i32 s4, 27
	s_cbranch_scc0 .LBB54_2833
; %bb.2832:
	s_mov_b32 s7, 0
	global_store_b32 v[4:5], v2, off
.LBB54_2833:
	s_and_not1_b32 vcc_lo, exec_lo, s7
	s_cbranch_vccnz .LBB54_2835
; %bb.2834:
	global_store_b16 v[4:5], v2, off
.LBB54_2835:
	s_mov_b32 s7, 0
.LBB54_2836:
	s_delay_alu instid0(SALU_CYCLE_1)
	s_and_not1_b32 vcc_lo, exec_lo, s7
	s_cbranch_vccnz .LBB54_2844
; %bb.2837:
	s_wait_xcnt 0x0
	v_cvt_f32_i32_e32 v1, v2
	v_mov_b32_e32 v6, 0x80
	s_mov_b32 s7, exec_lo
	s_delay_alu instid0(VALU_DEP_2) | instskip(NEXT) | instid1(VALU_DEP_1)
	v_and_b32_e32 v3, 0x7fffffff, v1
	v_cmpx_gt_u32_e32 0x43800000, v3
	s_cbranch_execz .LBB54_2843
; %bb.2838:
	v_cmp_lt_u32_e32 vcc_lo, 0x3bffffff, v3
	s_mov_b32 s8, 0
                                        ; implicit-def: $vgpr3
	s_and_saveexec_b32 s9, vcc_lo
	s_delay_alu instid0(SALU_CYCLE_1)
	s_xor_b32 s9, exec_lo, s9
	s_cbranch_execz .LBB54_3178
; %bb.2839:
	v_bfe_u32 v3, v1, 20, 1
	s_mov_b32 s8, exec_lo
	s_delay_alu instid0(VALU_DEP_1) | instskip(NEXT) | instid1(VALU_DEP_1)
	v_add3_u32 v3, v1, v3, 0x487ffff
	v_lshrrev_b32_e32 v3, 20, v3
	s_and_not1_saveexec_b32 s9, s9
	s_cbranch_execnz .LBB54_3179
.LBB54_2840:
	s_or_b32 exec_lo, exec_lo, s9
	v_mov_b32_e32 v6, 0
	s_and_saveexec_b32 s9, s8
.LBB54_2841:
	v_lshrrev_b32_e32 v1, 24, v1
	s_delay_alu instid0(VALU_DEP_1)
	v_and_or_b32 v6, 0x80, v1, v3
.LBB54_2842:
	s_or_b32 exec_lo, exec_lo, s9
.LBB54_2843:
	s_delay_alu instid0(SALU_CYCLE_1)
	s_or_b32 exec_lo, exec_lo, s7
	global_store_b8 v[4:5], v6, off
.LBB54_2844:
	s_mov_b32 s7, -1
.LBB54_2845:
	s_mov_b32 s8, 0
.LBB54_2846:
	s_delay_alu instid0(SALU_CYCLE_1)
	s_and_b32 vcc_lo, exec_lo, s8
	s_cbranch_vccz .LBB54_2886
; %bb.2847:
	s_cmp_gt_i32 s4, 22
	s_mov_b32 s5, -1
	s_cbranch_scc0 .LBB54_2879
; %bb.2848:
	s_cmp_lt_i32 s4, 24
	s_cbranch_scc1 .LBB54_2868
; %bb.2849:
	s_cmp_gt_i32 s4, 24
	s_cbranch_scc0 .LBB54_2857
; %bb.2850:
	s_wait_xcnt 0x0
	v_cvt_f32_i32_e32 v1, v2
	v_mov_b32_e32 v6, 0x80
	s_mov_b32 s5, exec_lo
	s_delay_alu instid0(VALU_DEP_2) | instskip(NEXT) | instid1(VALU_DEP_1)
	v_and_b32_e32 v3, 0x7fffffff, v1
	v_cmpx_gt_u32_e32 0x47800000, v3
	s_cbranch_execz .LBB54_2856
; %bb.2851:
	v_cmp_lt_u32_e32 vcc_lo, 0x37ffffff, v3
	s_mov_b32 s7, 0
                                        ; implicit-def: $vgpr3
	s_and_saveexec_b32 s8, vcc_lo
	s_delay_alu instid0(SALU_CYCLE_1)
	s_xor_b32 s8, exec_lo, s8
	s_cbranch_execz .LBB54_3181
; %bb.2852:
	v_bfe_u32 v3, v1, 21, 1
	s_mov_b32 s7, exec_lo
	s_delay_alu instid0(VALU_DEP_1) | instskip(NEXT) | instid1(VALU_DEP_1)
	v_add3_u32 v3, v1, v3, 0x88fffff
	v_lshrrev_b32_e32 v3, 21, v3
	s_and_not1_saveexec_b32 s8, s8
	s_cbranch_execnz .LBB54_3182
.LBB54_2853:
	s_or_b32 exec_lo, exec_lo, s8
	v_mov_b32_e32 v6, 0
	s_and_saveexec_b32 s8, s7
.LBB54_2854:
	v_lshrrev_b32_e32 v1, 24, v1
	s_delay_alu instid0(VALU_DEP_1)
	v_and_or_b32 v6, 0x80, v1, v3
.LBB54_2855:
	s_or_b32 exec_lo, exec_lo, s8
.LBB54_2856:
	s_delay_alu instid0(SALU_CYCLE_1)
	s_or_b32 exec_lo, exec_lo, s5
	s_mov_b32 s5, 0
	global_store_b8 v[4:5], v6, off
.LBB54_2857:
	s_and_b32 vcc_lo, exec_lo, s5
	s_cbranch_vccz .LBB54_2867
; %bb.2858:
	s_wait_xcnt 0x0
	v_cvt_f32_i32_e32 v1, v2
	s_mov_b32 s5, exec_lo
                                        ; implicit-def: $vgpr3
	s_delay_alu instid0(VALU_DEP_1) | instskip(NEXT) | instid1(VALU_DEP_1)
	v_and_b32_e32 v6, 0x7fffffff, v1
	v_cmpx_gt_u32_e32 0x43f00000, v6
	s_xor_b32 s5, exec_lo, s5
	s_cbranch_execz .LBB54_2864
; %bb.2859:
	s_mov_b32 s7, exec_lo
                                        ; implicit-def: $vgpr3
	v_cmpx_lt_u32_e32 0x3c7fffff, v6
	s_xor_b32 s7, exec_lo, s7
; %bb.2860:
	v_bfe_u32 v3, v1, 20, 1
	s_delay_alu instid0(VALU_DEP_1) | instskip(NEXT) | instid1(VALU_DEP_1)
	v_add3_u32 v3, v1, v3, 0x407ffff
	v_and_b32_e32 v6, 0xff00000, v3
	v_lshrrev_b32_e32 v3, 20, v3
	s_delay_alu instid0(VALU_DEP_2) | instskip(NEXT) | instid1(VALU_DEP_2)
	v_cmp_ne_u32_e32 vcc_lo, 0x7f00000, v6
	v_cndmask_b32_e32 v3, 0x7e, v3, vcc_lo
; %bb.2861:
	s_and_not1_saveexec_b32 s7, s7
; %bb.2862:
	v_add_f32_e64 v3, 0x46800000, |v1|
; %bb.2863:
	s_or_b32 exec_lo, exec_lo, s7
                                        ; implicit-def: $vgpr6
.LBB54_2864:
	s_and_not1_saveexec_b32 s5, s5
; %bb.2865:
	v_mov_b32_e32 v3, 0x7f
	v_cmp_lt_u32_e32 vcc_lo, 0x7f800000, v6
	s_delay_alu instid0(VALU_DEP_2)
	v_cndmask_b32_e32 v3, 0x7e, v3, vcc_lo
; %bb.2866:
	s_or_b32 exec_lo, exec_lo, s5
	v_lshrrev_b32_e32 v1, 24, v1
	s_delay_alu instid0(VALU_DEP_1)
	v_and_or_b32 v1, 0x80, v1, v3
	global_store_b8 v[4:5], v1, off
.LBB54_2867:
	s_mov_b32 s5, 0
.LBB54_2868:
	s_delay_alu instid0(SALU_CYCLE_1)
	s_and_not1_b32 vcc_lo, exec_lo, s5
	s_cbranch_vccnz .LBB54_2878
; %bb.2869:
	s_wait_xcnt 0x0
	v_cvt_f32_i32_e32 v1, v2
	s_mov_b32 s5, exec_lo
                                        ; implicit-def: $vgpr3
	s_delay_alu instid0(VALU_DEP_1) | instskip(NEXT) | instid1(VALU_DEP_1)
	v_and_b32_e32 v6, 0x7fffffff, v1
	v_cmpx_gt_u32_e32 0x47800000, v6
	s_xor_b32 s5, exec_lo, s5
	s_cbranch_execz .LBB54_2875
; %bb.2870:
	s_mov_b32 s7, exec_lo
                                        ; implicit-def: $vgpr3
	v_cmpx_lt_u32_e32 0x387fffff, v6
	s_xor_b32 s7, exec_lo, s7
; %bb.2871:
	v_bfe_u32 v3, v1, 21, 1
	s_delay_alu instid0(VALU_DEP_1) | instskip(NEXT) | instid1(VALU_DEP_1)
	v_add3_u32 v3, v1, v3, 0x80fffff
	v_lshrrev_b32_e32 v3, 21, v3
; %bb.2872:
	s_and_not1_saveexec_b32 s7, s7
; %bb.2873:
	v_add_f32_e64 v3, 0x43000000, |v1|
; %bb.2874:
	s_or_b32 exec_lo, exec_lo, s7
                                        ; implicit-def: $vgpr6
.LBB54_2875:
	s_and_not1_saveexec_b32 s5, s5
; %bb.2876:
	v_mov_b32_e32 v3, 0x7f
	v_cmp_lt_u32_e32 vcc_lo, 0x7f800000, v6
	s_delay_alu instid0(VALU_DEP_2)
	v_cndmask_b32_e32 v3, 0x7c, v3, vcc_lo
; %bb.2877:
	s_or_b32 exec_lo, exec_lo, s5
	v_lshrrev_b32_e32 v1, 24, v1
	s_delay_alu instid0(VALU_DEP_1)
	v_and_or_b32 v1, 0x80, v1, v3
	global_store_b8 v[4:5], v1, off
.LBB54_2878:
	s_mov_b32 s5, 0
	s_mov_b32 s7, -1
.LBB54_2879:
	s_and_not1_b32 vcc_lo, exec_lo, s5
	s_mov_b32 s5, 0
	s_cbranch_vccnz .LBB54_2886
; %bb.2880:
	s_cmp_gt_i32 s4, 14
	s_mov_b32 s5, -1
	s_cbranch_scc0 .LBB54_2884
; %bb.2881:
	s_cmp_eq_u32 s4, 15
	s_mov_b32 s0, -1
	s_cbranch_scc0 .LBB54_2883
; %bb.2882:
	s_wait_xcnt 0x0
	v_cvt_f32_i32_e32 v1, v2
	s_mov_b32 s0, 0
	s_mov_b32 s7, -1
	s_delay_alu instid0(VALU_DEP_1) | instskip(NEXT) | instid1(VALU_DEP_1)
	v_bfe_u32 v3, v1, 16, 1
	v_add3_u32 v1, v1, v3, 0x7fff
	global_store_d16_hi_b16 v[4:5], v1, off
.LBB54_2883:
	s_mov_b32 s5, 0
.LBB54_2884:
	s_delay_alu instid0(SALU_CYCLE_1)
	s_and_b32 vcc_lo, exec_lo, s5
	s_mov_b32 s5, 0
	s_cbranch_vccz .LBB54_2886
; %bb.2885:
	s_cmp_lg_u32 s4, 11
	s_mov_b32 s5, -1
	s_cselect_b32 s0, -1, 0
.LBB54_2886:
	s_delay_alu instid0(SALU_CYCLE_1)
	s_and_b32 vcc_lo, exec_lo, s0
	s_cbranch_vccnz .LBB54_3180
; %bb.2887:
	s_and_not1_b32 vcc_lo, exec_lo, s5
	s_cbranch_vccnz .LBB54_2889
.LBB54_2888:
	v_cmp_ne_u32_e32 vcc_lo, 0, v2
	s_mov_b32 s7, -1
	s_wait_xcnt 0x0
	v_cndmask_b32_e64 v1, 0, 1, vcc_lo
	global_store_b8 v[4:5], v1, off
.LBB54_2889:
	s_mov_b32 s0, 0
	s_branch .LBB54_2891
.LBB54_2890:
	s_mov_b32 s0, -1
	s_mov_b32 s7, 0
.LBB54_2891:
	s_and_b32 vcc_lo, exec_lo, s0
	s_cbranch_vccz .LBB54_2930
; %bb.2892:
	s_and_b32 s0, 0xffff, s18
	s_mov_b32 s4, -1
	s_cmp_lt_i32 s0, 5
	s_cbranch_scc1 .LBB54_2913
; %bb.2893:
	s_cmp_lt_i32 s0, 8
	s_cbranch_scc1 .LBB54_2903
; %bb.2894:
	;; [unrolled: 3-line block ×3, first 2 shown]
	s_cmp_gt_i32 s0, 9
	s_cbranch_scc0 .LBB54_2897
; %bb.2896:
	s_wait_xcnt 0x0
	v_cvt_f64_i32_e32 v[6:7], v2
	v_mov_b32_e32 v8, 0
	s_mov_b32 s4, 0
	s_delay_alu instid0(VALU_DEP_1)
	v_mov_b32_e32 v9, v8
	global_store_b128 v[4:5], v[6:9], off
.LBB54_2897:
	s_and_not1_b32 vcc_lo, exec_lo, s4
	s_cbranch_vccnz .LBB54_2899
; %bb.2898:
	s_wait_xcnt 0x0
	v_cvt_f32_i32_e32 v6, v2
	v_mov_b32_e32 v7, 0
	global_store_b64 v[4:5], v[6:7], off
.LBB54_2899:
	s_mov_b32 s4, 0
.LBB54_2900:
	s_delay_alu instid0(SALU_CYCLE_1)
	s_and_not1_b32 vcc_lo, exec_lo, s4
	s_cbranch_vccnz .LBB54_2902
; %bb.2901:
	s_wait_xcnt 0x0
	v_cvt_f32_i32_e32 v1, v2
	s_delay_alu instid0(VALU_DEP_1) | instskip(NEXT) | instid1(VALU_DEP_1)
	v_cvt_f16_f32_e32 v1, v1
	v_and_b32_e32 v1, 0xffff, v1
	global_store_b32 v[4:5], v1, off
.LBB54_2902:
	s_mov_b32 s4, 0
.LBB54_2903:
	s_delay_alu instid0(SALU_CYCLE_1)
	s_and_not1_b32 vcc_lo, exec_lo, s4
	s_cbranch_vccnz .LBB54_2912
; %bb.2904:
	s_cmp_lt_i32 s0, 6
	s_mov_b32 s4, -1
	s_cbranch_scc1 .LBB54_2910
; %bb.2905:
	s_cmp_gt_i32 s0, 6
	s_cbranch_scc0 .LBB54_2907
; %bb.2906:
	s_wait_xcnt 0x0
	v_cvt_f64_i32_e32 v[6:7], v2
	s_mov_b32 s4, 0
	global_store_b64 v[4:5], v[6:7], off
.LBB54_2907:
	s_and_not1_b32 vcc_lo, exec_lo, s4
	s_cbranch_vccnz .LBB54_2909
; %bb.2908:
	s_wait_xcnt 0x0
	v_cvt_f32_i32_e32 v1, v2
	global_store_b32 v[4:5], v1, off
.LBB54_2909:
	s_mov_b32 s4, 0
.LBB54_2910:
	s_delay_alu instid0(SALU_CYCLE_1)
	s_and_not1_b32 vcc_lo, exec_lo, s4
	s_cbranch_vccnz .LBB54_2912
; %bb.2911:
	s_wait_xcnt 0x0
	v_cvt_f32_i32_e32 v1, v2
	s_delay_alu instid0(VALU_DEP_1)
	v_cvt_f16_f32_e32 v1, v1
	global_store_b16 v[4:5], v1, off
.LBB54_2912:
	s_mov_b32 s4, 0
.LBB54_2913:
	s_delay_alu instid0(SALU_CYCLE_1)
	s_and_not1_b32 vcc_lo, exec_lo, s4
	s_cbranch_vccnz .LBB54_2929
; %bb.2914:
	s_cmp_lt_i32 s0, 2
	s_mov_b32 s4, -1
	s_cbranch_scc1 .LBB54_2924
; %bb.2915:
	s_cmp_lt_i32 s0, 3
	s_cbranch_scc1 .LBB54_2921
; %bb.2916:
	s_cmp_gt_i32 s0, 3
	s_cbranch_scc0 .LBB54_2918
; %bb.2917:
	s_wait_xcnt 0x0
	v_ashrrev_i32_e32 v3, 31, v2
	s_mov_b32 s4, 0
	global_store_b64 v[4:5], v[2:3], off
.LBB54_2918:
	s_and_not1_b32 vcc_lo, exec_lo, s4
	s_cbranch_vccnz .LBB54_2920
; %bb.2919:
	global_store_b32 v[4:5], v2, off
.LBB54_2920:
	s_mov_b32 s4, 0
.LBB54_2921:
	s_delay_alu instid0(SALU_CYCLE_1)
	s_and_not1_b32 vcc_lo, exec_lo, s4
	s_cbranch_vccnz .LBB54_2923
; %bb.2922:
	global_store_b16 v[4:5], v2, off
.LBB54_2923:
	s_mov_b32 s4, 0
.LBB54_2924:
	s_delay_alu instid0(SALU_CYCLE_1)
	s_and_not1_b32 vcc_lo, exec_lo, s4
	s_cbranch_vccnz .LBB54_2929
; %bb.2925:
	s_cmp_gt_i32 s0, 0
	s_mov_b32 s0, -1
	s_cbranch_scc0 .LBB54_2927
; %bb.2926:
	s_mov_b32 s0, 0
	global_store_b8 v[4:5], v2, off
.LBB54_2927:
	s_and_not1_b32 vcc_lo, exec_lo, s0
	s_cbranch_vccnz .LBB54_2929
; %bb.2928:
	global_store_b8 v[4:5], v2, off
.LBB54_2929:
	s_mov_b32 s7, -1
.LBB54_2930:
	s_delay_alu instid0(SALU_CYCLE_1)
	s_and_not1_b32 vcc_lo, exec_lo, s7
	s_cbranch_vccnz .LBB54_3126
; %bb.2931:
	s_wait_xcnt 0x0
	v_mul_lo_u32 v2, v11, s6
	v_add_nc_u32_e32 v0, s1, v0
	s_cmp_lt_i32 s18, 11
	s_delay_alu instid0(VALU_DEP_1) | instskip(NEXT) | instid1(VALU_DEP_1)
	v_ashrrev_i32_e32 v1, 31, v0
	v_add_nc_u64_e32 v[4:5], s[2:3], v[0:1]
	s_delay_alu instid0(VALU_DEP_4)
	v_mul_lo_u32 v2, v2, v12
	s_cbranch_scc1 .LBB54_3009
; %bb.2932:
	s_and_b32 s4, 0xffff, s18
	s_mov_b32 s8, -1
	s_mov_b32 s5, 0
	s_cmp_gt_i32 s4, 25
	s_mov_b32 s7, 0
	s_mov_b32 s0, 0
	s_cbranch_scc0 .LBB54_2965
; %bb.2933:
	s_cmp_gt_i32 s4, 28
	s_cbranch_scc0 .LBB54_2948
; %bb.2934:
	s_cmp_gt_i32 s4, 43
	;; [unrolled: 3-line block ×3, first 2 shown]
	s_cbranch_scc0 .LBB54_2938
; %bb.2936:
	s_mov_b32 s0, -1
	s_mov_b32 s8, 0
	s_cmp_eq_u32 s4, 46
	s_cbranch_scc0 .LBB54_2938
; %bb.2937:
	v_cvt_f32_i32_e32 v1, v2
	s_mov_b32 s0, 0
	s_mov_b32 s7, -1
	s_delay_alu instid0(VALU_DEP_1) | instskip(NEXT) | instid1(VALU_DEP_1)
	v_bfe_u32 v3, v1, 16, 1
	v_add3_u32 v1, v1, v3, 0x7fff
	s_delay_alu instid0(VALU_DEP_1)
	v_lshrrev_b32_e32 v1, 16, v1
	global_store_b32 v[4:5], v1, off
.LBB54_2938:
	s_and_b32 vcc_lo, exec_lo, s8
	s_cbranch_vccz .LBB54_2943
; %bb.2939:
	s_cmp_eq_u32 s4, 44
	s_mov_b32 s0, -1
	s_cbranch_scc0 .LBB54_2943
; %bb.2940:
	s_wait_xcnt 0x0
	v_cvt_f32_i32_e32 v1, v2
	v_mov_b32_e32 v3, 0xff
	s_mov_b32 s7, exec_lo
	s_delay_alu instid0(VALU_DEP_2) | instskip(NEXT) | instid1(VALU_DEP_1)
	v_bfe_u32 v6, v1, 23, 8
	v_cmpx_ne_u32_e32 0xff, v6
	s_cbranch_execz .LBB54_2942
; %bb.2941:
	v_and_b32_e32 v3, 0x400000, v1
	v_and_or_b32 v6, 0x3fffff, v1, v6
	v_lshrrev_b32_e32 v1, 23, v1
	s_delay_alu instid0(VALU_DEP_3) | instskip(NEXT) | instid1(VALU_DEP_3)
	v_cmp_ne_u32_e32 vcc_lo, 0, v3
	v_cmp_ne_u32_e64 s0, 0, v6
	s_and_b32 s0, vcc_lo, s0
	s_delay_alu instid0(SALU_CYCLE_1) | instskip(NEXT) | instid1(VALU_DEP_1)
	v_cndmask_b32_e64 v3, 0, 1, s0
	v_add_nc_u32_e32 v3, v1, v3
.LBB54_2942:
	s_or_b32 exec_lo, exec_lo, s7
	s_mov_b32 s0, 0
	s_mov_b32 s7, -1
	global_store_b8 v[4:5], v3, off
.LBB54_2943:
	s_mov_b32 s8, 0
.LBB54_2944:
	s_delay_alu instid0(SALU_CYCLE_1)
	s_and_b32 vcc_lo, exec_lo, s8
	s_cbranch_vccz .LBB54_2947
; %bb.2945:
	s_cmp_eq_u32 s4, 29
	s_mov_b32 s0, -1
	s_cbranch_scc0 .LBB54_2947
; %bb.2946:
	s_wait_xcnt 0x0
	v_ashrrev_i32_e32 v3, 31, v2
	s_mov_b32 s0, 0
	s_mov_b32 s7, -1
	global_store_b64 v[4:5], v[2:3], off
.LBB54_2947:
	s_mov_b32 s8, 0
.LBB54_2948:
	s_delay_alu instid0(SALU_CYCLE_1)
	s_and_b32 vcc_lo, exec_lo, s8
	s_cbranch_vccz .LBB54_2964
; %bb.2949:
	s_cmp_lt_i32 s4, 27
	s_mov_b32 s7, -1
	s_cbranch_scc1 .LBB54_2955
; %bb.2950:
	s_cmp_gt_i32 s4, 27
	s_cbranch_scc0 .LBB54_2952
; %bb.2951:
	s_mov_b32 s7, 0
	global_store_b32 v[4:5], v2, off
.LBB54_2952:
	s_and_not1_b32 vcc_lo, exec_lo, s7
	s_cbranch_vccnz .LBB54_2954
; %bb.2953:
	global_store_b16 v[4:5], v2, off
.LBB54_2954:
	s_mov_b32 s7, 0
.LBB54_2955:
	s_delay_alu instid0(SALU_CYCLE_1)
	s_and_not1_b32 vcc_lo, exec_lo, s7
	s_cbranch_vccnz .LBB54_2963
; %bb.2956:
	s_wait_xcnt 0x0
	v_cvt_f32_i32_e32 v1, v2
	v_mov_b32_e32 v6, 0x80
	s_mov_b32 s7, exec_lo
	s_delay_alu instid0(VALU_DEP_2) | instskip(NEXT) | instid1(VALU_DEP_1)
	v_and_b32_e32 v3, 0x7fffffff, v1
	v_cmpx_gt_u32_e32 0x43800000, v3
	s_cbranch_execz .LBB54_2962
; %bb.2957:
	v_cmp_lt_u32_e32 vcc_lo, 0x3bffffff, v3
	s_mov_b32 s8, 0
                                        ; implicit-def: $vgpr3
	s_and_saveexec_b32 s9, vcc_lo
	s_delay_alu instid0(SALU_CYCLE_1)
	s_xor_b32 s9, exec_lo, s9
	s_cbranch_execz .LBB54_3183
; %bb.2958:
	v_bfe_u32 v3, v1, 20, 1
	s_mov_b32 s8, exec_lo
	s_delay_alu instid0(VALU_DEP_1) | instskip(NEXT) | instid1(VALU_DEP_1)
	v_add3_u32 v3, v1, v3, 0x487ffff
	v_lshrrev_b32_e32 v3, 20, v3
	s_and_not1_saveexec_b32 s9, s9
	s_cbranch_execnz .LBB54_3184
.LBB54_2959:
	s_or_b32 exec_lo, exec_lo, s9
	v_mov_b32_e32 v6, 0
	s_and_saveexec_b32 s9, s8
.LBB54_2960:
	v_lshrrev_b32_e32 v1, 24, v1
	s_delay_alu instid0(VALU_DEP_1)
	v_and_or_b32 v6, 0x80, v1, v3
.LBB54_2961:
	s_or_b32 exec_lo, exec_lo, s9
.LBB54_2962:
	s_delay_alu instid0(SALU_CYCLE_1)
	s_or_b32 exec_lo, exec_lo, s7
	global_store_b8 v[4:5], v6, off
.LBB54_2963:
	s_mov_b32 s7, -1
.LBB54_2964:
	s_mov_b32 s8, 0
.LBB54_2965:
	s_delay_alu instid0(SALU_CYCLE_1)
	s_and_b32 vcc_lo, exec_lo, s8
	s_cbranch_vccz .LBB54_3005
; %bb.2966:
	s_cmp_gt_i32 s4, 22
	s_mov_b32 s5, -1
	s_cbranch_scc0 .LBB54_2998
; %bb.2967:
	s_cmp_lt_i32 s4, 24
	s_cbranch_scc1 .LBB54_2987
; %bb.2968:
	s_cmp_gt_i32 s4, 24
	s_cbranch_scc0 .LBB54_2976
; %bb.2969:
	s_wait_xcnt 0x0
	v_cvt_f32_i32_e32 v1, v2
	v_mov_b32_e32 v6, 0x80
	s_mov_b32 s5, exec_lo
	s_delay_alu instid0(VALU_DEP_2) | instskip(NEXT) | instid1(VALU_DEP_1)
	v_and_b32_e32 v3, 0x7fffffff, v1
	v_cmpx_gt_u32_e32 0x47800000, v3
	s_cbranch_execz .LBB54_2975
; %bb.2970:
	v_cmp_lt_u32_e32 vcc_lo, 0x37ffffff, v3
	s_mov_b32 s7, 0
                                        ; implicit-def: $vgpr3
	s_and_saveexec_b32 s8, vcc_lo
	s_delay_alu instid0(SALU_CYCLE_1)
	s_xor_b32 s8, exec_lo, s8
	s_cbranch_execz .LBB54_3186
; %bb.2971:
	v_bfe_u32 v3, v1, 21, 1
	s_mov_b32 s7, exec_lo
	s_delay_alu instid0(VALU_DEP_1) | instskip(NEXT) | instid1(VALU_DEP_1)
	v_add3_u32 v3, v1, v3, 0x88fffff
	v_lshrrev_b32_e32 v3, 21, v3
	s_and_not1_saveexec_b32 s8, s8
	s_cbranch_execnz .LBB54_3187
.LBB54_2972:
	s_or_b32 exec_lo, exec_lo, s8
	v_mov_b32_e32 v6, 0
	s_and_saveexec_b32 s8, s7
.LBB54_2973:
	v_lshrrev_b32_e32 v1, 24, v1
	s_delay_alu instid0(VALU_DEP_1)
	v_and_or_b32 v6, 0x80, v1, v3
.LBB54_2974:
	s_or_b32 exec_lo, exec_lo, s8
.LBB54_2975:
	s_delay_alu instid0(SALU_CYCLE_1)
	s_or_b32 exec_lo, exec_lo, s5
	s_mov_b32 s5, 0
	global_store_b8 v[4:5], v6, off
.LBB54_2976:
	s_and_b32 vcc_lo, exec_lo, s5
	s_cbranch_vccz .LBB54_2986
; %bb.2977:
	s_wait_xcnt 0x0
	v_cvt_f32_i32_e32 v1, v2
	s_mov_b32 s5, exec_lo
                                        ; implicit-def: $vgpr3
	s_delay_alu instid0(VALU_DEP_1) | instskip(NEXT) | instid1(VALU_DEP_1)
	v_and_b32_e32 v6, 0x7fffffff, v1
	v_cmpx_gt_u32_e32 0x43f00000, v6
	s_xor_b32 s5, exec_lo, s5
	s_cbranch_execz .LBB54_2983
; %bb.2978:
	s_mov_b32 s7, exec_lo
                                        ; implicit-def: $vgpr3
	v_cmpx_lt_u32_e32 0x3c7fffff, v6
	s_xor_b32 s7, exec_lo, s7
; %bb.2979:
	v_bfe_u32 v3, v1, 20, 1
	s_delay_alu instid0(VALU_DEP_1) | instskip(NEXT) | instid1(VALU_DEP_1)
	v_add3_u32 v3, v1, v3, 0x407ffff
	v_and_b32_e32 v6, 0xff00000, v3
	v_lshrrev_b32_e32 v3, 20, v3
	s_delay_alu instid0(VALU_DEP_2) | instskip(NEXT) | instid1(VALU_DEP_2)
	v_cmp_ne_u32_e32 vcc_lo, 0x7f00000, v6
	v_cndmask_b32_e32 v3, 0x7e, v3, vcc_lo
; %bb.2980:
	s_and_not1_saveexec_b32 s7, s7
; %bb.2981:
	v_add_f32_e64 v3, 0x46800000, |v1|
; %bb.2982:
	s_or_b32 exec_lo, exec_lo, s7
                                        ; implicit-def: $vgpr6
.LBB54_2983:
	s_and_not1_saveexec_b32 s5, s5
; %bb.2984:
	v_mov_b32_e32 v3, 0x7f
	v_cmp_lt_u32_e32 vcc_lo, 0x7f800000, v6
	s_delay_alu instid0(VALU_DEP_2)
	v_cndmask_b32_e32 v3, 0x7e, v3, vcc_lo
; %bb.2985:
	s_or_b32 exec_lo, exec_lo, s5
	v_lshrrev_b32_e32 v1, 24, v1
	s_delay_alu instid0(VALU_DEP_1)
	v_and_or_b32 v1, 0x80, v1, v3
	global_store_b8 v[4:5], v1, off
.LBB54_2986:
	s_mov_b32 s5, 0
.LBB54_2987:
	s_delay_alu instid0(SALU_CYCLE_1)
	s_and_not1_b32 vcc_lo, exec_lo, s5
	s_cbranch_vccnz .LBB54_2997
; %bb.2988:
	s_wait_xcnt 0x0
	v_cvt_f32_i32_e32 v1, v2
	s_mov_b32 s5, exec_lo
                                        ; implicit-def: $vgpr3
	s_delay_alu instid0(VALU_DEP_1) | instskip(NEXT) | instid1(VALU_DEP_1)
	v_and_b32_e32 v6, 0x7fffffff, v1
	v_cmpx_gt_u32_e32 0x47800000, v6
	s_xor_b32 s5, exec_lo, s5
	s_cbranch_execz .LBB54_2994
; %bb.2989:
	s_mov_b32 s7, exec_lo
                                        ; implicit-def: $vgpr3
	v_cmpx_lt_u32_e32 0x387fffff, v6
	s_xor_b32 s7, exec_lo, s7
; %bb.2990:
	v_bfe_u32 v3, v1, 21, 1
	s_delay_alu instid0(VALU_DEP_1) | instskip(NEXT) | instid1(VALU_DEP_1)
	v_add3_u32 v3, v1, v3, 0x80fffff
	v_lshrrev_b32_e32 v3, 21, v3
; %bb.2991:
	s_and_not1_saveexec_b32 s7, s7
; %bb.2992:
	v_add_f32_e64 v3, 0x43000000, |v1|
; %bb.2993:
	s_or_b32 exec_lo, exec_lo, s7
                                        ; implicit-def: $vgpr6
.LBB54_2994:
	s_and_not1_saveexec_b32 s5, s5
; %bb.2995:
	v_mov_b32_e32 v3, 0x7f
	v_cmp_lt_u32_e32 vcc_lo, 0x7f800000, v6
	s_delay_alu instid0(VALU_DEP_2)
	v_cndmask_b32_e32 v3, 0x7c, v3, vcc_lo
; %bb.2996:
	s_or_b32 exec_lo, exec_lo, s5
	v_lshrrev_b32_e32 v1, 24, v1
	s_delay_alu instid0(VALU_DEP_1)
	v_and_or_b32 v1, 0x80, v1, v3
	global_store_b8 v[4:5], v1, off
.LBB54_2997:
	s_mov_b32 s5, 0
	s_mov_b32 s7, -1
.LBB54_2998:
	s_and_not1_b32 vcc_lo, exec_lo, s5
	s_mov_b32 s5, 0
	s_cbranch_vccnz .LBB54_3005
; %bb.2999:
	s_cmp_gt_i32 s4, 14
	s_mov_b32 s5, -1
	s_cbranch_scc0 .LBB54_3003
; %bb.3000:
	s_cmp_eq_u32 s4, 15
	s_mov_b32 s0, -1
	s_cbranch_scc0 .LBB54_3002
; %bb.3001:
	s_wait_xcnt 0x0
	v_cvt_f32_i32_e32 v1, v2
	s_mov_b32 s0, 0
	s_mov_b32 s7, -1
	s_delay_alu instid0(VALU_DEP_1) | instskip(NEXT) | instid1(VALU_DEP_1)
	v_bfe_u32 v3, v1, 16, 1
	v_add3_u32 v1, v1, v3, 0x7fff
	global_store_d16_hi_b16 v[4:5], v1, off
.LBB54_3002:
	s_mov_b32 s5, 0
.LBB54_3003:
	s_delay_alu instid0(SALU_CYCLE_1)
	s_and_b32 vcc_lo, exec_lo, s5
	s_mov_b32 s5, 0
	s_cbranch_vccz .LBB54_3005
; %bb.3004:
	s_cmp_lg_u32 s4, 11
	s_mov_b32 s5, -1
	s_cselect_b32 s0, -1, 0
.LBB54_3005:
	s_delay_alu instid0(SALU_CYCLE_1)
	s_and_b32 vcc_lo, exec_lo, s0
	s_cbranch_vccnz .LBB54_3185
; %bb.3006:
	s_and_not1_b32 vcc_lo, exec_lo, s5
	s_cbranch_vccnz .LBB54_3008
.LBB54_3007:
	v_cmp_ne_u32_e32 vcc_lo, 0, v2
	s_mov_b32 s7, -1
	s_wait_xcnt 0x0
	v_cndmask_b32_e64 v1, 0, 1, vcc_lo
	global_store_b8 v[4:5], v1, off
.LBB54_3008:
	s_mov_b32 s0, 0
	s_branch .LBB54_3010
.LBB54_3009:
	s_mov_b32 s0, -1
	s_mov_b32 s7, 0
.LBB54_3010:
	s_and_b32 vcc_lo, exec_lo, s0
	s_cbranch_vccz .LBB54_3049
; %bb.3011:
	s_and_b32 s0, 0xffff, s18
	s_mov_b32 s4, -1
	s_cmp_lt_i32 s0, 5
	s_cbranch_scc1 .LBB54_3032
; %bb.3012:
	s_cmp_lt_i32 s0, 8
	s_cbranch_scc1 .LBB54_3022
; %bb.3013:
	;; [unrolled: 3-line block ×3, first 2 shown]
	s_cmp_gt_i32 s0, 9
	s_cbranch_scc0 .LBB54_3016
; %bb.3015:
	s_wait_xcnt 0x0
	v_cvt_f64_i32_e32 v[6:7], v2
	v_mov_b32_e32 v8, 0
	s_mov_b32 s4, 0
	s_delay_alu instid0(VALU_DEP_1)
	v_mov_b32_e32 v9, v8
	global_store_b128 v[4:5], v[6:9], off
.LBB54_3016:
	s_and_not1_b32 vcc_lo, exec_lo, s4
	s_cbranch_vccnz .LBB54_3018
; %bb.3017:
	s_wait_xcnt 0x0
	v_cvt_f32_i32_e32 v6, v2
	v_mov_b32_e32 v7, 0
	global_store_b64 v[4:5], v[6:7], off
.LBB54_3018:
	s_mov_b32 s4, 0
.LBB54_3019:
	s_delay_alu instid0(SALU_CYCLE_1)
	s_and_not1_b32 vcc_lo, exec_lo, s4
	s_cbranch_vccnz .LBB54_3021
; %bb.3020:
	s_wait_xcnt 0x0
	v_cvt_f32_i32_e32 v1, v2
	s_delay_alu instid0(VALU_DEP_1) | instskip(NEXT) | instid1(VALU_DEP_1)
	v_cvt_f16_f32_e32 v1, v1
	v_and_b32_e32 v1, 0xffff, v1
	global_store_b32 v[4:5], v1, off
.LBB54_3021:
	s_mov_b32 s4, 0
.LBB54_3022:
	s_delay_alu instid0(SALU_CYCLE_1)
	s_and_not1_b32 vcc_lo, exec_lo, s4
	s_cbranch_vccnz .LBB54_3031
; %bb.3023:
	s_cmp_lt_i32 s0, 6
	s_mov_b32 s4, -1
	s_cbranch_scc1 .LBB54_3029
; %bb.3024:
	s_cmp_gt_i32 s0, 6
	s_cbranch_scc0 .LBB54_3026
; %bb.3025:
	s_wait_xcnt 0x0
	v_cvt_f64_i32_e32 v[6:7], v2
	s_mov_b32 s4, 0
	global_store_b64 v[4:5], v[6:7], off
.LBB54_3026:
	s_and_not1_b32 vcc_lo, exec_lo, s4
	s_cbranch_vccnz .LBB54_3028
; %bb.3027:
	s_wait_xcnt 0x0
	v_cvt_f32_i32_e32 v1, v2
	global_store_b32 v[4:5], v1, off
.LBB54_3028:
	s_mov_b32 s4, 0
.LBB54_3029:
	s_delay_alu instid0(SALU_CYCLE_1)
	s_and_not1_b32 vcc_lo, exec_lo, s4
	s_cbranch_vccnz .LBB54_3031
; %bb.3030:
	s_wait_xcnt 0x0
	v_cvt_f32_i32_e32 v1, v2
	s_delay_alu instid0(VALU_DEP_1)
	v_cvt_f16_f32_e32 v1, v1
	global_store_b16 v[4:5], v1, off
.LBB54_3031:
	s_mov_b32 s4, 0
.LBB54_3032:
	s_delay_alu instid0(SALU_CYCLE_1)
	s_and_not1_b32 vcc_lo, exec_lo, s4
	s_cbranch_vccnz .LBB54_3048
; %bb.3033:
	s_cmp_lt_i32 s0, 2
	s_mov_b32 s4, -1
	s_cbranch_scc1 .LBB54_3043
; %bb.3034:
	s_cmp_lt_i32 s0, 3
	s_cbranch_scc1 .LBB54_3040
; %bb.3035:
	s_cmp_gt_i32 s0, 3
	s_cbranch_scc0 .LBB54_3037
; %bb.3036:
	s_wait_xcnt 0x0
	v_ashrrev_i32_e32 v3, 31, v2
	s_mov_b32 s4, 0
	global_store_b64 v[4:5], v[2:3], off
.LBB54_3037:
	s_and_not1_b32 vcc_lo, exec_lo, s4
	s_cbranch_vccnz .LBB54_3039
; %bb.3038:
	global_store_b32 v[4:5], v2, off
.LBB54_3039:
	s_mov_b32 s4, 0
.LBB54_3040:
	s_delay_alu instid0(SALU_CYCLE_1)
	s_and_not1_b32 vcc_lo, exec_lo, s4
	s_cbranch_vccnz .LBB54_3042
; %bb.3041:
	global_store_b16 v[4:5], v2, off
.LBB54_3042:
	s_mov_b32 s4, 0
.LBB54_3043:
	s_delay_alu instid0(SALU_CYCLE_1)
	s_and_not1_b32 vcc_lo, exec_lo, s4
	s_cbranch_vccnz .LBB54_3048
; %bb.3044:
	s_cmp_gt_i32 s0, 0
	s_mov_b32 s0, -1
	s_cbranch_scc0 .LBB54_3046
; %bb.3045:
	s_mov_b32 s0, 0
	global_store_b8 v[4:5], v2, off
.LBB54_3046:
	s_and_not1_b32 vcc_lo, exec_lo, s0
	s_cbranch_vccnz .LBB54_3048
; %bb.3047:
	global_store_b8 v[4:5], v2, off
.LBB54_3048:
	s_mov_b32 s7, -1
.LBB54_3049:
	s_delay_alu instid0(SALU_CYCLE_1)
	s_and_not1_b32 vcc_lo, exec_lo, s7
	s_cbranch_vccnz .LBB54_3126
; %bb.3050:
	s_wait_xcnt 0x0
	v_mul_lo_u32 v2, v13, s6
	v_add_nc_u32_e32 v0, s1, v0
	s_cmp_lt_i32 s18, 11
	s_delay_alu instid0(VALU_DEP_1) | instskip(NEXT) | instid1(VALU_DEP_1)
	v_ashrrev_i32_e32 v1, 31, v0
	v_add_nc_u64_e32 v[0:1], s[2:3], v[0:1]
	s_delay_alu instid0(VALU_DEP_4)
	v_mul_lo_u32 v2, v2, v14
	s_cbranch_scc1 .LBB54_3171
; %bb.3051:
	s_and_b32 s2, 0xffff, s18
	s_mov_b32 s3, -1
	s_mov_b32 s1, 0
	s_cmp_gt_i32 s2, 25
	s_mov_b32 s0, 0
	s_cbranch_scc0 .LBB54_3084
; %bb.3052:
	s_cmp_gt_i32 s2, 28
	s_cbranch_scc0 .LBB54_3068
; %bb.3053:
	s_cmp_gt_i32 s2, 43
	;; [unrolled: 3-line block ×3, first 2 shown]
	s_cbranch_scc0 .LBB54_3058
; %bb.3055:
	s_cmp_eq_u32 s2, 46
	s_mov_b32 s0, -1
	s_cbranch_scc0 .LBB54_3057
; %bb.3056:
	v_cvt_f32_i32_e32 v3, v2
	s_mov_b32 s0, 0
	s_delay_alu instid0(VALU_DEP_1) | instskip(NEXT) | instid1(VALU_DEP_1)
	v_bfe_u32 v4, v3, 16, 1
	v_add3_u32 v3, v3, v4, 0x7fff
	s_delay_alu instid0(VALU_DEP_1)
	v_lshrrev_b32_e32 v3, 16, v3
	global_store_b32 v[0:1], v3, off
.LBB54_3057:
	s_mov_b32 s3, 0
.LBB54_3058:
	s_delay_alu instid0(SALU_CYCLE_1)
	s_and_b32 vcc_lo, exec_lo, s3
	s_cbranch_vccz .LBB54_3063
; %bb.3059:
	s_cmp_eq_u32 s2, 44
	s_mov_b32 s0, -1
	s_cbranch_scc0 .LBB54_3063
; %bb.3060:
	s_wait_xcnt 0x0
	v_cvt_f32_i32_e32 v3, v2
	v_mov_b32_e32 v4, 0xff
	s_mov_b32 s3, exec_lo
	s_delay_alu instid0(VALU_DEP_2) | instskip(NEXT) | instid1(VALU_DEP_1)
	v_bfe_u32 v5, v3, 23, 8
	v_cmpx_ne_u32_e32 0xff, v5
	s_cbranch_execz .LBB54_3062
; %bb.3061:
	v_and_b32_e32 v4, 0x400000, v3
	v_and_or_b32 v5, 0x3fffff, v3, v5
	v_lshrrev_b32_e32 v3, 23, v3
	s_delay_alu instid0(VALU_DEP_3) | instskip(NEXT) | instid1(VALU_DEP_3)
	v_cmp_ne_u32_e32 vcc_lo, 0, v4
	v_cmp_ne_u32_e64 s0, 0, v5
	s_and_b32 s0, vcc_lo, s0
	s_delay_alu instid0(SALU_CYCLE_1) | instskip(NEXT) | instid1(VALU_DEP_1)
	v_cndmask_b32_e64 v4, 0, 1, s0
	v_add_nc_u32_e32 v4, v3, v4
.LBB54_3062:
	s_or_b32 exec_lo, exec_lo, s3
	s_mov_b32 s0, 0
	global_store_b8 v[0:1], v4, off
.LBB54_3063:
	s_mov_b32 s3, 0
.LBB54_3064:
	s_delay_alu instid0(SALU_CYCLE_1)
	s_and_b32 vcc_lo, exec_lo, s3
	s_cbranch_vccz .LBB54_3067
; %bb.3065:
	s_cmp_eq_u32 s2, 29
	s_mov_b32 s0, -1
	s_cbranch_scc0 .LBB54_3067
; %bb.3066:
	s_wait_xcnt 0x0
	v_ashrrev_i32_e32 v3, 31, v2
	s_mov_b32 s0, 0
	global_store_b64 v[0:1], v[2:3], off
.LBB54_3067:
	s_mov_b32 s3, 0
.LBB54_3068:
	s_delay_alu instid0(SALU_CYCLE_1)
	s_and_b32 vcc_lo, exec_lo, s3
	s_cbranch_vccz .LBB54_3083
; %bb.3069:
	s_cmp_lt_i32 s2, 27
	s_mov_b32 s3, -1
	s_cbranch_scc1 .LBB54_3075
; %bb.3070:
	s_cmp_gt_i32 s2, 27
	s_cbranch_scc0 .LBB54_3072
; %bb.3071:
	s_mov_b32 s3, 0
	global_store_b32 v[0:1], v2, off
.LBB54_3072:
	s_and_not1_b32 vcc_lo, exec_lo, s3
	s_cbranch_vccnz .LBB54_3074
; %bb.3073:
	global_store_b16 v[0:1], v2, off
.LBB54_3074:
	s_mov_b32 s3, 0
.LBB54_3075:
	s_delay_alu instid0(SALU_CYCLE_1)
	s_and_not1_b32 vcc_lo, exec_lo, s3
	s_cbranch_vccnz .LBB54_3083
; %bb.3076:
	s_wait_xcnt 0x0
	v_cvt_f32_i32_e32 v3, v2
	v_mov_b32_e32 v5, 0x80
	s_mov_b32 s3, exec_lo
	s_delay_alu instid0(VALU_DEP_2) | instskip(NEXT) | instid1(VALU_DEP_1)
	v_and_b32_e32 v4, 0x7fffffff, v3
	v_cmpx_gt_u32_e32 0x43800000, v4
	s_cbranch_execz .LBB54_3082
; %bb.3077:
	v_cmp_lt_u32_e32 vcc_lo, 0x3bffffff, v4
	s_mov_b32 s4, 0
                                        ; implicit-def: $vgpr4
	s_and_saveexec_b32 s5, vcc_lo
	s_delay_alu instid0(SALU_CYCLE_1)
	s_xor_b32 s5, exec_lo, s5
	s_cbranch_execz .LBB54_3188
; %bb.3078:
	v_bfe_u32 v4, v3, 20, 1
	s_mov_b32 s4, exec_lo
	s_delay_alu instid0(VALU_DEP_1) | instskip(NEXT) | instid1(VALU_DEP_1)
	v_add3_u32 v4, v3, v4, 0x487ffff
	v_lshrrev_b32_e32 v4, 20, v4
	s_and_not1_saveexec_b32 s5, s5
	s_cbranch_execnz .LBB54_3189
.LBB54_3079:
	s_or_b32 exec_lo, exec_lo, s5
	v_mov_b32_e32 v5, 0
	s_and_saveexec_b32 s5, s4
.LBB54_3080:
	v_lshrrev_b32_e32 v3, 24, v3
	s_delay_alu instid0(VALU_DEP_1)
	v_and_or_b32 v5, 0x80, v3, v4
.LBB54_3081:
	s_or_b32 exec_lo, exec_lo, s5
.LBB54_3082:
	s_delay_alu instid0(SALU_CYCLE_1)
	s_or_b32 exec_lo, exec_lo, s3
	global_store_b8 v[0:1], v5, off
.LBB54_3083:
	s_mov_b32 s3, 0
.LBB54_3084:
	s_delay_alu instid0(SALU_CYCLE_1)
	s_and_b32 vcc_lo, exec_lo, s3
	s_cbranch_vccz .LBB54_3124
; %bb.3085:
	s_cmp_gt_i32 s2, 22
	s_mov_b32 s1, -1
	s_cbranch_scc0 .LBB54_3117
; %bb.3086:
	s_cmp_lt_i32 s2, 24
	s_cbranch_scc1 .LBB54_3106
; %bb.3087:
	s_cmp_gt_i32 s2, 24
	s_cbranch_scc0 .LBB54_3095
; %bb.3088:
	s_wait_xcnt 0x0
	v_cvt_f32_i32_e32 v3, v2
	v_mov_b32_e32 v5, 0x80
	s_mov_b32 s1, exec_lo
	s_delay_alu instid0(VALU_DEP_2) | instskip(NEXT) | instid1(VALU_DEP_1)
	v_and_b32_e32 v4, 0x7fffffff, v3
	v_cmpx_gt_u32_e32 0x47800000, v4
	s_cbranch_execz .LBB54_3094
; %bb.3089:
	v_cmp_lt_u32_e32 vcc_lo, 0x37ffffff, v4
	s_mov_b32 s3, 0
                                        ; implicit-def: $vgpr4
	s_and_saveexec_b32 s4, vcc_lo
	s_delay_alu instid0(SALU_CYCLE_1)
	s_xor_b32 s4, exec_lo, s4
	s_cbranch_execz .LBB54_3191
; %bb.3090:
	v_bfe_u32 v4, v3, 21, 1
	s_mov_b32 s3, exec_lo
	s_delay_alu instid0(VALU_DEP_1) | instskip(NEXT) | instid1(VALU_DEP_1)
	v_add3_u32 v4, v3, v4, 0x88fffff
	v_lshrrev_b32_e32 v4, 21, v4
	s_and_not1_saveexec_b32 s4, s4
	s_cbranch_execnz .LBB54_3192
.LBB54_3091:
	s_or_b32 exec_lo, exec_lo, s4
	v_mov_b32_e32 v5, 0
	s_and_saveexec_b32 s4, s3
.LBB54_3092:
	v_lshrrev_b32_e32 v3, 24, v3
	s_delay_alu instid0(VALU_DEP_1)
	v_and_or_b32 v5, 0x80, v3, v4
.LBB54_3093:
	s_or_b32 exec_lo, exec_lo, s4
.LBB54_3094:
	s_delay_alu instid0(SALU_CYCLE_1)
	s_or_b32 exec_lo, exec_lo, s1
	s_mov_b32 s1, 0
	global_store_b8 v[0:1], v5, off
.LBB54_3095:
	s_and_b32 vcc_lo, exec_lo, s1
	s_cbranch_vccz .LBB54_3105
; %bb.3096:
	s_wait_xcnt 0x0
	v_cvt_f32_i32_e32 v3, v2
	s_mov_b32 s1, exec_lo
                                        ; implicit-def: $vgpr4
	s_delay_alu instid0(VALU_DEP_1) | instskip(NEXT) | instid1(VALU_DEP_1)
	v_and_b32_e32 v5, 0x7fffffff, v3
	v_cmpx_gt_u32_e32 0x43f00000, v5
	s_xor_b32 s1, exec_lo, s1
	s_cbranch_execz .LBB54_3102
; %bb.3097:
	s_mov_b32 s3, exec_lo
                                        ; implicit-def: $vgpr4
	v_cmpx_lt_u32_e32 0x3c7fffff, v5
	s_xor_b32 s3, exec_lo, s3
; %bb.3098:
	v_bfe_u32 v4, v3, 20, 1
	s_delay_alu instid0(VALU_DEP_1) | instskip(NEXT) | instid1(VALU_DEP_1)
	v_add3_u32 v4, v3, v4, 0x407ffff
	v_and_b32_e32 v5, 0xff00000, v4
	v_lshrrev_b32_e32 v4, 20, v4
	s_delay_alu instid0(VALU_DEP_2) | instskip(NEXT) | instid1(VALU_DEP_2)
	v_cmp_ne_u32_e32 vcc_lo, 0x7f00000, v5
	v_cndmask_b32_e32 v4, 0x7e, v4, vcc_lo
; %bb.3099:
	s_and_not1_saveexec_b32 s3, s3
; %bb.3100:
	v_add_f32_e64 v4, 0x46800000, |v3|
; %bb.3101:
	s_or_b32 exec_lo, exec_lo, s3
                                        ; implicit-def: $vgpr5
.LBB54_3102:
	s_and_not1_saveexec_b32 s1, s1
; %bb.3103:
	v_mov_b32_e32 v4, 0x7f
	v_cmp_lt_u32_e32 vcc_lo, 0x7f800000, v5
	s_delay_alu instid0(VALU_DEP_2)
	v_cndmask_b32_e32 v4, 0x7e, v4, vcc_lo
; %bb.3104:
	s_or_b32 exec_lo, exec_lo, s1
	v_lshrrev_b32_e32 v3, 24, v3
	s_delay_alu instid0(VALU_DEP_1)
	v_and_or_b32 v3, 0x80, v3, v4
	global_store_b8 v[0:1], v3, off
.LBB54_3105:
	s_mov_b32 s1, 0
.LBB54_3106:
	s_delay_alu instid0(SALU_CYCLE_1)
	s_and_not1_b32 vcc_lo, exec_lo, s1
	s_cbranch_vccnz .LBB54_3116
; %bb.3107:
	s_wait_xcnt 0x0
	v_cvt_f32_i32_e32 v3, v2
	s_mov_b32 s1, exec_lo
                                        ; implicit-def: $vgpr4
	s_delay_alu instid0(VALU_DEP_1) | instskip(NEXT) | instid1(VALU_DEP_1)
	v_and_b32_e32 v5, 0x7fffffff, v3
	v_cmpx_gt_u32_e32 0x47800000, v5
	s_xor_b32 s1, exec_lo, s1
	s_cbranch_execz .LBB54_3113
; %bb.3108:
	s_mov_b32 s3, exec_lo
                                        ; implicit-def: $vgpr4
	v_cmpx_lt_u32_e32 0x387fffff, v5
	s_xor_b32 s3, exec_lo, s3
; %bb.3109:
	v_bfe_u32 v4, v3, 21, 1
	s_delay_alu instid0(VALU_DEP_1) | instskip(NEXT) | instid1(VALU_DEP_1)
	v_add3_u32 v4, v3, v4, 0x80fffff
	v_lshrrev_b32_e32 v4, 21, v4
; %bb.3110:
	s_and_not1_saveexec_b32 s3, s3
; %bb.3111:
	v_add_f32_e64 v4, 0x43000000, |v3|
; %bb.3112:
	s_or_b32 exec_lo, exec_lo, s3
                                        ; implicit-def: $vgpr5
.LBB54_3113:
	s_and_not1_saveexec_b32 s1, s1
; %bb.3114:
	v_mov_b32_e32 v4, 0x7f
	v_cmp_lt_u32_e32 vcc_lo, 0x7f800000, v5
	s_delay_alu instid0(VALU_DEP_2)
	v_cndmask_b32_e32 v4, 0x7c, v4, vcc_lo
; %bb.3115:
	s_or_b32 exec_lo, exec_lo, s1
	v_lshrrev_b32_e32 v3, 24, v3
	s_delay_alu instid0(VALU_DEP_1)
	v_and_or_b32 v3, 0x80, v3, v4
	global_store_b8 v[0:1], v3, off
.LBB54_3116:
	s_mov_b32 s1, 0
.LBB54_3117:
	s_delay_alu instid0(SALU_CYCLE_1)
	s_and_not1_b32 vcc_lo, exec_lo, s1
	s_mov_b32 s1, 0
	s_cbranch_vccnz .LBB54_3124
; %bb.3118:
	s_cmp_gt_i32 s2, 14
	s_mov_b32 s1, -1
	s_cbranch_scc0 .LBB54_3122
; %bb.3119:
	s_cmp_eq_u32 s2, 15
	s_mov_b32 s0, -1
	s_cbranch_scc0 .LBB54_3121
; %bb.3120:
	s_wait_xcnt 0x0
	v_cvt_f32_i32_e32 v3, v2
	s_mov_b32 s0, 0
	s_delay_alu instid0(VALU_DEP_1) | instskip(NEXT) | instid1(VALU_DEP_1)
	v_bfe_u32 v4, v3, 16, 1
	v_add3_u32 v3, v3, v4, 0x7fff
	global_store_d16_hi_b16 v[0:1], v3, off
.LBB54_3121:
	s_mov_b32 s1, 0
.LBB54_3122:
	s_delay_alu instid0(SALU_CYCLE_1)
	s_and_b32 vcc_lo, exec_lo, s1
	s_mov_b32 s1, 0
	s_cbranch_vccz .LBB54_3124
; %bb.3123:
	s_cmp_lg_u32 s2, 11
	s_mov_b32 s1, -1
	s_cselect_b32 s0, -1, 0
.LBB54_3124:
	s_delay_alu instid0(SALU_CYCLE_1)
	s_and_b32 vcc_lo, exec_lo, s0
	s_cbranch_vccnz .LBB54_3190
.LBB54_3125:
	s_mov_b32 s0, 0
	s_branch .LBB54_3127
.LBB54_3126:
	s_mov_b32 s0, 0
	s_mov_b32 s1, 0
                                        ; implicit-def: $sgpr18
                                        ; implicit-def: $vgpr0_vgpr1
                                        ; implicit-def: $vgpr2
.LBB54_3127:
	s_and_not1_b32 s2, s17, exec_lo
	s_and_b32 s3, s14, exec_lo
	s_and_b32 s0, s0, exec_lo
	;; [unrolled: 1-line block ×3, first 2 shown]
	s_or_b32 s17, s2, s3
.LBB54_3128:
	s_wait_xcnt 0x0
	s_or_b32 exec_lo, exec_lo, s16
	s_and_saveexec_b32 s1, s17
	s_cbranch_execz .LBB54_3131
; %bb.3129:
	; divergent unreachable
	s_or_b32 exec_lo, exec_lo, s1
	s_and_saveexec_b32 s1, s14
	s_delay_alu instid0(SALU_CYCLE_1)
	s_xor_b32 s1, exec_lo, s1
	s_cbranch_execnz .LBB54_3132
.LBB54_3130:
	s_or_b32 exec_lo, exec_lo, s1
	s_and_saveexec_b32 s1, s0
	s_cbranch_execnz .LBB54_3133
	s_branch .LBB54_3170
.LBB54_3131:
	s_or_b32 exec_lo, exec_lo, s1
	s_and_saveexec_b32 s1, s14
	s_delay_alu instid0(SALU_CYCLE_1)
	s_xor_b32 s1, exec_lo, s1
	s_cbranch_execz .LBB54_3130
.LBB54_3132:
	s_wait_loadcnt 0x0
	v_cmp_ne_u32_e32 vcc_lo, 0, v2
	v_cndmask_b32_e64 v3, 0, 1, vcc_lo
	global_store_b8 v[0:1], v3, off
	s_wait_xcnt 0x0
	s_or_b32 exec_lo, exec_lo, s1
	s_and_saveexec_b32 s1, s0
	s_cbranch_execz .LBB54_3170
.LBB54_3133:
	s_sext_i32_i16 s1, s18
	s_mov_b32 s0, -1
	s_cmp_lt_i32 s1, 5
	s_cbranch_scc1 .LBB54_3154
; %bb.3134:
	s_cmp_lt_i32 s1, 8
	s_cbranch_scc1 .LBB54_3144
; %bb.3135:
	s_cmp_lt_i32 s1, 9
	s_cbranch_scc1 .LBB54_3141
; %bb.3136:
	s_cmp_gt_i32 s1, 9
	s_cbranch_scc0 .LBB54_3138
; %bb.3137:
	s_wait_loadcnt 0x0
	v_cvt_f64_i32_e32 v[4:5], v2
	v_mov_b32_e32 v6, 0
	s_mov_b32 s0, 0
	s_delay_alu instid0(VALU_DEP_1)
	v_mov_b32_e32 v7, v6
	global_store_b128 v[0:1], v[4:7], off
.LBB54_3138:
	s_and_not1_b32 vcc_lo, exec_lo, s0
	s_cbranch_vccnz .LBB54_3140
; %bb.3139:
	s_wait_loadcnt 0x0
	v_cvt_f32_i32_e32 v4, v2
	v_mov_b32_e32 v5, 0
	global_store_b64 v[0:1], v[4:5], off
.LBB54_3140:
	s_mov_b32 s0, 0
.LBB54_3141:
	s_delay_alu instid0(SALU_CYCLE_1)
	s_and_not1_b32 vcc_lo, exec_lo, s0
	s_cbranch_vccnz .LBB54_3143
; %bb.3142:
	s_wait_loadcnt 0x0
	v_cvt_f32_i32_e32 v3, v2
	s_delay_alu instid0(VALU_DEP_1) | instskip(NEXT) | instid1(VALU_DEP_1)
	v_cvt_f16_f32_e32 v3, v3
	v_and_b32_e32 v3, 0xffff, v3
	global_store_b32 v[0:1], v3, off
.LBB54_3143:
	s_mov_b32 s0, 0
.LBB54_3144:
	s_delay_alu instid0(SALU_CYCLE_1)
	s_and_not1_b32 vcc_lo, exec_lo, s0
	s_cbranch_vccnz .LBB54_3153
; %bb.3145:
	s_sext_i32_i16 s1, s18
	s_mov_b32 s0, -1
	s_cmp_lt_i32 s1, 6
	s_cbranch_scc1 .LBB54_3151
; %bb.3146:
	s_cmp_gt_i32 s1, 6
	s_cbranch_scc0 .LBB54_3148
; %bb.3147:
	s_wait_loadcnt 0x0
	v_cvt_f64_i32_e32 v[4:5], v2
	s_mov_b32 s0, 0
	global_store_b64 v[0:1], v[4:5], off
.LBB54_3148:
	s_and_not1_b32 vcc_lo, exec_lo, s0
	s_cbranch_vccnz .LBB54_3150
; %bb.3149:
	s_wait_loadcnt 0x0
	v_cvt_f32_i32_e32 v3, v2
	global_store_b32 v[0:1], v3, off
.LBB54_3150:
	s_mov_b32 s0, 0
.LBB54_3151:
	s_delay_alu instid0(SALU_CYCLE_1)
	s_and_not1_b32 vcc_lo, exec_lo, s0
	s_cbranch_vccnz .LBB54_3153
; %bb.3152:
	s_wait_loadcnt 0x0
	v_cvt_f32_i32_e32 v3, v2
	s_delay_alu instid0(VALU_DEP_1)
	v_cvt_f16_f32_e32 v3, v3
	global_store_b16 v[0:1], v3, off
.LBB54_3153:
	s_mov_b32 s0, 0
.LBB54_3154:
	s_delay_alu instid0(SALU_CYCLE_1)
	s_and_not1_b32 vcc_lo, exec_lo, s0
	s_cbranch_vccnz .LBB54_3170
; %bb.3155:
	s_sext_i32_i16 s1, s18
	s_mov_b32 s0, -1
	s_cmp_lt_i32 s1, 2
	s_cbranch_scc1 .LBB54_3165
; %bb.3156:
	s_cmp_lt_i32 s1, 3
	s_cbranch_scc1 .LBB54_3162
; %bb.3157:
	s_cmp_gt_i32 s1, 3
	s_cbranch_scc0 .LBB54_3159
; %bb.3158:
	s_wait_loadcnt 0x0
	v_ashrrev_i32_e32 v3, 31, v2
	s_mov_b32 s0, 0
	global_store_b64 v[0:1], v[2:3], off
.LBB54_3159:
	s_and_not1_b32 vcc_lo, exec_lo, s0
	s_cbranch_vccnz .LBB54_3161
; %bb.3160:
	s_wait_loadcnt 0x0
	global_store_b32 v[0:1], v2, off
.LBB54_3161:
	s_mov_b32 s0, 0
.LBB54_3162:
	s_delay_alu instid0(SALU_CYCLE_1)
	s_and_not1_b32 vcc_lo, exec_lo, s0
	s_cbranch_vccnz .LBB54_3164
; %bb.3163:
	s_wait_loadcnt 0x0
	global_store_b16 v[0:1], v2, off
.LBB54_3164:
	s_mov_b32 s0, 0
.LBB54_3165:
	s_delay_alu instid0(SALU_CYCLE_1)
	s_and_not1_b32 vcc_lo, exec_lo, s0
	s_cbranch_vccnz .LBB54_3170
; %bb.3166:
	s_sext_i32_i16 s0, s18
	s_delay_alu instid0(SALU_CYCLE_1)
	s_cmp_gt_i32 s0, 0
	s_mov_b32 s0, -1
	s_cbranch_scc0 .LBB54_3168
; %bb.3167:
	s_mov_b32 s0, 0
	s_wait_loadcnt 0x0
	global_store_b8 v[0:1], v2, off
.LBB54_3168:
	s_and_not1_b32 vcc_lo, exec_lo, s0
	s_cbranch_vccnz .LBB54_3170
; %bb.3169:
	s_wait_loadcnt 0x0
	global_store_b8 v[0:1], v2, off
	s_endpgm
.LBB54_3170:
	s_endpgm
.LBB54_3171:
	s_mov_b32 s1, 0
	s_mov_b32 s0, -1
	s_branch .LBB54_3127
.LBB54_3172:
	s_or_b32 s14, s14, exec_lo
	s_trap 2
	s_cbranch_execz .LBB54_2641
	s_branch .LBB54_2642
.LBB54_3173:
	s_and_not1_saveexec_b32 s8, s8
	s_cbranch_execz .LBB54_2721
.LBB54_3174:
	v_add_f32_e64 v3, 0x46000000, |v1|
	s_and_not1_b32 s7, s7, exec_lo
	s_delay_alu instid0(VALU_DEP_1) | instskip(NEXT) | instid1(VALU_DEP_1)
	v_and_b32_e32 v3, 0xff, v3
	v_cmp_ne_u32_e32 vcc_lo, 0, v3
	s_and_b32 s9, vcc_lo, exec_lo
	s_delay_alu instid0(SALU_CYCLE_1)
	s_or_b32 s7, s7, s9
	s_or_b32 exec_lo, exec_lo, s8
	v_mov_b32_e32 v6, 0
	s_and_saveexec_b32 s8, s7
	s_cbranch_execnz .LBB54_2722
	s_branch .LBB54_2723
.LBB54_3175:
	s_or_b32 s14, s14, exec_lo
	s_trap 2
	s_cbranch_execz .LBB54_2769
	s_branch .LBB54_2770
.LBB54_3176:
	s_and_not1_saveexec_b32 s7, s7
	s_cbranch_execz .LBB54_2734
.LBB54_3177:
	v_add_f32_e64 v3, 0x42800000, |v1|
	s_and_not1_b32 s5, s5, exec_lo
	s_delay_alu instid0(VALU_DEP_1) | instskip(NEXT) | instid1(VALU_DEP_1)
	v_and_b32_e32 v3, 0xff, v3
	v_cmp_ne_u32_e32 vcc_lo, 0, v3
	s_and_b32 s8, vcc_lo, exec_lo
	s_delay_alu instid0(SALU_CYCLE_1)
	s_or_b32 s5, s5, s8
	s_or_b32 exec_lo, exec_lo, s7
	v_mov_b32_e32 v6, 0
	s_and_saveexec_b32 s7, s5
	s_cbranch_execnz .LBB54_2735
	s_branch .LBB54_2736
.LBB54_3178:
	s_and_not1_saveexec_b32 s9, s9
	s_cbranch_execz .LBB54_2840
.LBB54_3179:
	v_add_f32_e64 v3, 0x46000000, |v1|
	s_and_not1_b32 s8, s8, exec_lo
	s_delay_alu instid0(VALU_DEP_1) | instskip(NEXT) | instid1(VALU_DEP_1)
	v_and_b32_e32 v3, 0xff, v3
	v_cmp_ne_u32_e32 vcc_lo, 0, v3
	s_and_b32 s10, vcc_lo, exec_lo
	s_delay_alu instid0(SALU_CYCLE_1)
	s_or_b32 s8, s8, s10
	s_or_b32 exec_lo, exec_lo, s9
	v_mov_b32_e32 v6, 0
	s_and_saveexec_b32 s9, s8
	s_cbranch_execnz .LBB54_2841
	s_branch .LBB54_2842
.LBB54_3180:
	s_or_b32 s14, s14, exec_lo
	s_trap 2
	s_cbranch_execz .LBB54_2888
	s_branch .LBB54_2889
.LBB54_3181:
	s_and_not1_saveexec_b32 s8, s8
	s_cbranch_execz .LBB54_2853
.LBB54_3182:
	v_add_f32_e64 v3, 0x42800000, |v1|
	s_and_not1_b32 s7, s7, exec_lo
	s_delay_alu instid0(VALU_DEP_1) | instskip(NEXT) | instid1(VALU_DEP_1)
	v_and_b32_e32 v3, 0xff, v3
	v_cmp_ne_u32_e32 vcc_lo, 0, v3
	s_and_b32 s9, vcc_lo, exec_lo
	s_delay_alu instid0(SALU_CYCLE_1)
	s_or_b32 s7, s7, s9
	s_or_b32 exec_lo, exec_lo, s8
	v_mov_b32_e32 v6, 0
	s_and_saveexec_b32 s8, s7
	s_cbranch_execnz .LBB54_2854
	s_branch .LBB54_2855
.LBB54_3183:
	s_and_not1_saveexec_b32 s9, s9
	s_cbranch_execz .LBB54_2959
.LBB54_3184:
	v_add_f32_e64 v3, 0x46000000, |v1|
	s_and_not1_b32 s8, s8, exec_lo
	s_delay_alu instid0(VALU_DEP_1) | instskip(NEXT) | instid1(VALU_DEP_1)
	v_and_b32_e32 v3, 0xff, v3
	v_cmp_ne_u32_e32 vcc_lo, 0, v3
	s_and_b32 s10, vcc_lo, exec_lo
	s_delay_alu instid0(SALU_CYCLE_1)
	s_or_b32 s8, s8, s10
	s_or_b32 exec_lo, exec_lo, s9
	v_mov_b32_e32 v6, 0
	s_and_saveexec_b32 s9, s8
	s_cbranch_execnz .LBB54_2960
	s_branch .LBB54_2961
.LBB54_3185:
	s_or_b32 s14, s14, exec_lo
	s_trap 2
	s_cbranch_execz .LBB54_3007
	s_branch .LBB54_3008
.LBB54_3186:
	s_and_not1_saveexec_b32 s8, s8
	s_cbranch_execz .LBB54_2972
.LBB54_3187:
	v_add_f32_e64 v3, 0x42800000, |v1|
	s_and_not1_b32 s7, s7, exec_lo
	s_delay_alu instid0(VALU_DEP_1) | instskip(NEXT) | instid1(VALU_DEP_1)
	v_and_b32_e32 v3, 0xff, v3
	v_cmp_ne_u32_e32 vcc_lo, 0, v3
	s_and_b32 s9, vcc_lo, exec_lo
	s_delay_alu instid0(SALU_CYCLE_1)
	s_or_b32 s7, s7, s9
	s_or_b32 exec_lo, exec_lo, s8
	v_mov_b32_e32 v6, 0
	s_and_saveexec_b32 s8, s7
	s_cbranch_execnz .LBB54_2973
	s_branch .LBB54_2974
.LBB54_3188:
	s_and_not1_saveexec_b32 s5, s5
	s_cbranch_execz .LBB54_3079
.LBB54_3189:
	v_add_f32_e64 v4, 0x46000000, |v3|
	s_and_not1_b32 s4, s4, exec_lo
	s_delay_alu instid0(VALU_DEP_1) | instskip(NEXT) | instid1(VALU_DEP_1)
	v_and_b32_e32 v4, 0xff, v4
	v_cmp_ne_u32_e32 vcc_lo, 0, v4
	s_and_b32 s6, vcc_lo, exec_lo
	s_delay_alu instid0(SALU_CYCLE_1)
	s_or_b32 s4, s4, s6
	s_or_b32 exec_lo, exec_lo, s5
	v_mov_b32_e32 v5, 0
	s_and_saveexec_b32 s5, s4
	s_cbranch_execnz .LBB54_3080
	s_branch .LBB54_3081
.LBB54_3190:
	s_mov_b32 s1, 0
	s_or_b32 s14, s14, exec_lo
	s_trap 2
	s_branch .LBB54_3125
.LBB54_3191:
	s_and_not1_saveexec_b32 s4, s4
	s_cbranch_execz .LBB54_3091
.LBB54_3192:
	v_add_f32_e64 v4, 0x42800000, |v3|
	s_and_not1_b32 s3, s3, exec_lo
	s_delay_alu instid0(VALU_DEP_1) | instskip(NEXT) | instid1(VALU_DEP_1)
	v_and_b32_e32 v4, 0xff, v4
	v_cmp_ne_u32_e32 vcc_lo, 0, v4
	s_and_b32 s5, vcc_lo, exec_lo
	s_delay_alu instid0(SALU_CYCLE_1)
	s_or_b32 s3, s3, s5
	s_or_b32 exec_lo, exec_lo, s4
	v_mov_b32_e32 v5, 0
	s_and_saveexec_b32 s4, s3
	s_cbranch_execnz .LBB54_3092
	s_branch .LBB54_3093
	.section	.rodata,"a",@progbits
	.p2align	6, 0x0
	.amdhsa_kernel _ZN2at6native32elementwise_kernel_manual_unrollILi128ELi4EZNS0_15gpu_kernel_implIZZZNS0_12_GLOBAL__N_116addr_kernel_cudaERNS_14TensorIteratorERKN3c106ScalarES9_ENKUlvE_clEvENKUlvE1_clEvEUliiiE_EEvRNS_18TensorIteratorBaseERKT_EUlibE_EEviT1_
		.amdhsa_group_segment_fixed_size 0
		.amdhsa_private_segment_fixed_size 0
		.amdhsa_kernarg_size 64
		.amdhsa_user_sgpr_count 2
		.amdhsa_user_sgpr_dispatch_ptr 0
		.amdhsa_user_sgpr_queue_ptr 0
		.amdhsa_user_sgpr_kernarg_segment_ptr 1
		.amdhsa_user_sgpr_dispatch_id 0
		.amdhsa_user_sgpr_kernarg_preload_length 0
		.amdhsa_user_sgpr_kernarg_preload_offset 0
		.amdhsa_user_sgpr_private_segment_size 0
		.amdhsa_wavefront_size32 1
		.amdhsa_uses_dynamic_stack 0
		.amdhsa_enable_private_segment 0
		.amdhsa_system_sgpr_workgroup_id_x 1
		.amdhsa_system_sgpr_workgroup_id_y 0
		.amdhsa_system_sgpr_workgroup_id_z 0
		.amdhsa_system_sgpr_workgroup_info 0
		.amdhsa_system_vgpr_workitem_id 0
		.amdhsa_next_free_vgpr 20
		.amdhsa_next_free_sgpr 39
		.amdhsa_named_barrier_count 0
		.amdhsa_reserve_vcc 1
		.amdhsa_float_round_mode_32 0
		.amdhsa_float_round_mode_16_64 0
		.amdhsa_float_denorm_mode_32 3
		.amdhsa_float_denorm_mode_16_64 3
		.amdhsa_fp16_overflow 0
		.amdhsa_memory_ordered 1
		.amdhsa_forward_progress 1
		.amdhsa_inst_pref_size 255
		.amdhsa_round_robin_scheduling 0
		.amdhsa_exception_fp_ieee_invalid_op 0
		.amdhsa_exception_fp_denorm_src 0
		.amdhsa_exception_fp_ieee_div_zero 0
		.amdhsa_exception_fp_ieee_overflow 0
		.amdhsa_exception_fp_ieee_underflow 0
		.amdhsa_exception_fp_ieee_inexact 0
		.amdhsa_exception_int_div_zero 0
	.end_amdhsa_kernel
	.section	.text._ZN2at6native32elementwise_kernel_manual_unrollILi128ELi4EZNS0_15gpu_kernel_implIZZZNS0_12_GLOBAL__N_116addr_kernel_cudaERNS_14TensorIteratorERKN3c106ScalarES9_ENKUlvE_clEvENKUlvE1_clEvEUliiiE_EEvRNS_18TensorIteratorBaseERKT_EUlibE_EEviT1_,"axG",@progbits,_ZN2at6native32elementwise_kernel_manual_unrollILi128ELi4EZNS0_15gpu_kernel_implIZZZNS0_12_GLOBAL__N_116addr_kernel_cudaERNS_14TensorIteratorERKN3c106ScalarES9_ENKUlvE_clEvENKUlvE1_clEvEUliiiE_EEvRNS_18TensorIteratorBaseERKT_EUlibE_EEviT1_,comdat
.Lfunc_end54:
	.size	_ZN2at6native32elementwise_kernel_manual_unrollILi128ELi4EZNS0_15gpu_kernel_implIZZZNS0_12_GLOBAL__N_116addr_kernel_cudaERNS_14TensorIteratorERKN3c106ScalarES9_ENKUlvE_clEvENKUlvE1_clEvEUliiiE_EEvRNS_18TensorIteratorBaseERKT_EUlibE_EEviT1_, .Lfunc_end54-_ZN2at6native32elementwise_kernel_manual_unrollILi128ELi4EZNS0_15gpu_kernel_implIZZZNS0_12_GLOBAL__N_116addr_kernel_cudaERNS_14TensorIteratorERKN3c106ScalarES9_ENKUlvE_clEvENKUlvE1_clEvEUliiiE_EEvRNS_18TensorIteratorBaseERKT_EUlibE_EEviT1_
                                        ; -- End function
	.set _ZN2at6native32elementwise_kernel_manual_unrollILi128ELi4EZNS0_15gpu_kernel_implIZZZNS0_12_GLOBAL__N_116addr_kernel_cudaERNS_14TensorIteratorERKN3c106ScalarES9_ENKUlvE_clEvENKUlvE1_clEvEUliiiE_EEvRNS_18TensorIteratorBaseERKT_EUlibE_EEviT1_.num_vgpr, 20
	.set _ZN2at6native32elementwise_kernel_manual_unrollILi128ELi4EZNS0_15gpu_kernel_implIZZZNS0_12_GLOBAL__N_116addr_kernel_cudaERNS_14TensorIteratorERKN3c106ScalarES9_ENKUlvE_clEvENKUlvE1_clEvEUliiiE_EEvRNS_18TensorIteratorBaseERKT_EUlibE_EEviT1_.num_agpr, 0
	.set _ZN2at6native32elementwise_kernel_manual_unrollILi128ELi4EZNS0_15gpu_kernel_implIZZZNS0_12_GLOBAL__N_116addr_kernel_cudaERNS_14TensorIteratorERKN3c106ScalarES9_ENKUlvE_clEvENKUlvE1_clEvEUliiiE_EEvRNS_18TensorIteratorBaseERKT_EUlibE_EEviT1_.numbered_sgpr, 39
	.set _ZN2at6native32elementwise_kernel_manual_unrollILi128ELi4EZNS0_15gpu_kernel_implIZZZNS0_12_GLOBAL__N_116addr_kernel_cudaERNS_14TensorIteratorERKN3c106ScalarES9_ENKUlvE_clEvENKUlvE1_clEvEUliiiE_EEvRNS_18TensorIteratorBaseERKT_EUlibE_EEviT1_.num_named_barrier, 0
	.set _ZN2at6native32elementwise_kernel_manual_unrollILi128ELi4EZNS0_15gpu_kernel_implIZZZNS0_12_GLOBAL__N_116addr_kernel_cudaERNS_14TensorIteratorERKN3c106ScalarES9_ENKUlvE_clEvENKUlvE1_clEvEUliiiE_EEvRNS_18TensorIteratorBaseERKT_EUlibE_EEviT1_.private_seg_size, 0
	.set _ZN2at6native32elementwise_kernel_manual_unrollILi128ELi4EZNS0_15gpu_kernel_implIZZZNS0_12_GLOBAL__N_116addr_kernel_cudaERNS_14TensorIteratorERKN3c106ScalarES9_ENKUlvE_clEvENKUlvE1_clEvEUliiiE_EEvRNS_18TensorIteratorBaseERKT_EUlibE_EEviT1_.uses_vcc, 1
	.set _ZN2at6native32elementwise_kernel_manual_unrollILi128ELi4EZNS0_15gpu_kernel_implIZZZNS0_12_GLOBAL__N_116addr_kernel_cudaERNS_14TensorIteratorERKN3c106ScalarES9_ENKUlvE_clEvENKUlvE1_clEvEUliiiE_EEvRNS_18TensorIteratorBaseERKT_EUlibE_EEviT1_.uses_flat_scratch, 0
	.set _ZN2at6native32elementwise_kernel_manual_unrollILi128ELi4EZNS0_15gpu_kernel_implIZZZNS0_12_GLOBAL__N_116addr_kernel_cudaERNS_14TensorIteratorERKN3c106ScalarES9_ENKUlvE_clEvENKUlvE1_clEvEUliiiE_EEvRNS_18TensorIteratorBaseERKT_EUlibE_EEviT1_.has_dyn_sized_stack, 0
	.set _ZN2at6native32elementwise_kernel_manual_unrollILi128ELi4EZNS0_15gpu_kernel_implIZZZNS0_12_GLOBAL__N_116addr_kernel_cudaERNS_14TensorIteratorERKN3c106ScalarES9_ENKUlvE_clEvENKUlvE1_clEvEUliiiE_EEvRNS_18TensorIteratorBaseERKT_EUlibE_EEviT1_.has_recursion, 0
	.set _ZN2at6native32elementwise_kernel_manual_unrollILi128ELi4EZNS0_15gpu_kernel_implIZZZNS0_12_GLOBAL__N_116addr_kernel_cudaERNS_14TensorIteratorERKN3c106ScalarES9_ENKUlvE_clEvENKUlvE1_clEvEUliiiE_EEvRNS_18TensorIteratorBaseERKT_EUlibE_EEviT1_.has_indirect_call, 0
	.section	.AMDGPU.csdata,"",@progbits
; Kernel info:
; codeLenInByte = 53948
; TotalNumSgprs: 41
; NumVgprs: 20
; ScratchSize: 0
; MemoryBound: 1
; FloatMode: 240
; IeeeMode: 1
; LDSByteSize: 0 bytes/workgroup (compile time only)
; SGPRBlocks: 0
; VGPRBlocks: 1
; NumSGPRsForWavesPerEU: 41
; NumVGPRsForWavesPerEU: 20
; NamedBarCnt: 0
; Occupancy: 16
; WaveLimiterHint : 0
; COMPUTE_PGM_RSRC2:SCRATCH_EN: 0
; COMPUTE_PGM_RSRC2:USER_SGPR: 2
; COMPUTE_PGM_RSRC2:TRAP_HANDLER: 0
; COMPUTE_PGM_RSRC2:TGID_X_EN: 1
; COMPUTE_PGM_RSRC2:TGID_Y_EN: 0
; COMPUTE_PGM_RSRC2:TGID_Z_EN: 0
; COMPUTE_PGM_RSRC2:TIDIG_COMP_CNT: 0
	.section	.text._ZN2at6native32elementwise_kernel_manual_unrollILi128ELi4EZNS0_15gpu_kernel_implIZZZNS0_12_GLOBAL__N_116addr_kernel_cudaERNS_14TensorIteratorERKN3c106ScalarES9_ENKUlvE_clEvENKUlvE1_clEvEUliiiE_EEvRNS_18TensorIteratorBaseERKT_EUlibE0_EEviT1_,"axG",@progbits,_ZN2at6native32elementwise_kernel_manual_unrollILi128ELi4EZNS0_15gpu_kernel_implIZZZNS0_12_GLOBAL__N_116addr_kernel_cudaERNS_14TensorIteratorERKN3c106ScalarES9_ENKUlvE_clEvENKUlvE1_clEvEUliiiE_EEvRNS_18TensorIteratorBaseERKT_EUlibE0_EEviT1_,comdat
	.globl	_ZN2at6native32elementwise_kernel_manual_unrollILi128ELi4EZNS0_15gpu_kernel_implIZZZNS0_12_GLOBAL__N_116addr_kernel_cudaERNS_14TensorIteratorERKN3c106ScalarES9_ENKUlvE_clEvENKUlvE1_clEvEUliiiE_EEvRNS_18TensorIteratorBaseERKT_EUlibE0_EEviT1_ ; -- Begin function _ZN2at6native32elementwise_kernel_manual_unrollILi128ELi4EZNS0_15gpu_kernel_implIZZZNS0_12_GLOBAL__N_116addr_kernel_cudaERNS_14TensorIteratorERKN3c106ScalarES9_ENKUlvE_clEvENKUlvE1_clEvEUliiiE_EEvRNS_18TensorIteratorBaseERKT_EUlibE0_EEviT1_
	.p2align	8
	.type	_ZN2at6native32elementwise_kernel_manual_unrollILi128ELi4EZNS0_15gpu_kernel_implIZZZNS0_12_GLOBAL__N_116addr_kernel_cudaERNS_14TensorIteratorERKN3c106ScalarES9_ENKUlvE_clEvENKUlvE1_clEvEUliiiE_EEvRNS_18TensorIteratorBaseERKT_EUlibE0_EEviT1_,@function
_ZN2at6native32elementwise_kernel_manual_unrollILi128ELi4EZNS0_15gpu_kernel_implIZZZNS0_12_GLOBAL__N_116addr_kernel_cudaERNS_14TensorIteratorERKN3c106ScalarES9_ENKUlvE_clEvENKUlvE1_clEvEUliiiE_EEvRNS_18TensorIteratorBaseERKT_EUlibE0_EEviT1_: ; @_ZN2at6native32elementwise_kernel_manual_unrollILi128ELi4EZNS0_15gpu_kernel_implIZZZNS0_12_GLOBAL__N_116addr_kernel_cudaERNS_14TensorIteratorERKN3c106ScalarES9_ENKUlvE_clEvENKUlvE1_clEvEUliiiE_EEvRNS_18TensorIteratorBaseERKT_EUlibE0_EEviT1_
; %bb.0:
	s_clause 0x1
	s_load_b32 s15, s[0:1], 0x8
	s_load_b32 s40, s[0:1], 0x0
	s_bfe_u32 s2, ttmp6, 0x4000c
	s_and_b32 s3, ttmp6, 15
	s_add_co_i32 s2, s2, 1
	s_getreg_b32 s4, hwreg(HW_REG_IB_STS2, 6, 4)
	s_mul_i32 s2, ttmp9, s2
	s_mov_b32 s31, 0
	s_add_co_i32 s3, s3, s2
	s_cmp_eq_u32 s4, 0
	s_mov_b32 s26, -1
	s_cselect_b32 s2, ttmp9, s3
	s_mov_b32 s8, 0
	v_lshl_or_b32 v0, s2, 9, v0
	s_add_nc_u64 s[2:3], s[0:1], 8
	s_wait_xcnt 0x0
	s_mov_b32 s0, exec_lo
	s_delay_alu instid0(VALU_DEP_1) | instskip(SKIP_2) | instid1(SALU_CYCLE_1)
	v_or_b32_e32 v1, 0x180, v0
	s_wait_kmcnt 0x0
	s_add_co_i32 s30, s15, -1
	s_cmp_gt_u32 s30, 1
	s_cselect_b32 s33, -1, 0
	v_cmpx_le_i32_e64 s40, v1
	s_xor_b32 s34, exec_lo, s0
	s_cbranch_execz .LBB55_1638
; %bb.1:
	s_clause 0x7
	s_load_b128 s[8:11], s[2:3], 0x4
	s_load_b64 s[0:1], s[2:3], 0x14
	s_load_b64 s[16:17], s[2:3], 0x1e8
	s_load_b32 s37, s[2:3], 0xc4
	s_load_b96 s[12:14], s[2:3], 0xcc
	s_load_b64 s[22:23], s[2:3], 0xdc
	s_load_b64 s[18:19], s[2:3], 0x1c8
	s_load_b128 s[4:7], s[2:3], 0x1d8
	s_cmp_lg_u32 s15, 0
	s_mov_b32 s21, 0
	s_cselect_b32 s41, -1, 0
	s_min_u32 s39, s30, 15
	s_cmp_gt_u32 s15, 1
	s_mov_b32 s25, s21
	s_cselect_b32 s38, -1, 0
	s_mov_b32 s45, s21
	s_mov_b32 s44, s21
	s_mov_b32 s43, s21
	s_mov_b32 s42, s21
	s_mov_b32 s46, exec_lo
	s_wait_kmcnt 0x0
	s_mov_b32 s20, s9
	s_mov_b32 s24, s0
	s_lshr_b32 s35, s17, 16
	s_lshr_b32 s36, s17, 8
	;; [unrolled: 1-line block ×3, first 2 shown]
	v_cmpx_gt_i32_e64 s40, v0
	s_cbranch_execz .LBB55_405
; %bb.2:
	s_and_not1_b32 vcc_lo, exec_lo, s33
	s_cbranch_vccnz .LBB55_8
; %bb.3:
	s_and_not1_b32 vcc_lo, exec_lo, s41
	s_cbranch_vccnz .LBB55_9
; %bb.4:
	v_dual_mov_b32 v2, 0 :: v_dual_mov_b32 v1, v0
	v_dual_mov_b32 v6, 0 :: v_dual_mov_b32 v4, 0
	s_add_co_i32 s0, s39, 1
	s_mov_b64 s[26:27], 0xffffffffffffffe0
	s_and_b32 s0, s0, 30
	s_add_nc_u64 s[26:27], s[2:3], s[26:27]
	s_mov_b64 s[28:29], s[2:3]
.LBB55_5:                               ; =>This Inner Loop Header: Depth=1
	s_clause 0x1
	s_load_b128 s[48:51], s[28:29], 0x4
	s_load_b64 s[42:43], s[28:29], 0x14
	s_load_b32 s44, s[26:27], 0xe4
	s_add_co_i32 s0, s0, -2
	s_wait_xcnt 0x0
	s_add_nc_u64 s[28:29], s[28:29], 24
	s_cmp_lg_u32 s0, 0
	s_wait_kmcnt 0x0
	v_mul_hi_u32 v3, s49, v1
	s_delay_alu instid0(VALU_DEP_1) | instskip(NEXT) | instid1(VALU_DEP_1)
	v_add_nc_u32_e32 v3, v1, v3
	v_lshrrev_b32_e32 v3, s50, v3
	s_delay_alu instid0(VALU_DEP_1) | instskip(SKIP_2) | instid1(VALU_DEP_1)
	v_mul_hi_u32 v5, s42, v3
	v_mul_lo_u32 v7, v3, s48
	s_load_b96 s[48:50], s[26:27], 0xec
	v_dual_add_nc_u32 v5, v3, v5 :: v_dual_sub_nc_u32 v7, v1, v7
	s_delay_alu instid0(VALU_DEP_1) | instskip(SKIP_1) | instid1(VALU_DEP_2)
	v_lshrrev_b32_e32 v1, s43, v5
	s_load_b64 s[42:43], s[26:27], 0xfc
	v_mad_u32 v2, v7, s44, v2
	s_wait_xcnt 0x0
	s_add_nc_u64 s[26:27], s[26:27], 32
	v_mul_lo_u32 v5, v1, s51
	s_wait_kmcnt 0x0
	v_mad_u32 v4, v7, s49, v4
	v_mad_u32 v6, v7, s48, v6
	s_delay_alu instid0(VALU_DEP_3) | instskip(NEXT) | instid1(VALU_DEP_1)
	v_sub_nc_u32_e32 v3, v3, v5
	v_mad_u32 v2, v3, s50, v2
	s_delay_alu instid0(VALU_DEP_4) | instskip(NEXT) | instid1(VALU_DEP_4)
	v_mad_u32 v4, v3, s43, v4
	v_mad_u32 v6, v3, s42, v6
	s_cbranch_scc1 .LBB55_5
; %bb.6:
	s_bitcmp1_b32 s39, 0
	s_cselect_b32 s0, -1, 0
	s_delay_alu instid0(SALU_CYCLE_1)
	s_and_b32 vcc_lo, exec_lo, s0
	s_cbranch_vccnz .LBB55_10
; %bb.7:
	s_load_b96 s[48:50], s[28:29], 0x4
	s_load_b32 s0, s[26:27], 0xe4
	s_wait_xcnt 0x0
	s_load_b64 s[28:29], s[26:27], 0xec
	s_wait_kmcnt 0x0
	v_mul_hi_u32 v3, s49, v1
	s_delay_alu instid0(VALU_DEP_1) | instskip(NEXT) | instid1(VALU_DEP_1)
	v_add_nc_u32_e32 v3, v1, v3
	v_lshrrev_b32_e32 v3, s50, v3
	s_delay_alu instid0(VALU_DEP_1) | instskip(NEXT) | instid1(VALU_DEP_1)
	v_mul_lo_u32 v3, v3, s48
	v_sub_nc_u32_e32 v1, v1, v3
	s_delay_alu instid0(VALU_DEP_1)
	v_mad_u32 v2, v1, s0, v2
	v_mad_u32 v6, v1, s28, v6
	;; [unrolled: 1-line block ×3, first 2 shown]
	s_cbranch_execz .LBB55_11
	s_branch .LBB55_13
.LBB55_8:
                                        ; implicit-def: $vgpr4
                                        ; implicit-def: $vgpr6
                                        ; implicit-def: $vgpr2
	s_branch .LBB55_11
.LBB55_9:
	v_dual_mov_b32 v4, 0 :: v_dual_mov_b32 v6, 0
	v_mov_b32_e32 v2, 0
.LBB55_10:
	s_cbranch_execnz .LBB55_13
.LBB55_11:
	v_mov_b32_e32 v1, 0
	s_and_not1_b32 vcc_lo, exec_lo, s38
	s_delay_alu instid0(VALU_DEP_1) | instskip(NEXT) | instid1(VALU_DEP_1)
	v_mul_u64_e32 v[2:3], s[20:21], v[0:1]
	v_add_nc_u32_e32 v2, v0, v3
	s_delay_alu instid0(VALU_DEP_1) | instskip(NEXT) | instid1(VALU_DEP_1)
	v_lshrrev_b32_e32 v8, s10, v2
	v_mul_lo_u32 v2, v8, s8
	s_delay_alu instid0(VALU_DEP_1) | instskip(NEXT) | instid1(VALU_DEP_1)
	v_sub_nc_u32_e32 v3, v0, v2
	v_mul_lo_u32 v2, v3, s37
	v_mul_lo_u32 v4, v3, s13
	v_mul_lo_u32 v6, v3, s12
	s_cbranch_vccnz .LBB55_13
; %bb.12:
	v_mov_b32_e32 v9, v1
	s_delay_alu instid0(VALU_DEP_1) | instskip(NEXT) | instid1(VALU_DEP_1)
	v_mul_u64_e32 v[10:11], s[24:25], v[8:9]
	v_add_nc_u32_e32 v1, v8, v11
	s_delay_alu instid0(VALU_DEP_1) | instskip(NEXT) | instid1(VALU_DEP_1)
	v_lshrrev_b32_e32 v1, s1, v1
	v_mul_lo_u32 v1, v1, s11
	s_delay_alu instid0(VALU_DEP_1) | instskip(NEXT) | instid1(VALU_DEP_1)
	v_sub_nc_u32_e32 v1, v8, v1
	v_mad_u32 v2, v1, s14, v2
	v_mad_u32 v6, v1, s22, v6
	;; [unrolled: 1-line block ×3, first 2 shown]
.LBB55_13:
	s_and_b32 s26, s36, 0xff
	s_delay_alu instid0(SALU_CYCLE_1)
	s_cmp_lt_i32 s26, 23
	s_cbranch_scc1 .LBB55_17
; %bb.14:
	s_and_b32 s28, 0xffff, s26
	s_delay_alu instid0(SALU_CYCLE_1)
	s_cmp_gt_i32 s28, 43
	s_cbranch_scc0 .LBB55_18
; %bb.15:
	s_cmp_gt_i32 s28, 45
	s_cbranch_scc0 .LBB55_19
; %bb.16:
	s_cmp_eq_u32 s28, 46
	s_mov_b32 s29, 0
	s_mov_b32 s27, -1
	s_cselect_b32 s0, -1, 0
	s_branch .LBB55_20
.LBB55_17:
	s_mov_b32 s27, 0
	s_mov_b32 s0, 0
	s_cbranch_execnz .LBB55_25
	s_branch .LBB55_29
.LBB55_18:
	s_mov_b32 s27, 0
	s_mov_b32 s0, 0
	s_cbranch_execnz .LBB55_23
	s_branch .LBB55_24
.LBB55_19:
	s_mov_b32 s29, -1
	s_mov_b32 s27, 0
	s_mov_b32 s0, 0
.LBB55_20:
	s_and_not1_b32 vcc_lo, exec_lo, s29
	s_cbranch_vccnz .LBB55_22
; %bb.21:
	s_cmp_eq_u32 s28, 44
	s_cselect_b32 s0, -1, 0
	s_cmp_lg_u32 s28, 44
	s_cselect_b32 s27, -1, 0
.LBB55_22:
	s_branch .LBB55_24
.LBB55_23:
	s_cmp_lt_i32 s28, 30
	s_cselect_b32 s0, -1, 0
	s_cmp_gt_i32 s28, 29
	s_cselect_b32 s27, -1, 0
.LBB55_24:
	s_branch .LBB55_29
.LBB55_25:
	s_and_b32 s26, 0xffff, s26
	s_mov_b32 s28, -1
	s_cmp_gt_i32 s26, 14
	s_cbranch_scc0 .LBB55_27
; %bb.26:
	s_cmp_eq_u32 s26, 15
	s_mov_b32 s28, 0
	s_cselect_b32 s0, -1, 0
	s_cmp_lg_u32 s26, 15
	s_cselect_b32 s27, -1, 0
.LBB55_27:
	s_and_not1_b32 vcc_lo, exec_lo, s28
	s_cbranch_vccnz .LBB55_29
; %bb.28:
	s_cmp_lt_i32 s26, 12
	s_cselect_b32 s0, -1, 0
	s_cmp_gt_i32 s26, 11
	s_cselect_b32 s27, -1, 0
.LBB55_29:
	s_and_b32 vcc_lo, exec_lo, s0
	s_cbranch_vccz .LBB55_37
; %bb.30:
	v_mov_b32_e32 v7, 0
	s_and_b32 s0, s35, 0xff
	s_delay_alu instid0(SALU_CYCLE_1) | instskip(NEXT) | instid1(VALU_DEP_1)
	s_cmp_lt_i32 s0, 11
	v_add_nc_u64_e32 v[6:7], s[4:5], v[6:7]
	s_cbranch_scc1 .LBB55_39
; %bb.31:
	s_and_b32 s27, 0xffff, s0
	s_delay_alu instid0(SALU_CYCLE_1)
	s_cmp_gt_i32 s27, 25
	s_cbranch_scc0 .LBB55_40
; %bb.32:
	s_cmp_gt_i32 s27, 28
	s_cbranch_scc0 .LBB55_41
; %bb.33:
	;; [unrolled: 3-line block ×4, first 2 shown]
	s_cmp_eq_u32 s27, 46
	s_mov_b32 s29, 0
	s_cbranch_scc0 .LBB55_44
; %bb.36:
	global_load_b32 v1, v[6:7], off
	s_mov_b32 s28, -1
	s_mov_b32 s26, 0
	s_wait_loadcnt 0x0
	v_lshlrev_b32_e32 v1, 16, v1
	s_delay_alu instid0(VALU_DEP_1)
	v_cvt_i32_f32_e32 v1, v1
	s_branch .LBB55_46
.LBB55_37:
	s_mov_b32 s0, 0
	s_mov_b32 s28, 0
	;; [unrolled: 1-line block ×3, first 2 shown]
.LBB55_38:
	s_mov_b32 s29, 0
                                        ; implicit-def: $vgpr0
	s_branch .LBB55_404
.LBB55_39:
	s_mov_b32 s26, 0
	s_mov_b32 s28, 0
                                        ; implicit-def: $vgpr1
	s_cbranch_execnz .LBB55_107
	s_branch .LBB55_155
.LBB55_40:
	s_mov_b32 s29, -1
	s_mov_b32 s26, 0
	s_mov_b32 s28, 0
                                        ; implicit-def: $vgpr1
	s_branch .LBB55_73
.LBB55_41:
	s_mov_b32 s29, -1
	s_mov_b32 s26, 0
	s_mov_b32 s28, 0
                                        ; implicit-def: $vgpr1
	s_branch .LBB55_56
.LBB55_42:
	s_mov_b32 s29, -1
	s_mov_b32 s26, 0
	s_mov_b32 s28, 0
                                        ; implicit-def: $vgpr1
	s_branch .LBB55_51
.LBB55_43:
	s_mov_b32 s29, -1
	s_mov_b32 s26, 0
	s_branch .LBB55_45
.LBB55_44:
	s_mov_b32 s26, -1
.LBB55_45:
	s_mov_b32 s28, 0
                                        ; implicit-def: $vgpr1
.LBB55_46:
	s_and_b32 vcc_lo, exec_lo, s29
	s_cbranch_vccz .LBB55_50
; %bb.47:
	s_cmp_eq_u32 s27, 44
	s_cbranch_scc0 .LBB55_49
; %bb.48:
	global_load_u8 v1, v[6:7], off
	s_mov_b32 s26, 0
	s_mov_b32 s28, -1
	s_wait_loadcnt 0x0
	v_lshlrev_b32_e32 v3, 23, v1
	v_cmp_ne_u32_e32 vcc_lo, 0, v1
	s_delay_alu instid0(VALU_DEP_2) | instskip(NEXT) | instid1(VALU_DEP_1)
	v_cvt_i32_f32_e32 v3, v3
	v_cndmask_b32_e32 v1, 0, v3, vcc_lo
	s_branch .LBB55_50
.LBB55_49:
	s_mov_b32 s26, -1
                                        ; implicit-def: $vgpr1
.LBB55_50:
	s_mov_b32 s29, 0
.LBB55_51:
	s_delay_alu instid0(SALU_CYCLE_1)
	s_and_b32 vcc_lo, exec_lo, s29
	s_cbranch_vccz .LBB55_55
; %bb.52:
	s_cmp_eq_u32 s27, 29
	s_cbranch_scc0 .LBB55_54
; %bb.53:
	global_load_b32 v1, v[6:7], off
	s_mov_b32 s28, -1
	s_mov_b32 s26, 0
	s_branch .LBB55_55
.LBB55_54:
	s_mov_b32 s26, -1
                                        ; implicit-def: $vgpr1
.LBB55_55:
	s_mov_b32 s29, 0
.LBB55_56:
	s_delay_alu instid0(SALU_CYCLE_1)
	s_and_b32 vcc_lo, exec_lo, s29
	s_cbranch_vccz .LBB55_72
; %bb.57:
	s_cmp_lt_i32 s27, 27
	s_cbranch_scc1 .LBB55_60
; %bb.58:
	s_cmp_gt_i32 s27, 27
	s_cbranch_scc0 .LBB55_61
; %bb.59:
	s_wait_loadcnt 0x0
	global_load_b32 v1, v[6:7], off
	s_mov_b32 s28, 0
	s_branch .LBB55_62
.LBB55_60:
	s_mov_b32 s28, -1
                                        ; implicit-def: $vgpr1
	s_branch .LBB55_65
.LBB55_61:
	s_mov_b32 s28, -1
                                        ; implicit-def: $vgpr1
.LBB55_62:
	s_delay_alu instid0(SALU_CYCLE_1)
	s_and_not1_b32 vcc_lo, exec_lo, s28
	s_cbranch_vccnz .LBB55_64
; %bb.63:
	s_wait_loadcnt 0x0
	global_load_u16 v1, v[6:7], off
.LBB55_64:
	s_mov_b32 s28, 0
.LBB55_65:
	s_delay_alu instid0(SALU_CYCLE_1)
	s_and_not1_b32 vcc_lo, exec_lo, s28
	s_cbranch_vccnz .LBB55_71
; %bb.66:
	global_load_u8 v3, v[6:7], off
	s_mov_b32 s29, 0
	s_mov_b32 s28, exec_lo
	s_wait_loadcnt 0x0
	v_cmpx_lt_i16_e32 0x7f, v3
	s_xor_b32 s28, exec_lo, s28
	s_cbranch_execz .LBB55_83
; %bb.67:
	v_cmp_ne_u16_e32 vcc_lo, 0x80, v3
	s_and_b32 s29, vcc_lo, exec_lo
	s_and_not1_saveexec_b32 s28, s28
	s_cbranch_execnz .LBB55_84
.LBB55_68:
	s_or_b32 exec_lo, exec_lo, s28
	v_mov_b32_e32 v1, 0
	s_and_saveexec_b32 s28, s29
	s_cbranch_execz .LBB55_70
.LBB55_69:
	v_and_b32_e32 v1, 0xffff, v3
	s_delay_alu instid0(VALU_DEP_1) | instskip(SKIP_1) | instid1(VALU_DEP_2)
	v_and_b32_e32 v5, 7, v1
	v_bfe_u32 v10, v1, 3, 4
	v_clz_i32_u32_e32 v8, v5
	s_delay_alu instid0(VALU_DEP_2) | instskip(NEXT) | instid1(VALU_DEP_2)
	v_cmp_eq_u32_e32 vcc_lo, 0, v10
	v_min_u32_e32 v8, 32, v8
	s_delay_alu instid0(VALU_DEP_1) | instskip(NEXT) | instid1(VALU_DEP_1)
	v_subrev_nc_u32_e32 v9, 28, v8
	v_dual_lshlrev_b32 v1, v9, v1 :: v_dual_sub_nc_u32 v8, 29, v8
	s_delay_alu instid0(VALU_DEP_1) | instskip(NEXT) | instid1(VALU_DEP_1)
	v_dual_lshlrev_b32 v3, 24, v3 :: v_dual_bitop2_b32 v1, 7, v1 bitop3:0x40
	v_dual_cndmask_b32 v8, v10, v8 :: v_dual_cndmask_b32 v1, v5, v1
	s_delay_alu instid0(VALU_DEP_2) | instskip(NEXT) | instid1(VALU_DEP_2)
	v_and_b32_e32 v3, 0x80000000, v3
	v_lshl_add_u32 v5, v8, 23, 0x3b800000
	s_delay_alu instid0(VALU_DEP_3) | instskip(NEXT) | instid1(VALU_DEP_1)
	v_lshlrev_b32_e32 v1, 20, v1
	v_or3_b32 v1, v3, v5, v1
	s_delay_alu instid0(VALU_DEP_1)
	v_cvt_i32_f32_e32 v1, v1
.LBB55_70:
	s_or_b32 exec_lo, exec_lo, s28
.LBB55_71:
	s_mov_b32 s28, -1
.LBB55_72:
	s_mov_b32 s29, 0
.LBB55_73:
	s_delay_alu instid0(SALU_CYCLE_1)
	s_and_b32 vcc_lo, exec_lo, s29
	s_cbranch_vccz .LBB55_106
; %bb.74:
	s_cmp_gt_i32 s27, 22
	s_cbranch_scc0 .LBB55_82
; %bb.75:
	s_cmp_lt_i32 s27, 24
	s_cbranch_scc1 .LBB55_85
; %bb.76:
	s_cmp_gt_i32 s27, 24
	s_cbranch_scc0 .LBB55_86
; %bb.77:
	global_load_u8 v3, v[6:7], off
	s_mov_b32 s29, 0
	s_mov_b32 s28, exec_lo
	s_wait_loadcnt 0x0
	v_cmpx_lt_i16_e32 0x7f, v3
	s_xor_b32 s28, exec_lo, s28
	s_cbranch_execz .LBB55_98
; %bb.78:
	v_cmp_ne_u16_e32 vcc_lo, 0x80, v3
	s_and_b32 s29, vcc_lo, exec_lo
	s_and_not1_saveexec_b32 s28, s28
	s_cbranch_execnz .LBB55_99
.LBB55_79:
	s_or_b32 exec_lo, exec_lo, s28
	v_mov_b32_e32 v1, 0
	s_and_saveexec_b32 s28, s29
	s_cbranch_execz .LBB55_81
.LBB55_80:
	v_and_b32_e32 v1, 0xffff, v3
	s_delay_alu instid0(VALU_DEP_1) | instskip(SKIP_1) | instid1(VALU_DEP_2)
	v_and_b32_e32 v5, 3, v1
	v_bfe_u32 v10, v1, 2, 5
	v_clz_i32_u32_e32 v8, v5
	s_delay_alu instid0(VALU_DEP_2) | instskip(NEXT) | instid1(VALU_DEP_2)
	v_cmp_eq_u32_e32 vcc_lo, 0, v10
	v_min_u32_e32 v8, 32, v8
	s_delay_alu instid0(VALU_DEP_1) | instskip(NEXT) | instid1(VALU_DEP_1)
	v_subrev_nc_u32_e32 v9, 29, v8
	v_dual_lshlrev_b32 v1, v9, v1 :: v_dual_sub_nc_u32 v8, 30, v8
	s_delay_alu instid0(VALU_DEP_1) | instskip(NEXT) | instid1(VALU_DEP_1)
	v_dual_lshlrev_b32 v3, 24, v3 :: v_dual_bitop2_b32 v1, 3, v1 bitop3:0x40
	v_dual_cndmask_b32 v8, v10, v8 :: v_dual_cndmask_b32 v1, v5, v1
	s_delay_alu instid0(VALU_DEP_2) | instskip(NEXT) | instid1(VALU_DEP_2)
	v_and_b32_e32 v3, 0x80000000, v3
	v_lshl_add_u32 v5, v8, 23, 0x37800000
	s_delay_alu instid0(VALU_DEP_3) | instskip(NEXT) | instid1(VALU_DEP_1)
	v_lshlrev_b32_e32 v1, 21, v1
	v_or3_b32 v1, v3, v5, v1
	s_delay_alu instid0(VALU_DEP_1)
	v_cvt_i32_f32_e32 v1, v1
.LBB55_81:
	s_or_b32 exec_lo, exec_lo, s28
	s_mov_b32 s28, 0
	s_branch .LBB55_87
.LBB55_82:
	s_mov_b32 s29, -1
                                        ; implicit-def: $vgpr1
	s_branch .LBB55_93
.LBB55_83:
	s_and_not1_saveexec_b32 s28, s28
	s_cbranch_execz .LBB55_68
.LBB55_84:
	v_cmp_ne_u16_e32 vcc_lo, 0, v3
	s_and_not1_b32 s29, s29, exec_lo
	s_and_b32 s42, vcc_lo, exec_lo
	s_delay_alu instid0(SALU_CYCLE_1)
	s_or_b32 s29, s29, s42
	s_or_b32 exec_lo, exec_lo, s28
	v_mov_b32_e32 v1, 0
	s_and_saveexec_b32 s28, s29
	s_cbranch_execnz .LBB55_69
	s_branch .LBB55_70
.LBB55_85:
	s_mov_b32 s28, -1
                                        ; implicit-def: $vgpr1
	s_branch .LBB55_90
.LBB55_86:
	s_mov_b32 s28, -1
                                        ; implicit-def: $vgpr1
.LBB55_87:
	s_delay_alu instid0(SALU_CYCLE_1)
	s_and_b32 vcc_lo, exec_lo, s28
	s_cbranch_vccz .LBB55_89
; %bb.88:
	s_wait_loadcnt 0x0
	global_load_u8 v1, v[6:7], off
	s_wait_loadcnt 0x0
	v_lshlrev_b32_e32 v1, 24, v1
	s_delay_alu instid0(VALU_DEP_1) | instskip(NEXT) | instid1(VALU_DEP_1)
	v_and_b32_e32 v3, 0x7f000000, v1
	v_clz_i32_u32_e32 v5, v3
	v_add_nc_u32_e32 v9, 0x1000000, v3
	v_cmp_ne_u32_e32 vcc_lo, 0, v3
	s_delay_alu instid0(VALU_DEP_3) | instskip(NEXT) | instid1(VALU_DEP_1)
	v_min_u32_e32 v5, 32, v5
	v_sub_nc_u32_e64 v5, v5, 4 clamp
	s_delay_alu instid0(VALU_DEP_1) | instskip(NEXT) | instid1(VALU_DEP_1)
	v_dual_lshlrev_b32 v8, v5, v3 :: v_dual_lshlrev_b32 v5, 23, v5
	v_lshrrev_b32_e32 v8, 4, v8
	s_delay_alu instid0(VALU_DEP_1) | instskip(SKIP_1) | instid1(VALU_DEP_2)
	v_sub_nc_u32_e32 v5, v8, v5
	v_ashrrev_i32_e32 v8, 8, v9
	v_add_nc_u32_e32 v5, 0x3c000000, v5
	s_delay_alu instid0(VALU_DEP_1) | instskip(NEXT) | instid1(VALU_DEP_1)
	v_and_or_b32 v5, 0x7f800000, v8, v5
	v_cndmask_b32_e32 v3, 0, v5, vcc_lo
	s_delay_alu instid0(VALU_DEP_1) | instskip(NEXT) | instid1(VALU_DEP_1)
	v_and_or_b32 v1, 0x80000000, v1, v3
	v_cvt_i32_f32_e32 v1, v1
.LBB55_89:
	s_mov_b32 s28, 0
.LBB55_90:
	s_delay_alu instid0(SALU_CYCLE_1)
	s_and_not1_b32 vcc_lo, exec_lo, s28
	s_cbranch_vccnz .LBB55_92
; %bb.91:
	s_wait_loadcnt 0x0
	global_load_u8 v1, v[6:7], off
	s_wait_loadcnt 0x0
	v_lshlrev_b32_e32 v3, 25, v1
	v_lshlrev_b16 v1, 8, v1
	s_delay_alu instid0(VALU_DEP_1) | instskip(SKIP_1) | instid1(VALU_DEP_2)
	v_and_or_b32 v8, 0x7f00, v1, 0.5
	v_bfe_i32 v1, v1, 0, 16
	v_dual_add_f32 v8, -0.5, v8 :: v_dual_lshrrev_b32 v5, 4, v3
	v_cmp_gt_u32_e32 vcc_lo, 0x8000000, v3
	s_delay_alu instid0(VALU_DEP_2) | instskip(NEXT) | instid1(VALU_DEP_1)
	v_or_b32_e32 v5, 0x70000000, v5
	v_mul_f32_e32 v5, 0x7800000, v5
	s_delay_alu instid0(VALU_DEP_1) | instskip(NEXT) | instid1(VALU_DEP_1)
	v_cndmask_b32_e32 v3, v5, v8, vcc_lo
	v_and_or_b32 v1, 0x80000000, v1, v3
	s_delay_alu instid0(VALU_DEP_1)
	v_cvt_i32_f32_e32 v1, v1
.LBB55_92:
	s_mov_b32 s29, 0
	s_mov_b32 s28, -1
.LBB55_93:
	s_and_not1_b32 vcc_lo, exec_lo, s29
	s_cbranch_vccnz .LBB55_106
; %bb.94:
	s_cmp_gt_i32 s27, 14
	s_cbranch_scc0 .LBB55_97
; %bb.95:
	s_cmp_eq_u32 s27, 15
	s_cbranch_scc0 .LBB55_100
; %bb.96:
	s_wait_loadcnt 0x0
	global_load_u16 v1, v[6:7], off
	s_mov_b32 s28, -1
	s_mov_b32 s26, 0
	s_wait_loadcnt 0x0
	v_lshlrev_b32_e32 v1, 16, v1
	s_delay_alu instid0(VALU_DEP_1)
	v_cvt_i32_f32_e32 v1, v1
	s_branch .LBB55_101
.LBB55_97:
	s_mov_b32 s29, -1
                                        ; implicit-def: $vgpr1
	s_branch .LBB55_102
.LBB55_98:
	s_and_not1_saveexec_b32 s28, s28
	s_cbranch_execz .LBB55_79
.LBB55_99:
	v_cmp_ne_u16_e32 vcc_lo, 0, v3
	s_and_not1_b32 s29, s29, exec_lo
	s_and_b32 s42, vcc_lo, exec_lo
	s_delay_alu instid0(SALU_CYCLE_1)
	s_or_b32 s29, s29, s42
	s_or_b32 exec_lo, exec_lo, s28
	v_mov_b32_e32 v1, 0
	s_and_saveexec_b32 s28, s29
	s_cbranch_execnz .LBB55_80
	s_branch .LBB55_81
.LBB55_100:
	s_mov_b32 s26, -1
                                        ; implicit-def: $vgpr1
.LBB55_101:
	s_mov_b32 s29, 0
.LBB55_102:
	s_delay_alu instid0(SALU_CYCLE_1)
	s_and_b32 vcc_lo, exec_lo, s29
	s_cbranch_vccz .LBB55_106
; %bb.103:
	s_cmp_eq_u32 s27, 11
	s_cbranch_scc0 .LBB55_105
; %bb.104:
	s_wait_loadcnt 0x0
	global_load_u8 v1, v[6:7], off
	s_mov_b32 s26, 0
	s_mov_b32 s28, -1
	s_wait_loadcnt 0x0
	v_cmp_ne_u16_e32 vcc_lo, 0, v1
	v_cndmask_b32_e64 v1, 0, 1, vcc_lo
	s_branch .LBB55_106
.LBB55_105:
	s_mov_b32 s26, -1
                                        ; implicit-def: $vgpr1
.LBB55_106:
	s_branch .LBB55_155
.LBB55_107:
	s_and_b32 s0, 0xffff, s0
	s_delay_alu instid0(SALU_CYCLE_1)
	s_cmp_lt_i32 s0, 5
	s_cbranch_scc1 .LBB55_112
; %bb.108:
	s_cmp_lt_i32 s0, 8
	s_cbranch_scc1 .LBB55_113
; %bb.109:
	;; [unrolled: 3-line block ×3, first 2 shown]
	s_cmp_gt_i32 s0, 9
	s_cbranch_scc0 .LBB55_115
; %bb.111:
	global_load_b64 v[8:9], v[6:7], off
	s_mov_b32 s27, 0
	s_wait_loadcnt 0x0
	v_cvt_i32_f64_e32 v1, v[8:9]
	s_branch .LBB55_116
.LBB55_112:
	s_mov_b32 s27, -1
                                        ; implicit-def: $vgpr1
	s_branch .LBB55_134
.LBB55_113:
	s_mov_b32 s27, -1
                                        ; implicit-def: $vgpr1
	s_branch .LBB55_122
.LBB55_114:
	s_mov_b32 s27, -1
                                        ; implicit-def: $vgpr1
	s_branch .LBB55_119
.LBB55_115:
	s_mov_b32 s27, -1
                                        ; implicit-def: $vgpr1
.LBB55_116:
	s_delay_alu instid0(SALU_CYCLE_1)
	s_and_not1_b32 vcc_lo, exec_lo, s27
	s_cbranch_vccnz .LBB55_118
; %bb.117:
	s_wait_loadcnt 0x0
	global_load_b32 v1, v[6:7], off
	s_wait_loadcnt 0x0
	v_cvt_i32_f32_e32 v1, v1
.LBB55_118:
	s_mov_b32 s27, 0
.LBB55_119:
	s_delay_alu instid0(SALU_CYCLE_1)
	s_and_not1_b32 vcc_lo, exec_lo, s27
	s_cbranch_vccnz .LBB55_121
; %bb.120:
	s_wait_loadcnt 0x0
	global_load_b32 v1, v[6:7], off
	s_wait_loadcnt 0x0
	v_cvt_f32_f16_e32 v1, v1
	s_delay_alu instid0(VALU_DEP_1)
	v_cvt_i32_f32_e32 v1, v1
.LBB55_121:
	s_mov_b32 s27, 0
.LBB55_122:
	s_delay_alu instid0(SALU_CYCLE_1)
	s_and_not1_b32 vcc_lo, exec_lo, s27
	s_cbranch_vccnz .LBB55_133
; %bb.123:
	s_cmp_lt_i32 s0, 6
	s_cbranch_scc1 .LBB55_126
; %bb.124:
	s_cmp_gt_i32 s0, 6
	s_cbranch_scc0 .LBB55_127
; %bb.125:
	global_load_b64 v[8:9], v[6:7], off
	s_mov_b32 s27, 0
	s_wait_loadcnt 0x0
	v_cvt_i32_f64_e32 v1, v[8:9]
	s_branch .LBB55_128
.LBB55_126:
	s_mov_b32 s27, -1
                                        ; implicit-def: $vgpr1
	s_branch .LBB55_131
.LBB55_127:
	s_mov_b32 s27, -1
                                        ; implicit-def: $vgpr1
.LBB55_128:
	s_delay_alu instid0(SALU_CYCLE_1)
	s_and_not1_b32 vcc_lo, exec_lo, s27
	s_cbranch_vccnz .LBB55_130
; %bb.129:
	s_wait_loadcnt 0x0
	global_load_b32 v1, v[6:7], off
	s_wait_loadcnt 0x0
	v_cvt_i32_f32_e32 v1, v1
.LBB55_130:
	s_mov_b32 s27, 0
.LBB55_131:
	s_delay_alu instid0(SALU_CYCLE_1)
	s_and_not1_b32 vcc_lo, exec_lo, s27
	s_cbranch_vccnz .LBB55_133
; %bb.132:
	s_wait_loadcnt 0x0
	global_load_u16 v1, v[6:7], off
	s_wait_loadcnt 0x0
	v_cvt_f32_f16_e32 v1, v1
	s_delay_alu instid0(VALU_DEP_1)
	v_cvt_i32_f32_e32 v1, v1
.LBB55_133:
	s_mov_b32 s27, 0
.LBB55_134:
	s_delay_alu instid0(SALU_CYCLE_1)
	s_and_not1_b32 vcc_lo, exec_lo, s27
	s_cbranch_vccnz .LBB55_154
; %bb.135:
	s_cmp_lt_i32 s0, 2
	s_cbranch_scc1 .LBB55_139
; %bb.136:
	s_cmp_lt_i32 s0, 3
	s_cbranch_scc1 .LBB55_140
; %bb.137:
	s_cmp_gt_i32 s0, 3
	s_cbranch_scc0 .LBB55_141
; %bb.138:
	s_wait_loadcnt 0x0
	global_load_b32 v1, v[6:7], off
	s_mov_b32 s27, 0
	s_branch .LBB55_142
.LBB55_139:
	s_mov_b32 s27, -1
                                        ; implicit-def: $vgpr1
	s_branch .LBB55_148
.LBB55_140:
	s_mov_b32 s27, -1
                                        ; implicit-def: $vgpr1
	s_branch .LBB55_145
.LBB55_141:
	s_mov_b32 s27, -1
                                        ; implicit-def: $vgpr1
.LBB55_142:
	s_delay_alu instid0(SALU_CYCLE_1)
	s_and_not1_b32 vcc_lo, exec_lo, s27
	s_cbranch_vccnz .LBB55_144
; %bb.143:
	s_wait_loadcnt 0x0
	global_load_b32 v1, v[6:7], off
.LBB55_144:
	s_mov_b32 s27, 0
.LBB55_145:
	s_delay_alu instid0(SALU_CYCLE_1)
	s_and_not1_b32 vcc_lo, exec_lo, s27
	s_cbranch_vccnz .LBB55_147
; %bb.146:
	s_wait_loadcnt 0x0
	global_load_i16 v1, v[6:7], off
.LBB55_147:
	s_mov_b32 s27, 0
.LBB55_148:
	s_delay_alu instid0(SALU_CYCLE_1)
	s_and_not1_b32 vcc_lo, exec_lo, s27
	s_cbranch_vccnz .LBB55_154
; %bb.149:
	s_cmp_gt_i32 s0, 0
	s_mov_b32 s0, 0
	s_cbranch_scc0 .LBB55_151
; %bb.150:
	s_wait_loadcnt 0x0
	global_load_i8 v1, v[6:7], off
	s_branch .LBB55_152
.LBB55_151:
	s_mov_b32 s0, -1
                                        ; implicit-def: $vgpr1
.LBB55_152:
	s_delay_alu instid0(SALU_CYCLE_1)
	s_and_not1_b32 vcc_lo, exec_lo, s0
	s_cbranch_vccnz .LBB55_154
; %bb.153:
	s_wait_loadcnt 0x0
	global_load_u8 v1, v[6:7], off
.LBB55_154:
	s_mov_b32 s28, -1
.LBB55_155:
	s_mov_b32 s27, 0
	s_mov_b32 s0, 0
	s_and_not1_b32 vcc_lo, exec_lo, s28
	s_mov_b32 s28, 0
	s_mov_b32 s29, 0
	s_cbranch_vccnz .LBB55_404
; %bb.156:
	v_mov_b32_e32 v5, 0
	s_and_b32 s0, 0xffff, s9
	s_delay_alu instid0(SALU_CYCLE_1) | instskip(NEXT) | instid1(VALU_DEP_1)
	s_cmp_lt_i32 s0, 11
	v_add_nc_u64_e32 v[4:5], s[6:7], v[4:5]
	s_cbranch_scc1 .LBB55_163
; %bb.157:
	s_cmp_gt_i32 s0, 25
	s_cbranch_scc0 .LBB55_164
; %bb.158:
	s_cmp_gt_i32 s0, 28
	s_cbranch_scc0 .LBB55_165
	;; [unrolled: 3-line block ×4, first 2 shown]
; %bb.161:
	s_cmp_eq_u32 s0, 46
	s_mov_b32 s42, 0
	s_cbranch_scc0 .LBB55_168
; %bb.162:
	global_load_b32 v3, v[4:5], off
	s_mov_b32 s29, -1
	s_wait_loadcnt 0x0
	v_lshlrev_b32_e32 v3, 16, v3
	s_delay_alu instid0(VALU_DEP_1)
	v_cvt_i32_f32_e32 v6, v3
	s_branch .LBB55_170
.LBB55_163:
	s_mov_b32 s42, -1
                                        ; implicit-def: $vgpr6
	s_branch .LBB55_231
.LBB55_164:
	s_mov_b32 s42, -1
                                        ; implicit-def: $vgpr6
	s_branch .LBB55_197
.LBB55_165:
	s_mov_b32 s42, -1
                                        ; implicit-def: $vgpr6
	s_branch .LBB55_180
.LBB55_166:
	s_mov_b32 s42, -1
                                        ; implicit-def: $vgpr6
	s_branch .LBB55_175
.LBB55_167:
	s_mov_b32 s42, -1
	s_branch .LBB55_169
.LBB55_168:
	s_mov_b32 s28, -1
.LBB55_169:
                                        ; implicit-def: $vgpr6
.LBB55_170:
	s_and_b32 vcc_lo, exec_lo, s42
	s_cbranch_vccz .LBB55_174
; %bb.171:
	s_cmp_eq_u32 s0, 44
	s_cbranch_scc0 .LBB55_173
; %bb.172:
	global_load_u8 v3, v[4:5], off
	s_mov_b32 s28, 0
	s_mov_b32 s29, -1
	s_wait_loadcnt 0x0
	v_lshlrev_b32_e32 v6, 23, v3
	v_cmp_ne_u32_e32 vcc_lo, 0, v3
	s_delay_alu instid0(VALU_DEP_2) | instskip(NEXT) | instid1(VALU_DEP_1)
	v_cvt_i32_f32_e32 v6, v6
	v_cndmask_b32_e32 v6, 0, v6, vcc_lo
	s_branch .LBB55_174
.LBB55_173:
	s_mov_b32 s28, -1
                                        ; implicit-def: $vgpr6
.LBB55_174:
	s_mov_b32 s42, 0
.LBB55_175:
	s_delay_alu instid0(SALU_CYCLE_1)
	s_and_b32 vcc_lo, exec_lo, s42
	s_cbranch_vccz .LBB55_179
; %bb.176:
	s_cmp_eq_u32 s0, 29
	s_cbranch_scc0 .LBB55_178
; %bb.177:
	global_load_b32 v6, v[4:5], off
	s_mov_b32 s29, -1
	s_mov_b32 s28, 0
	s_branch .LBB55_179
.LBB55_178:
	s_mov_b32 s28, -1
                                        ; implicit-def: $vgpr6
.LBB55_179:
	s_mov_b32 s42, 0
.LBB55_180:
	s_delay_alu instid0(SALU_CYCLE_1)
	s_and_b32 vcc_lo, exec_lo, s42
	s_cbranch_vccz .LBB55_196
; %bb.181:
	s_cmp_lt_i32 s0, 27
	s_cbranch_scc1 .LBB55_184
; %bb.182:
	s_cmp_gt_i32 s0, 27
	s_cbranch_scc0 .LBB55_185
; %bb.183:
	s_wait_loadcnt 0x0
	global_load_b32 v6, v[4:5], off
	s_mov_b32 s29, 0
	s_branch .LBB55_186
.LBB55_184:
	s_mov_b32 s29, -1
                                        ; implicit-def: $vgpr6
	s_branch .LBB55_189
.LBB55_185:
	s_mov_b32 s29, -1
                                        ; implicit-def: $vgpr6
.LBB55_186:
	s_delay_alu instid0(SALU_CYCLE_1)
	s_and_not1_b32 vcc_lo, exec_lo, s29
	s_cbranch_vccnz .LBB55_188
; %bb.187:
	s_wait_loadcnt 0x0
	global_load_u16 v6, v[4:5], off
.LBB55_188:
	s_mov_b32 s29, 0
.LBB55_189:
	s_delay_alu instid0(SALU_CYCLE_1)
	s_and_not1_b32 vcc_lo, exec_lo, s29
	s_cbranch_vccnz .LBB55_195
; %bb.190:
	global_load_u8 v3, v[4:5], off
	s_mov_b32 s42, 0
	s_mov_b32 s29, exec_lo
	s_wait_loadcnt 0x0
	v_cmpx_lt_i16_e32 0x7f, v3
	s_xor_b32 s29, exec_lo, s29
	s_cbranch_execz .LBB55_207
; %bb.191:
	v_cmp_ne_u16_e32 vcc_lo, 0x80, v3
	s_and_b32 s42, vcc_lo, exec_lo
	s_and_not1_saveexec_b32 s29, s29
	s_cbranch_execnz .LBB55_208
.LBB55_192:
	s_or_b32 exec_lo, exec_lo, s29
	v_mov_b32_e32 v6, 0
	s_and_saveexec_b32 s29, s42
	s_cbranch_execz .LBB55_194
.LBB55_193:
	v_and_b32_e32 v6, 0xffff, v3
	s_delay_alu instid0(VALU_DEP_1) | instskip(SKIP_1) | instid1(VALU_DEP_2)
	v_and_b32_e32 v7, 7, v6
	v_bfe_u32 v10, v6, 3, 4
	v_clz_i32_u32_e32 v8, v7
	s_delay_alu instid0(VALU_DEP_2) | instskip(NEXT) | instid1(VALU_DEP_2)
	v_cmp_eq_u32_e32 vcc_lo, 0, v10
	v_min_u32_e32 v8, 32, v8
	s_delay_alu instid0(VALU_DEP_1) | instskip(NEXT) | instid1(VALU_DEP_1)
	v_subrev_nc_u32_e32 v9, 28, v8
	v_dual_lshlrev_b32 v6, v9, v6 :: v_dual_sub_nc_u32 v8, 29, v8
	s_delay_alu instid0(VALU_DEP_1) | instskip(NEXT) | instid1(VALU_DEP_1)
	v_dual_lshlrev_b32 v3, 24, v3 :: v_dual_bitop2_b32 v6, 7, v6 bitop3:0x40
	v_dual_cndmask_b32 v8, v10, v8, vcc_lo :: v_dual_cndmask_b32 v6, v7, v6, vcc_lo
	s_delay_alu instid0(VALU_DEP_2) | instskip(NEXT) | instid1(VALU_DEP_2)
	v_and_b32_e32 v3, 0x80000000, v3
	v_lshl_add_u32 v7, v8, 23, 0x3b800000
	s_delay_alu instid0(VALU_DEP_3) | instskip(NEXT) | instid1(VALU_DEP_1)
	v_lshlrev_b32_e32 v6, 20, v6
	v_or3_b32 v3, v3, v7, v6
	s_delay_alu instid0(VALU_DEP_1)
	v_cvt_i32_f32_e32 v6, v3
.LBB55_194:
	s_or_b32 exec_lo, exec_lo, s29
.LBB55_195:
	s_mov_b32 s29, -1
.LBB55_196:
	s_mov_b32 s42, 0
.LBB55_197:
	s_delay_alu instid0(SALU_CYCLE_1)
	s_and_b32 vcc_lo, exec_lo, s42
	s_cbranch_vccz .LBB55_230
; %bb.198:
	s_cmp_gt_i32 s0, 22
	s_cbranch_scc0 .LBB55_206
; %bb.199:
	s_cmp_lt_i32 s0, 24
	s_cbranch_scc1 .LBB55_209
; %bb.200:
	s_cmp_gt_i32 s0, 24
	s_cbranch_scc0 .LBB55_210
; %bb.201:
	global_load_u8 v3, v[4:5], off
	s_mov_b32 s42, 0
	s_mov_b32 s29, exec_lo
	s_wait_loadcnt 0x0
	v_cmpx_lt_i16_e32 0x7f, v3
	s_xor_b32 s29, exec_lo, s29
	s_cbranch_execz .LBB55_222
; %bb.202:
	v_cmp_ne_u16_e32 vcc_lo, 0x80, v3
	s_and_b32 s42, vcc_lo, exec_lo
	s_and_not1_saveexec_b32 s29, s29
	s_cbranch_execnz .LBB55_223
.LBB55_203:
	s_or_b32 exec_lo, exec_lo, s29
	v_mov_b32_e32 v6, 0
	s_and_saveexec_b32 s29, s42
	s_cbranch_execz .LBB55_205
.LBB55_204:
	v_and_b32_e32 v6, 0xffff, v3
	s_delay_alu instid0(VALU_DEP_1) | instskip(SKIP_1) | instid1(VALU_DEP_2)
	v_and_b32_e32 v7, 3, v6
	v_bfe_u32 v10, v6, 2, 5
	v_clz_i32_u32_e32 v8, v7
	s_delay_alu instid0(VALU_DEP_2) | instskip(NEXT) | instid1(VALU_DEP_2)
	v_cmp_eq_u32_e32 vcc_lo, 0, v10
	v_min_u32_e32 v8, 32, v8
	s_delay_alu instid0(VALU_DEP_1) | instskip(NEXT) | instid1(VALU_DEP_1)
	v_subrev_nc_u32_e32 v9, 29, v8
	v_dual_lshlrev_b32 v6, v9, v6 :: v_dual_sub_nc_u32 v8, 30, v8
	s_delay_alu instid0(VALU_DEP_1) | instskip(NEXT) | instid1(VALU_DEP_1)
	v_dual_lshlrev_b32 v3, 24, v3 :: v_dual_bitop2_b32 v6, 3, v6 bitop3:0x40
	v_dual_cndmask_b32 v8, v10, v8, vcc_lo :: v_dual_cndmask_b32 v6, v7, v6, vcc_lo
	s_delay_alu instid0(VALU_DEP_2) | instskip(NEXT) | instid1(VALU_DEP_2)
	v_and_b32_e32 v3, 0x80000000, v3
	v_lshl_add_u32 v7, v8, 23, 0x37800000
	s_delay_alu instid0(VALU_DEP_3) | instskip(NEXT) | instid1(VALU_DEP_1)
	v_lshlrev_b32_e32 v6, 21, v6
	v_or3_b32 v3, v3, v7, v6
	s_delay_alu instid0(VALU_DEP_1)
	v_cvt_i32_f32_e32 v6, v3
.LBB55_205:
	s_or_b32 exec_lo, exec_lo, s29
	s_mov_b32 s29, 0
	s_branch .LBB55_211
.LBB55_206:
	s_mov_b32 s42, -1
                                        ; implicit-def: $vgpr6
	s_branch .LBB55_217
.LBB55_207:
	s_and_not1_saveexec_b32 s29, s29
	s_cbranch_execz .LBB55_192
.LBB55_208:
	v_cmp_ne_u16_e32 vcc_lo, 0, v3
	s_and_not1_b32 s42, s42, exec_lo
	s_and_b32 s43, vcc_lo, exec_lo
	s_delay_alu instid0(SALU_CYCLE_1)
	s_or_b32 s42, s42, s43
	s_or_b32 exec_lo, exec_lo, s29
	v_mov_b32_e32 v6, 0
	s_and_saveexec_b32 s29, s42
	s_cbranch_execnz .LBB55_193
	s_branch .LBB55_194
.LBB55_209:
	s_mov_b32 s29, -1
                                        ; implicit-def: $vgpr6
	s_branch .LBB55_214
.LBB55_210:
	s_mov_b32 s29, -1
                                        ; implicit-def: $vgpr6
.LBB55_211:
	s_delay_alu instid0(SALU_CYCLE_1)
	s_and_b32 vcc_lo, exec_lo, s29
	s_cbranch_vccz .LBB55_213
; %bb.212:
	global_load_u8 v3, v[4:5], off
	s_wait_loadcnt 0x0
	v_lshlrev_b32_e32 v3, 24, v3
	s_delay_alu instid0(VALU_DEP_1) | instskip(NEXT) | instid1(VALU_DEP_1)
	v_and_b32_e32 v6, 0x7f000000, v3
	v_clz_i32_u32_e32 v7, v6
	v_cmp_ne_u32_e32 vcc_lo, 0, v6
	v_add_nc_u32_e32 v9, 0x1000000, v6
	s_delay_alu instid0(VALU_DEP_3) | instskip(NEXT) | instid1(VALU_DEP_1)
	v_min_u32_e32 v7, 32, v7
	v_sub_nc_u32_e64 v7, v7, 4 clamp
	s_delay_alu instid0(VALU_DEP_1) | instskip(NEXT) | instid1(VALU_DEP_1)
	v_dual_lshlrev_b32 v8, v7, v6 :: v_dual_lshlrev_b32 v7, 23, v7
	v_lshrrev_b32_e32 v8, 4, v8
	s_delay_alu instid0(VALU_DEP_1) | instskip(NEXT) | instid1(VALU_DEP_1)
	v_dual_sub_nc_u32 v7, v8, v7 :: v_dual_ashrrev_i32 v8, 8, v9
	v_add_nc_u32_e32 v7, 0x3c000000, v7
	s_delay_alu instid0(VALU_DEP_1) | instskip(NEXT) | instid1(VALU_DEP_1)
	v_and_or_b32 v7, 0x7f800000, v8, v7
	v_cndmask_b32_e32 v6, 0, v7, vcc_lo
	s_delay_alu instid0(VALU_DEP_1) | instskip(NEXT) | instid1(VALU_DEP_1)
	v_and_or_b32 v3, 0x80000000, v3, v6
	v_cvt_i32_f32_e32 v6, v3
.LBB55_213:
	s_mov_b32 s29, 0
.LBB55_214:
	s_delay_alu instid0(SALU_CYCLE_1)
	s_and_not1_b32 vcc_lo, exec_lo, s29
	s_cbranch_vccnz .LBB55_216
; %bb.215:
	global_load_u8 v3, v[4:5], off
	s_wait_loadcnt 0x0
	v_lshlrev_b32_e32 v6, 25, v3
	v_lshlrev_b16 v3, 8, v3
	s_delay_alu instid0(VALU_DEP_1) | instskip(SKIP_1) | instid1(VALU_DEP_2)
	v_and_or_b32 v8, 0x7f00, v3, 0.5
	v_bfe_i32 v3, v3, 0, 16
	v_dual_add_f32 v8, -0.5, v8 :: v_dual_lshrrev_b32 v7, 4, v6
	v_cmp_gt_u32_e32 vcc_lo, 0x8000000, v6
	s_delay_alu instid0(VALU_DEP_2) | instskip(NEXT) | instid1(VALU_DEP_1)
	v_or_b32_e32 v7, 0x70000000, v7
	v_mul_f32_e32 v7, 0x7800000, v7
	s_delay_alu instid0(VALU_DEP_1) | instskip(NEXT) | instid1(VALU_DEP_1)
	v_cndmask_b32_e32 v6, v7, v8, vcc_lo
	v_and_or_b32 v3, 0x80000000, v3, v6
	s_delay_alu instid0(VALU_DEP_1)
	v_cvt_i32_f32_e32 v6, v3
.LBB55_216:
	s_mov_b32 s42, 0
	s_mov_b32 s29, -1
.LBB55_217:
	s_and_not1_b32 vcc_lo, exec_lo, s42
	s_cbranch_vccnz .LBB55_230
; %bb.218:
	s_cmp_gt_i32 s0, 14
	s_cbranch_scc0 .LBB55_221
; %bb.219:
	s_cmp_eq_u32 s0, 15
	s_cbranch_scc0 .LBB55_224
; %bb.220:
	global_load_u16 v3, v[4:5], off
	s_mov_b32 s29, -1
	s_mov_b32 s28, 0
	s_wait_loadcnt 0x0
	v_lshlrev_b32_e32 v3, 16, v3
	s_delay_alu instid0(VALU_DEP_1)
	v_cvt_i32_f32_e32 v6, v3
	s_branch .LBB55_225
.LBB55_221:
	s_mov_b32 s42, -1
                                        ; implicit-def: $vgpr6
	s_branch .LBB55_226
.LBB55_222:
	s_and_not1_saveexec_b32 s29, s29
	s_cbranch_execz .LBB55_203
.LBB55_223:
	v_cmp_ne_u16_e32 vcc_lo, 0, v3
	s_and_not1_b32 s42, s42, exec_lo
	s_and_b32 s43, vcc_lo, exec_lo
	s_delay_alu instid0(SALU_CYCLE_1)
	s_or_b32 s42, s42, s43
	s_or_b32 exec_lo, exec_lo, s29
	v_mov_b32_e32 v6, 0
	s_and_saveexec_b32 s29, s42
	s_cbranch_execnz .LBB55_204
	s_branch .LBB55_205
.LBB55_224:
	s_mov_b32 s28, -1
                                        ; implicit-def: $vgpr6
.LBB55_225:
	s_mov_b32 s42, 0
.LBB55_226:
	s_delay_alu instid0(SALU_CYCLE_1)
	s_and_b32 vcc_lo, exec_lo, s42
	s_cbranch_vccz .LBB55_230
; %bb.227:
	s_cmp_eq_u32 s0, 11
	s_cbranch_scc0 .LBB55_229
; %bb.228:
	global_load_u8 v3, v[4:5], off
	s_mov_b32 s28, 0
	s_mov_b32 s29, -1
	s_wait_loadcnt 0x0
	v_cmp_ne_u16_e32 vcc_lo, 0, v3
	v_cndmask_b32_e64 v6, 0, 1, vcc_lo
	s_branch .LBB55_230
.LBB55_229:
	s_mov_b32 s28, -1
                                        ; implicit-def: $vgpr6
.LBB55_230:
	s_mov_b32 s42, 0
.LBB55_231:
	s_delay_alu instid0(SALU_CYCLE_1)
	s_and_b32 vcc_lo, exec_lo, s42
	s_cbranch_vccz .LBB55_280
; %bb.232:
	s_cmp_lt_i32 s0, 5
	s_cbranch_scc1 .LBB55_237
; %bb.233:
	s_cmp_lt_i32 s0, 8
	s_cbranch_scc1 .LBB55_238
	;; [unrolled: 3-line block ×3, first 2 shown]
; %bb.235:
	s_cmp_gt_i32 s0, 9
	s_cbranch_scc0 .LBB55_240
; %bb.236:
	s_wait_loadcnt 0x0
	global_load_b64 v[6:7], v[4:5], off
	s_mov_b32 s29, 0
	s_wait_loadcnt 0x0
	v_cvt_i32_f64_e32 v6, v[6:7]
	s_branch .LBB55_241
.LBB55_237:
	s_mov_b32 s29, -1
                                        ; implicit-def: $vgpr6
	s_branch .LBB55_259
.LBB55_238:
	s_mov_b32 s29, -1
                                        ; implicit-def: $vgpr6
	s_branch .LBB55_247
.LBB55_239:
	s_mov_b32 s29, -1
                                        ; implicit-def: $vgpr6
	s_branch .LBB55_244
.LBB55_240:
	s_mov_b32 s29, -1
                                        ; implicit-def: $vgpr6
.LBB55_241:
	s_delay_alu instid0(SALU_CYCLE_1)
	s_and_not1_b32 vcc_lo, exec_lo, s29
	s_cbranch_vccnz .LBB55_243
; %bb.242:
	global_load_b32 v3, v[4:5], off
	s_wait_loadcnt 0x0
	v_cvt_i32_f32_e32 v6, v3
.LBB55_243:
	s_mov_b32 s29, 0
.LBB55_244:
	s_delay_alu instid0(SALU_CYCLE_1)
	s_and_not1_b32 vcc_lo, exec_lo, s29
	s_cbranch_vccnz .LBB55_246
; %bb.245:
	global_load_b32 v3, v[4:5], off
	s_wait_loadcnt 0x0
	v_cvt_f32_f16_e32 v3, v3
	s_delay_alu instid0(VALU_DEP_1)
	v_cvt_i32_f32_e32 v6, v3
.LBB55_246:
	s_mov_b32 s29, 0
.LBB55_247:
	s_delay_alu instid0(SALU_CYCLE_1)
	s_and_not1_b32 vcc_lo, exec_lo, s29
	s_cbranch_vccnz .LBB55_258
; %bb.248:
	s_cmp_lt_i32 s0, 6
	s_cbranch_scc1 .LBB55_251
; %bb.249:
	s_cmp_gt_i32 s0, 6
	s_cbranch_scc0 .LBB55_252
; %bb.250:
	s_wait_loadcnt 0x0
	global_load_b64 v[6:7], v[4:5], off
	s_mov_b32 s29, 0
	s_wait_loadcnt 0x0
	v_cvt_i32_f64_e32 v6, v[6:7]
	s_branch .LBB55_253
.LBB55_251:
	s_mov_b32 s29, -1
                                        ; implicit-def: $vgpr6
	s_branch .LBB55_256
.LBB55_252:
	s_mov_b32 s29, -1
                                        ; implicit-def: $vgpr6
.LBB55_253:
	s_delay_alu instid0(SALU_CYCLE_1)
	s_and_not1_b32 vcc_lo, exec_lo, s29
	s_cbranch_vccnz .LBB55_255
; %bb.254:
	global_load_b32 v3, v[4:5], off
	s_wait_loadcnt 0x0
	v_cvt_i32_f32_e32 v6, v3
.LBB55_255:
	s_mov_b32 s29, 0
.LBB55_256:
	s_delay_alu instid0(SALU_CYCLE_1)
	s_and_not1_b32 vcc_lo, exec_lo, s29
	s_cbranch_vccnz .LBB55_258
; %bb.257:
	global_load_u16 v3, v[4:5], off
	s_wait_loadcnt 0x0
	v_cvt_f32_f16_e32 v3, v3
	s_delay_alu instid0(VALU_DEP_1)
	v_cvt_i32_f32_e32 v6, v3
.LBB55_258:
	s_mov_b32 s29, 0
.LBB55_259:
	s_delay_alu instid0(SALU_CYCLE_1)
	s_and_not1_b32 vcc_lo, exec_lo, s29
	s_cbranch_vccnz .LBB55_279
; %bb.260:
	s_cmp_lt_i32 s0, 2
	s_cbranch_scc1 .LBB55_264
; %bb.261:
	s_cmp_lt_i32 s0, 3
	s_cbranch_scc1 .LBB55_265
; %bb.262:
	s_cmp_gt_i32 s0, 3
	s_cbranch_scc0 .LBB55_266
; %bb.263:
	s_wait_loadcnt 0x0
	global_load_b32 v6, v[4:5], off
	s_mov_b32 s29, 0
	s_branch .LBB55_267
.LBB55_264:
	s_mov_b32 s29, -1
                                        ; implicit-def: $vgpr6
	s_branch .LBB55_273
.LBB55_265:
	s_mov_b32 s29, -1
                                        ; implicit-def: $vgpr6
	s_branch .LBB55_270
.LBB55_266:
	s_mov_b32 s29, -1
                                        ; implicit-def: $vgpr6
.LBB55_267:
	s_delay_alu instid0(SALU_CYCLE_1)
	s_and_not1_b32 vcc_lo, exec_lo, s29
	s_cbranch_vccnz .LBB55_269
; %bb.268:
	s_wait_loadcnt 0x0
	global_load_b32 v6, v[4:5], off
.LBB55_269:
	s_mov_b32 s29, 0
.LBB55_270:
	s_delay_alu instid0(SALU_CYCLE_1)
	s_and_not1_b32 vcc_lo, exec_lo, s29
	s_cbranch_vccnz .LBB55_272
; %bb.271:
	s_wait_loadcnt 0x0
	global_load_i16 v6, v[4:5], off
.LBB55_272:
	s_mov_b32 s29, 0
.LBB55_273:
	s_delay_alu instid0(SALU_CYCLE_1)
	s_and_not1_b32 vcc_lo, exec_lo, s29
	s_cbranch_vccnz .LBB55_279
; %bb.274:
	s_cmp_gt_i32 s0, 0
	s_mov_b32 s0, 0
	s_cbranch_scc0 .LBB55_276
; %bb.275:
	s_wait_loadcnt 0x0
	global_load_i8 v6, v[4:5], off
	s_branch .LBB55_277
.LBB55_276:
	s_mov_b32 s0, -1
                                        ; implicit-def: $vgpr6
.LBB55_277:
	s_delay_alu instid0(SALU_CYCLE_1)
	s_and_not1_b32 vcc_lo, exec_lo, s0
	s_cbranch_vccnz .LBB55_279
; %bb.278:
	s_wait_loadcnt 0x0
	global_load_u8 v6, v[4:5], off
.LBB55_279:
	s_mov_b32 s29, -1
.LBB55_280:
	s_delay_alu instid0(SALU_CYCLE_1)
	s_and_not1_b32 vcc_lo, exec_lo, s29
	s_cbranch_vccnz .LBB55_288
; %bb.281:
	s_wait_loadcnt 0x0
	s_delay_alu instid0(VALU_DEP_3) | instskip(SKIP_2) | instid1(SALU_CYCLE_1)
	v_mul_lo_u32 v1, v1, s16
	v_mov_b32_e32 v3, 0
	s_and_b32 s29, s17, 0xff
	s_cmp_lt_i32 s29, 11
	s_delay_alu instid0(VALU_DEP_1) | instskip(NEXT) | instid1(VALU_DEP_3)
	v_add_nc_u64_e32 v[2:3], s[18:19], v[2:3]
	v_mul_lo_u32 v4, v1, v6
	s_cbranch_scc1 .LBB55_289
; %bb.282:
	s_and_b32 s42, 0xffff, s29
	s_delay_alu instid0(SALU_CYCLE_1)
	s_cmp_gt_i32 s42, 25
	s_cbranch_scc0 .LBB55_290
; %bb.283:
	s_cmp_gt_i32 s42, 28
	s_cbranch_scc0 .LBB55_291
; %bb.284:
	;; [unrolled: 3-line block ×4, first 2 shown]
	s_mov_b32 s44, 0
	s_mov_b32 s0, -1
	s_cmp_eq_u32 s42, 46
	s_mov_b32 s43, 0
	s_cbranch_scc0 .LBB55_294
; %bb.287:
	v_cvt_f32_i32_e32 v1, v4
	s_mov_b32 s43, -1
	s_mov_b32 s0, 0
	s_delay_alu instid0(VALU_DEP_1) | instskip(NEXT) | instid1(VALU_DEP_1)
	v_bfe_u32 v5, v1, 16, 1
	v_add3_u32 v1, v1, v5, 0x7fff
	s_delay_alu instid0(VALU_DEP_1)
	v_lshrrev_b32_e32 v1, 16, v1
	global_store_b32 v[2:3], v1, off
	s_branch .LBB55_294
.LBB55_288:
	s_mov_b32 s0, 0
	s_branch .LBB55_38
.LBB55_289:
	s_mov_b32 s42, -1
	s_mov_b32 s0, 0
	s_mov_b32 s43, 0
	s_branch .LBB55_363
.LBB55_290:
	s_mov_b32 s44, -1
	s_mov_b32 s0, 0
	s_mov_b32 s43, 0
	s_branch .LBB55_321
.LBB55_291:
	s_mov_b32 s44, -1
	s_mov_b32 s0, 0
	s_mov_b32 s43, 0
	s_branch .LBB55_304
.LBB55_292:
	s_mov_b32 s44, -1
	s_mov_b32 s0, 0
	s_mov_b32 s43, 0
	s_branch .LBB55_300
.LBB55_293:
	s_mov_b32 s44, -1
	s_mov_b32 s0, 0
	s_mov_b32 s43, 0
.LBB55_294:
	s_and_b32 vcc_lo, exec_lo, s44
	s_cbranch_vccz .LBB55_299
; %bb.295:
	s_cmp_eq_u32 s42, 44
	s_mov_b32 s0, -1
	s_cbranch_scc0 .LBB55_299
; %bb.296:
	s_wait_xcnt 0x0
	v_cvt_f32_i32_e32 v1, v4
	v_mov_b32_e32 v5, 0xff
	s_mov_b32 s43, exec_lo
	s_delay_alu instid0(VALU_DEP_2) | instskip(NEXT) | instid1(VALU_DEP_1)
	v_bfe_u32 v6, v1, 23, 8
	v_cmpx_ne_u32_e32 0xff, v6
	s_cbranch_execz .LBB55_298
; %bb.297:
	v_and_b32_e32 v5, 0x400000, v1
	v_and_or_b32 v6, 0x3fffff, v1, v6
	v_lshrrev_b32_e32 v1, 23, v1
	s_delay_alu instid0(VALU_DEP_3) | instskip(NEXT) | instid1(VALU_DEP_3)
	v_cmp_ne_u32_e32 vcc_lo, 0, v5
	v_cmp_ne_u32_e64 s0, 0, v6
	s_and_b32 s0, vcc_lo, s0
	s_delay_alu instid0(SALU_CYCLE_1) | instskip(NEXT) | instid1(VALU_DEP_1)
	v_cndmask_b32_e64 v5, 0, 1, s0
	v_add_nc_u32_e32 v5, v1, v5
.LBB55_298:
	s_or_b32 exec_lo, exec_lo, s43
	s_mov_b32 s43, -1
	s_mov_b32 s0, 0
	global_store_b8 v[2:3], v5, off
.LBB55_299:
	s_mov_b32 s44, 0
.LBB55_300:
	s_delay_alu instid0(SALU_CYCLE_1)
	s_and_b32 vcc_lo, exec_lo, s44
	s_cbranch_vccz .LBB55_303
; %bb.301:
	s_cmp_eq_u32 s42, 29
	s_mov_b32 s0, -1
	s_cbranch_scc0 .LBB55_303
; %bb.302:
	s_wait_xcnt 0x0
	v_ashrrev_i32_e32 v5, 31, v4
	s_mov_b32 s43, -1
	s_mov_b32 s0, 0
	s_mov_b32 s44, 0
	global_store_b64 v[2:3], v[4:5], off
	s_branch .LBB55_304
.LBB55_303:
	s_mov_b32 s44, 0
.LBB55_304:
	s_delay_alu instid0(SALU_CYCLE_1)
	s_and_b32 vcc_lo, exec_lo, s44
	s_cbranch_vccz .LBB55_320
; %bb.305:
	s_cmp_lt_i32 s42, 27
	s_mov_b32 s43, -1
	s_cbranch_scc1 .LBB55_311
; %bb.306:
	s_cmp_gt_i32 s42, 27
	s_cbranch_scc0 .LBB55_308
; %bb.307:
	s_mov_b32 s43, 0
	global_store_b32 v[2:3], v4, off
.LBB55_308:
	s_and_not1_b32 vcc_lo, exec_lo, s43
	s_cbranch_vccnz .LBB55_310
; %bb.309:
	global_store_b16 v[2:3], v4, off
.LBB55_310:
	s_mov_b32 s43, 0
.LBB55_311:
	s_delay_alu instid0(SALU_CYCLE_1)
	s_and_not1_b32 vcc_lo, exec_lo, s43
	s_cbranch_vccnz .LBB55_319
; %bb.312:
	s_wait_xcnt 0x0
	v_cvt_f32_i32_e32 v1, v4
	v_mov_b32_e32 v6, 0x80
	s_mov_b32 s43, exec_lo
	s_delay_alu instid0(VALU_DEP_2) | instskip(NEXT) | instid1(VALU_DEP_1)
	v_and_b32_e32 v5, 0x7fffffff, v1
	v_cmpx_gt_u32_e32 0x43800000, v5
	s_cbranch_execz .LBB55_318
; %bb.313:
	v_cmp_lt_u32_e32 vcc_lo, 0x3bffffff, v5
	s_mov_b32 s44, 0
                                        ; implicit-def: $vgpr5
	s_and_saveexec_b32 s45, vcc_lo
	s_delay_alu instid0(SALU_CYCLE_1)
	s_xor_b32 s45, exec_lo, s45
	s_cbranch_execz .LBB55_450
; %bb.314:
	v_bfe_u32 v5, v1, 20, 1
	s_mov_b32 s44, exec_lo
	s_delay_alu instid0(VALU_DEP_1) | instskip(NEXT) | instid1(VALU_DEP_1)
	v_add3_u32 v5, v1, v5, 0x487ffff
	v_lshrrev_b32_e32 v5, 20, v5
	s_and_not1_saveexec_b32 s45, s45
	s_cbranch_execnz .LBB55_451
.LBB55_315:
	s_or_b32 exec_lo, exec_lo, s45
	v_mov_b32_e32 v6, 0
	s_and_saveexec_b32 s45, s44
.LBB55_316:
	v_lshrrev_b32_e32 v1, 24, v1
	s_delay_alu instid0(VALU_DEP_1)
	v_and_or_b32 v6, 0x80, v1, v5
.LBB55_317:
	s_or_b32 exec_lo, exec_lo, s45
.LBB55_318:
	s_delay_alu instid0(SALU_CYCLE_1)
	s_or_b32 exec_lo, exec_lo, s43
	global_store_b8 v[2:3], v6, off
.LBB55_319:
	s_mov_b32 s43, -1
.LBB55_320:
	s_mov_b32 s44, 0
.LBB55_321:
	s_delay_alu instid0(SALU_CYCLE_1)
	s_and_b32 vcc_lo, exec_lo, s44
	s_cbranch_vccz .LBB55_362
; %bb.322:
	s_cmp_gt_i32 s42, 22
	s_mov_b32 s44, -1
	s_cbranch_scc0 .LBB55_354
; %bb.323:
	s_cmp_lt_i32 s42, 24
	s_mov_b32 s43, -1
	s_cbranch_scc1 .LBB55_343
; %bb.324:
	s_cmp_gt_i32 s42, 24
	s_cbranch_scc0 .LBB55_332
; %bb.325:
	s_wait_xcnt 0x0
	v_cvt_f32_i32_e32 v1, v4
	v_mov_b32_e32 v6, 0x80
	s_mov_b32 s43, exec_lo
	s_delay_alu instid0(VALU_DEP_2) | instskip(NEXT) | instid1(VALU_DEP_1)
	v_and_b32_e32 v5, 0x7fffffff, v1
	v_cmpx_gt_u32_e32 0x47800000, v5
	s_cbranch_execz .LBB55_331
; %bb.326:
	v_cmp_lt_u32_e32 vcc_lo, 0x37ffffff, v5
	s_mov_b32 s44, 0
                                        ; implicit-def: $vgpr5
	s_and_saveexec_b32 s45, vcc_lo
	s_delay_alu instid0(SALU_CYCLE_1)
	s_xor_b32 s45, exec_lo, s45
	s_cbranch_execz .LBB55_577
; %bb.327:
	v_bfe_u32 v5, v1, 21, 1
	s_mov_b32 s44, exec_lo
	s_delay_alu instid0(VALU_DEP_1) | instskip(NEXT) | instid1(VALU_DEP_1)
	v_add3_u32 v5, v1, v5, 0x88fffff
	v_lshrrev_b32_e32 v5, 21, v5
	s_and_not1_saveexec_b32 s45, s45
	s_cbranch_execnz .LBB55_578
.LBB55_328:
	s_or_b32 exec_lo, exec_lo, s45
	v_mov_b32_e32 v6, 0
	s_and_saveexec_b32 s45, s44
.LBB55_329:
	v_lshrrev_b32_e32 v1, 24, v1
	s_delay_alu instid0(VALU_DEP_1)
	v_and_or_b32 v6, 0x80, v1, v5
.LBB55_330:
	s_or_b32 exec_lo, exec_lo, s45
.LBB55_331:
	s_delay_alu instid0(SALU_CYCLE_1)
	s_or_b32 exec_lo, exec_lo, s43
	s_mov_b32 s43, 0
	global_store_b8 v[2:3], v6, off
.LBB55_332:
	s_and_b32 vcc_lo, exec_lo, s43
	s_cbranch_vccz .LBB55_342
; %bb.333:
	s_wait_xcnt 0x0
	v_cvt_f32_i32_e32 v1, v4
	s_mov_b32 s43, exec_lo
                                        ; implicit-def: $vgpr5
	s_delay_alu instid0(VALU_DEP_1) | instskip(NEXT) | instid1(VALU_DEP_1)
	v_and_b32_e32 v6, 0x7fffffff, v1
	v_cmpx_gt_u32_e32 0x43f00000, v6
	s_xor_b32 s43, exec_lo, s43
	s_cbranch_execz .LBB55_339
; %bb.334:
	s_mov_b32 s44, exec_lo
                                        ; implicit-def: $vgpr5
	v_cmpx_lt_u32_e32 0x3c7fffff, v6
	s_xor_b32 s44, exec_lo, s44
; %bb.335:
	v_bfe_u32 v5, v1, 20, 1
	s_delay_alu instid0(VALU_DEP_1) | instskip(NEXT) | instid1(VALU_DEP_1)
	v_add3_u32 v5, v1, v5, 0x407ffff
	v_and_b32_e32 v6, 0xff00000, v5
	v_lshrrev_b32_e32 v5, 20, v5
	s_delay_alu instid0(VALU_DEP_2) | instskip(NEXT) | instid1(VALU_DEP_2)
	v_cmp_ne_u32_e32 vcc_lo, 0x7f00000, v6
	v_cndmask_b32_e32 v5, 0x7e, v5, vcc_lo
; %bb.336:
	s_and_not1_saveexec_b32 s44, s44
; %bb.337:
	v_add_f32_e64 v5, 0x46800000, |v1|
; %bb.338:
	s_or_b32 exec_lo, exec_lo, s44
                                        ; implicit-def: $vgpr6
.LBB55_339:
	s_and_not1_saveexec_b32 s43, s43
; %bb.340:
	v_mov_b32_e32 v5, 0x7f
	v_cmp_lt_u32_e32 vcc_lo, 0x7f800000, v6
	s_delay_alu instid0(VALU_DEP_2)
	v_cndmask_b32_e32 v5, 0x7e, v5, vcc_lo
; %bb.341:
	s_or_b32 exec_lo, exec_lo, s43
	v_lshrrev_b32_e32 v1, 24, v1
	s_delay_alu instid0(VALU_DEP_1)
	v_and_or_b32 v1, 0x80, v1, v5
	global_store_b8 v[2:3], v1, off
.LBB55_342:
	s_mov_b32 s43, 0
.LBB55_343:
	s_delay_alu instid0(SALU_CYCLE_1)
	s_and_not1_b32 vcc_lo, exec_lo, s43
	s_cbranch_vccnz .LBB55_353
; %bb.344:
	s_wait_xcnt 0x0
	v_cvt_f32_i32_e32 v1, v4
	s_mov_b32 s43, exec_lo
                                        ; implicit-def: $vgpr5
	s_delay_alu instid0(VALU_DEP_1) | instskip(NEXT) | instid1(VALU_DEP_1)
	v_and_b32_e32 v6, 0x7fffffff, v1
	v_cmpx_gt_u32_e32 0x47800000, v6
	s_xor_b32 s43, exec_lo, s43
	s_cbranch_execz .LBB55_350
; %bb.345:
	s_mov_b32 s44, exec_lo
                                        ; implicit-def: $vgpr5
	v_cmpx_lt_u32_e32 0x387fffff, v6
	s_xor_b32 s44, exec_lo, s44
; %bb.346:
	v_bfe_u32 v5, v1, 21, 1
	s_delay_alu instid0(VALU_DEP_1) | instskip(NEXT) | instid1(VALU_DEP_1)
	v_add3_u32 v5, v1, v5, 0x80fffff
	v_lshrrev_b32_e32 v5, 21, v5
; %bb.347:
	s_and_not1_saveexec_b32 s44, s44
; %bb.348:
	v_add_f32_e64 v5, 0x43000000, |v1|
; %bb.349:
	s_or_b32 exec_lo, exec_lo, s44
                                        ; implicit-def: $vgpr6
.LBB55_350:
	s_and_not1_saveexec_b32 s43, s43
; %bb.351:
	v_mov_b32_e32 v5, 0x7f
	v_cmp_lt_u32_e32 vcc_lo, 0x7f800000, v6
	s_delay_alu instid0(VALU_DEP_2)
	v_cndmask_b32_e32 v5, 0x7c, v5, vcc_lo
; %bb.352:
	s_or_b32 exec_lo, exec_lo, s43
	v_lshrrev_b32_e32 v1, 24, v1
	s_delay_alu instid0(VALU_DEP_1)
	v_and_or_b32 v1, 0x80, v1, v5
	global_store_b8 v[2:3], v1, off
.LBB55_353:
	s_mov_b32 s44, 0
	s_mov_b32 s43, -1
.LBB55_354:
	s_and_not1_b32 vcc_lo, exec_lo, s44
	s_cbranch_vccnz .LBB55_362
; %bb.355:
	s_cmp_gt_i32 s42, 14
	s_mov_b32 s44, -1
	s_cbranch_scc0 .LBB55_359
; %bb.356:
	s_cmp_eq_u32 s42, 15
	s_mov_b32 s0, -1
	s_cbranch_scc0 .LBB55_358
; %bb.357:
	s_wait_xcnt 0x0
	v_cvt_f32_i32_e32 v1, v4
	s_mov_b32 s43, -1
	s_mov_b32 s0, 0
	s_delay_alu instid0(VALU_DEP_1) | instskip(NEXT) | instid1(VALU_DEP_1)
	v_bfe_u32 v5, v1, 16, 1
	v_add3_u32 v1, v1, v5, 0x7fff
	global_store_d16_hi_b16 v[2:3], v1, off
.LBB55_358:
	s_mov_b32 s44, 0
.LBB55_359:
	s_delay_alu instid0(SALU_CYCLE_1)
	s_and_b32 vcc_lo, exec_lo, s44
	s_cbranch_vccz .LBB55_362
; %bb.360:
	s_cmp_eq_u32 s42, 11
	s_mov_b32 s0, -1
	s_cbranch_scc0 .LBB55_362
; %bb.361:
	v_cmp_ne_u32_e32 vcc_lo, 0, v4
	s_mov_b32 s0, 0
	s_mov_b32 s43, -1
	s_wait_xcnt 0x0
	v_cndmask_b32_e64 v1, 0, 1, vcc_lo
	global_store_b8 v[2:3], v1, off
.LBB55_362:
	s_mov_b32 s42, 0
.LBB55_363:
	s_delay_alu instid0(SALU_CYCLE_1)
	s_and_b32 vcc_lo, exec_lo, s42
	s_cbranch_vccz .LBB55_402
; %bb.364:
	s_and_b32 s29, 0xffff, s29
	s_mov_b32 s42, -1
	s_cmp_lt_i32 s29, 5
	s_cbranch_scc1 .LBB55_385
; %bb.365:
	s_cmp_lt_i32 s29, 8
	s_cbranch_scc1 .LBB55_375
; %bb.366:
	;; [unrolled: 3-line block ×3, first 2 shown]
	s_cmp_gt_i32 s29, 9
	s_cbranch_scc0 .LBB55_369
; %bb.368:
	s_wait_xcnt 0x0
	v_cvt_f64_i32_e32 v[6:7], v4
	v_mov_b32_e32 v8, 0
	s_mov_b32 s42, 0
	s_delay_alu instid0(VALU_DEP_1)
	v_mov_b32_e32 v9, v8
	global_store_b128 v[2:3], v[6:9], off
.LBB55_369:
	s_and_not1_b32 vcc_lo, exec_lo, s42
	s_cbranch_vccnz .LBB55_371
; %bb.370:
	s_wait_xcnt 0x0
	v_cvt_f32_i32_e32 v6, v4
	v_mov_b32_e32 v7, 0
	global_store_b64 v[2:3], v[6:7], off
.LBB55_371:
	s_mov_b32 s42, 0
.LBB55_372:
	s_delay_alu instid0(SALU_CYCLE_1)
	s_and_not1_b32 vcc_lo, exec_lo, s42
	s_cbranch_vccnz .LBB55_374
; %bb.373:
	s_wait_xcnt 0x0
	v_cvt_f32_i32_e32 v1, v4
	s_delay_alu instid0(VALU_DEP_1) | instskip(NEXT) | instid1(VALU_DEP_1)
	v_cvt_f16_f32_e32 v1, v1
	v_and_b32_e32 v1, 0xffff, v1
	global_store_b32 v[2:3], v1, off
.LBB55_374:
	s_mov_b32 s42, 0
.LBB55_375:
	s_delay_alu instid0(SALU_CYCLE_1)
	s_and_not1_b32 vcc_lo, exec_lo, s42
	s_cbranch_vccnz .LBB55_384
; %bb.376:
	s_cmp_lt_i32 s29, 6
	s_mov_b32 s42, -1
	s_cbranch_scc1 .LBB55_382
; %bb.377:
	s_cmp_gt_i32 s29, 6
	s_cbranch_scc0 .LBB55_379
; %bb.378:
	s_wait_xcnt 0x0
	v_cvt_f64_i32_e32 v[6:7], v4
	s_mov_b32 s42, 0
	global_store_b64 v[2:3], v[6:7], off
.LBB55_379:
	s_and_not1_b32 vcc_lo, exec_lo, s42
	s_cbranch_vccnz .LBB55_381
; %bb.380:
	s_wait_xcnt 0x0
	v_cvt_f32_i32_e32 v1, v4
	global_store_b32 v[2:3], v1, off
.LBB55_381:
	s_mov_b32 s42, 0
.LBB55_382:
	s_delay_alu instid0(SALU_CYCLE_1)
	s_and_not1_b32 vcc_lo, exec_lo, s42
	s_cbranch_vccnz .LBB55_384
; %bb.383:
	s_wait_xcnt 0x0
	v_cvt_f32_i32_e32 v1, v4
	s_delay_alu instid0(VALU_DEP_1)
	v_cvt_f16_f32_e32 v1, v1
	global_store_b16 v[2:3], v1, off
.LBB55_384:
	s_mov_b32 s42, 0
.LBB55_385:
	s_delay_alu instid0(SALU_CYCLE_1)
	s_and_not1_b32 vcc_lo, exec_lo, s42
	s_cbranch_vccnz .LBB55_401
; %bb.386:
	s_cmp_lt_i32 s29, 2
	s_mov_b32 s42, -1
	s_cbranch_scc1 .LBB55_396
; %bb.387:
	s_cmp_lt_i32 s29, 3
	s_cbranch_scc1 .LBB55_393
; %bb.388:
	s_cmp_gt_i32 s29, 3
	s_cbranch_scc0 .LBB55_390
; %bb.389:
	s_wait_xcnt 0x0
	v_ashrrev_i32_e32 v5, 31, v4
	s_mov_b32 s42, 0
	global_store_b64 v[2:3], v[4:5], off
.LBB55_390:
	s_and_not1_b32 vcc_lo, exec_lo, s42
	s_cbranch_vccnz .LBB55_392
; %bb.391:
	global_store_b32 v[2:3], v4, off
.LBB55_392:
	s_mov_b32 s42, 0
.LBB55_393:
	s_delay_alu instid0(SALU_CYCLE_1)
	s_and_not1_b32 vcc_lo, exec_lo, s42
	s_cbranch_vccnz .LBB55_395
; %bb.394:
	global_store_b16 v[2:3], v4, off
.LBB55_395:
	s_mov_b32 s42, 0
.LBB55_396:
	s_delay_alu instid0(SALU_CYCLE_1)
	s_and_not1_b32 vcc_lo, exec_lo, s42
	s_cbranch_vccnz .LBB55_401
; %bb.397:
	s_cmp_gt_i32 s29, 0
	s_mov_b32 s29, -1
	s_cbranch_scc0 .LBB55_399
; %bb.398:
	s_mov_b32 s29, 0
	global_store_b8 v[2:3], v4, off
.LBB55_399:
	s_and_not1_b32 vcc_lo, exec_lo, s29
	s_cbranch_vccnz .LBB55_401
; %bb.400:
	global_store_b8 v[2:3], v4, off
.LBB55_401:
	s_mov_b32 s43, -1
.LBB55_402:
	s_delay_alu instid0(SALU_CYCLE_1)
	s_and_not1_b32 vcc_lo, exec_lo, s43
	s_cbranch_vccnz .LBB55_38
; %bb.403:
	v_add_nc_u32_e32 v0, 0x80, v0
	s_mov_b32 s29, -1
.LBB55_404:
	s_and_b32 s42, s0, exec_lo
	s_and_b32 s43, s28, exec_lo
	;; [unrolled: 1-line block ×4, first 2 shown]
	s_or_not1_b32 s26, s29, exec_lo
.LBB55_405:
	s_wait_xcnt 0x0
	s_or_b32 exec_lo, exec_lo, s46
                                        ; implicit-def: $vgpr4
                                        ; implicit-def: $vgpr6
                                        ; implicit-def: $vgpr2
	s_and_saveexec_b32 s46, s26
	s_cbranch_execz .LBB55_1267
; %bb.406:
	s_mov_b32 s26, -1
	s_mov_b32 s47, s45
	s_mov_b32 s50, s44
	;; [unrolled: 1-line block ×4, first 2 shown]
	s_mov_b32 s51, exec_lo
	v_cmpx_gt_i32_e64 s40, v0
	s_cbranch_execz .LBB55_816
; %bb.407:
	s_and_not1_b32 vcc_lo, exec_lo, s33
	s_cbranch_vccnz .LBB55_413
; %bb.408:
	s_and_not1_b32 vcc_lo, exec_lo, s41
	s_cbranch_vccnz .LBB55_414
; %bb.409:
	s_wait_loadcnt 0x0
	v_dual_mov_b32 v2, 0 :: v_dual_mov_b32 v1, v0
	v_dual_mov_b32 v6, 0 :: v_dual_mov_b32 v4, 0
	s_add_co_i32 s0, s39, 1
	s_mov_b64 s[26:27], 0xffffffffffffffe0
	s_and_b32 s0, s0, 30
	s_add_nc_u64 s[26:27], s[2:3], s[26:27]
	s_mov_b64 s[28:29], s[2:3]
.LBB55_410:                             ; =>This Inner Loop Header: Depth=1
	s_clause 0x1
	s_load_b128 s[52:55], s[28:29], 0x4
	s_load_b64 s[56:57], s[28:29], 0x14
	s_clause 0x1
	s_load_b32 s47, s[26:27], 0xe4
	s_load_b96 s[48:50], s[26:27], 0xec
	s_add_co_i32 s0, s0, -2
	s_wait_xcnt 0x0
	s_add_nc_u64 s[28:29], s[28:29], 24
	s_cmp_eq_u32 s0, 0
	s_wait_kmcnt 0x0
	v_mul_hi_u32 v3, s53, v1
	s_delay_alu instid0(VALU_DEP_1) | instskip(NEXT) | instid1(VALU_DEP_1)
	v_add_nc_u32_e32 v3, v1, v3
	v_lshrrev_b32_e32 v3, s54, v3
	s_delay_alu instid0(VALU_DEP_1) | instskip(SKIP_4) | instid1(VALU_DEP_1)
	v_mul_hi_u32 v5, s56, v3
	v_mul_lo_u32 v7, v3, s52
	s_load_b64 s[52:53], s[26:27], 0xfc
	s_wait_xcnt 0x0
	s_add_nc_u64 s[26:27], s[26:27], 32
	v_dual_add_nc_u32 v5, v3, v5 :: v_dual_sub_nc_u32 v7, v1, v7
	s_delay_alu instid0(VALU_DEP_1) | instskip(NEXT) | instid1(VALU_DEP_2)
	v_lshrrev_b32_e32 v1, s57, v5
	v_mad_u32 v2, v7, s47, v2
	v_mad_u32 v4, v7, s49, v4
	;; [unrolled: 1-line block ×3, first 2 shown]
	s_delay_alu instid0(VALU_DEP_4) | instskip(NEXT) | instid1(VALU_DEP_1)
	v_mul_lo_u32 v5, v1, s55
	v_sub_nc_u32_e32 v3, v3, v5
	s_delay_alu instid0(VALU_DEP_1)
	v_mad_u32 v2, v3, s50, v2
	s_wait_kmcnt 0x0
	v_mad_u32 v4, v3, s53, v4
	v_mad_u32 v6, v3, s52, v6
	s_cbranch_scc0 .LBB55_410
; %bb.411:
	s_bitcmp1_b32 s39, 0
	s_cselect_b32 s0, -1, 0
	s_delay_alu instid0(SALU_CYCLE_1)
	s_and_b32 vcc_lo, exec_lo, s0
	s_cbranch_vccnz .LBB55_415
; %bb.412:
	s_load_b96 s[48:50], s[28:29], 0x4
	s_load_b32 s0, s[26:27], 0xe4
	s_wait_xcnt 0x0
	s_load_b64 s[28:29], s[26:27], 0xec
	s_wait_kmcnt 0x0
	v_mul_hi_u32 v3, s49, v1
	s_delay_alu instid0(VALU_DEP_1) | instskip(NEXT) | instid1(VALU_DEP_1)
	v_add_nc_u32_e32 v3, v1, v3
	v_lshrrev_b32_e32 v3, s50, v3
	s_delay_alu instid0(VALU_DEP_1) | instskip(NEXT) | instid1(VALU_DEP_1)
	v_mul_lo_u32 v3, v3, s48
	v_sub_nc_u32_e32 v1, v1, v3
	s_delay_alu instid0(VALU_DEP_1)
	v_mad_u32 v2, v1, s0, v2
	v_mad_u32 v6, v1, s28, v6
	;; [unrolled: 1-line block ×3, first 2 shown]
	s_branch .LBB55_415
.LBB55_413:
                                        ; implicit-def: $vgpr4
                                        ; implicit-def: $vgpr6
                                        ; implicit-def: $vgpr2
	s_branch .LBB55_416
.LBB55_414:
	s_wait_loadcnt 0x0
	v_dual_mov_b32 v4, 0 :: v_dual_mov_b32 v6, 0
	v_mov_b32_e32 v2, 0
.LBB55_415:
	s_cbranch_execnz .LBB55_418
.LBB55_416:
	s_wait_loadcnt 0x0
	v_mov_b32_e32 v1, 0
	s_and_not1_b32 vcc_lo, exec_lo, s38
	s_delay_alu instid0(VALU_DEP_1) | instskip(NEXT) | instid1(VALU_DEP_1)
	v_mul_u64_e32 v[2:3], s[20:21], v[0:1]
	v_add_nc_u32_e32 v2, v0, v3
	s_delay_alu instid0(VALU_DEP_1) | instskip(NEXT) | instid1(VALU_DEP_1)
	v_lshrrev_b32_e32 v8, s10, v2
	v_mul_lo_u32 v2, v8, s8
	s_delay_alu instid0(VALU_DEP_1) | instskip(NEXT) | instid1(VALU_DEP_1)
	v_sub_nc_u32_e32 v3, v0, v2
	v_mul_lo_u32 v2, v3, s37
	v_mul_lo_u32 v4, v3, s13
	;; [unrolled: 1-line block ×3, first 2 shown]
	s_cbranch_vccnz .LBB55_418
; %bb.417:
	v_mov_b32_e32 v9, v1
	s_delay_alu instid0(VALU_DEP_1) | instskip(NEXT) | instid1(VALU_DEP_1)
	v_mul_u64_e32 v[10:11], s[24:25], v[8:9]
	v_add_nc_u32_e32 v1, v8, v11
	s_delay_alu instid0(VALU_DEP_1) | instskip(NEXT) | instid1(VALU_DEP_1)
	v_lshrrev_b32_e32 v1, s1, v1
	v_mul_lo_u32 v1, v1, s11
	s_delay_alu instid0(VALU_DEP_1) | instskip(NEXT) | instid1(VALU_DEP_1)
	v_sub_nc_u32_e32 v1, v8, v1
	v_mad_u32 v2, v1, s14, v2
	v_mad_u32 v6, v1, s22, v6
	v_mad_u32 v4, v1, s23, v4
.LBB55_418:
	s_and_b32 s26, s36, 0xff
	s_delay_alu instid0(SALU_CYCLE_1)
	s_cmp_lt_i32 s26, 23
	s_cbranch_scc1 .LBB55_422
; %bb.419:
	s_and_b32 s28, 0xffff, s26
	s_delay_alu instid0(SALU_CYCLE_1)
	s_cmp_gt_i32 s28, 43
	s_cbranch_scc0 .LBB55_423
; %bb.420:
	s_cmp_gt_i32 s28, 45
	s_cbranch_scc0 .LBB55_424
; %bb.421:
	s_cmp_eq_u32 s28, 46
	s_mov_b32 s29, 0
	s_cselect_b32 s0, -1, 0
	s_or_b32 s27, s45, exec_lo
	s_branch .LBB55_425
.LBB55_422:
	s_mov_b32 s0, 0
	s_mov_b32 s27, s45
	s_cbranch_execnz .LBB55_431
	s_branch .LBB55_435
.LBB55_423:
	s_mov_b32 s29, -1
	s_mov_b32 s0, 0
	s_mov_b32 s27, s45
	s_branch .LBB55_428
.LBB55_424:
	s_mov_b32 s29, -1
	s_mov_b32 s0, 0
	s_mov_b32 s27, s45
.LBB55_425:
	s_and_not1_b32 vcc_lo, exec_lo, s29
	s_cbranch_vccnz .LBB55_427
; %bb.426:
	s_cmp_eq_u32 s28, 44
	s_cselect_b32 s0, -1, 0
	s_cmp_lg_u32 s28, 44
	s_cselect_b32 s29, -1, 0
	s_and_not1_b32 s27, s27, exec_lo
	s_and_b32 s29, s29, exec_lo
	s_delay_alu instid0(SALU_CYCLE_1)
	s_or_b32 s27, s27, s29
.LBB55_427:
	s_mov_b32 s29, 0
.LBB55_428:
	s_delay_alu instid0(SALU_CYCLE_1)
	s_and_b32 vcc_lo, exec_lo, s29
	s_cbranch_vccz .LBB55_430
; %bb.429:
	s_cmp_lt_i32 s28, 30
	s_cselect_b32 s0, -1, 0
	s_cmp_gt_i32 s28, 29
	s_cselect_b32 s28, -1, 0
	s_and_not1_b32 s27, s27, exec_lo
	s_and_b32 s28, s28, exec_lo
	s_delay_alu instid0(SALU_CYCLE_1)
	s_or_b32 s27, s27, s28
.LBB55_430:
	s_branch .LBB55_435
.LBB55_431:
	s_and_b32 s26, 0xffff, s26
	s_mov_b32 s28, -1
	s_cmp_gt_i32 s26, 14
	s_cbranch_scc0 .LBB55_433
; %bb.432:
	s_cmp_eq_u32 s26, 15
	s_cselect_b32 s0, -1, 0
	s_cmp_lg_u32 s26, 15
	s_cselect_b32 s28, -1, 0
	s_and_not1_b32 s27, s27, exec_lo
	s_and_b32 s29, s28, exec_lo
	s_mov_b32 s28, 0
	s_or_b32 s27, s27, s29
.LBB55_433:
	s_and_not1_b32 vcc_lo, exec_lo, s28
	s_cbranch_vccnz .LBB55_435
; %bb.434:
	s_cmp_lt_i32 s26, 12
	s_cselect_b32 s0, -1, 0
	s_cmp_gt_i32 s26, 11
	s_cselect_b32 s26, -1, 0
	s_and_not1_b32 s27, s27, exec_lo
	s_and_b32 s26, s26, exec_lo
	s_delay_alu instid0(SALU_CYCLE_1)
	s_or_b32 s27, s27, s26
.LBB55_435:
	s_and_b32 vcc_lo, exec_lo, s0
	s_cbranch_vccz .LBB55_443
; %bb.436:
	v_mov_b32_e32 v7, 0
	s_and_b32 s0, s35, 0xff
	s_delay_alu instid0(SALU_CYCLE_1) | instskip(SKIP_1) | instid1(VALU_DEP_1)
	s_cmp_lt_i32 s0, 11
	s_wait_loadcnt 0x0
	v_add_nc_u64_e32 v[6:7], s[4:5], v[6:7]
	s_cbranch_scc1 .LBB55_445
; %bb.437:
	s_and_b32 s27, 0xffff, s0
	s_delay_alu instid0(SALU_CYCLE_1)
	s_cmp_gt_i32 s27, 25
	s_cbranch_scc0 .LBB55_446
; %bb.438:
	s_cmp_gt_i32 s27, 28
	s_cbranch_scc0 .LBB55_447
; %bb.439:
	;; [unrolled: 3-line block ×4, first 2 shown]
	s_cmp_eq_u32 s27, 46
	s_mov_b32 s29, 0
	s_cbranch_scc0 .LBB55_452
; %bb.442:
	global_load_b32 v1, v[6:7], off
	s_mov_b32 s28, -1
	s_mov_b32 s26, 0
	s_wait_loadcnt 0x0
	v_lshlrev_b32_e32 v1, 16, v1
	s_delay_alu instid0(VALU_DEP_1)
	v_cvt_i32_f32_e32 v1, v1
	s_branch .LBB55_454
.LBB55_443:
	s_mov_b32 s29, 0
	s_mov_b32 s0, s42
	;; [unrolled: 1-line block ×4, first 2 shown]
.LBB55_444:
                                        ; implicit-def: $vgpr0
	s_branch .LBB55_815
.LBB55_445:
	s_mov_b32 s27, -1
	s_mov_b32 s28, 0
	s_mov_b32 s26, s44
                                        ; implicit-def: $vgpr1
	s_branch .LBB55_515
.LBB55_446:
	s_mov_b32 s29, -1
	s_mov_b32 s28, 0
	s_mov_b32 s26, s44
                                        ; implicit-def: $vgpr1
	s_branch .LBB55_481
.LBB55_447:
	s_mov_b32 s29, -1
	s_mov_b32 s28, 0
	s_mov_b32 s26, s44
                                        ; implicit-def: $vgpr1
	s_branch .LBB55_464
.LBB55_448:
	s_mov_b32 s29, -1
	s_mov_b32 s28, 0
	s_mov_b32 s26, s44
                                        ; implicit-def: $vgpr1
	s_branch .LBB55_459
.LBB55_449:
	s_mov_b32 s29, -1
	s_mov_b32 s28, 0
	s_mov_b32 s26, s44
	s_branch .LBB55_453
.LBB55_450:
	s_and_not1_saveexec_b32 s45, s45
	s_cbranch_execz .LBB55_315
.LBB55_451:
	v_add_f32_e64 v5, 0x46000000, |v1|
	s_and_not1_b32 s44, s44, exec_lo
	s_delay_alu instid0(VALU_DEP_1) | instskip(NEXT) | instid1(VALU_DEP_1)
	v_and_b32_e32 v5, 0xff, v5
	v_cmp_ne_u32_e32 vcc_lo, 0, v5
	s_and_b32 s47, vcc_lo, exec_lo
	s_delay_alu instid0(SALU_CYCLE_1)
	s_or_b32 s44, s44, s47
	s_or_b32 exec_lo, exec_lo, s45
	v_mov_b32_e32 v6, 0
	s_and_saveexec_b32 s45, s44
	s_cbranch_execnz .LBB55_316
	s_branch .LBB55_317
.LBB55_452:
	s_mov_b32 s26, -1
	s_mov_b32 s28, 0
.LBB55_453:
                                        ; implicit-def: $vgpr1
.LBB55_454:
	s_and_b32 vcc_lo, exec_lo, s29
	s_cbranch_vccz .LBB55_458
; %bb.455:
	s_cmp_eq_u32 s27, 44
	s_cbranch_scc0 .LBB55_457
; %bb.456:
	global_load_u8 v1, v[6:7], off
	s_mov_b32 s26, 0
	s_mov_b32 s28, -1
	s_wait_loadcnt 0x0
	v_lshlrev_b32_e32 v3, 23, v1
	v_cmp_ne_u32_e32 vcc_lo, 0, v1
	s_delay_alu instid0(VALU_DEP_2) | instskip(NEXT) | instid1(VALU_DEP_1)
	v_cvt_i32_f32_e32 v3, v3
	v_cndmask_b32_e32 v1, 0, v3, vcc_lo
	s_branch .LBB55_458
.LBB55_457:
	s_mov_b32 s26, -1
                                        ; implicit-def: $vgpr1
.LBB55_458:
	s_mov_b32 s29, 0
.LBB55_459:
	s_delay_alu instid0(SALU_CYCLE_1)
	s_and_b32 vcc_lo, exec_lo, s29
	s_cbranch_vccz .LBB55_463
; %bb.460:
	s_cmp_eq_u32 s27, 29
	s_cbranch_scc0 .LBB55_462
; %bb.461:
	global_load_b32 v1, v[6:7], off
	s_mov_b32 s28, -1
	s_mov_b32 s26, 0
	s_branch .LBB55_463
.LBB55_462:
	s_mov_b32 s26, -1
                                        ; implicit-def: $vgpr1
.LBB55_463:
	s_mov_b32 s29, 0
.LBB55_464:
	s_delay_alu instid0(SALU_CYCLE_1)
	s_and_b32 vcc_lo, exec_lo, s29
	s_cbranch_vccz .LBB55_480
; %bb.465:
	s_cmp_lt_i32 s27, 27
	s_cbranch_scc1 .LBB55_468
; %bb.466:
	s_cmp_gt_i32 s27, 27
	s_cbranch_scc0 .LBB55_469
; %bb.467:
	s_wait_loadcnt 0x0
	global_load_b32 v1, v[6:7], off
	s_mov_b32 s28, 0
	s_branch .LBB55_470
.LBB55_468:
	s_mov_b32 s28, -1
                                        ; implicit-def: $vgpr1
	s_branch .LBB55_473
.LBB55_469:
	s_mov_b32 s28, -1
                                        ; implicit-def: $vgpr1
.LBB55_470:
	s_delay_alu instid0(SALU_CYCLE_1)
	s_and_not1_b32 vcc_lo, exec_lo, s28
	s_cbranch_vccnz .LBB55_472
; %bb.471:
	s_wait_loadcnt 0x0
	global_load_u16 v1, v[6:7], off
.LBB55_472:
	s_mov_b32 s28, 0
.LBB55_473:
	s_delay_alu instid0(SALU_CYCLE_1)
	s_and_not1_b32 vcc_lo, exec_lo, s28
	s_cbranch_vccnz .LBB55_479
; %bb.474:
	global_load_u8 v3, v[6:7], off
	s_mov_b32 s29, 0
	s_mov_b32 s28, exec_lo
	s_wait_loadcnt 0x0
	v_cmpx_lt_i16_e32 0x7f, v3
	s_xor_b32 s28, exec_lo, s28
	s_cbranch_execz .LBB55_491
; %bb.475:
	v_cmp_ne_u16_e32 vcc_lo, 0x80, v3
	s_and_b32 s29, vcc_lo, exec_lo
	s_and_not1_saveexec_b32 s28, s28
	s_cbranch_execnz .LBB55_492
.LBB55_476:
	s_or_b32 exec_lo, exec_lo, s28
	v_mov_b32_e32 v1, 0
	s_and_saveexec_b32 s28, s29
	s_cbranch_execz .LBB55_478
.LBB55_477:
	v_and_b32_e32 v1, 0xffff, v3
	s_delay_alu instid0(VALU_DEP_1) | instskip(SKIP_1) | instid1(VALU_DEP_2)
	v_and_b32_e32 v5, 7, v1
	v_bfe_u32 v10, v1, 3, 4
	v_clz_i32_u32_e32 v8, v5
	s_delay_alu instid0(VALU_DEP_2) | instskip(NEXT) | instid1(VALU_DEP_2)
	v_cmp_eq_u32_e32 vcc_lo, 0, v10
	v_min_u32_e32 v8, 32, v8
	s_delay_alu instid0(VALU_DEP_1) | instskip(NEXT) | instid1(VALU_DEP_1)
	v_subrev_nc_u32_e32 v9, 28, v8
	v_dual_lshlrev_b32 v1, v9, v1 :: v_dual_sub_nc_u32 v8, 29, v8
	s_delay_alu instid0(VALU_DEP_1) | instskip(NEXT) | instid1(VALU_DEP_1)
	v_dual_lshlrev_b32 v3, 24, v3 :: v_dual_bitop2_b32 v1, 7, v1 bitop3:0x40
	v_dual_cndmask_b32 v8, v10, v8 :: v_dual_cndmask_b32 v1, v5, v1
	s_delay_alu instid0(VALU_DEP_2) | instskip(NEXT) | instid1(VALU_DEP_2)
	v_and_b32_e32 v3, 0x80000000, v3
	v_lshl_add_u32 v5, v8, 23, 0x3b800000
	s_delay_alu instid0(VALU_DEP_3) | instskip(NEXT) | instid1(VALU_DEP_1)
	v_lshlrev_b32_e32 v1, 20, v1
	v_or3_b32 v1, v3, v5, v1
	s_delay_alu instid0(VALU_DEP_1)
	v_cvt_i32_f32_e32 v1, v1
.LBB55_478:
	s_or_b32 exec_lo, exec_lo, s28
.LBB55_479:
	s_mov_b32 s28, -1
.LBB55_480:
	s_mov_b32 s29, 0
.LBB55_481:
	s_delay_alu instid0(SALU_CYCLE_1)
	s_and_b32 vcc_lo, exec_lo, s29
	s_cbranch_vccz .LBB55_514
; %bb.482:
	s_cmp_gt_i32 s27, 22
	s_cbranch_scc0 .LBB55_490
; %bb.483:
	s_cmp_lt_i32 s27, 24
	s_cbranch_scc1 .LBB55_493
; %bb.484:
	s_cmp_gt_i32 s27, 24
	s_cbranch_scc0 .LBB55_494
; %bb.485:
	global_load_u8 v3, v[6:7], off
	s_mov_b32 s29, 0
	s_mov_b32 s28, exec_lo
	s_wait_loadcnt 0x0
	v_cmpx_lt_i16_e32 0x7f, v3
	s_xor_b32 s28, exec_lo, s28
	s_cbranch_execz .LBB55_506
; %bb.486:
	v_cmp_ne_u16_e32 vcc_lo, 0x80, v3
	s_and_b32 s29, vcc_lo, exec_lo
	s_and_not1_saveexec_b32 s28, s28
	s_cbranch_execnz .LBB55_507
.LBB55_487:
	s_or_b32 exec_lo, exec_lo, s28
	v_mov_b32_e32 v1, 0
	s_and_saveexec_b32 s28, s29
	s_cbranch_execz .LBB55_489
.LBB55_488:
	v_and_b32_e32 v1, 0xffff, v3
	s_delay_alu instid0(VALU_DEP_1) | instskip(SKIP_1) | instid1(VALU_DEP_2)
	v_and_b32_e32 v5, 3, v1
	v_bfe_u32 v10, v1, 2, 5
	v_clz_i32_u32_e32 v8, v5
	s_delay_alu instid0(VALU_DEP_2) | instskip(NEXT) | instid1(VALU_DEP_2)
	v_cmp_eq_u32_e32 vcc_lo, 0, v10
	v_min_u32_e32 v8, 32, v8
	s_delay_alu instid0(VALU_DEP_1) | instskip(NEXT) | instid1(VALU_DEP_1)
	v_subrev_nc_u32_e32 v9, 29, v8
	v_dual_lshlrev_b32 v1, v9, v1 :: v_dual_sub_nc_u32 v8, 30, v8
	s_delay_alu instid0(VALU_DEP_1) | instskip(NEXT) | instid1(VALU_DEP_1)
	v_dual_lshlrev_b32 v3, 24, v3 :: v_dual_bitop2_b32 v1, 3, v1 bitop3:0x40
	v_dual_cndmask_b32 v8, v10, v8 :: v_dual_cndmask_b32 v1, v5, v1
	s_delay_alu instid0(VALU_DEP_2) | instskip(NEXT) | instid1(VALU_DEP_2)
	v_and_b32_e32 v3, 0x80000000, v3
	v_lshl_add_u32 v5, v8, 23, 0x37800000
	s_delay_alu instid0(VALU_DEP_3) | instskip(NEXT) | instid1(VALU_DEP_1)
	v_lshlrev_b32_e32 v1, 21, v1
	v_or3_b32 v1, v3, v5, v1
	s_delay_alu instid0(VALU_DEP_1)
	v_cvt_i32_f32_e32 v1, v1
.LBB55_489:
	s_or_b32 exec_lo, exec_lo, s28
	s_mov_b32 s28, 0
	s_branch .LBB55_495
.LBB55_490:
	s_mov_b32 s29, -1
                                        ; implicit-def: $vgpr1
	s_branch .LBB55_501
.LBB55_491:
	s_and_not1_saveexec_b32 s28, s28
	s_cbranch_execz .LBB55_476
.LBB55_492:
	v_cmp_ne_u16_e32 vcc_lo, 0, v3
	s_and_not1_b32 s29, s29, exec_lo
	s_and_b32 s47, vcc_lo, exec_lo
	s_delay_alu instid0(SALU_CYCLE_1)
	s_or_b32 s29, s29, s47
	s_or_b32 exec_lo, exec_lo, s28
	v_mov_b32_e32 v1, 0
	s_and_saveexec_b32 s28, s29
	s_cbranch_execnz .LBB55_477
	s_branch .LBB55_478
.LBB55_493:
	s_mov_b32 s28, -1
                                        ; implicit-def: $vgpr1
	s_branch .LBB55_498
.LBB55_494:
	s_mov_b32 s28, -1
                                        ; implicit-def: $vgpr1
.LBB55_495:
	s_delay_alu instid0(SALU_CYCLE_1)
	s_and_b32 vcc_lo, exec_lo, s28
	s_cbranch_vccz .LBB55_497
; %bb.496:
	s_wait_loadcnt 0x0
	global_load_u8 v1, v[6:7], off
	s_wait_loadcnt 0x0
	v_lshlrev_b32_e32 v1, 24, v1
	s_delay_alu instid0(VALU_DEP_1) | instskip(NEXT) | instid1(VALU_DEP_1)
	v_and_b32_e32 v3, 0x7f000000, v1
	v_clz_i32_u32_e32 v5, v3
	v_add_nc_u32_e32 v9, 0x1000000, v3
	v_cmp_ne_u32_e32 vcc_lo, 0, v3
	s_delay_alu instid0(VALU_DEP_3) | instskip(NEXT) | instid1(VALU_DEP_1)
	v_min_u32_e32 v5, 32, v5
	v_sub_nc_u32_e64 v5, v5, 4 clamp
	s_delay_alu instid0(VALU_DEP_1) | instskip(NEXT) | instid1(VALU_DEP_1)
	v_dual_lshlrev_b32 v8, v5, v3 :: v_dual_lshlrev_b32 v5, 23, v5
	v_lshrrev_b32_e32 v8, 4, v8
	s_delay_alu instid0(VALU_DEP_1) | instskip(SKIP_1) | instid1(VALU_DEP_2)
	v_sub_nc_u32_e32 v5, v8, v5
	v_ashrrev_i32_e32 v8, 8, v9
	v_add_nc_u32_e32 v5, 0x3c000000, v5
	s_delay_alu instid0(VALU_DEP_1) | instskip(NEXT) | instid1(VALU_DEP_1)
	v_and_or_b32 v5, 0x7f800000, v8, v5
	v_cndmask_b32_e32 v3, 0, v5, vcc_lo
	s_delay_alu instid0(VALU_DEP_1) | instskip(NEXT) | instid1(VALU_DEP_1)
	v_and_or_b32 v1, 0x80000000, v1, v3
	v_cvt_i32_f32_e32 v1, v1
.LBB55_497:
	s_mov_b32 s28, 0
.LBB55_498:
	s_delay_alu instid0(SALU_CYCLE_1)
	s_and_not1_b32 vcc_lo, exec_lo, s28
	s_cbranch_vccnz .LBB55_500
; %bb.499:
	s_wait_loadcnt 0x0
	global_load_u8 v1, v[6:7], off
	s_wait_loadcnt 0x0
	v_lshlrev_b32_e32 v3, 25, v1
	v_lshlrev_b16 v1, 8, v1
	s_delay_alu instid0(VALU_DEP_1) | instskip(SKIP_1) | instid1(VALU_DEP_2)
	v_and_or_b32 v8, 0x7f00, v1, 0.5
	v_bfe_i32 v1, v1, 0, 16
	v_dual_add_f32 v8, -0.5, v8 :: v_dual_lshrrev_b32 v5, 4, v3
	v_cmp_gt_u32_e32 vcc_lo, 0x8000000, v3
	s_delay_alu instid0(VALU_DEP_2) | instskip(NEXT) | instid1(VALU_DEP_1)
	v_or_b32_e32 v5, 0x70000000, v5
	v_mul_f32_e32 v5, 0x7800000, v5
	s_delay_alu instid0(VALU_DEP_1) | instskip(NEXT) | instid1(VALU_DEP_1)
	v_cndmask_b32_e32 v3, v5, v8, vcc_lo
	v_and_or_b32 v1, 0x80000000, v1, v3
	s_delay_alu instid0(VALU_DEP_1)
	v_cvt_i32_f32_e32 v1, v1
.LBB55_500:
	s_mov_b32 s29, 0
	s_mov_b32 s28, -1
.LBB55_501:
	s_and_not1_b32 vcc_lo, exec_lo, s29
	s_cbranch_vccnz .LBB55_514
; %bb.502:
	s_cmp_gt_i32 s27, 14
	s_cbranch_scc0 .LBB55_505
; %bb.503:
	s_cmp_eq_u32 s27, 15
	s_cbranch_scc0 .LBB55_508
; %bb.504:
	s_wait_loadcnt 0x0
	global_load_u16 v1, v[6:7], off
	s_mov_b32 s28, -1
	s_mov_b32 s26, 0
	s_wait_loadcnt 0x0
	v_lshlrev_b32_e32 v1, 16, v1
	s_delay_alu instid0(VALU_DEP_1)
	v_cvt_i32_f32_e32 v1, v1
	s_branch .LBB55_509
.LBB55_505:
	s_mov_b32 s29, -1
                                        ; implicit-def: $vgpr1
	s_branch .LBB55_510
.LBB55_506:
	s_and_not1_saveexec_b32 s28, s28
	s_cbranch_execz .LBB55_487
.LBB55_507:
	v_cmp_ne_u16_e32 vcc_lo, 0, v3
	s_and_not1_b32 s29, s29, exec_lo
	s_and_b32 s47, vcc_lo, exec_lo
	s_delay_alu instid0(SALU_CYCLE_1)
	s_or_b32 s29, s29, s47
	s_or_b32 exec_lo, exec_lo, s28
	v_mov_b32_e32 v1, 0
	s_and_saveexec_b32 s28, s29
	s_cbranch_execnz .LBB55_488
	s_branch .LBB55_489
.LBB55_508:
	s_mov_b32 s26, -1
                                        ; implicit-def: $vgpr1
.LBB55_509:
	s_mov_b32 s29, 0
.LBB55_510:
	s_delay_alu instid0(SALU_CYCLE_1)
	s_and_b32 vcc_lo, exec_lo, s29
	s_cbranch_vccz .LBB55_514
; %bb.511:
	s_cmp_eq_u32 s27, 11
	s_cbranch_scc0 .LBB55_513
; %bb.512:
	s_wait_loadcnt 0x0
	global_load_u8 v1, v[6:7], off
	s_mov_b32 s26, 0
	s_mov_b32 s28, -1
	s_wait_loadcnt 0x0
	v_cmp_ne_u16_e32 vcc_lo, 0, v1
	v_cndmask_b32_e64 v1, 0, 1, vcc_lo
	s_branch .LBB55_514
.LBB55_513:
	s_mov_b32 s26, -1
                                        ; implicit-def: $vgpr1
.LBB55_514:
	s_mov_b32 s27, 0
.LBB55_515:
	s_delay_alu instid0(SALU_CYCLE_1)
	s_and_b32 vcc_lo, exec_lo, s27
	s_cbranch_vccz .LBB55_564
; %bb.516:
	s_and_b32 s0, 0xffff, s0
	s_delay_alu instid0(SALU_CYCLE_1)
	s_cmp_lt_i32 s0, 5
	s_cbranch_scc1 .LBB55_521
; %bb.517:
	s_cmp_lt_i32 s0, 8
	s_cbranch_scc1 .LBB55_522
; %bb.518:
	;; [unrolled: 3-line block ×3, first 2 shown]
	s_cmp_gt_i32 s0, 9
	s_cbranch_scc0 .LBB55_524
; %bb.520:
	global_load_b64 v[8:9], v[6:7], off
	s_mov_b32 s27, 0
	s_wait_loadcnt 0x0
	v_cvt_i32_f64_e32 v1, v[8:9]
	s_branch .LBB55_525
.LBB55_521:
	s_mov_b32 s27, -1
                                        ; implicit-def: $vgpr1
	s_branch .LBB55_543
.LBB55_522:
	s_mov_b32 s27, -1
                                        ; implicit-def: $vgpr1
	s_branch .LBB55_531
.LBB55_523:
	s_mov_b32 s27, -1
                                        ; implicit-def: $vgpr1
	s_branch .LBB55_528
.LBB55_524:
	s_mov_b32 s27, -1
                                        ; implicit-def: $vgpr1
.LBB55_525:
	s_delay_alu instid0(SALU_CYCLE_1)
	s_and_not1_b32 vcc_lo, exec_lo, s27
	s_cbranch_vccnz .LBB55_527
; %bb.526:
	s_wait_loadcnt 0x0
	global_load_b32 v1, v[6:7], off
	s_wait_loadcnt 0x0
	v_cvt_i32_f32_e32 v1, v1
.LBB55_527:
	s_mov_b32 s27, 0
.LBB55_528:
	s_delay_alu instid0(SALU_CYCLE_1)
	s_and_not1_b32 vcc_lo, exec_lo, s27
	s_cbranch_vccnz .LBB55_530
; %bb.529:
	s_wait_loadcnt 0x0
	global_load_b32 v1, v[6:7], off
	s_wait_loadcnt 0x0
	v_cvt_f32_f16_e32 v1, v1
	s_delay_alu instid0(VALU_DEP_1)
	v_cvt_i32_f32_e32 v1, v1
.LBB55_530:
	s_mov_b32 s27, 0
.LBB55_531:
	s_delay_alu instid0(SALU_CYCLE_1)
	s_and_not1_b32 vcc_lo, exec_lo, s27
	s_cbranch_vccnz .LBB55_542
; %bb.532:
	s_cmp_lt_i32 s0, 6
	s_cbranch_scc1 .LBB55_535
; %bb.533:
	s_cmp_gt_i32 s0, 6
	s_cbranch_scc0 .LBB55_536
; %bb.534:
	global_load_b64 v[8:9], v[6:7], off
	s_mov_b32 s27, 0
	s_wait_loadcnt 0x0
	v_cvt_i32_f64_e32 v1, v[8:9]
	s_branch .LBB55_537
.LBB55_535:
	s_mov_b32 s27, -1
                                        ; implicit-def: $vgpr1
	s_branch .LBB55_540
.LBB55_536:
	s_mov_b32 s27, -1
                                        ; implicit-def: $vgpr1
.LBB55_537:
	s_delay_alu instid0(SALU_CYCLE_1)
	s_and_not1_b32 vcc_lo, exec_lo, s27
	s_cbranch_vccnz .LBB55_539
; %bb.538:
	s_wait_loadcnt 0x0
	global_load_b32 v1, v[6:7], off
	s_wait_loadcnt 0x0
	v_cvt_i32_f32_e32 v1, v1
.LBB55_539:
	s_mov_b32 s27, 0
.LBB55_540:
	s_delay_alu instid0(SALU_CYCLE_1)
	s_and_not1_b32 vcc_lo, exec_lo, s27
	s_cbranch_vccnz .LBB55_542
; %bb.541:
	s_wait_loadcnt 0x0
	global_load_u16 v1, v[6:7], off
	s_wait_loadcnt 0x0
	v_cvt_f32_f16_e32 v1, v1
	s_delay_alu instid0(VALU_DEP_1)
	v_cvt_i32_f32_e32 v1, v1
.LBB55_542:
	s_mov_b32 s27, 0
.LBB55_543:
	s_delay_alu instid0(SALU_CYCLE_1)
	s_and_not1_b32 vcc_lo, exec_lo, s27
	s_cbranch_vccnz .LBB55_563
; %bb.544:
	s_cmp_lt_i32 s0, 2
	s_cbranch_scc1 .LBB55_548
; %bb.545:
	s_cmp_lt_i32 s0, 3
	s_cbranch_scc1 .LBB55_549
; %bb.546:
	s_cmp_gt_i32 s0, 3
	s_cbranch_scc0 .LBB55_550
; %bb.547:
	s_wait_loadcnt 0x0
	global_load_b32 v1, v[6:7], off
	s_mov_b32 s27, 0
	s_branch .LBB55_551
.LBB55_548:
	s_mov_b32 s27, -1
                                        ; implicit-def: $vgpr1
	s_branch .LBB55_557
.LBB55_549:
	s_mov_b32 s27, -1
                                        ; implicit-def: $vgpr1
	s_branch .LBB55_554
.LBB55_550:
	s_mov_b32 s27, -1
                                        ; implicit-def: $vgpr1
.LBB55_551:
	s_delay_alu instid0(SALU_CYCLE_1)
	s_and_not1_b32 vcc_lo, exec_lo, s27
	s_cbranch_vccnz .LBB55_553
; %bb.552:
	s_wait_loadcnt 0x0
	global_load_b32 v1, v[6:7], off
.LBB55_553:
	s_mov_b32 s27, 0
.LBB55_554:
	s_delay_alu instid0(SALU_CYCLE_1)
	s_and_not1_b32 vcc_lo, exec_lo, s27
	s_cbranch_vccnz .LBB55_556
; %bb.555:
	s_wait_loadcnt 0x0
	global_load_i16 v1, v[6:7], off
.LBB55_556:
	s_mov_b32 s27, 0
.LBB55_557:
	s_delay_alu instid0(SALU_CYCLE_1)
	s_and_not1_b32 vcc_lo, exec_lo, s27
	s_cbranch_vccnz .LBB55_563
; %bb.558:
	s_cmp_gt_i32 s0, 0
	s_mov_b32 s0, 0
	s_cbranch_scc0 .LBB55_560
; %bb.559:
	s_wait_loadcnt 0x0
	global_load_i8 v1, v[6:7], off
	s_branch .LBB55_561
.LBB55_560:
	s_mov_b32 s0, -1
                                        ; implicit-def: $vgpr1
.LBB55_561:
	s_delay_alu instid0(SALU_CYCLE_1)
	s_and_not1_b32 vcc_lo, exec_lo, s0
	s_cbranch_vccnz .LBB55_563
; %bb.562:
	s_wait_loadcnt 0x0
	global_load_u8 v1, v[6:7], off
.LBB55_563:
	s_mov_b32 s28, -1
.LBB55_564:
	s_mov_b32 s27, 0
	s_mov_b32 s0, s42
	s_and_not1_b32 vcc_lo, exec_lo, s28
	s_mov_b32 s28, s43
	s_mov_b32 s29, 0
	s_cbranch_vccnz .LBB55_815
; %bb.565:
	v_mov_b32_e32 v5, 0
	s_and_b32 s0, 0xffff, s9
	s_delay_alu instid0(SALU_CYCLE_1) | instskip(NEXT) | instid1(VALU_DEP_1)
	s_cmp_lt_i32 s0, 11
	v_add_nc_u64_e32 v[4:5], s[6:7], v[4:5]
	s_cbranch_scc1 .LBB55_572
; %bb.566:
	s_cmp_gt_i32 s0, 25
	s_cbranch_scc0 .LBB55_573
; %bb.567:
	s_cmp_gt_i32 s0, 28
	s_cbranch_scc0 .LBB55_574
	;; [unrolled: 3-line block ×4, first 2 shown]
; %bb.570:
	s_cmp_eq_u32 s0, 46
	s_mov_b32 s47, 0
	s_cbranch_scc0 .LBB55_579
; %bb.571:
	global_load_b32 v3, v[4:5], off
	s_mov_b32 s29, -1
	s_mov_b32 s28, 0
	s_wait_loadcnt 0x0
	v_lshlrev_b32_e32 v3, 16, v3
	s_wait_xcnt 0x1
	s_delay_alu instid0(VALU_DEP_1)
	v_cvt_i32_f32_e32 v6, v3
	s_branch .LBB55_581
.LBB55_572:
	s_mov_b32 s47, -1
	s_mov_b32 s28, s43
                                        ; implicit-def: $vgpr6
	s_branch .LBB55_642
.LBB55_573:
	s_mov_b32 s47, -1
	s_mov_b32 s28, s43
                                        ; implicit-def: $vgpr6
	s_branch .LBB55_608
.LBB55_574:
	s_mov_b32 s47, -1
	s_mov_b32 s28, s43
                                        ; implicit-def: $vgpr6
	s_branch .LBB55_591
.LBB55_575:
	s_mov_b32 s47, -1
	s_mov_b32 s28, s43
                                        ; implicit-def: $vgpr6
	s_branch .LBB55_586
.LBB55_576:
	s_mov_b32 s47, -1
	s_mov_b32 s28, s43
	s_branch .LBB55_580
.LBB55_577:
	s_and_not1_saveexec_b32 s45, s45
	s_cbranch_execz .LBB55_328
.LBB55_578:
	v_add_f32_e64 v5, 0x42800000, |v1|
	s_and_not1_b32 s44, s44, exec_lo
	s_delay_alu instid0(VALU_DEP_1) | instskip(NEXT) | instid1(VALU_DEP_1)
	v_and_b32_e32 v5, 0xff, v5
	v_cmp_ne_u32_e32 vcc_lo, 0, v5
	s_and_b32 s47, vcc_lo, exec_lo
	s_delay_alu instid0(SALU_CYCLE_1)
	s_or_b32 s44, s44, s47
	s_or_b32 exec_lo, exec_lo, s45
	v_mov_b32_e32 v6, 0
	s_and_saveexec_b32 s45, s44
	s_cbranch_execnz .LBB55_329
	s_branch .LBB55_330
.LBB55_579:
	s_mov_b32 s28, -1
.LBB55_580:
                                        ; implicit-def: $vgpr6
.LBB55_581:
	s_and_b32 vcc_lo, exec_lo, s47
	s_cbranch_vccz .LBB55_585
; %bb.582:
	s_cmp_eq_u32 s0, 44
	s_cbranch_scc0 .LBB55_584
; %bb.583:
	global_load_u8 v3, v[4:5], off
	s_mov_b32 s28, 0
	s_mov_b32 s29, -1
	s_wait_loadcnt 0x0
	s_wait_xcnt 0x1
	v_lshlrev_b32_e32 v6, 23, v3
	v_cmp_ne_u32_e32 vcc_lo, 0, v3
	s_delay_alu instid0(VALU_DEP_2) | instskip(NEXT) | instid1(VALU_DEP_1)
	v_cvt_i32_f32_e32 v6, v6
	v_cndmask_b32_e32 v6, 0, v6, vcc_lo
	s_branch .LBB55_585
.LBB55_584:
	s_mov_b32 s28, -1
                                        ; implicit-def: $vgpr6
.LBB55_585:
	s_mov_b32 s47, 0
.LBB55_586:
	s_delay_alu instid0(SALU_CYCLE_1)
	s_and_b32 vcc_lo, exec_lo, s47
	s_cbranch_vccz .LBB55_590
; %bb.587:
	s_cmp_eq_u32 s0, 29
	s_cbranch_scc0 .LBB55_589
; %bb.588:
	global_load_b32 v6, v[4:5], off
	s_mov_b32 s29, -1
	s_mov_b32 s28, 0
	s_branch .LBB55_590
.LBB55_589:
	s_mov_b32 s28, -1
                                        ; implicit-def: $vgpr6
.LBB55_590:
	s_mov_b32 s47, 0
.LBB55_591:
	s_delay_alu instid0(SALU_CYCLE_1)
	s_and_b32 vcc_lo, exec_lo, s47
	s_cbranch_vccz .LBB55_607
; %bb.592:
	s_cmp_lt_i32 s0, 27
	s_cbranch_scc1 .LBB55_595
; %bb.593:
	s_cmp_gt_i32 s0, 27
	s_cbranch_scc0 .LBB55_596
; %bb.594:
	s_wait_loadcnt 0x0
	global_load_b32 v6, v[4:5], off
	s_mov_b32 s29, 0
	s_branch .LBB55_597
.LBB55_595:
	s_mov_b32 s29, -1
                                        ; implicit-def: $vgpr6
	s_branch .LBB55_600
.LBB55_596:
	s_mov_b32 s29, -1
                                        ; implicit-def: $vgpr6
.LBB55_597:
	s_delay_alu instid0(SALU_CYCLE_1)
	s_and_not1_b32 vcc_lo, exec_lo, s29
	s_cbranch_vccnz .LBB55_599
; %bb.598:
	s_wait_loadcnt 0x0
	global_load_u16 v6, v[4:5], off
.LBB55_599:
	s_mov_b32 s29, 0
.LBB55_600:
	s_delay_alu instid0(SALU_CYCLE_1)
	s_and_not1_b32 vcc_lo, exec_lo, s29
	s_cbranch_vccnz .LBB55_606
; %bb.601:
	global_load_u8 v3, v[4:5], off
	s_mov_b32 s47, 0
	s_mov_b32 s29, exec_lo
	s_wait_loadcnt 0x0
	v_cmpx_lt_i16_e32 0x7f, v3
	s_xor_b32 s29, exec_lo, s29
	s_cbranch_execz .LBB55_618
; %bb.602:
	v_cmp_ne_u16_e32 vcc_lo, 0x80, v3
	s_and_b32 s47, vcc_lo, exec_lo
	s_and_not1_saveexec_b32 s29, s29
	s_cbranch_execnz .LBB55_619
.LBB55_603:
	s_or_b32 exec_lo, exec_lo, s29
	v_mov_b32_e32 v6, 0
	s_and_saveexec_b32 s29, s47
	s_cbranch_execz .LBB55_605
.LBB55_604:
	v_and_b32_e32 v6, 0xffff, v3
	s_delay_alu instid0(VALU_DEP_1) | instskip(SKIP_1) | instid1(VALU_DEP_2)
	v_and_b32_e32 v7, 7, v6
	v_bfe_u32 v10, v6, 3, 4
	v_clz_i32_u32_e32 v8, v7
	s_delay_alu instid0(VALU_DEP_2) | instskip(NEXT) | instid1(VALU_DEP_2)
	v_cmp_eq_u32_e32 vcc_lo, 0, v10
	v_min_u32_e32 v8, 32, v8
	s_delay_alu instid0(VALU_DEP_1) | instskip(NEXT) | instid1(VALU_DEP_1)
	v_subrev_nc_u32_e32 v9, 28, v8
	v_dual_lshlrev_b32 v6, v9, v6 :: v_dual_sub_nc_u32 v8, 29, v8
	s_delay_alu instid0(VALU_DEP_1) | instskip(NEXT) | instid1(VALU_DEP_1)
	v_dual_lshlrev_b32 v3, 24, v3 :: v_dual_bitop2_b32 v6, 7, v6 bitop3:0x40
	v_dual_cndmask_b32 v8, v10, v8, vcc_lo :: v_dual_cndmask_b32 v6, v7, v6, vcc_lo
	s_delay_alu instid0(VALU_DEP_2) | instskip(NEXT) | instid1(VALU_DEP_2)
	v_and_b32_e32 v3, 0x80000000, v3
	v_lshl_add_u32 v7, v8, 23, 0x3b800000
	s_delay_alu instid0(VALU_DEP_3) | instskip(NEXT) | instid1(VALU_DEP_1)
	v_lshlrev_b32_e32 v6, 20, v6
	v_or3_b32 v3, v3, v7, v6
	s_delay_alu instid0(VALU_DEP_1)
	v_cvt_i32_f32_e32 v6, v3
.LBB55_605:
	s_or_b32 exec_lo, exec_lo, s29
.LBB55_606:
	s_mov_b32 s29, -1
.LBB55_607:
	s_mov_b32 s47, 0
.LBB55_608:
	s_delay_alu instid0(SALU_CYCLE_1)
	s_and_b32 vcc_lo, exec_lo, s47
	s_cbranch_vccz .LBB55_641
; %bb.609:
	s_cmp_gt_i32 s0, 22
	s_cbranch_scc0 .LBB55_617
; %bb.610:
	s_cmp_lt_i32 s0, 24
	s_cbranch_scc1 .LBB55_620
; %bb.611:
	s_cmp_gt_i32 s0, 24
	s_cbranch_scc0 .LBB55_621
; %bb.612:
	global_load_u8 v3, v[4:5], off
	s_mov_b32 s47, 0
	s_mov_b32 s29, exec_lo
	s_wait_loadcnt 0x0
	v_cmpx_lt_i16_e32 0x7f, v3
	s_xor_b32 s29, exec_lo, s29
	s_cbranch_execz .LBB55_633
; %bb.613:
	v_cmp_ne_u16_e32 vcc_lo, 0x80, v3
	s_and_b32 s47, vcc_lo, exec_lo
	s_and_not1_saveexec_b32 s29, s29
	s_cbranch_execnz .LBB55_634
.LBB55_614:
	s_or_b32 exec_lo, exec_lo, s29
	v_mov_b32_e32 v6, 0
	s_and_saveexec_b32 s29, s47
	s_cbranch_execz .LBB55_616
.LBB55_615:
	v_and_b32_e32 v6, 0xffff, v3
	s_delay_alu instid0(VALU_DEP_1) | instskip(SKIP_1) | instid1(VALU_DEP_2)
	v_and_b32_e32 v7, 3, v6
	v_bfe_u32 v10, v6, 2, 5
	v_clz_i32_u32_e32 v8, v7
	s_delay_alu instid0(VALU_DEP_2) | instskip(NEXT) | instid1(VALU_DEP_2)
	v_cmp_eq_u32_e32 vcc_lo, 0, v10
	v_min_u32_e32 v8, 32, v8
	s_delay_alu instid0(VALU_DEP_1) | instskip(NEXT) | instid1(VALU_DEP_1)
	v_subrev_nc_u32_e32 v9, 29, v8
	v_dual_lshlrev_b32 v6, v9, v6 :: v_dual_sub_nc_u32 v8, 30, v8
	s_delay_alu instid0(VALU_DEP_1) | instskip(NEXT) | instid1(VALU_DEP_1)
	v_dual_lshlrev_b32 v3, 24, v3 :: v_dual_bitop2_b32 v6, 3, v6 bitop3:0x40
	v_dual_cndmask_b32 v8, v10, v8, vcc_lo :: v_dual_cndmask_b32 v6, v7, v6, vcc_lo
	s_delay_alu instid0(VALU_DEP_2) | instskip(NEXT) | instid1(VALU_DEP_2)
	v_and_b32_e32 v3, 0x80000000, v3
	v_lshl_add_u32 v7, v8, 23, 0x37800000
	s_delay_alu instid0(VALU_DEP_3) | instskip(NEXT) | instid1(VALU_DEP_1)
	v_lshlrev_b32_e32 v6, 21, v6
	v_or3_b32 v3, v3, v7, v6
	s_delay_alu instid0(VALU_DEP_1)
	v_cvt_i32_f32_e32 v6, v3
.LBB55_616:
	s_or_b32 exec_lo, exec_lo, s29
	s_mov_b32 s29, 0
	s_branch .LBB55_622
.LBB55_617:
	s_mov_b32 s47, -1
                                        ; implicit-def: $vgpr6
	s_branch .LBB55_628
.LBB55_618:
	s_and_not1_saveexec_b32 s29, s29
	s_cbranch_execz .LBB55_603
.LBB55_619:
	v_cmp_ne_u16_e32 vcc_lo, 0, v3
	s_and_not1_b32 s47, s47, exec_lo
	s_and_b32 s48, vcc_lo, exec_lo
	s_delay_alu instid0(SALU_CYCLE_1)
	s_or_b32 s47, s47, s48
	s_or_b32 exec_lo, exec_lo, s29
	v_mov_b32_e32 v6, 0
	s_and_saveexec_b32 s29, s47
	s_cbranch_execnz .LBB55_604
	s_branch .LBB55_605
.LBB55_620:
	s_mov_b32 s29, -1
                                        ; implicit-def: $vgpr6
	s_branch .LBB55_625
.LBB55_621:
	s_mov_b32 s29, -1
                                        ; implicit-def: $vgpr6
.LBB55_622:
	s_delay_alu instid0(SALU_CYCLE_1)
	s_and_b32 vcc_lo, exec_lo, s29
	s_cbranch_vccz .LBB55_624
; %bb.623:
	global_load_u8 v3, v[4:5], off
	s_wait_loadcnt 0x0
	v_lshlrev_b32_e32 v3, 24, v3
	s_wait_xcnt 0x1
	s_delay_alu instid0(VALU_DEP_1) | instskip(NEXT) | instid1(VALU_DEP_1)
	v_and_b32_e32 v6, 0x7f000000, v3
	v_clz_i32_u32_e32 v7, v6
	v_cmp_ne_u32_e32 vcc_lo, 0, v6
	v_add_nc_u32_e32 v9, 0x1000000, v6
	s_delay_alu instid0(VALU_DEP_3) | instskip(NEXT) | instid1(VALU_DEP_1)
	v_min_u32_e32 v7, 32, v7
	v_sub_nc_u32_e64 v7, v7, 4 clamp
	s_delay_alu instid0(VALU_DEP_1) | instskip(NEXT) | instid1(VALU_DEP_1)
	v_dual_lshlrev_b32 v8, v7, v6 :: v_dual_lshlrev_b32 v7, 23, v7
	v_lshrrev_b32_e32 v8, 4, v8
	s_delay_alu instid0(VALU_DEP_1) | instskip(NEXT) | instid1(VALU_DEP_1)
	v_dual_sub_nc_u32 v7, v8, v7 :: v_dual_ashrrev_i32 v8, 8, v9
	v_add_nc_u32_e32 v7, 0x3c000000, v7
	s_delay_alu instid0(VALU_DEP_1) | instskip(NEXT) | instid1(VALU_DEP_1)
	v_and_or_b32 v7, 0x7f800000, v8, v7
	v_cndmask_b32_e32 v6, 0, v7, vcc_lo
	s_delay_alu instid0(VALU_DEP_1) | instskip(NEXT) | instid1(VALU_DEP_1)
	v_and_or_b32 v3, 0x80000000, v3, v6
	v_cvt_i32_f32_e32 v6, v3
.LBB55_624:
	s_mov_b32 s29, 0
.LBB55_625:
	s_delay_alu instid0(SALU_CYCLE_1)
	s_and_not1_b32 vcc_lo, exec_lo, s29
	s_cbranch_vccnz .LBB55_627
; %bb.626:
	global_load_u8 v3, v[4:5], off
	s_wait_loadcnt 0x0
	s_wait_xcnt 0x1
	v_lshlrev_b32_e32 v6, 25, v3
	v_lshlrev_b16 v3, 8, v3
	s_delay_alu instid0(VALU_DEP_1) | instskip(SKIP_1) | instid1(VALU_DEP_2)
	v_and_or_b32 v8, 0x7f00, v3, 0.5
	v_bfe_i32 v3, v3, 0, 16
	v_dual_add_f32 v8, -0.5, v8 :: v_dual_lshrrev_b32 v7, 4, v6
	v_cmp_gt_u32_e32 vcc_lo, 0x8000000, v6
	s_delay_alu instid0(VALU_DEP_2) | instskip(NEXT) | instid1(VALU_DEP_1)
	v_or_b32_e32 v7, 0x70000000, v7
	v_mul_f32_e32 v7, 0x7800000, v7
	s_delay_alu instid0(VALU_DEP_1) | instskip(NEXT) | instid1(VALU_DEP_1)
	v_cndmask_b32_e32 v6, v7, v8, vcc_lo
	v_and_or_b32 v3, 0x80000000, v3, v6
	s_delay_alu instid0(VALU_DEP_1)
	v_cvt_i32_f32_e32 v6, v3
.LBB55_627:
	s_mov_b32 s47, 0
	s_mov_b32 s29, -1
.LBB55_628:
	s_and_not1_b32 vcc_lo, exec_lo, s47
	s_cbranch_vccnz .LBB55_641
; %bb.629:
	s_cmp_gt_i32 s0, 14
	s_cbranch_scc0 .LBB55_632
; %bb.630:
	s_cmp_eq_u32 s0, 15
	s_cbranch_scc0 .LBB55_635
; %bb.631:
	global_load_u16 v3, v[4:5], off
	s_mov_b32 s29, -1
	s_mov_b32 s28, 0
	s_wait_loadcnt 0x0
	v_lshlrev_b32_e32 v3, 16, v3
	s_wait_xcnt 0x1
	s_delay_alu instid0(VALU_DEP_1)
	v_cvt_i32_f32_e32 v6, v3
	s_branch .LBB55_636
.LBB55_632:
	s_mov_b32 s47, -1
                                        ; implicit-def: $vgpr6
	s_branch .LBB55_637
.LBB55_633:
	s_and_not1_saveexec_b32 s29, s29
	s_cbranch_execz .LBB55_614
.LBB55_634:
	v_cmp_ne_u16_e32 vcc_lo, 0, v3
	s_and_not1_b32 s47, s47, exec_lo
	s_and_b32 s48, vcc_lo, exec_lo
	s_delay_alu instid0(SALU_CYCLE_1)
	s_or_b32 s47, s47, s48
	s_or_b32 exec_lo, exec_lo, s29
	v_mov_b32_e32 v6, 0
	s_and_saveexec_b32 s29, s47
	s_cbranch_execnz .LBB55_615
	s_branch .LBB55_616
.LBB55_635:
	s_mov_b32 s28, -1
                                        ; implicit-def: $vgpr6
.LBB55_636:
	s_mov_b32 s47, 0
.LBB55_637:
	s_delay_alu instid0(SALU_CYCLE_1)
	s_and_b32 vcc_lo, exec_lo, s47
	s_cbranch_vccz .LBB55_641
; %bb.638:
	s_cmp_eq_u32 s0, 11
	s_cbranch_scc0 .LBB55_640
; %bb.639:
	global_load_u8 v3, v[4:5], off
	s_mov_b32 s28, 0
	s_mov_b32 s29, -1
	s_wait_loadcnt 0x0
	v_cmp_ne_u16_e32 vcc_lo, 0, v3
	s_wait_xcnt 0x1
	v_cndmask_b32_e64 v6, 0, 1, vcc_lo
	s_branch .LBB55_641
.LBB55_640:
	s_mov_b32 s28, -1
                                        ; implicit-def: $vgpr6
.LBB55_641:
	s_mov_b32 s47, 0
.LBB55_642:
	s_delay_alu instid0(SALU_CYCLE_1)
	s_and_b32 vcc_lo, exec_lo, s47
	s_cbranch_vccz .LBB55_691
; %bb.643:
	s_cmp_lt_i32 s0, 5
	s_cbranch_scc1 .LBB55_648
; %bb.644:
	s_cmp_lt_i32 s0, 8
	s_cbranch_scc1 .LBB55_649
	;; [unrolled: 3-line block ×3, first 2 shown]
; %bb.646:
	s_cmp_gt_i32 s0, 9
	s_cbranch_scc0 .LBB55_651
; %bb.647:
	s_wait_loadcnt 0x0
	global_load_b64 v[6:7], v[4:5], off
	s_mov_b32 s29, 0
	s_wait_loadcnt 0x0
	v_cvt_i32_f64_e32 v6, v[6:7]
	s_branch .LBB55_652
.LBB55_648:
	s_mov_b32 s29, -1
                                        ; implicit-def: $vgpr6
	s_branch .LBB55_670
.LBB55_649:
	s_mov_b32 s29, -1
                                        ; implicit-def: $vgpr6
	s_branch .LBB55_658
.LBB55_650:
	s_mov_b32 s29, -1
                                        ; implicit-def: $vgpr6
	s_branch .LBB55_655
.LBB55_651:
	s_mov_b32 s29, -1
                                        ; implicit-def: $vgpr6
.LBB55_652:
	s_delay_alu instid0(SALU_CYCLE_1)
	s_and_not1_b32 vcc_lo, exec_lo, s29
	s_cbranch_vccnz .LBB55_654
; %bb.653:
	global_load_b32 v3, v[4:5], off
	s_wait_loadcnt 0x0
	s_wait_xcnt 0x1
	v_cvt_i32_f32_e32 v6, v3
.LBB55_654:
	s_mov_b32 s29, 0
.LBB55_655:
	s_delay_alu instid0(SALU_CYCLE_1)
	s_and_not1_b32 vcc_lo, exec_lo, s29
	s_cbranch_vccnz .LBB55_657
; %bb.656:
	global_load_b32 v3, v[4:5], off
	s_wait_loadcnt 0x0
	v_cvt_f32_f16_e32 v3, v3
	s_wait_xcnt 0x1
	s_delay_alu instid0(VALU_DEP_1)
	v_cvt_i32_f32_e32 v6, v3
.LBB55_657:
	s_mov_b32 s29, 0
.LBB55_658:
	s_delay_alu instid0(SALU_CYCLE_1)
	s_and_not1_b32 vcc_lo, exec_lo, s29
	s_cbranch_vccnz .LBB55_669
; %bb.659:
	s_cmp_lt_i32 s0, 6
	s_cbranch_scc1 .LBB55_662
; %bb.660:
	s_cmp_gt_i32 s0, 6
	s_cbranch_scc0 .LBB55_663
; %bb.661:
	s_wait_loadcnt 0x0
	global_load_b64 v[6:7], v[4:5], off
	s_mov_b32 s29, 0
	s_wait_loadcnt 0x0
	v_cvt_i32_f64_e32 v6, v[6:7]
	s_branch .LBB55_664
.LBB55_662:
	s_mov_b32 s29, -1
                                        ; implicit-def: $vgpr6
	s_branch .LBB55_667
.LBB55_663:
	s_mov_b32 s29, -1
                                        ; implicit-def: $vgpr6
.LBB55_664:
	s_delay_alu instid0(SALU_CYCLE_1)
	s_and_not1_b32 vcc_lo, exec_lo, s29
	s_cbranch_vccnz .LBB55_666
; %bb.665:
	global_load_b32 v3, v[4:5], off
	s_wait_loadcnt 0x0
	s_wait_xcnt 0x1
	v_cvt_i32_f32_e32 v6, v3
.LBB55_666:
	s_mov_b32 s29, 0
.LBB55_667:
	s_delay_alu instid0(SALU_CYCLE_1)
	s_and_not1_b32 vcc_lo, exec_lo, s29
	s_cbranch_vccnz .LBB55_669
; %bb.668:
	global_load_u16 v3, v[4:5], off
	s_wait_loadcnt 0x0
	v_cvt_f32_f16_e32 v3, v3
	s_wait_xcnt 0x1
	s_delay_alu instid0(VALU_DEP_1)
	v_cvt_i32_f32_e32 v6, v3
.LBB55_669:
	s_mov_b32 s29, 0
.LBB55_670:
	s_delay_alu instid0(SALU_CYCLE_1)
	s_and_not1_b32 vcc_lo, exec_lo, s29
	s_cbranch_vccnz .LBB55_690
; %bb.671:
	s_cmp_lt_i32 s0, 2
	s_cbranch_scc1 .LBB55_675
; %bb.672:
	s_cmp_lt_i32 s0, 3
	s_cbranch_scc1 .LBB55_676
; %bb.673:
	s_cmp_gt_i32 s0, 3
	s_cbranch_scc0 .LBB55_677
; %bb.674:
	s_wait_loadcnt 0x0
	global_load_b32 v6, v[4:5], off
	s_mov_b32 s29, 0
	s_branch .LBB55_678
.LBB55_675:
	s_mov_b32 s29, -1
                                        ; implicit-def: $vgpr6
	s_branch .LBB55_684
.LBB55_676:
	s_mov_b32 s29, -1
                                        ; implicit-def: $vgpr6
	s_branch .LBB55_681
.LBB55_677:
	s_mov_b32 s29, -1
                                        ; implicit-def: $vgpr6
.LBB55_678:
	s_delay_alu instid0(SALU_CYCLE_1)
	s_and_not1_b32 vcc_lo, exec_lo, s29
	s_cbranch_vccnz .LBB55_680
; %bb.679:
	s_wait_loadcnt 0x0
	global_load_b32 v6, v[4:5], off
.LBB55_680:
	s_mov_b32 s29, 0
.LBB55_681:
	s_delay_alu instid0(SALU_CYCLE_1)
	s_and_not1_b32 vcc_lo, exec_lo, s29
	s_cbranch_vccnz .LBB55_683
; %bb.682:
	s_wait_loadcnt 0x0
	global_load_i16 v6, v[4:5], off
.LBB55_683:
	s_mov_b32 s29, 0
.LBB55_684:
	s_delay_alu instid0(SALU_CYCLE_1)
	s_and_not1_b32 vcc_lo, exec_lo, s29
	s_cbranch_vccnz .LBB55_690
; %bb.685:
	s_cmp_gt_i32 s0, 0
	s_mov_b32 s0, 0
	s_cbranch_scc0 .LBB55_687
; %bb.686:
	s_wait_loadcnt 0x0
	global_load_i8 v6, v[4:5], off
	s_branch .LBB55_688
.LBB55_687:
	s_mov_b32 s0, -1
                                        ; implicit-def: $vgpr6
.LBB55_688:
	s_delay_alu instid0(SALU_CYCLE_1)
	s_and_not1_b32 vcc_lo, exec_lo, s0
	s_cbranch_vccnz .LBB55_690
; %bb.689:
	s_wait_loadcnt 0x0
	global_load_u8 v6, v[4:5], off
.LBB55_690:
	s_mov_b32 s29, -1
.LBB55_691:
	s_delay_alu instid0(SALU_CYCLE_1)
	s_and_not1_b32 vcc_lo, exec_lo, s29
	s_cbranch_vccnz .LBB55_699
; %bb.692:
	s_wait_loadcnt 0x0
	s_delay_alu instid0(VALU_DEP_3) | instskip(SKIP_2) | instid1(SALU_CYCLE_1)
	v_mul_lo_u32 v1, v1, s16
	v_mov_b32_e32 v3, 0
	s_and_b32 s29, s17, 0xff
	s_cmp_lt_i32 s29, 11
	s_delay_alu instid0(VALU_DEP_1) | instskip(SKIP_1) | instid1(VALU_DEP_3)
	v_add_nc_u64_e32 v[2:3], s[18:19], v[2:3]
	s_wait_xcnt 0x0
	v_mul_lo_u32 v4, v1, v6
	s_cbranch_scc1 .LBB55_700
; %bb.693:
	s_and_b32 s47, 0xffff, s29
	s_delay_alu instid0(SALU_CYCLE_1)
	s_cmp_gt_i32 s47, 25
	s_cbranch_scc0 .LBB55_701
; %bb.694:
	s_cmp_gt_i32 s47, 28
	s_cbranch_scc0 .LBB55_702
; %bb.695:
	;; [unrolled: 3-line block ×4, first 2 shown]
	s_mov_b32 s49, 0
	s_mov_b32 s0, -1
	s_cmp_eq_u32 s47, 46
	s_mov_b32 s48, 0
	s_cbranch_scc0 .LBB55_705
; %bb.698:
	v_cvt_f32_i32_e32 v1, v4
	s_mov_b32 s48, -1
	s_mov_b32 s0, 0
	s_delay_alu instid0(VALU_DEP_1) | instskip(NEXT) | instid1(VALU_DEP_1)
	v_bfe_u32 v5, v1, 16, 1
	v_add3_u32 v1, v1, v5, 0x7fff
	s_delay_alu instid0(VALU_DEP_1)
	v_lshrrev_b32_e32 v1, 16, v1
	global_store_b32 v[2:3], v1, off
	s_branch .LBB55_705
.LBB55_699:
	s_mov_b32 s29, 0
	s_mov_b32 s0, s42
	s_branch .LBB55_444
.LBB55_700:
	s_mov_b32 s47, -1
	s_mov_b32 s48, 0
	s_mov_b32 s0, s42
	s_branch .LBB55_774
.LBB55_701:
	s_mov_b32 s49, -1
	s_mov_b32 s48, 0
	s_mov_b32 s0, s42
	s_branch .LBB55_732
.LBB55_702:
	s_mov_b32 s49, -1
	s_mov_b32 s48, 0
	s_mov_b32 s0, s42
	s_branch .LBB55_715
.LBB55_703:
	s_mov_b32 s49, -1
	s_mov_b32 s48, 0
	s_mov_b32 s0, s42
	s_branch .LBB55_711
.LBB55_704:
	s_mov_b32 s49, -1
	s_mov_b32 s48, 0
	s_mov_b32 s0, s42
.LBB55_705:
	s_and_b32 vcc_lo, exec_lo, s49
	s_cbranch_vccz .LBB55_710
; %bb.706:
	s_cmp_eq_u32 s47, 44
	s_mov_b32 s0, -1
	s_cbranch_scc0 .LBB55_710
; %bb.707:
	s_wait_xcnt 0x0
	v_cvt_f32_i32_e32 v1, v4
	v_mov_b32_e32 v5, 0xff
	s_mov_b32 s48, exec_lo
	s_delay_alu instid0(VALU_DEP_2) | instskip(NEXT) | instid1(VALU_DEP_1)
	v_bfe_u32 v6, v1, 23, 8
	v_cmpx_ne_u32_e32 0xff, v6
	s_cbranch_execz .LBB55_709
; %bb.708:
	v_and_b32_e32 v5, 0x400000, v1
	v_and_or_b32 v6, 0x3fffff, v1, v6
	v_lshrrev_b32_e32 v1, 23, v1
	s_delay_alu instid0(VALU_DEP_3) | instskip(NEXT) | instid1(VALU_DEP_3)
	v_cmp_ne_u32_e32 vcc_lo, 0, v5
	v_cmp_ne_u32_e64 s0, 0, v6
	s_and_b32 s0, vcc_lo, s0
	s_delay_alu instid0(SALU_CYCLE_1) | instskip(NEXT) | instid1(VALU_DEP_1)
	v_cndmask_b32_e64 v5, 0, 1, s0
	v_add_nc_u32_e32 v5, v1, v5
.LBB55_709:
	s_or_b32 exec_lo, exec_lo, s48
	s_mov_b32 s48, -1
	s_mov_b32 s0, 0
	global_store_b8 v[2:3], v5, off
.LBB55_710:
	s_mov_b32 s49, 0
.LBB55_711:
	s_delay_alu instid0(SALU_CYCLE_1)
	s_and_b32 vcc_lo, exec_lo, s49
	s_cbranch_vccz .LBB55_714
; %bb.712:
	s_cmp_eq_u32 s47, 29
	s_mov_b32 s0, -1
	s_cbranch_scc0 .LBB55_714
; %bb.713:
	s_wait_xcnt 0x0
	v_ashrrev_i32_e32 v5, 31, v4
	s_mov_b32 s48, -1
	s_mov_b32 s0, 0
	s_mov_b32 s49, 0
	global_store_b64 v[2:3], v[4:5], off
	s_branch .LBB55_715
.LBB55_714:
	s_mov_b32 s49, 0
.LBB55_715:
	s_delay_alu instid0(SALU_CYCLE_1)
	s_and_b32 vcc_lo, exec_lo, s49
	s_cbranch_vccz .LBB55_731
; %bb.716:
	s_cmp_lt_i32 s47, 27
	s_mov_b32 s48, -1
	s_cbranch_scc1 .LBB55_722
; %bb.717:
	s_cmp_gt_i32 s47, 27
	s_cbranch_scc0 .LBB55_719
; %bb.718:
	s_mov_b32 s48, 0
	global_store_b32 v[2:3], v4, off
.LBB55_719:
	s_and_not1_b32 vcc_lo, exec_lo, s48
	s_cbranch_vccnz .LBB55_721
; %bb.720:
	global_store_b16 v[2:3], v4, off
.LBB55_721:
	s_mov_b32 s48, 0
.LBB55_722:
	s_delay_alu instid0(SALU_CYCLE_1)
	s_and_not1_b32 vcc_lo, exec_lo, s48
	s_cbranch_vccnz .LBB55_730
; %bb.723:
	s_wait_xcnt 0x0
	v_cvt_f32_i32_e32 v1, v4
	v_mov_b32_e32 v6, 0x80
	s_mov_b32 s48, exec_lo
	s_delay_alu instid0(VALU_DEP_2) | instskip(NEXT) | instid1(VALU_DEP_1)
	v_and_b32_e32 v5, 0x7fffffff, v1
	v_cmpx_gt_u32_e32 0x43800000, v5
	s_cbranch_execz .LBB55_729
; %bb.724:
	v_cmp_lt_u32_e32 vcc_lo, 0x3bffffff, v5
	s_mov_b32 s49, 0
                                        ; implicit-def: $vgpr5
	s_and_saveexec_b32 s50, vcc_lo
	s_delay_alu instid0(SALU_CYCLE_1)
	s_xor_b32 s50, exec_lo, s50
	s_cbranch_execz .LBB55_864
; %bb.725:
	v_bfe_u32 v5, v1, 20, 1
	s_mov_b32 s49, exec_lo
	s_delay_alu instid0(VALU_DEP_1) | instskip(NEXT) | instid1(VALU_DEP_1)
	v_add3_u32 v5, v1, v5, 0x487ffff
	v_lshrrev_b32_e32 v5, 20, v5
	s_and_not1_saveexec_b32 s50, s50
	s_cbranch_execnz .LBB55_865
.LBB55_726:
	s_or_b32 exec_lo, exec_lo, s50
	v_mov_b32_e32 v6, 0
	s_and_saveexec_b32 s50, s49
.LBB55_727:
	v_lshrrev_b32_e32 v1, 24, v1
	s_delay_alu instid0(VALU_DEP_1)
	v_and_or_b32 v6, 0x80, v1, v5
.LBB55_728:
	s_or_b32 exec_lo, exec_lo, s50
.LBB55_729:
	s_delay_alu instid0(SALU_CYCLE_1)
	s_or_b32 exec_lo, exec_lo, s48
	global_store_b8 v[2:3], v6, off
.LBB55_730:
	s_mov_b32 s48, -1
.LBB55_731:
	s_mov_b32 s49, 0
.LBB55_732:
	s_delay_alu instid0(SALU_CYCLE_1)
	s_and_b32 vcc_lo, exec_lo, s49
	s_cbranch_vccz .LBB55_773
; %bb.733:
	s_cmp_gt_i32 s47, 22
	s_mov_b32 s49, -1
	s_cbranch_scc0 .LBB55_765
; %bb.734:
	s_cmp_lt_i32 s47, 24
	s_mov_b32 s48, -1
	s_cbranch_scc1 .LBB55_754
; %bb.735:
	s_cmp_gt_i32 s47, 24
	s_cbranch_scc0 .LBB55_743
; %bb.736:
	s_wait_xcnt 0x0
	v_cvt_f32_i32_e32 v1, v4
	v_mov_b32_e32 v6, 0x80
	s_mov_b32 s48, exec_lo
	s_delay_alu instid0(VALU_DEP_2) | instskip(NEXT) | instid1(VALU_DEP_1)
	v_and_b32_e32 v5, 0x7fffffff, v1
	v_cmpx_gt_u32_e32 0x47800000, v5
	s_cbranch_execz .LBB55_742
; %bb.737:
	v_cmp_lt_u32_e32 vcc_lo, 0x37ffffff, v5
	s_mov_b32 s49, 0
                                        ; implicit-def: $vgpr5
	s_and_saveexec_b32 s50, vcc_lo
	s_delay_alu instid0(SALU_CYCLE_1)
	s_xor_b32 s50, exec_lo, s50
	s_cbranch_execz .LBB55_991
; %bb.738:
	v_bfe_u32 v5, v1, 21, 1
	s_mov_b32 s49, exec_lo
	s_delay_alu instid0(VALU_DEP_1) | instskip(NEXT) | instid1(VALU_DEP_1)
	v_add3_u32 v5, v1, v5, 0x88fffff
	v_lshrrev_b32_e32 v5, 21, v5
	s_and_not1_saveexec_b32 s50, s50
	s_cbranch_execnz .LBB55_992
.LBB55_739:
	s_or_b32 exec_lo, exec_lo, s50
	v_mov_b32_e32 v6, 0
	s_and_saveexec_b32 s50, s49
.LBB55_740:
	v_lshrrev_b32_e32 v1, 24, v1
	s_delay_alu instid0(VALU_DEP_1)
	v_and_or_b32 v6, 0x80, v1, v5
.LBB55_741:
	s_or_b32 exec_lo, exec_lo, s50
.LBB55_742:
	s_delay_alu instid0(SALU_CYCLE_1)
	s_or_b32 exec_lo, exec_lo, s48
	s_mov_b32 s48, 0
	global_store_b8 v[2:3], v6, off
.LBB55_743:
	s_and_b32 vcc_lo, exec_lo, s48
	s_cbranch_vccz .LBB55_753
; %bb.744:
	s_wait_xcnt 0x0
	v_cvt_f32_i32_e32 v1, v4
	s_mov_b32 s48, exec_lo
                                        ; implicit-def: $vgpr5
	s_delay_alu instid0(VALU_DEP_1) | instskip(NEXT) | instid1(VALU_DEP_1)
	v_and_b32_e32 v6, 0x7fffffff, v1
	v_cmpx_gt_u32_e32 0x43f00000, v6
	s_xor_b32 s48, exec_lo, s48
	s_cbranch_execz .LBB55_750
; %bb.745:
	s_mov_b32 s49, exec_lo
                                        ; implicit-def: $vgpr5
	v_cmpx_lt_u32_e32 0x3c7fffff, v6
	s_xor_b32 s49, exec_lo, s49
; %bb.746:
	v_bfe_u32 v5, v1, 20, 1
	s_delay_alu instid0(VALU_DEP_1) | instskip(NEXT) | instid1(VALU_DEP_1)
	v_add3_u32 v5, v1, v5, 0x407ffff
	v_and_b32_e32 v6, 0xff00000, v5
	v_lshrrev_b32_e32 v5, 20, v5
	s_delay_alu instid0(VALU_DEP_2) | instskip(NEXT) | instid1(VALU_DEP_2)
	v_cmp_ne_u32_e32 vcc_lo, 0x7f00000, v6
	v_cndmask_b32_e32 v5, 0x7e, v5, vcc_lo
; %bb.747:
	s_and_not1_saveexec_b32 s49, s49
; %bb.748:
	v_add_f32_e64 v5, 0x46800000, |v1|
; %bb.749:
	s_or_b32 exec_lo, exec_lo, s49
                                        ; implicit-def: $vgpr6
.LBB55_750:
	s_and_not1_saveexec_b32 s48, s48
; %bb.751:
	v_mov_b32_e32 v5, 0x7f
	v_cmp_lt_u32_e32 vcc_lo, 0x7f800000, v6
	s_delay_alu instid0(VALU_DEP_2)
	v_cndmask_b32_e32 v5, 0x7e, v5, vcc_lo
; %bb.752:
	s_or_b32 exec_lo, exec_lo, s48
	v_lshrrev_b32_e32 v1, 24, v1
	s_delay_alu instid0(VALU_DEP_1)
	v_and_or_b32 v1, 0x80, v1, v5
	global_store_b8 v[2:3], v1, off
.LBB55_753:
	s_mov_b32 s48, 0
.LBB55_754:
	s_delay_alu instid0(SALU_CYCLE_1)
	s_and_not1_b32 vcc_lo, exec_lo, s48
	s_cbranch_vccnz .LBB55_764
; %bb.755:
	s_wait_xcnt 0x0
	v_cvt_f32_i32_e32 v1, v4
	s_mov_b32 s48, exec_lo
                                        ; implicit-def: $vgpr5
	s_delay_alu instid0(VALU_DEP_1) | instskip(NEXT) | instid1(VALU_DEP_1)
	v_and_b32_e32 v6, 0x7fffffff, v1
	v_cmpx_gt_u32_e32 0x47800000, v6
	s_xor_b32 s48, exec_lo, s48
	s_cbranch_execz .LBB55_761
; %bb.756:
	s_mov_b32 s49, exec_lo
                                        ; implicit-def: $vgpr5
	v_cmpx_lt_u32_e32 0x387fffff, v6
	s_xor_b32 s49, exec_lo, s49
; %bb.757:
	v_bfe_u32 v5, v1, 21, 1
	s_delay_alu instid0(VALU_DEP_1) | instskip(NEXT) | instid1(VALU_DEP_1)
	v_add3_u32 v5, v1, v5, 0x80fffff
	v_lshrrev_b32_e32 v5, 21, v5
; %bb.758:
	s_and_not1_saveexec_b32 s49, s49
; %bb.759:
	v_add_f32_e64 v5, 0x43000000, |v1|
; %bb.760:
	s_or_b32 exec_lo, exec_lo, s49
                                        ; implicit-def: $vgpr6
.LBB55_761:
	s_and_not1_saveexec_b32 s48, s48
; %bb.762:
	v_mov_b32_e32 v5, 0x7f
	v_cmp_lt_u32_e32 vcc_lo, 0x7f800000, v6
	s_delay_alu instid0(VALU_DEP_2)
	v_cndmask_b32_e32 v5, 0x7c, v5, vcc_lo
; %bb.763:
	s_or_b32 exec_lo, exec_lo, s48
	v_lshrrev_b32_e32 v1, 24, v1
	s_delay_alu instid0(VALU_DEP_1)
	v_and_or_b32 v1, 0x80, v1, v5
	global_store_b8 v[2:3], v1, off
.LBB55_764:
	s_mov_b32 s49, 0
	s_mov_b32 s48, -1
.LBB55_765:
	s_and_not1_b32 vcc_lo, exec_lo, s49
	s_cbranch_vccnz .LBB55_773
; %bb.766:
	s_cmp_gt_i32 s47, 14
	s_mov_b32 s49, -1
	s_cbranch_scc0 .LBB55_770
; %bb.767:
	s_cmp_eq_u32 s47, 15
	s_mov_b32 s0, -1
	s_cbranch_scc0 .LBB55_769
; %bb.768:
	s_wait_xcnt 0x0
	v_cvt_f32_i32_e32 v1, v4
	s_mov_b32 s48, -1
	s_mov_b32 s0, 0
	s_delay_alu instid0(VALU_DEP_1) | instskip(NEXT) | instid1(VALU_DEP_1)
	v_bfe_u32 v5, v1, 16, 1
	v_add3_u32 v1, v1, v5, 0x7fff
	global_store_d16_hi_b16 v[2:3], v1, off
.LBB55_769:
	s_mov_b32 s49, 0
.LBB55_770:
	s_delay_alu instid0(SALU_CYCLE_1)
	s_and_b32 vcc_lo, exec_lo, s49
	s_cbranch_vccz .LBB55_773
; %bb.771:
	s_cmp_eq_u32 s47, 11
	s_mov_b32 s0, -1
	s_cbranch_scc0 .LBB55_773
; %bb.772:
	v_cmp_ne_u32_e32 vcc_lo, 0, v4
	s_mov_b32 s0, 0
	s_mov_b32 s48, -1
	s_wait_xcnt 0x0
	v_cndmask_b32_e64 v1, 0, 1, vcc_lo
	global_store_b8 v[2:3], v1, off
.LBB55_773:
	s_mov_b32 s47, 0
.LBB55_774:
	s_delay_alu instid0(SALU_CYCLE_1)
	s_and_b32 vcc_lo, exec_lo, s47
	s_cbranch_vccz .LBB55_813
; %bb.775:
	s_and_b32 s29, 0xffff, s29
	s_mov_b32 s47, -1
	s_cmp_lt_i32 s29, 5
	s_cbranch_scc1 .LBB55_796
; %bb.776:
	s_cmp_lt_i32 s29, 8
	s_cbranch_scc1 .LBB55_786
; %bb.777:
	;; [unrolled: 3-line block ×3, first 2 shown]
	s_cmp_gt_i32 s29, 9
	s_cbranch_scc0 .LBB55_780
; %bb.779:
	s_wait_xcnt 0x0
	v_cvt_f64_i32_e32 v[6:7], v4
	v_mov_b32_e32 v8, 0
	s_mov_b32 s47, 0
	s_delay_alu instid0(VALU_DEP_1)
	v_mov_b32_e32 v9, v8
	global_store_b128 v[2:3], v[6:9], off
.LBB55_780:
	s_and_not1_b32 vcc_lo, exec_lo, s47
	s_cbranch_vccnz .LBB55_782
; %bb.781:
	s_wait_xcnt 0x0
	v_cvt_f32_i32_e32 v6, v4
	v_mov_b32_e32 v7, 0
	global_store_b64 v[2:3], v[6:7], off
.LBB55_782:
	s_mov_b32 s47, 0
.LBB55_783:
	s_delay_alu instid0(SALU_CYCLE_1)
	s_and_not1_b32 vcc_lo, exec_lo, s47
	s_cbranch_vccnz .LBB55_785
; %bb.784:
	s_wait_xcnt 0x0
	v_cvt_f32_i32_e32 v1, v4
	s_delay_alu instid0(VALU_DEP_1) | instskip(NEXT) | instid1(VALU_DEP_1)
	v_cvt_f16_f32_e32 v1, v1
	v_and_b32_e32 v1, 0xffff, v1
	global_store_b32 v[2:3], v1, off
.LBB55_785:
	s_mov_b32 s47, 0
.LBB55_786:
	s_delay_alu instid0(SALU_CYCLE_1)
	s_and_not1_b32 vcc_lo, exec_lo, s47
	s_cbranch_vccnz .LBB55_795
; %bb.787:
	s_cmp_lt_i32 s29, 6
	s_mov_b32 s47, -1
	s_cbranch_scc1 .LBB55_793
; %bb.788:
	s_cmp_gt_i32 s29, 6
	s_cbranch_scc0 .LBB55_790
; %bb.789:
	s_wait_xcnt 0x0
	v_cvt_f64_i32_e32 v[6:7], v4
	s_mov_b32 s47, 0
	global_store_b64 v[2:3], v[6:7], off
.LBB55_790:
	s_and_not1_b32 vcc_lo, exec_lo, s47
	s_cbranch_vccnz .LBB55_792
; %bb.791:
	s_wait_xcnt 0x0
	v_cvt_f32_i32_e32 v1, v4
	global_store_b32 v[2:3], v1, off
.LBB55_792:
	s_mov_b32 s47, 0
.LBB55_793:
	s_delay_alu instid0(SALU_CYCLE_1)
	s_and_not1_b32 vcc_lo, exec_lo, s47
	s_cbranch_vccnz .LBB55_795
; %bb.794:
	s_wait_xcnt 0x0
	v_cvt_f32_i32_e32 v1, v4
	s_delay_alu instid0(VALU_DEP_1)
	v_cvt_f16_f32_e32 v1, v1
	global_store_b16 v[2:3], v1, off
.LBB55_795:
	s_mov_b32 s47, 0
.LBB55_796:
	s_delay_alu instid0(SALU_CYCLE_1)
	s_and_not1_b32 vcc_lo, exec_lo, s47
	s_cbranch_vccnz .LBB55_812
; %bb.797:
	s_cmp_lt_i32 s29, 2
	s_mov_b32 s47, -1
	s_cbranch_scc1 .LBB55_807
; %bb.798:
	s_cmp_lt_i32 s29, 3
	s_cbranch_scc1 .LBB55_804
; %bb.799:
	s_cmp_gt_i32 s29, 3
	s_cbranch_scc0 .LBB55_801
; %bb.800:
	s_wait_xcnt 0x0
	v_ashrrev_i32_e32 v5, 31, v4
	s_mov_b32 s47, 0
	global_store_b64 v[2:3], v[4:5], off
.LBB55_801:
	s_and_not1_b32 vcc_lo, exec_lo, s47
	s_cbranch_vccnz .LBB55_803
; %bb.802:
	global_store_b32 v[2:3], v4, off
.LBB55_803:
	s_mov_b32 s47, 0
.LBB55_804:
	s_delay_alu instid0(SALU_CYCLE_1)
	s_and_not1_b32 vcc_lo, exec_lo, s47
	s_cbranch_vccnz .LBB55_806
; %bb.805:
	global_store_b16 v[2:3], v4, off
.LBB55_806:
	s_mov_b32 s47, 0
.LBB55_807:
	s_delay_alu instid0(SALU_CYCLE_1)
	s_and_not1_b32 vcc_lo, exec_lo, s47
	s_cbranch_vccnz .LBB55_812
; %bb.808:
	s_cmp_gt_i32 s29, 0
	s_mov_b32 s29, -1
	s_cbranch_scc0 .LBB55_810
; %bb.809:
	s_mov_b32 s29, 0
	global_store_b8 v[2:3], v4, off
.LBB55_810:
	s_and_not1_b32 vcc_lo, exec_lo, s29
	s_cbranch_vccnz .LBB55_812
; %bb.811:
	global_store_b8 v[2:3], v4, off
.LBB55_812:
	s_mov_b32 s48, -1
.LBB55_813:
	s_delay_alu instid0(SALU_CYCLE_1)
	s_and_not1_b32 vcc_lo, exec_lo, s48
	s_cbranch_vccnz .LBB55_836
; %bb.814:
	v_add_nc_u32_e32 v0, 0x80, v0
	s_mov_b32 s29, -1
.LBB55_815:
	s_and_not1_b32 s47, s42, exec_lo
	s_and_b32 s0, s0, exec_lo
	s_and_not1_b32 s49, s43, exec_lo
	s_and_b32 s28, s28, exec_lo
	s_or_b32 s48, s47, s0
	s_or_b32 s49, s49, s28
	s_and_not1_b32 s0, s44, exec_lo
	s_and_b32 s26, s26, exec_lo
	s_and_not1_b32 s28, s45, exec_lo
	s_and_b32 s27, s27, exec_lo
	s_or_b32 s50, s0, s26
	s_or_b32 s47, s28, s27
	s_or_not1_b32 s26, s29, exec_lo
.LBB55_816:
	s_wait_xcnt 0x0
	s_or_b32 exec_lo, exec_lo, s51
	s_mov_b32 s0, 0
                                        ; implicit-def: $vgpr4
                                        ; implicit-def: $vgpr6
                                        ; implicit-def: $vgpr2
	s_and_saveexec_b32 s51, s26
	s_cbranch_execz .LBB55_1266
; %bb.817:
	s_mov_b32 s27, -1
	s_mov_b32 s0, s47
	s_mov_b32 s54, s50
	;; [unrolled: 1-line block ×4, first 2 shown]
	s_mov_b32 s52, exec_lo
	v_cmpx_gt_i32_e64 s40, v0
	s_cbranch_execz .LBB55_1230
; %bb.818:
	s_and_not1_b32 vcc_lo, exec_lo, s33
	s_cbranch_vccnz .LBB55_824
; %bb.819:
	s_and_not1_b32 vcc_lo, exec_lo, s41
	s_cbranch_vccnz .LBB55_825
; %bb.820:
	s_wait_loadcnt 0x0
	v_dual_mov_b32 v2, 0 :: v_dual_mov_b32 v1, v0
	v_dual_mov_b32 v6, 0 :: v_dual_mov_b32 v4, 0
	s_add_co_i32 s0, s39, 1
	s_mov_b64 s[26:27], 0xffffffffffffffe0
	s_and_b32 s0, s0, 30
	s_add_nc_u64 s[26:27], s[2:3], s[26:27]
	s_mov_b64 s[28:29], s[2:3]
.LBB55_821:                             ; =>This Inner Loop Header: Depth=1
	s_clause 0x1
	s_load_b128 s[56:59], s[28:29], 0x4
	s_load_b64 s[54:55], s[28:29], 0x14
	s_load_b32 s53, s[26:27], 0xe4
	s_add_co_i32 s0, s0, -2
	s_wait_xcnt 0x0
	s_add_nc_u64 s[28:29], s[28:29], 24
	s_cmp_eq_u32 s0, 0
	s_wait_kmcnt 0x0
	v_mul_hi_u32 v3, s57, v1
	s_delay_alu instid0(VALU_DEP_1) | instskip(NEXT) | instid1(VALU_DEP_1)
	v_add_nc_u32_e32 v3, v1, v3
	v_lshrrev_b32_e32 v3, s58, v3
	s_delay_alu instid0(VALU_DEP_1) | instskip(SKIP_2) | instid1(VALU_DEP_1)
	v_mul_hi_u32 v5, s54, v3
	v_mul_lo_u32 v7, v3, s56
	s_load_b96 s[56:58], s[26:27], 0xec
	v_dual_add_nc_u32 v5, v3, v5 :: v_dual_sub_nc_u32 v7, v1, v7
	s_delay_alu instid0(VALU_DEP_1) | instskip(SKIP_1) | instid1(VALU_DEP_2)
	v_lshrrev_b32_e32 v1, s55, v5
	s_load_b64 s[54:55], s[26:27], 0xfc
	v_mad_u32 v2, v7, s53, v2
	s_wait_xcnt 0x0
	s_add_nc_u64 s[26:27], s[26:27], 32
	v_mul_lo_u32 v5, v1, s59
	s_wait_kmcnt 0x0
	v_mad_u32 v4, v7, s57, v4
	v_mad_u32 v6, v7, s56, v6
	s_delay_alu instid0(VALU_DEP_3) | instskip(NEXT) | instid1(VALU_DEP_1)
	v_sub_nc_u32_e32 v3, v3, v5
	v_mad_u32 v2, v3, s58, v2
	s_delay_alu instid0(VALU_DEP_4) | instskip(NEXT) | instid1(VALU_DEP_4)
	v_mad_u32 v4, v3, s55, v4
	v_mad_u32 v6, v3, s54, v6
	s_cbranch_scc0 .LBB55_821
; %bb.822:
	s_bitcmp1_b32 s39, 0
	s_cselect_b32 s0, -1, 0
	s_delay_alu instid0(SALU_CYCLE_1)
	s_and_b32 vcc_lo, exec_lo, s0
	s_cbranch_vccnz .LBB55_826
; %bb.823:
	s_load_b96 s[56:58], s[28:29], 0x4
	s_load_b32 s0, s[26:27], 0xe4
	s_wait_xcnt 0x0
	s_load_b64 s[28:29], s[26:27], 0xec
	s_wait_kmcnt 0x0
	v_mul_hi_u32 v3, s57, v1
	s_delay_alu instid0(VALU_DEP_1) | instskip(NEXT) | instid1(VALU_DEP_1)
	v_add_nc_u32_e32 v3, v1, v3
	v_lshrrev_b32_e32 v3, s58, v3
	s_delay_alu instid0(VALU_DEP_1) | instskip(NEXT) | instid1(VALU_DEP_1)
	v_mul_lo_u32 v3, v3, s56
	v_sub_nc_u32_e32 v1, v1, v3
	s_delay_alu instid0(VALU_DEP_1)
	v_mad_u32 v2, v1, s0, v2
	v_mad_u32 v6, v1, s28, v6
	v_mad_u32 v4, v1, s29, v4
	s_branch .LBB55_826
.LBB55_824:
	s_mov_b32 s0, -1
                                        ; implicit-def: $vgpr4
                                        ; implicit-def: $vgpr6
                                        ; implicit-def: $vgpr2
	s_branch .LBB55_827
.LBB55_825:
	s_wait_loadcnt 0x0
	v_dual_mov_b32 v4, 0 :: v_dual_mov_b32 v6, 0
	v_mov_b32_e32 v2, 0
.LBB55_826:
	s_mov_b32 s0, 0
.LBB55_827:
	s_delay_alu instid0(SALU_CYCLE_1)
	s_and_not1_b32 vcc_lo, exec_lo, s0
	s_cbranch_vccnz .LBB55_830
; %bb.828:
	s_wait_loadcnt 0x0
	v_mov_b32_e32 v1, 0
	s_and_not1_b32 vcc_lo, exec_lo, s38
	s_delay_alu instid0(VALU_DEP_1) | instskip(NEXT) | instid1(VALU_DEP_1)
	v_mul_u64_e32 v[2:3], s[20:21], v[0:1]
	v_add_nc_u32_e32 v2, v0, v3
	s_delay_alu instid0(VALU_DEP_1) | instskip(NEXT) | instid1(VALU_DEP_1)
	v_lshrrev_b32_e32 v8, s10, v2
	v_mul_lo_u32 v2, v8, s8
	s_delay_alu instid0(VALU_DEP_1) | instskip(NEXT) | instid1(VALU_DEP_1)
	v_sub_nc_u32_e32 v3, v0, v2
	v_mul_lo_u32 v2, v3, s37
	v_mul_lo_u32 v4, v3, s13
	;; [unrolled: 1-line block ×3, first 2 shown]
	s_cbranch_vccnz .LBB55_830
; %bb.829:
	v_mov_b32_e32 v9, v1
	s_delay_alu instid0(VALU_DEP_1) | instskip(NEXT) | instid1(VALU_DEP_1)
	v_mul_u64_e32 v[10:11], s[24:25], v[8:9]
	v_add_nc_u32_e32 v1, v8, v11
	s_delay_alu instid0(VALU_DEP_1) | instskip(NEXT) | instid1(VALU_DEP_1)
	v_lshrrev_b32_e32 v1, s1, v1
	v_mul_lo_u32 v1, v1, s11
	s_delay_alu instid0(VALU_DEP_1) | instskip(NEXT) | instid1(VALU_DEP_1)
	v_sub_nc_u32_e32 v1, v8, v1
	v_mad_u32 v2, v1, s14, v2
	v_mad_u32 v6, v1, s22, v6
	;; [unrolled: 1-line block ×3, first 2 shown]
.LBB55_830:
	s_and_b32 s26, s36, 0xff
	s_delay_alu instid0(SALU_CYCLE_1)
	s_cmp_lt_i32 s26, 23
	s_cbranch_scc1 .LBB55_834
; %bb.831:
	s_and_b32 s28, 0xffff, s26
	s_delay_alu instid0(SALU_CYCLE_1)
	s_cmp_gt_i32 s28, 43
	s_cbranch_scc0 .LBB55_835
; %bb.832:
	s_cmp_gt_i32 s28, 45
	s_cbranch_scc0 .LBB55_837
; %bb.833:
	s_cmp_eq_u32 s28, 46
	s_mov_b32 s29, 0
	s_cselect_b32 s0, -1, 0
	s_or_b32 s27, s47, exec_lo
	s_branch .LBB55_838
.LBB55_834:
	s_mov_b32 s28, -1
	s_mov_b32 s0, 0
	s_mov_b32 s27, s47
	s_branch .LBB55_844
.LBB55_835:
	s_mov_b32 s29, -1
	s_mov_b32 s0, 0
	s_mov_b32 s27, s47
	s_branch .LBB55_841
.LBB55_836:
	s_mov_b32 s29, 0
	s_branch .LBB55_444
.LBB55_837:
	s_mov_b32 s29, -1
	s_mov_b32 s0, 0
	s_mov_b32 s27, s47
.LBB55_838:
	s_and_not1_b32 vcc_lo, exec_lo, s29
	s_cbranch_vccnz .LBB55_840
; %bb.839:
	s_cmp_eq_u32 s28, 44
	s_cselect_b32 s0, -1, 0
	s_cmp_lg_u32 s28, 44
	s_cselect_b32 s29, -1, 0
	s_and_not1_b32 s27, s27, exec_lo
	s_and_b32 s29, s29, exec_lo
	s_delay_alu instid0(SALU_CYCLE_1)
	s_or_b32 s27, s27, s29
.LBB55_840:
	s_mov_b32 s29, 0
.LBB55_841:
	s_delay_alu instid0(SALU_CYCLE_1)
	s_and_b32 vcc_lo, exec_lo, s29
	s_cbranch_vccz .LBB55_843
; %bb.842:
	s_cmp_lt_i32 s28, 30
	s_cselect_b32 s0, -1, 0
	s_cmp_gt_i32 s28, 29
	s_cselect_b32 s28, -1, 0
	s_and_not1_b32 s27, s27, exec_lo
	s_and_b32 s28, s28, exec_lo
	s_delay_alu instid0(SALU_CYCLE_1)
	s_or_b32 s27, s27, s28
.LBB55_843:
	s_mov_b32 s28, 0
.LBB55_844:
	s_delay_alu instid0(SALU_CYCLE_1)
	s_and_b32 vcc_lo, exec_lo, s28
	s_cbranch_vccz .LBB55_849
; %bb.845:
	s_and_b32 s26, 0xffff, s26
	s_mov_b32 s28, -1
	s_cmp_gt_i32 s26, 14
	s_cbranch_scc0 .LBB55_847
; %bb.846:
	s_cmp_eq_u32 s26, 15
	s_cselect_b32 s0, -1, 0
	s_cmp_lg_u32 s26, 15
	s_cselect_b32 s28, -1, 0
	s_and_not1_b32 s27, s27, exec_lo
	s_and_b32 s29, s28, exec_lo
	s_mov_b32 s28, 0
	s_or_b32 s27, s27, s29
.LBB55_847:
	s_and_not1_b32 vcc_lo, exec_lo, s28
	s_cbranch_vccnz .LBB55_849
; %bb.848:
	s_cmp_lt_i32 s26, 12
	s_cselect_b32 s0, -1, 0
	s_cmp_gt_i32 s26, 11
	s_cselect_b32 s26, -1, 0
	s_and_not1_b32 s27, s27, exec_lo
	s_and_b32 s26, s26, exec_lo
	s_delay_alu instid0(SALU_CYCLE_1)
	s_or_b32 s27, s27, s26
.LBB55_849:
	s_and_b32 vcc_lo, exec_lo, s0
	s_cbranch_vccz .LBB55_857
; %bb.850:
	v_mov_b32_e32 v7, 0
	s_and_b32 s0, s35, 0xff
	s_delay_alu instid0(SALU_CYCLE_1) | instskip(SKIP_1) | instid1(VALU_DEP_1)
	s_cmp_lt_i32 s0, 11
	s_wait_loadcnt 0x0
	v_add_nc_u64_e32 v[6:7], s[4:5], v[6:7]
	s_cbranch_scc1 .LBB55_859
; %bb.851:
	s_and_b32 s27, 0xffff, s0
	s_delay_alu instid0(SALU_CYCLE_1)
	s_cmp_gt_i32 s27, 25
	s_cbranch_scc0 .LBB55_860
; %bb.852:
	s_cmp_gt_i32 s27, 28
	s_cbranch_scc0 .LBB55_861
; %bb.853:
	;; [unrolled: 3-line block ×4, first 2 shown]
	s_cmp_eq_u32 s27, 46
	s_mov_b32 s29, 0
	s_cbranch_scc0 .LBB55_866
; %bb.856:
	global_load_b32 v1, v[6:7], off
	s_mov_b32 s28, -1
	s_mov_b32 s26, 0
	s_wait_loadcnt 0x0
	v_lshlrev_b32_e32 v1, 16, v1
	s_delay_alu instid0(VALU_DEP_1)
	v_cvt_i32_f32_e32 v1, v1
	s_branch .LBB55_868
.LBB55_857:
	s_mov_b32 s29, 0
	s_mov_b32 s0, s48
	;; [unrolled: 1-line block ×4, first 2 shown]
.LBB55_858:
                                        ; implicit-def: $vgpr0
	s_branch .LBB55_1229
.LBB55_859:
	s_mov_b32 s27, -1
	s_mov_b32 s28, 0
	s_mov_b32 s26, s50
                                        ; implicit-def: $vgpr1
	s_branch .LBB55_929
.LBB55_860:
	s_mov_b32 s29, -1
	s_mov_b32 s28, 0
	s_mov_b32 s26, s50
                                        ; implicit-def: $vgpr1
	s_branch .LBB55_895
.LBB55_861:
	s_mov_b32 s29, -1
	s_mov_b32 s28, 0
	s_mov_b32 s26, s50
                                        ; implicit-def: $vgpr1
	s_branch .LBB55_878
.LBB55_862:
	s_mov_b32 s29, -1
	s_mov_b32 s28, 0
	s_mov_b32 s26, s50
                                        ; implicit-def: $vgpr1
	s_branch .LBB55_873
.LBB55_863:
	s_mov_b32 s29, -1
	s_mov_b32 s28, 0
	s_mov_b32 s26, s50
	s_branch .LBB55_867
.LBB55_864:
	s_and_not1_saveexec_b32 s50, s50
	s_cbranch_execz .LBB55_726
.LBB55_865:
	v_add_f32_e64 v5, 0x46000000, |v1|
	s_and_not1_b32 s49, s49, exec_lo
	s_delay_alu instid0(VALU_DEP_1) | instskip(NEXT) | instid1(VALU_DEP_1)
	v_and_b32_e32 v5, 0xff, v5
	v_cmp_ne_u32_e32 vcc_lo, 0, v5
	s_and_b32 s52, vcc_lo, exec_lo
	s_delay_alu instid0(SALU_CYCLE_1)
	s_or_b32 s49, s49, s52
	s_or_b32 exec_lo, exec_lo, s50
	v_mov_b32_e32 v6, 0
	s_and_saveexec_b32 s50, s49
	s_cbranch_execnz .LBB55_727
	s_branch .LBB55_728
.LBB55_866:
	s_mov_b32 s26, -1
	s_mov_b32 s28, 0
.LBB55_867:
                                        ; implicit-def: $vgpr1
.LBB55_868:
	s_and_b32 vcc_lo, exec_lo, s29
	s_cbranch_vccz .LBB55_872
; %bb.869:
	s_cmp_eq_u32 s27, 44
	s_cbranch_scc0 .LBB55_871
; %bb.870:
	global_load_u8 v1, v[6:7], off
	s_mov_b32 s26, 0
	s_mov_b32 s28, -1
	s_wait_loadcnt 0x0
	v_lshlrev_b32_e32 v3, 23, v1
	v_cmp_ne_u32_e32 vcc_lo, 0, v1
	s_delay_alu instid0(VALU_DEP_2) | instskip(NEXT) | instid1(VALU_DEP_1)
	v_cvt_i32_f32_e32 v3, v3
	v_cndmask_b32_e32 v1, 0, v3, vcc_lo
	s_branch .LBB55_872
.LBB55_871:
	s_mov_b32 s26, -1
                                        ; implicit-def: $vgpr1
.LBB55_872:
	s_mov_b32 s29, 0
.LBB55_873:
	s_delay_alu instid0(SALU_CYCLE_1)
	s_and_b32 vcc_lo, exec_lo, s29
	s_cbranch_vccz .LBB55_877
; %bb.874:
	s_cmp_eq_u32 s27, 29
	s_cbranch_scc0 .LBB55_876
; %bb.875:
	global_load_b32 v1, v[6:7], off
	s_mov_b32 s28, -1
	s_mov_b32 s26, 0
	s_branch .LBB55_877
.LBB55_876:
	s_mov_b32 s26, -1
                                        ; implicit-def: $vgpr1
.LBB55_877:
	s_mov_b32 s29, 0
.LBB55_878:
	s_delay_alu instid0(SALU_CYCLE_1)
	s_and_b32 vcc_lo, exec_lo, s29
	s_cbranch_vccz .LBB55_894
; %bb.879:
	s_cmp_lt_i32 s27, 27
	s_cbranch_scc1 .LBB55_882
; %bb.880:
	s_cmp_gt_i32 s27, 27
	s_cbranch_scc0 .LBB55_883
; %bb.881:
	s_wait_loadcnt 0x0
	global_load_b32 v1, v[6:7], off
	s_mov_b32 s28, 0
	s_branch .LBB55_884
.LBB55_882:
	s_mov_b32 s28, -1
                                        ; implicit-def: $vgpr1
	s_branch .LBB55_887
.LBB55_883:
	s_mov_b32 s28, -1
                                        ; implicit-def: $vgpr1
.LBB55_884:
	s_delay_alu instid0(SALU_CYCLE_1)
	s_and_not1_b32 vcc_lo, exec_lo, s28
	s_cbranch_vccnz .LBB55_886
; %bb.885:
	s_wait_loadcnt 0x0
	global_load_u16 v1, v[6:7], off
.LBB55_886:
	s_mov_b32 s28, 0
.LBB55_887:
	s_delay_alu instid0(SALU_CYCLE_1)
	s_and_not1_b32 vcc_lo, exec_lo, s28
	s_cbranch_vccnz .LBB55_893
; %bb.888:
	global_load_u8 v3, v[6:7], off
	s_mov_b32 s29, 0
	s_mov_b32 s28, exec_lo
	s_wait_loadcnt 0x0
	v_cmpx_lt_i16_e32 0x7f, v3
	s_xor_b32 s28, exec_lo, s28
	s_cbranch_execz .LBB55_905
; %bb.889:
	v_cmp_ne_u16_e32 vcc_lo, 0x80, v3
	s_and_b32 s29, vcc_lo, exec_lo
	s_and_not1_saveexec_b32 s28, s28
	s_cbranch_execnz .LBB55_906
.LBB55_890:
	s_or_b32 exec_lo, exec_lo, s28
	v_mov_b32_e32 v1, 0
	s_and_saveexec_b32 s28, s29
	s_cbranch_execz .LBB55_892
.LBB55_891:
	v_and_b32_e32 v1, 0xffff, v3
	s_delay_alu instid0(VALU_DEP_1) | instskip(SKIP_1) | instid1(VALU_DEP_2)
	v_and_b32_e32 v5, 7, v1
	v_bfe_u32 v10, v1, 3, 4
	v_clz_i32_u32_e32 v8, v5
	s_delay_alu instid0(VALU_DEP_2) | instskip(NEXT) | instid1(VALU_DEP_2)
	v_cmp_eq_u32_e32 vcc_lo, 0, v10
	v_min_u32_e32 v8, 32, v8
	s_delay_alu instid0(VALU_DEP_1) | instskip(NEXT) | instid1(VALU_DEP_1)
	v_subrev_nc_u32_e32 v9, 28, v8
	v_dual_lshlrev_b32 v1, v9, v1 :: v_dual_sub_nc_u32 v8, 29, v8
	s_delay_alu instid0(VALU_DEP_1) | instskip(NEXT) | instid1(VALU_DEP_1)
	v_dual_lshlrev_b32 v3, 24, v3 :: v_dual_bitop2_b32 v1, 7, v1 bitop3:0x40
	v_dual_cndmask_b32 v8, v10, v8 :: v_dual_cndmask_b32 v1, v5, v1
	s_delay_alu instid0(VALU_DEP_2) | instskip(NEXT) | instid1(VALU_DEP_2)
	v_and_b32_e32 v3, 0x80000000, v3
	v_lshl_add_u32 v5, v8, 23, 0x3b800000
	s_delay_alu instid0(VALU_DEP_3) | instskip(NEXT) | instid1(VALU_DEP_1)
	v_lshlrev_b32_e32 v1, 20, v1
	v_or3_b32 v1, v3, v5, v1
	s_delay_alu instid0(VALU_DEP_1)
	v_cvt_i32_f32_e32 v1, v1
.LBB55_892:
	s_or_b32 exec_lo, exec_lo, s28
.LBB55_893:
	s_mov_b32 s28, -1
.LBB55_894:
	s_mov_b32 s29, 0
.LBB55_895:
	s_delay_alu instid0(SALU_CYCLE_1)
	s_and_b32 vcc_lo, exec_lo, s29
	s_cbranch_vccz .LBB55_928
; %bb.896:
	s_cmp_gt_i32 s27, 22
	s_cbranch_scc0 .LBB55_904
; %bb.897:
	s_cmp_lt_i32 s27, 24
	s_cbranch_scc1 .LBB55_907
; %bb.898:
	s_cmp_gt_i32 s27, 24
	s_cbranch_scc0 .LBB55_908
; %bb.899:
	global_load_u8 v3, v[6:7], off
	s_mov_b32 s29, 0
	s_mov_b32 s28, exec_lo
	s_wait_loadcnt 0x0
	v_cmpx_lt_i16_e32 0x7f, v3
	s_xor_b32 s28, exec_lo, s28
	s_cbranch_execz .LBB55_920
; %bb.900:
	v_cmp_ne_u16_e32 vcc_lo, 0x80, v3
	s_and_b32 s29, vcc_lo, exec_lo
	s_and_not1_saveexec_b32 s28, s28
	s_cbranch_execnz .LBB55_921
.LBB55_901:
	s_or_b32 exec_lo, exec_lo, s28
	v_mov_b32_e32 v1, 0
	s_and_saveexec_b32 s28, s29
	s_cbranch_execz .LBB55_903
.LBB55_902:
	v_and_b32_e32 v1, 0xffff, v3
	s_delay_alu instid0(VALU_DEP_1) | instskip(SKIP_1) | instid1(VALU_DEP_2)
	v_and_b32_e32 v5, 3, v1
	v_bfe_u32 v10, v1, 2, 5
	v_clz_i32_u32_e32 v8, v5
	s_delay_alu instid0(VALU_DEP_2) | instskip(NEXT) | instid1(VALU_DEP_2)
	v_cmp_eq_u32_e32 vcc_lo, 0, v10
	v_min_u32_e32 v8, 32, v8
	s_delay_alu instid0(VALU_DEP_1) | instskip(NEXT) | instid1(VALU_DEP_1)
	v_subrev_nc_u32_e32 v9, 29, v8
	v_dual_lshlrev_b32 v1, v9, v1 :: v_dual_sub_nc_u32 v8, 30, v8
	s_delay_alu instid0(VALU_DEP_1) | instskip(NEXT) | instid1(VALU_DEP_1)
	v_dual_lshlrev_b32 v3, 24, v3 :: v_dual_bitop2_b32 v1, 3, v1 bitop3:0x40
	v_dual_cndmask_b32 v8, v10, v8 :: v_dual_cndmask_b32 v1, v5, v1
	s_delay_alu instid0(VALU_DEP_2) | instskip(NEXT) | instid1(VALU_DEP_2)
	v_and_b32_e32 v3, 0x80000000, v3
	v_lshl_add_u32 v5, v8, 23, 0x37800000
	s_delay_alu instid0(VALU_DEP_3) | instskip(NEXT) | instid1(VALU_DEP_1)
	v_lshlrev_b32_e32 v1, 21, v1
	v_or3_b32 v1, v3, v5, v1
	s_delay_alu instid0(VALU_DEP_1)
	v_cvt_i32_f32_e32 v1, v1
.LBB55_903:
	s_or_b32 exec_lo, exec_lo, s28
	s_mov_b32 s28, 0
	s_branch .LBB55_909
.LBB55_904:
	s_mov_b32 s29, -1
                                        ; implicit-def: $vgpr1
	s_branch .LBB55_915
.LBB55_905:
	s_and_not1_saveexec_b32 s28, s28
	s_cbranch_execz .LBB55_890
.LBB55_906:
	v_cmp_ne_u16_e32 vcc_lo, 0, v3
	s_and_not1_b32 s29, s29, exec_lo
	s_and_b32 s53, vcc_lo, exec_lo
	s_delay_alu instid0(SALU_CYCLE_1)
	s_or_b32 s29, s29, s53
	s_or_b32 exec_lo, exec_lo, s28
	v_mov_b32_e32 v1, 0
	s_and_saveexec_b32 s28, s29
	s_cbranch_execnz .LBB55_891
	s_branch .LBB55_892
.LBB55_907:
	s_mov_b32 s28, -1
                                        ; implicit-def: $vgpr1
	s_branch .LBB55_912
.LBB55_908:
	s_mov_b32 s28, -1
                                        ; implicit-def: $vgpr1
.LBB55_909:
	s_delay_alu instid0(SALU_CYCLE_1)
	s_and_b32 vcc_lo, exec_lo, s28
	s_cbranch_vccz .LBB55_911
; %bb.910:
	s_wait_loadcnt 0x0
	global_load_u8 v1, v[6:7], off
	s_wait_loadcnt 0x0
	v_lshlrev_b32_e32 v1, 24, v1
	s_delay_alu instid0(VALU_DEP_1) | instskip(NEXT) | instid1(VALU_DEP_1)
	v_and_b32_e32 v3, 0x7f000000, v1
	v_clz_i32_u32_e32 v5, v3
	v_add_nc_u32_e32 v9, 0x1000000, v3
	v_cmp_ne_u32_e32 vcc_lo, 0, v3
	s_delay_alu instid0(VALU_DEP_3) | instskip(NEXT) | instid1(VALU_DEP_1)
	v_min_u32_e32 v5, 32, v5
	v_sub_nc_u32_e64 v5, v5, 4 clamp
	s_delay_alu instid0(VALU_DEP_1) | instskip(NEXT) | instid1(VALU_DEP_1)
	v_dual_lshlrev_b32 v8, v5, v3 :: v_dual_lshlrev_b32 v5, 23, v5
	v_lshrrev_b32_e32 v8, 4, v8
	s_delay_alu instid0(VALU_DEP_1) | instskip(SKIP_1) | instid1(VALU_DEP_2)
	v_sub_nc_u32_e32 v5, v8, v5
	v_ashrrev_i32_e32 v8, 8, v9
	v_add_nc_u32_e32 v5, 0x3c000000, v5
	s_delay_alu instid0(VALU_DEP_1) | instskip(NEXT) | instid1(VALU_DEP_1)
	v_and_or_b32 v5, 0x7f800000, v8, v5
	v_cndmask_b32_e32 v3, 0, v5, vcc_lo
	s_delay_alu instid0(VALU_DEP_1) | instskip(NEXT) | instid1(VALU_DEP_1)
	v_and_or_b32 v1, 0x80000000, v1, v3
	v_cvt_i32_f32_e32 v1, v1
.LBB55_911:
	s_mov_b32 s28, 0
.LBB55_912:
	s_delay_alu instid0(SALU_CYCLE_1)
	s_and_not1_b32 vcc_lo, exec_lo, s28
	s_cbranch_vccnz .LBB55_914
; %bb.913:
	s_wait_loadcnt 0x0
	global_load_u8 v1, v[6:7], off
	s_wait_loadcnt 0x0
	v_lshlrev_b32_e32 v3, 25, v1
	v_lshlrev_b16 v1, 8, v1
	s_delay_alu instid0(VALU_DEP_1) | instskip(SKIP_1) | instid1(VALU_DEP_2)
	v_and_or_b32 v8, 0x7f00, v1, 0.5
	v_bfe_i32 v1, v1, 0, 16
	v_dual_add_f32 v8, -0.5, v8 :: v_dual_lshrrev_b32 v5, 4, v3
	v_cmp_gt_u32_e32 vcc_lo, 0x8000000, v3
	s_delay_alu instid0(VALU_DEP_2) | instskip(NEXT) | instid1(VALU_DEP_1)
	v_or_b32_e32 v5, 0x70000000, v5
	v_mul_f32_e32 v5, 0x7800000, v5
	s_delay_alu instid0(VALU_DEP_1) | instskip(NEXT) | instid1(VALU_DEP_1)
	v_cndmask_b32_e32 v3, v5, v8, vcc_lo
	v_and_or_b32 v1, 0x80000000, v1, v3
	s_delay_alu instid0(VALU_DEP_1)
	v_cvt_i32_f32_e32 v1, v1
.LBB55_914:
	s_mov_b32 s29, 0
	s_mov_b32 s28, -1
.LBB55_915:
	s_and_not1_b32 vcc_lo, exec_lo, s29
	s_cbranch_vccnz .LBB55_928
; %bb.916:
	s_cmp_gt_i32 s27, 14
	s_cbranch_scc0 .LBB55_919
; %bb.917:
	s_cmp_eq_u32 s27, 15
	s_cbranch_scc0 .LBB55_922
; %bb.918:
	s_wait_loadcnt 0x0
	global_load_u16 v1, v[6:7], off
	s_mov_b32 s28, -1
	s_mov_b32 s26, 0
	s_wait_loadcnt 0x0
	v_lshlrev_b32_e32 v1, 16, v1
	s_delay_alu instid0(VALU_DEP_1)
	v_cvt_i32_f32_e32 v1, v1
	s_branch .LBB55_923
.LBB55_919:
	s_mov_b32 s29, -1
                                        ; implicit-def: $vgpr1
	s_branch .LBB55_924
.LBB55_920:
	s_and_not1_saveexec_b32 s28, s28
	s_cbranch_execz .LBB55_901
.LBB55_921:
	v_cmp_ne_u16_e32 vcc_lo, 0, v3
	s_and_not1_b32 s29, s29, exec_lo
	s_and_b32 s53, vcc_lo, exec_lo
	s_delay_alu instid0(SALU_CYCLE_1)
	s_or_b32 s29, s29, s53
	s_or_b32 exec_lo, exec_lo, s28
	v_mov_b32_e32 v1, 0
	s_and_saveexec_b32 s28, s29
	s_cbranch_execnz .LBB55_902
	s_branch .LBB55_903
.LBB55_922:
	s_mov_b32 s26, -1
                                        ; implicit-def: $vgpr1
.LBB55_923:
	s_mov_b32 s29, 0
.LBB55_924:
	s_delay_alu instid0(SALU_CYCLE_1)
	s_and_b32 vcc_lo, exec_lo, s29
	s_cbranch_vccz .LBB55_928
; %bb.925:
	s_cmp_eq_u32 s27, 11
	s_cbranch_scc0 .LBB55_927
; %bb.926:
	s_wait_loadcnt 0x0
	global_load_u8 v1, v[6:7], off
	s_mov_b32 s26, 0
	s_mov_b32 s28, -1
	s_wait_loadcnt 0x0
	v_cmp_ne_u16_e32 vcc_lo, 0, v1
	v_cndmask_b32_e64 v1, 0, 1, vcc_lo
	s_branch .LBB55_928
.LBB55_927:
	s_mov_b32 s26, -1
                                        ; implicit-def: $vgpr1
.LBB55_928:
	s_mov_b32 s27, 0
.LBB55_929:
	s_delay_alu instid0(SALU_CYCLE_1)
	s_and_b32 vcc_lo, exec_lo, s27
	s_cbranch_vccz .LBB55_978
; %bb.930:
	s_and_b32 s0, 0xffff, s0
	s_delay_alu instid0(SALU_CYCLE_1)
	s_cmp_lt_i32 s0, 5
	s_cbranch_scc1 .LBB55_935
; %bb.931:
	s_cmp_lt_i32 s0, 8
	s_cbranch_scc1 .LBB55_936
; %bb.932:
	;; [unrolled: 3-line block ×3, first 2 shown]
	s_cmp_gt_i32 s0, 9
	s_cbranch_scc0 .LBB55_938
; %bb.934:
	global_load_b64 v[8:9], v[6:7], off
	s_mov_b32 s27, 0
	s_wait_loadcnt 0x0
	v_cvt_i32_f64_e32 v1, v[8:9]
	s_branch .LBB55_939
.LBB55_935:
	s_mov_b32 s27, -1
                                        ; implicit-def: $vgpr1
	s_branch .LBB55_957
.LBB55_936:
	s_mov_b32 s27, -1
                                        ; implicit-def: $vgpr1
	s_branch .LBB55_945
.LBB55_937:
	s_mov_b32 s27, -1
                                        ; implicit-def: $vgpr1
	s_branch .LBB55_942
.LBB55_938:
	s_mov_b32 s27, -1
                                        ; implicit-def: $vgpr1
.LBB55_939:
	s_delay_alu instid0(SALU_CYCLE_1)
	s_and_not1_b32 vcc_lo, exec_lo, s27
	s_cbranch_vccnz .LBB55_941
; %bb.940:
	s_wait_loadcnt 0x0
	global_load_b32 v1, v[6:7], off
	s_wait_loadcnt 0x0
	v_cvt_i32_f32_e32 v1, v1
.LBB55_941:
	s_mov_b32 s27, 0
.LBB55_942:
	s_delay_alu instid0(SALU_CYCLE_1)
	s_and_not1_b32 vcc_lo, exec_lo, s27
	s_cbranch_vccnz .LBB55_944
; %bb.943:
	s_wait_loadcnt 0x0
	global_load_b32 v1, v[6:7], off
	s_wait_loadcnt 0x0
	v_cvt_f32_f16_e32 v1, v1
	s_delay_alu instid0(VALU_DEP_1)
	v_cvt_i32_f32_e32 v1, v1
.LBB55_944:
	s_mov_b32 s27, 0
.LBB55_945:
	s_delay_alu instid0(SALU_CYCLE_1)
	s_and_not1_b32 vcc_lo, exec_lo, s27
	s_cbranch_vccnz .LBB55_956
; %bb.946:
	s_cmp_lt_i32 s0, 6
	s_cbranch_scc1 .LBB55_949
; %bb.947:
	s_cmp_gt_i32 s0, 6
	s_cbranch_scc0 .LBB55_950
; %bb.948:
	global_load_b64 v[8:9], v[6:7], off
	s_mov_b32 s27, 0
	s_wait_loadcnt 0x0
	v_cvt_i32_f64_e32 v1, v[8:9]
	s_branch .LBB55_951
.LBB55_949:
	s_mov_b32 s27, -1
                                        ; implicit-def: $vgpr1
	s_branch .LBB55_954
.LBB55_950:
	s_mov_b32 s27, -1
                                        ; implicit-def: $vgpr1
.LBB55_951:
	s_delay_alu instid0(SALU_CYCLE_1)
	s_and_not1_b32 vcc_lo, exec_lo, s27
	s_cbranch_vccnz .LBB55_953
; %bb.952:
	s_wait_loadcnt 0x0
	global_load_b32 v1, v[6:7], off
	s_wait_loadcnt 0x0
	v_cvt_i32_f32_e32 v1, v1
.LBB55_953:
	s_mov_b32 s27, 0
.LBB55_954:
	s_delay_alu instid0(SALU_CYCLE_1)
	s_and_not1_b32 vcc_lo, exec_lo, s27
	s_cbranch_vccnz .LBB55_956
; %bb.955:
	s_wait_loadcnt 0x0
	global_load_u16 v1, v[6:7], off
	s_wait_loadcnt 0x0
	v_cvt_f32_f16_e32 v1, v1
	s_delay_alu instid0(VALU_DEP_1)
	v_cvt_i32_f32_e32 v1, v1
.LBB55_956:
	s_mov_b32 s27, 0
.LBB55_957:
	s_delay_alu instid0(SALU_CYCLE_1)
	s_and_not1_b32 vcc_lo, exec_lo, s27
	s_cbranch_vccnz .LBB55_977
; %bb.958:
	s_cmp_lt_i32 s0, 2
	s_cbranch_scc1 .LBB55_962
; %bb.959:
	s_cmp_lt_i32 s0, 3
	s_cbranch_scc1 .LBB55_963
; %bb.960:
	s_cmp_gt_i32 s0, 3
	s_cbranch_scc0 .LBB55_964
; %bb.961:
	s_wait_loadcnt 0x0
	global_load_b32 v1, v[6:7], off
	s_mov_b32 s27, 0
	s_branch .LBB55_965
.LBB55_962:
	s_mov_b32 s27, -1
                                        ; implicit-def: $vgpr1
	s_branch .LBB55_971
.LBB55_963:
	s_mov_b32 s27, -1
                                        ; implicit-def: $vgpr1
	s_branch .LBB55_968
.LBB55_964:
	s_mov_b32 s27, -1
                                        ; implicit-def: $vgpr1
.LBB55_965:
	s_delay_alu instid0(SALU_CYCLE_1)
	s_and_not1_b32 vcc_lo, exec_lo, s27
	s_cbranch_vccnz .LBB55_967
; %bb.966:
	s_wait_loadcnt 0x0
	global_load_b32 v1, v[6:7], off
.LBB55_967:
	s_mov_b32 s27, 0
.LBB55_968:
	s_delay_alu instid0(SALU_CYCLE_1)
	s_and_not1_b32 vcc_lo, exec_lo, s27
	s_cbranch_vccnz .LBB55_970
; %bb.969:
	s_wait_loadcnt 0x0
	global_load_i16 v1, v[6:7], off
.LBB55_970:
	s_mov_b32 s27, 0
.LBB55_971:
	s_delay_alu instid0(SALU_CYCLE_1)
	s_and_not1_b32 vcc_lo, exec_lo, s27
	s_cbranch_vccnz .LBB55_977
; %bb.972:
	s_cmp_gt_i32 s0, 0
	s_mov_b32 s0, 0
	s_cbranch_scc0 .LBB55_974
; %bb.973:
	s_wait_loadcnt 0x0
	global_load_i8 v1, v[6:7], off
	s_branch .LBB55_975
.LBB55_974:
	s_mov_b32 s0, -1
                                        ; implicit-def: $vgpr1
.LBB55_975:
	s_delay_alu instid0(SALU_CYCLE_1)
	s_and_not1_b32 vcc_lo, exec_lo, s0
	s_cbranch_vccnz .LBB55_977
; %bb.976:
	s_wait_loadcnt 0x0
	global_load_u8 v1, v[6:7], off
.LBB55_977:
	s_mov_b32 s28, -1
.LBB55_978:
	s_mov_b32 s27, 0
	s_mov_b32 s0, s48
	s_and_not1_b32 vcc_lo, exec_lo, s28
	s_mov_b32 s28, s49
	s_mov_b32 s29, 0
	s_cbranch_vccnz .LBB55_1229
; %bb.979:
	v_mov_b32_e32 v5, 0
	s_and_b32 s0, 0xffff, s9
	s_delay_alu instid0(SALU_CYCLE_1) | instskip(NEXT) | instid1(VALU_DEP_1)
	s_cmp_lt_i32 s0, 11
	v_add_nc_u64_e32 v[4:5], s[6:7], v[4:5]
	s_cbranch_scc1 .LBB55_986
; %bb.980:
	s_cmp_gt_i32 s0, 25
	s_cbranch_scc0 .LBB55_987
; %bb.981:
	s_cmp_gt_i32 s0, 28
	s_cbranch_scc0 .LBB55_988
	;; [unrolled: 3-line block ×4, first 2 shown]
; %bb.984:
	s_cmp_eq_u32 s0, 46
	s_mov_b32 s53, 0
	s_cbranch_scc0 .LBB55_993
; %bb.985:
	global_load_b32 v3, v[4:5], off
	s_mov_b32 s29, -1
	s_mov_b32 s28, 0
	s_wait_loadcnt 0x0
	v_lshlrev_b32_e32 v3, 16, v3
	s_wait_xcnt 0x1
	s_delay_alu instid0(VALU_DEP_1)
	v_cvt_i32_f32_e32 v6, v3
	s_branch .LBB55_995
.LBB55_986:
	s_mov_b32 s53, -1
	s_mov_b32 s28, s49
                                        ; implicit-def: $vgpr6
	s_branch .LBB55_1056
.LBB55_987:
	s_mov_b32 s53, -1
	s_mov_b32 s28, s49
                                        ; implicit-def: $vgpr6
	s_branch .LBB55_1022
.LBB55_988:
	s_mov_b32 s53, -1
	s_mov_b32 s28, s49
                                        ; implicit-def: $vgpr6
	s_branch .LBB55_1005
.LBB55_989:
	s_mov_b32 s53, -1
	s_mov_b32 s28, s49
                                        ; implicit-def: $vgpr6
	s_branch .LBB55_1000
.LBB55_990:
	s_mov_b32 s53, -1
	s_mov_b32 s28, s49
	s_branch .LBB55_994
.LBB55_991:
	s_and_not1_saveexec_b32 s50, s50
	s_cbranch_execz .LBB55_739
.LBB55_992:
	v_add_f32_e64 v5, 0x42800000, |v1|
	s_and_not1_b32 s49, s49, exec_lo
	s_delay_alu instid0(VALU_DEP_1) | instskip(NEXT) | instid1(VALU_DEP_1)
	v_and_b32_e32 v5, 0xff, v5
	v_cmp_ne_u32_e32 vcc_lo, 0, v5
	s_and_b32 s52, vcc_lo, exec_lo
	s_delay_alu instid0(SALU_CYCLE_1)
	s_or_b32 s49, s49, s52
	s_or_b32 exec_lo, exec_lo, s50
	v_mov_b32_e32 v6, 0
	s_and_saveexec_b32 s50, s49
	s_cbranch_execnz .LBB55_740
	s_branch .LBB55_741
.LBB55_993:
	s_mov_b32 s28, -1
.LBB55_994:
                                        ; implicit-def: $vgpr6
.LBB55_995:
	s_and_b32 vcc_lo, exec_lo, s53
	s_cbranch_vccz .LBB55_999
; %bb.996:
	s_cmp_eq_u32 s0, 44
	s_cbranch_scc0 .LBB55_998
; %bb.997:
	global_load_u8 v3, v[4:5], off
	s_mov_b32 s28, 0
	s_mov_b32 s29, -1
	s_wait_loadcnt 0x0
	s_wait_xcnt 0x1
	v_lshlrev_b32_e32 v6, 23, v3
	v_cmp_ne_u32_e32 vcc_lo, 0, v3
	s_delay_alu instid0(VALU_DEP_2) | instskip(NEXT) | instid1(VALU_DEP_1)
	v_cvt_i32_f32_e32 v6, v6
	v_cndmask_b32_e32 v6, 0, v6, vcc_lo
	s_branch .LBB55_999
.LBB55_998:
	s_mov_b32 s28, -1
                                        ; implicit-def: $vgpr6
.LBB55_999:
	s_mov_b32 s53, 0
.LBB55_1000:
	s_delay_alu instid0(SALU_CYCLE_1)
	s_and_b32 vcc_lo, exec_lo, s53
	s_cbranch_vccz .LBB55_1004
; %bb.1001:
	s_cmp_eq_u32 s0, 29
	s_cbranch_scc0 .LBB55_1003
; %bb.1002:
	global_load_b32 v6, v[4:5], off
	s_mov_b32 s29, -1
	s_mov_b32 s28, 0
	s_branch .LBB55_1004
.LBB55_1003:
	s_mov_b32 s28, -1
                                        ; implicit-def: $vgpr6
.LBB55_1004:
	s_mov_b32 s53, 0
.LBB55_1005:
	s_delay_alu instid0(SALU_CYCLE_1)
	s_and_b32 vcc_lo, exec_lo, s53
	s_cbranch_vccz .LBB55_1021
; %bb.1006:
	s_cmp_lt_i32 s0, 27
	s_cbranch_scc1 .LBB55_1009
; %bb.1007:
	s_cmp_gt_i32 s0, 27
	s_cbranch_scc0 .LBB55_1010
; %bb.1008:
	s_wait_loadcnt 0x0
	global_load_b32 v6, v[4:5], off
	s_mov_b32 s29, 0
	s_branch .LBB55_1011
.LBB55_1009:
	s_mov_b32 s29, -1
                                        ; implicit-def: $vgpr6
	s_branch .LBB55_1014
.LBB55_1010:
	s_mov_b32 s29, -1
                                        ; implicit-def: $vgpr6
.LBB55_1011:
	s_delay_alu instid0(SALU_CYCLE_1)
	s_and_not1_b32 vcc_lo, exec_lo, s29
	s_cbranch_vccnz .LBB55_1013
; %bb.1012:
	s_wait_loadcnt 0x0
	global_load_u16 v6, v[4:5], off
.LBB55_1013:
	s_mov_b32 s29, 0
.LBB55_1014:
	s_delay_alu instid0(SALU_CYCLE_1)
	s_and_not1_b32 vcc_lo, exec_lo, s29
	s_cbranch_vccnz .LBB55_1020
; %bb.1015:
	global_load_u8 v3, v[4:5], off
	s_mov_b32 s53, 0
	s_mov_b32 s29, exec_lo
	s_wait_loadcnt 0x0
	v_cmpx_lt_i16_e32 0x7f, v3
	s_xor_b32 s29, exec_lo, s29
	s_cbranch_execz .LBB55_1032
; %bb.1016:
	v_cmp_ne_u16_e32 vcc_lo, 0x80, v3
	s_and_b32 s53, vcc_lo, exec_lo
	s_and_not1_saveexec_b32 s29, s29
	s_cbranch_execnz .LBB55_1033
.LBB55_1017:
	s_or_b32 exec_lo, exec_lo, s29
	v_mov_b32_e32 v6, 0
	s_and_saveexec_b32 s29, s53
	s_cbranch_execz .LBB55_1019
.LBB55_1018:
	v_and_b32_e32 v6, 0xffff, v3
	s_delay_alu instid0(VALU_DEP_1) | instskip(SKIP_1) | instid1(VALU_DEP_2)
	v_and_b32_e32 v7, 7, v6
	v_bfe_u32 v10, v6, 3, 4
	v_clz_i32_u32_e32 v8, v7
	s_delay_alu instid0(VALU_DEP_2) | instskip(NEXT) | instid1(VALU_DEP_2)
	v_cmp_eq_u32_e32 vcc_lo, 0, v10
	v_min_u32_e32 v8, 32, v8
	s_delay_alu instid0(VALU_DEP_1) | instskip(NEXT) | instid1(VALU_DEP_1)
	v_subrev_nc_u32_e32 v9, 28, v8
	v_dual_lshlrev_b32 v6, v9, v6 :: v_dual_sub_nc_u32 v8, 29, v8
	s_delay_alu instid0(VALU_DEP_1) | instskip(NEXT) | instid1(VALU_DEP_1)
	v_dual_lshlrev_b32 v3, 24, v3 :: v_dual_bitop2_b32 v6, 7, v6 bitop3:0x40
	v_dual_cndmask_b32 v8, v10, v8, vcc_lo :: v_dual_cndmask_b32 v6, v7, v6, vcc_lo
	s_delay_alu instid0(VALU_DEP_2) | instskip(NEXT) | instid1(VALU_DEP_2)
	v_and_b32_e32 v3, 0x80000000, v3
	v_lshl_add_u32 v7, v8, 23, 0x3b800000
	s_delay_alu instid0(VALU_DEP_3) | instskip(NEXT) | instid1(VALU_DEP_1)
	v_lshlrev_b32_e32 v6, 20, v6
	v_or3_b32 v3, v3, v7, v6
	s_delay_alu instid0(VALU_DEP_1)
	v_cvt_i32_f32_e32 v6, v3
.LBB55_1019:
	s_or_b32 exec_lo, exec_lo, s29
.LBB55_1020:
	s_mov_b32 s29, -1
.LBB55_1021:
	s_mov_b32 s53, 0
.LBB55_1022:
	s_delay_alu instid0(SALU_CYCLE_1)
	s_and_b32 vcc_lo, exec_lo, s53
	s_cbranch_vccz .LBB55_1055
; %bb.1023:
	s_cmp_gt_i32 s0, 22
	s_cbranch_scc0 .LBB55_1031
; %bb.1024:
	s_cmp_lt_i32 s0, 24
	s_cbranch_scc1 .LBB55_1034
; %bb.1025:
	s_cmp_gt_i32 s0, 24
	s_cbranch_scc0 .LBB55_1035
; %bb.1026:
	global_load_u8 v3, v[4:5], off
	s_mov_b32 s53, 0
	s_mov_b32 s29, exec_lo
	s_wait_loadcnt 0x0
	v_cmpx_lt_i16_e32 0x7f, v3
	s_xor_b32 s29, exec_lo, s29
	s_cbranch_execz .LBB55_1047
; %bb.1027:
	v_cmp_ne_u16_e32 vcc_lo, 0x80, v3
	s_and_b32 s53, vcc_lo, exec_lo
	s_and_not1_saveexec_b32 s29, s29
	s_cbranch_execnz .LBB55_1048
.LBB55_1028:
	s_or_b32 exec_lo, exec_lo, s29
	v_mov_b32_e32 v6, 0
	s_and_saveexec_b32 s29, s53
	s_cbranch_execz .LBB55_1030
.LBB55_1029:
	v_and_b32_e32 v6, 0xffff, v3
	s_delay_alu instid0(VALU_DEP_1) | instskip(SKIP_1) | instid1(VALU_DEP_2)
	v_and_b32_e32 v7, 3, v6
	v_bfe_u32 v10, v6, 2, 5
	v_clz_i32_u32_e32 v8, v7
	s_delay_alu instid0(VALU_DEP_2) | instskip(NEXT) | instid1(VALU_DEP_2)
	v_cmp_eq_u32_e32 vcc_lo, 0, v10
	v_min_u32_e32 v8, 32, v8
	s_delay_alu instid0(VALU_DEP_1) | instskip(NEXT) | instid1(VALU_DEP_1)
	v_subrev_nc_u32_e32 v9, 29, v8
	v_dual_lshlrev_b32 v6, v9, v6 :: v_dual_sub_nc_u32 v8, 30, v8
	s_delay_alu instid0(VALU_DEP_1) | instskip(NEXT) | instid1(VALU_DEP_1)
	v_dual_lshlrev_b32 v3, 24, v3 :: v_dual_bitop2_b32 v6, 3, v6 bitop3:0x40
	v_dual_cndmask_b32 v8, v10, v8, vcc_lo :: v_dual_cndmask_b32 v6, v7, v6, vcc_lo
	s_delay_alu instid0(VALU_DEP_2) | instskip(NEXT) | instid1(VALU_DEP_2)
	v_and_b32_e32 v3, 0x80000000, v3
	v_lshl_add_u32 v7, v8, 23, 0x37800000
	s_delay_alu instid0(VALU_DEP_3) | instskip(NEXT) | instid1(VALU_DEP_1)
	v_lshlrev_b32_e32 v6, 21, v6
	v_or3_b32 v3, v3, v7, v6
	s_delay_alu instid0(VALU_DEP_1)
	v_cvt_i32_f32_e32 v6, v3
.LBB55_1030:
	s_or_b32 exec_lo, exec_lo, s29
	s_mov_b32 s29, 0
	s_branch .LBB55_1036
.LBB55_1031:
	s_mov_b32 s53, -1
                                        ; implicit-def: $vgpr6
	s_branch .LBB55_1042
.LBB55_1032:
	s_and_not1_saveexec_b32 s29, s29
	s_cbranch_execz .LBB55_1017
.LBB55_1033:
	v_cmp_ne_u16_e32 vcc_lo, 0, v3
	s_and_not1_b32 s53, s53, exec_lo
	s_and_b32 s54, vcc_lo, exec_lo
	s_delay_alu instid0(SALU_CYCLE_1)
	s_or_b32 s53, s53, s54
	s_or_b32 exec_lo, exec_lo, s29
	v_mov_b32_e32 v6, 0
	s_and_saveexec_b32 s29, s53
	s_cbranch_execnz .LBB55_1018
	s_branch .LBB55_1019
.LBB55_1034:
	s_mov_b32 s29, -1
                                        ; implicit-def: $vgpr6
	s_branch .LBB55_1039
.LBB55_1035:
	s_mov_b32 s29, -1
                                        ; implicit-def: $vgpr6
.LBB55_1036:
	s_delay_alu instid0(SALU_CYCLE_1)
	s_and_b32 vcc_lo, exec_lo, s29
	s_cbranch_vccz .LBB55_1038
; %bb.1037:
	global_load_u8 v3, v[4:5], off
	s_wait_loadcnt 0x0
	v_lshlrev_b32_e32 v3, 24, v3
	s_wait_xcnt 0x1
	s_delay_alu instid0(VALU_DEP_1) | instskip(NEXT) | instid1(VALU_DEP_1)
	v_and_b32_e32 v6, 0x7f000000, v3
	v_clz_i32_u32_e32 v7, v6
	v_cmp_ne_u32_e32 vcc_lo, 0, v6
	v_add_nc_u32_e32 v9, 0x1000000, v6
	s_delay_alu instid0(VALU_DEP_3) | instskip(NEXT) | instid1(VALU_DEP_1)
	v_min_u32_e32 v7, 32, v7
	v_sub_nc_u32_e64 v7, v7, 4 clamp
	s_delay_alu instid0(VALU_DEP_1) | instskip(NEXT) | instid1(VALU_DEP_1)
	v_dual_lshlrev_b32 v8, v7, v6 :: v_dual_lshlrev_b32 v7, 23, v7
	v_lshrrev_b32_e32 v8, 4, v8
	s_delay_alu instid0(VALU_DEP_1) | instskip(NEXT) | instid1(VALU_DEP_1)
	v_dual_sub_nc_u32 v7, v8, v7 :: v_dual_ashrrev_i32 v8, 8, v9
	v_add_nc_u32_e32 v7, 0x3c000000, v7
	s_delay_alu instid0(VALU_DEP_1) | instskip(NEXT) | instid1(VALU_DEP_1)
	v_and_or_b32 v7, 0x7f800000, v8, v7
	v_cndmask_b32_e32 v6, 0, v7, vcc_lo
	s_delay_alu instid0(VALU_DEP_1) | instskip(NEXT) | instid1(VALU_DEP_1)
	v_and_or_b32 v3, 0x80000000, v3, v6
	v_cvt_i32_f32_e32 v6, v3
.LBB55_1038:
	s_mov_b32 s29, 0
.LBB55_1039:
	s_delay_alu instid0(SALU_CYCLE_1)
	s_and_not1_b32 vcc_lo, exec_lo, s29
	s_cbranch_vccnz .LBB55_1041
; %bb.1040:
	global_load_u8 v3, v[4:5], off
	s_wait_loadcnt 0x0
	s_wait_xcnt 0x1
	v_lshlrev_b32_e32 v6, 25, v3
	v_lshlrev_b16 v3, 8, v3
	s_delay_alu instid0(VALU_DEP_1) | instskip(SKIP_1) | instid1(VALU_DEP_2)
	v_and_or_b32 v8, 0x7f00, v3, 0.5
	v_bfe_i32 v3, v3, 0, 16
	v_dual_add_f32 v8, -0.5, v8 :: v_dual_lshrrev_b32 v7, 4, v6
	v_cmp_gt_u32_e32 vcc_lo, 0x8000000, v6
	s_delay_alu instid0(VALU_DEP_2) | instskip(NEXT) | instid1(VALU_DEP_1)
	v_or_b32_e32 v7, 0x70000000, v7
	v_mul_f32_e32 v7, 0x7800000, v7
	s_delay_alu instid0(VALU_DEP_1) | instskip(NEXT) | instid1(VALU_DEP_1)
	v_cndmask_b32_e32 v6, v7, v8, vcc_lo
	v_and_or_b32 v3, 0x80000000, v3, v6
	s_delay_alu instid0(VALU_DEP_1)
	v_cvt_i32_f32_e32 v6, v3
.LBB55_1041:
	s_mov_b32 s53, 0
	s_mov_b32 s29, -1
.LBB55_1042:
	s_and_not1_b32 vcc_lo, exec_lo, s53
	s_cbranch_vccnz .LBB55_1055
; %bb.1043:
	s_cmp_gt_i32 s0, 14
	s_cbranch_scc0 .LBB55_1046
; %bb.1044:
	s_cmp_eq_u32 s0, 15
	s_cbranch_scc0 .LBB55_1049
; %bb.1045:
	global_load_u16 v3, v[4:5], off
	s_mov_b32 s29, -1
	s_mov_b32 s28, 0
	s_wait_loadcnt 0x0
	v_lshlrev_b32_e32 v3, 16, v3
	s_wait_xcnt 0x1
	s_delay_alu instid0(VALU_DEP_1)
	v_cvt_i32_f32_e32 v6, v3
	s_branch .LBB55_1050
.LBB55_1046:
	s_mov_b32 s53, -1
                                        ; implicit-def: $vgpr6
	s_branch .LBB55_1051
.LBB55_1047:
	s_and_not1_saveexec_b32 s29, s29
	s_cbranch_execz .LBB55_1028
.LBB55_1048:
	v_cmp_ne_u16_e32 vcc_lo, 0, v3
	s_and_not1_b32 s53, s53, exec_lo
	s_and_b32 s54, vcc_lo, exec_lo
	s_delay_alu instid0(SALU_CYCLE_1)
	s_or_b32 s53, s53, s54
	s_or_b32 exec_lo, exec_lo, s29
	v_mov_b32_e32 v6, 0
	s_and_saveexec_b32 s29, s53
	s_cbranch_execnz .LBB55_1029
	s_branch .LBB55_1030
.LBB55_1049:
	s_mov_b32 s28, -1
                                        ; implicit-def: $vgpr6
.LBB55_1050:
	s_mov_b32 s53, 0
.LBB55_1051:
	s_delay_alu instid0(SALU_CYCLE_1)
	s_and_b32 vcc_lo, exec_lo, s53
	s_cbranch_vccz .LBB55_1055
; %bb.1052:
	s_cmp_eq_u32 s0, 11
	s_cbranch_scc0 .LBB55_1054
; %bb.1053:
	global_load_u8 v3, v[4:5], off
	s_mov_b32 s28, 0
	s_mov_b32 s29, -1
	s_wait_loadcnt 0x0
	v_cmp_ne_u16_e32 vcc_lo, 0, v3
	s_wait_xcnt 0x1
	v_cndmask_b32_e64 v6, 0, 1, vcc_lo
	s_branch .LBB55_1055
.LBB55_1054:
	s_mov_b32 s28, -1
                                        ; implicit-def: $vgpr6
.LBB55_1055:
	s_mov_b32 s53, 0
.LBB55_1056:
	s_delay_alu instid0(SALU_CYCLE_1)
	s_and_b32 vcc_lo, exec_lo, s53
	s_cbranch_vccz .LBB55_1105
; %bb.1057:
	s_cmp_lt_i32 s0, 5
	s_cbranch_scc1 .LBB55_1062
; %bb.1058:
	s_cmp_lt_i32 s0, 8
	s_cbranch_scc1 .LBB55_1063
; %bb.1059:
	s_cmp_lt_i32 s0, 9
	s_cbranch_scc1 .LBB55_1064
; %bb.1060:
	s_cmp_gt_i32 s0, 9
	s_cbranch_scc0 .LBB55_1065
; %bb.1061:
	s_wait_loadcnt 0x0
	global_load_b64 v[6:7], v[4:5], off
	s_mov_b32 s29, 0
	s_wait_loadcnt 0x0
	v_cvt_i32_f64_e32 v6, v[6:7]
	s_branch .LBB55_1066
.LBB55_1062:
	s_mov_b32 s29, -1
                                        ; implicit-def: $vgpr6
	s_branch .LBB55_1084
.LBB55_1063:
	s_mov_b32 s29, -1
                                        ; implicit-def: $vgpr6
	s_branch .LBB55_1072
.LBB55_1064:
	s_mov_b32 s29, -1
                                        ; implicit-def: $vgpr6
	s_branch .LBB55_1069
.LBB55_1065:
	s_mov_b32 s29, -1
                                        ; implicit-def: $vgpr6
.LBB55_1066:
	s_delay_alu instid0(SALU_CYCLE_1)
	s_and_not1_b32 vcc_lo, exec_lo, s29
	s_cbranch_vccnz .LBB55_1068
; %bb.1067:
	global_load_b32 v3, v[4:5], off
	s_wait_loadcnt 0x0
	s_wait_xcnt 0x1
	v_cvt_i32_f32_e32 v6, v3
.LBB55_1068:
	s_mov_b32 s29, 0
.LBB55_1069:
	s_delay_alu instid0(SALU_CYCLE_1)
	s_and_not1_b32 vcc_lo, exec_lo, s29
	s_cbranch_vccnz .LBB55_1071
; %bb.1070:
	global_load_b32 v3, v[4:5], off
	s_wait_loadcnt 0x0
	v_cvt_f32_f16_e32 v3, v3
	s_wait_xcnt 0x1
	s_delay_alu instid0(VALU_DEP_1)
	v_cvt_i32_f32_e32 v6, v3
.LBB55_1071:
	s_mov_b32 s29, 0
.LBB55_1072:
	s_delay_alu instid0(SALU_CYCLE_1)
	s_and_not1_b32 vcc_lo, exec_lo, s29
	s_cbranch_vccnz .LBB55_1083
; %bb.1073:
	s_cmp_lt_i32 s0, 6
	s_cbranch_scc1 .LBB55_1076
; %bb.1074:
	s_cmp_gt_i32 s0, 6
	s_cbranch_scc0 .LBB55_1077
; %bb.1075:
	s_wait_loadcnt 0x0
	global_load_b64 v[6:7], v[4:5], off
	s_mov_b32 s29, 0
	s_wait_loadcnt 0x0
	v_cvt_i32_f64_e32 v6, v[6:7]
	s_branch .LBB55_1078
.LBB55_1076:
	s_mov_b32 s29, -1
                                        ; implicit-def: $vgpr6
	s_branch .LBB55_1081
.LBB55_1077:
	s_mov_b32 s29, -1
                                        ; implicit-def: $vgpr6
.LBB55_1078:
	s_delay_alu instid0(SALU_CYCLE_1)
	s_and_not1_b32 vcc_lo, exec_lo, s29
	s_cbranch_vccnz .LBB55_1080
; %bb.1079:
	global_load_b32 v3, v[4:5], off
	s_wait_loadcnt 0x0
	s_wait_xcnt 0x1
	v_cvt_i32_f32_e32 v6, v3
.LBB55_1080:
	s_mov_b32 s29, 0
.LBB55_1081:
	s_delay_alu instid0(SALU_CYCLE_1)
	s_and_not1_b32 vcc_lo, exec_lo, s29
	s_cbranch_vccnz .LBB55_1083
; %bb.1082:
	global_load_u16 v3, v[4:5], off
	s_wait_loadcnt 0x0
	v_cvt_f32_f16_e32 v3, v3
	s_wait_xcnt 0x1
	s_delay_alu instid0(VALU_DEP_1)
	v_cvt_i32_f32_e32 v6, v3
.LBB55_1083:
	s_mov_b32 s29, 0
.LBB55_1084:
	s_delay_alu instid0(SALU_CYCLE_1)
	s_and_not1_b32 vcc_lo, exec_lo, s29
	s_cbranch_vccnz .LBB55_1104
; %bb.1085:
	s_cmp_lt_i32 s0, 2
	s_cbranch_scc1 .LBB55_1089
; %bb.1086:
	s_cmp_lt_i32 s0, 3
	s_cbranch_scc1 .LBB55_1090
; %bb.1087:
	s_cmp_gt_i32 s0, 3
	s_cbranch_scc0 .LBB55_1091
; %bb.1088:
	s_wait_loadcnt 0x0
	global_load_b32 v6, v[4:5], off
	s_mov_b32 s29, 0
	s_branch .LBB55_1092
.LBB55_1089:
	s_mov_b32 s29, -1
                                        ; implicit-def: $vgpr6
	s_branch .LBB55_1098
.LBB55_1090:
	s_mov_b32 s29, -1
                                        ; implicit-def: $vgpr6
	s_branch .LBB55_1095
.LBB55_1091:
	s_mov_b32 s29, -1
                                        ; implicit-def: $vgpr6
.LBB55_1092:
	s_delay_alu instid0(SALU_CYCLE_1)
	s_and_not1_b32 vcc_lo, exec_lo, s29
	s_cbranch_vccnz .LBB55_1094
; %bb.1093:
	s_wait_loadcnt 0x0
	global_load_b32 v6, v[4:5], off
.LBB55_1094:
	s_mov_b32 s29, 0
.LBB55_1095:
	s_delay_alu instid0(SALU_CYCLE_1)
	s_and_not1_b32 vcc_lo, exec_lo, s29
	s_cbranch_vccnz .LBB55_1097
; %bb.1096:
	s_wait_loadcnt 0x0
	global_load_i16 v6, v[4:5], off
.LBB55_1097:
	s_mov_b32 s29, 0
.LBB55_1098:
	s_delay_alu instid0(SALU_CYCLE_1)
	s_and_not1_b32 vcc_lo, exec_lo, s29
	s_cbranch_vccnz .LBB55_1104
; %bb.1099:
	s_cmp_gt_i32 s0, 0
	s_mov_b32 s0, 0
	s_cbranch_scc0 .LBB55_1101
; %bb.1100:
	s_wait_loadcnt 0x0
	global_load_i8 v6, v[4:5], off
	s_branch .LBB55_1102
.LBB55_1101:
	s_mov_b32 s0, -1
                                        ; implicit-def: $vgpr6
.LBB55_1102:
	s_delay_alu instid0(SALU_CYCLE_1)
	s_and_not1_b32 vcc_lo, exec_lo, s0
	s_cbranch_vccnz .LBB55_1104
; %bb.1103:
	s_wait_loadcnt 0x0
	global_load_u8 v6, v[4:5], off
.LBB55_1104:
	s_mov_b32 s29, -1
.LBB55_1105:
	s_delay_alu instid0(SALU_CYCLE_1)
	s_and_not1_b32 vcc_lo, exec_lo, s29
	s_cbranch_vccnz .LBB55_1113
; %bb.1106:
	s_wait_loadcnt 0x0
	s_delay_alu instid0(VALU_DEP_3) | instskip(SKIP_2) | instid1(SALU_CYCLE_1)
	v_mul_lo_u32 v1, v1, s16
	v_mov_b32_e32 v3, 0
	s_and_b32 s29, s17, 0xff
	s_cmp_lt_i32 s29, 11
	s_delay_alu instid0(VALU_DEP_1) | instskip(SKIP_1) | instid1(VALU_DEP_3)
	v_add_nc_u64_e32 v[2:3], s[18:19], v[2:3]
	s_wait_xcnt 0x0
	v_mul_lo_u32 v4, v1, v6
	s_cbranch_scc1 .LBB55_1114
; %bb.1107:
	s_and_b32 s53, 0xffff, s29
	s_delay_alu instid0(SALU_CYCLE_1)
	s_cmp_gt_i32 s53, 25
	s_cbranch_scc0 .LBB55_1115
; %bb.1108:
	s_cmp_gt_i32 s53, 28
	s_cbranch_scc0 .LBB55_1116
; %bb.1109:
	;; [unrolled: 3-line block ×4, first 2 shown]
	s_mov_b32 s55, 0
	s_mov_b32 s0, -1
	s_cmp_eq_u32 s53, 46
	s_mov_b32 s54, 0
	s_cbranch_scc0 .LBB55_1119
; %bb.1112:
	v_cvt_f32_i32_e32 v1, v4
	s_mov_b32 s54, -1
	s_mov_b32 s0, 0
	s_delay_alu instid0(VALU_DEP_1) | instskip(NEXT) | instid1(VALU_DEP_1)
	v_bfe_u32 v5, v1, 16, 1
	v_add3_u32 v1, v1, v5, 0x7fff
	s_delay_alu instid0(VALU_DEP_1)
	v_lshrrev_b32_e32 v1, 16, v1
	global_store_b32 v[2:3], v1, off
	s_branch .LBB55_1119
.LBB55_1113:
	s_mov_b32 s29, 0
	s_mov_b32 s0, s48
	s_branch .LBB55_858
.LBB55_1114:
	s_mov_b32 s53, -1
	s_mov_b32 s54, 0
	s_mov_b32 s0, s48
	s_branch .LBB55_1188
.LBB55_1115:
	s_mov_b32 s55, -1
	s_mov_b32 s54, 0
	s_mov_b32 s0, s48
	s_branch .LBB55_1146
.LBB55_1116:
	s_mov_b32 s55, -1
	s_mov_b32 s54, 0
	s_mov_b32 s0, s48
	s_branch .LBB55_1129
.LBB55_1117:
	s_mov_b32 s55, -1
	s_mov_b32 s54, 0
	s_mov_b32 s0, s48
	s_branch .LBB55_1125
.LBB55_1118:
	s_mov_b32 s55, -1
	s_mov_b32 s54, 0
	s_mov_b32 s0, s48
.LBB55_1119:
	s_and_b32 vcc_lo, exec_lo, s55
	s_cbranch_vccz .LBB55_1124
; %bb.1120:
	s_cmp_eq_u32 s53, 44
	s_mov_b32 s0, -1
	s_cbranch_scc0 .LBB55_1124
; %bb.1121:
	s_wait_xcnt 0x0
	v_cvt_f32_i32_e32 v1, v4
	v_mov_b32_e32 v5, 0xff
	s_mov_b32 s54, exec_lo
	s_delay_alu instid0(VALU_DEP_2) | instskip(NEXT) | instid1(VALU_DEP_1)
	v_bfe_u32 v6, v1, 23, 8
	v_cmpx_ne_u32_e32 0xff, v6
	s_cbranch_execz .LBB55_1123
; %bb.1122:
	v_and_b32_e32 v5, 0x400000, v1
	v_and_or_b32 v6, 0x3fffff, v1, v6
	v_lshrrev_b32_e32 v1, 23, v1
	s_delay_alu instid0(VALU_DEP_3) | instskip(NEXT) | instid1(VALU_DEP_3)
	v_cmp_ne_u32_e32 vcc_lo, 0, v5
	v_cmp_ne_u32_e64 s0, 0, v6
	s_and_b32 s0, vcc_lo, s0
	s_delay_alu instid0(SALU_CYCLE_1) | instskip(NEXT) | instid1(VALU_DEP_1)
	v_cndmask_b32_e64 v5, 0, 1, s0
	v_add_nc_u32_e32 v5, v1, v5
.LBB55_1123:
	s_or_b32 exec_lo, exec_lo, s54
	s_mov_b32 s54, -1
	s_mov_b32 s0, 0
	global_store_b8 v[2:3], v5, off
.LBB55_1124:
	s_mov_b32 s55, 0
.LBB55_1125:
	s_delay_alu instid0(SALU_CYCLE_1)
	s_and_b32 vcc_lo, exec_lo, s55
	s_cbranch_vccz .LBB55_1128
; %bb.1126:
	s_cmp_eq_u32 s53, 29
	s_mov_b32 s0, -1
	s_cbranch_scc0 .LBB55_1128
; %bb.1127:
	s_wait_xcnt 0x0
	v_ashrrev_i32_e32 v5, 31, v4
	s_mov_b32 s54, -1
	s_mov_b32 s0, 0
	s_mov_b32 s55, 0
	global_store_b64 v[2:3], v[4:5], off
	s_branch .LBB55_1129
.LBB55_1128:
	s_mov_b32 s55, 0
.LBB55_1129:
	s_delay_alu instid0(SALU_CYCLE_1)
	s_and_b32 vcc_lo, exec_lo, s55
	s_cbranch_vccz .LBB55_1145
; %bb.1130:
	s_cmp_lt_i32 s53, 27
	s_mov_b32 s54, -1
	s_cbranch_scc1 .LBB55_1136
; %bb.1131:
	s_cmp_gt_i32 s53, 27
	s_cbranch_scc0 .LBB55_1133
; %bb.1132:
	s_mov_b32 s54, 0
	global_store_b32 v[2:3], v4, off
.LBB55_1133:
	s_and_not1_b32 vcc_lo, exec_lo, s54
	s_cbranch_vccnz .LBB55_1135
; %bb.1134:
	global_store_b16 v[2:3], v4, off
.LBB55_1135:
	s_mov_b32 s54, 0
.LBB55_1136:
	s_delay_alu instid0(SALU_CYCLE_1)
	s_and_not1_b32 vcc_lo, exec_lo, s54
	s_cbranch_vccnz .LBB55_1144
; %bb.1137:
	s_wait_xcnt 0x0
	v_cvt_f32_i32_e32 v1, v4
	v_mov_b32_e32 v6, 0x80
	s_mov_b32 s54, exec_lo
	s_delay_alu instid0(VALU_DEP_2) | instskip(NEXT) | instid1(VALU_DEP_1)
	v_and_b32_e32 v5, 0x7fffffff, v1
	v_cmpx_gt_u32_e32 0x43800000, v5
	s_cbranch_execz .LBB55_1143
; %bb.1138:
	v_cmp_lt_u32_e32 vcc_lo, 0x3bffffff, v5
	s_mov_b32 s55, 0
                                        ; implicit-def: $vgpr5
	s_and_saveexec_b32 s56, vcc_lo
	s_delay_alu instid0(SALU_CYCLE_1)
	s_xor_b32 s56, exec_lo, s56
	s_cbranch_execz .LBB55_2115
; %bb.1139:
	v_bfe_u32 v5, v1, 20, 1
	s_mov_b32 s55, exec_lo
	s_delay_alu instid0(VALU_DEP_1) | instskip(NEXT) | instid1(VALU_DEP_1)
	v_add3_u32 v5, v1, v5, 0x487ffff
	v_lshrrev_b32_e32 v5, 20, v5
	s_and_not1_saveexec_b32 s56, s56
	s_cbranch_execnz .LBB55_2116
.LBB55_1140:
	s_or_b32 exec_lo, exec_lo, s56
	v_mov_b32_e32 v6, 0
	s_and_saveexec_b32 s56, s55
.LBB55_1141:
	v_lshrrev_b32_e32 v1, 24, v1
	s_delay_alu instid0(VALU_DEP_1)
	v_and_or_b32 v6, 0x80, v1, v5
.LBB55_1142:
	s_or_b32 exec_lo, exec_lo, s56
.LBB55_1143:
	s_delay_alu instid0(SALU_CYCLE_1)
	s_or_b32 exec_lo, exec_lo, s54
	global_store_b8 v[2:3], v6, off
.LBB55_1144:
	s_mov_b32 s54, -1
.LBB55_1145:
	s_mov_b32 s55, 0
.LBB55_1146:
	s_delay_alu instid0(SALU_CYCLE_1)
	s_and_b32 vcc_lo, exec_lo, s55
	s_cbranch_vccz .LBB55_1187
; %bb.1147:
	s_cmp_gt_i32 s53, 22
	s_mov_b32 s55, -1
	s_cbranch_scc0 .LBB55_1179
; %bb.1148:
	s_cmp_lt_i32 s53, 24
	s_mov_b32 s54, -1
	s_cbranch_scc1 .LBB55_1168
; %bb.1149:
	s_cmp_gt_i32 s53, 24
	s_cbranch_scc0 .LBB55_1157
; %bb.1150:
	s_wait_xcnt 0x0
	v_cvt_f32_i32_e32 v1, v4
	v_mov_b32_e32 v6, 0x80
	s_mov_b32 s54, exec_lo
	s_delay_alu instid0(VALU_DEP_2) | instskip(NEXT) | instid1(VALU_DEP_1)
	v_and_b32_e32 v5, 0x7fffffff, v1
	v_cmpx_gt_u32_e32 0x47800000, v5
	s_cbranch_execz .LBB55_1156
; %bb.1151:
	v_cmp_lt_u32_e32 vcc_lo, 0x37ffffff, v5
	s_mov_b32 s55, 0
                                        ; implicit-def: $vgpr5
	s_and_saveexec_b32 s56, vcc_lo
	s_delay_alu instid0(SALU_CYCLE_1)
	s_xor_b32 s56, exec_lo, s56
	s_cbranch_execz .LBB55_2264
; %bb.1152:
	v_bfe_u32 v5, v1, 21, 1
	s_mov_b32 s55, exec_lo
	s_delay_alu instid0(VALU_DEP_1) | instskip(NEXT) | instid1(VALU_DEP_1)
	v_add3_u32 v5, v1, v5, 0x88fffff
	v_lshrrev_b32_e32 v5, 21, v5
	s_and_not1_saveexec_b32 s56, s56
	s_cbranch_execnz .LBB55_2265
.LBB55_1153:
	s_or_b32 exec_lo, exec_lo, s56
	v_mov_b32_e32 v6, 0
	s_and_saveexec_b32 s56, s55
.LBB55_1154:
	v_lshrrev_b32_e32 v1, 24, v1
	s_delay_alu instid0(VALU_DEP_1)
	v_and_or_b32 v6, 0x80, v1, v5
.LBB55_1155:
	s_or_b32 exec_lo, exec_lo, s56
.LBB55_1156:
	s_delay_alu instid0(SALU_CYCLE_1)
	s_or_b32 exec_lo, exec_lo, s54
	s_mov_b32 s54, 0
	global_store_b8 v[2:3], v6, off
.LBB55_1157:
	s_and_b32 vcc_lo, exec_lo, s54
	s_cbranch_vccz .LBB55_1167
; %bb.1158:
	s_wait_xcnt 0x0
	v_cvt_f32_i32_e32 v1, v4
	s_mov_b32 s54, exec_lo
                                        ; implicit-def: $vgpr5
	s_delay_alu instid0(VALU_DEP_1) | instskip(NEXT) | instid1(VALU_DEP_1)
	v_and_b32_e32 v6, 0x7fffffff, v1
	v_cmpx_gt_u32_e32 0x43f00000, v6
	s_xor_b32 s54, exec_lo, s54
	s_cbranch_execz .LBB55_1164
; %bb.1159:
	s_mov_b32 s55, exec_lo
                                        ; implicit-def: $vgpr5
	v_cmpx_lt_u32_e32 0x3c7fffff, v6
	s_xor_b32 s55, exec_lo, s55
; %bb.1160:
	v_bfe_u32 v5, v1, 20, 1
	s_delay_alu instid0(VALU_DEP_1) | instskip(NEXT) | instid1(VALU_DEP_1)
	v_add3_u32 v5, v1, v5, 0x407ffff
	v_and_b32_e32 v6, 0xff00000, v5
	v_lshrrev_b32_e32 v5, 20, v5
	s_delay_alu instid0(VALU_DEP_2) | instskip(NEXT) | instid1(VALU_DEP_2)
	v_cmp_ne_u32_e32 vcc_lo, 0x7f00000, v6
	v_cndmask_b32_e32 v5, 0x7e, v5, vcc_lo
; %bb.1161:
	s_and_not1_saveexec_b32 s55, s55
; %bb.1162:
	v_add_f32_e64 v5, 0x46800000, |v1|
; %bb.1163:
	s_or_b32 exec_lo, exec_lo, s55
                                        ; implicit-def: $vgpr6
.LBB55_1164:
	s_and_not1_saveexec_b32 s54, s54
; %bb.1165:
	v_mov_b32_e32 v5, 0x7f
	v_cmp_lt_u32_e32 vcc_lo, 0x7f800000, v6
	s_delay_alu instid0(VALU_DEP_2)
	v_cndmask_b32_e32 v5, 0x7e, v5, vcc_lo
; %bb.1166:
	s_or_b32 exec_lo, exec_lo, s54
	v_lshrrev_b32_e32 v1, 24, v1
	s_delay_alu instid0(VALU_DEP_1)
	v_and_or_b32 v1, 0x80, v1, v5
	global_store_b8 v[2:3], v1, off
.LBB55_1167:
	s_mov_b32 s54, 0
.LBB55_1168:
	s_delay_alu instid0(SALU_CYCLE_1)
	s_and_not1_b32 vcc_lo, exec_lo, s54
	s_cbranch_vccnz .LBB55_1178
; %bb.1169:
	s_wait_xcnt 0x0
	v_cvt_f32_i32_e32 v1, v4
	s_mov_b32 s54, exec_lo
                                        ; implicit-def: $vgpr5
	s_delay_alu instid0(VALU_DEP_1) | instskip(NEXT) | instid1(VALU_DEP_1)
	v_and_b32_e32 v6, 0x7fffffff, v1
	v_cmpx_gt_u32_e32 0x47800000, v6
	s_xor_b32 s54, exec_lo, s54
	s_cbranch_execz .LBB55_1175
; %bb.1170:
	s_mov_b32 s55, exec_lo
                                        ; implicit-def: $vgpr5
	v_cmpx_lt_u32_e32 0x387fffff, v6
	s_xor_b32 s55, exec_lo, s55
; %bb.1171:
	v_bfe_u32 v5, v1, 21, 1
	s_delay_alu instid0(VALU_DEP_1) | instskip(NEXT) | instid1(VALU_DEP_1)
	v_add3_u32 v5, v1, v5, 0x80fffff
	v_lshrrev_b32_e32 v5, 21, v5
; %bb.1172:
	s_and_not1_saveexec_b32 s55, s55
; %bb.1173:
	v_add_f32_e64 v5, 0x43000000, |v1|
; %bb.1174:
	s_or_b32 exec_lo, exec_lo, s55
                                        ; implicit-def: $vgpr6
.LBB55_1175:
	s_and_not1_saveexec_b32 s54, s54
; %bb.1176:
	v_mov_b32_e32 v5, 0x7f
	v_cmp_lt_u32_e32 vcc_lo, 0x7f800000, v6
	s_delay_alu instid0(VALU_DEP_2)
	v_cndmask_b32_e32 v5, 0x7c, v5, vcc_lo
; %bb.1177:
	s_or_b32 exec_lo, exec_lo, s54
	v_lshrrev_b32_e32 v1, 24, v1
	s_delay_alu instid0(VALU_DEP_1)
	v_and_or_b32 v1, 0x80, v1, v5
	global_store_b8 v[2:3], v1, off
.LBB55_1178:
	s_mov_b32 s55, 0
	s_mov_b32 s54, -1
.LBB55_1179:
	s_and_not1_b32 vcc_lo, exec_lo, s55
	s_cbranch_vccnz .LBB55_1187
; %bb.1180:
	s_cmp_gt_i32 s53, 14
	s_mov_b32 s55, -1
	s_cbranch_scc0 .LBB55_1184
; %bb.1181:
	s_cmp_eq_u32 s53, 15
	s_mov_b32 s0, -1
	s_cbranch_scc0 .LBB55_1183
; %bb.1182:
	s_wait_xcnt 0x0
	v_cvt_f32_i32_e32 v1, v4
	s_mov_b32 s54, -1
	s_mov_b32 s0, 0
	s_delay_alu instid0(VALU_DEP_1) | instskip(NEXT) | instid1(VALU_DEP_1)
	v_bfe_u32 v5, v1, 16, 1
	v_add3_u32 v1, v1, v5, 0x7fff
	global_store_d16_hi_b16 v[2:3], v1, off
.LBB55_1183:
	s_mov_b32 s55, 0
.LBB55_1184:
	s_delay_alu instid0(SALU_CYCLE_1)
	s_and_b32 vcc_lo, exec_lo, s55
	s_cbranch_vccz .LBB55_1187
; %bb.1185:
	s_cmp_eq_u32 s53, 11
	s_mov_b32 s0, -1
	s_cbranch_scc0 .LBB55_1187
; %bb.1186:
	v_cmp_ne_u32_e32 vcc_lo, 0, v4
	s_mov_b32 s0, 0
	s_mov_b32 s54, -1
	s_wait_xcnt 0x0
	v_cndmask_b32_e64 v1, 0, 1, vcc_lo
	global_store_b8 v[2:3], v1, off
.LBB55_1187:
	s_mov_b32 s53, 0
.LBB55_1188:
	s_delay_alu instid0(SALU_CYCLE_1)
	s_and_b32 vcc_lo, exec_lo, s53
	s_cbranch_vccz .LBB55_1227
; %bb.1189:
	s_and_b32 s29, 0xffff, s29
	s_mov_b32 s53, -1
	s_cmp_lt_i32 s29, 5
	s_cbranch_scc1 .LBB55_1210
; %bb.1190:
	s_cmp_lt_i32 s29, 8
	s_cbranch_scc1 .LBB55_1200
; %bb.1191:
	;; [unrolled: 3-line block ×3, first 2 shown]
	s_cmp_gt_i32 s29, 9
	s_cbranch_scc0 .LBB55_1194
; %bb.1193:
	s_wait_xcnt 0x0
	v_cvt_f64_i32_e32 v[6:7], v4
	v_mov_b32_e32 v8, 0
	s_mov_b32 s53, 0
	s_delay_alu instid0(VALU_DEP_1)
	v_mov_b32_e32 v9, v8
	global_store_b128 v[2:3], v[6:9], off
.LBB55_1194:
	s_and_not1_b32 vcc_lo, exec_lo, s53
	s_cbranch_vccnz .LBB55_1196
; %bb.1195:
	s_wait_xcnt 0x0
	v_cvt_f32_i32_e32 v6, v4
	v_mov_b32_e32 v7, 0
	global_store_b64 v[2:3], v[6:7], off
.LBB55_1196:
	s_mov_b32 s53, 0
.LBB55_1197:
	s_delay_alu instid0(SALU_CYCLE_1)
	s_and_not1_b32 vcc_lo, exec_lo, s53
	s_cbranch_vccnz .LBB55_1199
; %bb.1198:
	s_wait_xcnt 0x0
	v_cvt_f32_i32_e32 v1, v4
	s_delay_alu instid0(VALU_DEP_1) | instskip(NEXT) | instid1(VALU_DEP_1)
	v_cvt_f16_f32_e32 v1, v1
	v_and_b32_e32 v1, 0xffff, v1
	global_store_b32 v[2:3], v1, off
.LBB55_1199:
	s_mov_b32 s53, 0
.LBB55_1200:
	s_delay_alu instid0(SALU_CYCLE_1)
	s_and_not1_b32 vcc_lo, exec_lo, s53
	s_cbranch_vccnz .LBB55_1209
; %bb.1201:
	s_cmp_lt_i32 s29, 6
	s_mov_b32 s53, -1
	s_cbranch_scc1 .LBB55_1207
; %bb.1202:
	s_cmp_gt_i32 s29, 6
	s_cbranch_scc0 .LBB55_1204
; %bb.1203:
	s_wait_xcnt 0x0
	v_cvt_f64_i32_e32 v[6:7], v4
	s_mov_b32 s53, 0
	global_store_b64 v[2:3], v[6:7], off
.LBB55_1204:
	s_and_not1_b32 vcc_lo, exec_lo, s53
	s_cbranch_vccnz .LBB55_1206
; %bb.1205:
	s_wait_xcnt 0x0
	v_cvt_f32_i32_e32 v1, v4
	global_store_b32 v[2:3], v1, off
.LBB55_1206:
	s_mov_b32 s53, 0
.LBB55_1207:
	s_delay_alu instid0(SALU_CYCLE_1)
	s_and_not1_b32 vcc_lo, exec_lo, s53
	s_cbranch_vccnz .LBB55_1209
; %bb.1208:
	s_wait_xcnt 0x0
	v_cvt_f32_i32_e32 v1, v4
	s_delay_alu instid0(VALU_DEP_1)
	v_cvt_f16_f32_e32 v1, v1
	global_store_b16 v[2:3], v1, off
.LBB55_1209:
	s_mov_b32 s53, 0
.LBB55_1210:
	s_delay_alu instid0(SALU_CYCLE_1)
	s_and_not1_b32 vcc_lo, exec_lo, s53
	s_cbranch_vccnz .LBB55_1226
; %bb.1211:
	s_cmp_lt_i32 s29, 2
	s_mov_b32 s53, -1
	s_cbranch_scc1 .LBB55_1221
; %bb.1212:
	s_cmp_lt_i32 s29, 3
	s_cbranch_scc1 .LBB55_1218
; %bb.1213:
	s_cmp_gt_i32 s29, 3
	s_cbranch_scc0 .LBB55_1215
; %bb.1214:
	s_wait_xcnt 0x0
	v_ashrrev_i32_e32 v5, 31, v4
	s_mov_b32 s53, 0
	global_store_b64 v[2:3], v[4:5], off
.LBB55_1215:
	s_and_not1_b32 vcc_lo, exec_lo, s53
	s_cbranch_vccnz .LBB55_1217
; %bb.1216:
	global_store_b32 v[2:3], v4, off
.LBB55_1217:
	s_mov_b32 s53, 0
.LBB55_1218:
	s_delay_alu instid0(SALU_CYCLE_1)
	s_and_not1_b32 vcc_lo, exec_lo, s53
	s_cbranch_vccnz .LBB55_1220
; %bb.1219:
	global_store_b16 v[2:3], v4, off
.LBB55_1220:
	s_mov_b32 s53, 0
.LBB55_1221:
	s_delay_alu instid0(SALU_CYCLE_1)
	s_and_not1_b32 vcc_lo, exec_lo, s53
	s_cbranch_vccnz .LBB55_1226
; %bb.1222:
	s_cmp_gt_i32 s29, 0
	s_mov_b32 s29, -1
	s_cbranch_scc0 .LBB55_1224
; %bb.1223:
	s_mov_b32 s29, 0
	global_store_b8 v[2:3], v4, off
.LBB55_1224:
	s_and_not1_b32 vcc_lo, exec_lo, s29
	s_cbranch_vccnz .LBB55_1226
; %bb.1225:
	global_store_b8 v[2:3], v4, off
.LBB55_1226:
	s_mov_b32 s54, -1
.LBB55_1227:
	s_delay_alu instid0(SALU_CYCLE_1)
	s_and_not1_b32 vcc_lo, exec_lo, s54
	s_cbranch_vccnz .LBB55_1250
; %bb.1228:
	v_add_nc_u32_e32 v0, 0x80, v0
	s_mov_b32 s29, -1
.LBB55_1229:
	s_and_not1_b32 s53, s48, exec_lo
	s_and_b32 s0, s0, exec_lo
	s_and_not1_b32 s54, s49, exec_lo
	s_and_b32 s28, s28, exec_lo
	s_or_b32 s55, s53, s0
	s_or_b32 s53, s54, s28
	s_and_not1_b32 s0, s50, exec_lo
	s_and_b32 s26, s26, exec_lo
	s_and_not1_b32 s28, s47, exec_lo
	s_and_b32 s27, s27, exec_lo
	s_or_b32 s54, s0, s26
	s_or_b32 s0, s28, s27
	s_or_not1_b32 s27, s29, exec_lo
.LBB55_1230:
	s_wait_xcnt 0x0
	s_or_b32 exec_lo, exec_lo, s52
	s_mov_b32 s26, 0
                                        ; implicit-def: $vgpr4
                                        ; implicit-def: $vgpr6
                                        ; implicit-def: $vgpr2
	s_and_saveexec_b32 s52, s27
	s_cbranch_execz .LBB55_1265
; %bb.1231:
	v_cmp_gt_i32_e32 vcc_lo, s40, v0
	s_mov_b32 s27, s0
                                        ; implicit-def: $vgpr4
                                        ; implicit-def: $vgpr6
                                        ; implicit-def: $vgpr2
	s_and_saveexec_b32 s40, vcc_lo
	s_cbranch_execz .LBB55_1264
; %bb.1232:
	s_and_not1_b32 vcc_lo, exec_lo, s33
	s_cbranch_vccnz .LBB55_1238
; %bb.1233:
	s_and_not1_b32 vcc_lo, exec_lo, s41
	s_cbranch_vccnz .LBB55_1239
; %bb.1234:
	s_wait_loadcnt 0x0
	v_dual_mov_b32 v2, 0 :: v_dual_mov_b32 v1, v0
	v_dual_mov_b32 v6, 0 :: v_dual_mov_b32 v4, 0
	s_add_co_i32 s28, s39, 1
	s_mov_b64 s[26:27], 0xffffffffffffffe0
	s_and_b32 s41, s28, 30
	s_add_nc_u64 s[26:27], s[2:3], s[26:27]
	s_mov_b64 s[28:29], s[2:3]
.LBB55_1235:                            ; =>This Inner Loop Header: Depth=1
	s_clause 0x1
	s_load_b128 s[56:59], s[28:29], 0x4
	s_load_b64 s[60:61], s[28:29], 0x14
	s_load_b32 s62, s[26:27], 0xe4
	s_add_co_i32 s41, s41, -2
	s_wait_xcnt 0x0
	s_add_nc_u64 s[28:29], s[28:29], 24
	s_cmp_eq_u32 s41, 0
	s_wait_kmcnt 0x0
	v_mul_hi_u32 v3, s57, v1
	s_delay_alu instid0(VALU_DEP_1) | instskip(NEXT) | instid1(VALU_DEP_1)
	v_add_nc_u32_e32 v3, v1, v3
	v_lshrrev_b32_e32 v3, s58, v3
	s_delay_alu instid0(VALU_DEP_1) | instskip(SKIP_2) | instid1(VALU_DEP_1)
	v_mul_hi_u32 v5, s60, v3
	v_mul_lo_u32 v7, v3, s56
	s_load_b96 s[56:58], s[26:27], 0xec
	v_dual_add_nc_u32 v5, v3, v5 :: v_dual_sub_nc_u32 v7, v1, v7
	s_delay_alu instid0(VALU_DEP_1) | instskip(SKIP_1) | instid1(VALU_DEP_2)
	v_lshrrev_b32_e32 v1, s61, v5
	s_load_b64 s[60:61], s[26:27], 0xfc
	v_mad_u32 v2, v7, s62, v2
	s_wait_xcnt 0x0
	s_add_nc_u64 s[26:27], s[26:27], 32
	v_mul_lo_u32 v5, v1, s59
	s_wait_kmcnt 0x0
	v_mad_u32 v4, v7, s57, v4
	v_mad_u32 v6, v7, s56, v6
	s_delay_alu instid0(VALU_DEP_3) | instskip(NEXT) | instid1(VALU_DEP_1)
	v_sub_nc_u32_e32 v3, v3, v5
	v_mad_u32 v2, v3, s58, v2
	s_delay_alu instid0(VALU_DEP_4) | instskip(NEXT) | instid1(VALU_DEP_4)
	v_mad_u32 v4, v3, s61, v4
	v_mad_u32 v6, v3, s60, v6
	s_cbranch_scc0 .LBB55_1235
; %bb.1236:
	s_bitcmp1_b32 s39, 0
	s_cselect_b32 s39, -1, 0
	s_delay_alu instid0(SALU_CYCLE_1)
	s_and_b32 vcc_lo, exec_lo, s39
	s_cbranch_vccnz .LBB55_1240
; %bb.1237:
	s_load_b96 s[56:58], s[28:29], 0x4
	s_load_b32 s39, s[26:27], 0xe4
	s_wait_xcnt 0x0
	s_load_b64 s[28:29], s[26:27], 0xec
	s_wait_kmcnt 0x0
	v_mul_hi_u32 v3, s57, v1
	s_delay_alu instid0(VALU_DEP_1) | instskip(NEXT) | instid1(VALU_DEP_1)
	v_add_nc_u32_e32 v3, v1, v3
	v_lshrrev_b32_e32 v3, s58, v3
	s_delay_alu instid0(VALU_DEP_1) | instskip(NEXT) | instid1(VALU_DEP_1)
	v_mul_lo_u32 v3, v3, s56
	v_sub_nc_u32_e32 v1, v1, v3
	s_delay_alu instid0(VALU_DEP_1)
	v_mad_u32 v2, v1, s39, v2
	v_mad_u32 v6, v1, s28, v6
	;; [unrolled: 1-line block ×3, first 2 shown]
	s_branch .LBB55_1240
.LBB55_1238:
	s_mov_b32 s26, -1
                                        ; implicit-def: $vgpr4
                                        ; implicit-def: $vgpr6
                                        ; implicit-def: $vgpr2
	s_branch .LBB55_1241
.LBB55_1239:
	s_wait_loadcnt 0x0
	v_dual_mov_b32 v4, 0 :: v_dual_mov_b32 v6, 0
	v_mov_b32_e32 v2, 0
.LBB55_1240:
	s_mov_b32 s26, 0
.LBB55_1241:
	s_delay_alu instid0(SALU_CYCLE_1)
	s_and_not1_b32 vcc_lo, exec_lo, s26
	s_cbranch_vccnz .LBB55_1244
; %bb.1242:
	s_wait_loadcnt 0x0
	v_mov_b32_e32 v1, 0
	s_and_not1_b32 vcc_lo, exec_lo, s38
	s_delay_alu instid0(VALU_DEP_1) | instskip(NEXT) | instid1(VALU_DEP_1)
	v_mul_u64_e32 v[2:3], s[20:21], v[0:1]
	v_add_nc_u32_e32 v2, v0, v3
	s_delay_alu instid0(VALU_DEP_1) | instskip(NEXT) | instid1(VALU_DEP_1)
	v_lshrrev_b32_e32 v8, s10, v2
	v_mul_lo_u32 v2, v8, s8
	s_delay_alu instid0(VALU_DEP_1) | instskip(NEXT) | instid1(VALU_DEP_1)
	v_sub_nc_u32_e32 v0, v0, v2
	v_mul_lo_u32 v2, v0, s37
	v_mul_lo_u32 v4, v0, s13
	;; [unrolled: 1-line block ×3, first 2 shown]
	s_cbranch_vccnz .LBB55_1244
; %bb.1243:
	v_mov_b32_e32 v9, v1
	s_delay_alu instid0(VALU_DEP_1) | instskip(NEXT) | instid1(VALU_DEP_1)
	v_mul_u64_e32 v[0:1], s[24:25], v[8:9]
	v_add_nc_u32_e32 v0, v8, v1
	s_delay_alu instid0(VALU_DEP_1) | instskip(NEXT) | instid1(VALU_DEP_1)
	v_lshrrev_b32_e32 v0, s1, v0
	v_mul_lo_u32 v0, v0, s11
	s_delay_alu instid0(VALU_DEP_1) | instskip(NEXT) | instid1(VALU_DEP_1)
	v_sub_nc_u32_e32 v0, v8, v0
	v_mad_u32 v2, v0, s14, v2
	v_mad_u32 v6, v0, s22, v6
	;; [unrolled: 1-line block ×3, first 2 shown]
.LBB55_1244:
	s_and_b32 s10, s36, 0xff
	s_delay_alu instid0(SALU_CYCLE_1)
	s_cmp_lt_i32 s10, 23
	s_cbranch_scc1 .LBB55_1248
; %bb.1245:
	s_and_b32 s11, 0xffff, s10
	s_delay_alu instid0(SALU_CYCLE_1)
	s_cmp_gt_i32 s11, 43
	s_cbranch_scc0 .LBB55_1249
; %bb.1246:
	s_cmp_gt_i32 s11, 45
	s_cbranch_scc0 .LBB55_1251
; %bb.1247:
	s_cmp_lg_u32 s11, 46
	s_mov_b32 s12, 0
	s_cselect_b32 s1, -1, 0
	s_and_not1_b32 s8, s0, exec_lo
	s_and_b32 s13, s1, exec_lo
	s_mov_b32 s1, -1
	s_or_b32 s8, s8, s13
	s_branch .LBB55_1252
.LBB55_1248:
	s_mov_b32 s11, -1
	s_mov_b32 s1, 0
	s_mov_b32 s8, s0
	s_branch .LBB55_1258
.LBB55_1249:
	s_mov_b32 s12, -1
	s_mov_b32 s1, 0
	s_mov_b32 s8, s0
	s_branch .LBB55_1255
.LBB55_1250:
	s_mov_b32 s29, 0
	s_branch .LBB55_858
.LBB55_1251:
	s_mov_b32 s12, -1
	s_mov_b32 s1, 0
	s_mov_b32 s8, s0
.LBB55_1252:
	s_and_not1_b32 vcc_lo, exec_lo, s12
	s_cbranch_vccnz .LBB55_1254
; %bb.1253:
	s_cmp_eq_u32 s11, 44
	s_cselect_b32 s1, -1, 0
	s_cmp_lg_u32 s11, 44
	s_cselect_b32 s12, -1, 0
	s_and_not1_b32 s8, s8, exec_lo
	s_and_b32 s12, s12, exec_lo
	s_delay_alu instid0(SALU_CYCLE_1)
	s_or_b32 s8, s8, s12
.LBB55_1254:
	s_mov_b32 s12, 0
.LBB55_1255:
	s_delay_alu instid0(SALU_CYCLE_1)
	s_and_b32 vcc_lo, exec_lo, s12
	s_cbranch_vccz .LBB55_1257
; %bb.1256:
	s_cmp_lt_i32 s11, 30
	s_cselect_b32 s1, -1, 0
	s_cmp_gt_i32 s11, 29
	s_cselect_b32 s11, -1, 0
	s_and_not1_b32 s8, s8, exec_lo
	s_and_b32 s11, s11, exec_lo
	s_delay_alu instid0(SALU_CYCLE_1)
	s_or_b32 s8, s8, s11
.LBB55_1257:
	s_mov_b32 s11, 0
.LBB55_1258:
	s_delay_alu instid0(SALU_CYCLE_1)
	s_and_b32 vcc_lo, exec_lo, s11
	s_cbranch_vccz .LBB55_1263
; %bb.1259:
	s_and_b32 s10, 0xffff, s10
	s_mov_b32 s11, -1
	s_cmp_gt_i32 s10, 14
	s_cbranch_scc0 .LBB55_1261
; %bb.1260:
	s_cmp_eq_u32 s10, 15
	s_cselect_b32 s1, -1, 0
	s_cmp_lg_u32 s10, 15
	s_cselect_b32 s11, -1, 0
	s_and_not1_b32 s8, s8, exec_lo
	s_and_b32 s12, s11, exec_lo
	s_mov_b32 s11, 0
	s_or_b32 s8, s8, s12
.LBB55_1261:
	s_and_not1_b32 vcc_lo, exec_lo, s11
	s_cbranch_vccnz .LBB55_1263
; %bb.1262:
	s_cmp_lt_i32 s10, 12
	s_cselect_b32 s1, -1, 0
	s_cmp_gt_i32 s10, 11
	s_cselect_b32 s10, -1, 0
	s_and_not1_b32 s8, s8, exec_lo
	s_and_b32 s10, s10, exec_lo
	s_delay_alu instid0(SALU_CYCLE_1)
	s_or_b32 s8, s8, s10
.LBB55_1263:
	s_and_not1_b32 s10, s0, exec_lo
	s_and_b32 s8, s8, exec_lo
	s_and_b32 s26, s1, exec_lo
	s_or_b32 s27, s10, s8
.LBB55_1264:
	s_or_b32 exec_lo, exec_lo, s40
	s_delay_alu instid0(SALU_CYCLE_1)
	s_and_not1_b32 s0, s0, exec_lo
	s_and_b32 s1, s27, exec_lo
	s_and_b32 s26, s26, exec_lo
	s_or_b32 s0, s0, s1
.LBB55_1265:
	s_or_b32 exec_lo, exec_lo, s52
	s_delay_alu instid0(SALU_CYCLE_1)
	s_and_not1_b32 s1, s48, exec_lo
	s_and_b32 s8, s55, exec_lo
	s_and_not1_b32 s10, s50, exec_lo
	s_or_b32 s48, s1, s8
	s_and_not1_b32 s1, s49, exec_lo
	s_and_b32 s8, s53, exec_lo
	s_and_b32 s11, s54, exec_lo
	s_or_b32 s49, s1, s8
	s_and_not1_b32 s1, s47, exec_lo
	s_and_b32 s8, s0, exec_lo
	s_or_b32 s50, s10, s11
	s_and_b32 s0, s26, exec_lo
	s_or_b32 s47, s1, s8
.LBB55_1266:
	s_or_b32 exec_lo, exec_lo, s51
	s_delay_alu instid0(SALU_CYCLE_1)
	s_and_not1_b32 s1, s42, exec_lo
	s_and_b32 s8, s48, exec_lo
	s_and_not1_b32 s10, s44, exec_lo
	s_or_b32 s42, s1, s8
	s_and_not1_b32 s1, s43, exec_lo
	s_and_b32 s8, s49, exec_lo
	s_and_b32 s11, s50, exec_lo
	s_or_b32 s43, s1, s8
	s_and_not1_b32 s1, s45, exec_lo
	s_and_b32 s8, s47, exec_lo
	s_or_b32 s44, s10, s11
	s_and_b32 s21, s0, exec_lo
	s_or_b32 s45, s1, s8
.LBB55_1267:
	s_or_b32 exec_lo, exec_lo, s46
	s_mov_b32 s11, 0
	s_mov_b32 s1, 0
	s_and_saveexec_b32 s0, s45
	s_cbranch_execnz .LBB55_1282
.LBB55_1268:
	s_or_b32 exec_lo, exec_lo, s0
	s_mov_b32 s12, 0
	s_mov_b32 s10, 0
                                        ; implicit-def: $sgpr0
                                        ; implicit-def: $vgpr0_vgpr1
                                        ; implicit-def: $vgpr3
	s_and_saveexec_b32 s8, s21
	s_cbranch_execz .LBB55_1276
; %bb.1269:
	v_mov_b32_e32 v7, 0
	s_and_b32 s0, s35, 0xff
	s_delay_alu instid0(SALU_CYCLE_1) | instskip(SKIP_1) | instid1(VALU_DEP_1)
	s_cmp_lt_i32 s0, 11
	s_wait_loadcnt 0x0
	v_add_nc_u64_e32 v[0:1], s[4:5], v[6:7]
	s_cbranch_scc1 .LBB55_1279
; %bb.1270:
	s_and_b32 s5, 0xffff, s0
	s_delay_alu instid0(SALU_CYCLE_1)
	s_cmp_gt_i32 s5, 25
	s_cbranch_scc0 .LBB55_1280
; %bb.1271:
	s_cmp_gt_i32 s5, 28
	s_cbranch_scc0 .LBB55_1281
; %bb.1272:
	s_cmp_gt_i32 s5, 43
	s_cbranch_scc0 .LBB55_1283
; %bb.1273:
	s_cmp_gt_i32 s5, 45
	s_cbranch_scc0 .LBB55_1284
; %bb.1274:
	s_cmp_eq_u32 s5, 46
	s_cbranch_scc0 .LBB55_1285
; %bb.1275:
	global_load_b32 v3, v[0:1], off
	s_mov_b32 s4, 0
	s_mov_b32 s10, -1
	s_wait_loadcnt 0x0
	v_lshlrev_b32_e32 v3, 16, v3
	s_delay_alu instid0(VALU_DEP_1)
	v_cvt_i32_f32_e32 v3, v3
	s_branch .LBB55_1287
.LBB55_1276:
	s_or_b32 exec_lo, exec_lo, s8
	s_and_saveexec_b32 s4, s44
	s_cbranch_execnz .LBB55_1346
.LBB55_1277:
	s_or_b32 exec_lo, exec_lo, s4
	s_and_saveexec_b32 s4, s11
	s_delay_alu instid0(SALU_CYCLE_1)
	s_xor_b32 s4, exec_lo, s4
	s_cbranch_execz .LBB55_1347
.LBB55_1278:
	s_wait_loadcnt 0x0
	global_load_u8 v3, v[0:1], off
	s_or_b32 s10, s10, exec_lo
	s_wait_loadcnt 0x0
	v_cmp_ne_u16_e32 vcc_lo, 0, v3
	v_cndmask_b32_e64 v3, 0, 1, vcc_lo
	s_wait_xcnt 0x0
	s_or_b32 exec_lo, exec_lo, s4
	s_and_saveexec_b32 s4, s12
	s_cbranch_execz .LBB55_1393
	s_branch .LBB55_1348
.LBB55_1279:
	s_mov_b32 s5, -1
	s_mov_b32 s4, s44
                                        ; implicit-def: $vgpr3
	s_branch .LBB55_1345
.LBB55_1280:
	s_mov_b32 s4, s44
                                        ; implicit-def: $vgpr3
	s_cbranch_execnz .LBB55_1314
	s_branch .LBB55_1344
.LBB55_1281:
	s_mov_b32 s12, -1
	s_mov_b32 s4, s44
                                        ; implicit-def: $vgpr3
	s_branch .LBB55_1297
.LBB55_1282:
	s_mov_b32 s1, exec_lo
	s_and_not1_b32 s21, s21, exec_lo
	s_trap 2
	s_branch .LBB55_1268
.LBB55_1283:
	s_mov_b32 s12, -1
	s_mov_b32 s4, s44
                                        ; implicit-def: $vgpr3
	s_branch .LBB55_1292
.LBB55_1284:
	s_mov_b32 s12, -1
	s_mov_b32 s4, s44
	s_branch .LBB55_1286
.LBB55_1285:
	s_mov_b32 s4, -1
.LBB55_1286:
                                        ; implicit-def: $vgpr3
.LBB55_1287:
	s_and_b32 vcc_lo, exec_lo, s12
	s_cbranch_vccz .LBB55_1291
; %bb.1288:
	s_cmp_eq_u32 s5, 44
	s_cbranch_scc0 .LBB55_1290
; %bb.1289:
	global_load_u8 v3, v[0:1], off
	s_mov_b32 s4, 0
	s_mov_b32 s10, -1
	s_wait_loadcnt 0x0
	v_lshlrev_b32_e32 v5, 23, v3
	v_cmp_ne_u32_e32 vcc_lo, 0, v3
	s_delay_alu instid0(VALU_DEP_2) | instskip(NEXT) | instid1(VALU_DEP_1)
	v_cvt_i32_f32_e32 v5, v5
	v_cndmask_b32_e32 v3, 0, v5, vcc_lo
	s_branch .LBB55_1291
.LBB55_1290:
	s_mov_b32 s4, -1
                                        ; implicit-def: $vgpr3
.LBB55_1291:
	s_mov_b32 s12, 0
.LBB55_1292:
	s_delay_alu instid0(SALU_CYCLE_1)
	s_and_b32 vcc_lo, exec_lo, s12
	s_cbranch_vccz .LBB55_1296
; %bb.1293:
	s_cmp_eq_u32 s5, 29
	s_cbranch_scc0 .LBB55_1295
; %bb.1294:
	global_load_b32 v3, v[0:1], off
	s_mov_b32 s4, 0
	s_mov_b32 s10, -1
	s_branch .LBB55_1296
.LBB55_1295:
	s_mov_b32 s4, -1
                                        ; implicit-def: $vgpr3
.LBB55_1296:
	s_mov_b32 s12, 0
.LBB55_1297:
	s_delay_alu instid0(SALU_CYCLE_1)
	s_and_b32 vcc_lo, exec_lo, s12
	s_cbranch_vccz .LBB55_1313
; %bb.1298:
	s_cmp_lt_i32 s5, 27
	s_cbranch_scc1 .LBB55_1301
; %bb.1299:
	s_cmp_gt_i32 s5, 27
	s_cbranch_scc0 .LBB55_1302
; %bb.1300:
	s_wait_loadcnt 0x0
	global_load_b32 v3, v[0:1], off
	s_mov_b32 s10, 0
	s_branch .LBB55_1303
.LBB55_1301:
	s_mov_b32 s10, -1
                                        ; implicit-def: $vgpr3
	s_branch .LBB55_1306
.LBB55_1302:
	s_mov_b32 s10, -1
                                        ; implicit-def: $vgpr3
.LBB55_1303:
	s_delay_alu instid0(SALU_CYCLE_1)
	s_and_not1_b32 vcc_lo, exec_lo, s10
	s_cbranch_vccnz .LBB55_1305
; %bb.1304:
	s_wait_loadcnt 0x0
	global_load_u16 v3, v[0:1], off
.LBB55_1305:
	s_mov_b32 s10, 0
.LBB55_1306:
	s_delay_alu instid0(SALU_CYCLE_1)
	s_and_not1_b32 vcc_lo, exec_lo, s10
	s_cbranch_vccnz .LBB55_1312
; %bb.1307:
	global_load_u8 v5, v[0:1], off
	s_mov_b32 s12, 0
	s_mov_b32 s10, exec_lo
	s_wait_loadcnt 0x0
	v_cmpx_lt_i16_e32 0x7f, v5
	s_xor_b32 s10, exec_lo, s10
	s_cbranch_execz .LBB55_1323
; %bb.1308:
	v_cmp_ne_u16_e32 vcc_lo, 0x80, v5
	s_and_b32 s12, vcc_lo, exec_lo
	s_and_not1_saveexec_b32 s10, s10
	s_cbranch_execnz .LBB55_1324
.LBB55_1309:
	s_or_b32 exec_lo, exec_lo, s10
	v_mov_b32_e32 v3, 0
	s_and_saveexec_b32 s10, s12
	s_cbranch_execz .LBB55_1311
.LBB55_1310:
	v_and_b32_e32 v3, 0xffff, v5
	s_delay_alu instid0(VALU_DEP_1) | instskip(SKIP_1) | instid1(VALU_DEP_2)
	v_dual_lshlrev_b32 v5, 24, v5 :: v_dual_bitop2_b32 v6, 7, v3 bitop3:0x40
	v_bfe_u32 v9, v3, 3, 4
	v_and_b32_e32 v5, 0x80000000, v5
	s_delay_alu instid0(VALU_DEP_3) | instskip(NEXT) | instid1(VALU_DEP_3)
	v_clz_i32_u32_e32 v7, v6
	v_cmp_eq_u32_e32 vcc_lo, 0, v9
	s_delay_alu instid0(VALU_DEP_2) | instskip(NEXT) | instid1(VALU_DEP_1)
	v_min_u32_e32 v7, 32, v7
	v_subrev_nc_u32_e32 v8, 28, v7
	v_sub_nc_u32_e32 v7, 29, v7
	s_delay_alu instid0(VALU_DEP_2) | instskip(NEXT) | instid1(VALU_DEP_2)
	v_lshlrev_b32_e32 v3, v8, v3
	v_cndmask_b32_e32 v7, v9, v7, vcc_lo
	s_delay_alu instid0(VALU_DEP_2) | instskip(NEXT) | instid1(VALU_DEP_1)
	v_and_b32_e32 v3, 7, v3
	v_cndmask_b32_e32 v3, v6, v3, vcc_lo
	s_delay_alu instid0(VALU_DEP_3) | instskip(NEXT) | instid1(VALU_DEP_2)
	v_lshl_add_u32 v6, v7, 23, 0x3b800000
	v_lshlrev_b32_e32 v3, 20, v3
	s_delay_alu instid0(VALU_DEP_1) | instskip(NEXT) | instid1(VALU_DEP_1)
	v_or3_b32 v3, v5, v6, v3
	v_cvt_i32_f32_e32 v3, v3
.LBB55_1311:
	s_or_b32 exec_lo, exec_lo, s10
.LBB55_1312:
	s_mov_b32 s10, -1
.LBB55_1313:
	s_branch .LBB55_1344
.LBB55_1314:
	s_cmp_gt_i32 s5, 22
	s_cbranch_scc0 .LBB55_1322
; %bb.1315:
	s_cmp_lt_i32 s5, 24
	s_cbranch_scc1 .LBB55_1325
; %bb.1316:
	s_cmp_gt_i32 s5, 24
	s_cbranch_scc0 .LBB55_1326
; %bb.1317:
	global_load_u8 v5, v[0:1], off
	s_mov_b32 s10, exec_lo
	s_wait_loadcnt 0x0
	v_cmpx_lt_i16_e32 0x7f, v5
	s_xor_b32 s10, exec_lo, s10
	s_cbranch_execz .LBB55_1338
; %bb.1318:
	v_cmp_ne_u16_e32 vcc_lo, 0x80, v5
	s_and_b32 s11, vcc_lo, exec_lo
	s_and_not1_saveexec_b32 s10, s10
	s_cbranch_execnz .LBB55_1339
.LBB55_1319:
	s_or_b32 exec_lo, exec_lo, s10
	v_mov_b32_e32 v3, 0
	s_and_saveexec_b32 s10, s11
	s_cbranch_execz .LBB55_1321
.LBB55_1320:
	v_and_b32_e32 v3, 0xffff, v5
	s_delay_alu instid0(VALU_DEP_1) | instskip(SKIP_1) | instid1(VALU_DEP_2)
	v_dual_lshlrev_b32 v5, 24, v5 :: v_dual_bitop2_b32 v6, 3, v3 bitop3:0x40
	v_bfe_u32 v9, v3, 2, 5
	v_and_b32_e32 v5, 0x80000000, v5
	s_delay_alu instid0(VALU_DEP_3) | instskip(NEXT) | instid1(VALU_DEP_3)
	v_clz_i32_u32_e32 v7, v6
	v_cmp_eq_u32_e32 vcc_lo, 0, v9
	s_delay_alu instid0(VALU_DEP_2) | instskip(NEXT) | instid1(VALU_DEP_1)
	v_min_u32_e32 v7, 32, v7
	v_subrev_nc_u32_e32 v8, 29, v7
	v_sub_nc_u32_e32 v7, 30, v7
	s_delay_alu instid0(VALU_DEP_2) | instskip(NEXT) | instid1(VALU_DEP_2)
	v_lshlrev_b32_e32 v3, v8, v3
	v_cndmask_b32_e32 v7, v9, v7, vcc_lo
	s_delay_alu instid0(VALU_DEP_2) | instskip(NEXT) | instid1(VALU_DEP_1)
	v_and_b32_e32 v3, 3, v3
	v_cndmask_b32_e32 v3, v6, v3, vcc_lo
	s_delay_alu instid0(VALU_DEP_3) | instskip(NEXT) | instid1(VALU_DEP_2)
	v_lshl_add_u32 v6, v7, 23, 0x37800000
	v_lshlrev_b32_e32 v3, 21, v3
	s_delay_alu instid0(VALU_DEP_1) | instskip(NEXT) | instid1(VALU_DEP_1)
	v_or3_b32 v3, v5, v6, v3
	v_cvt_i32_f32_e32 v3, v3
.LBB55_1321:
	s_or_b32 exec_lo, exec_lo, s10
	s_mov_b32 s10, 0
	s_branch .LBB55_1327
.LBB55_1322:
	s_mov_b32 s11, -1
                                        ; implicit-def: $vgpr3
	s_branch .LBB55_1333
.LBB55_1323:
	s_and_not1_saveexec_b32 s10, s10
	s_cbranch_execz .LBB55_1309
.LBB55_1324:
	v_cmp_ne_u16_e32 vcc_lo, 0, v5
	s_and_not1_b32 s12, s12, exec_lo
	s_and_b32 s13, vcc_lo, exec_lo
	s_delay_alu instid0(SALU_CYCLE_1)
	s_or_b32 s12, s12, s13
	s_or_b32 exec_lo, exec_lo, s10
	v_mov_b32_e32 v3, 0
	s_and_saveexec_b32 s10, s12
	s_cbranch_execnz .LBB55_1310
	s_branch .LBB55_1311
.LBB55_1325:
	s_mov_b32 s10, -1
                                        ; implicit-def: $vgpr3
	s_branch .LBB55_1330
.LBB55_1326:
	s_mov_b32 s10, -1
                                        ; implicit-def: $vgpr3
.LBB55_1327:
	s_delay_alu instid0(SALU_CYCLE_1)
	s_and_b32 vcc_lo, exec_lo, s10
	s_cbranch_vccz .LBB55_1329
; %bb.1328:
	s_wait_loadcnt 0x0
	global_load_u8 v3, v[0:1], off
	s_wait_loadcnt 0x0
	v_lshlrev_b32_e32 v3, 24, v3
	s_delay_alu instid0(VALU_DEP_1) | instskip(NEXT) | instid1(VALU_DEP_1)
	v_and_b32_e32 v5, 0x7f000000, v3
	v_clz_i32_u32_e32 v6, v5
	v_cmp_ne_u32_e32 vcc_lo, 0, v5
	v_add_nc_u32_e32 v8, 0x1000000, v5
	s_delay_alu instid0(VALU_DEP_3) | instskip(NEXT) | instid1(VALU_DEP_1)
	v_min_u32_e32 v6, 32, v6
	v_sub_nc_u32_e64 v6, v6, 4 clamp
	s_delay_alu instid0(VALU_DEP_1) | instskip(NEXT) | instid1(VALU_DEP_1)
	v_dual_lshlrev_b32 v7, v6, v5 :: v_dual_lshlrev_b32 v6, 23, v6
	v_lshrrev_b32_e32 v7, 4, v7
	s_delay_alu instid0(VALU_DEP_1) | instskip(NEXT) | instid1(VALU_DEP_1)
	v_dual_sub_nc_u32 v6, v7, v6 :: v_dual_ashrrev_i32 v7, 8, v8
	v_add_nc_u32_e32 v6, 0x3c000000, v6
	s_delay_alu instid0(VALU_DEP_1) | instskip(NEXT) | instid1(VALU_DEP_1)
	v_and_or_b32 v6, 0x7f800000, v7, v6
	v_cndmask_b32_e32 v5, 0, v6, vcc_lo
	s_delay_alu instid0(VALU_DEP_1) | instskip(NEXT) | instid1(VALU_DEP_1)
	v_and_or_b32 v3, 0x80000000, v3, v5
	v_cvt_i32_f32_e32 v3, v3
.LBB55_1329:
	s_mov_b32 s10, 0
.LBB55_1330:
	s_delay_alu instid0(SALU_CYCLE_1)
	s_and_not1_b32 vcc_lo, exec_lo, s10
	s_cbranch_vccnz .LBB55_1332
; %bb.1331:
	s_wait_loadcnt 0x0
	global_load_u8 v3, v[0:1], off
	s_wait_loadcnt 0x0
	v_lshlrev_b32_e32 v5, 25, v3
	v_lshlrev_b16 v3, 8, v3
	s_delay_alu instid0(VALU_DEP_1) | instskip(NEXT) | instid1(VALU_DEP_3)
	v_and_or_b32 v7, 0x7f00, v3, 0.5
	v_lshrrev_b32_e32 v6, 4, v5
	v_bfe_i32 v3, v3, 0, 16
	s_delay_alu instid0(VALU_DEP_3) | instskip(NEXT) | instid1(VALU_DEP_3)
	v_add_f32_e32 v7, -0.5, v7
	v_or_b32_e32 v6, 0x70000000, v6
	s_delay_alu instid0(VALU_DEP_1) | instskip(SKIP_1) | instid1(VALU_DEP_2)
	v_mul_f32_e32 v6, 0x7800000, v6
	v_cmp_gt_u32_e32 vcc_lo, 0x8000000, v5
	v_cndmask_b32_e32 v5, v6, v7, vcc_lo
	s_delay_alu instid0(VALU_DEP_1) | instskip(NEXT) | instid1(VALU_DEP_1)
	v_and_or_b32 v3, 0x80000000, v3, v5
	v_cvt_i32_f32_e32 v3, v3
.LBB55_1332:
	s_mov_b32 s11, 0
	s_mov_b32 s10, -1
.LBB55_1333:
	s_and_not1_b32 vcc_lo, exec_lo, s11
	s_mov_b32 s11, 0
	s_cbranch_vccnz .LBB55_1344
; %bb.1334:
	s_cmp_gt_i32 s5, 14
	s_cbranch_scc0 .LBB55_1337
; %bb.1335:
	s_cmp_eq_u32 s5, 15
	s_cbranch_scc0 .LBB55_1340
; %bb.1336:
	s_wait_loadcnt 0x0
	global_load_u16 v3, v[0:1], off
	s_mov_b32 s4, 0
	s_mov_b32 s10, -1
	s_wait_loadcnt 0x0
	v_lshlrev_b32_e32 v3, 16, v3
	s_delay_alu instid0(VALU_DEP_1)
	v_cvt_i32_f32_e32 v3, v3
	s_branch .LBB55_1342
.LBB55_1337:
	s_mov_b32 s11, -1
	s_branch .LBB55_1341
.LBB55_1338:
	s_and_not1_saveexec_b32 s10, s10
	s_cbranch_execz .LBB55_1319
.LBB55_1339:
	v_cmp_ne_u16_e32 vcc_lo, 0, v5
	s_and_not1_b32 s11, s11, exec_lo
	s_and_b32 s12, vcc_lo, exec_lo
	s_delay_alu instid0(SALU_CYCLE_1)
	s_or_b32 s11, s11, s12
	s_or_b32 exec_lo, exec_lo, s10
	v_mov_b32_e32 v3, 0
	s_and_saveexec_b32 s10, s11
	s_cbranch_execnz .LBB55_1320
	s_branch .LBB55_1321
.LBB55_1340:
	s_mov_b32 s4, -1
.LBB55_1341:
                                        ; implicit-def: $vgpr3
.LBB55_1342:
	s_and_b32 vcc_lo, exec_lo, s11
	s_mov_b32 s11, 0
	s_cbranch_vccz .LBB55_1344
; %bb.1343:
	s_cmp_lg_u32 s5, 11
	s_mov_b32 s11, -1
	s_cselect_b32 s5, -1, 0
	s_and_not1_b32 s4, s4, exec_lo
	s_and_b32 s5, s5, exec_lo
	s_delay_alu instid0(SALU_CYCLE_1)
	s_or_b32 s4, s4, s5
.LBB55_1344:
	s_mov_b32 s5, 0
.LBB55_1345:
	s_delay_alu instid0(SALU_CYCLE_1)
	s_and_b32 s12, s5, exec_lo
	s_and_not1_b32 s5, s44, exec_lo
	s_and_b32 s4, s4, exec_lo
	s_and_b32 s10, s10, exec_lo
	;; [unrolled: 1-line block ×3, first 2 shown]
	s_or_b32 s44, s5, s4
	s_wait_xcnt 0x0
	s_or_b32 exec_lo, exec_lo, s8
	s_and_saveexec_b32 s4, s44
	s_cbranch_execz .LBB55_1277
.LBB55_1346:
	s_or_b32 s1, s1, exec_lo
	s_and_not1_b32 s11, s11, exec_lo
	s_trap 2
	s_or_b32 exec_lo, exec_lo, s4
	s_and_saveexec_b32 s4, s11
	s_delay_alu instid0(SALU_CYCLE_1)
	s_xor_b32 s4, exec_lo, s4
	s_cbranch_execnz .LBB55_1278
.LBB55_1347:
	s_or_b32 exec_lo, exec_lo, s4
	s_and_saveexec_b32 s4, s12
	s_cbranch_execz .LBB55_1393
.LBB55_1348:
	s_sext_i32_i16 s5, s0
	s_delay_alu instid0(SALU_CYCLE_1)
	s_cmp_lt_i32 s5, 5
	s_cbranch_scc1 .LBB55_1353
; %bb.1349:
	s_cmp_lt_i32 s5, 8
	s_cbranch_scc1 .LBB55_1354
; %bb.1350:
	;; [unrolled: 3-line block ×3, first 2 shown]
	s_cmp_gt_i32 s5, 9
	s_cbranch_scc0 .LBB55_1356
; %bb.1352:
	s_wait_loadcnt 0x0
	global_load_b64 v[6:7], v[0:1], off
	s_mov_b32 s5, 0
	s_wait_loadcnt 0x0
	v_cvt_i32_f64_e32 v3, v[6:7]
	s_branch .LBB55_1357
.LBB55_1353:
                                        ; implicit-def: $vgpr3
	s_branch .LBB55_1374
.LBB55_1354:
                                        ; implicit-def: $vgpr3
	s_branch .LBB55_1363
.LBB55_1355:
	s_mov_b32 s5, -1
                                        ; implicit-def: $vgpr3
	s_branch .LBB55_1360
.LBB55_1356:
	s_mov_b32 s5, -1
                                        ; implicit-def: $vgpr3
.LBB55_1357:
	s_delay_alu instid0(SALU_CYCLE_1)
	s_and_not1_b32 vcc_lo, exec_lo, s5
	s_cbranch_vccnz .LBB55_1359
; %bb.1358:
	s_wait_loadcnt 0x0
	global_load_b32 v3, v[0:1], off
	s_wait_loadcnt 0x0
	v_cvt_i32_f32_e32 v3, v3
.LBB55_1359:
	s_mov_b32 s5, 0
.LBB55_1360:
	s_delay_alu instid0(SALU_CYCLE_1)
	s_and_not1_b32 vcc_lo, exec_lo, s5
	s_cbranch_vccnz .LBB55_1362
; %bb.1361:
	s_wait_loadcnt 0x0
	global_load_b32 v3, v[0:1], off
	s_wait_loadcnt 0x0
	v_cvt_f32_f16_e32 v3, v3
	s_delay_alu instid0(VALU_DEP_1)
	v_cvt_i32_f32_e32 v3, v3
.LBB55_1362:
	s_cbranch_execnz .LBB55_1373
.LBB55_1363:
	s_sext_i32_i16 s5, s0
	s_delay_alu instid0(SALU_CYCLE_1)
	s_cmp_lt_i32 s5, 6
	s_cbranch_scc1 .LBB55_1366
; %bb.1364:
	s_cmp_gt_i32 s5, 6
	s_cbranch_scc0 .LBB55_1367
; %bb.1365:
	s_wait_loadcnt 0x0
	global_load_b64 v[6:7], v[0:1], off
	s_mov_b32 s5, 0
	s_wait_loadcnt 0x0
	v_cvt_i32_f64_e32 v3, v[6:7]
	s_branch .LBB55_1368
.LBB55_1366:
	s_mov_b32 s5, -1
                                        ; implicit-def: $vgpr3
	s_branch .LBB55_1371
.LBB55_1367:
	s_mov_b32 s5, -1
                                        ; implicit-def: $vgpr3
.LBB55_1368:
	s_delay_alu instid0(SALU_CYCLE_1)
	s_and_not1_b32 vcc_lo, exec_lo, s5
	s_cbranch_vccnz .LBB55_1370
; %bb.1369:
	s_wait_loadcnt 0x0
	global_load_b32 v3, v[0:1], off
	s_wait_loadcnt 0x0
	v_cvt_i32_f32_e32 v3, v3
.LBB55_1370:
	s_mov_b32 s5, 0
.LBB55_1371:
	s_delay_alu instid0(SALU_CYCLE_1)
	s_and_not1_b32 vcc_lo, exec_lo, s5
	s_cbranch_vccnz .LBB55_1373
; %bb.1372:
	s_wait_loadcnt 0x0
	global_load_u16 v3, v[0:1], off
	s_wait_loadcnt 0x0
	v_cvt_f32_f16_e32 v3, v3
	s_delay_alu instid0(VALU_DEP_1)
	v_cvt_i32_f32_e32 v3, v3
.LBB55_1373:
	s_cbranch_execnz .LBB55_1392
.LBB55_1374:
	s_sext_i32_i16 s5, s0
	s_delay_alu instid0(SALU_CYCLE_1)
	s_cmp_lt_i32 s5, 2
	s_cbranch_scc1 .LBB55_1378
; %bb.1375:
	s_cmp_lt_i32 s5, 3
	s_cbranch_scc1 .LBB55_1379
; %bb.1376:
	s_cmp_gt_i32 s5, 3
	s_cbranch_scc0 .LBB55_1380
; %bb.1377:
	s_wait_loadcnt 0x0
	global_load_b32 v3, v[0:1], off
	s_mov_b32 s5, 0
	s_branch .LBB55_1381
.LBB55_1378:
                                        ; implicit-def: $vgpr3
	s_branch .LBB55_1387
.LBB55_1379:
	s_mov_b32 s5, -1
                                        ; implicit-def: $vgpr3
	s_branch .LBB55_1384
.LBB55_1380:
	s_mov_b32 s5, -1
                                        ; implicit-def: $vgpr3
.LBB55_1381:
	s_delay_alu instid0(SALU_CYCLE_1)
	s_and_not1_b32 vcc_lo, exec_lo, s5
	s_cbranch_vccnz .LBB55_1383
; %bb.1382:
	s_wait_loadcnt 0x0
	global_load_b32 v3, v[0:1], off
.LBB55_1383:
	s_mov_b32 s5, 0
.LBB55_1384:
	s_delay_alu instid0(SALU_CYCLE_1)
	s_and_not1_b32 vcc_lo, exec_lo, s5
	s_cbranch_vccnz .LBB55_1386
; %bb.1385:
	s_wait_loadcnt 0x0
	global_load_i16 v3, v[0:1], off
.LBB55_1386:
	s_cbranch_execnz .LBB55_1392
.LBB55_1387:
	s_sext_i32_i16 s0, s0
	s_delay_alu instid0(SALU_CYCLE_1)
	s_cmp_gt_i32 s0, 0
	s_mov_b32 s0, 0
	s_cbranch_scc0 .LBB55_1389
; %bb.1388:
	s_wait_loadcnt 0x0
	global_load_i8 v3, v[0:1], off
	s_branch .LBB55_1390
.LBB55_1389:
	s_mov_b32 s0, -1
                                        ; implicit-def: $vgpr3
.LBB55_1390:
	s_delay_alu instid0(SALU_CYCLE_1)
	s_and_not1_b32 vcc_lo, exec_lo, s0
	s_cbranch_vccnz .LBB55_1392
; %bb.1391:
	s_wait_loadcnt 0x0
	global_load_u8 v3, v[0:1], off
.LBB55_1392:
	s_or_b32 s10, s10, exec_lo
.LBB55_1393:
	s_wait_xcnt 0x0
	s_or_b32 exec_lo, exec_lo, s4
	s_mov_b32 s5, 0
	s_mov_b32 s4, 0
	;; [unrolled: 1-line block ×3, first 2 shown]
                                        ; implicit-def: $vgpr0_vgpr1
                                        ; implicit-def: $vgpr6
	s_and_saveexec_b32 s0, s10
	s_cbranch_execz .LBB55_1401
; %bb.1394:
	v_mov_b32_e32 v5, 0
	s_and_b32 s4, 0xffff, s9
	s_delay_alu instid0(SALU_CYCLE_1) | instskip(SKIP_1) | instid1(VALU_DEP_1)
	s_cmp_lt_i32 s4, 11
	s_wait_loadcnt 0x0
	v_add_nc_u64_e32 v[0:1], s[6:7], v[4:5]
	s_cbranch_scc1 .LBB55_1404
; %bb.1395:
	s_cmp_gt_i32 s4, 25
	s_mov_b32 s6, 0
	s_cbranch_scc0 .LBB55_1405
; %bb.1396:
	s_cmp_gt_i32 s4, 28
	s_cbranch_scc0 .LBB55_1406
; %bb.1397:
	s_cmp_gt_i32 s4, 43
	;; [unrolled: 3-line block ×3, first 2 shown]
	s_cbranch_scc0 .LBB55_1408
; %bb.1399:
	s_cmp_eq_u32 s4, 46
	s_cbranch_scc0 .LBB55_1409
; %bb.1400:
	global_load_b32 v4, v[0:1], off
	s_mov_b32 s7, -1
	s_wait_loadcnt 0x0
	v_lshlrev_b32_e32 v4, 16, v4
	s_delay_alu instid0(VALU_DEP_1)
	v_cvt_i32_f32_e32 v6, v4
	s_branch .LBB55_1411
.LBB55_1401:
	s_or_b32 exec_lo, exec_lo, s0
	s_and_saveexec_b32 s0, s43
	s_cbranch_execnz .LBB55_1470
.LBB55_1402:
	s_or_b32 exec_lo, exec_lo, s0
	s_and_saveexec_b32 s0, s5
	s_delay_alu instid0(SALU_CYCLE_1)
	s_xor_b32 s0, exec_lo, s0
	s_cbranch_execz .LBB55_1471
.LBB55_1403:
	s_wait_loadcnt 0x0
	global_load_u8 v4, v[0:1], off
	s_or_b32 s8, s8, exec_lo
	s_wait_loadcnt 0x0
	v_cmp_ne_u16_e32 vcc_lo, 0, v4
	v_cndmask_b32_e64 v6, 0, 1, vcc_lo
	s_wait_xcnt 0x0
	s_or_b32 exec_lo, exec_lo, s0
	s_and_saveexec_b32 s0, s4
	s_cbranch_execz .LBB55_1517
	s_branch .LBB55_1472
.LBB55_1404:
	s_mov_b32 s4, -1
	s_mov_b32 s7, 0
	s_mov_b32 s6, 0
	;; [unrolled: 1-line block ×3, first 2 shown]
                                        ; implicit-def: $vgpr6
	s_branch .LBB55_1469
.LBB55_1405:
	s_mov_b32 s7, 0
	s_mov_b32 s5, s43
                                        ; implicit-def: $vgpr6
	s_cbranch_execnz .LBB55_1438
	s_branch .LBB55_1468
.LBB55_1406:
	s_mov_b32 s8, -1
	s_mov_b32 s7, 0
	s_mov_b32 s5, s43
                                        ; implicit-def: $vgpr6
	s_branch .LBB55_1421
.LBB55_1407:
	s_mov_b32 s8, -1
	s_mov_b32 s7, 0
	s_mov_b32 s5, s43
                                        ; implicit-def: $vgpr6
	s_branch .LBB55_1416
.LBB55_1408:
	s_mov_b32 s8, -1
	s_mov_b32 s7, 0
	s_mov_b32 s5, s43
	s_branch .LBB55_1410
.LBB55_1409:
	s_mov_b32 s5, -1
	s_mov_b32 s7, 0
.LBB55_1410:
                                        ; implicit-def: $vgpr6
.LBB55_1411:
	s_and_b32 vcc_lo, exec_lo, s8
	s_cbranch_vccz .LBB55_1415
; %bb.1412:
	s_cmp_eq_u32 s4, 44
	s_cbranch_scc0 .LBB55_1414
; %bb.1413:
	global_load_u8 v4, v[0:1], off
	s_mov_b32 s5, 0
	s_mov_b32 s7, -1
	s_wait_loadcnt 0x0
	v_lshlrev_b32_e32 v5, 23, v4
	v_cmp_ne_u32_e32 vcc_lo, 0, v4
	s_delay_alu instid0(VALU_DEP_2) | instskip(NEXT) | instid1(VALU_DEP_1)
	v_cvt_i32_f32_e32 v5, v5
	v_cndmask_b32_e32 v6, 0, v5, vcc_lo
	s_branch .LBB55_1415
.LBB55_1414:
	s_mov_b32 s5, -1
                                        ; implicit-def: $vgpr6
.LBB55_1415:
	s_mov_b32 s8, 0
.LBB55_1416:
	s_delay_alu instid0(SALU_CYCLE_1)
	s_and_b32 vcc_lo, exec_lo, s8
	s_cbranch_vccz .LBB55_1420
; %bb.1417:
	s_cmp_eq_u32 s4, 29
	s_cbranch_scc0 .LBB55_1419
; %bb.1418:
	global_load_b32 v6, v[0:1], off
	s_mov_b32 s5, 0
	s_mov_b32 s7, -1
	s_branch .LBB55_1420
.LBB55_1419:
	s_mov_b32 s5, -1
                                        ; implicit-def: $vgpr6
.LBB55_1420:
	s_mov_b32 s8, 0
.LBB55_1421:
	s_delay_alu instid0(SALU_CYCLE_1)
	s_and_b32 vcc_lo, exec_lo, s8
	s_cbranch_vccz .LBB55_1437
; %bb.1422:
	s_cmp_lt_i32 s4, 27
	s_cbranch_scc1 .LBB55_1425
; %bb.1423:
	s_cmp_gt_i32 s4, 27
	s_cbranch_scc0 .LBB55_1426
; %bb.1424:
	s_wait_loadcnt 0x0
	global_load_b32 v6, v[0:1], off
	s_mov_b32 s7, 0
	s_branch .LBB55_1427
.LBB55_1425:
	s_mov_b32 s7, -1
                                        ; implicit-def: $vgpr6
	s_branch .LBB55_1430
.LBB55_1426:
	s_mov_b32 s7, -1
                                        ; implicit-def: $vgpr6
.LBB55_1427:
	s_delay_alu instid0(SALU_CYCLE_1)
	s_and_not1_b32 vcc_lo, exec_lo, s7
	s_cbranch_vccnz .LBB55_1429
; %bb.1428:
	s_wait_loadcnt 0x0
	global_load_u16 v6, v[0:1], off
.LBB55_1429:
	s_mov_b32 s7, 0
.LBB55_1430:
	s_delay_alu instid0(SALU_CYCLE_1)
	s_and_not1_b32 vcc_lo, exec_lo, s7
	s_cbranch_vccnz .LBB55_1436
; %bb.1431:
	global_load_u8 v4, v[0:1], off
	s_mov_b32 s8, 0
	s_mov_b32 s7, exec_lo
	s_wait_loadcnt 0x0
	v_cmpx_lt_i16_e32 0x7f, v4
	s_xor_b32 s7, exec_lo, s7
	s_cbranch_execz .LBB55_1447
; %bb.1432:
	v_cmp_ne_u16_e32 vcc_lo, 0x80, v4
	s_and_b32 s8, vcc_lo, exec_lo
	s_and_not1_saveexec_b32 s7, s7
	s_cbranch_execnz .LBB55_1448
.LBB55_1433:
	s_or_b32 exec_lo, exec_lo, s7
	v_mov_b32_e32 v6, 0
	s_and_saveexec_b32 s7, s8
	s_cbranch_execz .LBB55_1435
.LBB55_1434:
	v_and_b32_e32 v5, 0xffff, v4
	s_delay_alu instid0(VALU_DEP_1) | instskip(SKIP_1) | instid1(VALU_DEP_2)
	v_and_b32_e32 v6, 7, v5
	v_bfe_u32 v9, v5, 3, 4
	v_clz_i32_u32_e32 v7, v6
	s_delay_alu instid0(VALU_DEP_2) | instskip(NEXT) | instid1(VALU_DEP_2)
	v_cmp_eq_u32_e32 vcc_lo, 0, v9
	v_min_u32_e32 v7, 32, v7
	s_delay_alu instid0(VALU_DEP_1) | instskip(NEXT) | instid1(VALU_DEP_1)
	v_subrev_nc_u32_e32 v8, 28, v7
	v_dual_lshlrev_b32 v5, v8, v5 :: v_dual_sub_nc_u32 v7, 29, v7
	s_delay_alu instid0(VALU_DEP_1) | instskip(NEXT) | instid1(VALU_DEP_1)
	v_dual_lshlrev_b32 v4, 24, v4 :: v_dual_bitop2_b32 v5, 7, v5 bitop3:0x40
	v_dual_cndmask_b32 v7, v9, v7, vcc_lo :: v_dual_cndmask_b32 v5, v6, v5, vcc_lo
	s_delay_alu instid0(VALU_DEP_2) | instskip(NEXT) | instid1(VALU_DEP_2)
	v_and_b32_e32 v4, 0x80000000, v4
	v_lshl_add_u32 v6, v7, 23, 0x3b800000
	s_delay_alu instid0(VALU_DEP_3) | instskip(NEXT) | instid1(VALU_DEP_1)
	v_lshlrev_b32_e32 v5, 20, v5
	v_or3_b32 v4, v4, v6, v5
	s_delay_alu instid0(VALU_DEP_1)
	v_cvt_i32_f32_e32 v6, v4
.LBB55_1435:
	s_or_b32 exec_lo, exec_lo, s7
.LBB55_1436:
	s_mov_b32 s7, -1
.LBB55_1437:
	s_branch .LBB55_1468
.LBB55_1438:
	s_cmp_gt_i32 s4, 22
	s_cbranch_scc0 .LBB55_1446
; %bb.1439:
	s_cmp_lt_i32 s4, 24
	s_cbranch_scc1 .LBB55_1449
; %bb.1440:
	s_cmp_gt_i32 s4, 24
	s_cbranch_scc0 .LBB55_1450
; %bb.1441:
	global_load_u8 v4, v[0:1], off
	s_mov_b32 s7, 0
	s_mov_b32 s6, exec_lo
	s_wait_loadcnt 0x0
	v_cmpx_lt_i16_e32 0x7f, v4
	s_xor_b32 s6, exec_lo, s6
	s_cbranch_execz .LBB55_1462
; %bb.1442:
	v_cmp_ne_u16_e32 vcc_lo, 0x80, v4
	s_and_b32 s7, vcc_lo, exec_lo
	s_and_not1_saveexec_b32 s6, s6
	s_cbranch_execnz .LBB55_1463
.LBB55_1443:
	s_or_b32 exec_lo, exec_lo, s6
	v_mov_b32_e32 v6, 0
	s_and_saveexec_b32 s6, s7
	s_cbranch_execz .LBB55_1445
.LBB55_1444:
	v_and_b32_e32 v5, 0xffff, v4
	s_delay_alu instid0(VALU_DEP_1) | instskip(SKIP_1) | instid1(VALU_DEP_2)
	v_and_b32_e32 v6, 3, v5
	v_bfe_u32 v9, v5, 2, 5
	v_clz_i32_u32_e32 v7, v6
	s_delay_alu instid0(VALU_DEP_2) | instskip(NEXT) | instid1(VALU_DEP_2)
	v_cmp_eq_u32_e32 vcc_lo, 0, v9
	v_min_u32_e32 v7, 32, v7
	s_delay_alu instid0(VALU_DEP_1) | instskip(NEXT) | instid1(VALU_DEP_1)
	v_subrev_nc_u32_e32 v8, 29, v7
	v_dual_lshlrev_b32 v5, v8, v5 :: v_dual_sub_nc_u32 v7, 30, v7
	s_delay_alu instid0(VALU_DEP_1) | instskip(NEXT) | instid1(VALU_DEP_1)
	v_dual_lshlrev_b32 v4, 24, v4 :: v_dual_bitop2_b32 v5, 3, v5 bitop3:0x40
	v_dual_cndmask_b32 v7, v9, v7, vcc_lo :: v_dual_cndmask_b32 v5, v6, v5, vcc_lo
	s_delay_alu instid0(VALU_DEP_2) | instskip(NEXT) | instid1(VALU_DEP_2)
	v_and_b32_e32 v4, 0x80000000, v4
	v_lshl_add_u32 v6, v7, 23, 0x37800000
	s_delay_alu instid0(VALU_DEP_3) | instskip(NEXT) | instid1(VALU_DEP_1)
	v_lshlrev_b32_e32 v5, 21, v5
	v_or3_b32 v4, v4, v6, v5
	s_delay_alu instid0(VALU_DEP_1)
	v_cvt_i32_f32_e32 v6, v4
.LBB55_1445:
	s_or_b32 exec_lo, exec_lo, s6
	s_mov_b32 s6, 0
	s_branch .LBB55_1451
.LBB55_1446:
	s_mov_b32 s6, -1
                                        ; implicit-def: $vgpr6
	s_branch .LBB55_1457
.LBB55_1447:
	s_and_not1_saveexec_b32 s7, s7
	s_cbranch_execz .LBB55_1433
.LBB55_1448:
	v_cmp_ne_u16_e32 vcc_lo, 0, v4
	s_and_not1_b32 s8, s8, exec_lo
	s_and_b32 s10, vcc_lo, exec_lo
	s_delay_alu instid0(SALU_CYCLE_1)
	s_or_b32 s8, s8, s10
	s_or_b32 exec_lo, exec_lo, s7
	v_mov_b32_e32 v6, 0
	s_and_saveexec_b32 s7, s8
	s_cbranch_execnz .LBB55_1434
	s_branch .LBB55_1435
.LBB55_1449:
	s_mov_b32 s6, -1
                                        ; implicit-def: $vgpr6
	s_branch .LBB55_1454
.LBB55_1450:
	s_mov_b32 s6, -1
                                        ; implicit-def: $vgpr6
.LBB55_1451:
	s_delay_alu instid0(SALU_CYCLE_1)
	s_and_b32 vcc_lo, exec_lo, s6
	s_cbranch_vccz .LBB55_1453
; %bb.1452:
	global_load_u8 v4, v[0:1], off
	s_wait_loadcnt 0x0
	v_lshlrev_b32_e32 v4, 24, v4
	s_delay_alu instid0(VALU_DEP_1) | instskip(NEXT) | instid1(VALU_DEP_1)
	v_and_b32_e32 v5, 0x7f000000, v4
	v_clz_i32_u32_e32 v6, v5
	v_cmp_ne_u32_e32 vcc_lo, 0, v5
	v_add_nc_u32_e32 v8, 0x1000000, v5
	s_delay_alu instid0(VALU_DEP_3) | instskip(NEXT) | instid1(VALU_DEP_1)
	v_min_u32_e32 v6, 32, v6
	v_sub_nc_u32_e64 v6, v6, 4 clamp
	s_delay_alu instid0(VALU_DEP_1) | instskip(NEXT) | instid1(VALU_DEP_1)
	v_dual_lshlrev_b32 v7, v6, v5 :: v_dual_lshlrev_b32 v6, 23, v6
	v_lshrrev_b32_e32 v7, 4, v7
	s_delay_alu instid0(VALU_DEP_1) | instskip(NEXT) | instid1(VALU_DEP_1)
	v_dual_sub_nc_u32 v6, v7, v6 :: v_dual_ashrrev_i32 v7, 8, v8
	v_add_nc_u32_e32 v6, 0x3c000000, v6
	s_delay_alu instid0(VALU_DEP_1) | instskip(NEXT) | instid1(VALU_DEP_1)
	v_and_or_b32 v6, 0x7f800000, v7, v6
	v_cndmask_b32_e32 v5, 0, v6, vcc_lo
	s_delay_alu instid0(VALU_DEP_1) | instskip(NEXT) | instid1(VALU_DEP_1)
	v_and_or_b32 v4, 0x80000000, v4, v5
	v_cvt_i32_f32_e32 v6, v4
.LBB55_1453:
	s_mov_b32 s6, 0
.LBB55_1454:
	s_delay_alu instid0(SALU_CYCLE_1)
	s_and_not1_b32 vcc_lo, exec_lo, s6
	s_cbranch_vccnz .LBB55_1456
; %bb.1455:
	global_load_u8 v4, v[0:1], off
	s_wait_loadcnt 0x0
	v_lshlrev_b32_e32 v5, 25, v4
	v_lshlrev_b16 v4, 8, v4
	s_delay_alu instid0(VALU_DEP_1) | instskip(SKIP_1) | instid1(VALU_DEP_2)
	v_and_or_b32 v7, 0x7f00, v4, 0.5
	v_bfe_i32 v4, v4, 0, 16
	v_dual_add_f32 v7, -0.5, v7 :: v_dual_lshrrev_b32 v6, 4, v5
	v_cmp_gt_u32_e32 vcc_lo, 0x8000000, v5
	s_delay_alu instid0(VALU_DEP_2) | instskip(NEXT) | instid1(VALU_DEP_1)
	v_or_b32_e32 v6, 0x70000000, v6
	v_mul_f32_e32 v6, 0x7800000, v6
	s_delay_alu instid0(VALU_DEP_1) | instskip(NEXT) | instid1(VALU_DEP_1)
	v_cndmask_b32_e32 v5, v6, v7, vcc_lo
	v_and_or_b32 v4, 0x80000000, v4, v5
	s_delay_alu instid0(VALU_DEP_1)
	v_cvt_i32_f32_e32 v6, v4
.LBB55_1456:
	s_mov_b32 s6, 0
	s_mov_b32 s7, -1
.LBB55_1457:
	s_and_not1_b32 vcc_lo, exec_lo, s6
	s_mov_b32 s6, 0
	s_cbranch_vccnz .LBB55_1468
; %bb.1458:
	s_cmp_gt_i32 s4, 14
	s_cbranch_scc0 .LBB55_1461
; %bb.1459:
	s_cmp_eq_u32 s4, 15
	s_cbranch_scc0 .LBB55_1464
; %bb.1460:
	global_load_u16 v4, v[0:1], off
	s_mov_b32 s5, 0
	s_mov_b32 s7, -1
	s_wait_loadcnt 0x0
	v_lshlrev_b32_e32 v4, 16, v4
	s_delay_alu instid0(VALU_DEP_1)
	v_cvt_i32_f32_e32 v6, v4
	s_branch .LBB55_1466
.LBB55_1461:
	s_mov_b32 s6, -1
	s_branch .LBB55_1465
.LBB55_1462:
	s_and_not1_saveexec_b32 s6, s6
	s_cbranch_execz .LBB55_1443
.LBB55_1463:
	v_cmp_ne_u16_e32 vcc_lo, 0, v4
	s_and_not1_b32 s7, s7, exec_lo
	s_and_b32 s8, vcc_lo, exec_lo
	s_delay_alu instid0(SALU_CYCLE_1)
	s_or_b32 s7, s7, s8
	s_or_b32 exec_lo, exec_lo, s6
	v_mov_b32_e32 v6, 0
	s_and_saveexec_b32 s6, s7
	s_cbranch_execnz .LBB55_1444
	s_branch .LBB55_1445
.LBB55_1464:
	s_mov_b32 s5, -1
.LBB55_1465:
                                        ; implicit-def: $vgpr6
.LBB55_1466:
	s_and_b32 vcc_lo, exec_lo, s6
	s_mov_b32 s6, 0
	s_cbranch_vccz .LBB55_1468
; %bb.1467:
	s_cmp_lg_u32 s4, 11
	s_mov_b32 s6, -1
	s_cselect_b32 s4, -1, 0
	s_and_not1_b32 s5, s5, exec_lo
	s_and_b32 s4, s4, exec_lo
	s_delay_alu instid0(SALU_CYCLE_1)
	s_or_b32 s5, s5, s4
.LBB55_1468:
	s_mov_b32 s4, 0
.LBB55_1469:
	s_and_b32 s8, s7, exec_lo
	s_and_not1_b32 s7, s43, exec_lo
	s_and_b32 s10, s5, exec_lo
	s_and_b32 s4, s4, exec_lo
	;; [unrolled: 1-line block ×3, first 2 shown]
	s_or_b32 s43, s7, s10
	s_wait_xcnt 0x0
	s_or_b32 exec_lo, exec_lo, s0
	s_and_saveexec_b32 s0, s43
	s_cbranch_execz .LBB55_1402
.LBB55_1470:
	s_or_b32 s1, s1, exec_lo
	s_and_not1_b32 s5, s5, exec_lo
	s_trap 2
	s_or_b32 exec_lo, exec_lo, s0
	s_and_saveexec_b32 s0, s5
	s_delay_alu instid0(SALU_CYCLE_1)
	s_xor_b32 s0, exec_lo, s0
	s_cbranch_execnz .LBB55_1403
.LBB55_1471:
	s_or_b32 exec_lo, exec_lo, s0
	s_and_saveexec_b32 s0, s4
	s_cbranch_execz .LBB55_1517
.LBB55_1472:
	s_sext_i32_i16 s4, s9
	s_delay_alu instid0(SALU_CYCLE_1)
	s_cmp_lt_i32 s4, 5
	s_cbranch_scc1 .LBB55_1477
; %bb.1473:
	s_cmp_lt_i32 s4, 8
	s_cbranch_scc1 .LBB55_1478
; %bb.1474:
	;; [unrolled: 3-line block ×3, first 2 shown]
	s_cmp_gt_i32 s4, 9
	s_cbranch_scc0 .LBB55_1480
; %bb.1476:
	s_wait_loadcnt 0x0
	global_load_b64 v[4:5], v[0:1], off
	s_mov_b32 s4, 0
	s_wait_loadcnt 0x0
	v_cvt_i32_f64_e32 v6, v[4:5]
	s_branch .LBB55_1481
.LBB55_1477:
                                        ; implicit-def: $vgpr6
	s_branch .LBB55_1498
.LBB55_1478:
                                        ; implicit-def: $vgpr6
	s_branch .LBB55_1487
.LBB55_1479:
	s_mov_b32 s4, -1
                                        ; implicit-def: $vgpr6
	s_branch .LBB55_1484
.LBB55_1480:
	s_mov_b32 s4, -1
                                        ; implicit-def: $vgpr6
.LBB55_1481:
	s_delay_alu instid0(SALU_CYCLE_1)
	s_and_not1_b32 vcc_lo, exec_lo, s4
	s_cbranch_vccnz .LBB55_1483
; %bb.1482:
	s_wait_loadcnt 0x0
	global_load_b32 v4, v[0:1], off
	s_wait_loadcnt 0x0
	v_cvt_i32_f32_e32 v6, v4
.LBB55_1483:
	s_mov_b32 s4, 0
.LBB55_1484:
	s_delay_alu instid0(SALU_CYCLE_1)
	s_and_not1_b32 vcc_lo, exec_lo, s4
	s_cbranch_vccnz .LBB55_1486
; %bb.1485:
	s_wait_loadcnt 0x0
	global_load_b32 v4, v[0:1], off
	s_wait_loadcnt 0x0
	v_cvt_f32_f16_e32 v4, v4
	s_delay_alu instid0(VALU_DEP_1)
	v_cvt_i32_f32_e32 v6, v4
.LBB55_1486:
	s_cbranch_execnz .LBB55_1497
.LBB55_1487:
	s_sext_i32_i16 s4, s9
	s_delay_alu instid0(SALU_CYCLE_1)
	s_cmp_lt_i32 s4, 6
	s_cbranch_scc1 .LBB55_1490
; %bb.1488:
	s_cmp_gt_i32 s4, 6
	s_cbranch_scc0 .LBB55_1491
; %bb.1489:
	s_wait_loadcnt 0x0
	global_load_b64 v[4:5], v[0:1], off
	s_mov_b32 s4, 0
	s_wait_loadcnt 0x0
	v_cvt_i32_f64_e32 v6, v[4:5]
	s_branch .LBB55_1492
.LBB55_1490:
	s_mov_b32 s4, -1
                                        ; implicit-def: $vgpr6
	s_branch .LBB55_1495
.LBB55_1491:
	s_mov_b32 s4, -1
                                        ; implicit-def: $vgpr6
.LBB55_1492:
	s_delay_alu instid0(SALU_CYCLE_1)
	s_and_not1_b32 vcc_lo, exec_lo, s4
	s_cbranch_vccnz .LBB55_1494
; %bb.1493:
	s_wait_loadcnt 0x0
	global_load_b32 v4, v[0:1], off
	s_wait_loadcnt 0x0
	v_cvt_i32_f32_e32 v6, v4
.LBB55_1494:
	s_mov_b32 s4, 0
.LBB55_1495:
	s_delay_alu instid0(SALU_CYCLE_1)
	s_and_not1_b32 vcc_lo, exec_lo, s4
	s_cbranch_vccnz .LBB55_1497
; %bb.1496:
	s_wait_loadcnt 0x0
	global_load_u16 v4, v[0:1], off
	s_wait_loadcnt 0x0
	v_cvt_f32_f16_e32 v4, v4
	s_delay_alu instid0(VALU_DEP_1)
	v_cvt_i32_f32_e32 v6, v4
.LBB55_1497:
	s_cbranch_execnz .LBB55_1516
.LBB55_1498:
	s_sext_i32_i16 s4, s9
	s_delay_alu instid0(SALU_CYCLE_1)
	s_cmp_lt_i32 s4, 2
	s_cbranch_scc1 .LBB55_1502
; %bb.1499:
	s_cmp_lt_i32 s4, 3
	s_cbranch_scc1 .LBB55_1503
; %bb.1500:
	s_cmp_gt_i32 s4, 3
	s_cbranch_scc0 .LBB55_1504
; %bb.1501:
	s_wait_loadcnt 0x0
	global_load_b32 v6, v[0:1], off
	s_mov_b32 s4, 0
	s_branch .LBB55_1505
.LBB55_1502:
                                        ; implicit-def: $vgpr6
	s_branch .LBB55_1511
.LBB55_1503:
	s_mov_b32 s4, -1
                                        ; implicit-def: $vgpr6
	s_branch .LBB55_1508
.LBB55_1504:
	s_mov_b32 s4, -1
                                        ; implicit-def: $vgpr6
.LBB55_1505:
	s_delay_alu instid0(SALU_CYCLE_1)
	s_and_not1_b32 vcc_lo, exec_lo, s4
	s_cbranch_vccnz .LBB55_1507
; %bb.1506:
	s_wait_loadcnt 0x0
	global_load_b32 v6, v[0:1], off
.LBB55_1507:
	s_mov_b32 s4, 0
.LBB55_1508:
	s_delay_alu instid0(SALU_CYCLE_1)
	s_and_not1_b32 vcc_lo, exec_lo, s4
	s_cbranch_vccnz .LBB55_1510
; %bb.1509:
	s_wait_loadcnt 0x0
	global_load_i16 v6, v[0:1], off
.LBB55_1510:
	s_cbranch_execnz .LBB55_1516
.LBB55_1511:
	s_sext_i32_i16 s4, s9
	s_delay_alu instid0(SALU_CYCLE_1)
	s_cmp_gt_i32 s4, 0
	s_mov_b32 s4, 0
	s_cbranch_scc0 .LBB55_1513
; %bb.1512:
	s_wait_loadcnt 0x0
	global_load_i8 v6, v[0:1], off
	s_branch .LBB55_1514
.LBB55_1513:
	s_mov_b32 s4, -1
                                        ; implicit-def: $vgpr6
.LBB55_1514:
	s_delay_alu instid0(SALU_CYCLE_1)
	s_and_not1_b32 vcc_lo, exec_lo, s4
	s_cbranch_vccnz .LBB55_1516
; %bb.1515:
	s_wait_loadcnt 0x0
	global_load_u8 v6, v[0:1], off
.LBB55_1516:
	s_or_b32 s8, s8, exec_lo
.LBB55_1517:
	s_wait_xcnt 0x0
	s_or_b32 exec_lo, exec_lo, s0
	s_mov_b32 s0, 0
	s_mov_b32 s6, 0
                                        ; implicit-def: $sgpr4
                                        ; implicit-def: $vgpr4_vgpr5
                                        ; implicit-def: $vgpr0
	s_and_saveexec_b32 s5, s8
	s_cbranch_execz .LBB55_1525
; %bb.1518:
	s_wait_loadcnt 0x0
	v_mul_lo_u32 v0, v3, s16
	v_mov_b32_e32 v3, 0
	s_and_b32 s4, s17, 0xff
	s_delay_alu instid0(SALU_CYCLE_1) | instskip(NEXT) | instid1(VALU_DEP_1)
	s_cmp_lt_i32 s4, 11
	v_add_nc_u64_e32 v[4:5], s[18:19], v[2:3]
	s_delay_alu instid0(VALU_DEP_3)
	v_mul_lo_u32 v0, v0, v6
	s_cbranch_scc1 .LBB55_1528
; %bb.1519:
	s_and_b32 s6, 0xffff, s4
	s_mov_b32 s7, -1
	s_cmp_gt_i32 s6, 25
	s_mov_b32 s0, s42
	s_cbranch_scc0 .LBB55_1556
; %bb.1520:
	s_cmp_gt_i32 s6, 28
	s_mov_b32 s0, s42
	s_cbranch_scc0 .LBB55_1540
; %bb.1521:
	s_cmp_gt_i32 s6, 43
	s_mov_b32 s0, s42
	s_cbranch_scc0 .LBB55_1536
; %bb.1522:
	s_cmp_gt_i32 s6, 45
	s_mov_b32 s0, s42
	s_cbranch_scc0 .LBB55_1530
; %bb.1523:
	s_cmp_eq_u32 s6, 46
	s_mov_b32 s0, -1
	s_cbranch_scc0 .LBB55_1529
; %bb.1524:
	v_cvt_f32_i32_e32 v1, v0
	s_mov_b32 s0, 0
	s_mov_b32 s7, 0
	s_delay_alu instid0(VALU_DEP_1) | instskip(NEXT) | instid1(VALU_DEP_1)
	v_bfe_u32 v2, v1, 16, 1
	v_add3_u32 v1, v1, v2, 0x7fff
	s_delay_alu instid0(VALU_DEP_1)
	v_lshrrev_b32_e32 v1, 16, v1
	global_store_b32 v[4:5], v1, off
	s_branch .LBB55_1530
.LBB55_1525:
	s_or_b32 exec_lo, exec_lo, s5
	s_and_saveexec_b32 s5, s42
	s_cbranch_execnz .LBB55_1598
.LBB55_1526:
	s_or_b32 exec_lo, exec_lo, s5
	s_and_saveexec_b32 s5, s0
	s_delay_alu instid0(SALU_CYCLE_1)
	s_xor_b32 s0, exec_lo, s5
	s_cbranch_execz .LBB55_1599
.LBB55_1527:
	v_cmp_ne_u32_e32 vcc_lo, 0, v0
	s_wait_loadcnt 0x0
	v_cndmask_b32_e64 v1, 0, 1, vcc_lo
	global_store_b8 v[4:5], v1, off
	s_wait_xcnt 0x0
	s_or_b32 exec_lo, exec_lo, s0
	s_and_saveexec_b32 s0, s6
	s_delay_alu instid0(SALU_CYCLE_1)
	s_xor_b32 s0, exec_lo, s0
	s_cbranch_execz .LBB55_1637
	s_branch .LBB55_1600
.LBB55_1528:
	s_mov_b32 s8, 0
	s_mov_b32 s7, -1
	s_mov_b32 s0, s42
	s_branch .LBB55_1597
.LBB55_1529:
	s_mov_b32 s7, 0
.LBB55_1530:
	s_delay_alu instid0(SALU_CYCLE_1)
	s_and_b32 vcc_lo, exec_lo, s7
	s_cbranch_vccz .LBB55_1535
; %bb.1531:
	s_cmp_eq_u32 s6, 44
	s_mov_b32 s0, -1
	s_cbranch_scc0 .LBB55_1535
; %bb.1532:
	s_wait_xcnt 0x0
	v_cvt_f32_i32_e32 v1, v0
	v_mov_b32_e32 v2, 0xff
	s_mov_b32 s7, exec_lo
	s_delay_alu instid0(VALU_DEP_2) | instskip(NEXT) | instid1(VALU_DEP_1)
	v_bfe_u32 v3, v1, 23, 8
	v_cmpx_ne_u32_e32 0xff, v3
	s_cbranch_execz .LBB55_1534
; %bb.1533:
	v_and_b32_e32 v2, 0x400000, v1
	v_and_or_b32 v3, 0x3fffff, v1, v3
	v_lshrrev_b32_e32 v1, 23, v1
	s_delay_alu instid0(VALU_DEP_3) | instskip(NEXT) | instid1(VALU_DEP_3)
	v_cmp_ne_u32_e32 vcc_lo, 0, v2
	v_cmp_ne_u32_e64 s0, 0, v3
	s_and_b32 s0, vcc_lo, s0
	s_delay_alu instid0(SALU_CYCLE_1) | instskip(NEXT) | instid1(VALU_DEP_1)
	v_cndmask_b32_e64 v2, 0, 1, s0
	v_add_nc_u32_e32 v2, v1, v2
.LBB55_1534:
	s_or_b32 exec_lo, exec_lo, s7
	s_mov_b32 s0, 0
	global_store_b8 v[4:5], v2, off
.LBB55_1535:
	s_mov_b32 s7, 0
.LBB55_1536:
	s_delay_alu instid0(SALU_CYCLE_1)
	s_and_b32 vcc_lo, exec_lo, s7
	s_cbranch_vccz .LBB55_1539
; %bb.1537:
	s_cmp_eq_u32 s6, 29
	s_mov_b32 s0, -1
	s_cbranch_scc0 .LBB55_1539
; %bb.1538:
	s_wait_xcnt 0x0
	v_ashrrev_i32_e32 v1, 31, v0
	s_mov_b32 s0, 0
	s_mov_b32 s7, 0
	global_store_b64 v[4:5], v[0:1], off
	s_branch .LBB55_1540
.LBB55_1539:
	s_mov_b32 s7, 0
.LBB55_1540:
	s_delay_alu instid0(SALU_CYCLE_1)
	s_and_b32 vcc_lo, exec_lo, s7
	s_cbranch_vccz .LBB55_1555
; %bb.1541:
	s_cmp_lt_i32 s6, 27
	s_mov_b32 s7, -1
	s_cbranch_scc1 .LBB55_1547
; %bb.1542:
	s_cmp_gt_i32 s6, 27
	s_cbranch_scc0 .LBB55_1544
; %bb.1543:
	s_mov_b32 s7, 0
	global_store_b32 v[4:5], v0, off
.LBB55_1544:
	s_and_not1_b32 vcc_lo, exec_lo, s7
	s_cbranch_vccnz .LBB55_1546
; %bb.1545:
	global_store_b16 v[4:5], v0, off
.LBB55_1546:
	s_mov_b32 s7, 0
.LBB55_1547:
	s_delay_alu instid0(SALU_CYCLE_1)
	s_and_not1_b32 vcc_lo, exec_lo, s7
	s_cbranch_vccnz .LBB55_1555
; %bb.1548:
	s_wait_xcnt 0x0
	v_cvt_f32_i32_e32 v1, v0
	v_mov_b32_e32 v3, 0x80
	s_mov_b32 s7, exec_lo
	s_delay_alu instid0(VALU_DEP_2) | instskip(NEXT) | instid1(VALU_DEP_1)
	v_and_b32_e32 v2, 0x7fffffff, v1
	v_cmpx_gt_u32_e32 0x43800000, v2
	s_cbranch_execz .LBB55_1554
; %bb.1549:
	v_cmp_lt_u32_e32 vcc_lo, 0x3bffffff, v2
	s_mov_b32 s8, 0
                                        ; implicit-def: $vgpr2
	s_and_saveexec_b32 s9, vcc_lo
	s_delay_alu instid0(SALU_CYCLE_1)
	s_xor_b32 s9, exec_lo, s9
	s_cbranch_execz .LBB55_1713
; %bb.1550:
	v_bfe_u32 v2, v1, 20, 1
	s_mov_b32 s8, exec_lo
	s_delay_alu instid0(VALU_DEP_1) | instskip(NEXT) | instid1(VALU_DEP_1)
	v_add3_u32 v2, v1, v2, 0x487ffff
	v_lshrrev_b32_e32 v2, 20, v2
	s_and_not1_saveexec_b32 s9, s9
	s_cbranch_execnz .LBB55_1714
.LBB55_1551:
	s_or_b32 exec_lo, exec_lo, s9
	v_mov_b32_e32 v3, 0
	s_and_saveexec_b32 s9, s8
.LBB55_1552:
	v_lshrrev_b32_e32 v1, 24, v1
	s_delay_alu instid0(VALU_DEP_1)
	v_and_or_b32 v3, 0x80, v1, v2
.LBB55_1553:
	s_or_b32 exec_lo, exec_lo, s9
.LBB55_1554:
	s_delay_alu instid0(SALU_CYCLE_1)
	s_or_b32 exec_lo, exec_lo, s7
	global_store_b8 v[4:5], v3, off
.LBB55_1555:
	s_mov_b32 s7, 0
.LBB55_1556:
	s_delay_alu instid0(SALU_CYCLE_1)
	s_and_b32 vcc_lo, exec_lo, s7
	s_mov_b32 s7, 0
	s_cbranch_vccz .LBB55_1596
; %bb.1557:
	s_cmp_gt_i32 s6, 22
	s_mov_b32 s8, -1
	s_cbranch_scc0 .LBB55_1589
; %bb.1558:
	s_cmp_lt_i32 s6, 24
	s_cbranch_scc1 .LBB55_1578
; %bb.1559:
	s_cmp_gt_i32 s6, 24
	s_cbranch_scc0 .LBB55_1567
; %bb.1560:
	s_wait_xcnt 0x0
	v_cvt_f32_i32_e32 v1, v0
	v_mov_b32_e32 v3, 0x80
	s_mov_b32 s8, exec_lo
	s_delay_alu instid0(VALU_DEP_2) | instskip(NEXT) | instid1(VALU_DEP_1)
	v_and_b32_e32 v2, 0x7fffffff, v1
	v_cmpx_gt_u32_e32 0x47800000, v2
	s_cbranch_execz .LBB55_1566
; %bb.1561:
	v_cmp_lt_u32_e32 vcc_lo, 0x37ffffff, v2
	s_mov_b32 s9, 0
                                        ; implicit-def: $vgpr2
	s_and_saveexec_b32 s10, vcc_lo
	s_delay_alu instid0(SALU_CYCLE_1)
	s_xor_b32 s10, exec_lo, s10
	s_cbranch_execz .LBB55_1716
; %bb.1562:
	v_bfe_u32 v2, v1, 21, 1
	s_mov_b32 s9, exec_lo
	s_delay_alu instid0(VALU_DEP_1) | instskip(NEXT) | instid1(VALU_DEP_1)
	v_add3_u32 v2, v1, v2, 0x88fffff
	v_lshrrev_b32_e32 v2, 21, v2
	s_and_not1_saveexec_b32 s10, s10
	s_cbranch_execnz .LBB55_1717
.LBB55_1563:
	s_or_b32 exec_lo, exec_lo, s10
	v_mov_b32_e32 v3, 0
	s_and_saveexec_b32 s10, s9
.LBB55_1564:
	v_lshrrev_b32_e32 v1, 24, v1
	s_delay_alu instid0(VALU_DEP_1)
	v_and_or_b32 v3, 0x80, v1, v2
.LBB55_1565:
	s_or_b32 exec_lo, exec_lo, s10
.LBB55_1566:
	s_delay_alu instid0(SALU_CYCLE_1)
	s_or_b32 exec_lo, exec_lo, s8
	s_mov_b32 s8, 0
	global_store_b8 v[4:5], v3, off
.LBB55_1567:
	s_and_b32 vcc_lo, exec_lo, s8
	s_cbranch_vccz .LBB55_1577
; %bb.1568:
	s_wait_xcnt 0x0
	v_cvt_f32_i32_e32 v1, v0
	s_mov_b32 s8, exec_lo
                                        ; implicit-def: $vgpr2
	s_delay_alu instid0(VALU_DEP_1) | instskip(NEXT) | instid1(VALU_DEP_1)
	v_and_b32_e32 v3, 0x7fffffff, v1
	v_cmpx_gt_u32_e32 0x43f00000, v3
	s_xor_b32 s8, exec_lo, s8
	s_cbranch_execz .LBB55_1574
; %bb.1569:
	s_mov_b32 s9, exec_lo
                                        ; implicit-def: $vgpr2
	v_cmpx_lt_u32_e32 0x3c7fffff, v3
	s_xor_b32 s9, exec_lo, s9
; %bb.1570:
	v_bfe_u32 v2, v1, 20, 1
	s_delay_alu instid0(VALU_DEP_1) | instskip(NEXT) | instid1(VALU_DEP_1)
	v_add3_u32 v2, v1, v2, 0x407ffff
	v_and_b32_e32 v3, 0xff00000, v2
	v_lshrrev_b32_e32 v2, 20, v2
	s_delay_alu instid0(VALU_DEP_2) | instskip(NEXT) | instid1(VALU_DEP_2)
	v_cmp_ne_u32_e32 vcc_lo, 0x7f00000, v3
	v_cndmask_b32_e32 v2, 0x7e, v2, vcc_lo
; %bb.1571:
	s_and_not1_saveexec_b32 s9, s9
; %bb.1572:
	v_add_f32_e64 v2, 0x46800000, |v1|
; %bb.1573:
	s_or_b32 exec_lo, exec_lo, s9
                                        ; implicit-def: $vgpr3
.LBB55_1574:
	s_and_not1_saveexec_b32 s8, s8
; %bb.1575:
	v_mov_b32_e32 v2, 0x7f
	v_cmp_lt_u32_e32 vcc_lo, 0x7f800000, v3
	s_delay_alu instid0(VALU_DEP_2)
	v_cndmask_b32_e32 v2, 0x7e, v2, vcc_lo
; %bb.1576:
	s_or_b32 exec_lo, exec_lo, s8
	v_lshrrev_b32_e32 v1, 24, v1
	s_delay_alu instid0(VALU_DEP_1)
	v_and_or_b32 v1, 0x80, v1, v2
	global_store_b8 v[4:5], v1, off
.LBB55_1577:
	s_mov_b32 s8, 0
.LBB55_1578:
	s_delay_alu instid0(SALU_CYCLE_1)
	s_and_not1_b32 vcc_lo, exec_lo, s8
	s_cbranch_vccnz .LBB55_1588
; %bb.1579:
	s_wait_xcnt 0x0
	v_cvt_f32_i32_e32 v1, v0
	s_mov_b32 s8, exec_lo
                                        ; implicit-def: $vgpr2
	s_delay_alu instid0(VALU_DEP_1) | instskip(NEXT) | instid1(VALU_DEP_1)
	v_and_b32_e32 v3, 0x7fffffff, v1
	v_cmpx_gt_u32_e32 0x47800000, v3
	s_xor_b32 s8, exec_lo, s8
	s_cbranch_execz .LBB55_1585
; %bb.1580:
	s_mov_b32 s9, exec_lo
                                        ; implicit-def: $vgpr2
	v_cmpx_lt_u32_e32 0x387fffff, v3
	s_xor_b32 s9, exec_lo, s9
; %bb.1581:
	v_bfe_u32 v2, v1, 21, 1
	s_delay_alu instid0(VALU_DEP_1) | instskip(NEXT) | instid1(VALU_DEP_1)
	v_add3_u32 v2, v1, v2, 0x80fffff
	v_lshrrev_b32_e32 v2, 21, v2
; %bb.1582:
	s_and_not1_saveexec_b32 s9, s9
; %bb.1583:
	v_add_f32_e64 v2, 0x43000000, |v1|
; %bb.1584:
	s_or_b32 exec_lo, exec_lo, s9
                                        ; implicit-def: $vgpr3
.LBB55_1585:
	s_and_not1_saveexec_b32 s8, s8
; %bb.1586:
	v_mov_b32_e32 v2, 0x7f
	v_cmp_lt_u32_e32 vcc_lo, 0x7f800000, v3
	s_delay_alu instid0(VALU_DEP_2)
	v_cndmask_b32_e32 v2, 0x7c, v2, vcc_lo
; %bb.1587:
	s_or_b32 exec_lo, exec_lo, s8
	v_lshrrev_b32_e32 v1, 24, v1
	s_delay_alu instid0(VALU_DEP_1)
	v_and_or_b32 v1, 0x80, v1, v2
	global_store_b8 v[4:5], v1, off
.LBB55_1588:
	s_mov_b32 s8, 0
.LBB55_1589:
	s_delay_alu instid0(SALU_CYCLE_1)
	s_and_not1_b32 vcc_lo, exec_lo, s8
	s_mov_b32 s8, 0
	s_cbranch_vccnz .LBB55_1597
; %bb.1590:
	s_cmp_gt_i32 s6, 14
	s_mov_b32 s8, -1
	s_cbranch_scc0 .LBB55_1594
; %bb.1591:
	s_cmp_eq_u32 s6, 15
	s_mov_b32 s0, -1
	s_cbranch_scc0 .LBB55_1593
; %bb.1592:
	s_wait_xcnt 0x0
	v_cvt_f32_i32_e32 v1, v0
	s_mov_b32 s0, 0
	s_delay_alu instid0(VALU_DEP_1) | instskip(NEXT) | instid1(VALU_DEP_1)
	v_bfe_u32 v2, v1, 16, 1
	v_add3_u32 v1, v1, v2, 0x7fff
	global_store_d16_hi_b16 v[4:5], v1, off
.LBB55_1593:
	s_mov_b32 s8, 0
.LBB55_1594:
	s_delay_alu instid0(SALU_CYCLE_1)
	s_and_b32 vcc_lo, exec_lo, s8
	s_mov_b32 s8, 0
	s_cbranch_vccz .LBB55_1597
; %bb.1595:
	s_cmp_lg_u32 s6, 11
	s_mov_b32 s8, -1
	s_cselect_b32 s6, -1, 0
	s_and_not1_b32 s0, s0, exec_lo
	s_and_b32 s6, s6, exec_lo
	s_delay_alu instid0(SALU_CYCLE_1)
	s_or_b32 s0, s0, s6
	s_branch .LBB55_1597
.LBB55_1596:
	s_mov_b32 s8, 0
.LBB55_1597:
	s_and_b32 s6, s7, exec_lo
	s_and_not1_b32 s7, s42, exec_lo
	s_and_b32 s9, s0, exec_lo
	s_and_b32 s0, s8, exec_lo
	s_or_b32 s42, s7, s9
	s_wait_xcnt 0x0
	s_or_b32 exec_lo, exec_lo, s5
	s_and_saveexec_b32 s5, s42
	s_cbranch_execz .LBB55_1526
.LBB55_1598:
	s_or_b32 s1, s1, exec_lo
	s_and_not1_b32 s0, s0, exec_lo
	s_trap 2
	s_or_b32 exec_lo, exec_lo, s5
	s_and_saveexec_b32 s5, s0
	s_delay_alu instid0(SALU_CYCLE_1)
	s_xor_b32 s0, exec_lo, s5
	s_cbranch_execnz .LBB55_1527
.LBB55_1599:
	s_or_b32 exec_lo, exec_lo, s0
	s_and_saveexec_b32 s0, s6
	s_delay_alu instid0(SALU_CYCLE_1)
	s_xor_b32 s0, exec_lo, s0
	s_cbranch_execz .LBB55_1637
.LBB55_1600:
	s_sext_i32_i16 s6, s4
	s_mov_b32 s5, -1
	s_cmp_lt_i32 s6, 5
	s_cbranch_scc1 .LBB55_1621
; %bb.1601:
	s_cmp_lt_i32 s6, 8
	s_cbranch_scc1 .LBB55_1611
; %bb.1602:
	;; [unrolled: 3-line block ×3, first 2 shown]
	s_cmp_gt_i32 s6, 9
	s_cbranch_scc0 .LBB55_1605
; %bb.1604:
	s_wait_loadcnt 0x0
	v_cvt_f64_i32_e32 v[6:7], v0
	v_mov_b32_e32 v8, 0
	s_mov_b32 s5, 0
	s_delay_alu instid0(VALU_DEP_1)
	v_mov_b32_e32 v9, v8
	global_store_b128 v[4:5], v[6:9], off
.LBB55_1605:
	s_and_not1_b32 vcc_lo, exec_lo, s5
	s_cbranch_vccnz .LBB55_1607
; %bb.1606:
	v_cvt_f32_i32_e32 v2, v0
	s_wait_loadcnt 0x0
	v_mov_b32_e32 v3, 0
	global_store_b64 v[4:5], v[2:3], off
.LBB55_1607:
	s_mov_b32 s5, 0
.LBB55_1608:
	s_delay_alu instid0(SALU_CYCLE_1)
	s_and_not1_b32 vcc_lo, exec_lo, s5
	s_cbranch_vccnz .LBB55_1610
; %bb.1609:
	s_wait_loadcnt 0x0
	v_cvt_f32_i32_e32 v1, v0
	s_delay_alu instid0(VALU_DEP_1) | instskip(NEXT) | instid1(VALU_DEP_1)
	v_cvt_f16_f32_e32 v1, v1
	v_and_b32_e32 v1, 0xffff, v1
	global_store_b32 v[4:5], v1, off
.LBB55_1610:
	s_mov_b32 s5, 0
.LBB55_1611:
	s_delay_alu instid0(SALU_CYCLE_1)
	s_and_not1_b32 vcc_lo, exec_lo, s5
	s_cbranch_vccnz .LBB55_1620
; %bb.1612:
	s_sext_i32_i16 s6, s4
	s_mov_b32 s5, -1
	s_cmp_lt_i32 s6, 6
	s_cbranch_scc1 .LBB55_1618
; %bb.1613:
	s_cmp_gt_i32 s6, 6
	s_cbranch_scc0 .LBB55_1615
; %bb.1614:
	s_wait_loadcnt 0x0
	v_cvt_f64_i32_e32 v[2:3], v0
	s_mov_b32 s5, 0
	global_store_b64 v[4:5], v[2:3], off
.LBB55_1615:
	s_and_not1_b32 vcc_lo, exec_lo, s5
	s_cbranch_vccnz .LBB55_1617
; %bb.1616:
	s_wait_loadcnt 0x0
	v_cvt_f32_i32_e32 v1, v0
	global_store_b32 v[4:5], v1, off
.LBB55_1617:
	s_mov_b32 s5, 0
.LBB55_1618:
	s_delay_alu instid0(SALU_CYCLE_1)
	s_and_not1_b32 vcc_lo, exec_lo, s5
	s_cbranch_vccnz .LBB55_1620
; %bb.1619:
	s_wait_loadcnt 0x0
	v_cvt_f32_i32_e32 v1, v0
	s_delay_alu instid0(VALU_DEP_1)
	v_cvt_f16_f32_e32 v1, v1
	global_store_b16 v[4:5], v1, off
.LBB55_1620:
	s_mov_b32 s5, 0
.LBB55_1621:
	s_delay_alu instid0(SALU_CYCLE_1)
	s_and_not1_b32 vcc_lo, exec_lo, s5
	s_cbranch_vccnz .LBB55_1637
; %bb.1622:
	s_sext_i32_i16 s6, s4
	s_mov_b32 s5, -1
	s_cmp_lt_i32 s6, 2
	s_cbranch_scc1 .LBB55_1632
; %bb.1623:
	s_cmp_lt_i32 s6, 3
	s_cbranch_scc1 .LBB55_1629
; %bb.1624:
	s_cmp_gt_i32 s6, 3
	s_cbranch_scc0 .LBB55_1626
; %bb.1625:
	s_wait_loadcnt 0x0
	v_ashrrev_i32_e32 v1, 31, v0
	s_mov_b32 s5, 0
	global_store_b64 v[4:5], v[0:1], off
.LBB55_1626:
	s_and_not1_b32 vcc_lo, exec_lo, s5
	s_cbranch_vccnz .LBB55_1628
; %bb.1627:
	global_store_b32 v[4:5], v0, off
.LBB55_1628:
	s_mov_b32 s5, 0
.LBB55_1629:
	s_delay_alu instid0(SALU_CYCLE_1)
	s_and_not1_b32 vcc_lo, exec_lo, s5
	s_cbranch_vccnz .LBB55_1631
; %bb.1630:
	global_store_b16 v[4:5], v0, off
.LBB55_1631:
	s_mov_b32 s5, 0
.LBB55_1632:
	s_delay_alu instid0(SALU_CYCLE_1)
	s_and_not1_b32 vcc_lo, exec_lo, s5
	s_cbranch_vccnz .LBB55_1637
; %bb.1633:
	s_sext_i32_i16 s4, s4
	s_delay_alu instid0(SALU_CYCLE_1)
	s_cmp_gt_i32 s4, 0
	s_mov_b32 s4, -1
	s_cbranch_scc0 .LBB55_1635
; %bb.1634:
	s_mov_b32 s4, 0
	global_store_b8 v[4:5], v0, off
.LBB55_1635:
	s_and_not1_b32 vcc_lo, exec_lo, s4
	s_cbranch_vccnz .LBB55_1637
; %bb.1636:
	global_store_b8 v[4:5], v0, off
.LBB55_1637:
	s_wait_xcnt 0x0
	s_or_b32 exec_lo, exec_lo, s0
	s_delay_alu instid0(SALU_CYCLE_1)
	s_and_b32 s8, s1, exec_lo
                                        ; implicit-def: $vgpr1
                                        ; implicit-def: $vgpr0
.LBB55_1638:
	s_or_saveexec_b32 s9, s34
	s_mov_b32 s0, 0
                                        ; implicit-def: $vgpr2_vgpr3
                                        ; implicit-def: $sgpr1
                                        ; implicit-def: $vgpr4
	s_xor_b32 exec_lo, exec_lo, s9
	s_cbranch_execz .LBB55_3218
; %bb.1639:
	s_wait_loadcnt 0x0
	v_cndmask_b32_e64 v3, 0, 1, s33
	s_and_not1_b32 vcc_lo, exec_lo, s33
	s_cbranch_vccnz .LBB55_1645
; %bb.1640:
	s_cmp_lg_u32 s15, 0
	s_mov_b32 s6, 0
	s_cbranch_scc0 .LBB55_1649
; %bb.1641:
	s_min_u32 s7, s30, 15
	v_dual_mov_b32 v6, 0 :: v_dual_mov_b32 v2, v0
	v_dual_mov_b32 v22, 0 :: v_dual_mov_b32 v20, 0
	s_add_co_i32 s4, s7, 1
	s_mov_b64 s[0:1], 0xffffffffffffffe0
	s_and_b32 s10, s4, 30
	s_add_nc_u64 s[0:1], s[2:3], s[0:1]
	s_mov_b64 s[4:5], s[2:3]
.LBB55_1642:                            ; =>This Inner Loop Header: Depth=1
	s_clause 0x1
	s_load_b128 s[16:19], s[4:5], 0x4
	s_load_b64 s[20:21], s[4:5], 0x14
	s_clause 0x1
	s_load_b32 s11, s[0:1], 0xe4
	s_load_b96 s[12:14], s[0:1], 0xec
	s_add_co_i32 s10, s10, -2
	s_wait_xcnt 0x0
	s_add_nc_u64 s[4:5], s[4:5], 24
	s_cmp_lg_u32 s10, 0
	s_wait_kmcnt 0x0
	v_mul_hi_u32 v4, s17, v2
	s_delay_alu instid0(VALU_DEP_1) | instskip(NEXT) | instid1(VALU_DEP_1)
	v_add_nc_u32_e32 v4, v2, v4
	v_lshrrev_b32_e32 v4, s18, v4
	s_delay_alu instid0(VALU_DEP_1) | instskip(SKIP_4) | instid1(VALU_DEP_1)
	v_mul_hi_u32 v5, s20, v4
	v_mul_lo_u32 v7, v4, s16
	s_load_b64 s[16:17], s[0:1], 0xfc
	s_wait_xcnt 0x0
	s_add_nc_u64 s[0:1], s[0:1], 32
	v_dual_add_nc_u32 v5, v4, v5 :: v_dual_sub_nc_u32 v7, v2, v7
	s_delay_alu instid0(VALU_DEP_1) | instskip(NEXT) | instid1(VALU_DEP_2)
	v_lshrrev_b32_e32 v2, s21, v5
	v_mad_u32 v6, v7, s11, v6
	v_mad_u32 v8, v7, s13, v20
	;; [unrolled: 1-line block ×3, first 2 shown]
	s_delay_alu instid0(VALU_DEP_4) | instskip(NEXT) | instid1(VALU_DEP_1)
	v_mul_lo_u32 v5, v2, s19
	v_sub_nc_u32_e32 v4, v4, v5
	s_delay_alu instid0(VALU_DEP_1)
	v_mad_u32 v6, v4, s14, v6
	s_wait_kmcnt 0x0
	v_mad_u32 v20, v4, s17, v8
	v_mad_u32 v22, v4, s16, v7
	s_cbranch_scc1 .LBB55_1642
; %bb.1643:
	s_bitcmp1_b32 s7, 0
	s_cselect_b32 s7, -1, 0
	s_delay_alu instid0(SALU_CYCLE_1)
	s_and_b32 vcc_lo, exec_lo, s7
	s_cbranch_vccnz .LBB55_1646
; %bb.1644:
	s_load_b96 s[12:14], s[4:5], 0x4
	s_load_b32 s7, s[0:1], 0xe4
	s_wait_xcnt 0x0
	s_load_b64 s[4:5], s[0:1], 0xec
	s_wait_kmcnt 0x0
	v_mul_hi_u32 v4, s13, v2
	s_delay_alu instid0(VALU_DEP_1) | instskip(NEXT) | instid1(VALU_DEP_1)
	v_add_nc_u32_e32 v4, v2, v4
	v_lshrrev_b32_e32 v4, s14, v4
	s_delay_alu instid0(VALU_DEP_1) | instskip(NEXT) | instid1(VALU_DEP_1)
	v_mul_lo_u32 v4, v4, s12
	v_sub_nc_u32_e32 v2, v2, v4
	s_delay_alu instid0(VALU_DEP_1)
	v_mad_u32 v6, v2, s7, v6
	v_mad_u32 v22, v2, s4, v22
	v_mad_u32 v20, v2, s5, v20
	s_and_not1_b32 vcc_lo, exec_lo, s6
	s_cbranch_vccz .LBB55_1647
	s_branch .LBB55_1650
.LBB55_1645:
	s_mov_b32 s6, -1
                                        ; implicit-def: $vgpr20
                                        ; implicit-def: $vgpr22
                                        ; implicit-def: $vgpr6
.LBB55_1646:
	s_delay_alu instid0(SALU_CYCLE_1)
	s_and_not1_b32 vcc_lo, exec_lo, s6
	s_cbranch_vccnz .LBB55_1650
.LBB55_1647:
	s_clause 0x2
	s_load_b96 s[4:6], s[2:3], 0x4
	s_load_b32 s7, s[2:3], 0xc4
	s_load_b64 s[0:1], s[2:3], 0xcc
	s_cmp_lt_u32 s15, 2
	s_wait_kmcnt 0x0
	v_mul_hi_u32 v2, s5, v0
	s_delay_alu instid0(VALU_DEP_1) | instskip(NEXT) | instid1(VALU_DEP_1)
	v_add_nc_u32_e32 v2, v0, v2
	v_lshrrev_b32_e32 v2, s6, v2
	s_delay_alu instid0(VALU_DEP_1) | instskip(NEXT) | instid1(VALU_DEP_1)
	v_mul_lo_u32 v4, v2, s4
	v_sub_nc_u32_e32 v4, v0, v4
	s_delay_alu instid0(VALU_DEP_1)
	v_mul_lo_u32 v6, v4, s7
	v_mul_lo_u32 v20, v4, s1
	v_mul_lo_u32 v22, v4, s0
	s_cbranch_scc1 .LBB55_1650
; %bb.1648:
	s_clause 0x2
	s_load_b96 s[4:6], s[2:3], 0x10
	s_load_b32 s7, s[2:3], 0xd4
	s_load_b64 s[0:1], s[2:3], 0xdc
	s_wait_kmcnt 0x0
	v_mul_hi_u32 v4, s5, v2
	s_delay_alu instid0(VALU_DEP_1) | instskip(NEXT) | instid1(VALU_DEP_1)
	v_add_nc_u32_e32 v4, v2, v4
	v_lshrrev_b32_e32 v4, s6, v4
	s_delay_alu instid0(VALU_DEP_1) | instskip(NEXT) | instid1(VALU_DEP_1)
	v_mul_lo_u32 v4, v4, s4
	v_sub_nc_u32_e32 v2, v2, v4
	s_delay_alu instid0(VALU_DEP_1)
	v_mad_u32 v6, v2, s7, v6
	v_mad_u32 v22, v2, s0, v22
	;; [unrolled: 1-line block ×3, first 2 shown]
	s_branch .LBB55_1650
.LBB55_1649:
	v_dual_mov_b32 v20, 0 :: v_dual_mov_b32 v22, 0
	v_mov_b32_e32 v6, 0
	s_and_not1_b32 vcc_lo, exec_lo, s6
	s_cbranch_vccz .LBB55_1647
.LBB55_1650:
	v_cmp_ne_u32_e32 vcc_lo, 1, v3
	v_add_nc_u32_e32 v2, 0x80, v0
	s_cbranch_vccnz .LBB55_1656
; %bb.1651:
	s_cmp_lg_u32 s15, 0
	s_mov_b32 s6, 0
	s_cbranch_scc0 .LBB55_1660
; %bb.1652:
	s_min_u32 s7, s30, 15
	v_dual_mov_b32 v4, 0 :: v_dual_mov_b32 v5, v2
	v_dual_mov_b32 v18, 0 :: v_dual_mov_b32 v16, 0
	s_add_co_i32 s4, s7, 1
	s_mov_b64 s[0:1], 0xffffffffffffffe0
	s_and_b32 s10, s4, 30
	s_add_nc_u64 s[0:1], s[2:3], s[0:1]
	s_mov_b64 s[4:5], s[2:3]
.LBB55_1653:                            ; =>This Inner Loop Header: Depth=1
	s_clause 0x1
	s_load_b128 s[16:19], s[4:5], 0x4
	s_load_b64 s[20:21], s[4:5], 0x14
	s_clause 0x1
	s_load_b32 s11, s[0:1], 0xe4
	s_load_b96 s[12:14], s[0:1], 0xec
	s_add_co_i32 s10, s10, -2
	s_wait_xcnt 0x0
	s_add_nc_u64 s[4:5], s[4:5], 24
	s_cmp_lg_u32 s10, 0
	s_wait_kmcnt 0x0
	v_mul_hi_u32 v7, s17, v5
	s_delay_alu instid0(VALU_DEP_1) | instskip(NEXT) | instid1(VALU_DEP_1)
	v_add_nc_u32_e32 v7, v5, v7
	v_lshrrev_b32_e32 v7, s18, v7
	s_delay_alu instid0(VALU_DEP_1) | instskip(SKIP_4) | instid1(VALU_DEP_1)
	v_mul_hi_u32 v8, s20, v7
	v_mul_lo_u32 v9, v7, s16
	s_load_b64 s[16:17], s[0:1], 0xfc
	s_wait_xcnt 0x0
	s_add_nc_u64 s[0:1], s[0:1], 32
	v_dual_add_nc_u32 v8, v7, v8 :: v_dual_sub_nc_u32 v9, v5, v9
	s_delay_alu instid0(VALU_DEP_1) | instskip(NEXT) | instid1(VALU_DEP_2)
	v_lshrrev_b32_e32 v5, s21, v8
	v_mad_u32 v4, v9, s11, v4
	v_mad_u32 v10, v9, s13, v16
	;; [unrolled: 1-line block ×3, first 2 shown]
	s_delay_alu instid0(VALU_DEP_4) | instskip(NEXT) | instid1(VALU_DEP_1)
	v_mul_lo_u32 v8, v5, s19
	v_sub_nc_u32_e32 v7, v7, v8
	s_delay_alu instid0(VALU_DEP_1)
	v_mad_u32 v4, v7, s14, v4
	s_wait_kmcnt 0x0
	v_mad_u32 v16, v7, s17, v10
	v_mad_u32 v18, v7, s16, v9
	s_cbranch_scc1 .LBB55_1653
; %bb.1654:
	s_bitcmp1_b32 s7, 0
	s_cselect_b32 s7, -1, 0
	s_delay_alu instid0(SALU_CYCLE_1)
	s_and_b32 vcc_lo, exec_lo, s7
	s_cbranch_vccnz .LBB55_1657
; %bb.1655:
	s_load_b96 s[12:14], s[4:5], 0x4
	s_load_b32 s7, s[0:1], 0xe4
	s_wait_xcnt 0x0
	s_load_b64 s[4:5], s[0:1], 0xec
	s_wait_kmcnt 0x0
	v_mul_hi_u32 v7, s13, v5
	s_delay_alu instid0(VALU_DEP_1) | instskip(NEXT) | instid1(VALU_DEP_1)
	v_add_nc_u32_e32 v7, v5, v7
	v_lshrrev_b32_e32 v7, s14, v7
	s_delay_alu instid0(VALU_DEP_1) | instskip(NEXT) | instid1(VALU_DEP_1)
	v_mul_lo_u32 v7, v7, s12
	v_sub_nc_u32_e32 v5, v5, v7
	s_delay_alu instid0(VALU_DEP_1)
	v_mad_u32 v4, v5, s7, v4
	v_mad_u32 v18, v5, s4, v18
	;; [unrolled: 1-line block ×3, first 2 shown]
	s_and_not1_b32 vcc_lo, exec_lo, s6
	s_cbranch_vccz .LBB55_1658
	s_branch .LBB55_1661
.LBB55_1656:
	s_mov_b32 s6, -1
                                        ; implicit-def: $vgpr16
                                        ; implicit-def: $vgpr18
                                        ; implicit-def: $vgpr4
.LBB55_1657:
	s_delay_alu instid0(SALU_CYCLE_1)
	s_and_not1_b32 vcc_lo, exec_lo, s6
	s_cbranch_vccnz .LBB55_1661
.LBB55_1658:
	s_clause 0x2
	s_load_b96 s[4:6], s[2:3], 0x4
	s_load_b32 s7, s[2:3], 0xc4
	s_load_b64 s[0:1], s[2:3], 0xcc
	s_cmp_lt_u32 s15, 2
	s_wait_kmcnt 0x0
	v_mul_hi_u32 v4, s5, v2
	s_delay_alu instid0(VALU_DEP_1) | instskip(NEXT) | instid1(VALU_DEP_1)
	v_add_nc_u32_e32 v4, v2, v4
	v_lshrrev_b32_e32 v5, s6, v4
	s_delay_alu instid0(VALU_DEP_1) | instskip(NEXT) | instid1(VALU_DEP_1)
	v_mul_lo_u32 v4, v5, s4
	v_sub_nc_u32_e32 v2, v2, v4
	s_delay_alu instid0(VALU_DEP_1)
	v_mul_lo_u32 v4, v2, s7
	v_mul_lo_u32 v16, v2, s1
	;; [unrolled: 1-line block ×3, first 2 shown]
	s_cbranch_scc1 .LBB55_1661
; %bb.1659:
	s_clause 0x2
	s_load_b96 s[4:6], s[2:3], 0x10
	s_load_b32 s7, s[2:3], 0xd4
	s_load_b64 s[0:1], s[2:3], 0xdc
	s_wait_kmcnt 0x0
	v_mul_hi_u32 v2, s5, v5
	s_delay_alu instid0(VALU_DEP_1) | instskip(NEXT) | instid1(VALU_DEP_1)
	v_add_nc_u32_e32 v2, v5, v2
	v_lshrrev_b32_e32 v2, s6, v2
	s_delay_alu instid0(VALU_DEP_1) | instskip(NEXT) | instid1(VALU_DEP_1)
	v_mul_lo_u32 v2, v2, s4
	v_sub_nc_u32_e32 v2, v5, v2
	s_delay_alu instid0(VALU_DEP_1)
	v_mad_u32 v4, v2, s7, v4
	v_mad_u32 v18, v2, s0, v18
	v_mad_u32 v16, v2, s1, v16
	s_branch .LBB55_1661
.LBB55_1660:
	v_dual_mov_b32 v16, 0 :: v_dual_mov_b32 v18, 0
	v_mov_b32_e32 v4, 0
	s_and_not1_b32 vcc_lo, exec_lo, s6
	s_cbranch_vccz .LBB55_1658
.LBB55_1661:
	v_cmp_ne_u32_e32 vcc_lo, 1, v3
	v_add_nc_u32_e32 v0, 0x100, v0
	s_cbranch_vccnz .LBB55_1667
; %bb.1662:
	s_cmp_lg_u32 s15, 0
	s_mov_b32 s6, 0
	s_cbranch_scc0 .LBB55_1671
; %bb.1663:
	s_min_u32 s7, s30, 15
	v_dual_mov_b32 v2, 0 :: v_dual_mov_b32 v5, v0
	v_dual_mov_b32 v14, 0 :: v_dual_mov_b32 v12, 0
	s_add_co_i32 s4, s7, 1
	s_mov_b64 s[0:1], 0xffffffffffffffe0
	s_and_b32 s10, s4, 30
	s_add_nc_u64 s[0:1], s[2:3], s[0:1]
	s_mov_b64 s[4:5], s[2:3]
.LBB55_1664:                            ; =>This Inner Loop Header: Depth=1
	s_clause 0x1
	s_load_b128 s[16:19], s[4:5], 0x4
	s_load_b64 s[20:21], s[4:5], 0x14
	s_clause 0x1
	s_load_b32 s11, s[0:1], 0xe4
	s_load_b96 s[12:14], s[0:1], 0xec
	s_add_co_i32 s10, s10, -2
	s_wait_xcnt 0x0
	s_add_nc_u64 s[4:5], s[4:5], 24
	s_cmp_lg_u32 s10, 0
	s_wait_kmcnt 0x0
	v_mul_hi_u32 v7, s17, v5
	s_delay_alu instid0(VALU_DEP_1) | instskip(NEXT) | instid1(VALU_DEP_1)
	v_add_nc_u32_e32 v7, v5, v7
	v_lshrrev_b32_e32 v7, s18, v7
	s_delay_alu instid0(VALU_DEP_1) | instskip(SKIP_4) | instid1(VALU_DEP_1)
	v_mul_hi_u32 v8, s20, v7
	v_mul_lo_u32 v9, v7, s16
	s_load_b64 s[16:17], s[0:1], 0xfc
	s_wait_xcnt 0x0
	s_add_nc_u64 s[0:1], s[0:1], 32
	v_dual_add_nc_u32 v8, v7, v8 :: v_dual_sub_nc_u32 v9, v5, v9
	s_delay_alu instid0(VALU_DEP_1) | instskip(NEXT) | instid1(VALU_DEP_2)
	v_lshrrev_b32_e32 v5, s21, v8
	v_mad_u32 v2, v9, s11, v2
	v_mad_u32 v10, v9, s13, v12
	;; [unrolled: 1-line block ×3, first 2 shown]
	s_delay_alu instid0(VALU_DEP_4) | instskip(NEXT) | instid1(VALU_DEP_1)
	v_mul_lo_u32 v8, v5, s19
	v_sub_nc_u32_e32 v7, v7, v8
	s_delay_alu instid0(VALU_DEP_1)
	v_mad_u32 v2, v7, s14, v2
	s_wait_kmcnt 0x0
	v_mad_u32 v12, v7, s17, v10
	v_mad_u32 v14, v7, s16, v9
	s_cbranch_scc1 .LBB55_1664
; %bb.1665:
	s_bitcmp1_b32 s7, 0
	s_cselect_b32 s7, -1, 0
	s_delay_alu instid0(SALU_CYCLE_1)
	s_and_b32 vcc_lo, exec_lo, s7
	s_cbranch_vccnz .LBB55_1668
; %bb.1666:
	s_load_b96 s[12:14], s[4:5], 0x4
	s_load_b32 s7, s[0:1], 0xe4
	s_wait_xcnt 0x0
	s_load_b64 s[4:5], s[0:1], 0xec
	s_wait_kmcnt 0x0
	v_mul_hi_u32 v7, s13, v5
	s_delay_alu instid0(VALU_DEP_1) | instskip(NEXT) | instid1(VALU_DEP_1)
	v_add_nc_u32_e32 v7, v5, v7
	v_lshrrev_b32_e32 v7, s14, v7
	s_delay_alu instid0(VALU_DEP_1) | instskip(NEXT) | instid1(VALU_DEP_1)
	v_mul_lo_u32 v7, v7, s12
	v_sub_nc_u32_e32 v5, v5, v7
	s_delay_alu instid0(VALU_DEP_1)
	v_mad_u32 v2, v5, s7, v2
	v_mad_u32 v14, v5, s4, v14
	;; [unrolled: 1-line block ×3, first 2 shown]
	s_and_not1_b32 vcc_lo, exec_lo, s6
	s_cbranch_vccz .LBB55_1669
	s_branch .LBB55_1672
.LBB55_1667:
	s_mov_b32 s6, -1
                                        ; implicit-def: $vgpr12
                                        ; implicit-def: $vgpr14
                                        ; implicit-def: $vgpr2
.LBB55_1668:
	s_delay_alu instid0(SALU_CYCLE_1)
	s_and_not1_b32 vcc_lo, exec_lo, s6
	s_cbranch_vccnz .LBB55_1672
.LBB55_1669:
	s_clause 0x2
	s_load_b96 s[4:6], s[2:3], 0x4
	s_load_b32 s7, s[2:3], 0xc4
	s_load_b64 s[0:1], s[2:3], 0xcc
	s_cmp_lt_u32 s15, 2
	s_wait_kmcnt 0x0
	v_mul_hi_u32 v2, s5, v0
	s_delay_alu instid0(VALU_DEP_1) | instskip(NEXT) | instid1(VALU_DEP_1)
	v_add_nc_u32_e32 v2, v0, v2
	v_lshrrev_b32_e32 v5, s6, v2
	s_delay_alu instid0(VALU_DEP_1) | instskip(NEXT) | instid1(VALU_DEP_1)
	v_mul_lo_u32 v2, v5, s4
	v_sub_nc_u32_e32 v0, v0, v2
	s_delay_alu instid0(VALU_DEP_1)
	v_mul_lo_u32 v2, v0, s7
	v_mul_lo_u32 v12, v0, s1
	;; [unrolled: 1-line block ×3, first 2 shown]
	s_cbranch_scc1 .LBB55_1672
; %bb.1670:
	s_clause 0x2
	s_load_b96 s[4:6], s[2:3], 0x10
	s_load_b32 s7, s[2:3], 0xd4
	s_load_b64 s[0:1], s[2:3], 0xdc
	s_wait_kmcnt 0x0
	v_mul_hi_u32 v0, s5, v5
	s_delay_alu instid0(VALU_DEP_1) | instskip(NEXT) | instid1(VALU_DEP_1)
	v_add_nc_u32_e32 v0, v5, v0
	v_lshrrev_b32_e32 v0, s6, v0
	s_delay_alu instid0(VALU_DEP_1) | instskip(NEXT) | instid1(VALU_DEP_1)
	v_mul_lo_u32 v0, v0, s4
	v_sub_nc_u32_e32 v0, v5, v0
	s_delay_alu instid0(VALU_DEP_1)
	v_mad_u32 v2, v0, s7, v2
	v_mad_u32 v14, v0, s0, v14
	;; [unrolled: 1-line block ×3, first 2 shown]
	s_branch .LBB55_1672
.LBB55_1671:
	v_dual_mov_b32 v12, 0 :: v_dual_mov_b32 v14, 0
	v_mov_b32_e32 v2, 0
	s_and_not1_b32 vcc_lo, exec_lo, s6
	s_cbranch_vccz .LBB55_1669
.LBB55_1672:
	v_cmp_ne_u32_e32 vcc_lo, 1, v3
	s_cbranch_vccnz .LBB55_1678
; %bb.1673:
	s_cmp_lg_u32 s15, 0
	s_mov_b32 s6, 0
	s_cbranch_scc0 .LBB55_1682
; %bb.1674:
	s_min_u32 s7, s30, 15
	v_dual_mov_b32 v0, 0 :: v_dual_mov_b32 v3, v1
	v_dual_mov_b32 v10, 0 :: v_dual_mov_b32 v8, 0
	s_add_co_i32 s4, s7, 1
	s_mov_b64 s[0:1], 0xffffffffffffffe0
	s_and_b32 s10, s4, 30
	s_add_nc_u64 s[0:1], s[2:3], s[0:1]
	s_mov_b64 s[4:5], s[2:3]
.LBB55_1675:                            ; =>This Inner Loop Header: Depth=1
	s_clause 0x1
	s_load_b128 s[16:19], s[4:5], 0x4
	s_load_b64 s[20:21], s[4:5], 0x14
	s_clause 0x1
	s_load_b32 s11, s[0:1], 0xe4
	s_load_b96 s[12:14], s[0:1], 0xec
	s_add_co_i32 s10, s10, -2
	s_wait_xcnt 0x0
	s_add_nc_u64 s[4:5], s[4:5], 24
	s_cmp_lg_u32 s10, 0
	s_wait_kmcnt 0x0
	v_mul_hi_u32 v5, s17, v3
	s_delay_alu instid0(VALU_DEP_1) | instskip(NEXT) | instid1(VALU_DEP_1)
	v_add_nc_u32_e32 v5, v3, v5
	v_lshrrev_b32_e32 v5, s18, v5
	s_delay_alu instid0(VALU_DEP_1) | instskip(SKIP_4) | instid1(VALU_DEP_1)
	v_mul_hi_u32 v7, s20, v5
	v_mul_lo_u32 v9, v5, s16
	s_load_b64 s[16:17], s[0:1], 0xfc
	s_wait_xcnt 0x0
	s_add_nc_u64 s[0:1], s[0:1], 32
	v_dual_add_nc_u32 v7, v5, v7 :: v_dual_sub_nc_u32 v9, v3, v9
	s_delay_alu instid0(VALU_DEP_1) | instskip(NEXT) | instid1(VALU_DEP_2)
	v_lshrrev_b32_e32 v3, s21, v7
	v_mad_u32 v0, v9, s11, v0
	v_mad_u32 v8, v9, s13, v8
	;; [unrolled: 1-line block ×3, first 2 shown]
	s_delay_alu instid0(VALU_DEP_4) | instskip(NEXT) | instid1(VALU_DEP_1)
	v_mul_lo_u32 v7, v3, s19
	v_sub_nc_u32_e32 v5, v5, v7
	s_delay_alu instid0(VALU_DEP_1)
	v_mad_u32 v0, v5, s14, v0
	s_wait_kmcnt 0x0
	v_mad_u32 v8, v5, s17, v8
	v_mad_u32 v10, v5, s16, v9
	s_cbranch_scc1 .LBB55_1675
; %bb.1676:
	s_bitcmp1_b32 s7, 0
	s_cselect_b32 s7, -1, 0
	s_delay_alu instid0(SALU_CYCLE_1)
	s_and_b32 vcc_lo, exec_lo, s7
	s_cbranch_vccnz .LBB55_1679
; %bb.1677:
	s_load_b96 s[12:14], s[4:5], 0x4
	s_load_b32 s7, s[0:1], 0xe4
	s_wait_xcnt 0x0
	s_load_b64 s[4:5], s[0:1], 0xec
	s_wait_kmcnt 0x0
	v_mul_hi_u32 v5, s13, v3
	s_delay_alu instid0(VALU_DEP_1) | instskip(NEXT) | instid1(VALU_DEP_1)
	v_add_nc_u32_e32 v5, v3, v5
	v_lshrrev_b32_e32 v5, s14, v5
	s_delay_alu instid0(VALU_DEP_1) | instskip(NEXT) | instid1(VALU_DEP_1)
	v_mul_lo_u32 v5, v5, s12
	v_sub_nc_u32_e32 v3, v3, v5
	s_delay_alu instid0(VALU_DEP_1)
	v_mad_u32 v0, v3, s7, v0
	v_mad_u32 v10, v3, s4, v10
	;; [unrolled: 1-line block ×3, first 2 shown]
	s_and_not1_b32 vcc_lo, exec_lo, s6
	s_cbranch_vccz .LBB55_1680
	s_branch .LBB55_1683
.LBB55_1678:
	s_mov_b32 s6, -1
                                        ; implicit-def: $vgpr8
                                        ; implicit-def: $vgpr10
                                        ; implicit-def: $vgpr0
.LBB55_1679:
	s_delay_alu instid0(SALU_CYCLE_1)
	s_and_not1_b32 vcc_lo, exec_lo, s6
	s_cbranch_vccnz .LBB55_1683
.LBB55_1680:
	s_clause 0x2
	s_load_b96 s[4:6], s[2:3], 0x4
	s_load_b32 s7, s[2:3], 0xc4
	s_load_b64 s[0:1], s[2:3], 0xcc
	s_cmp_lt_u32 s15, 2
	s_wait_kmcnt 0x0
	v_mul_hi_u32 v0, s5, v1
	s_delay_alu instid0(VALU_DEP_1) | instskip(NEXT) | instid1(VALU_DEP_1)
	v_add_nc_u32_e32 v0, v1, v0
	v_lshrrev_b32_e32 v3, s6, v0
	s_delay_alu instid0(VALU_DEP_1) | instskip(NEXT) | instid1(VALU_DEP_1)
	v_mul_lo_u32 v0, v3, s4
	v_sub_nc_u32_e32 v1, v1, v0
	s_delay_alu instid0(VALU_DEP_1)
	v_mul_lo_u32 v0, v1, s7
	v_mul_lo_u32 v8, v1, s1
	;; [unrolled: 1-line block ×3, first 2 shown]
	s_cbranch_scc1 .LBB55_1683
; %bb.1681:
	s_clause 0x2
	s_load_b96 s[4:6], s[2:3], 0x10
	s_load_b32 s7, s[2:3], 0xd4
	s_load_b64 s[0:1], s[2:3], 0xdc
	s_wait_kmcnt 0x0
	v_mul_hi_u32 v1, s5, v3
	s_delay_alu instid0(VALU_DEP_1) | instskip(NEXT) | instid1(VALU_DEP_1)
	v_add_nc_u32_e32 v1, v3, v1
	v_lshrrev_b32_e32 v1, s6, v1
	s_delay_alu instid0(VALU_DEP_1) | instskip(NEXT) | instid1(VALU_DEP_1)
	v_mul_lo_u32 v1, v1, s4
	v_sub_nc_u32_e32 v1, v3, v1
	s_delay_alu instid0(VALU_DEP_1)
	v_mad_u32 v0, v1, s7, v0
	v_mad_u32 v10, v1, s0, v10
	;; [unrolled: 1-line block ×3, first 2 shown]
	s_branch .LBB55_1683
.LBB55_1682:
	v_dual_mov_b32 v8, 0 :: v_dual_mov_b32 v10, 0
	v_mov_b32_e32 v0, 0
	s_and_not1_b32 vcc_lo, exec_lo, s6
	s_cbranch_vccz .LBB55_1680
.LBB55_1683:
	v_mov_b32_e32 v1, 0
	global_load_u8 v1, v1, s[2:3] offset:493
	s_wait_loadcnt 0x0
	v_and_b32_e32 v3, 0xffff, v1
	v_readfirstlane_b32 s6, v1
	s_delay_alu instid0(VALU_DEP_2)
	v_cmp_gt_i32_e32 vcc_lo, 23, v3
	s_cbranch_vccnz .LBB55_1687
; %bb.1684:
	s_and_b32 s4, 0xffff, s6
	s_delay_alu instid0(SALU_CYCLE_1)
	s_cmp_gt_i32 s4, 43
	s_cbranch_scc0 .LBB55_1688
; %bb.1685:
	s_cmp_gt_i32 s4, 45
	s_cbranch_scc0 .LBB55_1689
; %bb.1686:
	s_cmp_lg_u32 s4, 46
	s_mov_b32 s0, -1
	s_cselect_b32 s1, -1, 0
	s_cbranch_execz .LBB55_1690
	s_branch .LBB55_1691
.LBB55_1687:
	s_mov_b32 s0, 0
	s_mov_b32 s1, 0
	s_cbranch_execnz .LBB55_1694
	s_branch .LBB55_1698
.LBB55_1688:
	s_mov_b32 s0, 0
	s_mov_b32 s1, 0
	s_cbranch_execnz .LBB55_1692
	s_branch .LBB55_1693
.LBB55_1689:
	s_mov_b32 s0, 0
	s_mov_b32 s1, 0
.LBB55_1690:
	s_cmp_eq_u32 s4, 44
	s_cselect_b32 s0, -1, 0
	s_cmp_lg_u32 s4, 44
	s_cselect_b32 s1, -1, 0
.LBB55_1691:
	s_branch .LBB55_1693
.LBB55_1692:
	s_cmp_lt_i32 s4, 30
	s_cselect_b32 s0, -1, 0
	s_cmp_gt_i32 s4, 29
	s_cselect_b32 s1, -1, 0
.LBB55_1693:
	s_branch .LBB55_1698
.LBB55_1694:
	s_and_b32 s4, 0xffff, s6
	s_mov_b32 s5, -1
	s_cmp_gt_i32 s4, 14
	s_cbranch_scc0 .LBB55_1696
; %bb.1695:
	s_cmp_eq_u32 s4, 15
	s_mov_b32 s5, 0
	s_cselect_b32 s0, -1, 0
	s_cmp_lg_u32 s4, 15
	s_cselect_b32 s1, -1, 0
.LBB55_1696:
	s_and_not1_b32 vcc_lo, exec_lo, s5
	s_cbranch_vccnz .LBB55_1698
; %bb.1697:
	s_cmp_lt_i32 s4, 12
	s_cselect_b32 s0, -1, 0
	s_cmp_gt_i32 s4, 11
	s_cselect_b32 s1, -1, 0
.LBB55_1698:
	s_delay_alu instid0(SALU_CYCLE_1)
	s_and_b32 vcc_lo, exec_lo, s1
	s_mov_b32 s10, s8
	s_cbranch_vccnz .LBB55_1711
; %bb.1699:
	s_and_not1_b32 vcc_lo, exec_lo, s0
	s_cbranch_vccnz .LBB55_3216
.LBB55_1700:
	v_mov_b32_e32 v23, 0
	s_load_b64 s[0:1], s[2:3], 0x1d8
	global_load_u8 v1, v23, s[2:3] offset:494
	s_wait_kmcnt 0x0
	v_add_nc_u64_e32 v[22:23], s[0:1], v[22:23]
	s_wait_loadcnt 0x0
	v_and_b32_e32 v3, 0xffff, v1
	v_readfirstlane_b32 s7, v1
	s_delay_alu instid0(VALU_DEP_2)
	v_cmp_gt_i32_e32 vcc_lo, 11, v3
	s_cbranch_vccnz .LBB55_1707
; %bb.1701:
	s_and_b32 s4, 0xffff, s7
	s_mov_b32 s11, 0
	s_cmp_gt_i32 s4, 25
	s_cbranch_scc0 .LBB55_1709
; %bb.1702:
	s_cmp_gt_i32 s4, 28
	s_cbranch_scc0 .LBB55_1710
; %bb.1703:
	;; [unrolled: 3-line block ×4, first 2 shown]
	s_cmp_eq_u32 s4, 46
	s_mov_b32 s13, 0
	s_cbranch_scc0 .LBB55_1718
; %bb.1706:
	global_load_b32 v1, v[22:23], off
	s_mov_b32 s5, 0
	s_mov_b32 s12, -1
	s_wait_loadcnt 0x0
	v_lshlrev_b32_e32 v1, 16, v1
	s_delay_alu instid0(VALU_DEP_1)
	v_cvt_i32_f32_e32 v1, v1
	s_branch .LBB55_1720
.LBB55_1707:
	s_mov_b32 s12, 0
                                        ; implicit-def: $vgpr1
	s_cbranch_execnz .LBB55_1781
.LBB55_1708:
	s_and_not1_b32 vcc_lo, exec_lo, s12
	s_cbranch_vccz .LBB55_1828
	s_branch .LBB55_3216
.LBB55_1709:
	s_mov_b32 s12, 0
	s_mov_b32 s5, 0
                                        ; implicit-def: $vgpr1
	s_cbranch_execnz .LBB55_1747
	s_branch .LBB55_1777
.LBB55_1710:
	s_mov_b32 s13, -1
	s_mov_b32 s12, 0
	s_mov_b32 s5, 0
                                        ; implicit-def: $vgpr1
	s_branch .LBB55_1730
.LBB55_1711:
	s_or_b32 s10, s8, exec_lo
	s_trap 2
	s_cbranch_execz .LBB55_1700
	s_branch .LBB55_3216
.LBB55_1712:
	s_mov_b32 s13, -1
	s_mov_b32 s12, 0
	s_mov_b32 s5, 0
                                        ; implicit-def: $vgpr1
	s_branch .LBB55_1725
.LBB55_1713:
	s_and_not1_saveexec_b32 s9, s9
	s_cbranch_execz .LBB55_1551
.LBB55_1714:
	v_add_f32_e64 v2, 0x46000000, |v1|
	s_and_not1_b32 s8, s8, exec_lo
	s_delay_alu instid0(VALU_DEP_1) | instskip(NEXT) | instid1(VALU_DEP_1)
	v_and_b32_e32 v2, 0xff, v2
	v_cmp_ne_u32_e32 vcc_lo, 0, v2
	s_and_b32 s10, vcc_lo, exec_lo
	s_delay_alu instid0(SALU_CYCLE_1)
	s_or_b32 s8, s8, s10
	s_or_b32 exec_lo, exec_lo, s9
	v_mov_b32_e32 v3, 0
	s_and_saveexec_b32 s9, s8
	s_cbranch_execnz .LBB55_1552
	s_branch .LBB55_1553
.LBB55_1715:
	s_mov_b32 s13, -1
	s_mov_b32 s12, 0
	s_mov_b32 s5, 0
	s_branch .LBB55_1719
.LBB55_1716:
	s_and_not1_saveexec_b32 s10, s10
	s_cbranch_execz .LBB55_1563
.LBB55_1717:
	v_add_f32_e64 v2, 0x42800000, |v1|
	s_and_not1_b32 s9, s9, exec_lo
	s_delay_alu instid0(VALU_DEP_1) | instskip(NEXT) | instid1(VALU_DEP_1)
	v_and_b32_e32 v2, 0xff, v2
	v_cmp_ne_u32_e32 vcc_lo, 0, v2
	s_and_b32 s11, vcc_lo, exec_lo
	s_delay_alu instid0(SALU_CYCLE_1)
	s_or_b32 s9, s9, s11
	s_or_b32 exec_lo, exec_lo, s10
	v_mov_b32_e32 v3, 0
	s_and_saveexec_b32 s10, s9
	s_cbranch_execnz .LBB55_1564
	s_branch .LBB55_1565
.LBB55_1718:
	s_mov_b32 s5, -1
	s_mov_b32 s12, 0
.LBB55_1719:
                                        ; implicit-def: $vgpr1
.LBB55_1720:
	s_and_b32 vcc_lo, exec_lo, s13
	s_cbranch_vccz .LBB55_1724
; %bb.1721:
	s_cmp_eq_u32 s4, 44
	s_cbranch_scc0 .LBB55_1723
; %bb.1722:
	global_load_u8 v1, v[22:23], off
	s_mov_b32 s5, 0
	s_mov_b32 s12, -1
	s_wait_loadcnt 0x0
	v_lshlrev_b32_e32 v3, 23, v1
	v_cmp_ne_u32_e32 vcc_lo, 0, v1
	s_delay_alu instid0(VALU_DEP_2) | instskip(NEXT) | instid1(VALU_DEP_1)
	v_cvt_i32_f32_e32 v3, v3
	v_cndmask_b32_e32 v1, 0, v3, vcc_lo
	s_branch .LBB55_1724
.LBB55_1723:
	s_mov_b32 s5, -1
                                        ; implicit-def: $vgpr1
.LBB55_1724:
	s_mov_b32 s13, 0
.LBB55_1725:
	s_delay_alu instid0(SALU_CYCLE_1)
	s_and_b32 vcc_lo, exec_lo, s13
	s_cbranch_vccz .LBB55_1729
; %bb.1726:
	s_cmp_eq_u32 s4, 29
	s_cbranch_scc0 .LBB55_1728
; %bb.1727:
	global_load_b32 v1, v[22:23], off
	s_mov_b32 s5, 0
	s_mov_b32 s12, -1
	s_branch .LBB55_1729
.LBB55_1728:
	s_mov_b32 s5, -1
                                        ; implicit-def: $vgpr1
.LBB55_1729:
	s_mov_b32 s13, 0
.LBB55_1730:
	s_delay_alu instid0(SALU_CYCLE_1)
	s_and_b32 vcc_lo, exec_lo, s13
	s_cbranch_vccz .LBB55_1746
; %bb.1731:
	s_cmp_lt_i32 s4, 27
	s_cbranch_scc1 .LBB55_1734
; %bb.1732:
	s_cmp_gt_i32 s4, 27
	s_cbranch_scc0 .LBB55_1735
; %bb.1733:
	s_wait_loadcnt 0x0
	global_load_b32 v1, v[22:23], off
	s_mov_b32 s12, 0
	s_branch .LBB55_1736
.LBB55_1734:
	s_mov_b32 s12, -1
                                        ; implicit-def: $vgpr1
	s_branch .LBB55_1739
.LBB55_1735:
	s_mov_b32 s12, -1
                                        ; implicit-def: $vgpr1
.LBB55_1736:
	s_delay_alu instid0(SALU_CYCLE_1)
	s_and_not1_b32 vcc_lo, exec_lo, s12
	s_cbranch_vccnz .LBB55_1738
; %bb.1737:
	s_wait_loadcnt 0x0
	global_load_u16 v1, v[22:23], off
.LBB55_1738:
	s_mov_b32 s12, 0
.LBB55_1739:
	s_delay_alu instid0(SALU_CYCLE_1)
	s_and_not1_b32 vcc_lo, exec_lo, s12
	s_cbranch_vccnz .LBB55_1745
; %bb.1740:
	global_load_u8 v3, v[22:23], off
	s_mov_b32 s13, 0
	s_mov_b32 s12, exec_lo
	s_wait_loadcnt 0x0
	v_cmpx_lt_i16_e32 0x7f, v3
	s_xor_b32 s12, exec_lo, s12
	s_cbranch_execz .LBB55_1756
; %bb.1741:
	v_cmp_ne_u16_e32 vcc_lo, 0x80, v3
	s_and_b32 s13, vcc_lo, exec_lo
	s_and_not1_saveexec_b32 s12, s12
	s_cbranch_execnz .LBB55_1757
.LBB55_1742:
	s_or_b32 exec_lo, exec_lo, s12
	v_mov_b32_e32 v1, 0
	s_and_saveexec_b32 s12, s13
	s_cbranch_execz .LBB55_1744
.LBB55_1743:
	v_and_b32_e32 v1, 0xffff, v3
	s_delay_alu instid0(VALU_DEP_1) | instskip(SKIP_1) | instid1(VALU_DEP_2)
	v_and_b32_e32 v5, 7, v1
	v_bfe_u32 v11, v1, 3, 4
	v_clz_i32_u32_e32 v7, v5
	s_delay_alu instid0(VALU_DEP_2) | instskip(NEXT) | instid1(VALU_DEP_2)
	v_cmp_eq_u32_e32 vcc_lo, 0, v11
	v_min_u32_e32 v7, 32, v7
	s_delay_alu instid0(VALU_DEP_1) | instskip(NEXT) | instid1(VALU_DEP_1)
	v_subrev_nc_u32_e32 v9, 28, v7
	v_dual_lshlrev_b32 v1, v9, v1 :: v_dual_sub_nc_u32 v7, 29, v7
	s_delay_alu instid0(VALU_DEP_1) | instskip(NEXT) | instid1(VALU_DEP_1)
	v_dual_lshlrev_b32 v3, 24, v3 :: v_dual_bitop2_b32 v1, 7, v1 bitop3:0x40
	v_dual_cndmask_b32 v1, v5, v1, vcc_lo :: v_dual_cndmask_b32 v7, v11, v7, vcc_lo
	s_delay_alu instid0(VALU_DEP_2) | instskip(NEXT) | instid1(VALU_DEP_2)
	v_and_b32_e32 v3, 0x80000000, v3
	v_lshlrev_b32_e32 v1, 20, v1
	s_delay_alu instid0(VALU_DEP_3) | instskip(NEXT) | instid1(VALU_DEP_1)
	v_lshl_add_u32 v5, v7, 23, 0x3b800000
	v_or3_b32 v1, v3, v5, v1
	s_delay_alu instid0(VALU_DEP_1)
	v_cvt_i32_f32_e32 v1, v1
.LBB55_1744:
	s_or_b32 exec_lo, exec_lo, s12
.LBB55_1745:
	s_mov_b32 s12, -1
.LBB55_1746:
	s_branch .LBB55_1777
.LBB55_1747:
	s_cmp_gt_i32 s4, 22
	s_cbranch_scc0 .LBB55_1755
; %bb.1748:
	s_cmp_lt_i32 s4, 24
	s_cbranch_scc1 .LBB55_1758
; %bb.1749:
	s_cmp_gt_i32 s4, 24
	s_cbranch_scc0 .LBB55_1759
; %bb.1750:
	global_load_u8 v3, v[22:23], off
	s_mov_b32 s12, 0
	s_mov_b32 s11, exec_lo
	s_wait_loadcnt 0x0
	v_cmpx_lt_i16_e32 0x7f, v3
	s_xor_b32 s11, exec_lo, s11
	s_cbranch_execz .LBB55_1771
; %bb.1751:
	v_cmp_ne_u16_e32 vcc_lo, 0x80, v3
	s_and_b32 s12, vcc_lo, exec_lo
	s_and_not1_saveexec_b32 s11, s11
	s_cbranch_execnz .LBB55_1772
.LBB55_1752:
	s_or_b32 exec_lo, exec_lo, s11
	v_mov_b32_e32 v1, 0
	s_and_saveexec_b32 s11, s12
	s_cbranch_execz .LBB55_1754
.LBB55_1753:
	v_and_b32_e32 v1, 0xffff, v3
	s_delay_alu instid0(VALU_DEP_1) | instskip(SKIP_1) | instid1(VALU_DEP_2)
	v_and_b32_e32 v5, 3, v1
	v_bfe_u32 v11, v1, 2, 5
	v_clz_i32_u32_e32 v7, v5
	s_delay_alu instid0(VALU_DEP_2) | instskip(NEXT) | instid1(VALU_DEP_2)
	v_cmp_eq_u32_e32 vcc_lo, 0, v11
	v_min_u32_e32 v7, 32, v7
	s_delay_alu instid0(VALU_DEP_1) | instskip(NEXT) | instid1(VALU_DEP_1)
	v_subrev_nc_u32_e32 v9, 29, v7
	v_dual_lshlrev_b32 v1, v9, v1 :: v_dual_sub_nc_u32 v7, 30, v7
	s_delay_alu instid0(VALU_DEP_1) | instskip(NEXT) | instid1(VALU_DEP_1)
	v_dual_lshlrev_b32 v3, 24, v3 :: v_dual_bitop2_b32 v1, 3, v1 bitop3:0x40
	v_dual_cndmask_b32 v1, v5, v1, vcc_lo :: v_dual_cndmask_b32 v7, v11, v7, vcc_lo
	s_delay_alu instid0(VALU_DEP_2) | instskip(NEXT) | instid1(VALU_DEP_2)
	v_and_b32_e32 v3, 0x80000000, v3
	v_lshlrev_b32_e32 v1, 21, v1
	s_delay_alu instid0(VALU_DEP_3) | instskip(NEXT) | instid1(VALU_DEP_1)
	v_lshl_add_u32 v5, v7, 23, 0x37800000
	v_or3_b32 v1, v3, v5, v1
	s_delay_alu instid0(VALU_DEP_1)
	v_cvt_i32_f32_e32 v1, v1
.LBB55_1754:
	s_or_b32 exec_lo, exec_lo, s11
	s_mov_b32 s11, 0
	s_branch .LBB55_1760
.LBB55_1755:
	s_mov_b32 s11, -1
                                        ; implicit-def: $vgpr1
	s_branch .LBB55_1766
.LBB55_1756:
	s_and_not1_saveexec_b32 s12, s12
	s_cbranch_execz .LBB55_1742
.LBB55_1757:
	v_cmp_ne_u16_e32 vcc_lo, 0, v3
	s_and_not1_b32 s13, s13, exec_lo
	s_and_b32 s14, vcc_lo, exec_lo
	s_delay_alu instid0(SALU_CYCLE_1)
	s_or_b32 s13, s13, s14
	s_or_b32 exec_lo, exec_lo, s12
	v_mov_b32_e32 v1, 0
	s_and_saveexec_b32 s12, s13
	s_cbranch_execnz .LBB55_1743
	s_branch .LBB55_1744
.LBB55_1758:
	s_mov_b32 s11, -1
                                        ; implicit-def: $vgpr1
	s_branch .LBB55_1763
.LBB55_1759:
	s_mov_b32 s11, -1
                                        ; implicit-def: $vgpr1
.LBB55_1760:
	s_delay_alu instid0(SALU_CYCLE_1)
	s_and_b32 vcc_lo, exec_lo, s11
	s_cbranch_vccz .LBB55_1762
; %bb.1761:
	s_wait_loadcnt 0x0
	global_load_u8 v1, v[22:23], off
	s_wait_loadcnt 0x0
	v_lshlrev_b32_e32 v1, 24, v1
	s_delay_alu instid0(VALU_DEP_1) | instskip(NEXT) | instid1(VALU_DEP_1)
	v_and_b32_e32 v3, 0x7f000000, v1
	v_clz_i32_u32_e32 v5, v3
	v_add_nc_u32_e32 v9, 0x1000000, v3
	v_cmp_ne_u32_e32 vcc_lo, 0, v3
	s_delay_alu instid0(VALU_DEP_3) | instskip(NEXT) | instid1(VALU_DEP_1)
	v_min_u32_e32 v5, 32, v5
	v_sub_nc_u32_e64 v5, v5, 4 clamp
	s_delay_alu instid0(VALU_DEP_1) | instskip(NEXT) | instid1(VALU_DEP_1)
	v_dual_lshlrev_b32 v7, v5, v3 :: v_dual_lshlrev_b32 v5, 23, v5
	v_lshrrev_b32_e32 v7, 4, v7
	s_delay_alu instid0(VALU_DEP_1) | instskip(SKIP_1) | instid1(VALU_DEP_2)
	v_sub_nc_u32_e32 v5, v7, v5
	v_ashrrev_i32_e32 v7, 8, v9
	v_add_nc_u32_e32 v5, 0x3c000000, v5
	s_delay_alu instid0(VALU_DEP_1) | instskip(NEXT) | instid1(VALU_DEP_1)
	v_and_or_b32 v5, 0x7f800000, v7, v5
	v_cndmask_b32_e32 v3, 0, v5, vcc_lo
	s_delay_alu instid0(VALU_DEP_1) | instskip(NEXT) | instid1(VALU_DEP_1)
	v_and_or_b32 v1, 0x80000000, v1, v3
	v_cvt_i32_f32_e32 v1, v1
.LBB55_1762:
	s_mov_b32 s11, 0
.LBB55_1763:
	s_delay_alu instid0(SALU_CYCLE_1)
	s_and_not1_b32 vcc_lo, exec_lo, s11
	s_cbranch_vccnz .LBB55_1765
; %bb.1764:
	s_wait_loadcnt 0x0
	global_load_u8 v1, v[22:23], off
	s_wait_loadcnt 0x0
	v_lshlrev_b32_e32 v3, 25, v1
	v_lshlrev_b16 v1, 8, v1
	s_delay_alu instid0(VALU_DEP_1) | instskip(SKIP_1) | instid1(VALU_DEP_2)
	v_and_or_b32 v7, 0x7f00, v1, 0.5
	v_bfe_i32 v1, v1, 0, 16
	v_add_f32_e32 v7, -0.5, v7
	v_lshrrev_b32_e32 v5, 4, v3
	v_cmp_gt_u32_e32 vcc_lo, 0x8000000, v3
	s_delay_alu instid0(VALU_DEP_2) | instskip(NEXT) | instid1(VALU_DEP_1)
	v_or_b32_e32 v5, 0x70000000, v5
	v_mul_f32_e32 v5, 0x7800000, v5
	s_delay_alu instid0(VALU_DEP_1) | instskip(NEXT) | instid1(VALU_DEP_1)
	v_cndmask_b32_e32 v3, v5, v7, vcc_lo
	v_and_or_b32 v1, 0x80000000, v1, v3
	s_delay_alu instid0(VALU_DEP_1)
	v_cvt_i32_f32_e32 v1, v1
.LBB55_1765:
	s_mov_b32 s11, 0
	s_mov_b32 s12, -1
.LBB55_1766:
	s_and_not1_b32 vcc_lo, exec_lo, s11
	s_mov_b32 s11, 0
	s_cbranch_vccnz .LBB55_1777
; %bb.1767:
	s_cmp_gt_i32 s4, 14
	s_cbranch_scc0 .LBB55_1770
; %bb.1768:
	s_cmp_eq_u32 s4, 15
	s_cbranch_scc0 .LBB55_1773
; %bb.1769:
	s_wait_loadcnt 0x0
	global_load_u16 v1, v[22:23], off
	s_mov_b32 s5, 0
	s_mov_b32 s12, -1
	s_wait_loadcnt 0x0
	v_lshlrev_b32_e32 v1, 16, v1
	s_delay_alu instid0(VALU_DEP_1)
	v_cvt_i32_f32_e32 v1, v1
	s_branch .LBB55_1775
.LBB55_1770:
	s_mov_b32 s11, -1
	s_branch .LBB55_1774
.LBB55_1771:
	s_and_not1_saveexec_b32 s11, s11
	s_cbranch_execz .LBB55_1752
.LBB55_1772:
	v_cmp_ne_u16_e32 vcc_lo, 0, v3
	s_and_not1_b32 s12, s12, exec_lo
	s_and_b32 s13, vcc_lo, exec_lo
	s_delay_alu instid0(SALU_CYCLE_1)
	s_or_b32 s12, s12, s13
	s_or_b32 exec_lo, exec_lo, s11
	v_mov_b32_e32 v1, 0
	s_and_saveexec_b32 s11, s12
	s_cbranch_execnz .LBB55_1753
	s_branch .LBB55_1754
.LBB55_1773:
	s_mov_b32 s5, -1
.LBB55_1774:
                                        ; implicit-def: $vgpr1
.LBB55_1775:
	s_and_b32 vcc_lo, exec_lo, s11
	s_mov_b32 s11, 0
	s_cbranch_vccz .LBB55_1777
; %bb.1776:
	s_cmp_lg_u32 s4, 11
	s_mov_b32 s11, -1
	s_cselect_b32 s5, -1, 0
.LBB55_1777:
	s_delay_alu instid0(SALU_CYCLE_1)
	s_and_b32 vcc_lo, exec_lo, s5
	s_cbranch_vccnz .LBB55_1840
; %bb.1778:
	s_and_not1_b32 vcc_lo, exec_lo, s11
	s_cbranch_vccnz .LBB55_1780
.LBB55_1779:
	s_wait_loadcnt 0x0
	global_load_u8 v1, v[22:23], off
	s_mov_b32 s12, -1
	s_wait_loadcnt 0x0
	v_cmp_ne_u16_e32 vcc_lo, 0, v1
	v_cndmask_b32_e64 v1, 0, 1, vcc_lo
.LBB55_1780:
	s_branch .LBB55_1708
.LBB55_1781:
	s_and_b32 s4, 0xffff, s7
	s_delay_alu instid0(SALU_CYCLE_1)
	s_cmp_lt_i32 s4, 5
	s_cbranch_scc1 .LBB55_1786
; %bb.1782:
	s_cmp_lt_i32 s4, 8
	s_cbranch_scc1 .LBB55_1787
; %bb.1783:
	;; [unrolled: 3-line block ×3, first 2 shown]
	s_cmp_gt_i32 s4, 9
	s_cbranch_scc0 .LBB55_1789
; %bb.1785:
	global_load_b64 v[24:25], v[22:23], off
	s_mov_b32 s5, 0
	s_wait_loadcnt 0x0
	v_cvt_i32_f64_e32 v1, v[24:25]
	s_branch .LBB55_1790
.LBB55_1786:
                                        ; implicit-def: $vgpr1
	s_branch .LBB55_1808
.LBB55_1787:
	s_mov_b32 s5, -1
                                        ; implicit-def: $vgpr1
	s_branch .LBB55_1796
.LBB55_1788:
	s_mov_b32 s5, -1
                                        ; implicit-def: $vgpr1
	s_branch .LBB55_1793
.LBB55_1789:
	s_mov_b32 s5, -1
                                        ; implicit-def: $vgpr1
.LBB55_1790:
	s_delay_alu instid0(SALU_CYCLE_1)
	s_and_not1_b32 vcc_lo, exec_lo, s5
	s_cbranch_vccnz .LBB55_1792
; %bb.1791:
	s_wait_loadcnt 0x0
	global_load_b32 v1, v[22:23], off
	s_wait_loadcnt 0x0
	v_cvt_i32_f32_e32 v1, v1
.LBB55_1792:
	s_mov_b32 s5, 0
.LBB55_1793:
	s_delay_alu instid0(SALU_CYCLE_1)
	s_and_not1_b32 vcc_lo, exec_lo, s5
	s_cbranch_vccnz .LBB55_1795
; %bb.1794:
	s_wait_loadcnt 0x0
	global_load_b32 v1, v[22:23], off
	s_wait_loadcnt 0x0
	v_cvt_f32_f16_e32 v1, v1
	s_delay_alu instid0(VALU_DEP_1)
	v_cvt_i32_f32_e32 v1, v1
.LBB55_1795:
	s_mov_b32 s5, 0
.LBB55_1796:
	s_delay_alu instid0(SALU_CYCLE_1)
	s_and_not1_b32 vcc_lo, exec_lo, s5
	s_cbranch_vccnz .LBB55_1807
; %bb.1797:
	s_cmp_lt_i32 s4, 6
	s_cbranch_scc1 .LBB55_1800
; %bb.1798:
	s_cmp_gt_i32 s4, 6
	s_cbranch_scc0 .LBB55_1801
; %bb.1799:
	global_load_b64 v[24:25], v[22:23], off
	s_mov_b32 s5, 0
	s_wait_loadcnt 0x0
	v_cvt_i32_f64_e32 v1, v[24:25]
	s_branch .LBB55_1802
.LBB55_1800:
	s_mov_b32 s5, -1
                                        ; implicit-def: $vgpr1
	s_branch .LBB55_1805
.LBB55_1801:
	s_mov_b32 s5, -1
                                        ; implicit-def: $vgpr1
.LBB55_1802:
	s_delay_alu instid0(SALU_CYCLE_1)
	s_and_not1_b32 vcc_lo, exec_lo, s5
	s_cbranch_vccnz .LBB55_1804
; %bb.1803:
	s_wait_loadcnt 0x0
	global_load_b32 v1, v[22:23], off
	s_wait_loadcnt 0x0
	v_cvt_i32_f32_e32 v1, v1
.LBB55_1804:
	s_mov_b32 s5, 0
.LBB55_1805:
	s_delay_alu instid0(SALU_CYCLE_1)
	s_and_not1_b32 vcc_lo, exec_lo, s5
	s_cbranch_vccnz .LBB55_1807
; %bb.1806:
	s_wait_loadcnt 0x0
	global_load_u16 v1, v[22:23], off
	s_wait_loadcnt 0x0
	v_cvt_f32_f16_e32 v1, v1
	s_delay_alu instid0(VALU_DEP_1)
	v_cvt_i32_f32_e32 v1, v1
.LBB55_1807:
	s_cbranch_execnz .LBB55_1827
.LBB55_1808:
	s_cmp_lt_i32 s4, 2
	s_cbranch_scc1 .LBB55_1812
; %bb.1809:
	s_cmp_lt_i32 s4, 3
	s_cbranch_scc1 .LBB55_1813
; %bb.1810:
	s_cmp_gt_i32 s4, 3
	s_cbranch_scc0 .LBB55_1814
; %bb.1811:
	s_wait_loadcnt 0x0
	global_load_b32 v1, v[22:23], off
	s_mov_b32 s5, 0
	s_branch .LBB55_1815
.LBB55_1812:
	s_mov_b32 s5, -1
                                        ; implicit-def: $vgpr1
	s_branch .LBB55_1821
.LBB55_1813:
	s_mov_b32 s5, -1
                                        ; implicit-def: $vgpr1
	s_branch .LBB55_1818
.LBB55_1814:
	s_mov_b32 s5, -1
                                        ; implicit-def: $vgpr1
.LBB55_1815:
	s_delay_alu instid0(SALU_CYCLE_1)
	s_and_not1_b32 vcc_lo, exec_lo, s5
	s_cbranch_vccnz .LBB55_1817
; %bb.1816:
	s_wait_loadcnt 0x0
	global_load_b32 v1, v[22:23], off
.LBB55_1817:
	s_mov_b32 s5, 0
.LBB55_1818:
	s_delay_alu instid0(SALU_CYCLE_1)
	s_and_not1_b32 vcc_lo, exec_lo, s5
	s_cbranch_vccnz .LBB55_1820
; %bb.1819:
	s_wait_loadcnt 0x0
	global_load_i16 v1, v[22:23], off
.LBB55_1820:
	s_mov_b32 s5, 0
.LBB55_1821:
	s_delay_alu instid0(SALU_CYCLE_1)
	s_and_not1_b32 vcc_lo, exec_lo, s5
	s_cbranch_vccnz .LBB55_1827
; %bb.1822:
	s_cmp_gt_i32 s4, 0
	s_mov_b32 s4, 0
	s_cbranch_scc0 .LBB55_1824
; %bb.1823:
	s_wait_loadcnt 0x0
	global_load_i8 v1, v[22:23], off
	s_branch .LBB55_1825
.LBB55_1824:
	s_mov_b32 s4, -1
                                        ; implicit-def: $vgpr1
.LBB55_1825:
	s_delay_alu instid0(SALU_CYCLE_1)
	s_and_not1_b32 vcc_lo, exec_lo, s4
	s_cbranch_vccnz .LBB55_1827
; %bb.1826:
	s_wait_loadcnt 0x0
	global_load_u8 v1, v[22:23], off
.LBB55_1827:
.LBB55_1828:
	v_mov_b32_e32 v21, 0
	s_load_b64 s[4:5], s[2:3], 0x1e0
	global_load_u8 v3, v21, s[2:3] offset:495
	s_wait_kmcnt 0x0
	v_add_nc_u64_e32 v[20:21], s[4:5], v[20:21]
	s_wait_loadcnt 0x0
	v_and_b32_e32 v5, 0xffff, v3
	v_readfirstlane_b32 s12, v3
	s_delay_alu instid0(VALU_DEP_2)
	v_cmp_gt_i32_e32 vcc_lo, 11, v5
	s_cbranch_vccnz .LBB55_1835
; %bb.1829:
	s_and_b32 s11, 0xffff, s12
	s_mov_b32 s14, 0
	s_cmp_gt_i32 s11, 25
	s_cbranch_scc0 .LBB55_1837
; %bb.1830:
	s_cmp_gt_i32 s11, 28
	s_cbranch_scc0 .LBB55_1838
; %bb.1831:
	;; [unrolled: 3-line block ×4, first 2 shown]
	s_cmp_eq_u32 s11, 46
	s_mov_b32 s16, 0
	s_cbranch_scc0 .LBB55_1842
; %bb.1834:
	global_load_b32 v3, v[20:21], off
	s_mov_b32 s13, 0
	s_mov_b32 s15, -1
	s_wait_loadcnt 0x0
	v_lshlrev_b32_e32 v3, 16, v3
	s_delay_alu instid0(VALU_DEP_1)
	v_cvt_i32_f32_e32 v3, v3
	s_branch .LBB55_1844
.LBB55_1835:
	s_mov_b32 s15, 0
                                        ; implicit-def: $vgpr3
	s_cbranch_execnz .LBB55_1906
.LBB55_1836:
	s_and_not1_b32 vcc_lo, exec_lo, s15
	s_cbranch_vccz .LBB55_1954
	s_branch .LBB55_3216
.LBB55_1837:
	s_mov_b32 s16, -1
	s_mov_b32 s15, 0
	s_mov_b32 s13, 0
                                        ; implicit-def: $vgpr3
	s_branch .LBB55_1871
.LBB55_1838:
	s_mov_b32 s16, -1
	s_mov_b32 s15, 0
	s_mov_b32 s13, 0
                                        ; implicit-def: $vgpr3
	s_branch .LBB55_1854
.LBB55_1839:
	s_mov_b32 s16, -1
	s_mov_b32 s15, 0
	s_mov_b32 s13, 0
                                        ; implicit-def: $vgpr3
	s_branch .LBB55_1849
.LBB55_1840:
	s_or_b32 s10, s10, exec_lo
	s_trap 2
	s_cbranch_execz .LBB55_1779
	s_branch .LBB55_1780
.LBB55_1841:
	s_mov_b32 s16, -1
	s_mov_b32 s15, 0
	s_mov_b32 s13, 0
	s_branch .LBB55_1843
.LBB55_1842:
	s_mov_b32 s13, -1
	s_mov_b32 s15, 0
.LBB55_1843:
                                        ; implicit-def: $vgpr3
.LBB55_1844:
	s_and_b32 vcc_lo, exec_lo, s16
	s_cbranch_vccz .LBB55_1848
; %bb.1845:
	s_cmp_eq_u32 s11, 44
	s_cbranch_scc0 .LBB55_1847
; %bb.1846:
	global_load_u8 v3, v[20:21], off
	s_mov_b32 s13, 0
	s_mov_b32 s15, -1
	s_wait_loadcnt 0x0
	v_lshlrev_b32_e32 v5, 23, v3
	v_cmp_ne_u32_e32 vcc_lo, 0, v3
	s_delay_alu instid0(VALU_DEP_2) | instskip(NEXT) | instid1(VALU_DEP_1)
	v_cvt_i32_f32_e32 v5, v5
	v_cndmask_b32_e32 v3, 0, v5, vcc_lo
	s_branch .LBB55_1848
.LBB55_1847:
	s_mov_b32 s13, -1
                                        ; implicit-def: $vgpr3
.LBB55_1848:
	s_mov_b32 s16, 0
.LBB55_1849:
	s_delay_alu instid0(SALU_CYCLE_1)
	s_and_b32 vcc_lo, exec_lo, s16
	s_cbranch_vccz .LBB55_1853
; %bb.1850:
	s_cmp_eq_u32 s11, 29
	s_cbranch_scc0 .LBB55_1852
; %bb.1851:
	global_load_b32 v3, v[20:21], off
	s_mov_b32 s13, 0
	s_mov_b32 s15, -1
	s_branch .LBB55_1853
.LBB55_1852:
	s_mov_b32 s13, -1
                                        ; implicit-def: $vgpr3
.LBB55_1853:
	s_mov_b32 s16, 0
.LBB55_1854:
	s_delay_alu instid0(SALU_CYCLE_1)
	s_and_b32 vcc_lo, exec_lo, s16
	s_cbranch_vccz .LBB55_1870
; %bb.1855:
	s_cmp_lt_i32 s11, 27
	s_cbranch_scc1 .LBB55_1858
; %bb.1856:
	s_cmp_gt_i32 s11, 27
	s_cbranch_scc0 .LBB55_1859
; %bb.1857:
	s_wait_loadcnt 0x0
	global_load_b32 v3, v[20:21], off
	s_mov_b32 s15, 0
	s_branch .LBB55_1860
.LBB55_1858:
	s_mov_b32 s15, -1
                                        ; implicit-def: $vgpr3
	s_branch .LBB55_1863
.LBB55_1859:
	s_mov_b32 s15, -1
                                        ; implicit-def: $vgpr3
.LBB55_1860:
	s_delay_alu instid0(SALU_CYCLE_1)
	s_and_not1_b32 vcc_lo, exec_lo, s15
	s_cbranch_vccnz .LBB55_1862
; %bb.1861:
	s_wait_loadcnt 0x0
	global_load_u16 v3, v[20:21], off
.LBB55_1862:
	s_mov_b32 s15, 0
.LBB55_1863:
	s_delay_alu instid0(SALU_CYCLE_1)
	s_and_not1_b32 vcc_lo, exec_lo, s15
	s_cbranch_vccnz .LBB55_1869
; %bb.1864:
	global_load_u8 v5, v[20:21], off
	s_mov_b32 s16, 0
	s_mov_b32 s15, exec_lo
	s_wait_loadcnt 0x0
	v_cmpx_lt_i16_e32 0x7f, v5
	s_xor_b32 s15, exec_lo, s15
	s_cbranch_execz .LBB55_1881
; %bb.1865:
	v_cmp_ne_u16_e32 vcc_lo, 0x80, v5
	s_and_b32 s16, vcc_lo, exec_lo
	s_and_not1_saveexec_b32 s15, s15
	s_cbranch_execnz .LBB55_1882
.LBB55_1866:
	s_or_b32 exec_lo, exec_lo, s15
	v_mov_b32_e32 v3, 0
	s_and_saveexec_b32 s15, s16
	s_cbranch_execz .LBB55_1868
.LBB55_1867:
	v_and_b32_e32 v3, 0xffff, v5
	s_delay_alu instid0(VALU_DEP_1) | instskip(SKIP_1) | instid1(VALU_DEP_2)
	v_and_b32_e32 v7, 7, v3
	v_bfe_u32 v13, v3, 3, 4
	v_clz_i32_u32_e32 v9, v7
	s_delay_alu instid0(VALU_DEP_2) | instskip(NEXT) | instid1(VALU_DEP_2)
	v_cmp_eq_u32_e32 vcc_lo, 0, v13
	v_min_u32_e32 v9, 32, v9
	s_delay_alu instid0(VALU_DEP_1) | instskip(NEXT) | instid1(VALU_DEP_1)
	v_subrev_nc_u32_e32 v11, 28, v9
	v_dual_lshlrev_b32 v3, v11, v3 :: v_dual_sub_nc_u32 v9, 29, v9
	s_delay_alu instid0(VALU_DEP_1) | instskip(NEXT) | instid1(VALU_DEP_1)
	v_dual_lshlrev_b32 v5, 24, v5 :: v_dual_bitop2_b32 v3, 7, v3 bitop3:0x40
	v_dual_cndmask_b32 v3, v7, v3, vcc_lo :: v_dual_cndmask_b32 v9, v13, v9, vcc_lo
	s_delay_alu instid0(VALU_DEP_2) | instskip(NEXT) | instid1(VALU_DEP_2)
	v_and_b32_e32 v5, 0x80000000, v5
	v_lshlrev_b32_e32 v3, 20, v3
	s_delay_alu instid0(VALU_DEP_3) | instskip(NEXT) | instid1(VALU_DEP_1)
	v_lshl_add_u32 v7, v9, 23, 0x3b800000
	v_or3_b32 v3, v5, v7, v3
	s_delay_alu instid0(VALU_DEP_1)
	v_cvt_i32_f32_e32 v3, v3
.LBB55_1868:
	s_or_b32 exec_lo, exec_lo, s15
.LBB55_1869:
	s_mov_b32 s15, -1
.LBB55_1870:
	s_mov_b32 s16, 0
.LBB55_1871:
	s_delay_alu instid0(SALU_CYCLE_1)
	s_and_b32 vcc_lo, exec_lo, s16
	s_cbranch_vccz .LBB55_1902
; %bb.1872:
	s_cmp_gt_i32 s11, 22
	s_cbranch_scc0 .LBB55_1880
; %bb.1873:
	s_cmp_lt_i32 s11, 24
	s_cbranch_scc1 .LBB55_1883
; %bb.1874:
	s_cmp_gt_i32 s11, 24
	s_cbranch_scc0 .LBB55_1884
; %bb.1875:
	global_load_u8 v5, v[20:21], off
	s_mov_b32 s15, 0
	s_mov_b32 s14, exec_lo
	s_wait_loadcnt 0x0
	v_cmpx_lt_i16_e32 0x7f, v5
	s_xor_b32 s14, exec_lo, s14
	s_cbranch_execz .LBB55_1896
; %bb.1876:
	v_cmp_ne_u16_e32 vcc_lo, 0x80, v5
	s_and_b32 s15, vcc_lo, exec_lo
	s_and_not1_saveexec_b32 s14, s14
	s_cbranch_execnz .LBB55_1897
.LBB55_1877:
	s_or_b32 exec_lo, exec_lo, s14
	v_mov_b32_e32 v3, 0
	s_and_saveexec_b32 s14, s15
	s_cbranch_execz .LBB55_1879
.LBB55_1878:
	v_and_b32_e32 v3, 0xffff, v5
	s_delay_alu instid0(VALU_DEP_1) | instskip(SKIP_1) | instid1(VALU_DEP_2)
	v_and_b32_e32 v7, 3, v3
	v_bfe_u32 v13, v3, 2, 5
	v_clz_i32_u32_e32 v9, v7
	s_delay_alu instid0(VALU_DEP_2) | instskip(NEXT) | instid1(VALU_DEP_2)
	v_cmp_eq_u32_e32 vcc_lo, 0, v13
	v_min_u32_e32 v9, 32, v9
	s_delay_alu instid0(VALU_DEP_1) | instskip(NEXT) | instid1(VALU_DEP_1)
	v_subrev_nc_u32_e32 v11, 29, v9
	v_dual_lshlrev_b32 v3, v11, v3 :: v_dual_sub_nc_u32 v9, 30, v9
	s_delay_alu instid0(VALU_DEP_1) | instskip(NEXT) | instid1(VALU_DEP_1)
	v_dual_lshlrev_b32 v5, 24, v5 :: v_dual_bitop2_b32 v3, 3, v3 bitop3:0x40
	v_dual_cndmask_b32 v3, v7, v3, vcc_lo :: v_dual_cndmask_b32 v9, v13, v9, vcc_lo
	s_delay_alu instid0(VALU_DEP_2) | instskip(NEXT) | instid1(VALU_DEP_2)
	v_and_b32_e32 v5, 0x80000000, v5
	v_lshlrev_b32_e32 v3, 21, v3
	s_delay_alu instid0(VALU_DEP_3) | instskip(NEXT) | instid1(VALU_DEP_1)
	v_lshl_add_u32 v7, v9, 23, 0x37800000
	v_or3_b32 v3, v5, v7, v3
	s_delay_alu instid0(VALU_DEP_1)
	v_cvt_i32_f32_e32 v3, v3
.LBB55_1879:
	s_or_b32 exec_lo, exec_lo, s14
	s_mov_b32 s14, 0
	s_branch .LBB55_1885
.LBB55_1880:
	s_mov_b32 s14, -1
                                        ; implicit-def: $vgpr3
	s_branch .LBB55_1891
.LBB55_1881:
	s_and_not1_saveexec_b32 s15, s15
	s_cbranch_execz .LBB55_1866
.LBB55_1882:
	v_cmp_ne_u16_e32 vcc_lo, 0, v5
	s_and_not1_b32 s16, s16, exec_lo
	s_and_b32 s17, vcc_lo, exec_lo
	s_delay_alu instid0(SALU_CYCLE_1)
	s_or_b32 s16, s16, s17
	s_or_b32 exec_lo, exec_lo, s15
	v_mov_b32_e32 v3, 0
	s_and_saveexec_b32 s15, s16
	s_cbranch_execnz .LBB55_1867
	s_branch .LBB55_1868
.LBB55_1883:
	s_mov_b32 s14, -1
                                        ; implicit-def: $vgpr3
	s_branch .LBB55_1888
.LBB55_1884:
	s_mov_b32 s14, -1
                                        ; implicit-def: $vgpr3
.LBB55_1885:
	s_delay_alu instid0(SALU_CYCLE_1)
	s_and_b32 vcc_lo, exec_lo, s14
	s_cbranch_vccz .LBB55_1887
; %bb.1886:
	s_wait_loadcnt 0x0
	global_load_u8 v3, v[20:21], off
	s_wait_loadcnt 0x0
	v_lshlrev_b32_e32 v3, 24, v3
	s_delay_alu instid0(VALU_DEP_1) | instskip(NEXT) | instid1(VALU_DEP_1)
	v_and_b32_e32 v5, 0x7f000000, v3
	v_clz_i32_u32_e32 v7, v5
	v_add_nc_u32_e32 v11, 0x1000000, v5
	v_cmp_ne_u32_e32 vcc_lo, 0, v5
	s_delay_alu instid0(VALU_DEP_3) | instskip(NEXT) | instid1(VALU_DEP_1)
	v_min_u32_e32 v7, 32, v7
	v_sub_nc_u32_e64 v7, v7, 4 clamp
	s_delay_alu instid0(VALU_DEP_1) | instskip(NEXT) | instid1(VALU_DEP_1)
	v_dual_lshlrev_b32 v9, v7, v5 :: v_dual_lshlrev_b32 v7, 23, v7
	v_lshrrev_b32_e32 v9, 4, v9
	s_delay_alu instid0(VALU_DEP_1) | instskip(SKIP_1) | instid1(VALU_DEP_2)
	v_sub_nc_u32_e32 v7, v9, v7
	v_ashrrev_i32_e32 v9, 8, v11
	v_add_nc_u32_e32 v7, 0x3c000000, v7
	s_delay_alu instid0(VALU_DEP_1) | instskip(NEXT) | instid1(VALU_DEP_1)
	v_and_or_b32 v7, 0x7f800000, v9, v7
	v_cndmask_b32_e32 v5, 0, v7, vcc_lo
	s_delay_alu instid0(VALU_DEP_1) | instskip(NEXT) | instid1(VALU_DEP_1)
	v_and_or_b32 v3, 0x80000000, v3, v5
	v_cvt_i32_f32_e32 v3, v3
.LBB55_1887:
	s_mov_b32 s14, 0
.LBB55_1888:
	s_delay_alu instid0(SALU_CYCLE_1)
	s_and_not1_b32 vcc_lo, exec_lo, s14
	s_cbranch_vccnz .LBB55_1890
; %bb.1889:
	s_wait_loadcnt 0x0
	global_load_u8 v3, v[20:21], off
	s_wait_loadcnt 0x0
	v_lshlrev_b32_e32 v5, 25, v3
	v_lshlrev_b16 v3, 8, v3
	s_delay_alu instid0(VALU_DEP_1) | instskip(SKIP_1) | instid1(VALU_DEP_2)
	v_and_or_b32 v9, 0x7f00, v3, 0.5
	v_bfe_i32 v3, v3, 0, 16
	v_add_f32_e32 v9, -0.5, v9
	v_lshrrev_b32_e32 v7, 4, v5
	v_cmp_gt_u32_e32 vcc_lo, 0x8000000, v5
	s_delay_alu instid0(VALU_DEP_2) | instskip(NEXT) | instid1(VALU_DEP_1)
	v_or_b32_e32 v7, 0x70000000, v7
	v_mul_f32_e32 v7, 0x7800000, v7
	s_delay_alu instid0(VALU_DEP_1) | instskip(NEXT) | instid1(VALU_DEP_1)
	v_cndmask_b32_e32 v5, v7, v9, vcc_lo
	v_and_or_b32 v3, 0x80000000, v3, v5
	s_delay_alu instid0(VALU_DEP_1)
	v_cvt_i32_f32_e32 v3, v3
.LBB55_1890:
	s_mov_b32 s14, 0
	s_mov_b32 s15, -1
.LBB55_1891:
	s_and_not1_b32 vcc_lo, exec_lo, s14
	s_mov_b32 s14, 0
	s_cbranch_vccnz .LBB55_1902
; %bb.1892:
	s_cmp_gt_i32 s11, 14
	s_cbranch_scc0 .LBB55_1895
; %bb.1893:
	s_cmp_eq_u32 s11, 15
	s_cbranch_scc0 .LBB55_1898
; %bb.1894:
	s_wait_loadcnt 0x0
	global_load_u16 v3, v[20:21], off
	s_mov_b32 s13, 0
	s_mov_b32 s15, -1
	s_wait_loadcnt 0x0
	v_lshlrev_b32_e32 v3, 16, v3
	s_delay_alu instid0(VALU_DEP_1)
	v_cvt_i32_f32_e32 v3, v3
	s_branch .LBB55_1900
.LBB55_1895:
	s_mov_b32 s14, -1
	s_branch .LBB55_1899
.LBB55_1896:
	s_and_not1_saveexec_b32 s14, s14
	s_cbranch_execz .LBB55_1877
.LBB55_1897:
	v_cmp_ne_u16_e32 vcc_lo, 0, v5
	s_and_not1_b32 s15, s15, exec_lo
	s_and_b32 s16, vcc_lo, exec_lo
	s_delay_alu instid0(SALU_CYCLE_1)
	s_or_b32 s15, s15, s16
	s_or_b32 exec_lo, exec_lo, s14
	v_mov_b32_e32 v3, 0
	s_and_saveexec_b32 s14, s15
	s_cbranch_execnz .LBB55_1878
	s_branch .LBB55_1879
.LBB55_1898:
	s_mov_b32 s13, -1
.LBB55_1899:
                                        ; implicit-def: $vgpr3
.LBB55_1900:
	s_and_b32 vcc_lo, exec_lo, s14
	s_mov_b32 s14, 0
	s_cbranch_vccz .LBB55_1902
; %bb.1901:
	s_cmp_lg_u32 s11, 11
	s_mov_b32 s14, -1
	s_cselect_b32 s13, -1, 0
.LBB55_1902:
	s_delay_alu instid0(SALU_CYCLE_1)
	s_and_b32 vcc_lo, exec_lo, s13
	s_cbranch_vccnz .LBB55_1984
; %bb.1903:
	s_and_not1_b32 vcc_lo, exec_lo, s14
	s_cbranch_vccnz .LBB55_1905
.LBB55_1904:
	s_wait_loadcnt 0x0
	global_load_u8 v3, v[20:21], off
	s_mov_b32 s15, -1
	s_wait_loadcnt 0x0
	v_cmp_ne_u16_e32 vcc_lo, 0, v3
	v_cndmask_b32_e64 v3, 0, 1, vcc_lo
.LBB55_1905:
	s_branch .LBB55_1836
.LBB55_1906:
	s_and_b32 s11, 0xffff, s12
	s_delay_alu instid0(SALU_CYCLE_1)
	s_cmp_lt_i32 s11, 5
	s_cbranch_scc1 .LBB55_1911
; %bb.1907:
	s_cmp_lt_i32 s11, 8
	s_cbranch_scc1 .LBB55_1912
; %bb.1908:
	;; [unrolled: 3-line block ×3, first 2 shown]
	s_cmp_gt_i32 s11, 9
	s_cbranch_scc0 .LBB55_1914
; %bb.1910:
	global_load_b64 v[22:23], v[20:21], off
	s_mov_b32 s13, 0
	s_wait_loadcnt 0x0
	v_cvt_i32_f64_e32 v3, v[22:23]
	s_branch .LBB55_1915
.LBB55_1911:
	s_mov_b32 s13, -1
                                        ; implicit-def: $vgpr3
	s_branch .LBB55_1933
.LBB55_1912:
	s_mov_b32 s13, -1
                                        ; implicit-def: $vgpr3
	s_branch .LBB55_1921
.LBB55_1913:
	s_mov_b32 s13, -1
                                        ; implicit-def: $vgpr3
	s_branch .LBB55_1918
.LBB55_1914:
	s_mov_b32 s13, -1
                                        ; implicit-def: $vgpr3
.LBB55_1915:
	s_delay_alu instid0(SALU_CYCLE_1)
	s_and_not1_b32 vcc_lo, exec_lo, s13
	s_cbranch_vccnz .LBB55_1917
; %bb.1916:
	s_wait_loadcnt 0x0
	global_load_b32 v3, v[20:21], off
	s_wait_loadcnt 0x0
	v_cvt_i32_f32_e32 v3, v3
.LBB55_1917:
	s_mov_b32 s13, 0
.LBB55_1918:
	s_delay_alu instid0(SALU_CYCLE_1)
	s_and_not1_b32 vcc_lo, exec_lo, s13
	s_cbranch_vccnz .LBB55_1920
; %bb.1919:
	s_wait_loadcnt 0x0
	global_load_b32 v3, v[20:21], off
	s_wait_loadcnt 0x0
	v_cvt_f32_f16_e32 v3, v3
	s_delay_alu instid0(VALU_DEP_1)
	v_cvt_i32_f32_e32 v3, v3
.LBB55_1920:
	s_mov_b32 s13, 0
.LBB55_1921:
	s_delay_alu instid0(SALU_CYCLE_1)
	s_and_not1_b32 vcc_lo, exec_lo, s13
	s_cbranch_vccnz .LBB55_1932
; %bb.1922:
	s_cmp_lt_i32 s11, 6
	s_cbranch_scc1 .LBB55_1925
; %bb.1923:
	s_cmp_gt_i32 s11, 6
	s_cbranch_scc0 .LBB55_1926
; %bb.1924:
	global_load_b64 v[22:23], v[20:21], off
	s_mov_b32 s13, 0
	s_wait_loadcnt 0x0
	v_cvt_i32_f64_e32 v3, v[22:23]
	s_branch .LBB55_1927
.LBB55_1925:
	s_mov_b32 s13, -1
                                        ; implicit-def: $vgpr3
	s_branch .LBB55_1930
.LBB55_1926:
	s_mov_b32 s13, -1
                                        ; implicit-def: $vgpr3
.LBB55_1927:
	s_delay_alu instid0(SALU_CYCLE_1)
	s_and_not1_b32 vcc_lo, exec_lo, s13
	s_cbranch_vccnz .LBB55_1929
; %bb.1928:
	s_wait_loadcnt 0x0
	global_load_b32 v3, v[20:21], off
	s_wait_loadcnt 0x0
	v_cvt_i32_f32_e32 v3, v3
.LBB55_1929:
	s_mov_b32 s13, 0
.LBB55_1930:
	s_delay_alu instid0(SALU_CYCLE_1)
	s_and_not1_b32 vcc_lo, exec_lo, s13
	s_cbranch_vccnz .LBB55_1932
; %bb.1931:
	s_wait_loadcnt 0x0
	global_load_u16 v3, v[20:21], off
	s_wait_loadcnt 0x0
	v_cvt_f32_f16_e32 v3, v3
	s_delay_alu instid0(VALU_DEP_1)
	v_cvt_i32_f32_e32 v3, v3
.LBB55_1932:
	s_mov_b32 s13, 0
.LBB55_1933:
	s_delay_alu instid0(SALU_CYCLE_1)
	s_and_not1_b32 vcc_lo, exec_lo, s13
	s_cbranch_vccnz .LBB55_1953
; %bb.1934:
	s_cmp_lt_i32 s11, 2
	s_cbranch_scc1 .LBB55_1938
; %bb.1935:
	s_cmp_lt_i32 s11, 3
	s_cbranch_scc1 .LBB55_1939
; %bb.1936:
	s_cmp_gt_i32 s11, 3
	s_cbranch_scc0 .LBB55_1940
; %bb.1937:
	s_wait_loadcnt 0x0
	global_load_b32 v3, v[20:21], off
	s_mov_b32 s13, 0
	s_branch .LBB55_1941
.LBB55_1938:
	s_mov_b32 s13, -1
                                        ; implicit-def: $vgpr3
	s_branch .LBB55_1947
.LBB55_1939:
	s_mov_b32 s13, -1
                                        ; implicit-def: $vgpr3
	s_branch .LBB55_1944
.LBB55_1940:
	s_mov_b32 s13, -1
                                        ; implicit-def: $vgpr3
.LBB55_1941:
	s_delay_alu instid0(SALU_CYCLE_1)
	s_and_not1_b32 vcc_lo, exec_lo, s13
	s_cbranch_vccnz .LBB55_1943
; %bb.1942:
	s_wait_loadcnt 0x0
	global_load_b32 v3, v[20:21], off
.LBB55_1943:
	s_mov_b32 s13, 0
.LBB55_1944:
	s_delay_alu instid0(SALU_CYCLE_1)
	s_and_not1_b32 vcc_lo, exec_lo, s13
	s_cbranch_vccnz .LBB55_1946
; %bb.1945:
	s_wait_loadcnt 0x0
	global_load_i16 v3, v[20:21], off
.LBB55_1946:
	s_mov_b32 s13, 0
.LBB55_1947:
	s_delay_alu instid0(SALU_CYCLE_1)
	s_and_not1_b32 vcc_lo, exec_lo, s13
	s_cbranch_vccnz .LBB55_1953
; %bb.1948:
	s_cmp_gt_i32 s11, 0
	s_mov_b32 s11, 0
	s_cbranch_scc0 .LBB55_1950
; %bb.1949:
	s_wait_loadcnt 0x0
	global_load_i8 v3, v[20:21], off
	s_branch .LBB55_1951
.LBB55_1950:
	s_mov_b32 s11, -1
                                        ; implicit-def: $vgpr3
.LBB55_1951:
	s_delay_alu instid0(SALU_CYCLE_1)
	s_and_not1_b32 vcc_lo, exec_lo, s11
	s_cbranch_vccnz .LBB55_1953
; %bb.1952:
	s_wait_loadcnt 0x0
	global_load_u8 v3, v[20:21], off
.LBB55_1953:
.LBB55_1954:
	s_and_b32 s11, 0xffff, s6
	s_delay_alu instid0(SALU_CYCLE_1)
	s_cmp_lt_i32 s11, 23
	s_cbranch_scc1 .LBB55_1958
; %bb.1955:
	s_cmp_gt_i32 s11, 43
	s_cbranch_scc0 .LBB55_1959
; %bb.1956:
	s_cmp_gt_i32 s11, 45
	s_cbranch_scc0 .LBB55_1960
; %bb.1957:
	s_cmp_lg_u32 s11, 46
	s_mov_b32 s14, 0
	s_mov_b32 s6, -1
	s_cselect_b32 s13, -1, 0
	s_branch .LBB55_1961
.LBB55_1958:
	s_mov_b32 s14, -1
	s_mov_b32 s6, 0
	s_mov_b32 s13, 0
	s_branch .LBB55_1967
.LBB55_1959:
	s_mov_b32 s14, -1
	s_mov_b32 s6, 0
	s_mov_b32 s13, 0
	s_branch .LBB55_1964
.LBB55_1960:
	s_mov_b32 s14, -1
	s_mov_b32 s6, 0
	s_mov_b32 s13, 0
.LBB55_1961:
	s_and_not1_b32 vcc_lo, exec_lo, s14
	s_cbranch_vccnz .LBB55_1963
; %bb.1962:
	s_cmp_eq_u32 s11, 44
	s_cselect_b32 s6, -1, 0
	s_cmp_lg_u32 s11, 44
	s_cselect_b32 s13, -1, 0
.LBB55_1963:
	s_mov_b32 s14, 0
.LBB55_1964:
	s_delay_alu instid0(SALU_CYCLE_1)
	s_and_b32 vcc_lo, exec_lo, s14
	s_cbranch_vccz .LBB55_1966
; %bb.1965:
	s_cmp_lt_i32 s11, 30
	s_cselect_b32 s6, -1, 0
	s_cmp_gt_i32 s11, 29
	s_cselect_b32 s13, -1, 0
.LBB55_1966:
	s_mov_b32 s14, 0
.LBB55_1967:
	s_delay_alu instid0(SALU_CYCLE_1)
	s_and_b32 vcc_lo, exec_lo, s14
	s_cbranch_vccz .LBB55_1972
; %bb.1968:
	s_cmp_gt_i32 s11, 14
	s_mov_b32 s14, -1
	s_cbranch_scc0 .LBB55_1970
; %bb.1969:
	s_cmp_eq_u32 s11, 15
	s_mov_b32 s14, 0
	s_cselect_b32 s6, -1, 0
	s_cmp_lg_u32 s11, 15
	s_cselect_b32 s13, -1, 0
.LBB55_1970:
	s_and_not1_b32 vcc_lo, exec_lo, s14
	s_cbranch_vccnz .LBB55_1972
; %bb.1971:
	s_cmp_lt_i32 s11, 12
	s_cselect_b32 s6, -1, 0
	s_cmp_gt_i32 s11, 11
	s_cselect_b32 s13, -1, 0
.LBB55_1972:
	s_delay_alu instid0(SALU_CYCLE_1)
	s_and_b32 vcc_lo, exec_lo, s13
	s_cbranch_vccnz .LBB55_1985
; %bb.1973:
	s_and_not1_b32 vcc_lo, exec_lo, s6
	s_cbranch_vccnz .LBB55_3216
.LBB55_1974:
	v_mov_b32_e32 v19, 0
	s_and_b32 s6, 0xffff, s7
	s_delay_alu instid0(SALU_CYCLE_1) | instskip(NEXT) | instid1(VALU_DEP_1)
	s_cmp_lt_i32 s6, 11
	v_add_nc_u64_e32 v[18:19], s[0:1], v[18:19]
	s_cbranch_scc1 .LBB55_1981
; %bb.1975:
	s_cmp_gt_i32 s6, 25
	s_mov_b32 s13, 0
	s_cbranch_scc0 .LBB55_1982
; %bb.1976:
	s_cmp_gt_i32 s6, 28
	s_cbranch_scc0 .LBB55_1983
; %bb.1977:
	s_cmp_gt_i32 s6, 43
	;; [unrolled: 3-line block ×3, first 2 shown]
	s_cbranch_scc0 .LBB55_1987
; %bb.1979:
	s_cmp_eq_u32 s6, 46
	s_mov_b32 s15, 0
	s_cbranch_scc0 .LBB55_1988
; %bb.1980:
	global_load_b32 v5, v[18:19], off
	s_mov_b32 s7, 0
	s_mov_b32 s14, -1
	s_wait_loadcnt 0x0
	v_lshlrev_b32_e32 v5, 16, v5
	s_delay_alu instid0(VALU_DEP_1)
	v_cvt_i32_f32_e32 v5, v5
	s_branch .LBB55_1990
.LBB55_1981:
	s_mov_b32 s7, -1
	s_mov_b32 s14, 0
                                        ; implicit-def: $vgpr5
	s_branch .LBB55_2052
.LBB55_1982:
	s_mov_b32 s15, -1
	s_mov_b32 s14, 0
	s_mov_b32 s7, 0
                                        ; implicit-def: $vgpr5
	s_branch .LBB55_2017
.LBB55_1983:
	s_mov_b32 s15, -1
	s_mov_b32 s14, 0
	s_mov_b32 s7, 0
                                        ; implicit-def: $vgpr5
	s_branch .LBB55_2000
.LBB55_1984:
	s_or_b32 s10, s10, exec_lo
	s_trap 2
	s_cbranch_execz .LBB55_1904
	s_branch .LBB55_1905
.LBB55_1985:
	s_or_b32 s10, s10, exec_lo
	s_trap 2
	s_cbranch_execz .LBB55_1974
	s_branch .LBB55_3216
.LBB55_1986:
	s_mov_b32 s15, -1
	s_mov_b32 s14, 0
	s_mov_b32 s7, 0
                                        ; implicit-def: $vgpr5
	s_branch .LBB55_1995
.LBB55_1987:
	s_mov_b32 s15, -1
	s_mov_b32 s14, 0
	s_mov_b32 s7, 0
	s_branch .LBB55_1989
.LBB55_1988:
	s_mov_b32 s7, -1
	s_mov_b32 s14, 0
.LBB55_1989:
                                        ; implicit-def: $vgpr5
.LBB55_1990:
	s_and_b32 vcc_lo, exec_lo, s15
	s_cbranch_vccz .LBB55_1994
; %bb.1991:
	s_cmp_eq_u32 s6, 44
	s_cbranch_scc0 .LBB55_1993
; %bb.1992:
	global_load_u8 v5, v[18:19], off
	s_mov_b32 s7, 0
	s_mov_b32 s14, -1
	s_wait_loadcnt 0x0
	v_lshlrev_b32_e32 v7, 23, v5
	v_cmp_ne_u32_e32 vcc_lo, 0, v5
	s_delay_alu instid0(VALU_DEP_2) | instskip(NEXT) | instid1(VALU_DEP_1)
	v_cvt_i32_f32_e32 v7, v7
	v_cndmask_b32_e32 v5, 0, v7, vcc_lo
	s_branch .LBB55_1994
.LBB55_1993:
	s_mov_b32 s7, -1
                                        ; implicit-def: $vgpr5
.LBB55_1994:
	s_mov_b32 s15, 0
.LBB55_1995:
	s_delay_alu instid0(SALU_CYCLE_1)
	s_and_b32 vcc_lo, exec_lo, s15
	s_cbranch_vccz .LBB55_1999
; %bb.1996:
	s_cmp_eq_u32 s6, 29
	s_cbranch_scc0 .LBB55_1998
; %bb.1997:
	global_load_b32 v5, v[18:19], off
	s_mov_b32 s7, 0
	s_mov_b32 s14, -1
	s_branch .LBB55_1999
.LBB55_1998:
	s_mov_b32 s7, -1
                                        ; implicit-def: $vgpr5
.LBB55_1999:
	s_mov_b32 s15, 0
.LBB55_2000:
	s_delay_alu instid0(SALU_CYCLE_1)
	s_and_b32 vcc_lo, exec_lo, s15
	s_cbranch_vccz .LBB55_2016
; %bb.2001:
	s_cmp_lt_i32 s6, 27
	s_cbranch_scc1 .LBB55_2004
; %bb.2002:
	s_cmp_gt_i32 s6, 27
	s_cbranch_scc0 .LBB55_2005
; %bb.2003:
	s_wait_loadcnt 0x0
	global_load_b32 v5, v[18:19], off
	s_mov_b32 s14, 0
	s_branch .LBB55_2006
.LBB55_2004:
	s_mov_b32 s14, -1
                                        ; implicit-def: $vgpr5
	s_branch .LBB55_2009
.LBB55_2005:
	s_mov_b32 s14, -1
                                        ; implicit-def: $vgpr5
.LBB55_2006:
	s_delay_alu instid0(SALU_CYCLE_1)
	s_and_not1_b32 vcc_lo, exec_lo, s14
	s_cbranch_vccnz .LBB55_2008
; %bb.2007:
	s_wait_loadcnt 0x0
	global_load_u16 v5, v[18:19], off
.LBB55_2008:
	s_mov_b32 s14, 0
.LBB55_2009:
	s_delay_alu instid0(SALU_CYCLE_1)
	s_and_not1_b32 vcc_lo, exec_lo, s14
	s_cbranch_vccnz .LBB55_2015
; %bb.2010:
	global_load_u8 v7, v[18:19], off
	s_mov_b32 s15, 0
	s_mov_b32 s14, exec_lo
	s_wait_loadcnt 0x0
	v_cmpx_lt_i16_e32 0x7f, v7
	s_xor_b32 s14, exec_lo, s14
	s_cbranch_execz .LBB55_2027
; %bb.2011:
	v_cmp_ne_u16_e32 vcc_lo, 0x80, v7
	s_and_b32 s15, vcc_lo, exec_lo
	s_and_not1_saveexec_b32 s14, s14
	s_cbranch_execnz .LBB55_2028
.LBB55_2012:
	s_or_b32 exec_lo, exec_lo, s14
	v_mov_b32_e32 v5, 0
	s_and_saveexec_b32 s14, s15
	s_cbranch_execz .LBB55_2014
.LBB55_2013:
	v_and_b32_e32 v5, 0xffff, v7
	s_delay_alu instid0(VALU_DEP_1) | instskip(SKIP_1) | instid1(VALU_DEP_2)
	v_and_b32_e32 v9, 7, v5
	v_bfe_u32 v15, v5, 3, 4
	v_clz_i32_u32_e32 v11, v9
	s_delay_alu instid0(VALU_DEP_2) | instskip(NEXT) | instid1(VALU_DEP_2)
	v_cmp_eq_u32_e32 vcc_lo, 0, v15
	v_min_u32_e32 v11, 32, v11
	s_delay_alu instid0(VALU_DEP_1) | instskip(NEXT) | instid1(VALU_DEP_1)
	v_subrev_nc_u32_e32 v13, 28, v11
	v_dual_lshlrev_b32 v5, v13, v5 :: v_dual_sub_nc_u32 v11, 29, v11
	s_delay_alu instid0(VALU_DEP_1) | instskip(NEXT) | instid1(VALU_DEP_1)
	v_dual_lshlrev_b32 v7, 24, v7 :: v_dual_bitop2_b32 v5, 7, v5 bitop3:0x40
	v_dual_cndmask_b32 v5, v9, v5, vcc_lo :: v_dual_cndmask_b32 v11, v15, v11, vcc_lo
	s_delay_alu instid0(VALU_DEP_2) | instskip(NEXT) | instid1(VALU_DEP_2)
	v_and_b32_e32 v7, 0x80000000, v7
	v_lshlrev_b32_e32 v5, 20, v5
	s_delay_alu instid0(VALU_DEP_3) | instskip(NEXT) | instid1(VALU_DEP_1)
	v_lshl_add_u32 v9, v11, 23, 0x3b800000
	v_or3_b32 v5, v7, v9, v5
	s_delay_alu instid0(VALU_DEP_1)
	v_cvt_i32_f32_e32 v5, v5
.LBB55_2014:
	s_or_b32 exec_lo, exec_lo, s14
.LBB55_2015:
	s_mov_b32 s14, -1
.LBB55_2016:
	s_mov_b32 s15, 0
.LBB55_2017:
	s_delay_alu instid0(SALU_CYCLE_1)
	s_and_b32 vcc_lo, exec_lo, s15
	s_cbranch_vccz .LBB55_2048
; %bb.2018:
	s_cmp_gt_i32 s6, 22
	s_cbranch_scc0 .LBB55_2026
; %bb.2019:
	s_cmp_lt_i32 s6, 24
	s_cbranch_scc1 .LBB55_2029
; %bb.2020:
	s_cmp_gt_i32 s6, 24
	s_cbranch_scc0 .LBB55_2030
; %bb.2021:
	global_load_u8 v7, v[18:19], off
	s_mov_b32 s14, 0
	s_mov_b32 s13, exec_lo
	s_wait_loadcnt 0x0
	v_cmpx_lt_i16_e32 0x7f, v7
	s_xor_b32 s13, exec_lo, s13
	s_cbranch_execz .LBB55_2042
; %bb.2022:
	v_cmp_ne_u16_e32 vcc_lo, 0x80, v7
	s_and_b32 s14, vcc_lo, exec_lo
	s_and_not1_saveexec_b32 s13, s13
	s_cbranch_execnz .LBB55_2043
.LBB55_2023:
	s_or_b32 exec_lo, exec_lo, s13
	v_mov_b32_e32 v5, 0
	s_and_saveexec_b32 s13, s14
	s_cbranch_execz .LBB55_2025
.LBB55_2024:
	v_and_b32_e32 v5, 0xffff, v7
	s_delay_alu instid0(VALU_DEP_1) | instskip(SKIP_1) | instid1(VALU_DEP_2)
	v_and_b32_e32 v9, 3, v5
	v_bfe_u32 v15, v5, 2, 5
	v_clz_i32_u32_e32 v11, v9
	s_delay_alu instid0(VALU_DEP_2) | instskip(NEXT) | instid1(VALU_DEP_2)
	v_cmp_eq_u32_e32 vcc_lo, 0, v15
	v_min_u32_e32 v11, 32, v11
	s_delay_alu instid0(VALU_DEP_1) | instskip(NEXT) | instid1(VALU_DEP_1)
	v_subrev_nc_u32_e32 v13, 29, v11
	v_dual_lshlrev_b32 v5, v13, v5 :: v_dual_sub_nc_u32 v11, 30, v11
	s_delay_alu instid0(VALU_DEP_1) | instskip(NEXT) | instid1(VALU_DEP_1)
	v_dual_lshlrev_b32 v7, 24, v7 :: v_dual_bitop2_b32 v5, 3, v5 bitop3:0x40
	v_dual_cndmask_b32 v5, v9, v5, vcc_lo :: v_dual_cndmask_b32 v11, v15, v11, vcc_lo
	s_delay_alu instid0(VALU_DEP_2) | instskip(NEXT) | instid1(VALU_DEP_2)
	v_and_b32_e32 v7, 0x80000000, v7
	v_lshlrev_b32_e32 v5, 21, v5
	s_delay_alu instid0(VALU_DEP_3) | instskip(NEXT) | instid1(VALU_DEP_1)
	v_lshl_add_u32 v9, v11, 23, 0x37800000
	v_or3_b32 v5, v7, v9, v5
	s_delay_alu instid0(VALU_DEP_1)
	v_cvt_i32_f32_e32 v5, v5
.LBB55_2025:
	s_or_b32 exec_lo, exec_lo, s13
	s_mov_b32 s13, 0
	s_branch .LBB55_2031
.LBB55_2026:
	s_mov_b32 s13, -1
                                        ; implicit-def: $vgpr5
	s_branch .LBB55_2037
.LBB55_2027:
	s_and_not1_saveexec_b32 s14, s14
	s_cbranch_execz .LBB55_2012
.LBB55_2028:
	v_cmp_ne_u16_e32 vcc_lo, 0, v7
	s_and_not1_b32 s15, s15, exec_lo
	s_and_b32 s16, vcc_lo, exec_lo
	s_delay_alu instid0(SALU_CYCLE_1)
	s_or_b32 s15, s15, s16
	s_or_b32 exec_lo, exec_lo, s14
	v_mov_b32_e32 v5, 0
	s_and_saveexec_b32 s14, s15
	s_cbranch_execnz .LBB55_2013
	s_branch .LBB55_2014
.LBB55_2029:
	s_mov_b32 s13, -1
                                        ; implicit-def: $vgpr5
	s_branch .LBB55_2034
.LBB55_2030:
	s_mov_b32 s13, -1
                                        ; implicit-def: $vgpr5
.LBB55_2031:
	s_delay_alu instid0(SALU_CYCLE_1)
	s_and_b32 vcc_lo, exec_lo, s13
	s_cbranch_vccz .LBB55_2033
; %bb.2032:
	s_wait_loadcnt 0x0
	global_load_u8 v5, v[18:19], off
	s_wait_loadcnt 0x0
	v_lshlrev_b32_e32 v5, 24, v5
	s_delay_alu instid0(VALU_DEP_1) | instskip(NEXT) | instid1(VALU_DEP_1)
	v_and_b32_e32 v7, 0x7f000000, v5
	v_clz_i32_u32_e32 v9, v7
	v_add_nc_u32_e32 v13, 0x1000000, v7
	v_cmp_ne_u32_e32 vcc_lo, 0, v7
	s_delay_alu instid0(VALU_DEP_3) | instskip(NEXT) | instid1(VALU_DEP_1)
	v_min_u32_e32 v9, 32, v9
	v_sub_nc_u32_e64 v9, v9, 4 clamp
	s_delay_alu instid0(VALU_DEP_1) | instskip(NEXT) | instid1(VALU_DEP_1)
	v_dual_lshlrev_b32 v11, v9, v7 :: v_dual_lshlrev_b32 v9, 23, v9
	v_lshrrev_b32_e32 v11, 4, v11
	s_delay_alu instid0(VALU_DEP_1) | instskip(SKIP_1) | instid1(VALU_DEP_2)
	v_sub_nc_u32_e32 v9, v11, v9
	v_ashrrev_i32_e32 v11, 8, v13
	v_add_nc_u32_e32 v9, 0x3c000000, v9
	s_delay_alu instid0(VALU_DEP_1) | instskip(NEXT) | instid1(VALU_DEP_1)
	v_and_or_b32 v9, 0x7f800000, v11, v9
	v_cndmask_b32_e32 v7, 0, v9, vcc_lo
	s_delay_alu instid0(VALU_DEP_1) | instskip(NEXT) | instid1(VALU_DEP_1)
	v_and_or_b32 v5, 0x80000000, v5, v7
	v_cvt_i32_f32_e32 v5, v5
.LBB55_2033:
	s_mov_b32 s13, 0
.LBB55_2034:
	s_delay_alu instid0(SALU_CYCLE_1)
	s_and_not1_b32 vcc_lo, exec_lo, s13
	s_cbranch_vccnz .LBB55_2036
; %bb.2035:
	s_wait_loadcnt 0x0
	global_load_u8 v5, v[18:19], off
	s_wait_loadcnt 0x0
	v_lshlrev_b32_e32 v7, 25, v5
	v_lshlrev_b16 v5, 8, v5
	s_delay_alu instid0(VALU_DEP_1) | instskip(SKIP_1) | instid1(VALU_DEP_2)
	v_and_or_b32 v11, 0x7f00, v5, 0.5
	v_bfe_i32 v5, v5, 0, 16
	v_add_f32_e32 v11, -0.5, v11
	v_lshrrev_b32_e32 v9, 4, v7
	v_cmp_gt_u32_e32 vcc_lo, 0x8000000, v7
	s_delay_alu instid0(VALU_DEP_2) | instskip(NEXT) | instid1(VALU_DEP_1)
	v_or_b32_e32 v9, 0x70000000, v9
	v_mul_f32_e32 v9, 0x7800000, v9
	s_delay_alu instid0(VALU_DEP_1) | instskip(NEXT) | instid1(VALU_DEP_1)
	v_cndmask_b32_e32 v7, v9, v11, vcc_lo
	v_and_or_b32 v5, 0x80000000, v5, v7
	s_delay_alu instid0(VALU_DEP_1)
	v_cvt_i32_f32_e32 v5, v5
.LBB55_2036:
	s_mov_b32 s13, 0
	s_mov_b32 s14, -1
.LBB55_2037:
	s_and_not1_b32 vcc_lo, exec_lo, s13
	s_mov_b32 s13, 0
	s_cbranch_vccnz .LBB55_2048
; %bb.2038:
	s_cmp_gt_i32 s6, 14
	s_cbranch_scc0 .LBB55_2041
; %bb.2039:
	s_cmp_eq_u32 s6, 15
	s_cbranch_scc0 .LBB55_2044
; %bb.2040:
	s_wait_loadcnt 0x0
	global_load_u16 v5, v[18:19], off
	s_mov_b32 s7, 0
	s_mov_b32 s14, -1
	s_wait_loadcnt 0x0
	v_lshlrev_b32_e32 v5, 16, v5
	s_delay_alu instid0(VALU_DEP_1)
	v_cvt_i32_f32_e32 v5, v5
	s_branch .LBB55_2046
.LBB55_2041:
	s_mov_b32 s13, -1
	s_branch .LBB55_2045
.LBB55_2042:
	s_and_not1_saveexec_b32 s13, s13
	s_cbranch_execz .LBB55_2023
.LBB55_2043:
	v_cmp_ne_u16_e32 vcc_lo, 0, v7
	s_and_not1_b32 s14, s14, exec_lo
	s_and_b32 s15, vcc_lo, exec_lo
	s_delay_alu instid0(SALU_CYCLE_1)
	s_or_b32 s14, s14, s15
	s_or_b32 exec_lo, exec_lo, s13
	v_mov_b32_e32 v5, 0
	s_and_saveexec_b32 s13, s14
	s_cbranch_execnz .LBB55_2024
	s_branch .LBB55_2025
.LBB55_2044:
	s_mov_b32 s7, -1
.LBB55_2045:
                                        ; implicit-def: $vgpr5
.LBB55_2046:
	s_and_b32 vcc_lo, exec_lo, s13
	s_mov_b32 s13, 0
	s_cbranch_vccz .LBB55_2048
; %bb.2047:
	s_cmp_lg_u32 s6, 11
	s_mov_b32 s13, -1
	s_cselect_b32 s7, -1, 0
.LBB55_2048:
	s_delay_alu instid0(SALU_CYCLE_1)
	s_and_b32 vcc_lo, exec_lo, s7
	s_cbranch_vccnz .LBB55_2113
; %bb.2049:
	s_and_not1_b32 vcc_lo, exec_lo, s13
	s_cbranch_vccnz .LBB55_2051
.LBB55_2050:
	s_wait_loadcnt 0x0
	global_load_u8 v5, v[18:19], off
	s_mov_b32 s14, -1
	s_wait_loadcnt 0x0
	v_cmp_ne_u16_e32 vcc_lo, 0, v5
	v_cndmask_b32_e64 v5, 0, 1, vcc_lo
.LBB55_2051:
	s_mov_b32 s7, 0
.LBB55_2052:
	s_delay_alu instid0(SALU_CYCLE_1)
	s_and_b32 vcc_lo, exec_lo, s7
	s_cbranch_vccz .LBB55_2101
; %bb.2053:
	s_cmp_lt_i32 s6, 5
	s_cbranch_scc1 .LBB55_2058
; %bb.2054:
	s_cmp_lt_i32 s6, 8
	s_cbranch_scc1 .LBB55_2059
	;; [unrolled: 3-line block ×3, first 2 shown]
; %bb.2056:
	s_cmp_gt_i32 s6, 9
	s_cbranch_scc0 .LBB55_2061
; %bb.2057:
	global_load_b64 v[20:21], v[18:19], off
	s_mov_b32 s7, 0
	s_wait_loadcnt 0x0
	v_cvt_i32_f64_e32 v5, v[20:21]
	s_branch .LBB55_2062
.LBB55_2058:
	s_mov_b32 s7, -1
                                        ; implicit-def: $vgpr5
	s_branch .LBB55_2080
.LBB55_2059:
	s_mov_b32 s7, -1
                                        ; implicit-def: $vgpr5
	s_branch .LBB55_2068
.LBB55_2060:
	s_mov_b32 s7, -1
                                        ; implicit-def: $vgpr5
	s_branch .LBB55_2065
.LBB55_2061:
	s_mov_b32 s7, -1
                                        ; implicit-def: $vgpr5
.LBB55_2062:
	s_delay_alu instid0(SALU_CYCLE_1)
	s_and_not1_b32 vcc_lo, exec_lo, s7
	s_cbranch_vccnz .LBB55_2064
; %bb.2063:
	s_wait_loadcnt 0x0
	global_load_b32 v5, v[18:19], off
	s_wait_loadcnt 0x0
	v_cvt_i32_f32_e32 v5, v5
.LBB55_2064:
	s_mov_b32 s7, 0
.LBB55_2065:
	s_delay_alu instid0(SALU_CYCLE_1)
	s_and_not1_b32 vcc_lo, exec_lo, s7
	s_cbranch_vccnz .LBB55_2067
; %bb.2066:
	s_wait_loadcnt 0x0
	global_load_b32 v5, v[18:19], off
	s_wait_loadcnt 0x0
	v_cvt_f32_f16_e32 v5, v5
	s_delay_alu instid0(VALU_DEP_1)
	v_cvt_i32_f32_e32 v5, v5
.LBB55_2067:
	s_mov_b32 s7, 0
.LBB55_2068:
	s_delay_alu instid0(SALU_CYCLE_1)
	s_and_not1_b32 vcc_lo, exec_lo, s7
	s_cbranch_vccnz .LBB55_2079
; %bb.2069:
	s_cmp_lt_i32 s6, 6
	s_cbranch_scc1 .LBB55_2072
; %bb.2070:
	s_cmp_gt_i32 s6, 6
	s_cbranch_scc0 .LBB55_2073
; %bb.2071:
	global_load_b64 v[20:21], v[18:19], off
	s_mov_b32 s7, 0
	s_wait_loadcnt 0x0
	v_cvt_i32_f64_e32 v5, v[20:21]
	s_branch .LBB55_2074
.LBB55_2072:
	s_mov_b32 s7, -1
                                        ; implicit-def: $vgpr5
	s_branch .LBB55_2077
.LBB55_2073:
	s_mov_b32 s7, -1
                                        ; implicit-def: $vgpr5
.LBB55_2074:
	s_delay_alu instid0(SALU_CYCLE_1)
	s_and_not1_b32 vcc_lo, exec_lo, s7
	s_cbranch_vccnz .LBB55_2076
; %bb.2075:
	s_wait_loadcnt 0x0
	global_load_b32 v5, v[18:19], off
	s_wait_loadcnt 0x0
	v_cvt_i32_f32_e32 v5, v5
.LBB55_2076:
	s_mov_b32 s7, 0
.LBB55_2077:
	s_delay_alu instid0(SALU_CYCLE_1)
	s_and_not1_b32 vcc_lo, exec_lo, s7
	s_cbranch_vccnz .LBB55_2079
; %bb.2078:
	s_wait_loadcnt 0x0
	global_load_u16 v5, v[18:19], off
	s_wait_loadcnt 0x0
	v_cvt_f32_f16_e32 v5, v5
	s_delay_alu instid0(VALU_DEP_1)
	v_cvt_i32_f32_e32 v5, v5
.LBB55_2079:
	s_mov_b32 s7, 0
.LBB55_2080:
	s_delay_alu instid0(SALU_CYCLE_1)
	s_and_not1_b32 vcc_lo, exec_lo, s7
	s_cbranch_vccnz .LBB55_2100
; %bb.2081:
	s_cmp_lt_i32 s6, 2
	s_cbranch_scc1 .LBB55_2085
; %bb.2082:
	s_cmp_lt_i32 s6, 3
	s_cbranch_scc1 .LBB55_2086
; %bb.2083:
	s_cmp_gt_i32 s6, 3
	s_cbranch_scc0 .LBB55_2087
; %bb.2084:
	s_wait_loadcnt 0x0
	global_load_b32 v5, v[18:19], off
	s_mov_b32 s7, 0
	s_branch .LBB55_2088
.LBB55_2085:
	s_mov_b32 s7, -1
                                        ; implicit-def: $vgpr5
	s_branch .LBB55_2094
.LBB55_2086:
	s_mov_b32 s7, -1
                                        ; implicit-def: $vgpr5
	s_branch .LBB55_2091
.LBB55_2087:
	s_mov_b32 s7, -1
                                        ; implicit-def: $vgpr5
.LBB55_2088:
	s_delay_alu instid0(SALU_CYCLE_1)
	s_and_not1_b32 vcc_lo, exec_lo, s7
	s_cbranch_vccnz .LBB55_2090
; %bb.2089:
	s_wait_loadcnt 0x0
	global_load_b32 v5, v[18:19], off
.LBB55_2090:
	s_mov_b32 s7, 0
.LBB55_2091:
	s_delay_alu instid0(SALU_CYCLE_1)
	s_and_not1_b32 vcc_lo, exec_lo, s7
	s_cbranch_vccnz .LBB55_2093
; %bb.2092:
	s_wait_loadcnt 0x0
	global_load_i16 v5, v[18:19], off
.LBB55_2093:
	s_mov_b32 s7, 0
.LBB55_2094:
	s_delay_alu instid0(SALU_CYCLE_1)
	s_and_not1_b32 vcc_lo, exec_lo, s7
	s_cbranch_vccnz .LBB55_2100
; %bb.2095:
	s_cmp_gt_i32 s6, 0
	s_mov_b32 s7, 0
	s_cbranch_scc0 .LBB55_2097
; %bb.2096:
	s_wait_loadcnt 0x0
	global_load_i8 v5, v[18:19], off
	s_branch .LBB55_2098
.LBB55_2097:
	s_mov_b32 s7, -1
                                        ; implicit-def: $vgpr5
.LBB55_2098:
	s_delay_alu instid0(SALU_CYCLE_1)
	s_and_not1_b32 vcc_lo, exec_lo, s7
	s_cbranch_vccnz .LBB55_2100
; %bb.2099:
	s_wait_loadcnt 0x0
	global_load_u8 v5, v[18:19], off
.LBB55_2100:
	s_mov_b32 s14, -1
.LBB55_2101:
	s_delay_alu instid0(SALU_CYCLE_1)
	s_and_not1_b32 vcc_lo, exec_lo, s14
	s_cbranch_vccnz .LBB55_3216
; %bb.2102:
	v_mov_b32_e32 v17, 0
	s_and_b32 s7, 0xffff, s12
	s_delay_alu instid0(SALU_CYCLE_1) | instskip(NEXT) | instid1(VALU_DEP_1)
	s_cmp_lt_i32 s7, 11
	v_add_nc_u64_e32 v[16:17], s[4:5], v[16:17]
	s_cbranch_scc1 .LBB55_2109
; %bb.2103:
	s_cmp_gt_i32 s7, 25
	s_mov_b32 s13, 0
	s_cbranch_scc0 .LBB55_2110
; %bb.2104:
	s_cmp_gt_i32 s7, 28
	s_cbranch_scc0 .LBB55_2111
; %bb.2105:
	s_cmp_gt_i32 s7, 43
	;; [unrolled: 3-line block ×3, first 2 shown]
	s_cbranch_scc0 .LBB55_2114
; %bb.2107:
	s_cmp_eq_u32 s7, 46
	s_mov_b32 s15, 0
	s_cbranch_scc0 .LBB55_2117
; %bb.2108:
	global_load_b32 v7, v[16:17], off
	s_mov_b32 s12, 0
	s_mov_b32 s14, -1
	s_wait_loadcnt 0x0
	v_lshlrev_b32_e32 v7, 16, v7
	s_wait_xcnt 0x1
	s_delay_alu instid0(VALU_DEP_1)
	v_cvt_i32_f32_e32 v18, v7
	s_branch .LBB55_2119
.LBB55_2109:
	s_mov_b32 s12, -1
	s_mov_b32 s14, 0
                                        ; implicit-def: $vgpr18
	s_branch .LBB55_2181
.LBB55_2110:
	s_mov_b32 s15, -1
	s_mov_b32 s14, 0
	s_mov_b32 s12, 0
                                        ; implicit-def: $vgpr18
	s_branch .LBB55_2146
.LBB55_2111:
	s_mov_b32 s15, -1
	s_mov_b32 s14, 0
	s_mov_b32 s12, 0
                                        ; implicit-def: $vgpr18
	s_branch .LBB55_2129
.LBB55_2112:
	s_mov_b32 s15, -1
	s_mov_b32 s14, 0
	s_mov_b32 s12, 0
                                        ; implicit-def: $vgpr18
	s_branch .LBB55_2124
.LBB55_2113:
	s_or_b32 s10, s10, exec_lo
	s_trap 2
	s_cbranch_execz .LBB55_2050
	s_branch .LBB55_2051
.LBB55_2114:
	s_mov_b32 s15, -1
	s_mov_b32 s14, 0
	s_mov_b32 s12, 0
	s_branch .LBB55_2118
.LBB55_2115:
	s_and_not1_saveexec_b32 s56, s56
	s_cbranch_execz .LBB55_1140
.LBB55_2116:
	v_add_f32_e64 v5, 0x46000000, |v1|
	s_and_not1_b32 s55, s55, exec_lo
	s_delay_alu instid0(VALU_DEP_1) | instskip(NEXT) | instid1(VALU_DEP_1)
	v_and_b32_e32 v5, 0xff, v5
	v_cmp_ne_u32_e32 vcc_lo, 0, v5
	s_and_b32 s57, vcc_lo, exec_lo
	s_delay_alu instid0(SALU_CYCLE_1)
	s_or_b32 s55, s55, s57
	s_or_b32 exec_lo, exec_lo, s56
	v_mov_b32_e32 v6, 0
	s_and_saveexec_b32 s56, s55
	s_cbranch_execnz .LBB55_1141
	s_branch .LBB55_1142
.LBB55_2117:
	s_mov_b32 s12, -1
	s_mov_b32 s14, 0
.LBB55_2118:
                                        ; implicit-def: $vgpr18
.LBB55_2119:
	s_and_b32 vcc_lo, exec_lo, s15
	s_cbranch_vccz .LBB55_2123
; %bb.2120:
	s_cmp_eq_u32 s7, 44
	s_cbranch_scc0 .LBB55_2122
; %bb.2121:
	global_load_u8 v7, v[16:17], off
	s_mov_b32 s12, 0
	s_mov_b32 s14, -1
	s_wait_loadcnt 0x0
	v_lshlrev_b32_e32 v9, 23, v7
	v_cmp_ne_u32_e32 vcc_lo, 0, v7
	s_delay_alu instid0(VALU_DEP_2) | instskip(SKIP_1) | instid1(VALU_DEP_1)
	v_cvt_i32_f32_e32 v9, v9
	s_wait_xcnt 0x1
	v_cndmask_b32_e32 v18, 0, v9, vcc_lo
	s_branch .LBB55_2123
.LBB55_2122:
	s_mov_b32 s12, -1
                                        ; implicit-def: $vgpr18
.LBB55_2123:
	s_mov_b32 s15, 0
.LBB55_2124:
	s_delay_alu instid0(SALU_CYCLE_1)
	s_and_b32 vcc_lo, exec_lo, s15
	s_cbranch_vccz .LBB55_2128
; %bb.2125:
	s_cmp_eq_u32 s7, 29
	s_cbranch_scc0 .LBB55_2127
; %bb.2126:
	global_load_b32 v18, v[16:17], off
	s_mov_b32 s12, 0
	s_mov_b32 s14, -1
	s_branch .LBB55_2128
.LBB55_2127:
	s_mov_b32 s12, -1
                                        ; implicit-def: $vgpr18
.LBB55_2128:
	s_mov_b32 s15, 0
.LBB55_2129:
	s_delay_alu instid0(SALU_CYCLE_1)
	s_and_b32 vcc_lo, exec_lo, s15
	s_cbranch_vccz .LBB55_2145
; %bb.2130:
	s_cmp_lt_i32 s7, 27
	s_cbranch_scc1 .LBB55_2133
; %bb.2131:
	s_cmp_gt_i32 s7, 27
	s_cbranch_scc0 .LBB55_2134
; %bb.2132:
	s_wait_loadcnt 0x0
	global_load_b32 v18, v[16:17], off
	s_mov_b32 s14, 0
	s_branch .LBB55_2135
.LBB55_2133:
	s_mov_b32 s14, -1
                                        ; implicit-def: $vgpr18
	s_branch .LBB55_2138
.LBB55_2134:
	s_mov_b32 s14, -1
                                        ; implicit-def: $vgpr18
.LBB55_2135:
	s_delay_alu instid0(SALU_CYCLE_1)
	s_and_not1_b32 vcc_lo, exec_lo, s14
	s_cbranch_vccnz .LBB55_2137
; %bb.2136:
	s_wait_loadcnt 0x0
	global_load_u16 v18, v[16:17], off
.LBB55_2137:
	s_mov_b32 s14, 0
.LBB55_2138:
	s_delay_alu instid0(SALU_CYCLE_1)
	s_and_not1_b32 vcc_lo, exec_lo, s14
	s_cbranch_vccnz .LBB55_2144
; %bb.2139:
	global_load_u8 v7, v[16:17], off
	s_mov_b32 s15, 0
	s_mov_b32 s14, exec_lo
	s_wait_loadcnt 0x0
	v_cmpx_lt_i16_e32 0x7f, v7
	s_xor_b32 s14, exec_lo, s14
	s_cbranch_execz .LBB55_2156
; %bb.2140:
	v_cmp_ne_u16_e32 vcc_lo, 0x80, v7
	s_and_b32 s15, vcc_lo, exec_lo
	s_and_not1_saveexec_b32 s14, s14
	s_cbranch_execnz .LBB55_2157
.LBB55_2141:
	s_or_b32 exec_lo, exec_lo, s14
	v_mov_b32_e32 v18, 0
	s_and_saveexec_b32 s14, s15
	s_cbranch_execz .LBB55_2143
.LBB55_2142:
	v_and_b32_e32 v9, 0xffff, v7
	s_delay_alu instid0(VALU_DEP_1) | instskip(SKIP_1) | instid1(VALU_DEP_2)
	v_dual_lshlrev_b32 v7, 24, v7 :: v_dual_bitop2_b32 v11, 7, v9 bitop3:0x40
	v_bfe_u32 v18, v9, 3, 4
	v_and_b32_e32 v7, 0x80000000, v7
	s_delay_alu instid0(VALU_DEP_3) | instskip(NEXT) | instid1(VALU_DEP_3)
	v_clz_i32_u32_e32 v13, v11
	v_cmp_eq_u32_e32 vcc_lo, 0, v18
	s_delay_alu instid0(VALU_DEP_2) | instskip(NEXT) | instid1(VALU_DEP_1)
	v_min_u32_e32 v13, 32, v13
	v_subrev_nc_u32_e32 v15, 28, v13
	v_sub_nc_u32_e32 v13, 29, v13
	s_delay_alu instid0(VALU_DEP_2) | instskip(NEXT) | instid1(VALU_DEP_2)
	v_lshlrev_b32_e32 v9, v15, v9
	v_cndmask_b32_e32 v13, v18, v13, vcc_lo
	s_delay_alu instid0(VALU_DEP_2) | instskip(NEXT) | instid1(VALU_DEP_1)
	v_and_b32_e32 v9, 7, v9
	v_cndmask_b32_e32 v9, v11, v9, vcc_lo
	s_delay_alu instid0(VALU_DEP_3) | instskip(NEXT) | instid1(VALU_DEP_2)
	v_lshl_add_u32 v11, v13, 23, 0x3b800000
	v_lshlrev_b32_e32 v9, 20, v9
	s_delay_alu instid0(VALU_DEP_1) | instskip(NEXT) | instid1(VALU_DEP_1)
	v_or3_b32 v7, v7, v11, v9
	v_cvt_i32_f32_e32 v18, v7
.LBB55_2143:
	s_or_b32 exec_lo, exec_lo, s14
.LBB55_2144:
	s_mov_b32 s14, -1
.LBB55_2145:
	s_mov_b32 s15, 0
.LBB55_2146:
	s_delay_alu instid0(SALU_CYCLE_1)
	s_and_b32 vcc_lo, exec_lo, s15
	s_cbranch_vccz .LBB55_2177
; %bb.2147:
	s_cmp_gt_i32 s7, 22
	s_cbranch_scc0 .LBB55_2155
; %bb.2148:
	s_cmp_lt_i32 s7, 24
	s_cbranch_scc1 .LBB55_2158
; %bb.2149:
	s_cmp_gt_i32 s7, 24
	s_cbranch_scc0 .LBB55_2159
; %bb.2150:
	global_load_u8 v7, v[16:17], off
	s_mov_b32 s14, 0
	s_mov_b32 s13, exec_lo
	s_wait_loadcnt 0x0
	v_cmpx_lt_i16_e32 0x7f, v7
	s_xor_b32 s13, exec_lo, s13
	s_cbranch_execz .LBB55_2171
; %bb.2151:
	v_cmp_ne_u16_e32 vcc_lo, 0x80, v7
	s_and_b32 s14, vcc_lo, exec_lo
	s_and_not1_saveexec_b32 s13, s13
	s_cbranch_execnz .LBB55_2172
.LBB55_2152:
	s_or_b32 exec_lo, exec_lo, s13
	v_mov_b32_e32 v18, 0
	s_and_saveexec_b32 s13, s14
	s_cbranch_execz .LBB55_2154
.LBB55_2153:
	v_and_b32_e32 v9, 0xffff, v7
	s_delay_alu instid0(VALU_DEP_1) | instskip(SKIP_1) | instid1(VALU_DEP_2)
	v_dual_lshlrev_b32 v7, 24, v7 :: v_dual_bitop2_b32 v11, 3, v9 bitop3:0x40
	v_bfe_u32 v18, v9, 2, 5
	v_and_b32_e32 v7, 0x80000000, v7
	s_delay_alu instid0(VALU_DEP_3) | instskip(NEXT) | instid1(VALU_DEP_3)
	v_clz_i32_u32_e32 v13, v11
	v_cmp_eq_u32_e32 vcc_lo, 0, v18
	s_delay_alu instid0(VALU_DEP_2) | instskip(NEXT) | instid1(VALU_DEP_1)
	v_min_u32_e32 v13, 32, v13
	v_subrev_nc_u32_e32 v15, 29, v13
	v_sub_nc_u32_e32 v13, 30, v13
	s_delay_alu instid0(VALU_DEP_2) | instskip(NEXT) | instid1(VALU_DEP_2)
	v_lshlrev_b32_e32 v9, v15, v9
	v_cndmask_b32_e32 v13, v18, v13, vcc_lo
	s_delay_alu instid0(VALU_DEP_2) | instskip(NEXT) | instid1(VALU_DEP_1)
	v_and_b32_e32 v9, 3, v9
	v_cndmask_b32_e32 v9, v11, v9, vcc_lo
	s_delay_alu instid0(VALU_DEP_3) | instskip(NEXT) | instid1(VALU_DEP_2)
	v_lshl_add_u32 v11, v13, 23, 0x37800000
	v_lshlrev_b32_e32 v9, 21, v9
	s_delay_alu instid0(VALU_DEP_1) | instskip(NEXT) | instid1(VALU_DEP_1)
	v_or3_b32 v7, v7, v11, v9
	v_cvt_i32_f32_e32 v18, v7
.LBB55_2154:
	s_or_b32 exec_lo, exec_lo, s13
	s_mov_b32 s13, 0
	s_branch .LBB55_2160
.LBB55_2155:
	s_mov_b32 s13, -1
                                        ; implicit-def: $vgpr18
	s_branch .LBB55_2166
.LBB55_2156:
	s_and_not1_saveexec_b32 s14, s14
	s_cbranch_execz .LBB55_2141
.LBB55_2157:
	v_cmp_ne_u16_e32 vcc_lo, 0, v7
	s_and_not1_b32 s15, s15, exec_lo
	s_and_b32 s16, vcc_lo, exec_lo
	s_delay_alu instid0(SALU_CYCLE_1)
	s_or_b32 s15, s15, s16
	s_or_b32 exec_lo, exec_lo, s14
	v_mov_b32_e32 v18, 0
	s_and_saveexec_b32 s14, s15
	s_cbranch_execnz .LBB55_2142
	s_branch .LBB55_2143
.LBB55_2158:
	s_mov_b32 s13, -1
                                        ; implicit-def: $vgpr18
	s_branch .LBB55_2163
.LBB55_2159:
	s_mov_b32 s13, -1
                                        ; implicit-def: $vgpr18
.LBB55_2160:
	s_delay_alu instid0(SALU_CYCLE_1)
	s_and_b32 vcc_lo, exec_lo, s13
	s_cbranch_vccz .LBB55_2162
; %bb.2161:
	global_load_u8 v7, v[16:17], off
	s_wait_loadcnt 0x0
	v_lshlrev_b32_e32 v7, 24, v7
	s_delay_alu instid0(VALU_DEP_1) | instskip(NEXT) | instid1(VALU_DEP_1)
	v_and_b32_e32 v9, 0x7f000000, v7
	v_clz_i32_u32_e32 v11, v9
	v_add_nc_u32_e32 v15, 0x1000000, v9
	v_cmp_ne_u32_e32 vcc_lo, 0, v9
	s_delay_alu instid0(VALU_DEP_3) | instskip(NEXT) | instid1(VALU_DEP_1)
	v_min_u32_e32 v11, 32, v11
	v_sub_nc_u32_e64 v11, v11, 4 clamp
	s_delay_alu instid0(VALU_DEP_1) | instskip(NEXT) | instid1(VALU_DEP_1)
	v_dual_lshlrev_b32 v13, v11, v9 :: v_dual_lshlrev_b32 v11, 23, v11
	v_lshrrev_b32_e32 v13, 4, v13
	s_delay_alu instid0(VALU_DEP_1) | instskip(SKIP_1) | instid1(VALU_DEP_2)
	v_sub_nc_u32_e32 v11, v13, v11
	v_ashrrev_i32_e32 v13, 8, v15
	v_add_nc_u32_e32 v11, 0x3c000000, v11
	s_delay_alu instid0(VALU_DEP_1) | instskip(NEXT) | instid1(VALU_DEP_1)
	v_and_or_b32 v11, 0x7f800000, v13, v11
	v_cndmask_b32_e32 v9, 0, v11, vcc_lo
	s_delay_alu instid0(VALU_DEP_1) | instskip(SKIP_1) | instid1(VALU_DEP_1)
	v_and_or_b32 v7, 0x80000000, v7, v9
	s_wait_xcnt 0x1
	v_cvt_i32_f32_e32 v18, v7
.LBB55_2162:
	s_mov_b32 s13, 0
.LBB55_2163:
	s_delay_alu instid0(SALU_CYCLE_1)
	s_and_not1_b32 vcc_lo, exec_lo, s13
	s_cbranch_vccnz .LBB55_2165
; %bb.2164:
	global_load_u8 v7, v[16:17], off
	s_wait_loadcnt 0x0
	v_lshlrev_b32_e32 v9, 25, v7
	v_lshlrev_b16 v7, 8, v7
	s_delay_alu instid0(VALU_DEP_1) | instskip(SKIP_1) | instid1(VALU_DEP_2)
	v_and_or_b32 v13, 0x7f00, v7, 0.5
	v_bfe_i32 v7, v7, 0, 16
	v_add_f32_e32 v13, -0.5, v13
	v_lshrrev_b32_e32 v11, 4, v9
	v_cmp_gt_u32_e32 vcc_lo, 0x8000000, v9
	s_delay_alu instid0(VALU_DEP_2) | instskip(NEXT) | instid1(VALU_DEP_1)
	v_or_b32_e32 v11, 0x70000000, v11
	v_mul_f32_e32 v11, 0x7800000, v11
	s_delay_alu instid0(VALU_DEP_1) | instskip(NEXT) | instid1(VALU_DEP_1)
	v_cndmask_b32_e32 v9, v11, v13, vcc_lo
	v_and_or_b32 v7, 0x80000000, v7, v9
	s_wait_xcnt 0x1
	s_delay_alu instid0(VALU_DEP_1)
	v_cvt_i32_f32_e32 v18, v7
.LBB55_2165:
	s_mov_b32 s13, 0
	s_mov_b32 s14, -1
.LBB55_2166:
	s_and_not1_b32 vcc_lo, exec_lo, s13
	s_mov_b32 s13, 0
	s_cbranch_vccnz .LBB55_2177
; %bb.2167:
	s_cmp_gt_i32 s7, 14
	s_cbranch_scc0 .LBB55_2170
; %bb.2168:
	s_cmp_eq_u32 s7, 15
	s_cbranch_scc0 .LBB55_2173
; %bb.2169:
	global_load_u16 v7, v[16:17], off
	s_mov_b32 s12, 0
	s_mov_b32 s14, -1
	s_wait_loadcnt 0x0
	v_lshlrev_b32_e32 v7, 16, v7
	s_wait_xcnt 0x1
	s_delay_alu instid0(VALU_DEP_1)
	v_cvt_i32_f32_e32 v18, v7
	s_branch .LBB55_2175
.LBB55_2170:
	s_mov_b32 s13, -1
	s_branch .LBB55_2174
.LBB55_2171:
	s_and_not1_saveexec_b32 s13, s13
	s_cbranch_execz .LBB55_2152
.LBB55_2172:
	v_cmp_ne_u16_e32 vcc_lo, 0, v7
	s_and_not1_b32 s14, s14, exec_lo
	s_and_b32 s15, vcc_lo, exec_lo
	s_delay_alu instid0(SALU_CYCLE_1)
	s_or_b32 s14, s14, s15
	s_or_b32 exec_lo, exec_lo, s13
	v_mov_b32_e32 v18, 0
	s_and_saveexec_b32 s13, s14
	s_cbranch_execnz .LBB55_2153
	s_branch .LBB55_2154
.LBB55_2173:
	s_mov_b32 s12, -1
.LBB55_2174:
                                        ; implicit-def: $vgpr18
.LBB55_2175:
	s_and_b32 vcc_lo, exec_lo, s13
	s_mov_b32 s13, 0
	s_cbranch_vccz .LBB55_2177
; %bb.2176:
	s_cmp_lg_u32 s7, 11
	s_mov_b32 s13, -1
	s_cselect_b32 s12, -1, 0
.LBB55_2177:
	s_delay_alu instid0(SALU_CYCLE_1)
	s_and_b32 vcc_lo, exec_lo, s12
	s_cbranch_vccnz .LBB55_2261
; %bb.2178:
	s_and_not1_b32 vcc_lo, exec_lo, s13
	s_cbranch_vccnz .LBB55_2180
.LBB55_2179:
	global_load_u8 v7, v[16:17], off
	s_mov_b32 s14, -1
	s_wait_loadcnt 0x0
	v_cmp_ne_u16_e32 vcc_lo, 0, v7
	s_wait_xcnt 0x1
	v_cndmask_b32_e64 v18, 0, 1, vcc_lo
.LBB55_2180:
	s_mov_b32 s12, 0
.LBB55_2181:
	s_delay_alu instid0(SALU_CYCLE_1)
	s_and_b32 vcc_lo, exec_lo, s12
	s_cbranch_vccz .LBB55_2230
; %bb.2182:
	s_cmp_lt_i32 s7, 5
	s_cbranch_scc1 .LBB55_2187
; %bb.2183:
	s_cmp_lt_i32 s7, 8
	s_cbranch_scc1 .LBB55_2188
	;; [unrolled: 3-line block ×3, first 2 shown]
; %bb.2185:
	s_cmp_gt_i32 s7, 9
	s_cbranch_scc0 .LBB55_2190
; %bb.2186:
	s_wait_loadcnt 0x0
	global_load_b64 v[18:19], v[16:17], off
	s_mov_b32 s12, 0
	s_wait_loadcnt 0x0
	v_cvt_i32_f64_e32 v18, v[18:19]
	s_branch .LBB55_2191
.LBB55_2187:
	s_mov_b32 s12, -1
                                        ; implicit-def: $vgpr18
	s_branch .LBB55_2209
.LBB55_2188:
	s_mov_b32 s12, -1
                                        ; implicit-def: $vgpr18
	s_branch .LBB55_2197
.LBB55_2189:
	s_mov_b32 s12, -1
                                        ; implicit-def: $vgpr18
	s_branch .LBB55_2194
.LBB55_2190:
	s_mov_b32 s12, -1
                                        ; implicit-def: $vgpr18
.LBB55_2191:
	s_delay_alu instid0(SALU_CYCLE_1)
	s_and_not1_b32 vcc_lo, exec_lo, s12
	s_cbranch_vccnz .LBB55_2193
; %bb.2192:
	global_load_b32 v7, v[16:17], off
	s_wait_loadcnt 0x0
	s_wait_xcnt 0x1
	v_cvt_i32_f32_e32 v18, v7
.LBB55_2193:
	s_mov_b32 s12, 0
.LBB55_2194:
	s_delay_alu instid0(SALU_CYCLE_1)
	s_and_not1_b32 vcc_lo, exec_lo, s12
	s_cbranch_vccnz .LBB55_2196
; %bb.2195:
	global_load_b32 v7, v[16:17], off
	s_wait_loadcnt 0x0
	v_cvt_f32_f16_e32 v7, v7
	s_wait_xcnt 0x1
	s_delay_alu instid0(VALU_DEP_1)
	v_cvt_i32_f32_e32 v18, v7
.LBB55_2196:
	s_mov_b32 s12, 0
.LBB55_2197:
	s_delay_alu instid0(SALU_CYCLE_1)
	s_and_not1_b32 vcc_lo, exec_lo, s12
	s_cbranch_vccnz .LBB55_2208
; %bb.2198:
	s_cmp_lt_i32 s7, 6
	s_cbranch_scc1 .LBB55_2201
; %bb.2199:
	s_cmp_gt_i32 s7, 6
	s_cbranch_scc0 .LBB55_2202
; %bb.2200:
	s_wait_loadcnt 0x0
	global_load_b64 v[18:19], v[16:17], off
	s_mov_b32 s12, 0
	s_wait_loadcnt 0x0
	v_cvt_i32_f64_e32 v18, v[18:19]
	s_branch .LBB55_2203
.LBB55_2201:
	s_mov_b32 s12, -1
                                        ; implicit-def: $vgpr18
	s_branch .LBB55_2206
.LBB55_2202:
	s_mov_b32 s12, -1
                                        ; implicit-def: $vgpr18
.LBB55_2203:
	s_delay_alu instid0(SALU_CYCLE_1)
	s_and_not1_b32 vcc_lo, exec_lo, s12
	s_cbranch_vccnz .LBB55_2205
; %bb.2204:
	global_load_b32 v7, v[16:17], off
	s_wait_loadcnt 0x0
	s_wait_xcnt 0x1
	v_cvt_i32_f32_e32 v18, v7
.LBB55_2205:
	s_mov_b32 s12, 0
.LBB55_2206:
	s_delay_alu instid0(SALU_CYCLE_1)
	s_and_not1_b32 vcc_lo, exec_lo, s12
	s_cbranch_vccnz .LBB55_2208
; %bb.2207:
	global_load_u16 v7, v[16:17], off
	s_wait_loadcnt 0x0
	v_cvt_f32_f16_e32 v7, v7
	s_wait_xcnt 0x1
	s_delay_alu instid0(VALU_DEP_1)
	v_cvt_i32_f32_e32 v18, v7
.LBB55_2208:
	s_mov_b32 s12, 0
.LBB55_2209:
	s_delay_alu instid0(SALU_CYCLE_1)
	s_and_not1_b32 vcc_lo, exec_lo, s12
	s_cbranch_vccnz .LBB55_2229
; %bb.2210:
	s_cmp_lt_i32 s7, 2
	s_cbranch_scc1 .LBB55_2214
; %bb.2211:
	s_cmp_lt_i32 s7, 3
	s_cbranch_scc1 .LBB55_2215
; %bb.2212:
	s_cmp_gt_i32 s7, 3
	s_cbranch_scc0 .LBB55_2216
; %bb.2213:
	s_wait_loadcnt 0x0
	global_load_b32 v18, v[16:17], off
	s_mov_b32 s12, 0
	s_branch .LBB55_2217
.LBB55_2214:
	s_mov_b32 s12, -1
                                        ; implicit-def: $vgpr18
	s_branch .LBB55_2223
.LBB55_2215:
	s_mov_b32 s12, -1
                                        ; implicit-def: $vgpr18
	s_branch .LBB55_2220
.LBB55_2216:
	s_mov_b32 s12, -1
                                        ; implicit-def: $vgpr18
.LBB55_2217:
	s_delay_alu instid0(SALU_CYCLE_1)
	s_and_not1_b32 vcc_lo, exec_lo, s12
	s_cbranch_vccnz .LBB55_2219
; %bb.2218:
	s_wait_loadcnt 0x0
	global_load_b32 v18, v[16:17], off
.LBB55_2219:
	s_mov_b32 s12, 0
.LBB55_2220:
	s_delay_alu instid0(SALU_CYCLE_1)
	s_and_not1_b32 vcc_lo, exec_lo, s12
	s_cbranch_vccnz .LBB55_2222
; %bb.2221:
	s_wait_loadcnt 0x0
	global_load_i16 v18, v[16:17], off
.LBB55_2222:
	s_mov_b32 s12, 0
.LBB55_2223:
	s_delay_alu instid0(SALU_CYCLE_1)
	s_and_not1_b32 vcc_lo, exec_lo, s12
	s_cbranch_vccnz .LBB55_2229
; %bb.2224:
	s_cmp_gt_i32 s7, 0
	s_mov_b32 s12, 0
	s_cbranch_scc0 .LBB55_2226
; %bb.2225:
	s_wait_loadcnt 0x0
	global_load_i8 v18, v[16:17], off
	s_branch .LBB55_2227
.LBB55_2226:
	s_mov_b32 s12, -1
                                        ; implicit-def: $vgpr18
.LBB55_2227:
	s_delay_alu instid0(SALU_CYCLE_1)
	s_and_not1_b32 vcc_lo, exec_lo, s12
	s_cbranch_vccnz .LBB55_2229
; %bb.2228:
	s_wait_loadcnt 0x0
	global_load_u8 v18, v[16:17], off
.LBB55_2229:
	s_mov_b32 s14, -1
.LBB55_2230:
	s_delay_alu instid0(SALU_CYCLE_1)
	s_and_not1_b32 vcc_lo, exec_lo, s14
	s_cbranch_vccnz .LBB55_3216
; %bb.2231:
	s_cmp_lt_i32 s11, 23
	s_cbranch_scc1 .LBB55_2235
; %bb.2232:
	s_cmp_gt_i32 s11, 43
	s_cbranch_scc0 .LBB55_2236
; %bb.2233:
	s_cmp_gt_i32 s11, 45
	s_cbranch_scc0 .LBB55_2237
; %bb.2234:
	s_cmp_lg_u32 s11, 46
	s_mov_b32 s14, 0
	s_mov_b32 s12, -1
	s_cselect_b32 s13, -1, 0
	s_branch .LBB55_2238
.LBB55_2235:
	s_mov_b32 s14, -1
	s_mov_b32 s12, 0
	s_mov_b32 s13, 0
	s_branch .LBB55_2244
.LBB55_2236:
	s_mov_b32 s14, -1
	s_mov_b32 s12, 0
	s_mov_b32 s13, 0
	s_branch .LBB55_2241
.LBB55_2237:
	s_mov_b32 s14, -1
	s_mov_b32 s12, 0
	s_mov_b32 s13, 0
.LBB55_2238:
	s_and_not1_b32 vcc_lo, exec_lo, s14
	s_cbranch_vccnz .LBB55_2240
; %bb.2239:
	s_cmp_eq_u32 s11, 44
	s_cselect_b32 s12, -1, 0
	s_cmp_lg_u32 s11, 44
	s_cselect_b32 s13, -1, 0
.LBB55_2240:
	s_mov_b32 s14, 0
.LBB55_2241:
	s_delay_alu instid0(SALU_CYCLE_1)
	s_and_b32 vcc_lo, exec_lo, s14
	s_cbranch_vccz .LBB55_2243
; %bb.2242:
	s_cmp_lt_i32 s11, 30
	s_cselect_b32 s12, -1, 0
	s_cmp_gt_i32 s11, 29
	s_cselect_b32 s13, -1, 0
.LBB55_2243:
	s_mov_b32 s14, 0
.LBB55_2244:
	s_delay_alu instid0(SALU_CYCLE_1)
	s_and_b32 vcc_lo, exec_lo, s14
	s_cbranch_vccz .LBB55_2249
; %bb.2245:
	s_cmp_gt_i32 s11, 14
	s_mov_b32 s14, -1
	s_cbranch_scc0 .LBB55_2247
; %bb.2246:
	s_cmp_eq_u32 s11, 15
	s_mov_b32 s14, 0
	s_cselect_b32 s12, -1, 0
	s_cmp_lg_u32 s11, 15
	s_cselect_b32 s13, -1, 0
.LBB55_2247:
	s_and_not1_b32 vcc_lo, exec_lo, s14
	s_cbranch_vccnz .LBB55_2249
; %bb.2248:
	s_cmp_lt_i32 s11, 12
	s_cselect_b32 s12, -1, 0
	s_cmp_gt_i32 s11, 11
	s_cselect_b32 s13, -1, 0
.LBB55_2249:
	s_delay_alu instid0(SALU_CYCLE_1)
	s_and_b32 vcc_lo, exec_lo, s13
	s_cbranch_vccnz .LBB55_2262
; %bb.2250:
	s_and_not1_b32 vcc_lo, exec_lo, s12
	s_cbranch_vccnz .LBB55_3216
.LBB55_2251:
	v_mov_b32_e32 v15, 0
	s_cmp_lt_i32 s6, 11
	s_delay_alu instid0(VALU_DEP_1)
	v_add_nc_u64_e32 v[14:15], s[0:1], v[14:15]
	s_cbranch_scc1 .LBB55_2258
; %bb.2252:
	s_cmp_gt_i32 s6, 25
	s_mov_b32 s13, 0
	s_cbranch_scc0 .LBB55_2259
; %bb.2253:
	s_cmp_gt_i32 s6, 28
	s_cbranch_scc0 .LBB55_2260
; %bb.2254:
	s_cmp_gt_i32 s6, 43
	;; [unrolled: 3-line block ×3, first 2 shown]
	s_cbranch_scc0 .LBB55_2266
; %bb.2256:
	s_cmp_eq_u32 s6, 46
	s_mov_b32 s15, 0
	s_cbranch_scc0 .LBB55_2267
; %bb.2257:
	global_load_b32 v7, v[14:15], off
	s_mov_b32 s12, 0
	s_mov_b32 s14, -1
	s_wait_loadcnt 0x0
	v_lshlrev_b32_e32 v7, 16, v7
	s_wait_xcnt 0x1
	s_delay_alu instid0(VALU_DEP_1)
	v_cvt_i32_f32_e32 v16, v7
	s_branch .LBB55_2269
.LBB55_2258:
	s_mov_b32 s12, -1
	s_mov_b32 s14, 0
                                        ; implicit-def: $vgpr16
	s_branch .LBB55_2331
.LBB55_2259:
	s_mov_b32 s15, -1
	s_mov_b32 s14, 0
	s_mov_b32 s12, 0
                                        ; implicit-def: $vgpr16
	s_branch .LBB55_2296
.LBB55_2260:
	s_mov_b32 s15, -1
	s_mov_b32 s14, 0
	s_mov_b32 s12, 0
                                        ; implicit-def: $vgpr16
	s_branch .LBB55_2279
.LBB55_2261:
	s_or_b32 s10, s10, exec_lo
	s_trap 2
	s_cbranch_execz .LBB55_2179
	s_branch .LBB55_2180
.LBB55_2262:
	s_or_b32 s10, s10, exec_lo
	s_trap 2
	s_cbranch_execz .LBB55_2251
	s_branch .LBB55_3216
.LBB55_2263:
	s_mov_b32 s15, -1
	s_mov_b32 s14, 0
	s_mov_b32 s12, 0
                                        ; implicit-def: $vgpr16
	s_branch .LBB55_2274
.LBB55_2264:
	s_and_not1_saveexec_b32 s56, s56
	s_cbranch_execz .LBB55_1153
.LBB55_2265:
	v_add_f32_e64 v5, 0x42800000, |v1|
	s_and_not1_b32 s55, s55, exec_lo
	s_delay_alu instid0(VALU_DEP_1) | instskip(NEXT) | instid1(VALU_DEP_1)
	v_and_b32_e32 v5, 0xff, v5
	v_cmp_ne_u32_e32 vcc_lo, 0, v5
	s_and_b32 s57, vcc_lo, exec_lo
	s_delay_alu instid0(SALU_CYCLE_1)
	s_or_b32 s55, s55, s57
	s_or_b32 exec_lo, exec_lo, s56
	v_mov_b32_e32 v6, 0
	s_and_saveexec_b32 s56, s55
	s_cbranch_execnz .LBB55_1154
	s_branch .LBB55_1155
.LBB55_2266:
	s_mov_b32 s15, -1
	s_mov_b32 s14, 0
	s_mov_b32 s12, 0
	s_branch .LBB55_2268
.LBB55_2267:
	s_mov_b32 s12, -1
	s_mov_b32 s14, 0
.LBB55_2268:
                                        ; implicit-def: $vgpr16
.LBB55_2269:
	s_and_b32 vcc_lo, exec_lo, s15
	s_cbranch_vccz .LBB55_2273
; %bb.2270:
	s_cmp_eq_u32 s6, 44
	s_cbranch_scc0 .LBB55_2272
; %bb.2271:
	global_load_u8 v7, v[14:15], off
	s_mov_b32 s12, 0
	s_mov_b32 s14, -1
	s_wait_loadcnt 0x0
	v_lshlrev_b32_e32 v9, 23, v7
	v_cmp_ne_u32_e32 vcc_lo, 0, v7
	s_delay_alu instid0(VALU_DEP_2) | instskip(SKIP_1) | instid1(VALU_DEP_1)
	v_cvt_i32_f32_e32 v9, v9
	s_wait_xcnt 0x1
	v_cndmask_b32_e32 v16, 0, v9, vcc_lo
	s_branch .LBB55_2273
.LBB55_2272:
	s_mov_b32 s12, -1
                                        ; implicit-def: $vgpr16
.LBB55_2273:
	s_mov_b32 s15, 0
.LBB55_2274:
	s_delay_alu instid0(SALU_CYCLE_1)
	s_and_b32 vcc_lo, exec_lo, s15
	s_cbranch_vccz .LBB55_2278
; %bb.2275:
	s_cmp_eq_u32 s6, 29
	s_cbranch_scc0 .LBB55_2277
; %bb.2276:
	global_load_b32 v16, v[14:15], off
	s_mov_b32 s12, 0
	s_mov_b32 s14, -1
	s_branch .LBB55_2278
.LBB55_2277:
	s_mov_b32 s12, -1
                                        ; implicit-def: $vgpr16
.LBB55_2278:
	s_mov_b32 s15, 0
.LBB55_2279:
	s_delay_alu instid0(SALU_CYCLE_1)
	s_and_b32 vcc_lo, exec_lo, s15
	s_cbranch_vccz .LBB55_2295
; %bb.2280:
	s_cmp_lt_i32 s6, 27
	s_cbranch_scc1 .LBB55_2283
; %bb.2281:
	s_cmp_gt_i32 s6, 27
	s_cbranch_scc0 .LBB55_2284
; %bb.2282:
	s_wait_loadcnt 0x0
	global_load_b32 v16, v[14:15], off
	s_mov_b32 s14, 0
	s_branch .LBB55_2285
.LBB55_2283:
	s_mov_b32 s14, -1
                                        ; implicit-def: $vgpr16
	s_branch .LBB55_2288
.LBB55_2284:
	s_mov_b32 s14, -1
                                        ; implicit-def: $vgpr16
.LBB55_2285:
	s_delay_alu instid0(SALU_CYCLE_1)
	s_and_not1_b32 vcc_lo, exec_lo, s14
	s_cbranch_vccnz .LBB55_2287
; %bb.2286:
	s_wait_loadcnt 0x0
	global_load_u16 v16, v[14:15], off
.LBB55_2287:
	s_mov_b32 s14, 0
.LBB55_2288:
	s_delay_alu instid0(SALU_CYCLE_1)
	s_and_not1_b32 vcc_lo, exec_lo, s14
	s_cbranch_vccnz .LBB55_2294
; %bb.2289:
	global_load_u8 v7, v[14:15], off
	s_mov_b32 s15, 0
	s_mov_b32 s14, exec_lo
	s_wait_loadcnt 0x0
	v_cmpx_lt_i16_e32 0x7f, v7
	s_xor_b32 s14, exec_lo, s14
	s_cbranch_execz .LBB55_2306
; %bb.2290:
	v_cmp_ne_u16_e32 vcc_lo, 0x80, v7
	s_and_b32 s15, vcc_lo, exec_lo
	s_and_not1_saveexec_b32 s14, s14
	s_cbranch_execnz .LBB55_2307
.LBB55_2291:
	s_or_b32 exec_lo, exec_lo, s14
	v_mov_b32_e32 v16, 0
	s_and_saveexec_b32 s14, s15
	s_cbranch_execz .LBB55_2293
.LBB55_2292:
	v_and_b32_e32 v9, 0xffff, v7
	s_delay_alu instid0(VALU_DEP_1) | instskip(SKIP_1) | instid1(VALU_DEP_2)
	v_dual_lshlrev_b32 v7, 24, v7 :: v_dual_bitop2_b32 v11, 7, v9 bitop3:0x40
	v_bfe_u32 v17, v9, 3, 4
	v_and_b32_e32 v7, 0x80000000, v7
	s_delay_alu instid0(VALU_DEP_3) | instskip(NEXT) | instid1(VALU_DEP_3)
	v_clz_i32_u32_e32 v13, v11
	v_cmp_eq_u32_e32 vcc_lo, 0, v17
	s_delay_alu instid0(VALU_DEP_2) | instskip(NEXT) | instid1(VALU_DEP_1)
	v_min_u32_e32 v13, 32, v13
	v_subrev_nc_u32_e32 v16, 28, v13
	v_sub_nc_u32_e32 v13, 29, v13
	s_delay_alu instid0(VALU_DEP_2) | instskip(NEXT) | instid1(VALU_DEP_2)
	v_lshlrev_b32_e32 v9, v16, v9
	v_cndmask_b32_e32 v13, v17, v13, vcc_lo
	s_delay_alu instid0(VALU_DEP_2) | instskip(NEXT) | instid1(VALU_DEP_1)
	v_and_b32_e32 v9, 7, v9
	v_cndmask_b32_e32 v9, v11, v9, vcc_lo
	s_delay_alu instid0(VALU_DEP_3) | instskip(NEXT) | instid1(VALU_DEP_2)
	v_lshl_add_u32 v11, v13, 23, 0x3b800000
	v_lshlrev_b32_e32 v9, 20, v9
	s_delay_alu instid0(VALU_DEP_1) | instskip(NEXT) | instid1(VALU_DEP_1)
	v_or3_b32 v7, v7, v11, v9
	v_cvt_i32_f32_e32 v16, v7
.LBB55_2293:
	s_or_b32 exec_lo, exec_lo, s14
.LBB55_2294:
	s_mov_b32 s14, -1
.LBB55_2295:
	s_mov_b32 s15, 0
.LBB55_2296:
	s_delay_alu instid0(SALU_CYCLE_1)
	s_and_b32 vcc_lo, exec_lo, s15
	s_cbranch_vccz .LBB55_2327
; %bb.2297:
	s_cmp_gt_i32 s6, 22
	s_cbranch_scc0 .LBB55_2305
; %bb.2298:
	s_cmp_lt_i32 s6, 24
	s_cbranch_scc1 .LBB55_2308
; %bb.2299:
	s_cmp_gt_i32 s6, 24
	s_cbranch_scc0 .LBB55_2309
; %bb.2300:
	global_load_u8 v7, v[14:15], off
	s_mov_b32 s14, 0
	s_mov_b32 s13, exec_lo
	s_wait_loadcnt 0x0
	v_cmpx_lt_i16_e32 0x7f, v7
	s_xor_b32 s13, exec_lo, s13
	s_cbranch_execz .LBB55_2321
; %bb.2301:
	v_cmp_ne_u16_e32 vcc_lo, 0x80, v7
	s_and_b32 s14, vcc_lo, exec_lo
	s_and_not1_saveexec_b32 s13, s13
	s_cbranch_execnz .LBB55_2322
.LBB55_2302:
	s_or_b32 exec_lo, exec_lo, s13
	v_mov_b32_e32 v16, 0
	s_and_saveexec_b32 s13, s14
	s_cbranch_execz .LBB55_2304
.LBB55_2303:
	v_and_b32_e32 v9, 0xffff, v7
	s_delay_alu instid0(VALU_DEP_1) | instskip(SKIP_1) | instid1(VALU_DEP_2)
	v_dual_lshlrev_b32 v7, 24, v7 :: v_dual_bitop2_b32 v11, 3, v9 bitop3:0x40
	v_bfe_u32 v17, v9, 2, 5
	v_and_b32_e32 v7, 0x80000000, v7
	s_delay_alu instid0(VALU_DEP_3) | instskip(NEXT) | instid1(VALU_DEP_3)
	v_clz_i32_u32_e32 v13, v11
	v_cmp_eq_u32_e32 vcc_lo, 0, v17
	s_delay_alu instid0(VALU_DEP_2) | instskip(NEXT) | instid1(VALU_DEP_1)
	v_min_u32_e32 v13, 32, v13
	v_subrev_nc_u32_e32 v16, 29, v13
	v_sub_nc_u32_e32 v13, 30, v13
	s_delay_alu instid0(VALU_DEP_2) | instskip(NEXT) | instid1(VALU_DEP_2)
	v_lshlrev_b32_e32 v9, v16, v9
	v_cndmask_b32_e32 v13, v17, v13, vcc_lo
	s_delay_alu instid0(VALU_DEP_2) | instskip(NEXT) | instid1(VALU_DEP_1)
	v_and_b32_e32 v9, 3, v9
	v_cndmask_b32_e32 v9, v11, v9, vcc_lo
	s_delay_alu instid0(VALU_DEP_3) | instskip(NEXT) | instid1(VALU_DEP_2)
	v_lshl_add_u32 v11, v13, 23, 0x37800000
	v_lshlrev_b32_e32 v9, 21, v9
	s_delay_alu instid0(VALU_DEP_1) | instskip(NEXT) | instid1(VALU_DEP_1)
	v_or3_b32 v7, v7, v11, v9
	v_cvt_i32_f32_e32 v16, v7
.LBB55_2304:
	s_or_b32 exec_lo, exec_lo, s13
	s_mov_b32 s13, 0
	s_branch .LBB55_2310
.LBB55_2305:
	s_mov_b32 s13, -1
                                        ; implicit-def: $vgpr16
	s_branch .LBB55_2316
.LBB55_2306:
	s_and_not1_saveexec_b32 s14, s14
	s_cbranch_execz .LBB55_2291
.LBB55_2307:
	v_cmp_ne_u16_e32 vcc_lo, 0, v7
	s_and_not1_b32 s15, s15, exec_lo
	s_and_b32 s16, vcc_lo, exec_lo
	s_delay_alu instid0(SALU_CYCLE_1)
	s_or_b32 s15, s15, s16
	s_or_b32 exec_lo, exec_lo, s14
	v_mov_b32_e32 v16, 0
	s_and_saveexec_b32 s14, s15
	s_cbranch_execnz .LBB55_2292
	s_branch .LBB55_2293
.LBB55_2308:
	s_mov_b32 s13, -1
                                        ; implicit-def: $vgpr16
	s_branch .LBB55_2313
.LBB55_2309:
	s_mov_b32 s13, -1
                                        ; implicit-def: $vgpr16
.LBB55_2310:
	s_delay_alu instid0(SALU_CYCLE_1)
	s_and_b32 vcc_lo, exec_lo, s13
	s_cbranch_vccz .LBB55_2312
; %bb.2311:
	global_load_u8 v7, v[14:15], off
	s_wait_loadcnt 0x0
	v_lshlrev_b32_e32 v7, 24, v7
	s_delay_alu instid0(VALU_DEP_1) | instskip(NEXT) | instid1(VALU_DEP_1)
	v_and_b32_e32 v9, 0x7f000000, v7
	v_clz_i32_u32_e32 v11, v9
	v_cmp_ne_u32_e32 vcc_lo, 0, v9
	s_wait_xcnt 0x1
	v_add_nc_u32_e32 v16, 0x1000000, v9
	s_delay_alu instid0(VALU_DEP_3) | instskip(NEXT) | instid1(VALU_DEP_1)
	v_min_u32_e32 v11, 32, v11
	v_sub_nc_u32_e64 v11, v11, 4 clamp
	s_delay_alu instid0(VALU_DEP_1) | instskip(NEXT) | instid1(VALU_DEP_1)
	v_dual_lshlrev_b32 v13, v11, v9 :: v_dual_lshlrev_b32 v11, 23, v11
	v_lshrrev_b32_e32 v13, 4, v13
	s_delay_alu instid0(VALU_DEP_1) | instskip(NEXT) | instid1(VALU_DEP_1)
	v_dual_sub_nc_u32 v11, v13, v11 :: v_dual_ashrrev_i32 v13, 8, v16
	v_add_nc_u32_e32 v11, 0x3c000000, v11
	s_delay_alu instid0(VALU_DEP_1) | instskip(NEXT) | instid1(VALU_DEP_1)
	v_and_or_b32 v11, 0x7f800000, v13, v11
	v_cndmask_b32_e32 v9, 0, v11, vcc_lo
	s_delay_alu instid0(VALU_DEP_1) | instskip(NEXT) | instid1(VALU_DEP_1)
	v_and_or_b32 v7, 0x80000000, v7, v9
	v_cvt_i32_f32_e32 v16, v7
.LBB55_2312:
	s_mov_b32 s13, 0
.LBB55_2313:
	s_delay_alu instid0(SALU_CYCLE_1)
	s_and_not1_b32 vcc_lo, exec_lo, s13
	s_cbranch_vccnz .LBB55_2315
; %bb.2314:
	global_load_u8 v7, v[14:15], off
	s_wait_loadcnt 0x0
	v_lshlrev_b32_e32 v9, 25, v7
	v_lshlrev_b16 v7, 8, v7
	s_delay_alu instid0(VALU_DEP_1) | instskip(SKIP_1) | instid1(VALU_DEP_2)
	v_and_or_b32 v13, 0x7f00, v7, 0.5
	v_bfe_i32 v7, v7, 0, 16
	v_add_f32_e32 v13, -0.5, v13
	v_lshrrev_b32_e32 v11, 4, v9
	v_cmp_gt_u32_e32 vcc_lo, 0x8000000, v9
	s_delay_alu instid0(VALU_DEP_2) | instskip(NEXT) | instid1(VALU_DEP_1)
	v_or_b32_e32 v11, 0x70000000, v11
	v_mul_f32_e32 v11, 0x7800000, v11
	s_delay_alu instid0(VALU_DEP_1) | instskip(NEXT) | instid1(VALU_DEP_1)
	v_cndmask_b32_e32 v9, v11, v13, vcc_lo
	v_and_or_b32 v7, 0x80000000, v7, v9
	s_wait_xcnt 0x1
	s_delay_alu instid0(VALU_DEP_1)
	v_cvt_i32_f32_e32 v16, v7
.LBB55_2315:
	s_mov_b32 s13, 0
	s_mov_b32 s14, -1
.LBB55_2316:
	s_and_not1_b32 vcc_lo, exec_lo, s13
	s_mov_b32 s13, 0
	s_cbranch_vccnz .LBB55_2327
; %bb.2317:
	s_cmp_gt_i32 s6, 14
	s_cbranch_scc0 .LBB55_2320
; %bb.2318:
	s_cmp_eq_u32 s6, 15
	s_cbranch_scc0 .LBB55_2323
; %bb.2319:
	global_load_u16 v7, v[14:15], off
	s_mov_b32 s12, 0
	s_mov_b32 s14, -1
	s_wait_loadcnt 0x0
	v_lshlrev_b32_e32 v7, 16, v7
	s_wait_xcnt 0x1
	s_delay_alu instid0(VALU_DEP_1)
	v_cvt_i32_f32_e32 v16, v7
	s_branch .LBB55_2325
.LBB55_2320:
	s_mov_b32 s13, -1
	s_branch .LBB55_2324
.LBB55_2321:
	s_and_not1_saveexec_b32 s13, s13
	s_cbranch_execz .LBB55_2302
.LBB55_2322:
	v_cmp_ne_u16_e32 vcc_lo, 0, v7
	s_and_not1_b32 s14, s14, exec_lo
	s_and_b32 s15, vcc_lo, exec_lo
	s_delay_alu instid0(SALU_CYCLE_1)
	s_or_b32 s14, s14, s15
	s_or_b32 exec_lo, exec_lo, s13
	v_mov_b32_e32 v16, 0
	s_and_saveexec_b32 s13, s14
	s_cbranch_execnz .LBB55_2303
	s_branch .LBB55_2304
.LBB55_2323:
	s_mov_b32 s12, -1
.LBB55_2324:
                                        ; implicit-def: $vgpr16
.LBB55_2325:
	s_and_b32 vcc_lo, exec_lo, s13
	s_mov_b32 s13, 0
	s_cbranch_vccz .LBB55_2327
; %bb.2326:
	s_cmp_lg_u32 s6, 11
	s_mov_b32 s13, -1
	s_cselect_b32 s12, -1, 0
.LBB55_2327:
	s_delay_alu instid0(SALU_CYCLE_1)
	s_and_b32 vcc_lo, exec_lo, s12
	s_cbranch_vccnz .LBB55_2392
; %bb.2328:
	s_and_not1_b32 vcc_lo, exec_lo, s13
	s_cbranch_vccnz .LBB55_2330
.LBB55_2329:
	global_load_u8 v7, v[14:15], off
	s_mov_b32 s14, -1
	s_wait_loadcnt 0x0
	v_cmp_ne_u16_e32 vcc_lo, 0, v7
	s_wait_xcnt 0x1
	v_cndmask_b32_e64 v16, 0, 1, vcc_lo
.LBB55_2330:
	s_mov_b32 s12, 0
.LBB55_2331:
	s_delay_alu instid0(SALU_CYCLE_1)
	s_and_b32 vcc_lo, exec_lo, s12
	s_cbranch_vccz .LBB55_2380
; %bb.2332:
	s_cmp_lt_i32 s6, 5
	s_cbranch_scc1 .LBB55_2337
; %bb.2333:
	s_cmp_lt_i32 s6, 8
	s_cbranch_scc1 .LBB55_2338
	;; [unrolled: 3-line block ×3, first 2 shown]
; %bb.2335:
	s_cmp_gt_i32 s6, 9
	s_cbranch_scc0 .LBB55_2340
; %bb.2336:
	s_wait_loadcnt 0x0
	global_load_b64 v[16:17], v[14:15], off
	s_mov_b32 s12, 0
	s_wait_loadcnt 0x0
	v_cvt_i32_f64_e32 v16, v[16:17]
	s_branch .LBB55_2341
.LBB55_2337:
	s_mov_b32 s12, -1
                                        ; implicit-def: $vgpr16
	s_branch .LBB55_2359
.LBB55_2338:
	s_mov_b32 s12, -1
                                        ; implicit-def: $vgpr16
	s_branch .LBB55_2347
.LBB55_2339:
	s_mov_b32 s12, -1
                                        ; implicit-def: $vgpr16
	s_branch .LBB55_2344
.LBB55_2340:
	s_mov_b32 s12, -1
                                        ; implicit-def: $vgpr16
.LBB55_2341:
	s_delay_alu instid0(SALU_CYCLE_1)
	s_and_not1_b32 vcc_lo, exec_lo, s12
	s_cbranch_vccnz .LBB55_2343
; %bb.2342:
	global_load_b32 v7, v[14:15], off
	s_wait_loadcnt 0x0
	s_wait_xcnt 0x1
	v_cvt_i32_f32_e32 v16, v7
.LBB55_2343:
	s_mov_b32 s12, 0
.LBB55_2344:
	s_delay_alu instid0(SALU_CYCLE_1)
	s_and_not1_b32 vcc_lo, exec_lo, s12
	s_cbranch_vccnz .LBB55_2346
; %bb.2345:
	global_load_b32 v7, v[14:15], off
	s_wait_loadcnt 0x0
	v_cvt_f32_f16_e32 v7, v7
	s_wait_xcnt 0x1
	s_delay_alu instid0(VALU_DEP_1)
	v_cvt_i32_f32_e32 v16, v7
.LBB55_2346:
	s_mov_b32 s12, 0
.LBB55_2347:
	s_delay_alu instid0(SALU_CYCLE_1)
	s_and_not1_b32 vcc_lo, exec_lo, s12
	s_cbranch_vccnz .LBB55_2358
; %bb.2348:
	s_cmp_lt_i32 s6, 6
	s_cbranch_scc1 .LBB55_2351
; %bb.2349:
	s_cmp_gt_i32 s6, 6
	s_cbranch_scc0 .LBB55_2352
; %bb.2350:
	s_wait_loadcnt 0x0
	global_load_b64 v[16:17], v[14:15], off
	s_mov_b32 s12, 0
	s_wait_loadcnt 0x0
	v_cvt_i32_f64_e32 v16, v[16:17]
	s_branch .LBB55_2353
.LBB55_2351:
	s_mov_b32 s12, -1
                                        ; implicit-def: $vgpr16
	s_branch .LBB55_2356
.LBB55_2352:
	s_mov_b32 s12, -1
                                        ; implicit-def: $vgpr16
.LBB55_2353:
	s_delay_alu instid0(SALU_CYCLE_1)
	s_and_not1_b32 vcc_lo, exec_lo, s12
	s_cbranch_vccnz .LBB55_2355
; %bb.2354:
	global_load_b32 v7, v[14:15], off
	s_wait_loadcnt 0x0
	s_wait_xcnt 0x1
	v_cvt_i32_f32_e32 v16, v7
.LBB55_2355:
	s_mov_b32 s12, 0
.LBB55_2356:
	s_delay_alu instid0(SALU_CYCLE_1)
	s_and_not1_b32 vcc_lo, exec_lo, s12
	s_cbranch_vccnz .LBB55_2358
; %bb.2357:
	global_load_u16 v7, v[14:15], off
	s_wait_loadcnt 0x0
	v_cvt_f32_f16_e32 v7, v7
	s_wait_xcnt 0x1
	s_delay_alu instid0(VALU_DEP_1)
	v_cvt_i32_f32_e32 v16, v7
.LBB55_2358:
	s_mov_b32 s12, 0
.LBB55_2359:
	s_delay_alu instid0(SALU_CYCLE_1)
	s_and_not1_b32 vcc_lo, exec_lo, s12
	s_cbranch_vccnz .LBB55_2379
; %bb.2360:
	s_cmp_lt_i32 s6, 2
	s_cbranch_scc1 .LBB55_2364
; %bb.2361:
	s_cmp_lt_i32 s6, 3
	s_cbranch_scc1 .LBB55_2365
; %bb.2362:
	s_cmp_gt_i32 s6, 3
	s_cbranch_scc0 .LBB55_2366
; %bb.2363:
	s_wait_loadcnt 0x0
	global_load_b32 v16, v[14:15], off
	s_mov_b32 s12, 0
	s_branch .LBB55_2367
.LBB55_2364:
	s_mov_b32 s12, -1
                                        ; implicit-def: $vgpr16
	s_branch .LBB55_2373
.LBB55_2365:
	s_mov_b32 s12, -1
                                        ; implicit-def: $vgpr16
	s_branch .LBB55_2370
.LBB55_2366:
	s_mov_b32 s12, -1
                                        ; implicit-def: $vgpr16
.LBB55_2367:
	s_delay_alu instid0(SALU_CYCLE_1)
	s_and_not1_b32 vcc_lo, exec_lo, s12
	s_cbranch_vccnz .LBB55_2369
; %bb.2368:
	s_wait_loadcnt 0x0
	global_load_b32 v16, v[14:15], off
.LBB55_2369:
	s_mov_b32 s12, 0
.LBB55_2370:
	s_delay_alu instid0(SALU_CYCLE_1)
	s_and_not1_b32 vcc_lo, exec_lo, s12
	s_cbranch_vccnz .LBB55_2372
; %bb.2371:
	s_wait_loadcnt 0x0
	global_load_i16 v16, v[14:15], off
.LBB55_2372:
	s_mov_b32 s12, 0
.LBB55_2373:
	s_delay_alu instid0(SALU_CYCLE_1)
	s_and_not1_b32 vcc_lo, exec_lo, s12
	s_cbranch_vccnz .LBB55_2379
; %bb.2374:
	s_cmp_gt_i32 s6, 0
	s_mov_b32 s12, 0
	s_cbranch_scc0 .LBB55_2376
; %bb.2375:
	s_wait_loadcnt 0x0
	global_load_i8 v16, v[14:15], off
	s_branch .LBB55_2377
.LBB55_2376:
	s_mov_b32 s12, -1
                                        ; implicit-def: $vgpr16
.LBB55_2377:
	s_delay_alu instid0(SALU_CYCLE_1)
	s_and_not1_b32 vcc_lo, exec_lo, s12
	s_cbranch_vccnz .LBB55_2379
; %bb.2378:
	s_wait_loadcnt 0x0
	global_load_u8 v16, v[14:15], off
.LBB55_2379:
	s_mov_b32 s14, -1
.LBB55_2380:
	s_delay_alu instid0(SALU_CYCLE_1)
	s_and_not1_b32 vcc_lo, exec_lo, s14
	s_cbranch_vccnz .LBB55_3216
; %bb.2381:
	v_mov_b32_e32 v13, 0
	s_cmp_lt_i32 s7, 11
	s_delay_alu instid0(VALU_DEP_1)
	v_add_nc_u64_e32 v[12:13], s[4:5], v[12:13]
	s_cbranch_scc1 .LBB55_2388
; %bb.2382:
	s_cmp_gt_i32 s7, 25
	s_mov_b32 s13, 0
	s_cbranch_scc0 .LBB55_2389
; %bb.2383:
	s_cmp_gt_i32 s7, 28
	s_cbranch_scc0 .LBB55_2390
; %bb.2384:
	s_cmp_gt_i32 s7, 43
	;; [unrolled: 3-line block ×3, first 2 shown]
	s_cbranch_scc0 .LBB55_2393
; %bb.2386:
	s_cmp_eq_u32 s7, 46
	s_mov_b32 s15, 0
	s_cbranch_scc0 .LBB55_2394
; %bb.2387:
	global_load_b32 v7, v[12:13], off
	s_mov_b32 s12, 0
	s_mov_b32 s14, -1
	s_wait_loadcnt 0x0
	v_lshlrev_b32_e32 v7, 16, v7
	s_wait_xcnt 0x1
	s_delay_alu instid0(VALU_DEP_1)
	v_cvt_i32_f32_e32 v14, v7
	s_branch .LBB55_2396
.LBB55_2388:
	s_mov_b32 s12, -1
	s_mov_b32 s14, 0
                                        ; implicit-def: $vgpr14
	s_branch .LBB55_2458
.LBB55_2389:
	s_mov_b32 s15, -1
	s_mov_b32 s14, 0
	s_mov_b32 s12, 0
                                        ; implicit-def: $vgpr14
	s_branch .LBB55_2423
.LBB55_2390:
	s_mov_b32 s15, -1
	s_mov_b32 s14, 0
	s_mov_b32 s12, 0
                                        ; implicit-def: $vgpr14
	s_branch .LBB55_2406
.LBB55_2391:
	s_mov_b32 s15, -1
	s_mov_b32 s14, 0
	s_mov_b32 s12, 0
                                        ; implicit-def: $vgpr14
	s_branch .LBB55_2401
.LBB55_2392:
	s_or_b32 s10, s10, exec_lo
	s_trap 2
	s_cbranch_execz .LBB55_2329
	s_branch .LBB55_2330
.LBB55_2393:
	s_mov_b32 s15, -1
	s_mov_b32 s14, 0
	s_mov_b32 s12, 0
	s_branch .LBB55_2395
.LBB55_2394:
	s_mov_b32 s12, -1
	s_mov_b32 s14, 0
.LBB55_2395:
                                        ; implicit-def: $vgpr14
.LBB55_2396:
	s_and_b32 vcc_lo, exec_lo, s15
	s_cbranch_vccz .LBB55_2400
; %bb.2397:
	s_cmp_eq_u32 s7, 44
	s_cbranch_scc0 .LBB55_2399
; %bb.2398:
	global_load_u8 v7, v[12:13], off
	s_mov_b32 s12, 0
	s_mov_b32 s14, -1
	s_wait_loadcnt 0x0
	v_lshlrev_b32_e32 v9, 23, v7
	v_cmp_ne_u32_e32 vcc_lo, 0, v7
	s_delay_alu instid0(VALU_DEP_2) | instskip(SKIP_1) | instid1(VALU_DEP_1)
	v_cvt_i32_f32_e32 v9, v9
	s_wait_xcnt 0x1
	v_cndmask_b32_e32 v14, 0, v9, vcc_lo
	s_branch .LBB55_2400
.LBB55_2399:
	s_mov_b32 s12, -1
                                        ; implicit-def: $vgpr14
.LBB55_2400:
	s_mov_b32 s15, 0
.LBB55_2401:
	s_delay_alu instid0(SALU_CYCLE_1)
	s_and_b32 vcc_lo, exec_lo, s15
	s_cbranch_vccz .LBB55_2405
; %bb.2402:
	s_cmp_eq_u32 s7, 29
	s_cbranch_scc0 .LBB55_2404
; %bb.2403:
	global_load_b32 v14, v[12:13], off
	s_mov_b32 s12, 0
	s_mov_b32 s14, -1
	s_branch .LBB55_2405
.LBB55_2404:
	s_mov_b32 s12, -1
                                        ; implicit-def: $vgpr14
.LBB55_2405:
	s_mov_b32 s15, 0
.LBB55_2406:
	s_delay_alu instid0(SALU_CYCLE_1)
	s_and_b32 vcc_lo, exec_lo, s15
	s_cbranch_vccz .LBB55_2422
; %bb.2407:
	s_cmp_lt_i32 s7, 27
	s_cbranch_scc1 .LBB55_2410
; %bb.2408:
	s_cmp_gt_i32 s7, 27
	s_cbranch_scc0 .LBB55_2411
; %bb.2409:
	s_wait_loadcnt 0x0
	global_load_b32 v14, v[12:13], off
	s_mov_b32 s14, 0
	s_branch .LBB55_2412
.LBB55_2410:
	s_mov_b32 s14, -1
                                        ; implicit-def: $vgpr14
	s_branch .LBB55_2415
.LBB55_2411:
	s_mov_b32 s14, -1
                                        ; implicit-def: $vgpr14
.LBB55_2412:
	s_delay_alu instid0(SALU_CYCLE_1)
	s_and_not1_b32 vcc_lo, exec_lo, s14
	s_cbranch_vccnz .LBB55_2414
; %bb.2413:
	s_wait_loadcnt 0x0
	global_load_u16 v14, v[12:13], off
.LBB55_2414:
	s_mov_b32 s14, 0
.LBB55_2415:
	s_delay_alu instid0(SALU_CYCLE_1)
	s_and_not1_b32 vcc_lo, exec_lo, s14
	s_cbranch_vccnz .LBB55_2421
; %bb.2416:
	global_load_u8 v7, v[12:13], off
	s_mov_b32 s15, 0
	s_mov_b32 s14, exec_lo
	s_wait_loadcnt 0x0
	v_cmpx_lt_i16_e32 0x7f, v7
	s_xor_b32 s14, exec_lo, s14
	s_cbranch_execz .LBB55_2433
; %bb.2417:
	v_cmp_ne_u16_e32 vcc_lo, 0x80, v7
	s_and_b32 s15, vcc_lo, exec_lo
	s_and_not1_saveexec_b32 s14, s14
	s_cbranch_execnz .LBB55_2434
.LBB55_2418:
	s_or_b32 exec_lo, exec_lo, s14
	v_mov_b32_e32 v14, 0
	s_and_saveexec_b32 s14, s15
	s_cbranch_execz .LBB55_2420
.LBB55_2419:
	v_and_b32_e32 v9, 0xffff, v7
	s_delay_alu instid0(VALU_DEP_1) | instskip(SKIP_1) | instid1(VALU_DEP_2)
	v_and_b32_e32 v11, 7, v9
	v_bfe_u32 v17, v9, 3, 4
	v_clz_i32_u32_e32 v14, v11
	s_delay_alu instid0(VALU_DEP_2) | instskip(NEXT) | instid1(VALU_DEP_2)
	v_cmp_eq_u32_e32 vcc_lo, 0, v17
	v_min_u32_e32 v14, 32, v14
	s_delay_alu instid0(VALU_DEP_1) | instskip(NEXT) | instid1(VALU_DEP_1)
	v_subrev_nc_u32_e32 v15, 28, v14
	v_dual_lshlrev_b32 v9, v15, v9 :: v_dual_sub_nc_u32 v14, 29, v14
	s_delay_alu instid0(VALU_DEP_1) | instskip(NEXT) | instid1(VALU_DEP_1)
	v_dual_lshlrev_b32 v7, 24, v7 :: v_dual_bitop2_b32 v9, 7, v9 bitop3:0x40
	v_dual_cndmask_b32 v14, v17, v14 :: v_dual_cndmask_b32 v9, v11, v9
	s_delay_alu instid0(VALU_DEP_2) | instskip(NEXT) | instid1(VALU_DEP_2)
	v_and_b32_e32 v7, 0x80000000, v7
	v_lshl_add_u32 v11, v14, 23, 0x3b800000
	s_delay_alu instid0(VALU_DEP_3) | instskip(NEXT) | instid1(VALU_DEP_1)
	v_lshlrev_b32_e32 v9, 20, v9
	v_or3_b32 v7, v7, v11, v9
	s_delay_alu instid0(VALU_DEP_1)
	v_cvt_i32_f32_e32 v14, v7
.LBB55_2420:
	s_or_b32 exec_lo, exec_lo, s14
.LBB55_2421:
	s_mov_b32 s14, -1
.LBB55_2422:
	s_mov_b32 s15, 0
.LBB55_2423:
	s_delay_alu instid0(SALU_CYCLE_1)
	s_and_b32 vcc_lo, exec_lo, s15
	s_cbranch_vccz .LBB55_2454
; %bb.2424:
	s_cmp_gt_i32 s7, 22
	s_cbranch_scc0 .LBB55_2432
; %bb.2425:
	s_cmp_lt_i32 s7, 24
	s_cbranch_scc1 .LBB55_2435
; %bb.2426:
	s_cmp_gt_i32 s7, 24
	s_cbranch_scc0 .LBB55_2436
; %bb.2427:
	global_load_u8 v7, v[12:13], off
	s_mov_b32 s14, 0
	s_mov_b32 s13, exec_lo
	s_wait_loadcnt 0x0
	v_cmpx_lt_i16_e32 0x7f, v7
	s_xor_b32 s13, exec_lo, s13
	s_cbranch_execz .LBB55_2448
; %bb.2428:
	v_cmp_ne_u16_e32 vcc_lo, 0x80, v7
	s_and_b32 s14, vcc_lo, exec_lo
	s_and_not1_saveexec_b32 s13, s13
	s_cbranch_execnz .LBB55_2449
.LBB55_2429:
	s_or_b32 exec_lo, exec_lo, s13
	v_mov_b32_e32 v14, 0
	s_and_saveexec_b32 s13, s14
	s_cbranch_execz .LBB55_2431
.LBB55_2430:
	v_and_b32_e32 v9, 0xffff, v7
	s_delay_alu instid0(VALU_DEP_1) | instskip(SKIP_1) | instid1(VALU_DEP_2)
	v_and_b32_e32 v11, 3, v9
	v_bfe_u32 v17, v9, 2, 5
	v_clz_i32_u32_e32 v14, v11
	s_delay_alu instid0(VALU_DEP_2) | instskip(NEXT) | instid1(VALU_DEP_2)
	v_cmp_eq_u32_e32 vcc_lo, 0, v17
	v_min_u32_e32 v14, 32, v14
	s_delay_alu instid0(VALU_DEP_1) | instskip(NEXT) | instid1(VALU_DEP_1)
	v_subrev_nc_u32_e32 v15, 29, v14
	v_dual_lshlrev_b32 v9, v15, v9 :: v_dual_sub_nc_u32 v14, 30, v14
	s_delay_alu instid0(VALU_DEP_1) | instskip(NEXT) | instid1(VALU_DEP_1)
	v_dual_lshlrev_b32 v7, 24, v7 :: v_dual_bitop2_b32 v9, 3, v9 bitop3:0x40
	v_dual_cndmask_b32 v14, v17, v14 :: v_dual_cndmask_b32 v9, v11, v9
	s_delay_alu instid0(VALU_DEP_2) | instskip(NEXT) | instid1(VALU_DEP_2)
	v_and_b32_e32 v7, 0x80000000, v7
	v_lshl_add_u32 v11, v14, 23, 0x37800000
	s_delay_alu instid0(VALU_DEP_3) | instskip(NEXT) | instid1(VALU_DEP_1)
	v_lshlrev_b32_e32 v9, 21, v9
	v_or3_b32 v7, v7, v11, v9
	s_delay_alu instid0(VALU_DEP_1)
	v_cvt_i32_f32_e32 v14, v7
.LBB55_2431:
	s_or_b32 exec_lo, exec_lo, s13
	s_mov_b32 s13, 0
	s_branch .LBB55_2437
.LBB55_2432:
	s_mov_b32 s13, -1
                                        ; implicit-def: $vgpr14
	s_branch .LBB55_2443
.LBB55_2433:
	s_and_not1_saveexec_b32 s14, s14
	s_cbranch_execz .LBB55_2418
.LBB55_2434:
	v_cmp_ne_u16_e32 vcc_lo, 0, v7
	s_and_not1_b32 s15, s15, exec_lo
	s_and_b32 s16, vcc_lo, exec_lo
	s_delay_alu instid0(SALU_CYCLE_1)
	s_or_b32 s15, s15, s16
	s_or_b32 exec_lo, exec_lo, s14
	v_mov_b32_e32 v14, 0
	s_and_saveexec_b32 s14, s15
	s_cbranch_execnz .LBB55_2419
	s_branch .LBB55_2420
.LBB55_2435:
	s_mov_b32 s13, -1
                                        ; implicit-def: $vgpr14
	s_branch .LBB55_2440
.LBB55_2436:
	s_mov_b32 s13, -1
                                        ; implicit-def: $vgpr14
.LBB55_2437:
	s_delay_alu instid0(SALU_CYCLE_1)
	s_and_b32 vcc_lo, exec_lo, s13
	s_cbranch_vccz .LBB55_2439
; %bb.2438:
	global_load_u8 v7, v[12:13], off
	s_wait_loadcnt 0x0
	v_lshlrev_b32_e32 v7, 24, v7
	s_delay_alu instid0(VALU_DEP_1) | instskip(NEXT) | instid1(VALU_DEP_1)
	v_and_b32_e32 v9, 0x7f000000, v7
	v_clz_i32_u32_e32 v11, v9
	s_wait_xcnt 0x1
	v_add_nc_u32_e32 v15, 0x1000000, v9
	v_cmp_ne_u32_e32 vcc_lo, 0, v9
	s_delay_alu instid0(VALU_DEP_3) | instskip(NEXT) | instid1(VALU_DEP_1)
	v_min_u32_e32 v11, 32, v11
	v_sub_nc_u32_e64 v11, v11, 4 clamp
	s_delay_alu instid0(VALU_DEP_1) | instskip(NEXT) | instid1(VALU_DEP_1)
	v_dual_lshlrev_b32 v14, v11, v9 :: v_dual_lshlrev_b32 v11, 23, v11
	v_lshrrev_b32_e32 v14, 4, v14
	s_delay_alu instid0(VALU_DEP_1) | instskip(SKIP_1) | instid1(VALU_DEP_2)
	v_sub_nc_u32_e32 v11, v14, v11
	v_ashrrev_i32_e32 v14, 8, v15
	v_add_nc_u32_e32 v11, 0x3c000000, v11
	s_delay_alu instid0(VALU_DEP_1) | instskip(NEXT) | instid1(VALU_DEP_1)
	v_and_or_b32 v11, 0x7f800000, v14, v11
	v_cndmask_b32_e32 v9, 0, v11, vcc_lo
	s_delay_alu instid0(VALU_DEP_1) | instskip(NEXT) | instid1(VALU_DEP_1)
	v_and_or_b32 v7, 0x80000000, v7, v9
	v_cvt_i32_f32_e32 v14, v7
.LBB55_2439:
	s_mov_b32 s13, 0
.LBB55_2440:
	s_delay_alu instid0(SALU_CYCLE_1)
	s_and_not1_b32 vcc_lo, exec_lo, s13
	s_cbranch_vccnz .LBB55_2442
; %bb.2441:
	global_load_u8 v7, v[12:13], off
	s_wait_loadcnt 0x0
	v_lshlrev_b32_e32 v9, 25, v7
	v_lshlrev_b16 v7, 8, v7
	s_wait_xcnt 0x1
	s_delay_alu instid0(VALU_DEP_1) | instskip(SKIP_1) | instid1(VALU_DEP_2)
	v_and_or_b32 v14, 0x7f00, v7, 0.5
	v_bfe_i32 v7, v7, 0, 16
	v_dual_add_f32 v14, -0.5, v14 :: v_dual_lshrrev_b32 v11, 4, v9
	v_cmp_gt_u32_e32 vcc_lo, 0x8000000, v9
	s_delay_alu instid0(VALU_DEP_2) | instskip(NEXT) | instid1(VALU_DEP_1)
	v_or_b32_e32 v11, 0x70000000, v11
	v_mul_f32_e32 v11, 0x7800000, v11
	s_delay_alu instid0(VALU_DEP_1) | instskip(NEXT) | instid1(VALU_DEP_1)
	v_cndmask_b32_e32 v9, v11, v14, vcc_lo
	v_and_or_b32 v7, 0x80000000, v7, v9
	s_delay_alu instid0(VALU_DEP_1)
	v_cvt_i32_f32_e32 v14, v7
.LBB55_2442:
	s_mov_b32 s13, 0
	s_mov_b32 s14, -1
.LBB55_2443:
	s_and_not1_b32 vcc_lo, exec_lo, s13
	s_mov_b32 s13, 0
	s_cbranch_vccnz .LBB55_2454
; %bb.2444:
	s_cmp_gt_i32 s7, 14
	s_cbranch_scc0 .LBB55_2447
; %bb.2445:
	s_cmp_eq_u32 s7, 15
	s_cbranch_scc0 .LBB55_2450
; %bb.2446:
	global_load_u16 v7, v[12:13], off
	s_mov_b32 s12, 0
	s_mov_b32 s14, -1
	s_wait_loadcnt 0x0
	v_lshlrev_b32_e32 v7, 16, v7
	s_wait_xcnt 0x1
	s_delay_alu instid0(VALU_DEP_1)
	v_cvt_i32_f32_e32 v14, v7
	s_branch .LBB55_2452
.LBB55_2447:
	s_mov_b32 s13, -1
	s_branch .LBB55_2451
.LBB55_2448:
	s_and_not1_saveexec_b32 s13, s13
	s_cbranch_execz .LBB55_2429
.LBB55_2449:
	v_cmp_ne_u16_e32 vcc_lo, 0, v7
	s_and_not1_b32 s14, s14, exec_lo
	s_and_b32 s15, vcc_lo, exec_lo
	s_delay_alu instid0(SALU_CYCLE_1)
	s_or_b32 s14, s14, s15
	s_or_b32 exec_lo, exec_lo, s13
	v_mov_b32_e32 v14, 0
	s_and_saveexec_b32 s13, s14
	s_cbranch_execnz .LBB55_2430
	s_branch .LBB55_2431
.LBB55_2450:
	s_mov_b32 s12, -1
.LBB55_2451:
                                        ; implicit-def: $vgpr14
.LBB55_2452:
	s_and_b32 vcc_lo, exec_lo, s13
	s_mov_b32 s13, 0
	s_cbranch_vccz .LBB55_2454
; %bb.2453:
	s_cmp_lg_u32 s7, 11
	s_mov_b32 s13, -1
	s_cselect_b32 s12, -1, 0
.LBB55_2454:
	s_delay_alu instid0(SALU_CYCLE_1)
	s_and_b32 vcc_lo, exec_lo, s12
	s_cbranch_vccnz .LBB55_2538
; %bb.2455:
	s_and_not1_b32 vcc_lo, exec_lo, s13
	s_cbranch_vccnz .LBB55_2457
.LBB55_2456:
	global_load_u8 v7, v[12:13], off
	s_mov_b32 s14, -1
	s_wait_loadcnt 0x0
	v_cmp_ne_u16_e32 vcc_lo, 0, v7
	s_wait_xcnt 0x1
	v_cndmask_b32_e64 v14, 0, 1, vcc_lo
.LBB55_2457:
	s_mov_b32 s12, 0
.LBB55_2458:
	s_delay_alu instid0(SALU_CYCLE_1)
	s_and_b32 vcc_lo, exec_lo, s12
	s_cbranch_vccz .LBB55_2507
; %bb.2459:
	s_cmp_lt_i32 s7, 5
	s_cbranch_scc1 .LBB55_2464
; %bb.2460:
	s_cmp_lt_i32 s7, 8
	s_cbranch_scc1 .LBB55_2465
	;; [unrolled: 3-line block ×3, first 2 shown]
; %bb.2462:
	s_cmp_gt_i32 s7, 9
	s_cbranch_scc0 .LBB55_2467
; %bb.2463:
	s_wait_loadcnt 0x0
	global_load_b64 v[14:15], v[12:13], off
	s_mov_b32 s12, 0
	s_wait_loadcnt 0x0
	v_cvt_i32_f64_e32 v14, v[14:15]
	s_branch .LBB55_2468
.LBB55_2464:
	s_mov_b32 s12, -1
                                        ; implicit-def: $vgpr14
	s_branch .LBB55_2486
.LBB55_2465:
	s_mov_b32 s12, -1
                                        ; implicit-def: $vgpr14
	s_branch .LBB55_2474
.LBB55_2466:
	s_mov_b32 s12, -1
                                        ; implicit-def: $vgpr14
	s_branch .LBB55_2471
.LBB55_2467:
	s_mov_b32 s12, -1
                                        ; implicit-def: $vgpr14
.LBB55_2468:
	s_delay_alu instid0(SALU_CYCLE_1)
	s_and_not1_b32 vcc_lo, exec_lo, s12
	s_cbranch_vccnz .LBB55_2470
; %bb.2469:
	global_load_b32 v7, v[12:13], off
	s_wait_loadcnt 0x0
	s_wait_xcnt 0x1
	v_cvt_i32_f32_e32 v14, v7
.LBB55_2470:
	s_mov_b32 s12, 0
.LBB55_2471:
	s_delay_alu instid0(SALU_CYCLE_1)
	s_and_not1_b32 vcc_lo, exec_lo, s12
	s_cbranch_vccnz .LBB55_2473
; %bb.2472:
	global_load_b32 v7, v[12:13], off
	s_wait_loadcnt 0x0
	v_cvt_f32_f16_e32 v7, v7
	s_wait_xcnt 0x1
	s_delay_alu instid0(VALU_DEP_1)
	v_cvt_i32_f32_e32 v14, v7
.LBB55_2473:
	s_mov_b32 s12, 0
.LBB55_2474:
	s_delay_alu instid0(SALU_CYCLE_1)
	s_and_not1_b32 vcc_lo, exec_lo, s12
	s_cbranch_vccnz .LBB55_2485
; %bb.2475:
	s_cmp_lt_i32 s7, 6
	s_cbranch_scc1 .LBB55_2478
; %bb.2476:
	s_cmp_gt_i32 s7, 6
	s_cbranch_scc0 .LBB55_2479
; %bb.2477:
	s_wait_loadcnt 0x0
	global_load_b64 v[14:15], v[12:13], off
	s_mov_b32 s12, 0
	s_wait_loadcnt 0x0
	v_cvt_i32_f64_e32 v14, v[14:15]
	s_branch .LBB55_2480
.LBB55_2478:
	s_mov_b32 s12, -1
                                        ; implicit-def: $vgpr14
	s_branch .LBB55_2483
.LBB55_2479:
	s_mov_b32 s12, -1
                                        ; implicit-def: $vgpr14
.LBB55_2480:
	s_delay_alu instid0(SALU_CYCLE_1)
	s_and_not1_b32 vcc_lo, exec_lo, s12
	s_cbranch_vccnz .LBB55_2482
; %bb.2481:
	global_load_b32 v7, v[12:13], off
	s_wait_loadcnt 0x0
	s_wait_xcnt 0x1
	v_cvt_i32_f32_e32 v14, v7
.LBB55_2482:
	s_mov_b32 s12, 0
.LBB55_2483:
	s_delay_alu instid0(SALU_CYCLE_1)
	s_and_not1_b32 vcc_lo, exec_lo, s12
	s_cbranch_vccnz .LBB55_2485
; %bb.2484:
	global_load_u16 v7, v[12:13], off
	s_wait_loadcnt 0x0
	v_cvt_f32_f16_e32 v7, v7
	s_wait_xcnt 0x1
	s_delay_alu instid0(VALU_DEP_1)
	v_cvt_i32_f32_e32 v14, v7
.LBB55_2485:
	s_mov_b32 s12, 0
.LBB55_2486:
	s_delay_alu instid0(SALU_CYCLE_1)
	s_and_not1_b32 vcc_lo, exec_lo, s12
	s_cbranch_vccnz .LBB55_2506
; %bb.2487:
	s_cmp_lt_i32 s7, 2
	s_cbranch_scc1 .LBB55_2491
; %bb.2488:
	s_cmp_lt_i32 s7, 3
	s_cbranch_scc1 .LBB55_2492
; %bb.2489:
	s_cmp_gt_i32 s7, 3
	s_cbranch_scc0 .LBB55_2493
; %bb.2490:
	s_wait_loadcnt 0x0
	global_load_b32 v14, v[12:13], off
	s_mov_b32 s12, 0
	s_branch .LBB55_2494
.LBB55_2491:
	s_mov_b32 s12, -1
                                        ; implicit-def: $vgpr14
	s_branch .LBB55_2500
.LBB55_2492:
	s_mov_b32 s12, -1
                                        ; implicit-def: $vgpr14
	s_branch .LBB55_2497
.LBB55_2493:
	s_mov_b32 s12, -1
                                        ; implicit-def: $vgpr14
.LBB55_2494:
	s_delay_alu instid0(SALU_CYCLE_1)
	s_and_not1_b32 vcc_lo, exec_lo, s12
	s_cbranch_vccnz .LBB55_2496
; %bb.2495:
	s_wait_loadcnt 0x0
	global_load_b32 v14, v[12:13], off
.LBB55_2496:
	s_mov_b32 s12, 0
.LBB55_2497:
	s_delay_alu instid0(SALU_CYCLE_1)
	s_and_not1_b32 vcc_lo, exec_lo, s12
	s_cbranch_vccnz .LBB55_2499
; %bb.2498:
	s_wait_loadcnt 0x0
	global_load_i16 v14, v[12:13], off
.LBB55_2499:
	s_mov_b32 s12, 0
.LBB55_2500:
	s_delay_alu instid0(SALU_CYCLE_1)
	s_and_not1_b32 vcc_lo, exec_lo, s12
	s_cbranch_vccnz .LBB55_2506
; %bb.2501:
	s_cmp_gt_i32 s7, 0
	s_mov_b32 s12, 0
	s_cbranch_scc0 .LBB55_2503
; %bb.2502:
	s_wait_loadcnt 0x0
	global_load_i8 v14, v[12:13], off
	s_branch .LBB55_2504
.LBB55_2503:
	s_mov_b32 s12, -1
                                        ; implicit-def: $vgpr14
.LBB55_2504:
	s_delay_alu instid0(SALU_CYCLE_1)
	s_and_not1_b32 vcc_lo, exec_lo, s12
	s_cbranch_vccnz .LBB55_2506
; %bb.2505:
	s_wait_loadcnt 0x0
	global_load_u8 v14, v[12:13], off
.LBB55_2506:
	s_mov_b32 s14, -1
.LBB55_2507:
	s_delay_alu instid0(SALU_CYCLE_1)
	s_and_not1_b32 vcc_lo, exec_lo, s14
	s_cbranch_vccnz .LBB55_3216
; %bb.2508:
	s_cmp_lt_i32 s11, 23
	s_cbranch_scc1 .LBB55_2512
; %bb.2509:
	s_cmp_gt_i32 s11, 43
	s_cbranch_scc0 .LBB55_2513
; %bb.2510:
	s_cmp_gt_i32 s11, 45
	s_cbranch_scc0 .LBB55_2514
; %bb.2511:
	s_cmp_lg_u32 s11, 46
	s_mov_b32 s14, 0
	s_mov_b32 s12, -1
	s_cselect_b32 s13, -1, 0
	s_branch .LBB55_2515
.LBB55_2512:
	s_mov_b32 s14, -1
	s_mov_b32 s12, 0
	s_mov_b32 s13, 0
	s_branch .LBB55_2521
.LBB55_2513:
	s_mov_b32 s14, -1
	s_mov_b32 s12, 0
	s_mov_b32 s13, 0
	s_branch .LBB55_2518
.LBB55_2514:
	s_mov_b32 s14, -1
	s_mov_b32 s12, 0
	s_mov_b32 s13, 0
.LBB55_2515:
	s_and_not1_b32 vcc_lo, exec_lo, s14
	s_cbranch_vccnz .LBB55_2517
; %bb.2516:
	s_cmp_eq_u32 s11, 44
	s_cselect_b32 s12, -1, 0
	s_cmp_lg_u32 s11, 44
	s_cselect_b32 s13, -1, 0
.LBB55_2517:
	s_mov_b32 s14, 0
.LBB55_2518:
	s_delay_alu instid0(SALU_CYCLE_1)
	s_and_b32 vcc_lo, exec_lo, s14
	s_cbranch_vccz .LBB55_2520
; %bb.2519:
	s_cmp_lt_i32 s11, 30
	s_cselect_b32 s12, -1, 0
	s_cmp_gt_i32 s11, 29
	s_cselect_b32 s13, -1, 0
.LBB55_2520:
	s_mov_b32 s14, 0
.LBB55_2521:
	s_delay_alu instid0(SALU_CYCLE_1)
	s_and_b32 vcc_lo, exec_lo, s14
	s_cbranch_vccz .LBB55_2526
; %bb.2522:
	s_cmp_gt_i32 s11, 14
	s_mov_b32 s14, -1
	s_cbranch_scc0 .LBB55_2524
; %bb.2523:
	s_cmp_eq_u32 s11, 15
	s_mov_b32 s14, 0
	s_cselect_b32 s12, -1, 0
	s_cmp_lg_u32 s11, 15
	s_cselect_b32 s13, -1, 0
.LBB55_2524:
	s_and_not1_b32 vcc_lo, exec_lo, s14
	s_cbranch_vccnz .LBB55_2526
; %bb.2525:
	s_cmp_lt_i32 s11, 12
	s_cselect_b32 s12, -1, 0
	s_cmp_gt_i32 s11, 11
	s_cselect_b32 s13, -1, 0
.LBB55_2526:
	s_delay_alu instid0(SALU_CYCLE_1)
	s_and_b32 vcc_lo, exec_lo, s13
	s_cbranch_vccnz .LBB55_2539
; %bb.2527:
	s_and_not1_b32 vcc_lo, exec_lo, s12
	s_cbranch_vccnz .LBB55_3216
.LBB55_2528:
	v_mov_b32_e32 v11, 0
	s_cmp_lt_i32 s6, 11
	s_delay_alu instid0(VALU_DEP_1)
	v_add_nc_u64_e32 v[10:11], s[0:1], v[10:11]
	s_cbranch_scc1 .LBB55_2535
; %bb.2529:
	s_cmp_gt_i32 s6, 25
	s_mov_b32 s1, 0
	s_cbranch_scc0 .LBB55_2536
; %bb.2530:
	s_cmp_gt_i32 s6, 28
	s_cbranch_scc0 .LBB55_2537
; %bb.2531:
	s_cmp_gt_i32 s6, 43
	;; [unrolled: 3-line block ×3, first 2 shown]
	s_cbranch_scc0 .LBB55_2541
; %bb.2533:
	s_cmp_eq_u32 s6, 46
	s_mov_b32 s12, 0
	s_cbranch_scc0 .LBB55_2542
; %bb.2534:
	global_load_b32 v7, v[10:11], off
	s_mov_b32 s0, 0
	s_mov_b32 s11, -1
	s_wait_loadcnt 0x0
	v_lshlrev_b32_e32 v7, 16, v7
	s_wait_xcnt 0x1
	s_delay_alu instid0(VALU_DEP_1)
	v_cvt_i32_f32_e32 v12, v7
	s_branch .LBB55_2544
.LBB55_2535:
	s_mov_b32 s0, -1
	s_mov_b32 s11, 0
                                        ; implicit-def: $vgpr12
	s_branch .LBB55_2606
.LBB55_2536:
	s_mov_b32 s12, -1
	s_mov_b32 s11, 0
	s_mov_b32 s0, 0
                                        ; implicit-def: $vgpr12
	s_branch .LBB55_2571
.LBB55_2537:
	s_mov_b32 s12, -1
	s_mov_b32 s11, 0
	s_mov_b32 s0, 0
                                        ; implicit-def: $vgpr12
	s_branch .LBB55_2554
.LBB55_2538:
	s_or_b32 s10, s10, exec_lo
	s_trap 2
	s_cbranch_execz .LBB55_2456
	s_branch .LBB55_2457
.LBB55_2539:
	s_or_b32 s10, s10, exec_lo
	s_trap 2
	s_cbranch_execz .LBB55_2528
	s_branch .LBB55_3216
.LBB55_2540:
	s_mov_b32 s12, -1
	s_mov_b32 s11, 0
	s_mov_b32 s0, 0
                                        ; implicit-def: $vgpr12
	s_branch .LBB55_2549
.LBB55_2541:
	s_mov_b32 s12, -1
	s_mov_b32 s11, 0
	s_mov_b32 s0, 0
	s_branch .LBB55_2543
.LBB55_2542:
	s_mov_b32 s0, -1
	s_mov_b32 s11, 0
.LBB55_2543:
                                        ; implicit-def: $vgpr12
.LBB55_2544:
	s_and_b32 vcc_lo, exec_lo, s12
	s_cbranch_vccz .LBB55_2548
; %bb.2545:
	s_cmp_eq_u32 s6, 44
	s_cbranch_scc0 .LBB55_2547
; %bb.2546:
	global_load_u8 v7, v[10:11], off
	s_mov_b32 s0, 0
	s_mov_b32 s11, -1
	s_wait_loadcnt 0x0
	v_lshlrev_b32_e32 v9, 23, v7
	v_cmp_ne_u32_e32 vcc_lo, 0, v7
	s_delay_alu instid0(VALU_DEP_2) | instskip(SKIP_1) | instid1(VALU_DEP_1)
	v_cvt_i32_f32_e32 v9, v9
	s_wait_xcnt 0x1
	v_cndmask_b32_e32 v12, 0, v9, vcc_lo
	s_branch .LBB55_2548
.LBB55_2547:
	s_mov_b32 s0, -1
                                        ; implicit-def: $vgpr12
.LBB55_2548:
	s_mov_b32 s12, 0
.LBB55_2549:
	s_delay_alu instid0(SALU_CYCLE_1)
	s_and_b32 vcc_lo, exec_lo, s12
	s_cbranch_vccz .LBB55_2553
; %bb.2550:
	s_cmp_eq_u32 s6, 29
	s_cbranch_scc0 .LBB55_2552
; %bb.2551:
	global_load_b32 v12, v[10:11], off
	s_mov_b32 s0, 0
	s_mov_b32 s11, -1
	s_branch .LBB55_2553
.LBB55_2552:
	s_mov_b32 s0, -1
                                        ; implicit-def: $vgpr12
.LBB55_2553:
	s_mov_b32 s12, 0
.LBB55_2554:
	s_delay_alu instid0(SALU_CYCLE_1)
	s_and_b32 vcc_lo, exec_lo, s12
	s_cbranch_vccz .LBB55_2570
; %bb.2555:
	s_cmp_lt_i32 s6, 27
	s_cbranch_scc1 .LBB55_2558
; %bb.2556:
	s_cmp_gt_i32 s6, 27
	s_cbranch_scc0 .LBB55_2559
; %bb.2557:
	s_wait_loadcnt 0x0
	global_load_b32 v12, v[10:11], off
	s_mov_b32 s11, 0
	s_branch .LBB55_2560
.LBB55_2558:
	s_mov_b32 s11, -1
                                        ; implicit-def: $vgpr12
	s_branch .LBB55_2563
.LBB55_2559:
	s_mov_b32 s11, -1
                                        ; implicit-def: $vgpr12
.LBB55_2560:
	s_delay_alu instid0(SALU_CYCLE_1)
	s_and_not1_b32 vcc_lo, exec_lo, s11
	s_cbranch_vccnz .LBB55_2562
; %bb.2561:
	s_wait_loadcnt 0x0
	global_load_u16 v12, v[10:11], off
.LBB55_2562:
	s_mov_b32 s11, 0
.LBB55_2563:
	s_delay_alu instid0(SALU_CYCLE_1)
	s_and_not1_b32 vcc_lo, exec_lo, s11
	s_cbranch_vccnz .LBB55_2569
; %bb.2564:
	global_load_u8 v7, v[10:11], off
	s_mov_b32 s12, 0
	s_mov_b32 s11, exec_lo
	s_wait_loadcnt 0x0
	v_cmpx_lt_i16_e32 0x7f, v7
	s_xor_b32 s11, exec_lo, s11
	s_cbranch_execz .LBB55_2581
; %bb.2565:
	v_cmp_ne_u16_e32 vcc_lo, 0x80, v7
	s_and_b32 s12, vcc_lo, exec_lo
	s_and_not1_saveexec_b32 s11, s11
	s_cbranch_execnz .LBB55_2582
.LBB55_2566:
	s_or_b32 exec_lo, exec_lo, s11
	v_mov_b32_e32 v12, 0
	s_and_saveexec_b32 s11, s12
	s_cbranch_execz .LBB55_2568
.LBB55_2567:
	v_and_b32_e32 v9, 0xffff, v7
	s_delay_alu instid0(VALU_DEP_1) | instskip(SKIP_1) | instid1(VALU_DEP_2)
	v_dual_lshlrev_b32 v7, 24, v7 :: v_dual_bitop2_b32 v12, 7, v9 bitop3:0x40
	v_bfe_u32 v17, v9, 3, 4
	v_and_b32_e32 v7, 0x80000000, v7
	s_delay_alu instid0(VALU_DEP_3) | instskip(NEXT) | instid1(VALU_DEP_3)
	v_clz_i32_u32_e32 v13, v12
	v_cmp_eq_u32_e32 vcc_lo, 0, v17
	s_delay_alu instid0(VALU_DEP_2) | instskip(NEXT) | instid1(VALU_DEP_1)
	v_min_u32_e32 v13, 32, v13
	v_subrev_nc_u32_e32 v15, 28, v13
	v_sub_nc_u32_e32 v13, 29, v13
	s_delay_alu instid0(VALU_DEP_2) | instskip(NEXT) | instid1(VALU_DEP_2)
	v_lshlrev_b32_e32 v9, v15, v9
	v_cndmask_b32_e32 v13, v17, v13, vcc_lo
	s_delay_alu instid0(VALU_DEP_2) | instskip(NEXT) | instid1(VALU_DEP_1)
	v_and_b32_e32 v9, 7, v9
	v_cndmask_b32_e32 v9, v12, v9, vcc_lo
	s_delay_alu instid0(VALU_DEP_3) | instskip(NEXT) | instid1(VALU_DEP_2)
	v_lshl_add_u32 v12, v13, 23, 0x3b800000
	v_lshlrev_b32_e32 v9, 20, v9
	s_delay_alu instid0(VALU_DEP_1) | instskip(NEXT) | instid1(VALU_DEP_1)
	v_or3_b32 v7, v7, v12, v9
	v_cvt_i32_f32_e32 v12, v7
.LBB55_2568:
	s_or_b32 exec_lo, exec_lo, s11
.LBB55_2569:
	s_mov_b32 s11, -1
.LBB55_2570:
	s_mov_b32 s12, 0
.LBB55_2571:
	s_delay_alu instid0(SALU_CYCLE_1)
	s_and_b32 vcc_lo, exec_lo, s12
	s_cbranch_vccz .LBB55_2602
; %bb.2572:
	s_cmp_gt_i32 s6, 22
	s_cbranch_scc0 .LBB55_2580
; %bb.2573:
	s_cmp_lt_i32 s6, 24
	s_cbranch_scc1 .LBB55_2583
; %bb.2574:
	s_cmp_gt_i32 s6, 24
	s_cbranch_scc0 .LBB55_2584
; %bb.2575:
	global_load_u8 v7, v[10:11], off
	s_mov_b32 s11, 0
	s_mov_b32 s1, exec_lo
	s_wait_loadcnt 0x0
	v_cmpx_lt_i16_e32 0x7f, v7
	s_xor_b32 s1, exec_lo, s1
	s_cbranch_execz .LBB55_2596
; %bb.2576:
	v_cmp_ne_u16_e32 vcc_lo, 0x80, v7
	s_and_b32 s11, vcc_lo, exec_lo
	s_and_not1_saveexec_b32 s1, s1
	s_cbranch_execnz .LBB55_2597
.LBB55_2577:
	s_or_b32 exec_lo, exec_lo, s1
	v_mov_b32_e32 v12, 0
	s_and_saveexec_b32 s1, s11
	s_cbranch_execz .LBB55_2579
.LBB55_2578:
	v_and_b32_e32 v9, 0xffff, v7
	s_delay_alu instid0(VALU_DEP_1) | instskip(SKIP_1) | instid1(VALU_DEP_2)
	v_dual_lshlrev_b32 v7, 24, v7 :: v_dual_bitop2_b32 v12, 3, v9 bitop3:0x40
	v_bfe_u32 v17, v9, 2, 5
	v_and_b32_e32 v7, 0x80000000, v7
	s_delay_alu instid0(VALU_DEP_3) | instskip(NEXT) | instid1(VALU_DEP_3)
	v_clz_i32_u32_e32 v13, v12
	v_cmp_eq_u32_e32 vcc_lo, 0, v17
	s_delay_alu instid0(VALU_DEP_2) | instskip(NEXT) | instid1(VALU_DEP_1)
	v_min_u32_e32 v13, 32, v13
	v_subrev_nc_u32_e32 v15, 29, v13
	v_sub_nc_u32_e32 v13, 30, v13
	s_delay_alu instid0(VALU_DEP_2) | instskip(NEXT) | instid1(VALU_DEP_2)
	v_lshlrev_b32_e32 v9, v15, v9
	v_cndmask_b32_e32 v13, v17, v13, vcc_lo
	s_delay_alu instid0(VALU_DEP_2) | instskip(NEXT) | instid1(VALU_DEP_1)
	v_and_b32_e32 v9, 3, v9
	v_cndmask_b32_e32 v9, v12, v9, vcc_lo
	s_delay_alu instid0(VALU_DEP_3) | instskip(NEXT) | instid1(VALU_DEP_2)
	v_lshl_add_u32 v12, v13, 23, 0x37800000
	v_lshlrev_b32_e32 v9, 21, v9
	s_delay_alu instid0(VALU_DEP_1) | instskip(NEXT) | instid1(VALU_DEP_1)
	v_or3_b32 v7, v7, v12, v9
	v_cvt_i32_f32_e32 v12, v7
.LBB55_2579:
	s_or_b32 exec_lo, exec_lo, s1
	s_mov_b32 s1, 0
	s_branch .LBB55_2585
.LBB55_2580:
	s_mov_b32 s1, -1
                                        ; implicit-def: $vgpr12
	s_branch .LBB55_2591
.LBB55_2581:
	s_and_not1_saveexec_b32 s11, s11
	s_cbranch_execz .LBB55_2566
.LBB55_2582:
	v_cmp_ne_u16_e32 vcc_lo, 0, v7
	s_and_not1_b32 s12, s12, exec_lo
	s_and_b32 s13, vcc_lo, exec_lo
	s_delay_alu instid0(SALU_CYCLE_1)
	s_or_b32 s12, s12, s13
	s_or_b32 exec_lo, exec_lo, s11
	v_mov_b32_e32 v12, 0
	s_and_saveexec_b32 s11, s12
	s_cbranch_execnz .LBB55_2567
	s_branch .LBB55_2568
.LBB55_2583:
	s_mov_b32 s1, -1
                                        ; implicit-def: $vgpr12
	s_branch .LBB55_2588
.LBB55_2584:
	s_mov_b32 s1, -1
                                        ; implicit-def: $vgpr12
.LBB55_2585:
	s_delay_alu instid0(SALU_CYCLE_1)
	s_and_b32 vcc_lo, exec_lo, s1
	s_cbranch_vccz .LBB55_2587
; %bb.2586:
	global_load_u8 v7, v[10:11], off
	s_wait_loadcnt 0x0
	v_lshlrev_b32_e32 v7, 24, v7
	s_delay_alu instid0(VALU_DEP_1) | instskip(SKIP_1) | instid1(VALU_DEP_1)
	v_and_b32_e32 v9, 0x7f000000, v7
	s_wait_xcnt 0x1
	v_clz_i32_u32_e32 v12, v9
	v_add_nc_u32_e32 v15, 0x1000000, v9
	v_cmp_ne_u32_e32 vcc_lo, 0, v9
	s_delay_alu instid0(VALU_DEP_3) | instskip(NEXT) | instid1(VALU_DEP_1)
	v_min_u32_e32 v12, 32, v12
	v_sub_nc_u32_e64 v12, v12, 4 clamp
	s_delay_alu instid0(VALU_DEP_1) | instskip(NEXT) | instid1(VALU_DEP_1)
	v_dual_lshlrev_b32 v13, v12, v9 :: v_dual_lshlrev_b32 v12, 23, v12
	v_lshrrev_b32_e32 v13, 4, v13
	s_delay_alu instid0(VALU_DEP_1) | instskip(NEXT) | instid1(VALU_DEP_1)
	v_dual_sub_nc_u32 v12, v13, v12 :: v_dual_ashrrev_i32 v13, 8, v15
	v_add_nc_u32_e32 v12, 0x3c000000, v12
	s_delay_alu instid0(VALU_DEP_1) | instskip(NEXT) | instid1(VALU_DEP_1)
	v_and_or_b32 v12, 0x7f800000, v13, v12
	v_cndmask_b32_e32 v9, 0, v12, vcc_lo
	s_delay_alu instid0(VALU_DEP_1) | instskip(NEXT) | instid1(VALU_DEP_1)
	v_and_or_b32 v7, 0x80000000, v7, v9
	v_cvt_i32_f32_e32 v12, v7
.LBB55_2587:
	s_mov_b32 s1, 0
.LBB55_2588:
	s_delay_alu instid0(SALU_CYCLE_1)
	s_and_not1_b32 vcc_lo, exec_lo, s1
	s_cbranch_vccnz .LBB55_2590
; %bb.2589:
	global_load_u8 v7, v[10:11], off
	s_wait_loadcnt 0x0
	v_lshlrev_b32_e32 v9, 25, v7
	v_lshlrev_b16 v7, 8, v7
	s_wait_xcnt 0x1
	s_delay_alu instid0(VALU_DEP_1) | instskip(SKIP_1) | instid1(VALU_DEP_2)
	v_and_or_b32 v13, 0x7f00, v7, 0.5
	v_bfe_i32 v7, v7, 0, 16
	v_add_f32_e32 v13, -0.5, v13
	v_lshrrev_b32_e32 v12, 4, v9
	v_cmp_gt_u32_e32 vcc_lo, 0x8000000, v9
	s_delay_alu instid0(VALU_DEP_2) | instskip(NEXT) | instid1(VALU_DEP_1)
	v_or_b32_e32 v12, 0x70000000, v12
	v_mul_f32_e32 v12, 0x7800000, v12
	s_delay_alu instid0(VALU_DEP_1) | instskip(NEXT) | instid1(VALU_DEP_1)
	v_cndmask_b32_e32 v9, v12, v13, vcc_lo
	v_and_or_b32 v7, 0x80000000, v7, v9
	s_delay_alu instid0(VALU_DEP_1)
	v_cvt_i32_f32_e32 v12, v7
.LBB55_2590:
	s_mov_b32 s1, 0
	s_mov_b32 s11, -1
.LBB55_2591:
	s_and_not1_b32 vcc_lo, exec_lo, s1
	s_mov_b32 s1, 0
	s_cbranch_vccnz .LBB55_2602
; %bb.2592:
	s_cmp_gt_i32 s6, 14
	s_cbranch_scc0 .LBB55_2595
; %bb.2593:
	s_cmp_eq_u32 s6, 15
	s_cbranch_scc0 .LBB55_2598
; %bb.2594:
	global_load_u16 v7, v[10:11], off
	s_mov_b32 s0, 0
	s_mov_b32 s11, -1
	s_wait_loadcnt 0x0
	v_lshlrev_b32_e32 v7, 16, v7
	s_wait_xcnt 0x1
	s_delay_alu instid0(VALU_DEP_1)
	v_cvt_i32_f32_e32 v12, v7
	s_branch .LBB55_2600
.LBB55_2595:
	s_mov_b32 s1, -1
	s_branch .LBB55_2599
.LBB55_2596:
	s_and_not1_saveexec_b32 s1, s1
	s_cbranch_execz .LBB55_2577
.LBB55_2597:
	v_cmp_ne_u16_e32 vcc_lo, 0, v7
	s_and_not1_b32 s11, s11, exec_lo
	s_and_b32 s12, vcc_lo, exec_lo
	s_delay_alu instid0(SALU_CYCLE_1)
	s_or_b32 s11, s11, s12
	s_or_b32 exec_lo, exec_lo, s1
	v_mov_b32_e32 v12, 0
	s_and_saveexec_b32 s1, s11
	s_cbranch_execnz .LBB55_2578
	s_branch .LBB55_2579
.LBB55_2598:
	s_mov_b32 s0, -1
.LBB55_2599:
                                        ; implicit-def: $vgpr12
.LBB55_2600:
	s_and_b32 vcc_lo, exec_lo, s1
	s_mov_b32 s1, 0
	s_cbranch_vccz .LBB55_2602
; %bb.2601:
	s_cmp_lg_u32 s6, 11
	s_mov_b32 s1, -1
	s_cselect_b32 s0, -1, 0
.LBB55_2602:
	s_delay_alu instid0(SALU_CYCLE_1)
	s_and_b32 vcc_lo, exec_lo, s0
	s_cbranch_vccnz .LBB55_2667
; %bb.2603:
	s_and_not1_b32 vcc_lo, exec_lo, s1
	s_cbranch_vccnz .LBB55_2605
.LBB55_2604:
	global_load_u8 v7, v[10:11], off
	s_mov_b32 s11, -1
	s_wait_loadcnt 0x0
	v_cmp_ne_u16_e32 vcc_lo, 0, v7
	s_wait_xcnt 0x1
	v_cndmask_b32_e64 v12, 0, 1, vcc_lo
.LBB55_2605:
	s_mov_b32 s0, 0
.LBB55_2606:
	s_delay_alu instid0(SALU_CYCLE_1)
	s_and_b32 vcc_lo, exec_lo, s0
	s_cbranch_vccz .LBB55_2655
; %bb.2607:
	s_cmp_lt_i32 s6, 5
	s_cbranch_scc1 .LBB55_2612
; %bb.2608:
	s_cmp_lt_i32 s6, 8
	s_cbranch_scc1 .LBB55_2613
	;; [unrolled: 3-line block ×3, first 2 shown]
; %bb.2610:
	s_cmp_gt_i32 s6, 9
	s_cbranch_scc0 .LBB55_2615
; %bb.2611:
	s_wait_loadcnt 0x0
	global_load_b64 v[12:13], v[10:11], off
	s_mov_b32 s0, 0
	s_wait_loadcnt 0x0
	v_cvt_i32_f64_e32 v12, v[12:13]
	s_branch .LBB55_2616
.LBB55_2612:
	s_mov_b32 s0, -1
                                        ; implicit-def: $vgpr12
	s_branch .LBB55_2634
.LBB55_2613:
	s_mov_b32 s0, -1
                                        ; implicit-def: $vgpr12
	s_branch .LBB55_2622
.LBB55_2614:
	s_mov_b32 s0, -1
                                        ; implicit-def: $vgpr12
	s_branch .LBB55_2619
.LBB55_2615:
	s_mov_b32 s0, -1
                                        ; implicit-def: $vgpr12
.LBB55_2616:
	s_delay_alu instid0(SALU_CYCLE_1)
	s_and_not1_b32 vcc_lo, exec_lo, s0
	s_cbranch_vccnz .LBB55_2618
; %bb.2617:
	global_load_b32 v7, v[10:11], off
	s_wait_loadcnt 0x0
	s_wait_xcnt 0x1
	v_cvt_i32_f32_e32 v12, v7
.LBB55_2618:
	s_mov_b32 s0, 0
.LBB55_2619:
	s_delay_alu instid0(SALU_CYCLE_1)
	s_and_not1_b32 vcc_lo, exec_lo, s0
	s_cbranch_vccnz .LBB55_2621
; %bb.2620:
	global_load_b32 v7, v[10:11], off
	s_wait_loadcnt 0x0
	v_cvt_f32_f16_e32 v7, v7
	s_wait_xcnt 0x1
	s_delay_alu instid0(VALU_DEP_1)
	v_cvt_i32_f32_e32 v12, v7
.LBB55_2621:
	s_mov_b32 s0, 0
.LBB55_2622:
	s_delay_alu instid0(SALU_CYCLE_1)
	s_and_not1_b32 vcc_lo, exec_lo, s0
	s_cbranch_vccnz .LBB55_2633
; %bb.2623:
	s_cmp_lt_i32 s6, 6
	s_cbranch_scc1 .LBB55_2626
; %bb.2624:
	s_cmp_gt_i32 s6, 6
	s_cbranch_scc0 .LBB55_2627
; %bb.2625:
	s_wait_loadcnt 0x0
	global_load_b64 v[12:13], v[10:11], off
	s_mov_b32 s0, 0
	s_wait_loadcnt 0x0
	v_cvt_i32_f64_e32 v12, v[12:13]
	s_branch .LBB55_2628
.LBB55_2626:
	s_mov_b32 s0, -1
                                        ; implicit-def: $vgpr12
	s_branch .LBB55_2631
.LBB55_2627:
	s_mov_b32 s0, -1
                                        ; implicit-def: $vgpr12
.LBB55_2628:
	s_delay_alu instid0(SALU_CYCLE_1)
	s_and_not1_b32 vcc_lo, exec_lo, s0
	s_cbranch_vccnz .LBB55_2630
; %bb.2629:
	global_load_b32 v7, v[10:11], off
	s_wait_loadcnt 0x0
	s_wait_xcnt 0x1
	v_cvt_i32_f32_e32 v12, v7
.LBB55_2630:
	s_mov_b32 s0, 0
.LBB55_2631:
	s_delay_alu instid0(SALU_CYCLE_1)
	s_and_not1_b32 vcc_lo, exec_lo, s0
	s_cbranch_vccnz .LBB55_2633
; %bb.2632:
	global_load_u16 v7, v[10:11], off
	s_wait_loadcnt 0x0
	v_cvt_f32_f16_e32 v7, v7
	s_wait_xcnt 0x1
	s_delay_alu instid0(VALU_DEP_1)
	v_cvt_i32_f32_e32 v12, v7
.LBB55_2633:
	s_mov_b32 s0, 0
.LBB55_2634:
	s_delay_alu instid0(SALU_CYCLE_1)
	s_and_not1_b32 vcc_lo, exec_lo, s0
	s_cbranch_vccnz .LBB55_2654
; %bb.2635:
	s_cmp_lt_i32 s6, 2
	s_cbranch_scc1 .LBB55_2639
; %bb.2636:
	s_cmp_lt_i32 s6, 3
	s_cbranch_scc1 .LBB55_2640
; %bb.2637:
	s_cmp_gt_i32 s6, 3
	s_cbranch_scc0 .LBB55_2641
; %bb.2638:
	s_wait_loadcnt 0x0
	global_load_b32 v12, v[10:11], off
	s_mov_b32 s0, 0
	s_branch .LBB55_2642
.LBB55_2639:
	s_mov_b32 s0, -1
                                        ; implicit-def: $vgpr12
	s_branch .LBB55_2648
.LBB55_2640:
	s_mov_b32 s0, -1
                                        ; implicit-def: $vgpr12
	s_branch .LBB55_2645
.LBB55_2641:
	s_mov_b32 s0, -1
                                        ; implicit-def: $vgpr12
.LBB55_2642:
	s_delay_alu instid0(SALU_CYCLE_1)
	s_and_not1_b32 vcc_lo, exec_lo, s0
	s_cbranch_vccnz .LBB55_2644
; %bb.2643:
	s_wait_loadcnt 0x0
	global_load_b32 v12, v[10:11], off
.LBB55_2644:
	s_mov_b32 s0, 0
.LBB55_2645:
	s_delay_alu instid0(SALU_CYCLE_1)
	s_and_not1_b32 vcc_lo, exec_lo, s0
	s_cbranch_vccnz .LBB55_2647
; %bb.2646:
	s_wait_loadcnt 0x0
	global_load_i16 v12, v[10:11], off
.LBB55_2647:
	s_mov_b32 s0, 0
.LBB55_2648:
	s_delay_alu instid0(SALU_CYCLE_1)
	s_and_not1_b32 vcc_lo, exec_lo, s0
	s_cbranch_vccnz .LBB55_2654
; %bb.2649:
	s_cmp_gt_i32 s6, 0
	s_mov_b32 s0, 0
	s_cbranch_scc0 .LBB55_2651
; %bb.2650:
	s_wait_loadcnt 0x0
	global_load_i8 v12, v[10:11], off
	s_branch .LBB55_2652
.LBB55_2651:
	s_mov_b32 s0, -1
                                        ; implicit-def: $vgpr12
.LBB55_2652:
	s_delay_alu instid0(SALU_CYCLE_1)
	s_and_not1_b32 vcc_lo, exec_lo, s0
	s_cbranch_vccnz .LBB55_2654
; %bb.2653:
	s_wait_loadcnt 0x0
	global_load_u8 v12, v[10:11], off
.LBB55_2654:
	s_mov_b32 s11, -1
.LBB55_2655:
	s_delay_alu instid0(SALU_CYCLE_1)
	s_and_not1_b32 vcc_lo, exec_lo, s11
	s_cbranch_vccnz .LBB55_3216
; %bb.2656:
	v_mov_b32_e32 v9, 0
	s_cmp_lt_i32 s7, 11
	s_delay_alu instid0(VALU_DEP_1)
	v_add_nc_u64_e32 v[8:9], s[4:5], v[8:9]
	s_cbranch_scc1 .LBB55_2663
; %bb.2657:
	s_cmp_gt_i32 s7, 25
	s_mov_b32 s1, 0
	s_cbranch_scc0 .LBB55_2664
; %bb.2658:
	s_cmp_gt_i32 s7, 28
	s_cbranch_scc0 .LBB55_2665
; %bb.2659:
	s_cmp_gt_i32 s7, 43
	;; [unrolled: 3-line block ×3, first 2 shown]
	s_cbranch_scc0 .LBB55_2668
; %bb.2661:
	s_cmp_eq_u32 s7, 46
	s_mov_b32 s5, 0
	s_cbranch_scc0 .LBB55_2669
; %bb.2662:
	global_load_b32 v7, v[8:9], off
	s_mov_b32 s0, 0
	s_mov_b32 s4, -1
	s_wait_loadcnt 0x0
	v_lshlrev_b32_e32 v7, 16, v7
	s_wait_xcnt 0x1
	s_delay_alu instid0(VALU_DEP_1)
	v_cvt_i32_f32_e32 v10, v7
	s_branch .LBB55_2671
.LBB55_2663:
	s_mov_b32 s0, -1
	s_mov_b32 s4, 0
                                        ; implicit-def: $vgpr10
	s_branch .LBB55_2733
.LBB55_2664:
	s_mov_b32 s5, -1
	s_mov_b32 s4, 0
	s_mov_b32 s0, 0
                                        ; implicit-def: $vgpr10
	s_branch .LBB55_2698
.LBB55_2665:
	s_mov_b32 s5, -1
	s_mov_b32 s4, 0
	s_mov_b32 s0, 0
                                        ; implicit-def: $vgpr10
	s_branch .LBB55_2681
.LBB55_2666:
	s_mov_b32 s5, -1
	s_mov_b32 s4, 0
	s_mov_b32 s0, 0
                                        ; implicit-def: $vgpr10
	s_branch .LBB55_2676
.LBB55_2667:
	s_or_b32 s10, s10, exec_lo
	s_trap 2
	s_cbranch_execz .LBB55_2604
	s_branch .LBB55_2605
.LBB55_2668:
	s_mov_b32 s5, -1
	s_mov_b32 s4, 0
	s_mov_b32 s0, 0
	s_branch .LBB55_2670
.LBB55_2669:
	s_mov_b32 s0, -1
	s_mov_b32 s4, 0
.LBB55_2670:
                                        ; implicit-def: $vgpr10
.LBB55_2671:
	s_and_b32 vcc_lo, exec_lo, s5
	s_cbranch_vccz .LBB55_2675
; %bb.2672:
	s_cmp_eq_u32 s7, 44
	s_cbranch_scc0 .LBB55_2674
; %bb.2673:
	global_load_u8 v7, v[8:9], off
	s_mov_b32 s0, 0
	s_mov_b32 s4, -1
	s_wait_loadcnt 0x0
	s_wait_xcnt 0x1
	v_lshlrev_b32_e32 v10, 23, v7
	v_cmp_ne_u32_e32 vcc_lo, 0, v7
	s_delay_alu instid0(VALU_DEP_2) | instskip(NEXT) | instid1(VALU_DEP_1)
	v_cvt_i32_f32_e32 v10, v10
	v_cndmask_b32_e32 v10, 0, v10, vcc_lo
	s_branch .LBB55_2675
.LBB55_2674:
	s_mov_b32 s0, -1
                                        ; implicit-def: $vgpr10
.LBB55_2675:
	s_mov_b32 s5, 0
.LBB55_2676:
	s_delay_alu instid0(SALU_CYCLE_1)
	s_and_b32 vcc_lo, exec_lo, s5
	s_cbranch_vccz .LBB55_2680
; %bb.2677:
	s_cmp_eq_u32 s7, 29
	s_cbranch_scc0 .LBB55_2679
; %bb.2678:
	global_load_b32 v10, v[8:9], off
	s_mov_b32 s0, 0
	s_mov_b32 s4, -1
	s_branch .LBB55_2680
.LBB55_2679:
	s_mov_b32 s0, -1
                                        ; implicit-def: $vgpr10
.LBB55_2680:
	s_mov_b32 s5, 0
.LBB55_2681:
	s_delay_alu instid0(SALU_CYCLE_1)
	s_and_b32 vcc_lo, exec_lo, s5
	s_cbranch_vccz .LBB55_2697
; %bb.2682:
	s_cmp_lt_i32 s7, 27
	s_cbranch_scc1 .LBB55_2685
; %bb.2683:
	s_cmp_gt_i32 s7, 27
	s_cbranch_scc0 .LBB55_2686
; %bb.2684:
	s_wait_loadcnt 0x0
	global_load_b32 v10, v[8:9], off
	s_mov_b32 s4, 0
	s_branch .LBB55_2687
.LBB55_2685:
	s_mov_b32 s4, -1
                                        ; implicit-def: $vgpr10
	s_branch .LBB55_2690
.LBB55_2686:
	s_mov_b32 s4, -1
                                        ; implicit-def: $vgpr10
.LBB55_2687:
	s_delay_alu instid0(SALU_CYCLE_1)
	s_and_not1_b32 vcc_lo, exec_lo, s4
	s_cbranch_vccnz .LBB55_2689
; %bb.2688:
	s_wait_loadcnt 0x0
	global_load_u16 v10, v[8:9], off
.LBB55_2689:
	s_mov_b32 s4, 0
.LBB55_2690:
	s_delay_alu instid0(SALU_CYCLE_1)
	s_and_not1_b32 vcc_lo, exec_lo, s4
	s_cbranch_vccnz .LBB55_2696
; %bb.2691:
	global_load_u8 v7, v[8:9], off
	s_mov_b32 s5, 0
	s_mov_b32 s4, exec_lo
	s_wait_loadcnt 0x0
	v_cmpx_lt_i16_e32 0x7f, v7
	s_xor_b32 s4, exec_lo, s4
	s_cbranch_execz .LBB55_2708
; %bb.2692:
	v_cmp_ne_u16_e32 vcc_lo, 0x80, v7
	s_and_b32 s5, vcc_lo, exec_lo
	s_and_not1_saveexec_b32 s4, s4
	s_cbranch_execnz .LBB55_2709
.LBB55_2693:
	s_or_b32 exec_lo, exec_lo, s4
	v_mov_b32_e32 v10, 0
	s_and_saveexec_b32 s4, s5
	s_cbranch_execz .LBB55_2695
.LBB55_2694:
	v_and_b32_e32 v10, 0xffff, v7
	s_delay_alu instid0(VALU_DEP_1) | instskip(SKIP_1) | instid1(VALU_DEP_2)
	v_and_b32_e32 v11, 7, v10
	v_bfe_u32 v17, v10, 3, 4
	v_clz_i32_u32_e32 v13, v11
	s_delay_alu instid0(VALU_DEP_2) | instskip(NEXT) | instid1(VALU_DEP_2)
	v_cmp_eq_u32_e32 vcc_lo, 0, v17
	v_min_u32_e32 v13, 32, v13
	s_delay_alu instid0(VALU_DEP_1) | instskip(NEXT) | instid1(VALU_DEP_1)
	v_subrev_nc_u32_e32 v15, 28, v13
	v_dual_lshlrev_b32 v10, v15, v10 :: v_dual_sub_nc_u32 v13, 29, v13
	s_delay_alu instid0(VALU_DEP_1) | instskip(NEXT) | instid1(VALU_DEP_1)
	v_dual_lshlrev_b32 v7, 24, v7 :: v_dual_bitop2_b32 v10, 7, v10 bitop3:0x40
	v_dual_cndmask_b32 v13, v17, v13 :: v_dual_cndmask_b32 v10, v11, v10
	s_delay_alu instid0(VALU_DEP_2) | instskip(NEXT) | instid1(VALU_DEP_2)
	v_and_b32_e32 v7, 0x80000000, v7
	v_lshl_add_u32 v11, v13, 23, 0x3b800000
	s_delay_alu instid0(VALU_DEP_3) | instskip(NEXT) | instid1(VALU_DEP_1)
	v_lshlrev_b32_e32 v10, 20, v10
	v_or3_b32 v7, v7, v11, v10
	s_delay_alu instid0(VALU_DEP_1)
	v_cvt_i32_f32_e32 v10, v7
.LBB55_2695:
	s_or_b32 exec_lo, exec_lo, s4
.LBB55_2696:
	s_mov_b32 s4, -1
.LBB55_2697:
	s_mov_b32 s5, 0
.LBB55_2698:
	s_delay_alu instid0(SALU_CYCLE_1)
	s_and_b32 vcc_lo, exec_lo, s5
	s_cbranch_vccz .LBB55_2729
; %bb.2699:
	s_cmp_gt_i32 s7, 22
	s_cbranch_scc0 .LBB55_2707
; %bb.2700:
	s_cmp_lt_i32 s7, 24
	s_cbranch_scc1 .LBB55_2710
; %bb.2701:
	s_cmp_gt_i32 s7, 24
	s_cbranch_scc0 .LBB55_2711
; %bb.2702:
	global_load_u8 v7, v[8:9], off
	s_mov_b32 s4, 0
	s_mov_b32 s1, exec_lo
	s_wait_loadcnt 0x0
	v_cmpx_lt_i16_e32 0x7f, v7
	s_xor_b32 s1, exec_lo, s1
	s_cbranch_execz .LBB55_2723
; %bb.2703:
	v_cmp_ne_u16_e32 vcc_lo, 0x80, v7
	s_and_b32 s4, vcc_lo, exec_lo
	s_and_not1_saveexec_b32 s1, s1
	s_cbranch_execnz .LBB55_2724
.LBB55_2704:
	s_or_b32 exec_lo, exec_lo, s1
	v_mov_b32_e32 v10, 0
	s_and_saveexec_b32 s1, s4
	s_cbranch_execz .LBB55_2706
.LBB55_2705:
	v_and_b32_e32 v10, 0xffff, v7
	s_delay_alu instid0(VALU_DEP_1) | instskip(SKIP_1) | instid1(VALU_DEP_2)
	v_and_b32_e32 v11, 3, v10
	v_bfe_u32 v17, v10, 2, 5
	v_clz_i32_u32_e32 v13, v11
	s_delay_alu instid0(VALU_DEP_2) | instskip(NEXT) | instid1(VALU_DEP_2)
	v_cmp_eq_u32_e32 vcc_lo, 0, v17
	v_min_u32_e32 v13, 32, v13
	s_delay_alu instid0(VALU_DEP_1) | instskip(NEXT) | instid1(VALU_DEP_1)
	v_subrev_nc_u32_e32 v15, 29, v13
	v_dual_lshlrev_b32 v10, v15, v10 :: v_dual_sub_nc_u32 v13, 30, v13
	s_delay_alu instid0(VALU_DEP_1) | instskip(NEXT) | instid1(VALU_DEP_1)
	v_dual_lshlrev_b32 v7, 24, v7 :: v_dual_bitop2_b32 v10, 3, v10 bitop3:0x40
	v_dual_cndmask_b32 v13, v17, v13 :: v_dual_cndmask_b32 v10, v11, v10
	s_delay_alu instid0(VALU_DEP_2) | instskip(NEXT) | instid1(VALU_DEP_2)
	v_and_b32_e32 v7, 0x80000000, v7
	v_lshl_add_u32 v11, v13, 23, 0x37800000
	s_delay_alu instid0(VALU_DEP_3) | instskip(NEXT) | instid1(VALU_DEP_1)
	v_lshlrev_b32_e32 v10, 21, v10
	v_or3_b32 v7, v7, v11, v10
	s_delay_alu instid0(VALU_DEP_1)
	v_cvt_i32_f32_e32 v10, v7
.LBB55_2706:
	s_or_b32 exec_lo, exec_lo, s1
	s_mov_b32 s1, 0
	s_branch .LBB55_2712
.LBB55_2707:
	s_mov_b32 s1, -1
                                        ; implicit-def: $vgpr10
	s_branch .LBB55_2718
.LBB55_2708:
	s_and_not1_saveexec_b32 s4, s4
	s_cbranch_execz .LBB55_2693
.LBB55_2709:
	v_cmp_ne_u16_e32 vcc_lo, 0, v7
	s_and_not1_b32 s5, s5, exec_lo
	s_and_b32 s6, vcc_lo, exec_lo
	s_delay_alu instid0(SALU_CYCLE_1)
	s_or_b32 s5, s5, s6
	s_or_b32 exec_lo, exec_lo, s4
	v_mov_b32_e32 v10, 0
	s_and_saveexec_b32 s4, s5
	s_cbranch_execnz .LBB55_2694
	s_branch .LBB55_2695
.LBB55_2710:
	s_mov_b32 s1, -1
                                        ; implicit-def: $vgpr10
	s_branch .LBB55_2715
.LBB55_2711:
	s_mov_b32 s1, -1
                                        ; implicit-def: $vgpr10
.LBB55_2712:
	s_delay_alu instid0(SALU_CYCLE_1)
	s_and_b32 vcc_lo, exec_lo, s1
	s_cbranch_vccz .LBB55_2714
; %bb.2713:
	global_load_u8 v7, v[8:9], off
	s_wait_loadcnt 0x0
	v_lshlrev_b32_e32 v7, 24, v7
	s_wait_xcnt 0x1
	s_delay_alu instid0(VALU_DEP_1) | instskip(NEXT) | instid1(VALU_DEP_1)
	v_and_b32_e32 v10, 0x7f000000, v7
	v_clz_i32_u32_e32 v11, v10
	v_cmp_ne_u32_e32 vcc_lo, 0, v10
	v_add_nc_u32_e32 v15, 0x1000000, v10
	s_delay_alu instid0(VALU_DEP_3) | instskip(NEXT) | instid1(VALU_DEP_1)
	v_min_u32_e32 v11, 32, v11
	v_sub_nc_u32_e64 v11, v11, 4 clamp
	s_delay_alu instid0(VALU_DEP_1) | instskip(NEXT) | instid1(VALU_DEP_1)
	v_dual_lshlrev_b32 v13, v11, v10 :: v_dual_lshlrev_b32 v11, 23, v11
	v_lshrrev_b32_e32 v13, 4, v13
	s_delay_alu instid0(VALU_DEP_1) | instskip(SKIP_1) | instid1(VALU_DEP_2)
	v_sub_nc_u32_e32 v11, v13, v11
	v_ashrrev_i32_e32 v13, 8, v15
	v_add_nc_u32_e32 v11, 0x3c000000, v11
	s_delay_alu instid0(VALU_DEP_1) | instskip(NEXT) | instid1(VALU_DEP_1)
	v_and_or_b32 v11, 0x7f800000, v13, v11
	v_cndmask_b32_e32 v10, 0, v11, vcc_lo
	s_delay_alu instid0(VALU_DEP_1) | instskip(NEXT) | instid1(VALU_DEP_1)
	v_and_or_b32 v7, 0x80000000, v7, v10
	v_cvt_i32_f32_e32 v10, v7
.LBB55_2714:
	s_mov_b32 s1, 0
.LBB55_2715:
	s_delay_alu instid0(SALU_CYCLE_1)
	s_and_not1_b32 vcc_lo, exec_lo, s1
	s_cbranch_vccnz .LBB55_2717
; %bb.2716:
	global_load_u8 v7, v[8:9], off
	s_wait_loadcnt 0x0
	s_wait_xcnt 0x1
	v_lshlrev_b32_e32 v10, 25, v7
	v_lshlrev_b16 v7, 8, v7
	s_delay_alu instid0(VALU_DEP_1) | instskip(SKIP_1) | instid1(VALU_DEP_2)
	v_and_or_b32 v13, 0x7f00, v7, 0.5
	v_bfe_i32 v7, v7, 0, 16
	v_dual_add_f32 v13, -0.5, v13 :: v_dual_lshrrev_b32 v11, 4, v10
	v_cmp_gt_u32_e32 vcc_lo, 0x8000000, v10
	s_delay_alu instid0(VALU_DEP_2) | instskip(NEXT) | instid1(VALU_DEP_1)
	v_or_b32_e32 v11, 0x70000000, v11
	v_mul_f32_e32 v11, 0x7800000, v11
	s_delay_alu instid0(VALU_DEP_1) | instskip(NEXT) | instid1(VALU_DEP_1)
	v_cndmask_b32_e32 v10, v11, v13, vcc_lo
	v_and_or_b32 v7, 0x80000000, v7, v10
	s_delay_alu instid0(VALU_DEP_1)
	v_cvt_i32_f32_e32 v10, v7
.LBB55_2717:
	s_mov_b32 s1, 0
	s_mov_b32 s4, -1
.LBB55_2718:
	s_and_not1_b32 vcc_lo, exec_lo, s1
	s_mov_b32 s1, 0
	s_cbranch_vccnz .LBB55_2729
; %bb.2719:
	s_cmp_gt_i32 s7, 14
	s_cbranch_scc0 .LBB55_2722
; %bb.2720:
	s_cmp_eq_u32 s7, 15
	s_cbranch_scc0 .LBB55_2725
; %bb.2721:
	global_load_u16 v7, v[8:9], off
	s_mov_b32 s0, 0
	s_mov_b32 s4, -1
	s_wait_loadcnt 0x0
	v_lshlrev_b32_e32 v7, 16, v7
	s_wait_xcnt 0x1
	s_delay_alu instid0(VALU_DEP_1)
	v_cvt_i32_f32_e32 v10, v7
	s_branch .LBB55_2727
.LBB55_2722:
	s_mov_b32 s1, -1
	s_branch .LBB55_2726
.LBB55_2723:
	s_and_not1_saveexec_b32 s1, s1
	s_cbranch_execz .LBB55_2704
.LBB55_2724:
	v_cmp_ne_u16_e32 vcc_lo, 0, v7
	s_and_not1_b32 s4, s4, exec_lo
	s_and_b32 s5, vcc_lo, exec_lo
	s_delay_alu instid0(SALU_CYCLE_1)
	s_or_b32 s4, s4, s5
	s_or_b32 exec_lo, exec_lo, s1
	v_mov_b32_e32 v10, 0
	s_and_saveexec_b32 s1, s4
	s_cbranch_execnz .LBB55_2705
	s_branch .LBB55_2706
.LBB55_2725:
	s_mov_b32 s0, -1
.LBB55_2726:
                                        ; implicit-def: $vgpr10
.LBB55_2727:
	s_and_b32 vcc_lo, exec_lo, s1
	s_mov_b32 s1, 0
	s_cbranch_vccz .LBB55_2729
; %bb.2728:
	s_cmp_lg_u32 s7, 11
	s_mov_b32 s1, -1
	s_cselect_b32 s0, -1, 0
.LBB55_2729:
	s_delay_alu instid0(SALU_CYCLE_1)
	s_and_b32 vcc_lo, exec_lo, s0
	s_cbranch_vccnz .LBB55_3262
; %bb.2730:
	s_and_not1_b32 vcc_lo, exec_lo, s1
	s_cbranch_vccnz .LBB55_2732
.LBB55_2731:
	global_load_u8 v7, v[8:9], off
	s_mov_b32 s4, -1
	s_wait_loadcnt 0x0
	v_cmp_ne_u16_e32 vcc_lo, 0, v7
	s_wait_xcnt 0x1
	v_cndmask_b32_e64 v10, 0, 1, vcc_lo
.LBB55_2732:
	s_mov_b32 s0, 0
.LBB55_2733:
	s_delay_alu instid0(SALU_CYCLE_1)
	s_and_b32 vcc_lo, exec_lo, s0
	s_cbranch_vccz .LBB55_2782
; %bb.2734:
	s_cmp_lt_i32 s7, 5
	s_cbranch_scc1 .LBB55_2739
; %bb.2735:
	s_cmp_lt_i32 s7, 8
	s_cbranch_scc1 .LBB55_2740
	;; [unrolled: 3-line block ×3, first 2 shown]
; %bb.2737:
	s_cmp_gt_i32 s7, 9
	s_cbranch_scc0 .LBB55_2742
; %bb.2738:
	s_wait_loadcnt 0x0
	global_load_b64 v[10:11], v[8:9], off
	s_mov_b32 s0, 0
	s_wait_loadcnt 0x0
	v_cvt_i32_f64_e32 v10, v[10:11]
	s_branch .LBB55_2743
.LBB55_2739:
	s_mov_b32 s0, -1
                                        ; implicit-def: $vgpr10
	s_branch .LBB55_2761
.LBB55_2740:
	s_mov_b32 s0, -1
                                        ; implicit-def: $vgpr10
	s_branch .LBB55_2749
.LBB55_2741:
	s_mov_b32 s0, -1
                                        ; implicit-def: $vgpr10
	s_branch .LBB55_2746
.LBB55_2742:
	s_mov_b32 s0, -1
                                        ; implicit-def: $vgpr10
.LBB55_2743:
	s_delay_alu instid0(SALU_CYCLE_1)
	s_and_not1_b32 vcc_lo, exec_lo, s0
	s_cbranch_vccnz .LBB55_2745
; %bb.2744:
	global_load_b32 v7, v[8:9], off
	s_wait_loadcnt 0x0
	s_wait_xcnt 0x1
	v_cvt_i32_f32_e32 v10, v7
.LBB55_2745:
	s_mov_b32 s0, 0
.LBB55_2746:
	s_delay_alu instid0(SALU_CYCLE_1)
	s_and_not1_b32 vcc_lo, exec_lo, s0
	s_cbranch_vccnz .LBB55_2748
; %bb.2747:
	global_load_b32 v7, v[8:9], off
	s_wait_loadcnt 0x0
	v_cvt_f32_f16_e32 v7, v7
	s_wait_xcnt 0x1
	s_delay_alu instid0(VALU_DEP_1)
	v_cvt_i32_f32_e32 v10, v7
.LBB55_2748:
	s_mov_b32 s0, 0
.LBB55_2749:
	s_delay_alu instid0(SALU_CYCLE_1)
	s_and_not1_b32 vcc_lo, exec_lo, s0
	s_cbranch_vccnz .LBB55_2760
; %bb.2750:
	s_cmp_lt_i32 s7, 6
	s_cbranch_scc1 .LBB55_2753
; %bb.2751:
	s_cmp_gt_i32 s7, 6
	s_cbranch_scc0 .LBB55_2754
; %bb.2752:
	s_wait_loadcnt 0x0
	global_load_b64 v[10:11], v[8:9], off
	s_mov_b32 s0, 0
	s_wait_loadcnt 0x0
	v_cvt_i32_f64_e32 v10, v[10:11]
	s_branch .LBB55_2755
.LBB55_2753:
	s_mov_b32 s0, -1
                                        ; implicit-def: $vgpr10
	s_branch .LBB55_2758
.LBB55_2754:
	s_mov_b32 s0, -1
                                        ; implicit-def: $vgpr10
.LBB55_2755:
	s_delay_alu instid0(SALU_CYCLE_1)
	s_and_not1_b32 vcc_lo, exec_lo, s0
	s_cbranch_vccnz .LBB55_2757
; %bb.2756:
	global_load_b32 v7, v[8:9], off
	s_wait_loadcnt 0x0
	s_wait_xcnt 0x1
	v_cvt_i32_f32_e32 v10, v7
.LBB55_2757:
	s_mov_b32 s0, 0
.LBB55_2758:
	s_delay_alu instid0(SALU_CYCLE_1)
	s_and_not1_b32 vcc_lo, exec_lo, s0
	s_cbranch_vccnz .LBB55_2760
; %bb.2759:
	global_load_u16 v7, v[8:9], off
	s_wait_loadcnt 0x0
	v_cvt_f32_f16_e32 v7, v7
	s_wait_xcnt 0x1
	s_delay_alu instid0(VALU_DEP_1)
	v_cvt_i32_f32_e32 v10, v7
.LBB55_2760:
	s_mov_b32 s0, 0
.LBB55_2761:
	s_delay_alu instid0(SALU_CYCLE_1)
	s_and_not1_b32 vcc_lo, exec_lo, s0
	s_cbranch_vccnz .LBB55_2781
; %bb.2762:
	s_cmp_lt_i32 s7, 2
	s_cbranch_scc1 .LBB55_2766
; %bb.2763:
	s_cmp_lt_i32 s7, 3
	s_cbranch_scc1 .LBB55_2767
; %bb.2764:
	s_cmp_gt_i32 s7, 3
	s_cbranch_scc0 .LBB55_2768
; %bb.2765:
	s_wait_loadcnt 0x0
	global_load_b32 v10, v[8:9], off
	s_mov_b32 s0, 0
	s_branch .LBB55_2769
.LBB55_2766:
	s_mov_b32 s0, -1
                                        ; implicit-def: $vgpr10
	s_branch .LBB55_2775
.LBB55_2767:
	s_mov_b32 s0, -1
                                        ; implicit-def: $vgpr10
	s_branch .LBB55_2772
.LBB55_2768:
	s_mov_b32 s0, -1
                                        ; implicit-def: $vgpr10
.LBB55_2769:
	s_delay_alu instid0(SALU_CYCLE_1)
	s_and_not1_b32 vcc_lo, exec_lo, s0
	s_cbranch_vccnz .LBB55_2771
; %bb.2770:
	s_wait_loadcnt 0x0
	global_load_b32 v10, v[8:9], off
.LBB55_2771:
	s_mov_b32 s0, 0
.LBB55_2772:
	s_delay_alu instid0(SALU_CYCLE_1)
	s_and_not1_b32 vcc_lo, exec_lo, s0
	s_cbranch_vccnz .LBB55_2774
; %bb.2773:
	s_wait_loadcnt 0x0
	global_load_i16 v10, v[8:9], off
.LBB55_2774:
	s_mov_b32 s0, 0
.LBB55_2775:
	s_delay_alu instid0(SALU_CYCLE_1)
	s_and_not1_b32 vcc_lo, exec_lo, s0
	s_cbranch_vccnz .LBB55_2781
; %bb.2776:
	s_cmp_gt_i32 s7, 0
	s_mov_b32 s0, 0
	s_cbranch_scc0 .LBB55_2778
; %bb.2777:
	s_wait_loadcnt 0x0
	global_load_i8 v10, v[8:9], off
	s_branch .LBB55_2779
.LBB55_2778:
	s_mov_b32 s0, -1
                                        ; implicit-def: $vgpr10
.LBB55_2779:
	s_delay_alu instid0(SALU_CYCLE_1)
	s_and_not1_b32 vcc_lo, exec_lo, s0
	s_cbranch_vccnz .LBB55_2781
; %bb.2780:
	s_wait_loadcnt 0x0
	global_load_u8 v10, v[8:9], off
.LBB55_2781:
	s_mov_b32 s4, -1
.LBB55_2782:
	s_delay_alu instid0(SALU_CYCLE_1)
	s_and_not1_b32 vcc_lo, exec_lo, s4
	s_cbranch_vccnz .LBB55_3216
; %bb.2783:
	s_clause 0x1
	s_load_b64 s[6:7], s[2:3], 0x1e8
	s_load_b64 s[4:5], s[2:3], 0x1c8
	v_mov_b32_e32 v7, 0
	s_wait_kmcnt 0x0
	v_mul_lo_u32 v1, v1, s6
	s_delay_alu instid0(VALU_DEP_2) | instskip(SKIP_1) | instid1(SALU_CYCLE_1)
	v_add_nc_u64_e32 v[6:7], s[4:5], v[6:7]
	s_and_b32 s1, s7, 0xff
	s_cmp_lt_i32 s1, 11
	s_wait_loadcnt 0x0
	s_delay_alu instid0(VALU_DEP_2)
	v_mul_lo_u32 v8, v1, v3
	s_cbranch_scc1 .LBB55_2861
; %bb.2784:
	s_and_b32 s2, 0xffff, s1
	s_mov_b32 s11, -1
	s_mov_b32 s3, 0
	s_cmp_gt_i32 s2, 25
	s_mov_b32 s7, 0
	s_mov_b32 s0, 0
	s_cbranch_scc0 .LBB55_2817
; %bb.2785:
	s_cmp_gt_i32 s2, 28
	s_cbranch_scc0 .LBB55_2800
; %bb.2786:
	s_cmp_gt_i32 s2, 43
	s_cbranch_scc0 .LBB55_2796
; %bb.2787:
	s_cmp_gt_i32 s2, 45
	s_cbranch_scc0 .LBB55_2790
; %bb.2788:
	s_mov_b32 s0, -1
	s_mov_b32 s11, 0
	s_cmp_eq_u32 s2, 46
	s_cbranch_scc0 .LBB55_2790
; %bb.2789:
	v_cvt_f32_i32_e32 v1, v8
	s_mov_b32 s0, 0
	s_mov_b32 s7, -1
	s_delay_alu instid0(VALU_DEP_1) | instskip(NEXT) | instid1(VALU_DEP_1)
	v_bfe_u32 v3, v1, 16, 1
	v_add3_u32 v1, v1, v3, 0x7fff
	s_delay_alu instid0(VALU_DEP_1)
	v_lshrrev_b32_e32 v1, 16, v1
	global_store_b32 v[6:7], v1, off
.LBB55_2790:
	s_and_b32 vcc_lo, exec_lo, s11
	s_cbranch_vccz .LBB55_2795
; %bb.2791:
	s_cmp_eq_u32 s2, 44
	s_mov_b32 s0, -1
	s_cbranch_scc0 .LBB55_2795
; %bb.2792:
	s_wait_xcnt 0x0
	v_cvt_f32_i32_e32 v1, v8
	v_mov_b32_e32 v3, 0xff
	s_mov_b32 s7, exec_lo
	s_delay_alu instid0(VALU_DEP_2) | instskip(NEXT) | instid1(VALU_DEP_1)
	v_bfe_u32 v9, v1, 23, 8
	v_cmpx_ne_u32_e32 0xff, v9
	s_cbranch_execz .LBB55_2794
; %bb.2793:
	v_and_b32_e32 v3, 0x400000, v1
	v_and_or_b32 v9, 0x3fffff, v1, v9
	v_lshrrev_b32_e32 v1, 23, v1
	s_delay_alu instid0(VALU_DEP_3) | instskip(NEXT) | instid1(VALU_DEP_3)
	v_cmp_ne_u32_e32 vcc_lo, 0, v3
	v_cmp_ne_u32_e64 s0, 0, v9
	s_and_b32 s0, vcc_lo, s0
	s_delay_alu instid0(SALU_CYCLE_1) | instskip(NEXT) | instid1(VALU_DEP_1)
	v_cndmask_b32_e64 v3, 0, 1, s0
	v_add_nc_u32_e32 v3, v1, v3
.LBB55_2794:
	s_or_b32 exec_lo, exec_lo, s7
	s_mov_b32 s0, 0
	s_mov_b32 s7, -1
	global_store_b8 v[6:7], v3, off
.LBB55_2795:
	s_mov_b32 s11, 0
.LBB55_2796:
	s_delay_alu instid0(SALU_CYCLE_1)
	s_and_b32 vcc_lo, exec_lo, s11
	s_cbranch_vccz .LBB55_2799
; %bb.2797:
	s_cmp_eq_u32 s2, 29
	s_mov_b32 s0, -1
	s_cbranch_scc0 .LBB55_2799
; %bb.2798:
	v_ashrrev_i32_e32 v9, 31, v8
	s_mov_b32 s0, 0
	s_mov_b32 s7, -1
	global_store_b64 v[6:7], v[8:9], off
.LBB55_2799:
	s_mov_b32 s11, 0
.LBB55_2800:
	s_delay_alu instid0(SALU_CYCLE_1)
	s_and_b32 vcc_lo, exec_lo, s11
	s_cbranch_vccz .LBB55_2816
; %bb.2801:
	s_cmp_lt_i32 s2, 27
	s_mov_b32 s7, -1
	s_cbranch_scc1 .LBB55_2807
; %bb.2802:
	s_cmp_gt_i32 s2, 27
	s_cbranch_scc0 .LBB55_2804
; %bb.2803:
	s_mov_b32 s7, 0
	global_store_b32 v[6:7], v8, off
.LBB55_2804:
	s_and_not1_b32 vcc_lo, exec_lo, s7
	s_cbranch_vccnz .LBB55_2806
; %bb.2805:
	global_store_b16 v[6:7], v8, off
.LBB55_2806:
	s_mov_b32 s7, 0
.LBB55_2807:
	s_delay_alu instid0(SALU_CYCLE_1)
	s_and_not1_b32 vcc_lo, exec_lo, s7
	s_cbranch_vccnz .LBB55_2815
; %bb.2808:
	s_wait_xcnt 0x0
	v_cvt_f32_i32_e32 v1, v8
	v_mov_b32_e32 v9, 0x80
	s_mov_b32 s7, exec_lo
	s_delay_alu instid0(VALU_DEP_2) | instskip(NEXT) | instid1(VALU_DEP_1)
	v_and_b32_e32 v3, 0x7fffffff, v1
	v_cmpx_gt_u32_e32 0x43800000, v3
	s_cbranch_execz .LBB55_2814
; %bb.2809:
	v_cmp_lt_u32_e32 vcc_lo, 0x3bffffff, v3
	s_mov_b32 s11, 0
                                        ; implicit-def: $vgpr3
	s_and_saveexec_b32 s12, vcc_lo
	s_delay_alu instid0(SALU_CYCLE_1)
	s_xor_b32 s12, exec_lo, s12
	s_cbranch_execz .LBB55_3263
; %bb.2810:
	v_bfe_u32 v3, v1, 20, 1
	s_mov_b32 s11, exec_lo
	s_delay_alu instid0(VALU_DEP_1) | instskip(NEXT) | instid1(VALU_DEP_1)
	v_add3_u32 v3, v1, v3, 0x487ffff
	v_lshrrev_b32_e32 v3, 20, v3
	s_and_not1_saveexec_b32 s12, s12
	s_cbranch_execnz .LBB55_3264
.LBB55_2811:
	s_or_b32 exec_lo, exec_lo, s12
	v_mov_b32_e32 v9, 0
	s_and_saveexec_b32 s12, s11
.LBB55_2812:
	v_lshrrev_b32_e32 v1, 24, v1
	s_delay_alu instid0(VALU_DEP_1)
	v_and_or_b32 v9, 0x80, v1, v3
.LBB55_2813:
	s_or_b32 exec_lo, exec_lo, s12
.LBB55_2814:
	s_delay_alu instid0(SALU_CYCLE_1)
	s_or_b32 exec_lo, exec_lo, s7
	global_store_b8 v[6:7], v9, off
.LBB55_2815:
	s_mov_b32 s7, -1
.LBB55_2816:
	s_mov_b32 s11, 0
.LBB55_2817:
	s_delay_alu instid0(SALU_CYCLE_1)
	s_and_b32 vcc_lo, exec_lo, s11
	s_cbranch_vccz .LBB55_2857
; %bb.2818:
	s_cmp_gt_i32 s2, 22
	s_mov_b32 s3, -1
	s_cbranch_scc0 .LBB55_2850
; %bb.2819:
	s_cmp_lt_i32 s2, 24
	s_cbranch_scc1 .LBB55_2839
; %bb.2820:
	s_cmp_gt_i32 s2, 24
	s_cbranch_scc0 .LBB55_2828
; %bb.2821:
	s_wait_xcnt 0x0
	v_cvt_f32_i32_e32 v1, v8
	v_mov_b32_e32 v9, 0x80
	s_mov_b32 s3, exec_lo
	s_delay_alu instid0(VALU_DEP_2) | instskip(NEXT) | instid1(VALU_DEP_1)
	v_and_b32_e32 v3, 0x7fffffff, v1
	v_cmpx_gt_u32_e32 0x47800000, v3
	s_cbranch_execz .LBB55_2827
; %bb.2822:
	v_cmp_lt_u32_e32 vcc_lo, 0x37ffffff, v3
	s_mov_b32 s7, 0
                                        ; implicit-def: $vgpr3
	s_and_saveexec_b32 s11, vcc_lo
	s_delay_alu instid0(SALU_CYCLE_1)
	s_xor_b32 s11, exec_lo, s11
	s_cbranch_execz .LBB55_3266
; %bb.2823:
	v_bfe_u32 v3, v1, 21, 1
	s_mov_b32 s7, exec_lo
	s_delay_alu instid0(VALU_DEP_1) | instskip(NEXT) | instid1(VALU_DEP_1)
	v_add3_u32 v3, v1, v3, 0x88fffff
	v_lshrrev_b32_e32 v3, 21, v3
	s_and_not1_saveexec_b32 s11, s11
	s_cbranch_execnz .LBB55_3267
.LBB55_2824:
	s_or_b32 exec_lo, exec_lo, s11
	v_mov_b32_e32 v9, 0
	s_and_saveexec_b32 s11, s7
.LBB55_2825:
	v_lshrrev_b32_e32 v1, 24, v1
	s_delay_alu instid0(VALU_DEP_1)
	v_and_or_b32 v9, 0x80, v1, v3
.LBB55_2826:
	s_or_b32 exec_lo, exec_lo, s11
.LBB55_2827:
	s_delay_alu instid0(SALU_CYCLE_1)
	s_or_b32 exec_lo, exec_lo, s3
	s_mov_b32 s3, 0
	global_store_b8 v[6:7], v9, off
.LBB55_2828:
	s_and_b32 vcc_lo, exec_lo, s3
	s_cbranch_vccz .LBB55_2838
; %bb.2829:
	s_wait_xcnt 0x0
	v_cvt_f32_i32_e32 v1, v8
	s_mov_b32 s3, exec_lo
                                        ; implicit-def: $vgpr3
	s_delay_alu instid0(VALU_DEP_1) | instskip(NEXT) | instid1(VALU_DEP_1)
	v_and_b32_e32 v9, 0x7fffffff, v1
	v_cmpx_gt_u32_e32 0x43f00000, v9
	s_xor_b32 s3, exec_lo, s3
	s_cbranch_execz .LBB55_2835
; %bb.2830:
	s_mov_b32 s7, exec_lo
                                        ; implicit-def: $vgpr3
	v_cmpx_lt_u32_e32 0x3c7fffff, v9
	s_xor_b32 s7, exec_lo, s7
; %bb.2831:
	v_bfe_u32 v3, v1, 20, 1
	s_delay_alu instid0(VALU_DEP_1) | instskip(NEXT) | instid1(VALU_DEP_1)
	v_add3_u32 v3, v1, v3, 0x407ffff
	v_and_b32_e32 v9, 0xff00000, v3
	v_lshrrev_b32_e32 v3, 20, v3
	s_delay_alu instid0(VALU_DEP_2) | instskip(NEXT) | instid1(VALU_DEP_2)
	v_cmp_ne_u32_e32 vcc_lo, 0x7f00000, v9
	v_cndmask_b32_e32 v3, 0x7e, v3, vcc_lo
; %bb.2832:
	s_and_not1_saveexec_b32 s7, s7
; %bb.2833:
	v_add_f32_e64 v3, 0x46800000, |v1|
; %bb.2834:
	s_or_b32 exec_lo, exec_lo, s7
                                        ; implicit-def: $vgpr9
.LBB55_2835:
	s_and_not1_saveexec_b32 s3, s3
; %bb.2836:
	v_mov_b32_e32 v3, 0x7f
	v_cmp_lt_u32_e32 vcc_lo, 0x7f800000, v9
	s_delay_alu instid0(VALU_DEP_2)
	v_cndmask_b32_e32 v3, 0x7e, v3, vcc_lo
; %bb.2837:
	s_or_b32 exec_lo, exec_lo, s3
	v_lshrrev_b32_e32 v1, 24, v1
	s_delay_alu instid0(VALU_DEP_1)
	v_and_or_b32 v1, 0x80, v1, v3
	global_store_b8 v[6:7], v1, off
.LBB55_2838:
	s_mov_b32 s3, 0
.LBB55_2839:
	s_delay_alu instid0(SALU_CYCLE_1)
	s_and_not1_b32 vcc_lo, exec_lo, s3
	s_cbranch_vccnz .LBB55_2849
; %bb.2840:
	s_wait_xcnt 0x0
	v_cvt_f32_i32_e32 v1, v8
	s_mov_b32 s3, exec_lo
                                        ; implicit-def: $vgpr3
	s_delay_alu instid0(VALU_DEP_1) | instskip(NEXT) | instid1(VALU_DEP_1)
	v_and_b32_e32 v9, 0x7fffffff, v1
	v_cmpx_gt_u32_e32 0x47800000, v9
	s_xor_b32 s3, exec_lo, s3
	s_cbranch_execz .LBB55_2846
; %bb.2841:
	s_mov_b32 s7, exec_lo
                                        ; implicit-def: $vgpr3
	v_cmpx_lt_u32_e32 0x387fffff, v9
	s_xor_b32 s7, exec_lo, s7
; %bb.2842:
	v_bfe_u32 v3, v1, 21, 1
	s_delay_alu instid0(VALU_DEP_1) | instskip(NEXT) | instid1(VALU_DEP_1)
	v_add3_u32 v3, v1, v3, 0x80fffff
	v_lshrrev_b32_e32 v3, 21, v3
; %bb.2843:
	s_and_not1_saveexec_b32 s7, s7
; %bb.2844:
	v_add_f32_e64 v3, 0x43000000, |v1|
; %bb.2845:
	s_or_b32 exec_lo, exec_lo, s7
                                        ; implicit-def: $vgpr9
.LBB55_2846:
	s_and_not1_saveexec_b32 s3, s3
; %bb.2847:
	v_mov_b32_e32 v3, 0x7f
	v_cmp_lt_u32_e32 vcc_lo, 0x7f800000, v9
	s_delay_alu instid0(VALU_DEP_2)
	v_cndmask_b32_e32 v3, 0x7c, v3, vcc_lo
; %bb.2848:
	s_or_b32 exec_lo, exec_lo, s3
	v_lshrrev_b32_e32 v1, 24, v1
	s_delay_alu instid0(VALU_DEP_1)
	v_and_or_b32 v1, 0x80, v1, v3
	global_store_b8 v[6:7], v1, off
.LBB55_2849:
	s_mov_b32 s3, 0
	s_mov_b32 s7, -1
.LBB55_2850:
	s_and_not1_b32 vcc_lo, exec_lo, s3
	s_mov_b32 s3, 0
	s_cbranch_vccnz .LBB55_2857
; %bb.2851:
	s_cmp_gt_i32 s2, 14
	s_mov_b32 s3, -1
	s_cbranch_scc0 .LBB55_2855
; %bb.2852:
	s_cmp_eq_u32 s2, 15
	s_mov_b32 s0, -1
	s_cbranch_scc0 .LBB55_2854
; %bb.2853:
	s_wait_xcnt 0x0
	v_cvt_f32_i32_e32 v1, v8
	s_mov_b32 s0, 0
	s_mov_b32 s7, -1
	s_delay_alu instid0(VALU_DEP_1) | instskip(NEXT) | instid1(VALU_DEP_1)
	v_bfe_u32 v3, v1, 16, 1
	v_add3_u32 v1, v1, v3, 0x7fff
	global_store_d16_hi_b16 v[6:7], v1, off
.LBB55_2854:
	s_mov_b32 s3, 0
.LBB55_2855:
	s_delay_alu instid0(SALU_CYCLE_1)
	s_and_b32 vcc_lo, exec_lo, s3
	s_mov_b32 s3, 0
	s_cbranch_vccz .LBB55_2857
; %bb.2856:
	s_cmp_lg_u32 s2, 11
	s_mov_b32 s3, -1
	s_cselect_b32 s0, -1, 0
.LBB55_2857:
	s_delay_alu instid0(SALU_CYCLE_1)
	s_and_b32 vcc_lo, exec_lo, s0
	s_cbranch_vccnz .LBB55_3265
; %bb.2858:
	s_and_not1_b32 vcc_lo, exec_lo, s3
	s_cbranch_vccnz .LBB55_2860
.LBB55_2859:
	v_cmp_ne_u32_e32 vcc_lo, 0, v8
	s_mov_b32 s7, -1
	s_wait_xcnt 0x0
	v_cndmask_b32_e64 v1, 0, 1, vcc_lo
	global_store_b8 v[6:7], v1, off
.LBB55_2860:
	s_mov_b32 s0, 0
	s_branch .LBB55_2862
.LBB55_2861:
	s_mov_b32 s0, -1
	s_mov_b32 s7, 0
.LBB55_2862:
	s_and_b32 vcc_lo, exec_lo, s0
	s_cbranch_vccz .LBB55_2901
; %bb.2863:
	s_and_b32 s0, 0xffff, s1
	s_mov_b32 s2, -1
	s_cmp_lt_i32 s0, 5
	s_cbranch_scc1 .LBB55_2884
; %bb.2864:
	s_cmp_lt_i32 s0, 8
	s_cbranch_scc1 .LBB55_2874
; %bb.2865:
	;; [unrolled: 3-line block ×3, first 2 shown]
	s_cmp_gt_i32 s0, 9
	s_cbranch_scc0 .LBB55_2868
; %bb.2867:
	v_cvt_f64_i32_e32 v[20:21], v8
	v_mov_b32_e32 v22, 0
	s_mov_b32 s2, 0
	s_delay_alu instid0(VALU_DEP_1)
	v_mov_b32_e32 v23, v22
	global_store_b128 v[6:7], v[20:23], off
.LBB55_2868:
	s_and_not1_b32 vcc_lo, exec_lo, s2
	s_cbranch_vccnz .LBB55_2870
; %bb.2869:
	s_wait_xcnt 0x0
	v_cvt_f32_i32_e32 v20, v8
	v_mov_b32_e32 v21, 0
	global_store_b64 v[6:7], v[20:21], off
.LBB55_2870:
	s_mov_b32 s2, 0
.LBB55_2871:
	s_delay_alu instid0(SALU_CYCLE_1)
	s_and_not1_b32 vcc_lo, exec_lo, s2
	s_cbranch_vccnz .LBB55_2873
; %bb.2872:
	s_wait_xcnt 0x0
	v_cvt_f32_i32_e32 v1, v8
	s_delay_alu instid0(VALU_DEP_1) | instskip(NEXT) | instid1(VALU_DEP_1)
	v_cvt_f16_f32_e32 v1, v1
	v_and_b32_e32 v1, 0xffff, v1
	global_store_b32 v[6:7], v1, off
.LBB55_2873:
	s_mov_b32 s2, 0
.LBB55_2874:
	s_delay_alu instid0(SALU_CYCLE_1)
	s_and_not1_b32 vcc_lo, exec_lo, s2
	s_cbranch_vccnz .LBB55_2883
; %bb.2875:
	s_cmp_lt_i32 s0, 6
	s_mov_b32 s2, -1
	s_cbranch_scc1 .LBB55_2881
; %bb.2876:
	s_cmp_gt_i32 s0, 6
	s_cbranch_scc0 .LBB55_2878
; %bb.2877:
	s_wait_xcnt 0x0
	v_cvt_f64_i32_e32 v[20:21], v8
	s_mov_b32 s2, 0
	global_store_b64 v[6:7], v[20:21], off
.LBB55_2878:
	s_and_not1_b32 vcc_lo, exec_lo, s2
	s_cbranch_vccnz .LBB55_2880
; %bb.2879:
	s_wait_xcnt 0x0
	v_cvt_f32_i32_e32 v1, v8
	global_store_b32 v[6:7], v1, off
.LBB55_2880:
	s_mov_b32 s2, 0
.LBB55_2881:
	s_delay_alu instid0(SALU_CYCLE_1)
	s_and_not1_b32 vcc_lo, exec_lo, s2
	s_cbranch_vccnz .LBB55_2883
; %bb.2882:
	s_wait_xcnt 0x0
	v_cvt_f32_i32_e32 v1, v8
	s_delay_alu instid0(VALU_DEP_1)
	v_cvt_f16_f32_e32 v1, v1
	global_store_b16 v[6:7], v1, off
.LBB55_2883:
	s_mov_b32 s2, 0
.LBB55_2884:
	s_delay_alu instid0(SALU_CYCLE_1)
	s_and_not1_b32 vcc_lo, exec_lo, s2
	s_cbranch_vccnz .LBB55_2900
; %bb.2885:
	s_cmp_lt_i32 s0, 2
	s_mov_b32 s2, -1
	s_cbranch_scc1 .LBB55_2895
; %bb.2886:
	s_cmp_lt_i32 s0, 3
	s_cbranch_scc1 .LBB55_2892
; %bb.2887:
	s_cmp_gt_i32 s0, 3
	s_cbranch_scc0 .LBB55_2889
; %bb.2888:
	s_wait_xcnt 0x0
	v_ashrrev_i32_e32 v9, 31, v8
	s_mov_b32 s2, 0
	global_store_b64 v[6:7], v[8:9], off
.LBB55_2889:
	s_and_not1_b32 vcc_lo, exec_lo, s2
	s_cbranch_vccnz .LBB55_2891
; %bb.2890:
	global_store_b32 v[6:7], v8, off
.LBB55_2891:
	s_mov_b32 s2, 0
.LBB55_2892:
	s_delay_alu instid0(SALU_CYCLE_1)
	s_and_not1_b32 vcc_lo, exec_lo, s2
	s_cbranch_vccnz .LBB55_2894
; %bb.2893:
	global_store_b16 v[6:7], v8, off
.LBB55_2894:
	s_mov_b32 s2, 0
.LBB55_2895:
	s_delay_alu instid0(SALU_CYCLE_1)
	s_and_not1_b32 vcc_lo, exec_lo, s2
	s_cbranch_vccnz .LBB55_2900
; %bb.2896:
	s_cmp_gt_i32 s0, 0
	s_mov_b32 s0, -1
	s_cbranch_scc0 .LBB55_2898
; %bb.2897:
	s_mov_b32 s0, 0
	global_store_b8 v[6:7], v8, off
.LBB55_2898:
	s_and_not1_b32 vcc_lo, exec_lo, s0
	s_cbranch_vccnz .LBB55_2900
; %bb.2899:
	global_store_b8 v[6:7], v8, off
.LBB55_2900:
	s_mov_b32 s7, -1
.LBB55_2901:
	s_delay_alu instid0(SALU_CYCLE_1)
	s_and_not1_b32 vcc_lo, exec_lo, s7
	s_cbranch_vccnz .LBB55_3216
; %bb.2902:
	s_wait_xcnt 0x0
	v_mul_lo_u32 v1, v5, s6
	v_mov_b32_e32 v5, 0
	s_and_b32 s2, 0xffff, s1
	s_delay_alu instid0(SALU_CYCLE_1) | instskip(NEXT) | instid1(VALU_DEP_1)
	s_cmp_lt_i32 s2, 11
	v_add_nc_u64_e32 v[4:5], s[4:5], v[4:5]
	s_delay_alu instid0(VALU_DEP_3)
	v_mul_lo_u32 v6, v1, v18
	s_cbranch_scc1 .LBB55_2980
; %bb.2903:
	s_mov_b32 s11, -1
	s_mov_b32 s3, 0
	s_cmp_gt_i32 s2, 25
	s_mov_b32 s7, 0
	s_mov_b32 s0, 0
	s_cbranch_scc0 .LBB55_2936
; %bb.2904:
	s_cmp_gt_i32 s2, 28
	s_cbranch_scc0 .LBB55_2919
; %bb.2905:
	s_cmp_gt_i32 s2, 43
	;; [unrolled: 3-line block ×3, first 2 shown]
	s_cbranch_scc0 .LBB55_2909
; %bb.2907:
	s_mov_b32 s0, -1
	s_mov_b32 s11, 0
	s_cmp_eq_u32 s2, 46
	s_cbranch_scc0 .LBB55_2909
; %bb.2908:
	v_cvt_f32_i32_e32 v1, v6
	s_mov_b32 s0, 0
	s_mov_b32 s7, -1
	s_delay_alu instid0(VALU_DEP_1) | instskip(NEXT) | instid1(VALU_DEP_1)
	v_bfe_u32 v3, v1, 16, 1
	v_add3_u32 v1, v1, v3, 0x7fff
	s_delay_alu instid0(VALU_DEP_1)
	v_lshrrev_b32_e32 v1, 16, v1
	global_store_b32 v[4:5], v1, off
.LBB55_2909:
	s_and_b32 vcc_lo, exec_lo, s11
	s_cbranch_vccz .LBB55_2914
; %bb.2910:
	s_cmp_eq_u32 s2, 44
	s_mov_b32 s0, -1
	s_cbranch_scc0 .LBB55_2914
; %bb.2911:
	s_wait_xcnt 0x0
	v_cvt_f32_i32_e32 v1, v6
	v_mov_b32_e32 v3, 0xff
	s_mov_b32 s7, exec_lo
	s_delay_alu instid0(VALU_DEP_2) | instskip(NEXT) | instid1(VALU_DEP_1)
	v_bfe_u32 v7, v1, 23, 8
	v_cmpx_ne_u32_e32 0xff, v7
	s_cbranch_execz .LBB55_2913
; %bb.2912:
	v_and_b32_e32 v3, 0x400000, v1
	v_and_or_b32 v7, 0x3fffff, v1, v7
	v_lshrrev_b32_e32 v1, 23, v1
	s_delay_alu instid0(VALU_DEP_3) | instskip(NEXT) | instid1(VALU_DEP_3)
	v_cmp_ne_u32_e32 vcc_lo, 0, v3
	v_cmp_ne_u32_e64 s0, 0, v7
	s_and_b32 s0, vcc_lo, s0
	s_delay_alu instid0(SALU_CYCLE_1) | instskip(NEXT) | instid1(VALU_DEP_1)
	v_cndmask_b32_e64 v3, 0, 1, s0
	v_add_nc_u32_e32 v3, v1, v3
.LBB55_2913:
	s_or_b32 exec_lo, exec_lo, s7
	s_mov_b32 s0, 0
	s_mov_b32 s7, -1
	global_store_b8 v[4:5], v3, off
.LBB55_2914:
	s_mov_b32 s11, 0
.LBB55_2915:
	s_delay_alu instid0(SALU_CYCLE_1)
	s_and_b32 vcc_lo, exec_lo, s11
	s_cbranch_vccz .LBB55_2918
; %bb.2916:
	s_cmp_eq_u32 s2, 29
	s_mov_b32 s0, -1
	s_cbranch_scc0 .LBB55_2918
; %bb.2917:
	v_ashrrev_i32_e32 v7, 31, v6
	s_mov_b32 s0, 0
	s_mov_b32 s7, -1
	global_store_b64 v[4:5], v[6:7], off
.LBB55_2918:
	s_mov_b32 s11, 0
.LBB55_2919:
	s_delay_alu instid0(SALU_CYCLE_1)
	s_and_b32 vcc_lo, exec_lo, s11
	s_cbranch_vccz .LBB55_2935
; %bb.2920:
	s_cmp_lt_i32 s2, 27
	s_mov_b32 s7, -1
	s_cbranch_scc1 .LBB55_2926
; %bb.2921:
	s_cmp_gt_i32 s2, 27
	s_cbranch_scc0 .LBB55_2923
; %bb.2922:
	s_mov_b32 s7, 0
	global_store_b32 v[4:5], v6, off
.LBB55_2923:
	s_and_not1_b32 vcc_lo, exec_lo, s7
	s_cbranch_vccnz .LBB55_2925
; %bb.2924:
	global_store_b16 v[4:5], v6, off
.LBB55_2925:
	s_mov_b32 s7, 0
.LBB55_2926:
	s_delay_alu instid0(SALU_CYCLE_1)
	s_and_not1_b32 vcc_lo, exec_lo, s7
	s_cbranch_vccnz .LBB55_2934
; %bb.2927:
	s_wait_xcnt 0x0
	v_cvt_f32_i32_e32 v1, v6
	v_mov_b32_e32 v7, 0x80
	s_mov_b32 s7, exec_lo
	s_delay_alu instid0(VALU_DEP_2) | instskip(NEXT) | instid1(VALU_DEP_1)
	v_and_b32_e32 v3, 0x7fffffff, v1
	v_cmpx_gt_u32_e32 0x43800000, v3
	s_cbranch_execz .LBB55_2933
; %bb.2928:
	v_cmp_lt_u32_e32 vcc_lo, 0x3bffffff, v3
	s_mov_b32 s11, 0
                                        ; implicit-def: $vgpr3
	s_and_saveexec_b32 s12, vcc_lo
	s_delay_alu instid0(SALU_CYCLE_1)
	s_xor_b32 s12, exec_lo, s12
	s_cbranch_execz .LBB55_3268
; %bb.2929:
	v_bfe_u32 v3, v1, 20, 1
	s_mov_b32 s11, exec_lo
	s_delay_alu instid0(VALU_DEP_1) | instskip(NEXT) | instid1(VALU_DEP_1)
	v_add3_u32 v3, v1, v3, 0x487ffff
	v_lshrrev_b32_e32 v3, 20, v3
	s_and_not1_saveexec_b32 s12, s12
	s_cbranch_execnz .LBB55_3269
.LBB55_2930:
	s_or_b32 exec_lo, exec_lo, s12
	v_mov_b32_e32 v7, 0
	s_and_saveexec_b32 s12, s11
.LBB55_2931:
	v_lshrrev_b32_e32 v1, 24, v1
	s_delay_alu instid0(VALU_DEP_1)
	v_and_or_b32 v7, 0x80, v1, v3
.LBB55_2932:
	s_or_b32 exec_lo, exec_lo, s12
.LBB55_2933:
	s_delay_alu instid0(SALU_CYCLE_1)
	s_or_b32 exec_lo, exec_lo, s7
	global_store_b8 v[4:5], v7, off
.LBB55_2934:
	s_mov_b32 s7, -1
.LBB55_2935:
	s_mov_b32 s11, 0
.LBB55_2936:
	s_delay_alu instid0(SALU_CYCLE_1)
	s_and_b32 vcc_lo, exec_lo, s11
	s_cbranch_vccz .LBB55_2976
; %bb.2937:
	s_cmp_gt_i32 s2, 22
	s_mov_b32 s3, -1
	s_cbranch_scc0 .LBB55_2969
; %bb.2938:
	s_cmp_lt_i32 s2, 24
	s_cbranch_scc1 .LBB55_2958
; %bb.2939:
	s_cmp_gt_i32 s2, 24
	s_cbranch_scc0 .LBB55_2947
; %bb.2940:
	s_wait_xcnt 0x0
	v_cvt_f32_i32_e32 v1, v6
	v_mov_b32_e32 v7, 0x80
	s_mov_b32 s3, exec_lo
	s_delay_alu instid0(VALU_DEP_2) | instskip(NEXT) | instid1(VALU_DEP_1)
	v_and_b32_e32 v3, 0x7fffffff, v1
	v_cmpx_gt_u32_e32 0x47800000, v3
	s_cbranch_execz .LBB55_2946
; %bb.2941:
	v_cmp_lt_u32_e32 vcc_lo, 0x37ffffff, v3
	s_mov_b32 s7, 0
                                        ; implicit-def: $vgpr3
	s_and_saveexec_b32 s11, vcc_lo
	s_delay_alu instid0(SALU_CYCLE_1)
	s_xor_b32 s11, exec_lo, s11
	s_cbranch_execz .LBB55_3271
; %bb.2942:
	v_bfe_u32 v3, v1, 21, 1
	s_mov_b32 s7, exec_lo
	s_delay_alu instid0(VALU_DEP_1) | instskip(NEXT) | instid1(VALU_DEP_1)
	v_add3_u32 v3, v1, v3, 0x88fffff
	v_lshrrev_b32_e32 v3, 21, v3
	s_and_not1_saveexec_b32 s11, s11
	s_cbranch_execnz .LBB55_3272
.LBB55_2943:
	s_or_b32 exec_lo, exec_lo, s11
	v_mov_b32_e32 v7, 0
	s_and_saveexec_b32 s11, s7
.LBB55_2944:
	v_lshrrev_b32_e32 v1, 24, v1
	s_delay_alu instid0(VALU_DEP_1)
	v_and_or_b32 v7, 0x80, v1, v3
.LBB55_2945:
	s_or_b32 exec_lo, exec_lo, s11
.LBB55_2946:
	s_delay_alu instid0(SALU_CYCLE_1)
	s_or_b32 exec_lo, exec_lo, s3
	s_mov_b32 s3, 0
	global_store_b8 v[4:5], v7, off
.LBB55_2947:
	s_and_b32 vcc_lo, exec_lo, s3
	s_cbranch_vccz .LBB55_2957
; %bb.2948:
	s_wait_xcnt 0x0
	v_cvt_f32_i32_e32 v1, v6
	s_mov_b32 s3, exec_lo
                                        ; implicit-def: $vgpr3
	s_delay_alu instid0(VALU_DEP_1) | instskip(NEXT) | instid1(VALU_DEP_1)
	v_and_b32_e32 v7, 0x7fffffff, v1
	v_cmpx_gt_u32_e32 0x43f00000, v7
	s_xor_b32 s3, exec_lo, s3
	s_cbranch_execz .LBB55_2954
; %bb.2949:
	s_mov_b32 s7, exec_lo
                                        ; implicit-def: $vgpr3
	v_cmpx_lt_u32_e32 0x3c7fffff, v7
	s_xor_b32 s7, exec_lo, s7
; %bb.2950:
	v_bfe_u32 v3, v1, 20, 1
	s_delay_alu instid0(VALU_DEP_1) | instskip(NEXT) | instid1(VALU_DEP_1)
	v_add3_u32 v3, v1, v3, 0x407ffff
	v_and_b32_e32 v7, 0xff00000, v3
	v_lshrrev_b32_e32 v3, 20, v3
	s_delay_alu instid0(VALU_DEP_2) | instskip(NEXT) | instid1(VALU_DEP_2)
	v_cmp_ne_u32_e32 vcc_lo, 0x7f00000, v7
	v_cndmask_b32_e32 v3, 0x7e, v3, vcc_lo
; %bb.2951:
	s_and_not1_saveexec_b32 s7, s7
; %bb.2952:
	v_add_f32_e64 v3, 0x46800000, |v1|
; %bb.2953:
	s_or_b32 exec_lo, exec_lo, s7
                                        ; implicit-def: $vgpr7
.LBB55_2954:
	s_and_not1_saveexec_b32 s3, s3
; %bb.2955:
	v_mov_b32_e32 v3, 0x7f
	v_cmp_lt_u32_e32 vcc_lo, 0x7f800000, v7
	s_delay_alu instid0(VALU_DEP_2)
	v_cndmask_b32_e32 v3, 0x7e, v3, vcc_lo
; %bb.2956:
	s_or_b32 exec_lo, exec_lo, s3
	v_lshrrev_b32_e32 v1, 24, v1
	s_delay_alu instid0(VALU_DEP_1)
	v_and_or_b32 v1, 0x80, v1, v3
	global_store_b8 v[4:5], v1, off
.LBB55_2957:
	s_mov_b32 s3, 0
.LBB55_2958:
	s_delay_alu instid0(SALU_CYCLE_1)
	s_and_not1_b32 vcc_lo, exec_lo, s3
	s_cbranch_vccnz .LBB55_2968
; %bb.2959:
	s_wait_xcnt 0x0
	v_cvt_f32_i32_e32 v1, v6
	s_mov_b32 s3, exec_lo
                                        ; implicit-def: $vgpr3
	s_delay_alu instid0(VALU_DEP_1) | instskip(NEXT) | instid1(VALU_DEP_1)
	v_and_b32_e32 v7, 0x7fffffff, v1
	v_cmpx_gt_u32_e32 0x47800000, v7
	s_xor_b32 s3, exec_lo, s3
	s_cbranch_execz .LBB55_2965
; %bb.2960:
	s_mov_b32 s7, exec_lo
                                        ; implicit-def: $vgpr3
	v_cmpx_lt_u32_e32 0x387fffff, v7
	s_xor_b32 s7, exec_lo, s7
; %bb.2961:
	v_bfe_u32 v3, v1, 21, 1
	s_delay_alu instid0(VALU_DEP_1) | instskip(NEXT) | instid1(VALU_DEP_1)
	v_add3_u32 v3, v1, v3, 0x80fffff
	v_lshrrev_b32_e32 v3, 21, v3
; %bb.2962:
	s_and_not1_saveexec_b32 s7, s7
; %bb.2963:
	v_add_f32_e64 v3, 0x43000000, |v1|
; %bb.2964:
	s_or_b32 exec_lo, exec_lo, s7
                                        ; implicit-def: $vgpr7
.LBB55_2965:
	s_and_not1_saveexec_b32 s3, s3
; %bb.2966:
	v_mov_b32_e32 v3, 0x7f
	v_cmp_lt_u32_e32 vcc_lo, 0x7f800000, v7
	s_delay_alu instid0(VALU_DEP_2)
	v_cndmask_b32_e32 v3, 0x7c, v3, vcc_lo
; %bb.2967:
	s_or_b32 exec_lo, exec_lo, s3
	v_lshrrev_b32_e32 v1, 24, v1
	s_delay_alu instid0(VALU_DEP_1)
	v_and_or_b32 v1, 0x80, v1, v3
	global_store_b8 v[4:5], v1, off
.LBB55_2968:
	s_mov_b32 s3, 0
	s_mov_b32 s7, -1
.LBB55_2969:
	s_and_not1_b32 vcc_lo, exec_lo, s3
	s_mov_b32 s3, 0
	s_cbranch_vccnz .LBB55_2976
; %bb.2970:
	s_cmp_gt_i32 s2, 14
	s_mov_b32 s3, -1
	s_cbranch_scc0 .LBB55_2974
; %bb.2971:
	s_cmp_eq_u32 s2, 15
	s_mov_b32 s0, -1
	s_cbranch_scc0 .LBB55_2973
; %bb.2972:
	s_wait_xcnt 0x0
	v_cvt_f32_i32_e32 v1, v6
	s_mov_b32 s0, 0
	s_mov_b32 s7, -1
	s_delay_alu instid0(VALU_DEP_1) | instskip(NEXT) | instid1(VALU_DEP_1)
	v_bfe_u32 v3, v1, 16, 1
	v_add3_u32 v1, v1, v3, 0x7fff
	global_store_d16_hi_b16 v[4:5], v1, off
.LBB55_2973:
	s_mov_b32 s3, 0
.LBB55_2974:
	s_delay_alu instid0(SALU_CYCLE_1)
	s_and_b32 vcc_lo, exec_lo, s3
	s_mov_b32 s3, 0
	s_cbranch_vccz .LBB55_2976
; %bb.2975:
	s_cmp_lg_u32 s2, 11
	s_mov_b32 s3, -1
	s_cselect_b32 s0, -1, 0
.LBB55_2976:
	s_delay_alu instid0(SALU_CYCLE_1)
	s_and_b32 vcc_lo, exec_lo, s0
	s_cbranch_vccnz .LBB55_3270
; %bb.2977:
	s_and_not1_b32 vcc_lo, exec_lo, s3
	s_cbranch_vccnz .LBB55_2979
.LBB55_2978:
	v_cmp_ne_u32_e32 vcc_lo, 0, v6
	s_mov_b32 s7, -1
	s_wait_xcnt 0x0
	v_cndmask_b32_e64 v1, 0, 1, vcc_lo
	global_store_b8 v[4:5], v1, off
.LBB55_2979:
	s_mov_b32 s0, 0
	s_branch .LBB55_2981
.LBB55_2980:
	s_mov_b32 s0, -1
	s_mov_b32 s7, 0
.LBB55_2981:
	s_and_b32 vcc_lo, exec_lo, s0
	s_cbranch_vccz .LBB55_3020
; %bb.2982:
	s_cmp_lt_i32 s2, 5
	s_mov_b32 s0, -1
	s_cbranch_scc1 .LBB55_3003
; %bb.2983:
	s_cmp_lt_i32 s2, 8
	s_cbranch_scc1 .LBB55_2993
; %bb.2984:
	s_cmp_lt_i32 s2, 9
	s_cbranch_scc1 .LBB55_2990
; %bb.2985:
	s_cmp_gt_i32 s2, 9
	s_cbranch_scc0 .LBB55_2987
; %bb.2986:
	v_cvt_f64_i32_e32 v[18:19], v6
	v_mov_b32_e32 v20, 0
	s_mov_b32 s0, 0
	s_delay_alu instid0(VALU_DEP_1)
	v_mov_b32_e32 v21, v20
	global_store_b128 v[4:5], v[18:21], off
.LBB55_2987:
	s_and_not1_b32 vcc_lo, exec_lo, s0
	s_cbranch_vccnz .LBB55_2989
; %bb.2988:
	v_cvt_f32_i32_e32 v8, v6
	v_mov_b32_e32 v9, 0
	global_store_b64 v[4:5], v[8:9], off
.LBB55_2989:
	s_mov_b32 s0, 0
.LBB55_2990:
	s_delay_alu instid0(SALU_CYCLE_1)
	s_and_not1_b32 vcc_lo, exec_lo, s0
	s_cbranch_vccnz .LBB55_2992
; %bb.2991:
	s_wait_xcnt 0x0
	v_cvt_f32_i32_e32 v1, v6
	s_delay_alu instid0(VALU_DEP_1) | instskip(NEXT) | instid1(VALU_DEP_1)
	v_cvt_f16_f32_e32 v1, v1
	v_and_b32_e32 v1, 0xffff, v1
	global_store_b32 v[4:5], v1, off
.LBB55_2992:
	s_mov_b32 s0, 0
.LBB55_2993:
	s_delay_alu instid0(SALU_CYCLE_1)
	s_and_not1_b32 vcc_lo, exec_lo, s0
	s_cbranch_vccnz .LBB55_3002
; %bb.2994:
	s_cmp_lt_i32 s2, 6
	s_mov_b32 s0, -1
	s_cbranch_scc1 .LBB55_3000
; %bb.2995:
	s_cmp_gt_i32 s2, 6
	s_cbranch_scc0 .LBB55_2997
; %bb.2996:
	s_wait_xcnt 0x0
	v_cvt_f64_i32_e32 v[8:9], v6
	s_mov_b32 s0, 0
	global_store_b64 v[4:5], v[8:9], off
.LBB55_2997:
	s_and_not1_b32 vcc_lo, exec_lo, s0
	s_cbranch_vccnz .LBB55_2999
; %bb.2998:
	s_wait_xcnt 0x0
	v_cvt_f32_i32_e32 v1, v6
	global_store_b32 v[4:5], v1, off
.LBB55_2999:
	s_mov_b32 s0, 0
.LBB55_3000:
	s_delay_alu instid0(SALU_CYCLE_1)
	s_and_not1_b32 vcc_lo, exec_lo, s0
	s_cbranch_vccnz .LBB55_3002
; %bb.3001:
	s_wait_xcnt 0x0
	v_cvt_f32_i32_e32 v1, v6
	s_delay_alu instid0(VALU_DEP_1)
	v_cvt_f16_f32_e32 v1, v1
	global_store_b16 v[4:5], v1, off
.LBB55_3002:
	s_mov_b32 s0, 0
.LBB55_3003:
	s_delay_alu instid0(SALU_CYCLE_1)
	s_and_not1_b32 vcc_lo, exec_lo, s0
	s_cbranch_vccnz .LBB55_3019
; %bb.3004:
	s_cmp_lt_i32 s2, 2
	s_mov_b32 s0, -1
	s_cbranch_scc1 .LBB55_3014
; %bb.3005:
	s_cmp_lt_i32 s2, 3
	s_cbranch_scc1 .LBB55_3011
; %bb.3006:
	s_cmp_gt_i32 s2, 3
	s_cbranch_scc0 .LBB55_3008
; %bb.3007:
	s_wait_xcnt 0x0
	v_ashrrev_i32_e32 v7, 31, v6
	s_mov_b32 s0, 0
	global_store_b64 v[4:5], v[6:7], off
.LBB55_3008:
	s_and_not1_b32 vcc_lo, exec_lo, s0
	s_cbranch_vccnz .LBB55_3010
; %bb.3009:
	global_store_b32 v[4:5], v6, off
.LBB55_3010:
	s_mov_b32 s0, 0
.LBB55_3011:
	s_delay_alu instid0(SALU_CYCLE_1)
	s_and_not1_b32 vcc_lo, exec_lo, s0
	s_cbranch_vccnz .LBB55_3013
; %bb.3012:
	global_store_b16 v[4:5], v6, off
.LBB55_3013:
	s_mov_b32 s0, 0
.LBB55_3014:
	s_delay_alu instid0(SALU_CYCLE_1)
	s_and_not1_b32 vcc_lo, exec_lo, s0
	s_cbranch_vccnz .LBB55_3019
; %bb.3015:
	s_cmp_gt_i32 s2, 0
	s_mov_b32 s0, -1
	s_cbranch_scc0 .LBB55_3017
; %bb.3016:
	s_mov_b32 s0, 0
	global_store_b8 v[4:5], v6, off
.LBB55_3017:
	s_and_not1_b32 vcc_lo, exec_lo, s0
	s_cbranch_vccnz .LBB55_3019
; %bb.3018:
	global_store_b8 v[4:5], v6, off
.LBB55_3019:
	s_mov_b32 s7, -1
.LBB55_3020:
	s_delay_alu instid0(SALU_CYCLE_1)
	s_and_not1_b32 vcc_lo, exec_lo, s7
	s_cbranch_vccnz .LBB55_3216
; %bb.3021:
	s_wait_xcnt 0x0
	v_mul_lo_u32 v1, v16, s6
	v_mov_b32_e32 v3, 0
	s_cmp_lt_i32 s2, 11
	s_delay_alu instid0(VALU_DEP_1) | instskip(NEXT) | instid1(VALU_DEP_3)
	v_add_nc_u64_e32 v[2:3], s[4:5], v[2:3]
	v_mul_lo_u32 v4, v1, v14
	s_cbranch_scc1 .LBB55_3099
; %bb.3022:
	s_mov_b32 s11, -1
	s_mov_b32 s3, 0
	s_cmp_gt_i32 s2, 25
	s_mov_b32 s7, 0
	s_mov_b32 s0, 0
	s_cbranch_scc0 .LBB55_3055
; %bb.3023:
	s_cmp_gt_i32 s2, 28
	s_cbranch_scc0 .LBB55_3038
; %bb.3024:
	s_cmp_gt_i32 s2, 43
	;; [unrolled: 3-line block ×3, first 2 shown]
	s_cbranch_scc0 .LBB55_3028
; %bb.3026:
	s_mov_b32 s0, -1
	s_mov_b32 s11, 0
	s_cmp_eq_u32 s2, 46
	s_cbranch_scc0 .LBB55_3028
; %bb.3027:
	v_cvt_f32_i32_e32 v1, v4
	s_mov_b32 s0, 0
	s_mov_b32 s7, -1
	s_delay_alu instid0(VALU_DEP_1) | instskip(NEXT) | instid1(VALU_DEP_1)
	v_bfe_u32 v5, v1, 16, 1
	v_add3_u32 v1, v1, v5, 0x7fff
	s_delay_alu instid0(VALU_DEP_1)
	v_lshrrev_b32_e32 v1, 16, v1
	global_store_b32 v[2:3], v1, off
.LBB55_3028:
	s_and_b32 vcc_lo, exec_lo, s11
	s_cbranch_vccz .LBB55_3033
; %bb.3029:
	s_cmp_eq_u32 s2, 44
	s_mov_b32 s0, -1
	s_cbranch_scc0 .LBB55_3033
; %bb.3030:
	s_wait_xcnt 0x0
	v_cvt_f32_i32_e32 v1, v4
	v_mov_b32_e32 v5, 0xff
	s_mov_b32 s7, exec_lo
	s_delay_alu instid0(VALU_DEP_2) | instskip(NEXT) | instid1(VALU_DEP_1)
	v_bfe_u32 v6, v1, 23, 8
	v_cmpx_ne_u32_e32 0xff, v6
	s_cbranch_execz .LBB55_3032
; %bb.3031:
	v_and_b32_e32 v5, 0x400000, v1
	v_and_or_b32 v6, 0x3fffff, v1, v6
	v_lshrrev_b32_e32 v1, 23, v1
	s_delay_alu instid0(VALU_DEP_3) | instskip(NEXT) | instid1(VALU_DEP_3)
	v_cmp_ne_u32_e32 vcc_lo, 0, v5
	v_cmp_ne_u32_e64 s0, 0, v6
	s_and_b32 s0, vcc_lo, s0
	s_delay_alu instid0(SALU_CYCLE_1) | instskip(NEXT) | instid1(VALU_DEP_1)
	v_cndmask_b32_e64 v5, 0, 1, s0
	v_add_nc_u32_e32 v5, v1, v5
.LBB55_3032:
	s_or_b32 exec_lo, exec_lo, s7
	s_mov_b32 s0, 0
	s_mov_b32 s7, -1
	global_store_b8 v[2:3], v5, off
.LBB55_3033:
	s_mov_b32 s11, 0
.LBB55_3034:
	s_delay_alu instid0(SALU_CYCLE_1)
	s_and_b32 vcc_lo, exec_lo, s11
	s_cbranch_vccz .LBB55_3037
; %bb.3035:
	s_cmp_eq_u32 s2, 29
	s_mov_b32 s0, -1
	s_cbranch_scc0 .LBB55_3037
; %bb.3036:
	s_wait_xcnt 0x0
	v_ashrrev_i32_e32 v5, 31, v4
	s_mov_b32 s0, 0
	s_mov_b32 s7, -1
	global_store_b64 v[2:3], v[4:5], off
.LBB55_3037:
	s_mov_b32 s11, 0
.LBB55_3038:
	s_delay_alu instid0(SALU_CYCLE_1)
	s_and_b32 vcc_lo, exec_lo, s11
	s_cbranch_vccz .LBB55_3054
; %bb.3039:
	s_cmp_lt_i32 s2, 27
	s_mov_b32 s7, -1
	s_cbranch_scc1 .LBB55_3045
; %bb.3040:
	s_cmp_gt_i32 s2, 27
	s_cbranch_scc0 .LBB55_3042
; %bb.3041:
	s_mov_b32 s7, 0
	global_store_b32 v[2:3], v4, off
.LBB55_3042:
	s_and_not1_b32 vcc_lo, exec_lo, s7
	s_cbranch_vccnz .LBB55_3044
; %bb.3043:
	global_store_b16 v[2:3], v4, off
.LBB55_3044:
	s_mov_b32 s7, 0
.LBB55_3045:
	s_delay_alu instid0(SALU_CYCLE_1)
	s_and_not1_b32 vcc_lo, exec_lo, s7
	s_cbranch_vccnz .LBB55_3053
; %bb.3046:
	s_wait_xcnt 0x0
	v_cvt_f32_i32_e32 v1, v4
	v_mov_b32_e32 v6, 0x80
	s_mov_b32 s7, exec_lo
	s_delay_alu instid0(VALU_DEP_2) | instskip(NEXT) | instid1(VALU_DEP_1)
	v_and_b32_e32 v5, 0x7fffffff, v1
	v_cmpx_gt_u32_e32 0x43800000, v5
	s_cbranch_execz .LBB55_3052
; %bb.3047:
	v_cmp_lt_u32_e32 vcc_lo, 0x3bffffff, v5
	s_mov_b32 s11, 0
                                        ; implicit-def: $vgpr5
	s_and_saveexec_b32 s12, vcc_lo
	s_delay_alu instid0(SALU_CYCLE_1)
	s_xor_b32 s12, exec_lo, s12
	s_cbranch_execz .LBB55_3273
; %bb.3048:
	v_bfe_u32 v5, v1, 20, 1
	s_mov_b32 s11, exec_lo
	s_delay_alu instid0(VALU_DEP_1) | instskip(NEXT) | instid1(VALU_DEP_1)
	v_add3_u32 v5, v1, v5, 0x487ffff
	v_lshrrev_b32_e32 v5, 20, v5
	s_and_not1_saveexec_b32 s12, s12
	s_cbranch_execnz .LBB55_3274
.LBB55_3049:
	s_or_b32 exec_lo, exec_lo, s12
	v_mov_b32_e32 v6, 0
	s_and_saveexec_b32 s12, s11
.LBB55_3050:
	v_lshrrev_b32_e32 v1, 24, v1
	s_delay_alu instid0(VALU_DEP_1)
	v_and_or_b32 v6, 0x80, v1, v5
.LBB55_3051:
	s_or_b32 exec_lo, exec_lo, s12
.LBB55_3052:
	s_delay_alu instid0(SALU_CYCLE_1)
	s_or_b32 exec_lo, exec_lo, s7
	global_store_b8 v[2:3], v6, off
.LBB55_3053:
	s_mov_b32 s7, -1
.LBB55_3054:
	s_mov_b32 s11, 0
.LBB55_3055:
	s_delay_alu instid0(SALU_CYCLE_1)
	s_and_b32 vcc_lo, exec_lo, s11
	s_cbranch_vccz .LBB55_3095
; %bb.3056:
	s_cmp_gt_i32 s2, 22
	s_mov_b32 s3, -1
	s_cbranch_scc0 .LBB55_3088
; %bb.3057:
	s_cmp_lt_i32 s2, 24
	s_cbranch_scc1 .LBB55_3077
; %bb.3058:
	s_cmp_gt_i32 s2, 24
	s_cbranch_scc0 .LBB55_3066
; %bb.3059:
	s_wait_xcnt 0x0
	v_cvt_f32_i32_e32 v1, v4
	v_mov_b32_e32 v6, 0x80
	s_mov_b32 s3, exec_lo
	s_delay_alu instid0(VALU_DEP_2) | instskip(NEXT) | instid1(VALU_DEP_1)
	v_and_b32_e32 v5, 0x7fffffff, v1
	v_cmpx_gt_u32_e32 0x47800000, v5
	s_cbranch_execz .LBB55_3065
; %bb.3060:
	v_cmp_lt_u32_e32 vcc_lo, 0x37ffffff, v5
	s_mov_b32 s7, 0
                                        ; implicit-def: $vgpr5
	s_and_saveexec_b32 s11, vcc_lo
	s_delay_alu instid0(SALU_CYCLE_1)
	s_xor_b32 s11, exec_lo, s11
	s_cbranch_execz .LBB55_3276
; %bb.3061:
	v_bfe_u32 v5, v1, 21, 1
	s_mov_b32 s7, exec_lo
	s_delay_alu instid0(VALU_DEP_1) | instskip(NEXT) | instid1(VALU_DEP_1)
	v_add3_u32 v5, v1, v5, 0x88fffff
	v_lshrrev_b32_e32 v5, 21, v5
	s_and_not1_saveexec_b32 s11, s11
	s_cbranch_execnz .LBB55_3277
.LBB55_3062:
	s_or_b32 exec_lo, exec_lo, s11
	v_mov_b32_e32 v6, 0
	s_and_saveexec_b32 s11, s7
.LBB55_3063:
	v_lshrrev_b32_e32 v1, 24, v1
	s_delay_alu instid0(VALU_DEP_1)
	v_and_or_b32 v6, 0x80, v1, v5
.LBB55_3064:
	s_or_b32 exec_lo, exec_lo, s11
.LBB55_3065:
	s_delay_alu instid0(SALU_CYCLE_1)
	s_or_b32 exec_lo, exec_lo, s3
	s_mov_b32 s3, 0
	global_store_b8 v[2:3], v6, off
.LBB55_3066:
	s_and_b32 vcc_lo, exec_lo, s3
	s_cbranch_vccz .LBB55_3076
; %bb.3067:
	s_wait_xcnt 0x0
	v_cvt_f32_i32_e32 v1, v4
	s_mov_b32 s3, exec_lo
                                        ; implicit-def: $vgpr5
	s_delay_alu instid0(VALU_DEP_1) | instskip(NEXT) | instid1(VALU_DEP_1)
	v_and_b32_e32 v6, 0x7fffffff, v1
	v_cmpx_gt_u32_e32 0x43f00000, v6
	s_xor_b32 s3, exec_lo, s3
	s_cbranch_execz .LBB55_3073
; %bb.3068:
	s_mov_b32 s7, exec_lo
                                        ; implicit-def: $vgpr5
	v_cmpx_lt_u32_e32 0x3c7fffff, v6
	s_xor_b32 s7, exec_lo, s7
; %bb.3069:
	v_bfe_u32 v5, v1, 20, 1
	s_delay_alu instid0(VALU_DEP_1) | instskip(NEXT) | instid1(VALU_DEP_1)
	v_add3_u32 v5, v1, v5, 0x407ffff
	v_and_b32_e32 v6, 0xff00000, v5
	v_lshrrev_b32_e32 v5, 20, v5
	s_delay_alu instid0(VALU_DEP_2) | instskip(NEXT) | instid1(VALU_DEP_2)
	v_cmp_ne_u32_e32 vcc_lo, 0x7f00000, v6
	v_cndmask_b32_e32 v5, 0x7e, v5, vcc_lo
; %bb.3070:
	s_and_not1_saveexec_b32 s7, s7
; %bb.3071:
	v_add_f32_e64 v5, 0x46800000, |v1|
; %bb.3072:
	s_or_b32 exec_lo, exec_lo, s7
                                        ; implicit-def: $vgpr6
.LBB55_3073:
	s_and_not1_saveexec_b32 s3, s3
; %bb.3074:
	v_mov_b32_e32 v5, 0x7f
	v_cmp_lt_u32_e32 vcc_lo, 0x7f800000, v6
	s_delay_alu instid0(VALU_DEP_2)
	v_cndmask_b32_e32 v5, 0x7e, v5, vcc_lo
; %bb.3075:
	s_or_b32 exec_lo, exec_lo, s3
	v_lshrrev_b32_e32 v1, 24, v1
	s_delay_alu instid0(VALU_DEP_1)
	v_and_or_b32 v1, 0x80, v1, v5
	global_store_b8 v[2:3], v1, off
.LBB55_3076:
	s_mov_b32 s3, 0
.LBB55_3077:
	s_delay_alu instid0(SALU_CYCLE_1)
	s_and_not1_b32 vcc_lo, exec_lo, s3
	s_cbranch_vccnz .LBB55_3087
; %bb.3078:
	s_wait_xcnt 0x0
	v_cvt_f32_i32_e32 v1, v4
	s_mov_b32 s3, exec_lo
                                        ; implicit-def: $vgpr5
	s_delay_alu instid0(VALU_DEP_1) | instskip(NEXT) | instid1(VALU_DEP_1)
	v_and_b32_e32 v6, 0x7fffffff, v1
	v_cmpx_gt_u32_e32 0x47800000, v6
	s_xor_b32 s3, exec_lo, s3
	s_cbranch_execz .LBB55_3084
; %bb.3079:
	s_mov_b32 s7, exec_lo
                                        ; implicit-def: $vgpr5
	v_cmpx_lt_u32_e32 0x387fffff, v6
	s_xor_b32 s7, exec_lo, s7
; %bb.3080:
	v_bfe_u32 v5, v1, 21, 1
	s_delay_alu instid0(VALU_DEP_1) | instskip(NEXT) | instid1(VALU_DEP_1)
	v_add3_u32 v5, v1, v5, 0x80fffff
	v_lshrrev_b32_e32 v5, 21, v5
; %bb.3081:
	s_and_not1_saveexec_b32 s7, s7
; %bb.3082:
	v_add_f32_e64 v5, 0x43000000, |v1|
; %bb.3083:
	s_or_b32 exec_lo, exec_lo, s7
                                        ; implicit-def: $vgpr6
.LBB55_3084:
	s_and_not1_saveexec_b32 s3, s3
; %bb.3085:
	v_mov_b32_e32 v5, 0x7f
	v_cmp_lt_u32_e32 vcc_lo, 0x7f800000, v6
	s_delay_alu instid0(VALU_DEP_2)
	v_cndmask_b32_e32 v5, 0x7c, v5, vcc_lo
; %bb.3086:
	s_or_b32 exec_lo, exec_lo, s3
	v_lshrrev_b32_e32 v1, 24, v1
	s_delay_alu instid0(VALU_DEP_1)
	v_and_or_b32 v1, 0x80, v1, v5
	global_store_b8 v[2:3], v1, off
.LBB55_3087:
	s_mov_b32 s3, 0
	s_mov_b32 s7, -1
.LBB55_3088:
	s_and_not1_b32 vcc_lo, exec_lo, s3
	s_mov_b32 s3, 0
	s_cbranch_vccnz .LBB55_3095
; %bb.3089:
	s_cmp_gt_i32 s2, 14
	s_mov_b32 s3, -1
	s_cbranch_scc0 .LBB55_3093
; %bb.3090:
	s_cmp_eq_u32 s2, 15
	s_mov_b32 s0, -1
	s_cbranch_scc0 .LBB55_3092
; %bb.3091:
	s_wait_xcnt 0x0
	v_cvt_f32_i32_e32 v1, v4
	s_mov_b32 s0, 0
	s_mov_b32 s7, -1
	s_delay_alu instid0(VALU_DEP_1) | instskip(NEXT) | instid1(VALU_DEP_1)
	v_bfe_u32 v5, v1, 16, 1
	v_add3_u32 v1, v1, v5, 0x7fff
	global_store_d16_hi_b16 v[2:3], v1, off
.LBB55_3092:
	s_mov_b32 s3, 0
.LBB55_3093:
	s_delay_alu instid0(SALU_CYCLE_1)
	s_and_b32 vcc_lo, exec_lo, s3
	s_mov_b32 s3, 0
	s_cbranch_vccz .LBB55_3095
; %bb.3094:
	s_cmp_lg_u32 s2, 11
	s_mov_b32 s3, -1
	s_cselect_b32 s0, -1, 0
.LBB55_3095:
	s_delay_alu instid0(SALU_CYCLE_1)
	s_and_b32 vcc_lo, exec_lo, s0
	s_cbranch_vccnz .LBB55_3275
; %bb.3096:
	s_and_not1_b32 vcc_lo, exec_lo, s3
	s_cbranch_vccnz .LBB55_3098
.LBB55_3097:
	v_cmp_ne_u32_e32 vcc_lo, 0, v4
	s_mov_b32 s7, -1
	s_wait_xcnt 0x0
	v_cndmask_b32_e64 v1, 0, 1, vcc_lo
	global_store_b8 v[2:3], v1, off
.LBB55_3098:
	s_mov_b32 s0, 0
	s_branch .LBB55_3100
.LBB55_3099:
	s_mov_b32 s0, -1
	s_mov_b32 s7, 0
.LBB55_3100:
	s_and_b32 vcc_lo, exec_lo, s0
	s_cbranch_vccz .LBB55_3139
; %bb.3101:
	s_cmp_lt_i32 s2, 5
	s_mov_b32 s0, -1
	s_cbranch_scc1 .LBB55_3122
; %bb.3102:
	s_cmp_lt_i32 s2, 8
	s_cbranch_scc1 .LBB55_3112
; %bb.3103:
	s_cmp_lt_i32 s2, 9
	s_cbranch_scc1 .LBB55_3109
; %bb.3104:
	s_cmp_gt_i32 s2, 9
	s_cbranch_scc0 .LBB55_3106
; %bb.3105:
	s_wait_xcnt 0x0
	v_cvt_f64_i32_e32 v[6:7], v4
	v_mov_b32_e32 v8, 0
	s_mov_b32 s0, 0
	s_delay_alu instid0(VALU_DEP_1)
	v_mov_b32_e32 v9, v8
	global_store_b128 v[2:3], v[6:9], off
.LBB55_3106:
	s_and_not1_b32 vcc_lo, exec_lo, s0
	s_cbranch_vccnz .LBB55_3108
; %bb.3107:
	s_wait_xcnt 0x0
	v_cvt_f32_i32_e32 v6, v4
	v_mov_b32_e32 v7, 0
	global_store_b64 v[2:3], v[6:7], off
.LBB55_3108:
	s_mov_b32 s0, 0
.LBB55_3109:
	s_delay_alu instid0(SALU_CYCLE_1)
	s_and_not1_b32 vcc_lo, exec_lo, s0
	s_cbranch_vccnz .LBB55_3111
; %bb.3110:
	s_wait_xcnt 0x0
	v_cvt_f32_i32_e32 v1, v4
	s_delay_alu instid0(VALU_DEP_1) | instskip(NEXT) | instid1(VALU_DEP_1)
	v_cvt_f16_f32_e32 v1, v1
	v_and_b32_e32 v1, 0xffff, v1
	global_store_b32 v[2:3], v1, off
.LBB55_3111:
	s_mov_b32 s0, 0
.LBB55_3112:
	s_delay_alu instid0(SALU_CYCLE_1)
	s_and_not1_b32 vcc_lo, exec_lo, s0
	s_cbranch_vccnz .LBB55_3121
; %bb.3113:
	s_cmp_lt_i32 s2, 6
	s_mov_b32 s0, -1
	s_cbranch_scc1 .LBB55_3119
; %bb.3114:
	s_cmp_gt_i32 s2, 6
	s_cbranch_scc0 .LBB55_3116
; %bb.3115:
	s_wait_xcnt 0x0
	v_cvt_f64_i32_e32 v[6:7], v4
	s_mov_b32 s0, 0
	global_store_b64 v[2:3], v[6:7], off
.LBB55_3116:
	s_and_not1_b32 vcc_lo, exec_lo, s0
	s_cbranch_vccnz .LBB55_3118
; %bb.3117:
	s_wait_xcnt 0x0
	v_cvt_f32_i32_e32 v1, v4
	global_store_b32 v[2:3], v1, off
.LBB55_3118:
	s_mov_b32 s0, 0
.LBB55_3119:
	s_delay_alu instid0(SALU_CYCLE_1)
	s_and_not1_b32 vcc_lo, exec_lo, s0
	s_cbranch_vccnz .LBB55_3121
; %bb.3120:
	s_wait_xcnt 0x0
	v_cvt_f32_i32_e32 v1, v4
	s_delay_alu instid0(VALU_DEP_1)
	v_cvt_f16_f32_e32 v1, v1
	global_store_b16 v[2:3], v1, off
.LBB55_3121:
	s_mov_b32 s0, 0
.LBB55_3122:
	s_delay_alu instid0(SALU_CYCLE_1)
	s_and_not1_b32 vcc_lo, exec_lo, s0
	s_cbranch_vccnz .LBB55_3138
; %bb.3123:
	s_cmp_lt_i32 s2, 2
	s_mov_b32 s0, -1
	s_cbranch_scc1 .LBB55_3133
; %bb.3124:
	s_cmp_lt_i32 s2, 3
	s_cbranch_scc1 .LBB55_3130
; %bb.3125:
	s_cmp_gt_i32 s2, 3
	s_cbranch_scc0 .LBB55_3127
; %bb.3126:
	s_wait_xcnt 0x0
	v_ashrrev_i32_e32 v5, 31, v4
	s_mov_b32 s0, 0
	global_store_b64 v[2:3], v[4:5], off
.LBB55_3127:
	s_and_not1_b32 vcc_lo, exec_lo, s0
	s_cbranch_vccnz .LBB55_3129
; %bb.3128:
	global_store_b32 v[2:3], v4, off
.LBB55_3129:
	s_mov_b32 s0, 0
.LBB55_3130:
	s_delay_alu instid0(SALU_CYCLE_1)
	s_and_not1_b32 vcc_lo, exec_lo, s0
	s_cbranch_vccnz .LBB55_3132
; %bb.3131:
	global_store_b16 v[2:3], v4, off
.LBB55_3132:
	s_mov_b32 s0, 0
.LBB55_3133:
	s_delay_alu instid0(SALU_CYCLE_1)
	s_and_not1_b32 vcc_lo, exec_lo, s0
	s_cbranch_vccnz .LBB55_3138
; %bb.3134:
	s_cmp_gt_i32 s2, 0
	s_mov_b32 s0, -1
	s_cbranch_scc0 .LBB55_3136
; %bb.3135:
	s_mov_b32 s0, 0
	global_store_b8 v[2:3], v4, off
.LBB55_3136:
	s_and_not1_b32 vcc_lo, exec_lo, s0
	s_cbranch_vccnz .LBB55_3138
; %bb.3137:
	global_store_b8 v[2:3], v4, off
.LBB55_3138:
	s_mov_b32 s7, -1
.LBB55_3139:
	s_delay_alu instid0(SALU_CYCLE_1)
	s_and_not1_b32 vcc_lo, exec_lo, s7
	s_cbranch_vccnz .LBB55_3216
; %bb.3140:
	s_wait_xcnt 0x0
	v_mul_lo_u32 v2, v12, s6
	v_mov_b32_e32 v1, 0
	s_cmp_lt_i32 s2, 11
	s_delay_alu instid0(VALU_DEP_2) | instskip(NEXT) | instid1(VALU_DEP_2)
	v_mul_lo_u32 v4, v2, v10
	v_add_nc_u64_e32 v[2:3], s[4:5], v[0:1]
	s_cbranch_scc1 .LBB55_3261
; %bb.3141:
	s_mov_b32 s4, -1
	s_mov_b32 s3, 0
	s_cmp_gt_i32 s2, 25
	s_mov_b32 s0, 0
	s_cbranch_scc0 .LBB55_3174
; %bb.3142:
	s_cmp_gt_i32 s2, 28
	s_cbranch_scc0 .LBB55_3158
; %bb.3143:
	s_cmp_gt_i32 s2, 43
	;; [unrolled: 3-line block ×3, first 2 shown]
	s_cbranch_scc0 .LBB55_3148
; %bb.3145:
	s_cmp_eq_u32 s2, 46
	s_mov_b32 s0, -1
	s_cbranch_scc0 .LBB55_3147
; %bb.3146:
	v_cvt_f32_i32_e32 v0, v4
	s_mov_b32 s0, 0
	s_delay_alu instid0(VALU_DEP_1) | instskip(NEXT) | instid1(VALU_DEP_1)
	v_bfe_u32 v1, v0, 16, 1
	v_add3_u32 v0, v0, v1, 0x7fff
	s_delay_alu instid0(VALU_DEP_1)
	v_lshrrev_b32_e32 v0, 16, v0
	global_store_b32 v[2:3], v0, off
.LBB55_3147:
	s_mov_b32 s4, 0
.LBB55_3148:
	s_delay_alu instid0(SALU_CYCLE_1)
	s_and_b32 vcc_lo, exec_lo, s4
	s_cbranch_vccz .LBB55_3153
; %bb.3149:
	s_cmp_eq_u32 s2, 44
	s_mov_b32 s0, -1
	s_cbranch_scc0 .LBB55_3153
; %bb.3150:
	s_wait_xcnt 0x0
	v_cvt_f32_i32_e32 v0, v4
	v_mov_b32_e32 v1, 0xff
	s_mov_b32 s4, exec_lo
	s_delay_alu instid0(VALU_DEP_2) | instskip(NEXT) | instid1(VALU_DEP_1)
	v_bfe_u32 v5, v0, 23, 8
	v_cmpx_ne_u32_e32 0xff, v5
	s_cbranch_execz .LBB55_3152
; %bb.3151:
	v_and_b32_e32 v1, 0x400000, v0
	v_and_or_b32 v5, 0x3fffff, v0, v5
	v_lshrrev_b32_e32 v0, 23, v0
	s_delay_alu instid0(VALU_DEP_3) | instskip(NEXT) | instid1(VALU_DEP_3)
	v_cmp_ne_u32_e32 vcc_lo, 0, v1
	v_cmp_ne_u32_e64 s0, 0, v5
	s_and_b32 s0, vcc_lo, s0
	s_delay_alu instid0(SALU_CYCLE_1) | instskip(NEXT) | instid1(VALU_DEP_1)
	v_cndmask_b32_e64 v1, 0, 1, s0
	v_add_nc_u32_e32 v1, v0, v1
.LBB55_3152:
	s_or_b32 exec_lo, exec_lo, s4
	s_mov_b32 s0, 0
	global_store_b8 v[2:3], v1, off
.LBB55_3153:
	s_mov_b32 s4, 0
.LBB55_3154:
	s_delay_alu instid0(SALU_CYCLE_1)
	s_and_b32 vcc_lo, exec_lo, s4
	s_cbranch_vccz .LBB55_3157
; %bb.3155:
	s_cmp_eq_u32 s2, 29
	s_mov_b32 s0, -1
	s_cbranch_scc0 .LBB55_3157
; %bb.3156:
	v_ashrrev_i32_e32 v5, 31, v4
	s_mov_b32 s0, 0
	global_store_b64 v[2:3], v[4:5], off
.LBB55_3157:
	s_mov_b32 s4, 0
.LBB55_3158:
	s_delay_alu instid0(SALU_CYCLE_1)
	s_and_b32 vcc_lo, exec_lo, s4
	s_cbranch_vccz .LBB55_3173
; %bb.3159:
	s_cmp_lt_i32 s2, 27
	s_mov_b32 s4, -1
	s_cbranch_scc1 .LBB55_3165
; %bb.3160:
	s_cmp_gt_i32 s2, 27
	s_cbranch_scc0 .LBB55_3162
; %bb.3161:
	s_mov_b32 s4, 0
	global_store_b32 v[2:3], v4, off
.LBB55_3162:
	s_and_not1_b32 vcc_lo, exec_lo, s4
	s_cbranch_vccnz .LBB55_3164
; %bb.3163:
	global_store_b16 v[2:3], v4, off
.LBB55_3164:
	s_mov_b32 s4, 0
.LBB55_3165:
	s_delay_alu instid0(SALU_CYCLE_1)
	s_and_not1_b32 vcc_lo, exec_lo, s4
	s_cbranch_vccnz .LBB55_3173
; %bb.3166:
	s_wait_xcnt 0x0
	v_cvt_f32_i32_e32 v0, v4
	v_mov_b32_e32 v5, 0x80
	s_mov_b32 s4, exec_lo
	s_delay_alu instid0(VALU_DEP_2) | instskip(NEXT) | instid1(VALU_DEP_1)
	v_and_b32_e32 v1, 0x7fffffff, v0
	v_cmpx_gt_u32_e32 0x43800000, v1
	s_cbranch_execz .LBB55_3172
; %bb.3167:
	v_cmp_lt_u32_e32 vcc_lo, 0x3bffffff, v1
	s_mov_b32 s5, 0
                                        ; implicit-def: $vgpr1
	s_and_saveexec_b32 s6, vcc_lo
	s_delay_alu instid0(SALU_CYCLE_1)
	s_xor_b32 s6, exec_lo, s6
	s_cbranch_execz .LBB55_3278
; %bb.3168:
	v_bfe_u32 v1, v0, 20, 1
	s_mov_b32 s5, exec_lo
	s_delay_alu instid0(VALU_DEP_1) | instskip(NEXT) | instid1(VALU_DEP_1)
	v_add3_u32 v1, v0, v1, 0x487ffff
	v_lshrrev_b32_e32 v1, 20, v1
	s_and_not1_saveexec_b32 s6, s6
	s_cbranch_execnz .LBB55_3279
.LBB55_3169:
	s_or_b32 exec_lo, exec_lo, s6
	v_mov_b32_e32 v5, 0
	s_and_saveexec_b32 s6, s5
.LBB55_3170:
	v_lshrrev_b32_e32 v0, 24, v0
	s_delay_alu instid0(VALU_DEP_1)
	v_and_or_b32 v5, 0x80, v0, v1
.LBB55_3171:
	s_or_b32 exec_lo, exec_lo, s6
.LBB55_3172:
	s_delay_alu instid0(SALU_CYCLE_1)
	s_or_b32 exec_lo, exec_lo, s4
	global_store_b8 v[2:3], v5, off
.LBB55_3173:
	s_mov_b32 s4, 0
.LBB55_3174:
	s_delay_alu instid0(SALU_CYCLE_1)
	s_and_b32 vcc_lo, exec_lo, s4
	s_cbranch_vccz .LBB55_3214
; %bb.3175:
	s_cmp_gt_i32 s2, 22
	s_mov_b32 s3, -1
	s_cbranch_scc0 .LBB55_3207
; %bb.3176:
	s_cmp_lt_i32 s2, 24
	s_cbranch_scc1 .LBB55_3196
; %bb.3177:
	s_cmp_gt_i32 s2, 24
	s_cbranch_scc0 .LBB55_3185
; %bb.3178:
	s_wait_xcnt 0x0
	v_cvt_f32_i32_e32 v0, v4
	v_mov_b32_e32 v5, 0x80
	s_mov_b32 s3, exec_lo
	s_delay_alu instid0(VALU_DEP_2) | instskip(NEXT) | instid1(VALU_DEP_1)
	v_and_b32_e32 v1, 0x7fffffff, v0
	v_cmpx_gt_u32_e32 0x47800000, v1
	s_cbranch_execz .LBB55_3184
; %bb.3179:
	v_cmp_lt_u32_e32 vcc_lo, 0x37ffffff, v1
	s_mov_b32 s4, 0
                                        ; implicit-def: $vgpr1
	s_and_saveexec_b32 s5, vcc_lo
	s_delay_alu instid0(SALU_CYCLE_1)
	s_xor_b32 s5, exec_lo, s5
	s_cbranch_execz .LBB55_3281
; %bb.3180:
	v_bfe_u32 v1, v0, 21, 1
	s_mov_b32 s4, exec_lo
	s_delay_alu instid0(VALU_DEP_1) | instskip(NEXT) | instid1(VALU_DEP_1)
	v_add3_u32 v1, v0, v1, 0x88fffff
	v_lshrrev_b32_e32 v1, 21, v1
	s_and_not1_saveexec_b32 s5, s5
	s_cbranch_execnz .LBB55_3282
.LBB55_3181:
	s_or_b32 exec_lo, exec_lo, s5
	v_mov_b32_e32 v5, 0
	s_and_saveexec_b32 s5, s4
.LBB55_3182:
	v_lshrrev_b32_e32 v0, 24, v0
	s_delay_alu instid0(VALU_DEP_1)
	v_and_or_b32 v5, 0x80, v0, v1
.LBB55_3183:
	s_or_b32 exec_lo, exec_lo, s5
.LBB55_3184:
	s_delay_alu instid0(SALU_CYCLE_1)
	s_or_b32 exec_lo, exec_lo, s3
	s_mov_b32 s3, 0
	global_store_b8 v[2:3], v5, off
.LBB55_3185:
	s_and_b32 vcc_lo, exec_lo, s3
	s_cbranch_vccz .LBB55_3195
; %bb.3186:
	s_wait_xcnt 0x0
	v_cvt_f32_i32_e32 v0, v4
	s_mov_b32 s3, exec_lo
                                        ; implicit-def: $vgpr1
	s_delay_alu instid0(VALU_DEP_1) | instskip(NEXT) | instid1(VALU_DEP_1)
	v_and_b32_e32 v5, 0x7fffffff, v0
	v_cmpx_gt_u32_e32 0x43f00000, v5
	s_xor_b32 s3, exec_lo, s3
	s_cbranch_execz .LBB55_3192
; %bb.3187:
	s_mov_b32 s4, exec_lo
                                        ; implicit-def: $vgpr1
	v_cmpx_lt_u32_e32 0x3c7fffff, v5
	s_xor_b32 s4, exec_lo, s4
; %bb.3188:
	v_bfe_u32 v1, v0, 20, 1
	s_delay_alu instid0(VALU_DEP_1) | instskip(NEXT) | instid1(VALU_DEP_1)
	v_add3_u32 v1, v0, v1, 0x407ffff
	v_and_b32_e32 v5, 0xff00000, v1
	v_lshrrev_b32_e32 v1, 20, v1
	s_delay_alu instid0(VALU_DEP_2) | instskip(NEXT) | instid1(VALU_DEP_2)
	v_cmp_ne_u32_e32 vcc_lo, 0x7f00000, v5
	v_cndmask_b32_e32 v1, 0x7e, v1, vcc_lo
; %bb.3189:
	s_and_not1_saveexec_b32 s4, s4
; %bb.3190:
	v_add_f32_e64 v1, 0x46800000, |v0|
; %bb.3191:
	s_or_b32 exec_lo, exec_lo, s4
                                        ; implicit-def: $vgpr5
.LBB55_3192:
	s_and_not1_saveexec_b32 s3, s3
; %bb.3193:
	v_mov_b32_e32 v1, 0x7f
	v_cmp_lt_u32_e32 vcc_lo, 0x7f800000, v5
	s_delay_alu instid0(VALU_DEP_2)
	v_cndmask_b32_e32 v1, 0x7e, v1, vcc_lo
; %bb.3194:
	s_or_b32 exec_lo, exec_lo, s3
	v_lshrrev_b32_e32 v0, 24, v0
	s_delay_alu instid0(VALU_DEP_1)
	v_and_or_b32 v0, 0x80, v0, v1
	global_store_b8 v[2:3], v0, off
.LBB55_3195:
	s_mov_b32 s3, 0
.LBB55_3196:
	s_delay_alu instid0(SALU_CYCLE_1)
	s_and_not1_b32 vcc_lo, exec_lo, s3
	s_cbranch_vccnz .LBB55_3206
; %bb.3197:
	s_wait_xcnt 0x0
	v_cvt_f32_i32_e32 v0, v4
	s_mov_b32 s3, exec_lo
                                        ; implicit-def: $vgpr1
	s_delay_alu instid0(VALU_DEP_1) | instskip(NEXT) | instid1(VALU_DEP_1)
	v_and_b32_e32 v5, 0x7fffffff, v0
	v_cmpx_gt_u32_e32 0x47800000, v5
	s_xor_b32 s3, exec_lo, s3
	s_cbranch_execz .LBB55_3203
; %bb.3198:
	s_mov_b32 s4, exec_lo
                                        ; implicit-def: $vgpr1
	v_cmpx_lt_u32_e32 0x387fffff, v5
	s_xor_b32 s4, exec_lo, s4
; %bb.3199:
	v_bfe_u32 v1, v0, 21, 1
	s_delay_alu instid0(VALU_DEP_1) | instskip(NEXT) | instid1(VALU_DEP_1)
	v_add3_u32 v1, v0, v1, 0x80fffff
	v_lshrrev_b32_e32 v1, 21, v1
; %bb.3200:
	s_and_not1_saveexec_b32 s4, s4
; %bb.3201:
	v_add_f32_e64 v1, 0x43000000, |v0|
; %bb.3202:
	s_or_b32 exec_lo, exec_lo, s4
                                        ; implicit-def: $vgpr5
.LBB55_3203:
	s_and_not1_saveexec_b32 s3, s3
; %bb.3204:
	v_mov_b32_e32 v1, 0x7f
	v_cmp_lt_u32_e32 vcc_lo, 0x7f800000, v5
	s_delay_alu instid0(VALU_DEP_2)
	v_cndmask_b32_e32 v1, 0x7c, v1, vcc_lo
; %bb.3205:
	s_or_b32 exec_lo, exec_lo, s3
	v_lshrrev_b32_e32 v0, 24, v0
	s_delay_alu instid0(VALU_DEP_1)
	v_and_or_b32 v0, 0x80, v0, v1
	global_store_b8 v[2:3], v0, off
.LBB55_3206:
	s_mov_b32 s3, 0
.LBB55_3207:
	s_delay_alu instid0(SALU_CYCLE_1)
	s_and_not1_b32 vcc_lo, exec_lo, s3
	s_mov_b32 s3, 0
	s_cbranch_vccnz .LBB55_3214
; %bb.3208:
	s_cmp_gt_i32 s2, 14
	s_mov_b32 s3, -1
	s_cbranch_scc0 .LBB55_3212
; %bb.3209:
	s_cmp_eq_u32 s2, 15
	s_mov_b32 s0, -1
	s_cbranch_scc0 .LBB55_3211
; %bb.3210:
	s_wait_xcnt 0x0
	v_cvt_f32_i32_e32 v0, v4
	s_mov_b32 s0, 0
	s_delay_alu instid0(VALU_DEP_1) | instskip(NEXT) | instid1(VALU_DEP_1)
	v_bfe_u32 v1, v0, 16, 1
	v_add3_u32 v0, v0, v1, 0x7fff
	global_store_d16_hi_b16 v[2:3], v0, off
.LBB55_3211:
	s_mov_b32 s3, 0
.LBB55_3212:
	s_delay_alu instid0(SALU_CYCLE_1)
	s_and_b32 vcc_lo, exec_lo, s3
	s_mov_b32 s3, 0
	s_cbranch_vccz .LBB55_3214
; %bb.3213:
	s_cmp_lg_u32 s2, 11
	s_mov_b32 s3, -1
	s_cselect_b32 s0, -1, 0
.LBB55_3214:
	s_delay_alu instid0(SALU_CYCLE_1)
	s_and_b32 vcc_lo, exec_lo, s0
	s_cbranch_vccnz .LBB55_3280
.LBB55_3215:
	s_mov_b32 s0, 0
	s_branch .LBB55_3217
.LBB55_3216:
	s_mov_b32 s0, 0
	s_wait_xcnt 0x0
	s_mov_b32 s3, 0
                                        ; implicit-def: $vgpr2_vgpr3
                                        ; implicit-def: $sgpr1
                                        ; implicit-def: $vgpr4
.LBB55_3217:
	s_and_not1_b32 s2, s8, exec_lo
	s_and_b32 s4, s10, exec_lo
	s_and_b32 s0, s0, exec_lo
	s_and_b32 s31, s3, exec_lo
	s_or_b32 s8, s2, s4
.LBB55_3218:
	s_wait_xcnt 0x0
	s_or_b32 exec_lo, exec_lo, s9
	s_and_saveexec_b32 s2, s8
	s_cbranch_execz .LBB55_3221
; %bb.3219:
	; divergent unreachable
	s_or_b32 exec_lo, exec_lo, s2
	s_and_saveexec_b32 s2, s31
	s_delay_alu instid0(SALU_CYCLE_1)
	s_xor_b32 s2, exec_lo, s2
	s_cbranch_execnz .LBB55_3222
.LBB55_3220:
	s_or_b32 exec_lo, exec_lo, s2
	s_and_saveexec_b32 s2, s0
	s_cbranch_execnz .LBB55_3223
	s_branch .LBB55_3260
.LBB55_3221:
	s_or_b32 exec_lo, exec_lo, s2
	s_and_saveexec_b32 s2, s31
	s_delay_alu instid0(SALU_CYCLE_1)
	s_xor_b32 s2, exec_lo, s2
	s_cbranch_execz .LBB55_3220
.LBB55_3222:
	v_cmp_ne_u32_e32 vcc_lo, 0, v4
	v_cndmask_b32_e64 v0, 0, 1, vcc_lo
	s_wait_loadcnt 0x0
	global_store_b8 v[2:3], v0, off
	s_wait_xcnt 0x0
	s_or_b32 exec_lo, exec_lo, s2
	s_and_saveexec_b32 s2, s0
	s_cbranch_execz .LBB55_3260
.LBB55_3223:
	s_sext_i32_i16 s2, s1
	s_mov_b32 s0, -1
	s_cmp_lt_i32 s2, 5
	s_cbranch_scc1 .LBB55_3244
; %bb.3224:
	s_cmp_lt_i32 s2, 8
	s_cbranch_scc1 .LBB55_3234
; %bb.3225:
	;; [unrolled: 3-line block ×3, first 2 shown]
	s_cmp_gt_i32 s2, 9
	s_cbranch_scc0 .LBB55_3228
; %bb.3227:
	s_wait_loadcnt 0x0
	v_cvt_f64_i32_e32 v[6:7], v4
	v_mov_b32_e32 v8, 0
	s_mov_b32 s0, 0
	s_delay_alu instid0(VALU_DEP_1)
	v_mov_b32_e32 v9, v8
	global_store_b128 v[2:3], v[6:9], off
.LBB55_3228:
	s_and_not1_b32 vcc_lo, exec_lo, s0
	s_cbranch_vccnz .LBB55_3230
; %bb.3229:
	v_cvt_f32_i32_e32 v0, v4
	s_wait_loadcnt 0x0
	v_mov_b32_e32 v1, 0
	global_store_b64 v[2:3], v[0:1], off
.LBB55_3230:
	s_mov_b32 s0, 0
.LBB55_3231:
	s_delay_alu instid0(SALU_CYCLE_1)
	s_and_not1_b32 vcc_lo, exec_lo, s0
	s_cbranch_vccnz .LBB55_3233
; %bb.3232:
	s_wait_xcnt 0x0
	v_cvt_f32_i32_e32 v0, v4
	s_delay_alu instid0(VALU_DEP_1) | instskip(NEXT) | instid1(VALU_DEP_1)
	v_cvt_f16_f32_e32 v0, v0
	v_and_b32_e32 v0, 0xffff, v0
	s_wait_loadcnt 0x0
	global_store_b32 v[2:3], v0, off
.LBB55_3233:
	s_mov_b32 s0, 0
.LBB55_3234:
	s_delay_alu instid0(SALU_CYCLE_1)
	s_and_not1_b32 vcc_lo, exec_lo, s0
	s_cbranch_vccnz .LBB55_3243
; %bb.3235:
	s_sext_i32_i16 s2, s1
	s_mov_b32 s0, -1
	s_cmp_lt_i32 s2, 6
	s_cbranch_scc1 .LBB55_3241
; %bb.3236:
	s_cmp_gt_i32 s2, 6
	s_cbranch_scc0 .LBB55_3238
; %bb.3237:
	s_wait_loadcnt 0x0
	v_cvt_f64_i32_e32 v[0:1], v4
	s_mov_b32 s0, 0
	global_store_b64 v[2:3], v[0:1], off
.LBB55_3238:
	s_and_not1_b32 vcc_lo, exec_lo, s0
	s_cbranch_vccnz .LBB55_3240
; %bb.3239:
	s_wait_xcnt 0x0
	v_cvt_f32_i32_e32 v0, v4
	s_wait_loadcnt 0x0
	global_store_b32 v[2:3], v0, off
.LBB55_3240:
	s_mov_b32 s0, 0
.LBB55_3241:
	s_delay_alu instid0(SALU_CYCLE_1)
	s_and_not1_b32 vcc_lo, exec_lo, s0
	s_cbranch_vccnz .LBB55_3243
; %bb.3242:
	s_wait_xcnt 0x0
	v_cvt_f32_i32_e32 v0, v4
	s_delay_alu instid0(VALU_DEP_1)
	v_cvt_f16_f32_e32 v0, v0
	s_wait_loadcnt 0x0
	global_store_b16 v[2:3], v0, off
.LBB55_3243:
	s_mov_b32 s0, 0
.LBB55_3244:
	s_delay_alu instid0(SALU_CYCLE_1)
	s_and_not1_b32 vcc_lo, exec_lo, s0
	s_cbranch_vccnz .LBB55_3260
; %bb.3245:
	s_sext_i32_i16 s2, s1
	s_mov_b32 s0, -1
	s_cmp_lt_i32 s2, 2
	s_cbranch_scc1 .LBB55_3255
; %bb.3246:
	s_cmp_lt_i32 s2, 3
	s_cbranch_scc1 .LBB55_3252
; %bb.3247:
	s_cmp_gt_i32 s2, 3
	s_cbranch_scc0 .LBB55_3249
; %bb.3248:
	s_wait_loadcnt 0x0
	v_ashrrev_i32_e32 v5, 31, v4
	s_mov_b32 s0, 0
	global_store_b64 v[2:3], v[4:5], off
.LBB55_3249:
	s_and_not1_b32 vcc_lo, exec_lo, s0
	s_cbranch_vccnz .LBB55_3251
; %bb.3250:
	s_wait_loadcnt 0x0
	global_store_b32 v[2:3], v4, off
.LBB55_3251:
	s_mov_b32 s0, 0
.LBB55_3252:
	s_delay_alu instid0(SALU_CYCLE_1)
	s_and_not1_b32 vcc_lo, exec_lo, s0
	s_cbranch_vccnz .LBB55_3254
; %bb.3253:
	s_wait_loadcnt 0x0
	global_store_b16 v[2:3], v4, off
.LBB55_3254:
	s_mov_b32 s0, 0
.LBB55_3255:
	s_delay_alu instid0(SALU_CYCLE_1)
	s_and_not1_b32 vcc_lo, exec_lo, s0
	s_cbranch_vccnz .LBB55_3260
; %bb.3256:
	s_sext_i32_i16 s0, s1
	s_delay_alu instid0(SALU_CYCLE_1)
	s_cmp_gt_i32 s0, 0
	s_mov_b32 s0, -1
	s_cbranch_scc0 .LBB55_3258
; %bb.3257:
	s_mov_b32 s0, 0
	s_wait_loadcnt 0x0
	global_store_b8 v[2:3], v4, off
.LBB55_3258:
	s_and_not1_b32 vcc_lo, exec_lo, s0
	s_cbranch_vccnz .LBB55_3260
; %bb.3259:
	s_wait_loadcnt 0x0
	global_store_b8 v[2:3], v4, off
	s_endpgm
.LBB55_3260:
	s_endpgm
.LBB55_3261:
	s_mov_b32 s3, 0
	s_mov_b32 s0, -1
	s_branch .LBB55_3217
.LBB55_3262:
	s_or_b32 s10, s10, exec_lo
	s_trap 2
	s_cbranch_execz .LBB55_2731
	s_branch .LBB55_2732
.LBB55_3263:
	s_and_not1_saveexec_b32 s12, s12
	s_cbranch_execz .LBB55_2811
.LBB55_3264:
	v_add_f32_e64 v3, 0x46000000, |v1|
	s_and_not1_b32 s11, s11, exec_lo
	s_delay_alu instid0(VALU_DEP_1) | instskip(NEXT) | instid1(VALU_DEP_1)
	v_and_b32_e32 v3, 0xff, v3
	v_cmp_ne_u32_e32 vcc_lo, 0, v3
	s_and_b32 s13, vcc_lo, exec_lo
	s_delay_alu instid0(SALU_CYCLE_1)
	s_or_b32 s11, s11, s13
	s_or_b32 exec_lo, exec_lo, s12
	v_mov_b32_e32 v9, 0
	s_and_saveexec_b32 s12, s11
	s_cbranch_execnz .LBB55_2812
	s_branch .LBB55_2813
.LBB55_3265:
	s_or_b32 s10, s10, exec_lo
	s_trap 2
	s_cbranch_execz .LBB55_2859
	s_branch .LBB55_2860
.LBB55_3266:
	s_and_not1_saveexec_b32 s11, s11
	s_cbranch_execz .LBB55_2824
.LBB55_3267:
	v_add_f32_e64 v3, 0x42800000, |v1|
	s_and_not1_b32 s7, s7, exec_lo
	s_delay_alu instid0(VALU_DEP_1) | instskip(NEXT) | instid1(VALU_DEP_1)
	v_and_b32_e32 v3, 0xff, v3
	v_cmp_ne_u32_e32 vcc_lo, 0, v3
	s_and_b32 s12, vcc_lo, exec_lo
	s_delay_alu instid0(SALU_CYCLE_1)
	s_or_b32 s7, s7, s12
	s_or_b32 exec_lo, exec_lo, s11
	v_mov_b32_e32 v9, 0
	s_and_saveexec_b32 s11, s7
	s_cbranch_execnz .LBB55_2825
	s_branch .LBB55_2826
.LBB55_3268:
	s_and_not1_saveexec_b32 s12, s12
	s_cbranch_execz .LBB55_2930
.LBB55_3269:
	v_add_f32_e64 v3, 0x46000000, |v1|
	s_and_not1_b32 s11, s11, exec_lo
	s_delay_alu instid0(VALU_DEP_1) | instskip(NEXT) | instid1(VALU_DEP_1)
	v_and_b32_e32 v3, 0xff, v3
	v_cmp_ne_u32_e32 vcc_lo, 0, v3
	s_and_b32 s13, vcc_lo, exec_lo
	s_delay_alu instid0(SALU_CYCLE_1)
	s_or_b32 s11, s11, s13
	s_or_b32 exec_lo, exec_lo, s12
	v_mov_b32_e32 v7, 0
	s_and_saveexec_b32 s12, s11
	s_cbranch_execnz .LBB55_2931
	s_branch .LBB55_2932
.LBB55_3270:
	s_or_b32 s10, s10, exec_lo
	s_trap 2
	s_cbranch_execz .LBB55_2978
	s_branch .LBB55_2979
.LBB55_3271:
	s_and_not1_saveexec_b32 s11, s11
	s_cbranch_execz .LBB55_2943
.LBB55_3272:
	v_add_f32_e64 v3, 0x42800000, |v1|
	s_and_not1_b32 s7, s7, exec_lo
	s_delay_alu instid0(VALU_DEP_1) | instskip(NEXT) | instid1(VALU_DEP_1)
	v_and_b32_e32 v3, 0xff, v3
	v_cmp_ne_u32_e32 vcc_lo, 0, v3
	s_and_b32 s12, vcc_lo, exec_lo
	s_delay_alu instid0(SALU_CYCLE_1)
	s_or_b32 s7, s7, s12
	s_or_b32 exec_lo, exec_lo, s11
	v_mov_b32_e32 v7, 0
	s_and_saveexec_b32 s11, s7
	s_cbranch_execnz .LBB55_2944
	s_branch .LBB55_2945
.LBB55_3273:
	s_and_not1_saveexec_b32 s12, s12
	s_cbranch_execz .LBB55_3049
.LBB55_3274:
	v_add_f32_e64 v5, 0x46000000, |v1|
	s_and_not1_b32 s11, s11, exec_lo
	s_delay_alu instid0(VALU_DEP_1) | instskip(NEXT) | instid1(VALU_DEP_1)
	v_and_b32_e32 v5, 0xff, v5
	v_cmp_ne_u32_e32 vcc_lo, 0, v5
	s_and_b32 s13, vcc_lo, exec_lo
	s_delay_alu instid0(SALU_CYCLE_1)
	s_or_b32 s11, s11, s13
	s_or_b32 exec_lo, exec_lo, s12
	v_mov_b32_e32 v6, 0
	s_and_saveexec_b32 s12, s11
	s_cbranch_execnz .LBB55_3050
	s_branch .LBB55_3051
.LBB55_3275:
	s_or_b32 s10, s10, exec_lo
	s_trap 2
	s_cbranch_execz .LBB55_3097
	s_branch .LBB55_3098
.LBB55_3276:
	s_and_not1_saveexec_b32 s11, s11
	s_cbranch_execz .LBB55_3062
.LBB55_3277:
	v_add_f32_e64 v5, 0x42800000, |v1|
	s_and_not1_b32 s7, s7, exec_lo
	s_delay_alu instid0(VALU_DEP_1) | instskip(NEXT) | instid1(VALU_DEP_1)
	v_and_b32_e32 v5, 0xff, v5
	v_cmp_ne_u32_e32 vcc_lo, 0, v5
	s_and_b32 s12, vcc_lo, exec_lo
	s_delay_alu instid0(SALU_CYCLE_1)
	s_or_b32 s7, s7, s12
	s_or_b32 exec_lo, exec_lo, s11
	v_mov_b32_e32 v6, 0
	s_and_saveexec_b32 s11, s7
	s_cbranch_execnz .LBB55_3063
	s_branch .LBB55_3064
.LBB55_3278:
	s_and_not1_saveexec_b32 s6, s6
	s_cbranch_execz .LBB55_3169
.LBB55_3279:
	v_add_f32_e64 v1, 0x46000000, |v0|
	s_and_not1_b32 s5, s5, exec_lo
	s_delay_alu instid0(VALU_DEP_1) | instskip(NEXT) | instid1(VALU_DEP_1)
	v_and_b32_e32 v1, 0xff, v1
	v_cmp_ne_u32_e32 vcc_lo, 0, v1
	s_and_b32 s7, vcc_lo, exec_lo
	s_delay_alu instid0(SALU_CYCLE_1)
	s_or_b32 s5, s5, s7
	s_or_b32 exec_lo, exec_lo, s6
	v_mov_b32_e32 v5, 0
	s_and_saveexec_b32 s6, s5
	s_cbranch_execnz .LBB55_3170
	s_branch .LBB55_3171
.LBB55_3280:
	s_mov_b32 s3, 0
	s_or_b32 s10, s10, exec_lo
	s_trap 2
	s_branch .LBB55_3215
.LBB55_3281:
	s_and_not1_saveexec_b32 s5, s5
	s_cbranch_execz .LBB55_3181
.LBB55_3282:
	v_add_f32_e64 v1, 0x42800000, |v0|
	s_and_not1_b32 s4, s4, exec_lo
	s_delay_alu instid0(VALU_DEP_1) | instskip(NEXT) | instid1(VALU_DEP_1)
	v_and_b32_e32 v1, 0xff, v1
	v_cmp_ne_u32_e32 vcc_lo, 0, v1
	s_and_b32 s6, vcc_lo, exec_lo
	s_delay_alu instid0(SALU_CYCLE_1)
	s_or_b32 s4, s4, s6
	s_or_b32 exec_lo, exec_lo, s5
	v_mov_b32_e32 v5, 0
	s_and_saveexec_b32 s5, s4
	s_cbranch_execnz .LBB55_3182
	s_branch .LBB55_3183
	.section	.rodata,"a",@progbits
	.p2align	6, 0x0
	.amdhsa_kernel _ZN2at6native32elementwise_kernel_manual_unrollILi128ELi4EZNS0_15gpu_kernel_implIZZZNS0_12_GLOBAL__N_116addr_kernel_cudaERNS_14TensorIteratorERKN3c106ScalarES9_ENKUlvE_clEvENKUlvE1_clEvEUliiiE_EEvRNS_18TensorIteratorBaseERKT_EUlibE0_EEviT1_
		.amdhsa_group_segment_fixed_size 0
		.amdhsa_private_segment_fixed_size 0
		.amdhsa_kernarg_size 504
		.amdhsa_user_sgpr_count 2
		.amdhsa_user_sgpr_dispatch_ptr 0
		.amdhsa_user_sgpr_queue_ptr 0
		.amdhsa_user_sgpr_kernarg_segment_ptr 1
		.amdhsa_user_sgpr_dispatch_id 0
		.amdhsa_user_sgpr_kernarg_preload_length 0
		.amdhsa_user_sgpr_kernarg_preload_offset 0
		.amdhsa_user_sgpr_private_segment_size 0
		.amdhsa_wavefront_size32 1
		.amdhsa_uses_dynamic_stack 0
		.amdhsa_enable_private_segment 0
		.amdhsa_system_sgpr_workgroup_id_x 1
		.amdhsa_system_sgpr_workgroup_id_y 0
		.amdhsa_system_sgpr_workgroup_id_z 0
		.amdhsa_system_sgpr_workgroup_info 0
		.amdhsa_system_vgpr_workitem_id 0
		.amdhsa_next_free_vgpr 26
		.amdhsa_next_free_sgpr 63
		.amdhsa_named_barrier_count 0
		.amdhsa_reserve_vcc 1
		.amdhsa_float_round_mode_32 0
		.amdhsa_float_round_mode_16_64 0
		.amdhsa_float_denorm_mode_32 3
		.amdhsa_float_denorm_mode_16_64 3
		.amdhsa_fp16_overflow 0
		.amdhsa_memory_ordered 1
		.amdhsa_forward_progress 1
		.amdhsa_inst_pref_size 255
		.amdhsa_round_robin_scheduling 0
		.amdhsa_exception_fp_ieee_invalid_op 0
		.amdhsa_exception_fp_denorm_src 0
		.amdhsa_exception_fp_ieee_div_zero 0
		.amdhsa_exception_fp_ieee_overflow 0
		.amdhsa_exception_fp_ieee_underflow 0
		.amdhsa_exception_fp_ieee_inexact 0
		.amdhsa_exception_int_div_zero 0
	.end_amdhsa_kernel
	.section	.text._ZN2at6native32elementwise_kernel_manual_unrollILi128ELi4EZNS0_15gpu_kernel_implIZZZNS0_12_GLOBAL__N_116addr_kernel_cudaERNS_14TensorIteratorERKN3c106ScalarES9_ENKUlvE_clEvENKUlvE1_clEvEUliiiE_EEvRNS_18TensorIteratorBaseERKT_EUlibE0_EEviT1_,"axG",@progbits,_ZN2at6native32elementwise_kernel_manual_unrollILi128ELi4EZNS0_15gpu_kernel_implIZZZNS0_12_GLOBAL__N_116addr_kernel_cudaERNS_14TensorIteratorERKN3c106ScalarES9_ENKUlvE_clEvENKUlvE1_clEvEUliiiE_EEvRNS_18TensorIteratorBaseERKT_EUlibE0_EEviT1_,comdat
.Lfunc_end55:
	.size	_ZN2at6native32elementwise_kernel_manual_unrollILi128ELi4EZNS0_15gpu_kernel_implIZZZNS0_12_GLOBAL__N_116addr_kernel_cudaERNS_14TensorIteratorERKN3c106ScalarES9_ENKUlvE_clEvENKUlvE1_clEvEUliiiE_EEvRNS_18TensorIteratorBaseERKT_EUlibE0_EEviT1_, .Lfunc_end55-_ZN2at6native32elementwise_kernel_manual_unrollILi128ELi4EZNS0_15gpu_kernel_implIZZZNS0_12_GLOBAL__N_116addr_kernel_cudaERNS_14TensorIteratorERKN3c106ScalarES9_ENKUlvE_clEvENKUlvE1_clEvEUliiiE_EEvRNS_18TensorIteratorBaseERKT_EUlibE0_EEviT1_
                                        ; -- End function
	.set _ZN2at6native32elementwise_kernel_manual_unrollILi128ELi4EZNS0_15gpu_kernel_implIZZZNS0_12_GLOBAL__N_116addr_kernel_cudaERNS_14TensorIteratorERKN3c106ScalarES9_ENKUlvE_clEvENKUlvE1_clEvEUliiiE_EEvRNS_18TensorIteratorBaseERKT_EUlibE0_EEviT1_.num_vgpr, 26
	.set _ZN2at6native32elementwise_kernel_manual_unrollILi128ELi4EZNS0_15gpu_kernel_implIZZZNS0_12_GLOBAL__N_116addr_kernel_cudaERNS_14TensorIteratorERKN3c106ScalarES9_ENKUlvE_clEvENKUlvE1_clEvEUliiiE_EEvRNS_18TensorIteratorBaseERKT_EUlibE0_EEviT1_.num_agpr, 0
	.set _ZN2at6native32elementwise_kernel_manual_unrollILi128ELi4EZNS0_15gpu_kernel_implIZZZNS0_12_GLOBAL__N_116addr_kernel_cudaERNS_14TensorIteratorERKN3c106ScalarES9_ENKUlvE_clEvENKUlvE1_clEvEUliiiE_EEvRNS_18TensorIteratorBaseERKT_EUlibE0_EEviT1_.numbered_sgpr, 63
	.set _ZN2at6native32elementwise_kernel_manual_unrollILi128ELi4EZNS0_15gpu_kernel_implIZZZNS0_12_GLOBAL__N_116addr_kernel_cudaERNS_14TensorIteratorERKN3c106ScalarES9_ENKUlvE_clEvENKUlvE1_clEvEUliiiE_EEvRNS_18TensorIteratorBaseERKT_EUlibE0_EEviT1_.num_named_barrier, 0
	.set _ZN2at6native32elementwise_kernel_manual_unrollILi128ELi4EZNS0_15gpu_kernel_implIZZZNS0_12_GLOBAL__N_116addr_kernel_cudaERNS_14TensorIteratorERKN3c106ScalarES9_ENKUlvE_clEvENKUlvE1_clEvEUliiiE_EEvRNS_18TensorIteratorBaseERKT_EUlibE0_EEviT1_.private_seg_size, 0
	.set _ZN2at6native32elementwise_kernel_manual_unrollILi128ELi4EZNS0_15gpu_kernel_implIZZZNS0_12_GLOBAL__N_116addr_kernel_cudaERNS_14TensorIteratorERKN3c106ScalarES9_ENKUlvE_clEvENKUlvE1_clEvEUliiiE_EEvRNS_18TensorIteratorBaseERKT_EUlibE0_EEviT1_.uses_vcc, 1
	.set _ZN2at6native32elementwise_kernel_manual_unrollILi128ELi4EZNS0_15gpu_kernel_implIZZZNS0_12_GLOBAL__N_116addr_kernel_cudaERNS_14TensorIteratorERKN3c106ScalarES9_ENKUlvE_clEvENKUlvE1_clEvEUliiiE_EEvRNS_18TensorIteratorBaseERKT_EUlibE0_EEviT1_.uses_flat_scratch, 0
	.set _ZN2at6native32elementwise_kernel_manual_unrollILi128ELi4EZNS0_15gpu_kernel_implIZZZNS0_12_GLOBAL__N_116addr_kernel_cudaERNS_14TensorIteratorERKN3c106ScalarES9_ENKUlvE_clEvENKUlvE1_clEvEUliiiE_EEvRNS_18TensorIteratorBaseERKT_EUlibE0_EEviT1_.has_dyn_sized_stack, 0
	.set _ZN2at6native32elementwise_kernel_manual_unrollILi128ELi4EZNS0_15gpu_kernel_implIZZZNS0_12_GLOBAL__N_116addr_kernel_cudaERNS_14TensorIteratorERKN3c106ScalarES9_ENKUlvE_clEvENKUlvE1_clEvEUliiiE_EEvRNS_18TensorIteratorBaseERKT_EUlibE0_EEviT1_.has_recursion, 0
	.set _ZN2at6native32elementwise_kernel_manual_unrollILi128ELi4EZNS0_15gpu_kernel_implIZZZNS0_12_GLOBAL__N_116addr_kernel_cudaERNS_14TensorIteratorERKN3c106ScalarES9_ENKUlvE_clEvENKUlvE1_clEvEUliiiE_EEvRNS_18TensorIteratorBaseERKT_EUlibE0_EEviT1_.has_indirect_call, 0
	.section	.AMDGPU.csdata,"",@progbits
; Kernel info:
; codeLenInByte = 58892
; TotalNumSgprs: 65
; NumVgprs: 26
; ScratchSize: 0
; MemoryBound: 1
; FloatMode: 240
; IeeeMode: 1
; LDSByteSize: 0 bytes/workgroup (compile time only)
; SGPRBlocks: 0
; VGPRBlocks: 1
; NumSGPRsForWavesPerEU: 65
; NumVGPRsForWavesPerEU: 26
; NamedBarCnt: 0
; Occupancy: 16
; WaveLimiterHint : 1
; COMPUTE_PGM_RSRC2:SCRATCH_EN: 0
; COMPUTE_PGM_RSRC2:USER_SGPR: 2
; COMPUTE_PGM_RSRC2:TRAP_HANDLER: 0
; COMPUTE_PGM_RSRC2:TGID_X_EN: 1
; COMPUTE_PGM_RSRC2:TGID_Y_EN: 0
; COMPUTE_PGM_RSRC2:TGID_Z_EN: 0
; COMPUTE_PGM_RSRC2:TIDIG_COMP_CNT: 0
	.section	.text._ZN2at6native29vectorized_elementwise_kernelILi16EZZZNS0_12_GLOBAL__N_116addr_kernel_cudaERNS_14TensorIteratorERKN3c106ScalarES8_ENKUlvE_clEvENKUlvE1_clEvEUliiiE0_St5arrayIPcLm4EEEEviT0_T1_,"axG",@progbits,_ZN2at6native29vectorized_elementwise_kernelILi16EZZZNS0_12_GLOBAL__N_116addr_kernel_cudaERNS_14TensorIteratorERKN3c106ScalarES8_ENKUlvE_clEvENKUlvE1_clEvEUliiiE0_St5arrayIPcLm4EEEEviT0_T1_,comdat
	.globl	_ZN2at6native29vectorized_elementwise_kernelILi16EZZZNS0_12_GLOBAL__N_116addr_kernel_cudaERNS_14TensorIteratorERKN3c106ScalarES8_ENKUlvE_clEvENKUlvE1_clEvEUliiiE0_St5arrayIPcLm4EEEEviT0_T1_ ; -- Begin function _ZN2at6native29vectorized_elementwise_kernelILi16EZZZNS0_12_GLOBAL__N_116addr_kernel_cudaERNS_14TensorIteratorERKN3c106ScalarES8_ENKUlvE_clEvENKUlvE1_clEvEUliiiE0_St5arrayIPcLm4EEEEviT0_T1_
	.p2align	8
	.type	_ZN2at6native29vectorized_elementwise_kernelILi16EZZZNS0_12_GLOBAL__N_116addr_kernel_cudaERNS_14TensorIteratorERKN3c106ScalarES8_ENKUlvE_clEvENKUlvE1_clEvEUliiiE0_St5arrayIPcLm4EEEEviT0_T1_,@function
_ZN2at6native29vectorized_elementwise_kernelILi16EZZZNS0_12_GLOBAL__N_116addr_kernel_cudaERNS_14TensorIteratorERKN3c106ScalarES8_ENKUlvE_clEvENKUlvE1_clEvEUliiiE0_St5arrayIPcLm4EEEEviT0_T1_: ; @_ZN2at6native29vectorized_elementwise_kernelILi16EZZZNS0_12_GLOBAL__N_116addr_kernel_cudaERNS_14TensorIteratorERKN3c106ScalarES8_ENKUlvE_clEvENKUlvE1_clEvEUliiiE0_St5arrayIPcLm4EEEEviT0_T1_
; %bb.0:
	s_clause 0x1
	s_load_b96 s[12:14], s[0:1], 0x0
	s_load_b256 s[4:11], s[0:1], 0x10
	s_wait_xcnt 0x0
	s_bfe_u32 s0, ttmp6, 0x4000c
	s_and_b32 s1, ttmp6, 15
	s_add_co_i32 s0, s0, 1
	s_getreg_b32 s2, hwreg(HW_REG_IB_STS2, 6, 4)
	s_mul_i32 s0, ttmp9, s0
	s_delay_alu instid0(SALU_CYCLE_1) | instskip(SKIP_2) | instid1(SALU_CYCLE_1)
	s_add_co_i32 s1, s1, s0
	s_cmp_eq_u32 s2, 0
	s_cselect_b32 s0, ttmp9, s1
	s_lshl_b32 s2, s0, 10
	s_mov_b32 s0, -1
	s_wait_kmcnt 0x0
	s_sub_co_i32 s1, s12, s2
	s_delay_alu instid0(SALU_CYCLE_1)
	s_cmp_gt_i32 s1, 0x3ff
	s_cbranch_scc0 .LBB56_2
; %bb.1:
	s_ashr_i32 s3, s2, 31
	s_mov_b32 s0, 0
	s_lshl_b64 s[16:17], s[2:3], 2
	s_delay_alu instid0(SALU_CYCLE_1)
	s_add_nc_u64 s[18:19], s[6:7], s[16:17]
	s_add_nc_u64 s[20:21], s[8:9], s[16:17]
	s_clause 0x1
	global_load_b128 v[2:5], v0, s[18:19] scale_offset
	global_load_b128 v[6:9], v0, s[20:21] scale_offset
	s_wait_xcnt 0x1
	s_add_nc_u64 s[18:19], s[10:11], s[16:17]
	s_add_nc_u64 s[16:17], s[4:5], s[16:17]
	global_load_b128 v[10:13], v0, s[18:19] scale_offset
	s_wait_loadcnt 0x2
	v_mul_lo_u32 v1, v2, s13
	v_mul_lo_u32 v2, v3, s13
	s_wait_loadcnt 0x1
	v_mul_lo_u32 v6, v6, s14
	v_mul_lo_u32 v3, v7, s14
	;; [unrolled: 1-line block ×6, first 2 shown]
	s_wait_loadcnt 0x0
	v_mad_u32 v3, v3, v11, v2
	v_mad_u32 v2, v6, v10, v1
	s_delay_alu instid0(VALU_DEP_4) | instskip(NEXT) | instid1(VALU_DEP_4)
	v_mad_u32 v5, v7, v13, v5
	v_mad_u32 v4, v8, v12, v4
	global_store_b128 v0, v[2:5], s[16:17] scale_offset
.LBB56_2:
	s_and_not1_b32 vcc_lo, exec_lo, s0
	s_cbranch_vccnz .LBB56_23
; %bb.3:
	v_cmp_gt_i32_e32 vcc_lo, s1, v0
	v_dual_mov_b32 v11, 0 :: v_dual_bitop2_b32 v1, s2, v0 bitop3:0x54
	v_or_b32_e32 v10, 0x100, v0
	v_dual_mov_b32 v18, 0 :: v_dual_mov_b32 v17, 0
	v_dual_mov_b32 v13, 0 :: v_dual_mov_b32 v14, 0
	;; [unrolled: 1-line block ×5, first 2 shown]
	s_wait_xcnt 0x0
	v_mov_b32_e32 v3, 0
	s_and_saveexec_b32 s3, vcc_lo
	s_cbranch_execz .LBB56_11
; %bb.4:
	s_clause 0x2
	global_load_b32 v19, v1, s[6:7] scale_offset
	global_load_b32 v20, v1, s[8:9] scale_offset
	;; [unrolled: 1-line block ×3, first 2 shown]
	v_or_b32_e32 v2, 0x100, v0
	v_dual_mov_b32 v3, 0 :: v_dual_mov_b32 v12, 0
	v_dual_mov_b32 v16, 0 :: v_dual_mov_b32 v15, 0
	;; [unrolled: 1-line block ×4, first 2 shown]
	v_mov_b32_e32 v11, 0
	s_mov_b32 s12, exec_lo
	s_wait_xcnt 0x0
	v_cmpx_gt_u32_e64 s1, v2
	s_cbranch_execz .LBB56_10
; %bb.5:
	v_dual_mov_b32 v3, 0 :: v_dual_add_nc_u32 v2, s2, v0
	v_or_b32_e32 v4, 0x200, v0
	v_dual_mov_b32 v12, 0 :: v_dual_mov_b32 v13, 0
	s_clause 0x2
	global_load_b32 v14, v2, s[6:7] offset:1024 scale_offset
	global_load_b32 v15, v2, s[8:9] offset:1024 scale_offset
	;; [unrolled: 1-line block ×3, first 2 shown]
	v_dual_mov_b32 v17, 0 :: v_dual_mov_b32 v18, 0
	v_mov_b32_e32 v11, 0
	s_mov_b32 s15, exec_lo
	s_wait_xcnt 0x0
	v_cmpx_gt_u32_e64 s1, v4
	s_cbranch_execz .LBB56_9
; %bb.6:
	v_lshlrev_b64_e32 v[8:9], 2, v[2:3]
	v_or_b32_e32 v2, 0x300, v0
	v_dual_mov_b32 v12, 0 :: v_dual_mov_b32 v11, 0
	s_delay_alu instid0(VALU_DEP_3)
	v_add_nc_u64_e32 v[4:5], s[6:7], v[8:9]
	v_add_nc_u64_e32 v[6:7], s[8:9], v[8:9]
	;; [unrolled: 1-line block ×3, first 2 shown]
	s_mov_b32 s6, exec_lo
	global_load_b32 v18, v[4:5], off offset:2048
	global_load_b32 v17, v[6:7], off offset:2048
	;; [unrolled: 1-line block ×3, first 2 shown]
	s_wait_xcnt 0x0
	v_cmpx_gt_u32_e64 s1, v2
	s_cbranch_execz .LBB56_8
; %bb.7:
	global_load_b32 v12, v[4:5], off offset:3072
	global_load_b32 v3, v[6:7], off offset:3072
	;; [unrolled: 1-line block ×3, first 2 shown]
.LBB56_8:
	s_wait_xcnt 0x0
	s_or_b32 exec_lo, exec_lo, s6
.LBB56_9:
	s_delay_alu instid0(SALU_CYCLE_1)
	s_or_b32 exec_lo, exec_lo, s15
.LBB56_10:
	s_delay_alu instid0(SALU_CYCLE_1) | instskip(NEXT) | instid1(SALU_CYCLE_1)
	s_or_b32 exec_lo, exec_lo, s12
	s_or_b32 exec_lo, exec_lo, s3
                                        ; implicit-def: $vgpr2
	s_and_saveexec_b32 s0, vcc_lo
	s_cbranch_execz .LBB56_13
	s_branch .LBB56_12
.LBB56_11:
	s_or_b32 exec_lo, exec_lo, s3
                                        ; implicit-def: $vgpr2
	s_and_saveexec_b32 s0, vcc_lo
	s_cbranch_execz .LBB56_13
.LBB56_12:
	s_wait_loadcnt 0x2
	v_mul_lo_u32 v2, v19, s13
	s_wait_loadcnt 0x1
	v_mul_lo_u32 v4, v20, s14
	s_wait_loadcnt 0x0
	s_delay_alu instid0(VALU_DEP_1)
	v_mad_u32 v2, v4, v21, v2
.LBB56_13:
	s_or_b32 exec_lo, exec_lo, s0
	s_delay_alu instid0(SALU_CYCLE_1)
	s_mov_b32 s3, exec_lo
                                        ; implicit-def: $vgpr4
	v_cmpx_gt_i32_e64 s1, v10
	s_cbranch_execz .LBB56_15
; %bb.14:
	s_wait_loadcnt 0x2
	v_mul_lo_u32 v4, v14, s13
	s_wait_loadcnt 0x1
	v_mul_lo_u32 v5, v15, s14
	s_wait_loadcnt 0x0
	s_delay_alu instid0(VALU_DEP_1)
	v_mad_u32 v4, v5, v16, v4
.LBB56_15:
	s_or_b32 exec_lo, exec_lo, s3
	v_or_b32_e32 v5, 0x200, v0
	s_delay_alu instid0(VALU_DEP_1)
	v_cmp_gt_i32_e64 s0, s1, v5
                                        ; implicit-def: $vgpr5
	s_and_saveexec_b32 s3, s0
	s_cbranch_execz .LBB56_17
; %bb.16:
	s_wait_loadcnt 0x2
	v_mul_lo_u32 v5, v18, s13
	s_wait_loadcnt 0x1
	v_mul_lo_u32 v6, v17, s14
	s_wait_loadcnt 0x0
	s_delay_alu instid0(VALU_DEP_1)
	v_mad_u32 v5, v6, v13, v5
.LBB56_17:
	s_or_b32 exec_lo, exec_lo, s3
	v_or_b32_e32 v6, 0x300, v0
	s_delay_alu instid0(VALU_DEP_1)
	v_cmp_gt_i32_e64 s0, s1, v6
                                        ; implicit-def: $vgpr6
	s_and_saveexec_b32 s3, s0
	s_cbranch_execz .LBB56_24
; %bb.18:
	s_wait_loadcnt 0x2
	v_mul_lo_u32 v6, v12, s13
	s_wait_loadcnt 0x1
	v_mul_lo_u32 v3, v3, s14
	s_wait_loadcnt 0x0
	s_delay_alu instid0(VALU_DEP_1) | instskip(SKIP_2) | instid1(SALU_CYCLE_1)
	v_mad_u32 v6, v3, v11, v6
	s_or_b32 exec_lo, exec_lo, s3
	s_and_saveexec_b32 s0, vcc_lo
	s_xor_b32 s0, exec_lo, s0
	s_cbranch_execnz .LBB56_25
.LBB56_19:
	s_or_b32 exec_lo, exec_lo, s0
	s_delay_alu instid0(SALU_CYCLE_1)
	s_mov_b32 s0, exec_lo
	v_cmpx_gt_i32_e64 s1, v0
	s_cbranch_execz .LBB56_26
.LBB56_20:
	v_add_nc_u32_e32 v1, s2, v0
	v_add_nc_u32_e32 v0, 0x100, v0
	global_store_b32 v1, v4, s[4:5] scale_offset
	s_wait_xcnt 0x0
	s_or_b32 exec_lo, exec_lo, s0
	s_delay_alu instid0(SALU_CYCLE_1)
	s_mov_b32 s0, exec_lo
	v_cmpx_gt_i32_e64 s1, v0
	s_cbranch_execnz .LBB56_27
.LBB56_21:
	s_or_b32 exec_lo, exec_lo, s0
	s_delay_alu instid0(SALU_CYCLE_1)
	s_mov_b32 s0, exec_lo
	v_cmpx_gt_i32_e64 s1, v0
	s_cbranch_execz .LBB56_23
.LBB56_22:
	v_add_nc_u32_e32 v0, s2, v0
	global_store_b32 v0, v6, s[4:5] scale_offset
.LBB56_23:
	s_endpgm
.LBB56_24:
	s_or_b32 exec_lo, exec_lo, s3
	s_and_saveexec_b32 s0, vcc_lo
	s_delay_alu instid0(SALU_CYCLE_1)
	s_xor_b32 s0, exec_lo, s0
	s_cbranch_execz .LBB56_19
.LBB56_25:
	v_mov_b32_e32 v0, v10
	global_store_b32 v1, v2, s[4:5] scale_offset
	s_wait_xcnt 0x0
	s_or_b32 exec_lo, exec_lo, s0
	s_delay_alu instid0(SALU_CYCLE_1)
	s_mov_b32 s0, exec_lo
	v_cmpx_gt_i32_e64 s1, v0
	s_cbranch_execnz .LBB56_20
.LBB56_26:
	s_or_b32 exec_lo, exec_lo, s0
	s_delay_alu instid0(SALU_CYCLE_1)
	s_mov_b32 s0, exec_lo
	v_cmpx_gt_i32_e64 s1, v0
	s_cbranch_execz .LBB56_21
.LBB56_27:
	v_add_nc_u32_e32 v1, s2, v0
	v_add_nc_u32_e32 v0, 0x100, v0
	global_store_b32 v1, v5, s[4:5] scale_offset
	s_wait_xcnt 0x0
	s_or_b32 exec_lo, exec_lo, s0
	s_delay_alu instid0(SALU_CYCLE_1)
	s_mov_b32 s0, exec_lo
	v_cmpx_gt_i32_e64 s1, v0
	s_cbranch_execnz .LBB56_22
	s_branch .LBB56_23
	.section	.rodata,"a",@progbits
	.p2align	6, 0x0
	.amdhsa_kernel _ZN2at6native29vectorized_elementwise_kernelILi16EZZZNS0_12_GLOBAL__N_116addr_kernel_cudaERNS_14TensorIteratorERKN3c106ScalarES8_ENKUlvE_clEvENKUlvE1_clEvEUliiiE0_St5arrayIPcLm4EEEEviT0_T1_
		.amdhsa_group_segment_fixed_size 0
		.amdhsa_private_segment_fixed_size 0
		.amdhsa_kernarg_size 48
		.amdhsa_user_sgpr_count 2
		.amdhsa_user_sgpr_dispatch_ptr 0
		.amdhsa_user_sgpr_queue_ptr 0
		.amdhsa_user_sgpr_kernarg_segment_ptr 1
		.amdhsa_user_sgpr_dispatch_id 0
		.amdhsa_user_sgpr_kernarg_preload_length 0
		.amdhsa_user_sgpr_kernarg_preload_offset 0
		.amdhsa_user_sgpr_private_segment_size 0
		.amdhsa_wavefront_size32 1
		.amdhsa_uses_dynamic_stack 0
		.amdhsa_enable_private_segment 0
		.amdhsa_system_sgpr_workgroup_id_x 1
		.amdhsa_system_sgpr_workgroup_id_y 0
		.amdhsa_system_sgpr_workgroup_id_z 0
		.amdhsa_system_sgpr_workgroup_info 0
		.amdhsa_system_vgpr_workitem_id 0
		.amdhsa_next_free_vgpr 22
		.amdhsa_next_free_sgpr 22
		.amdhsa_named_barrier_count 0
		.amdhsa_reserve_vcc 1
		.amdhsa_float_round_mode_32 0
		.amdhsa_float_round_mode_16_64 0
		.amdhsa_float_denorm_mode_32 3
		.amdhsa_float_denorm_mode_16_64 3
		.amdhsa_fp16_overflow 0
		.amdhsa_memory_ordered 1
		.amdhsa_forward_progress 1
		.amdhsa_inst_pref_size 11
		.amdhsa_round_robin_scheduling 0
		.amdhsa_exception_fp_ieee_invalid_op 0
		.amdhsa_exception_fp_denorm_src 0
		.amdhsa_exception_fp_ieee_div_zero 0
		.amdhsa_exception_fp_ieee_overflow 0
		.amdhsa_exception_fp_ieee_underflow 0
		.amdhsa_exception_fp_ieee_inexact 0
		.amdhsa_exception_int_div_zero 0
	.end_amdhsa_kernel
	.section	.text._ZN2at6native29vectorized_elementwise_kernelILi16EZZZNS0_12_GLOBAL__N_116addr_kernel_cudaERNS_14TensorIteratorERKN3c106ScalarES8_ENKUlvE_clEvENKUlvE1_clEvEUliiiE0_St5arrayIPcLm4EEEEviT0_T1_,"axG",@progbits,_ZN2at6native29vectorized_elementwise_kernelILi16EZZZNS0_12_GLOBAL__N_116addr_kernel_cudaERNS_14TensorIteratorERKN3c106ScalarES8_ENKUlvE_clEvENKUlvE1_clEvEUliiiE0_St5arrayIPcLm4EEEEviT0_T1_,comdat
.Lfunc_end56:
	.size	_ZN2at6native29vectorized_elementwise_kernelILi16EZZZNS0_12_GLOBAL__N_116addr_kernel_cudaERNS_14TensorIteratorERKN3c106ScalarES8_ENKUlvE_clEvENKUlvE1_clEvEUliiiE0_St5arrayIPcLm4EEEEviT0_T1_, .Lfunc_end56-_ZN2at6native29vectorized_elementwise_kernelILi16EZZZNS0_12_GLOBAL__N_116addr_kernel_cudaERNS_14TensorIteratorERKN3c106ScalarES8_ENKUlvE_clEvENKUlvE1_clEvEUliiiE0_St5arrayIPcLm4EEEEviT0_T1_
                                        ; -- End function
	.set _ZN2at6native29vectorized_elementwise_kernelILi16EZZZNS0_12_GLOBAL__N_116addr_kernel_cudaERNS_14TensorIteratorERKN3c106ScalarES8_ENKUlvE_clEvENKUlvE1_clEvEUliiiE0_St5arrayIPcLm4EEEEviT0_T1_.num_vgpr, 22
	.set _ZN2at6native29vectorized_elementwise_kernelILi16EZZZNS0_12_GLOBAL__N_116addr_kernel_cudaERNS_14TensorIteratorERKN3c106ScalarES8_ENKUlvE_clEvENKUlvE1_clEvEUliiiE0_St5arrayIPcLm4EEEEviT0_T1_.num_agpr, 0
	.set _ZN2at6native29vectorized_elementwise_kernelILi16EZZZNS0_12_GLOBAL__N_116addr_kernel_cudaERNS_14TensorIteratorERKN3c106ScalarES8_ENKUlvE_clEvENKUlvE1_clEvEUliiiE0_St5arrayIPcLm4EEEEviT0_T1_.numbered_sgpr, 22
	.set _ZN2at6native29vectorized_elementwise_kernelILi16EZZZNS0_12_GLOBAL__N_116addr_kernel_cudaERNS_14TensorIteratorERKN3c106ScalarES8_ENKUlvE_clEvENKUlvE1_clEvEUliiiE0_St5arrayIPcLm4EEEEviT0_T1_.num_named_barrier, 0
	.set _ZN2at6native29vectorized_elementwise_kernelILi16EZZZNS0_12_GLOBAL__N_116addr_kernel_cudaERNS_14TensorIteratorERKN3c106ScalarES8_ENKUlvE_clEvENKUlvE1_clEvEUliiiE0_St5arrayIPcLm4EEEEviT0_T1_.private_seg_size, 0
	.set _ZN2at6native29vectorized_elementwise_kernelILi16EZZZNS0_12_GLOBAL__N_116addr_kernel_cudaERNS_14TensorIteratorERKN3c106ScalarES8_ENKUlvE_clEvENKUlvE1_clEvEUliiiE0_St5arrayIPcLm4EEEEviT0_T1_.uses_vcc, 1
	.set _ZN2at6native29vectorized_elementwise_kernelILi16EZZZNS0_12_GLOBAL__N_116addr_kernel_cudaERNS_14TensorIteratorERKN3c106ScalarES8_ENKUlvE_clEvENKUlvE1_clEvEUliiiE0_St5arrayIPcLm4EEEEviT0_T1_.uses_flat_scratch, 0
	.set _ZN2at6native29vectorized_elementwise_kernelILi16EZZZNS0_12_GLOBAL__N_116addr_kernel_cudaERNS_14TensorIteratorERKN3c106ScalarES8_ENKUlvE_clEvENKUlvE1_clEvEUliiiE0_St5arrayIPcLm4EEEEviT0_T1_.has_dyn_sized_stack, 0
	.set _ZN2at6native29vectorized_elementwise_kernelILi16EZZZNS0_12_GLOBAL__N_116addr_kernel_cudaERNS_14TensorIteratorERKN3c106ScalarES8_ENKUlvE_clEvENKUlvE1_clEvEUliiiE0_St5arrayIPcLm4EEEEviT0_T1_.has_recursion, 0
	.set _ZN2at6native29vectorized_elementwise_kernelILi16EZZZNS0_12_GLOBAL__N_116addr_kernel_cudaERNS_14TensorIteratorERKN3c106ScalarES8_ENKUlvE_clEvENKUlvE1_clEvEUliiiE0_St5arrayIPcLm4EEEEviT0_T1_.has_indirect_call, 0
	.section	.AMDGPU.csdata,"",@progbits
; Kernel info:
; codeLenInByte = 1292
; TotalNumSgprs: 24
; NumVgprs: 22
; ScratchSize: 0
; MemoryBound: 0
; FloatMode: 240
; IeeeMode: 1
; LDSByteSize: 0 bytes/workgroup (compile time only)
; SGPRBlocks: 0
; VGPRBlocks: 1
; NumSGPRsForWavesPerEU: 24
; NumVGPRsForWavesPerEU: 22
; NamedBarCnt: 0
; Occupancy: 16
; WaveLimiterHint : 0
; COMPUTE_PGM_RSRC2:SCRATCH_EN: 0
; COMPUTE_PGM_RSRC2:USER_SGPR: 2
; COMPUTE_PGM_RSRC2:TRAP_HANDLER: 0
; COMPUTE_PGM_RSRC2:TGID_X_EN: 1
; COMPUTE_PGM_RSRC2:TGID_Y_EN: 0
; COMPUTE_PGM_RSRC2:TGID_Z_EN: 0
; COMPUTE_PGM_RSRC2:TIDIG_COMP_CNT: 0
	.section	.text._ZN2at6native29vectorized_elementwise_kernelILi8EZZZNS0_12_GLOBAL__N_116addr_kernel_cudaERNS_14TensorIteratorERKN3c106ScalarES8_ENKUlvE_clEvENKUlvE1_clEvEUliiiE0_St5arrayIPcLm4EEEEviT0_T1_,"axG",@progbits,_ZN2at6native29vectorized_elementwise_kernelILi8EZZZNS0_12_GLOBAL__N_116addr_kernel_cudaERNS_14TensorIteratorERKN3c106ScalarES8_ENKUlvE_clEvENKUlvE1_clEvEUliiiE0_St5arrayIPcLm4EEEEviT0_T1_,comdat
	.globl	_ZN2at6native29vectorized_elementwise_kernelILi8EZZZNS0_12_GLOBAL__N_116addr_kernel_cudaERNS_14TensorIteratorERKN3c106ScalarES8_ENKUlvE_clEvENKUlvE1_clEvEUliiiE0_St5arrayIPcLm4EEEEviT0_T1_ ; -- Begin function _ZN2at6native29vectorized_elementwise_kernelILi8EZZZNS0_12_GLOBAL__N_116addr_kernel_cudaERNS_14TensorIteratorERKN3c106ScalarES8_ENKUlvE_clEvENKUlvE1_clEvEUliiiE0_St5arrayIPcLm4EEEEviT0_T1_
	.p2align	8
	.type	_ZN2at6native29vectorized_elementwise_kernelILi8EZZZNS0_12_GLOBAL__N_116addr_kernel_cudaERNS_14TensorIteratorERKN3c106ScalarES8_ENKUlvE_clEvENKUlvE1_clEvEUliiiE0_St5arrayIPcLm4EEEEviT0_T1_,@function
_ZN2at6native29vectorized_elementwise_kernelILi8EZZZNS0_12_GLOBAL__N_116addr_kernel_cudaERNS_14TensorIteratorERKN3c106ScalarES8_ENKUlvE_clEvENKUlvE1_clEvEUliiiE0_St5arrayIPcLm4EEEEviT0_T1_: ; @_ZN2at6native29vectorized_elementwise_kernelILi8EZZZNS0_12_GLOBAL__N_116addr_kernel_cudaERNS_14TensorIteratorERKN3c106ScalarES8_ENKUlvE_clEvENKUlvE1_clEvEUliiiE0_St5arrayIPcLm4EEEEviT0_T1_
; %bb.0:
	s_clause 0x1
	s_load_b96 s[12:14], s[0:1], 0x0
	s_load_b256 s[4:11], s[0:1], 0x10
	s_wait_xcnt 0x0
	s_bfe_u32 s0, ttmp6, 0x4000c
	s_and_b32 s1, ttmp6, 15
	s_add_co_i32 s0, s0, 1
	s_getreg_b32 s2, hwreg(HW_REG_IB_STS2, 6, 4)
	s_mul_i32 s0, ttmp9, s0
	s_delay_alu instid0(SALU_CYCLE_1) | instskip(SKIP_2) | instid1(SALU_CYCLE_1)
	s_add_co_i32 s1, s1, s0
	s_cmp_eq_u32 s2, 0
	s_cselect_b32 s0, ttmp9, s1
	s_lshl_b32 s2, s0, 10
	s_mov_b32 s0, -1
	s_wait_kmcnt 0x0
	s_sub_co_i32 s1, s12, s2
	s_delay_alu instid0(SALU_CYCLE_1)
	s_cmp_gt_i32 s1, 0x3ff
	s_cbranch_scc0 .LBB57_2
; %bb.1:
	s_ashr_i32 s3, s2, 31
	s_mov_b32 s0, 0
	s_lshl_b64 s[16:17], s[2:3], 2
	s_delay_alu instid0(SALU_CYCLE_1)
	s_add_nc_u64 s[18:19], s[6:7], s[16:17]
	s_add_nc_u64 s[20:21], s[8:9], s[16:17]
	s_clause 0x1
	global_load_b128 v[2:5], v0, s[18:19] scale_offset
	global_load_b128 v[6:9], v0, s[20:21] scale_offset
	s_wait_xcnt 0x1
	s_add_nc_u64 s[18:19], s[10:11], s[16:17]
	s_add_nc_u64 s[16:17], s[4:5], s[16:17]
	global_load_b128 v[10:13], v0, s[18:19] scale_offset
	s_wait_loadcnt 0x2
	v_mul_lo_u32 v1, v2, s13
	v_mul_lo_u32 v2, v3, s13
	s_wait_loadcnt 0x1
	v_mul_lo_u32 v6, v6, s14
	v_mul_lo_u32 v3, v7, s14
	;; [unrolled: 1-line block ×6, first 2 shown]
	s_wait_loadcnt 0x0
	v_mad_u32 v3, v3, v11, v2
	v_mad_u32 v2, v6, v10, v1
	s_delay_alu instid0(VALU_DEP_4) | instskip(NEXT) | instid1(VALU_DEP_4)
	v_mad_u32 v5, v7, v13, v5
	v_mad_u32 v4, v8, v12, v4
	global_store_b128 v0, v[2:5], s[16:17] scale_offset
.LBB57_2:
	s_and_not1_b32 vcc_lo, exec_lo, s0
	s_cbranch_vccnz .LBB57_23
; %bb.3:
	v_cmp_gt_i32_e32 vcc_lo, s1, v0
	v_dual_mov_b32 v11, 0 :: v_dual_bitop2_b32 v1, s2, v0 bitop3:0x54
	v_or_b32_e32 v10, 0x100, v0
	v_dual_mov_b32 v18, 0 :: v_dual_mov_b32 v17, 0
	v_dual_mov_b32 v13, 0 :: v_dual_mov_b32 v14, 0
	;; [unrolled: 1-line block ×5, first 2 shown]
	s_wait_xcnt 0x0
	v_mov_b32_e32 v3, 0
	s_and_saveexec_b32 s3, vcc_lo
	s_cbranch_execz .LBB57_11
; %bb.4:
	s_clause 0x2
	global_load_b32 v19, v1, s[6:7] scale_offset
	global_load_b32 v20, v1, s[8:9] scale_offset
	;; [unrolled: 1-line block ×3, first 2 shown]
	v_or_b32_e32 v2, 0x100, v0
	v_dual_mov_b32 v3, 0 :: v_dual_mov_b32 v12, 0
	v_dual_mov_b32 v16, 0 :: v_dual_mov_b32 v15, 0
	;; [unrolled: 1-line block ×4, first 2 shown]
	v_mov_b32_e32 v11, 0
	s_mov_b32 s12, exec_lo
	s_wait_xcnt 0x0
	v_cmpx_gt_u32_e64 s1, v2
	s_cbranch_execz .LBB57_10
; %bb.5:
	v_dual_mov_b32 v3, 0 :: v_dual_add_nc_u32 v2, s2, v0
	v_or_b32_e32 v4, 0x200, v0
	v_dual_mov_b32 v12, 0 :: v_dual_mov_b32 v13, 0
	s_clause 0x2
	global_load_b32 v14, v2, s[6:7] offset:1024 scale_offset
	global_load_b32 v15, v2, s[8:9] offset:1024 scale_offset
	;; [unrolled: 1-line block ×3, first 2 shown]
	v_dual_mov_b32 v17, 0 :: v_dual_mov_b32 v18, 0
	v_mov_b32_e32 v11, 0
	s_mov_b32 s15, exec_lo
	s_wait_xcnt 0x0
	v_cmpx_gt_u32_e64 s1, v4
	s_cbranch_execz .LBB57_9
; %bb.6:
	v_lshlrev_b64_e32 v[8:9], 2, v[2:3]
	v_or_b32_e32 v2, 0x300, v0
	v_dual_mov_b32 v12, 0 :: v_dual_mov_b32 v11, 0
	s_delay_alu instid0(VALU_DEP_3)
	v_add_nc_u64_e32 v[4:5], s[6:7], v[8:9]
	v_add_nc_u64_e32 v[6:7], s[8:9], v[8:9]
	;; [unrolled: 1-line block ×3, first 2 shown]
	s_mov_b32 s6, exec_lo
	global_load_b32 v18, v[4:5], off offset:2048
	global_load_b32 v17, v[6:7], off offset:2048
	;; [unrolled: 1-line block ×3, first 2 shown]
	s_wait_xcnt 0x0
	v_cmpx_gt_u32_e64 s1, v2
	s_cbranch_execz .LBB57_8
; %bb.7:
	global_load_b32 v12, v[4:5], off offset:3072
	global_load_b32 v3, v[6:7], off offset:3072
	;; [unrolled: 1-line block ×3, first 2 shown]
.LBB57_8:
	s_wait_xcnt 0x0
	s_or_b32 exec_lo, exec_lo, s6
.LBB57_9:
	s_delay_alu instid0(SALU_CYCLE_1)
	s_or_b32 exec_lo, exec_lo, s15
.LBB57_10:
	s_delay_alu instid0(SALU_CYCLE_1) | instskip(NEXT) | instid1(SALU_CYCLE_1)
	s_or_b32 exec_lo, exec_lo, s12
	s_or_b32 exec_lo, exec_lo, s3
                                        ; implicit-def: $vgpr2
	s_and_saveexec_b32 s0, vcc_lo
	s_cbranch_execz .LBB57_13
	s_branch .LBB57_12
.LBB57_11:
	s_or_b32 exec_lo, exec_lo, s3
                                        ; implicit-def: $vgpr2
	s_and_saveexec_b32 s0, vcc_lo
	s_cbranch_execz .LBB57_13
.LBB57_12:
	s_wait_loadcnt 0x2
	v_mul_lo_u32 v2, v19, s13
	s_wait_loadcnt 0x1
	v_mul_lo_u32 v4, v20, s14
	s_wait_loadcnt 0x0
	s_delay_alu instid0(VALU_DEP_1)
	v_mad_u32 v2, v4, v21, v2
.LBB57_13:
	s_or_b32 exec_lo, exec_lo, s0
	s_delay_alu instid0(SALU_CYCLE_1)
	s_mov_b32 s3, exec_lo
                                        ; implicit-def: $vgpr4
	v_cmpx_gt_i32_e64 s1, v10
	s_cbranch_execz .LBB57_15
; %bb.14:
	s_wait_loadcnt 0x2
	v_mul_lo_u32 v4, v14, s13
	s_wait_loadcnt 0x1
	v_mul_lo_u32 v5, v15, s14
	s_wait_loadcnt 0x0
	s_delay_alu instid0(VALU_DEP_1)
	v_mad_u32 v4, v5, v16, v4
.LBB57_15:
	s_or_b32 exec_lo, exec_lo, s3
	v_or_b32_e32 v5, 0x200, v0
	s_delay_alu instid0(VALU_DEP_1)
	v_cmp_gt_i32_e64 s0, s1, v5
                                        ; implicit-def: $vgpr5
	s_and_saveexec_b32 s3, s0
	s_cbranch_execz .LBB57_17
; %bb.16:
	s_wait_loadcnt 0x2
	v_mul_lo_u32 v5, v18, s13
	s_wait_loadcnt 0x1
	v_mul_lo_u32 v6, v17, s14
	s_wait_loadcnt 0x0
	s_delay_alu instid0(VALU_DEP_1)
	v_mad_u32 v5, v6, v13, v5
.LBB57_17:
	s_or_b32 exec_lo, exec_lo, s3
	v_or_b32_e32 v6, 0x300, v0
	s_delay_alu instid0(VALU_DEP_1)
	v_cmp_gt_i32_e64 s0, s1, v6
                                        ; implicit-def: $vgpr6
	s_and_saveexec_b32 s3, s0
	s_cbranch_execz .LBB57_24
; %bb.18:
	s_wait_loadcnt 0x2
	v_mul_lo_u32 v6, v12, s13
	s_wait_loadcnt 0x1
	v_mul_lo_u32 v3, v3, s14
	s_wait_loadcnt 0x0
	s_delay_alu instid0(VALU_DEP_1) | instskip(SKIP_2) | instid1(SALU_CYCLE_1)
	v_mad_u32 v6, v3, v11, v6
	s_or_b32 exec_lo, exec_lo, s3
	s_and_saveexec_b32 s0, vcc_lo
	s_xor_b32 s0, exec_lo, s0
	s_cbranch_execnz .LBB57_25
.LBB57_19:
	s_or_b32 exec_lo, exec_lo, s0
	s_delay_alu instid0(SALU_CYCLE_1)
	s_mov_b32 s0, exec_lo
	v_cmpx_gt_i32_e64 s1, v0
	s_cbranch_execz .LBB57_26
.LBB57_20:
	v_add_nc_u32_e32 v1, s2, v0
	v_add_nc_u32_e32 v0, 0x100, v0
	global_store_b32 v1, v4, s[4:5] scale_offset
	s_wait_xcnt 0x0
	s_or_b32 exec_lo, exec_lo, s0
	s_delay_alu instid0(SALU_CYCLE_1)
	s_mov_b32 s0, exec_lo
	v_cmpx_gt_i32_e64 s1, v0
	s_cbranch_execnz .LBB57_27
.LBB57_21:
	s_or_b32 exec_lo, exec_lo, s0
	s_delay_alu instid0(SALU_CYCLE_1)
	s_mov_b32 s0, exec_lo
	v_cmpx_gt_i32_e64 s1, v0
	s_cbranch_execz .LBB57_23
.LBB57_22:
	v_add_nc_u32_e32 v0, s2, v0
	global_store_b32 v0, v6, s[4:5] scale_offset
.LBB57_23:
	s_endpgm
.LBB57_24:
	s_or_b32 exec_lo, exec_lo, s3
	s_and_saveexec_b32 s0, vcc_lo
	s_delay_alu instid0(SALU_CYCLE_1)
	s_xor_b32 s0, exec_lo, s0
	s_cbranch_execz .LBB57_19
.LBB57_25:
	v_mov_b32_e32 v0, v10
	global_store_b32 v1, v2, s[4:5] scale_offset
	s_wait_xcnt 0x0
	s_or_b32 exec_lo, exec_lo, s0
	s_delay_alu instid0(SALU_CYCLE_1)
	s_mov_b32 s0, exec_lo
	v_cmpx_gt_i32_e64 s1, v0
	s_cbranch_execnz .LBB57_20
.LBB57_26:
	s_or_b32 exec_lo, exec_lo, s0
	s_delay_alu instid0(SALU_CYCLE_1)
	s_mov_b32 s0, exec_lo
	v_cmpx_gt_i32_e64 s1, v0
	s_cbranch_execz .LBB57_21
.LBB57_27:
	v_add_nc_u32_e32 v1, s2, v0
	v_add_nc_u32_e32 v0, 0x100, v0
	global_store_b32 v1, v5, s[4:5] scale_offset
	s_wait_xcnt 0x0
	s_or_b32 exec_lo, exec_lo, s0
	s_delay_alu instid0(SALU_CYCLE_1)
	s_mov_b32 s0, exec_lo
	v_cmpx_gt_i32_e64 s1, v0
	s_cbranch_execnz .LBB57_22
	s_branch .LBB57_23
	.section	.rodata,"a",@progbits
	.p2align	6, 0x0
	.amdhsa_kernel _ZN2at6native29vectorized_elementwise_kernelILi8EZZZNS0_12_GLOBAL__N_116addr_kernel_cudaERNS_14TensorIteratorERKN3c106ScalarES8_ENKUlvE_clEvENKUlvE1_clEvEUliiiE0_St5arrayIPcLm4EEEEviT0_T1_
		.amdhsa_group_segment_fixed_size 0
		.amdhsa_private_segment_fixed_size 0
		.amdhsa_kernarg_size 48
		.amdhsa_user_sgpr_count 2
		.amdhsa_user_sgpr_dispatch_ptr 0
		.amdhsa_user_sgpr_queue_ptr 0
		.amdhsa_user_sgpr_kernarg_segment_ptr 1
		.amdhsa_user_sgpr_dispatch_id 0
		.amdhsa_user_sgpr_kernarg_preload_length 0
		.amdhsa_user_sgpr_kernarg_preload_offset 0
		.amdhsa_user_sgpr_private_segment_size 0
		.amdhsa_wavefront_size32 1
		.amdhsa_uses_dynamic_stack 0
		.amdhsa_enable_private_segment 0
		.amdhsa_system_sgpr_workgroup_id_x 1
		.amdhsa_system_sgpr_workgroup_id_y 0
		.amdhsa_system_sgpr_workgroup_id_z 0
		.amdhsa_system_sgpr_workgroup_info 0
		.amdhsa_system_vgpr_workitem_id 0
		.amdhsa_next_free_vgpr 22
		.amdhsa_next_free_sgpr 22
		.amdhsa_named_barrier_count 0
		.amdhsa_reserve_vcc 1
		.amdhsa_float_round_mode_32 0
		.amdhsa_float_round_mode_16_64 0
		.amdhsa_float_denorm_mode_32 3
		.amdhsa_float_denorm_mode_16_64 3
		.amdhsa_fp16_overflow 0
		.amdhsa_memory_ordered 1
		.amdhsa_forward_progress 1
		.amdhsa_inst_pref_size 11
		.amdhsa_round_robin_scheduling 0
		.amdhsa_exception_fp_ieee_invalid_op 0
		.amdhsa_exception_fp_denorm_src 0
		.amdhsa_exception_fp_ieee_div_zero 0
		.amdhsa_exception_fp_ieee_overflow 0
		.amdhsa_exception_fp_ieee_underflow 0
		.amdhsa_exception_fp_ieee_inexact 0
		.amdhsa_exception_int_div_zero 0
	.end_amdhsa_kernel
	.section	.text._ZN2at6native29vectorized_elementwise_kernelILi8EZZZNS0_12_GLOBAL__N_116addr_kernel_cudaERNS_14TensorIteratorERKN3c106ScalarES8_ENKUlvE_clEvENKUlvE1_clEvEUliiiE0_St5arrayIPcLm4EEEEviT0_T1_,"axG",@progbits,_ZN2at6native29vectorized_elementwise_kernelILi8EZZZNS0_12_GLOBAL__N_116addr_kernel_cudaERNS_14TensorIteratorERKN3c106ScalarES8_ENKUlvE_clEvENKUlvE1_clEvEUliiiE0_St5arrayIPcLm4EEEEviT0_T1_,comdat
.Lfunc_end57:
	.size	_ZN2at6native29vectorized_elementwise_kernelILi8EZZZNS0_12_GLOBAL__N_116addr_kernel_cudaERNS_14TensorIteratorERKN3c106ScalarES8_ENKUlvE_clEvENKUlvE1_clEvEUliiiE0_St5arrayIPcLm4EEEEviT0_T1_, .Lfunc_end57-_ZN2at6native29vectorized_elementwise_kernelILi8EZZZNS0_12_GLOBAL__N_116addr_kernel_cudaERNS_14TensorIteratorERKN3c106ScalarES8_ENKUlvE_clEvENKUlvE1_clEvEUliiiE0_St5arrayIPcLm4EEEEviT0_T1_
                                        ; -- End function
	.set _ZN2at6native29vectorized_elementwise_kernelILi8EZZZNS0_12_GLOBAL__N_116addr_kernel_cudaERNS_14TensorIteratorERKN3c106ScalarES8_ENKUlvE_clEvENKUlvE1_clEvEUliiiE0_St5arrayIPcLm4EEEEviT0_T1_.num_vgpr, 22
	.set _ZN2at6native29vectorized_elementwise_kernelILi8EZZZNS0_12_GLOBAL__N_116addr_kernel_cudaERNS_14TensorIteratorERKN3c106ScalarES8_ENKUlvE_clEvENKUlvE1_clEvEUliiiE0_St5arrayIPcLm4EEEEviT0_T1_.num_agpr, 0
	.set _ZN2at6native29vectorized_elementwise_kernelILi8EZZZNS0_12_GLOBAL__N_116addr_kernel_cudaERNS_14TensorIteratorERKN3c106ScalarES8_ENKUlvE_clEvENKUlvE1_clEvEUliiiE0_St5arrayIPcLm4EEEEviT0_T1_.numbered_sgpr, 22
	.set _ZN2at6native29vectorized_elementwise_kernelILi8EZZZNS0_12_GLOBAL__N_116addr_kernel_cudaERNS_14TensorIteratorERKN3c106ScalarES8_ENKUlvE_clEvENKUlvE1_clEvEUliiiE0_St5arrayIPcLm4EEEEviT0_T1_.num_named_barrier, 0
	.set _ZN2at6native29vectorized_elementwise_kernelILi8EZZZNS0_12_GLOBAL__N_116addr_kernel_cudaERNS_14TensorIteratorERKN3c106ScalarES8_ENKUlvE_clEvENKUlvE1_clEvEUliiiE0_St5arrayIPcLm4EEEEviT0_T1_.private_seg_size, 0
	.set _ZN2at6native29vectorized_elementwise_kernelILi8EZZZNS0_12_GLOBAL__N_116addr_kernel_cudaERNS_14TensorIteratorERKN3c106ScalarES8_ENKUlvE_clEvENKUlvE1_clEvEUliiiE0_St5arrayIPcLm4EEEEviT0_T1_.uses_vcc, 1
	.set _ZN2at6native29vectorized_elementwise_kernelILi8EZZZNS0_12_GLOBAL__N_116addr_kernel_cudaERNS_14TensorIteratorERKN3c106ScalarES8_ENKUlvE_clEvENKUlvE1_clEvEUliiiE0_St5arrayIPcLm4EEEEviT0_T1_.uses_flat_scratch, 0
	.set _ZN2at6native29vectorized_elementwise_kernelILi8EZZZNS0_12_GLOBAL__N_116addr_kernel_cudaERNS_14TensorIteratorERKN3c106ScalarES8_ENKUlvE_clEvENKUlvE1_clEvEUliiiE0_St5arrayIPcLm4EEEEviT0_T1_.has_dyn_sized_stack, 0
	.set _ZN2at6native29vectorized_elementwise_kernelILi8EZZZNS0_12_GLOBAL__N_116addr_kernel_cudaERNS_14TensorIteratorERKN3c106ScalarES8_ENKUlvE_clEvENKUlvE1_clEvEUliiiE0_St5arrayIPcLm4EEEEviT0_T1_.has_recursion, 0
	.set _ZN2at6native29vectorized_elementwise_kernelILi8EZZZNS0_12_GLOBAL__N_116addr_kernel_cudaERNS_14TensorIteratorERKN3c106ScalarES8_ENKUlvE_clEvENKUlvE1_clEvEUliiiE0_St5arrayIPcLm4EEEEviT0_T1_.has_indirect_call, 0
	.section	.AMDGPU.csdata,"",@progbits
; Kernel info:
; codeLenInByte = 1292
; TotalNumSgprs: 24
; NumVgprs: 22
; ScratchSize: 0
; MemoryBound: 0
; FloatMode: 240
; IeeeMode: 1
; LDSByteSize: 0 bytes/workgroup (compile time only)
; SGPRBlocks: 0
; VGPRBlocks: 1
; NumSGPRsForWavesPerEU: 24
; NumVGPRsForWavesPerEU: 22
; NamedBarCnt: 0
; Occupancy: 16
; WaveLimiterHint : 0
; COMPUTE_PGM_RSRC2:SCRATCH_EN: 0
; COMPUTE_PGM_RSRC2:USER_SGPR: 2
; COMPUTE_PGM_RSRC2:TRAP_HANDLER: 0
; COMPUTE_PGM_RSRC2:TGID_X_EN: 1
; COMPUTE_PGM_RSRC2:TGID_Y_EN: 0
; COMPUTE_PGM_RSRC2:TGID_Z_EN: 0
; COMPUTE_PGM_RSRC2:TIDIG_COMP_CNT: 0
	.section	.text._ZN2at6native29vectorized_elementwise_kernelILi4EZZZNS0_12_GLOBAL__N_116addr_kernel_cudaERNS_14TensorIteratorERKN3c106ScalarES8_ENKUlvE_clEvENKUlvE1_clEvEUliiiE0_St5arrayIPcLm4EEEEviT0_T1_,"axG",@progbits,_ZN2at6native29vectorized_elementwise_kernelILi4EZZZNS0_12_GLOBAL__N_116addr_kernel_cudaERNS_14TensorIteratorERKN3c106ScalarES8_ENKUlvE_clEvENKUlvE1_clEvEUliiiE0_St5arrayIPcLm4EEEEviT0_T1_,comdat
	.globl	_ZN2at6native29vectorized_elementwise_kernelILi4EZZZNS0_12_GLOBAL__N_116addr_kernel_cudaERNS_14TensorIteratorERKN3c106ScalarES8_ENKUlvE_clEvENKUlvE1_clEvEUliiiE0_St5arrayIPcLm4EEEEviT0_T1_ ; -- Begin function _ZN2at6native29vectorized_elementwise_kernelILi4EZZZNS0_12_GLOBAL__N_116addr_kernel_cudaERNS_14TensorIteratorERKN3c106ScalarES8_ENKUlvE_clEvENKUlvE1_clEvEUliiiE0_St5arrayIPcLm4EEEEviT0_T1_
	.p2align	8
	.type	_ZN2at6native29vectorized_elementwise_kernelILi4EZZZNS0_12_GLOBAL__N_116addr_kernel_cudaERNS_14TensorIteratorERKN3c106ScalarES8_ENKUlvE_clEvENKUlvE1_clEvEUliiiE0_St5arrayIPcLm4EEEEviT0_T1_,@function
_ZN2at6native29vectorized_elementwise_kernelILi4EZZZNS0_12_GLOBAL__N_116addr_kernel_cudaERNS_14TensorIteratorERKN3c106ScalarES8_ENKUlvE_clEvENKUlvE1_clEvEUliiiE0_St5arrayIPcLm4EEEEviT0_T1_: ; @_ZN2at6native29vectorized_elementwise_kernelILi4EZZZNS0_12_GLOBAL__N_116addr_kernel_cudaERNS_14TensorIteratorERKN3c106ScalarES8_ENKUlvE_clEvENKUlvE1_clEvEUliiiE0_St5arrayIPcLm4EEEEviT0_T1_
; %bb.0:
	s_clause 0x1
	s_load_b96 s[12:14], s[0:1], 0x0
	s_load_b256 s[4:11], s[0:1], 0x10
	s_wait_xcnt 0x0
	s_bfe_u32 s0, ttmp6, 0x4000c
	s_and_b32 s1, ttmp6, 15
	s_add_co_i32 s0, s0, 1
	s_getreg_b32 s2, hwreg(HW_REG_IB_STS2, 6, 4)
	s_mul_i32 s0, ttmp9, s0
	s_delay_alu instid0(SALU_CYCLE_1) | instskip(SKIP_2) | instid1(SALU_CYCLE_1)
	s_add_co_i32 s1, s1, s0
	s_cmp_eq_u32 s2, 0
	s_cselect_b32 s0, ttmp9, s1
	s_lshl_b32 s2, s0, 10
	s_mov_b32 s0, -1
	s_wait_kmcnt 0x0
	s_sub_co_i32 s1, s12, s2
	s_delay_alu instid0(SALU_CYCLE_1)
	s_cmp_gt_i32 s1, 0x3ff
	s_cbranch_scc0 .LBB58_2
; %bb.1:
	s_ashr_i32 s3, s2, 31
	s_mov_b32 s0, 0
	s_lshl_b64 s[16:17], s[2:3], 2
	s_delay_alu instid0(SALU_CYCLE_1)
	s_add_nc_u64 s[18:19], s[6:7], s[16:17]
	s_add_nc_u64 s[20:21], s[8:9], s[16:17]
	s_clause 0x1
	global_load_b128 v[2:5], v0, s[18:19] scale_offset
	global_load_b128 v[6:9], v0, s[20:21] scale_offset
	s_wait_xcnt 0x1
	s_add_nc_u64 s[18:19], s[10:11], s[16:17]
	s_add_nc_u64 s[16:17], s[4:5], s[16:17]
	global_load_b128 v[10:13], v0, s[18:19] scale_offset
	s_wait_loadcnt 0x2
	v_mul_lo_u32 v1, v2, s13
	v_mul_lo_u32 v2, v3, s13
	s_wait_loadcnt 0x1
	v_mul_lo_u32 v6, v6, s14
	v_mul_lo_u32 v3, v7, s14
	;; [unrolled: 1-line block ×6, first 2 shown]
	s_wait_loadcnt 0x0
	v_mad_u32 v3, v3, v11, v2
	v_mad_u32 v2, v6, v10, v1
	s_delay_alu instid0(VALU_DEP_4) | instskip(NEXT) | instid1(VALU_DEP_4)
	v_mad_u32 v5, v7, v13, v5
	v_mad_u32 v4, v8, v12, v4
	global_store_b128 v0, v[2:5], s[16:17] scale_offset
.LBB58_2:
	s_and_not1_b32 vcc_lo, exec_lo, s0
	s_cbranch_vccnz .LBB58_23
; %bb.3:
	v_cmp_gt_i32_e32 vcc_lo, s1, v0
	v_dual_mov_b32 v11, 0 :: v_dual_bitop2_b32 v1, s2, v0 bitop3:0x54
	v_or_b32_e32 v10, 0x100, v0
	v_dual_mov_b32 v18, 0 :: v_dual_mov_b32 v17, 0
	v_dual_mov_b32 v13, 0 :: v_dual_mov_b32 v14, 0
	;; [unrolled: 1-line block ×5, first 2 shown]
	s_wait_xcnt 0x0
	v_mov_b32_e32 v3, 0
	s_and_saveexec_b32 s3, vcc_lo
	s_cbranch_execz .LBB58_11
; %bb.4:
	s_clause 0x2
	global_load_b32 v19, v1, s[6:7] scale_offset
	global_load_b32 v20, v1, s[8:9] scale_offset
	;; [unrolled: 1-line block ×3, first 2 shown]
	v_or_b32_e32 v2, 0x100, v0
	v_dual_mov_b32 v3, 0 :: v_dual_mov_b32 v12, 0
	v_dual_mov_b32 v16, 0 :: v_dual_mov_b32 v15, 0
	;; [unrolled: 1-line block ×4, first 2 shown]
	v_mov_b32_e32 v11, 0
	s_mov_b32 s12, exec_lo
	s_wait_xcnt 0x0
	v_cmpx_gt_u32_e64 s1, v2
	s_cbranch_execz .LBB58_10
; %bb.5:
	v_dual_mov_b32 v3, 0 :: v_dual_add_nc_u32 v2, s2, v0
	v_or_b32_e32 v4, 0x200, v0
	v_dual_mov_b32 v12, 0 :: v_dual_mov_b32 v13, 0
	s_clause 0x2
	global_load_b32 v14, v2, s[6:7] offset:1024 scale_offset
	global_load_b32 v15, v2, s[8:9] offset:1024 scale_offset
	;; [unrolled: 1-line block ×3, first 2 shown]
	v_dual_mov_b32 v17, 0 :: v_dual_mov_b32 v18, 0
	v_mov_b32_e32 v11, 0
	s_mov_b32 s15, exec_lo
	s_wait_xcnt 0x0
	v_cmpx_gt_u32_e64 s1, v4
	s_cbranch_execz .LBB58_9
; %bb.6:
	v_lshlrev_b64_e32 v[8:9], 2, v[2:3]
	v_or_b32_e32 v2, 0x300, v0
	v_dual_mov_b32 v12, 0 :: v_dual_mov_b32 v11, 0
	s_delay_alu instid0(VALU_DEP_3)
	v_add_nc_u64_e32 v[4:5], s[6:7], v[8:9]
	v_add_nc_u64_e32 v[6:7], s[8:9], v[8:9]
	;; [unrolled: 1-line block ×3, first 2 shown]
	s_mov_b32 s6, exec_lo
	global_load_b32 v18, v[4:5], off offset:2048
	global_load_b32 v17, v[6:7], off offset:2048
	;; [unrolled: 1-line block ×3, first 2 shown]
	s_wait_xcnt 0x0
	v_cmpx_gt_u32_e64 s1, v2
	s_cbranch_execz .LBB58_8
; %bb.7:
	global_load_b32 v12, v[4:5], off offset:3072
	global_load_b32 v3, v[6:7], off offset:3072
	global_load_b32 v11, v[8:9], off offset:3072
.LBB58_8:
	s_wait_xcnt 0x0
	s_or_b32 exec_lo, exec_lo, s6
.LBB58_9:
	s_delay_alu instid0(SALU_CYCLE_1)
	s_or_b32 exec_lo, exec_lo, s15
.LBB58_10:
	s_delay_alu instid0(SALU_CYCLE_1) | instskip(NEXT) | instid1(SALU_CYCLE_1)
	s_or_b32 exec_lo, exec_lo, s12
	s_or_b32 exec_lo, exec_lo, s3
                                        ; implicit-def: $vgpr2
	s_and_saveexec_b32 s0, vcc_lo
	s_cbranch_execz .LBB58_13
	s_branch .LBB58_12
.LBB58_11:
	s_or_b32 exec_lo, exec_lo, s3
                                        ; implicit-def: $vgpr2
	s_and_saveexec_b32 s0, vcc_lo
	s_cbranch_execz .LBB58_13
.LBB58_12:
	s_wait_loadcnt 0x2
	v_mul_lo_u32 v2, v19, s13
	s_wait_loadcnt 0x1
	v_mul_lo_u32 v4, v20, s14
	s_wait_loadcnt 0x0
	s_delay_alu instid0(VALU_DEP_1)
	v_mad_u32 v2, v4, v21, v2
.LBB58_13:
	s_or_b32 exec_lo, exec_lo, s0
	s_delay_alu instid0(SALU_CYCLE_1)
	s_mov_b32 s3, exec_lo
                                        ; implicit-def: $vgpr4
	v_cmpx_gt_i32_e64 s1, v10
	s_cbranch_execz .LBB58_15
; %bb.14:
	s_wait_loadcnt 0x2
	v_mul_lo_u32 v4, v14, s13
	s_wait_loadcnt 0x1
	v_mul_lo_u32 v5, v15, s14
	s_wait_loadcnt 0x0
	s_delay_alu instid0(VALU_DEP_1)
	v_mad_u32 v4, v5, v16, v4
.LBB58_15:
	s_or_b32 exec_lo, exec_lo, s3
	v_or_b32_e32 v5, 0x200, v0
	s_delay_alu instid0(VALU_DEP_1)
	v_cmp_gt_i32_e64 s0, s1, v5
                                        ; implicit-def: $vgpr5
	s_and_saveexec_b32 s3, s0
	s_cbranch_execz .LBB58_17
; %bb.16:
	s_wait_loadcnt 0x2
	v_mul_lo_u32 v5, v18, s13
	s_wait_loadcnt 0x1
	v_mul_lo_u32 v6, v17, s14
	s_wait_loadcnt 0x0
	s_delay_alu instid0(VALU_DEP_1)
	v_mad_u32 v5, v6, v13, v5
.LBB58_17:
	s_or_b32 exec_lo, exec_lo, s3
	v_or_b32_e32 v6, 0x300, v0
	s_delay_alu instid0(VALU_DEP_1)
	v_cmp_gt_i32_e64 s0, s1, v6
                                        ; implicit-def: $vgpr6
	s_and_saveexec_b32 s3, s0
	s_cbranch_execz .LBB58_24
; %bb.18:
	s_wait_loadcnt 0x2
	v_mul_lo_u32 v6, v12, s13
	s_wait_loadcnt 0x1
	v_mul_lo_u32 v3, v3, s14
	s_wait_loadcnt 0x0
	s_delay_alu instid0(VALU_DEP_1) | instskip(SKIP_2) | instid1(SALU_CYCLE_1)
	v_mad_u32 v6, v3, v11, v6
	s_or_b32 exec_lo, exec_lo, s3
	s_and_saveexec_b32 s0, vcc_lo
	s_xor_b32 s0, exec_lo, s0
	s_cbranch_execnz .LBB58_25
.LBB58_19:
	s_or_b32 exec_lo, exec_lo, s0
	s_delay_alu instid0(SALU_CYCLE_1)
	s_mov_b32 s0, exec_lo
	v_cmpx_gt_i32_e64 s1, v0
	s_cbranch_execz .LBB58_26
.LBB58_20:
	v_add_nc_u32_e32 v1, s2, v0
	v_add_nc_u32_e32 v0, 0x100, v0
	global_store_b32 v1, v4, s[4:5] scale_offset
	s_wait_xcnt 0x0
	s_or_b32 exec_lo, exec_lo, s0
	s_delay_alu instid0(SALU_CYCLE_1)
	s_mov_b32 s0, exec_lo
	v_cmpx_gt_i32_e64 s1, v0
	s_cbranch_execnz .LBB58_27
.LBB58_21:
	s_or_b32 exec_lo, exec_lo, s0
	s_delay_alu instid0(SALU_CYCLE_1)
	s_mov_b32 s0, exec_lo
	v_cmpx_gt_i32_e64 s1, v0
	s_cbranch_execz .LBB58_23
.LBB58_22:
	v_add_nc_u32_e32 v0, s2, v0
	global_store_b32 v0, v6, s[4:5] scale_offset
.LBB58_23:
	s_endpgm
.LBB58_24:
	s_or_b32 exec_lo, exec_lo, s3
	s_and_saveexec_b32 s0, vcc_lo
	s_delay_alu instid0(SALU_CYCLE_1)
	s_xor_b32 s0, exec_lo, s0
	s_cbranch_execz .LBB58_19
.LBB58_25:
	v_mov_b32_e32 v0, v10
	global_store_b32 v1, v2, s[4:5] scale_offset
	s_wait_xcnt 0x0
	s_or_b32 exec_lo, exec_lo, s0
	s_delay_alu instid0(SALU_CYCLE_1)
	s_mov_b32 s0, exec_lo
	v_cmpx_gt_i32_e64 s1, v0
	s_cbranch_execnz .LBB58_20
.LBB58_26:
	s_or_b32 exec_lo, exec_lo, s0
	s_delay_alu instid0(SALU_CYCLE_1)
	s_mov_b32 s0, exec_lo
	v_cmpx_gt_i32_e64 s1, v0
	s_cbranch_execz .LBB58_21
.LBB58_27:
	v_add_nc_u32_e32 v1, s2, v0
	v_add_nc_u32_e32 v0, 0x100, v0
	global_store_b32 v1, v5, s[4:5] scale_offset
	s_wait_xcnt 0x0
	s_or_b32 exec_lo, exec_lo, s0
	s_delay_alu instid0(SALU_CYCLE_1)
	s_mov_b32 s0, exec_lo
	v_cmpx_gt_i32_e64 s1, v0
	s_cbranch_execnz .LBB58_22
	s_branch .LBB58_23
	.section	.rodata,"a",@progbits
	.p2align	6, 0x0
	.amdhsa_kernel _ZN2at6native29vectorized_elementwise_kernelILi4EZZZNS0_12_GLOBAL__N_116addr_kernel_cudaERNS_14TensorIteratorERKN3c106ScalarES8_ENKUlvE_clEvENKUlvE1_clEvEUliiiE0_St5arrayIPcLm4EEEEviT0_T1_
		.amdhsa_group_segment_fixed_size 0
		.amdhsa_private_segment_fixed_size 0
		.amdhsa_kernarg_size 48
		.amdhsa_user_sgpr_count 2
		.amdhsa_user_sgpr_dispatch_ptr 0
		.amdhsa_user_sgpr_queue_ptr 0
		.amdhsa_user_sgpr_kernarg_segment_ptr 1
		.amdhsa_user_sgpr_dispatch_id 0
		.amdhsa_user_sgpr_kernarg_preload_length 0
		.amdhsa_user_sgpr_kernarg_preload_offset 0
		.amdhsa_user_sgpr_private_segment_size 0
		.amdhsa_wavefront_size32 1
		.amdhsa_uses_dynamic_stack 0
		.amdhsa_enable_private_segment 0
		.amdhsa_system_sgpr_workgroup_id_x 1
		.amdhsa_system_sgpr_workgroup_id_y 0
		.amdhsa_system_sgpr_workgroup_id_z 0
		.amdhsa_system_sgpr_workgroup_info 0
		.amdhsa_system_vgpr_workitem_id 0
		.amdhsa_next_free_vgpr 22
		.amdhsa_next_free_sgpr 22
		.amdhsa_named_barrier_count 0
		.amdhsa_reserve_vcc 1
		.amdhsa_float_round_mode_32 0
		.amdhsa_float_round_mode_16_64 0
		.amdhsa_float_denorm_mode_32 3
		.amdhsa_float_denorm_mode_16_64 3
		.amdhsa_fp16_overflow 0
		.amdhsa_memory_ordered 1
		.amdhsa_forward_progress 1
		.amdhsa_inst_pref_size 11
		.amdhsa_round_robin_scheduling 0
		.amdhsa_exception_fp_ieee_invalid_op 0
		.amdhsa_exception_fp_denorm_src 0
		.amdhsa_exception_fp_ieee_div_zero 0
		.amdhsa_exception_fp_ieee_overflow 0
		.amdhsa_exception_fp_ieee_underflow 0
		.amdhsa_exception_fp_ieee_inexact 0
		.amdhsa_exception_int_div_zero 0
	.end_amdhsa_kernel
	.section	.text._ZN2at6native29vectorized_elementwise_kernelILi4EZZZNS0_12_GLOBAL__N_116addr_kernel_cudaERNS_14TensorIteratorERKN3c106ScalarES8_ENKUlvE_clEvENKUlvE1_clEvEUliiiE0_St5arrayIPcLm4EEEEviT0_T1_,"axG",@progbits,_ZN2at6native29vectorized_elementwise_kernelILi4EZZZNS0_12_GLOBAL__N_116addr_kernel_cudaERNS_14TensorIteratorERKN3c106ScalarES8_ENKUlvE_clEvENKUlvE1_clEvEUliiiE0_St5arrayIPcLm4EEEEviT0_T1_,comdat
.Lfunc_end58:
	.size	_ZN2at6native29vectorized_elementwise_kernelILi4EZZZNS0_12_GLOBAL__N_116addr_kernel_cudaERNS_14TensorIteratorERKN3c106ScalarES8_ENKUlvE_clEvENKUlvE1_clEvEUliiiE0_St5arrayIPcLm4EEEEviT0_T1_, .Lfunc_end58-_ZN2at6native29vectorized_elementwise_kernelILi4EZZZNS0_12_GLOBAL__N_116addr_kernel_cudaERNS_14TensorIteratorERKN3c106ScalarES8_ENKUlvE_clEvENKUlvE1_clEvEUliiiE0_St5arrayIPcLm4EEEEviT0_T1_
                                        ; -- End function
	.set _ZN2at6native29vectorized_elementwise_kernelILi4EZZZNS0_12_GLOBAL__N_116addr_kernel_cudaERNS_14TensorIteratorERKN3c106ScalarES8_ENKUlvE_clEvENKUlvE1_clEvEUliiiE0_St5arrayIPcLm4EEEEviT0_T1_.num_vgpr, 22
	.set _ZN2at6native29vectorized_elementwise_kernelILi4EZZZNS0_12_GLOBAL__N_116addr_kernel_cudaERNS_14TensorIteratorERKN3c106ScalarES8_ENKUlvE_clEvENKUlvE1_clEvEUliiiE0_St5arrayIPcLm4EEEEviT0_T1_.num_agpr, 0
	.set _ZN2at6native29vectorized_elementwise_kernelILi4EZZZNS0_12_GLOBAL__N_116addr_kernel_cudaERNS_14TensorIteratorERKN3c106ScalarES8_ENKUlvE_clEvENKUlvE1_clEvEUliiiE0_St5arrayIPcLm4EEEEviT0_T1_.numbered_sgpr, 22
	.set _ZN2at6native29vectorized_elementwise_kernelILi4EZZZNS0_12_GLOBAL__N_116addr_kernel_cudaERNS_14TensorIteratorERKN3c106ScalarES8_ENKUlvE_clEvENKUlvE1_clEvEUliiiE0_St5arrayIPcLm4EEEEviT0_T1_.num_named_barrier, 0
	.set _ZN2at6native29vectorized_elementwise_kernelILi4EZZZNS0_12_GLOBAL__N_116addr_kernel_cudaERNS_14TensorIteratorERKN3c106ScalarES8_ENKUlvE_clEvENKUlvE1_clEvEUliiiE0_St5arrayIPcLm4EEEEviT0_T1_.private_seg_size, 0
	.set _ZN2at6native29vectorized_elementwise_kernelILi4EZZZNS0_12_GLOBAL__N_116addr_kernel_cudaERNS_14TensorIteratorERKN3c106ScalarES8_ENKUlvE_clEvENKUlvE1_clEvEUliiiE0_St5arrayIPcLm4EEEEviT0_T1_.uses_vcc, 1
	.set _ZN2at6native29vectorized_elementwise_kernelILi4EZZZNS0_12_GLOBAL__N_116addr_kernel_cudaERNS_14TensorIteratorERKN3c106ScalarES8_ENKUlvE_clEvENKUlvE1_clEvEUliiiE0_St5arrayIPcLm4EEEEviT0_T1_.uses_flat_scratch, 0
	.set _ZN2at6native29vectorized_elementwise_kernelILi4EZZZNS0_12_GLOBAL__N_116addr_kernel_cudaERNS_14TensorIteratorERKN3c106ScalarES8_ENKUlvE_clEvENKUlvE1_clEvEUliiiE0_St5arrayIPcLm4EEEEviT0_T1_.has_dyn_sized_stack, 0
	.set _ZN2at6native29vectorized_elementwise_kernelILi4EZZZNS0_12_GLOBAL__N_116addr_kernel_cudaERNS_14TensorIteratorERKN3c106ScalarES8_ENKUlvE_clEvENKUlvE1_clEvEUliiiE0_St5arrayIPcLm4EEEEviT0_T1_.has_recursion, 0
	.set _ZN2at6native29vectorized_elementwise_kernelILi4EZZZNS0_12_GLOBAL__N_116addr_kernel_cudaERNS_14TensorIteratorERKN3c106ScalarES8_ENKUlvE_clEvENKUlvE1_clEvEUliiiE0_St5arrayIPcLm4EEEEviT0_T1_.has_indirect_call, 0
	.section	.AMDGPU.csdata,"",@progbits
; Kernel info:
; codeLenInByte = 1292
; TotalNumSgprs: 24
; NumVgprs: 22
; ScratchSize: 0
; MemoryBound: 0
; FloatMode: 240
; IeeeMode: 1
; LDSByteSize: 0 bytes/workgroup (compile time only)
; SGPRBlocks: 0
; VGPRBlocks: 1
; NumSGPRsForWavesPerEU: 24
; NumVGPRsForWavesPerEU: 22
; NamedBarCnt: 0
; Occupancy: 16
; WaveLimiterHint : 0
; COMPUTE_PGM_RSRC2:SCRATCH_EN: 0
; COMPUTE_PGM_RSRC2:USER_SGPR: 2
; COMPUTE_PGM_RSRC2:TRAP_HANDLER: 0
; COMPUTE_PGM_RSRC2:TGID_X_EN: 1
; COMPUTE_PGM_RSRC2:TGID_Y_EN: 0
; COMPUTE_PGM_RSRC2:TGID_Z_EN: 0
; COMPUTE_PGM_RSRC2:TIDIG_COMP_CNT: 0
	.section	.text._ZN2at6native29vectorized_elementwise_kernelILi2EZZZNS0_12_GLOBAL__N_116addr_kernel_cudaERNS_14TensorIteratorERKN3c106ScalarES8_ENKUlvE_clEvENKUlvE1_clEvEUliiiE0_St5arrayIPcLm4EEEEviT0_T1_,"axG",@progbits,_ZN2at6native29vectorized_elementwise_kernelILi2EZZZNS0_12_GLOBAL__N_116addr_kernel_cudaERNS_14TensorIteratorERKN3c106ScalarES8_ENKUlvE_clEvENKUlvE1_clEvEUliiiE0_St5arrayIPcLm4EEEEviT0_T1_,comdat
	.globl	_ZN2at6native29vectorized_elementwise_kernelILi2EZZZNS0_12_GLOBAL__N_116addr_kernel_cudaERNS_14TensorIteratorERKN3c106ScalarES8_ENKUlvE_clEvENKUlvE1_clEvEUliiiE0_St5arrayIPcLm4EEEEviT0_T1_ ; -- Begin function _ZN2at6native29vectorized_elementwise_kernelILi2EZZZNS0_12_GLOBAL__N_116addr_kernel_cudaERNS_14TensorIteratorERKN3c106ScalarES8_ENKUlvE_clEvENKUlvE1_clEvEUliiiE0_St5arrayIPcLm4EEEEviT0_T1_
	.p2align	8
	.type	_ZN2at6native29vectorized_elementwise_kernelILi2EZZZNS0_12_GLOBAL__N_116addr_kernel_cudaERNS_14TensorIteratorERKN3c106ScalarES8_ENKUlvE_clEvENKUlvE1_clEvEUliiiE0_St5arrayIPcLm4EEEEviT0_T1_,@function
_ZN2at6native29vectorized_elementwise_kernelILi2EZZZNS0_12_GLOBAL__N_116addr_kernel_cudaERNS_14TensorIteratorERKN3c106ScalarES8_ENKUlvE_clEvENKUlvE1_clEvEUliiiE0_St5arrayIPcLm4EEEEviT0_T1_: ; @_ZN2at6native29vectorized_elementwise_kernelILi2EZZZNS0_12_GLOBAL__N_116addr_kernel_cudaERNS_14TensorIteratorERKN3c106ScalarES8_ENKUlvE_clEvENKUlvE1_clEvEUliiiE0_St5arrayIPcLm4EEEEviT0_T1_
; %bb.0:
	s_clause 0x1
	s_load_b96 s[12:14], s[0:1], 0x0
	s_load_b256 s[4:11], s[0:1], 0x10
	s_wait_xcnt 0x0
	s_bfe_u32 s0, ttmp6, 0x4000c
	s_and_b32 s1, ttmp6, 15
	s_add_co_i32 s0, s0, 1
	s_getreg_b32 s2, hwreg(HW_REG_IB_STS2, 6, 4)
	s_mul_i32 s0, ttmp9, s0
	s_delay_alu instid0(SALU_CYCLE_1) | instskip(SKIP_2) | instid1(SALU_CYCLE_1)
	s_add_co_i32 s1, s1, s0
	s_cmp_eq_u32 s2, 0
	s_cselect_b32 s0, ttmp9, s1
	s_lshl_b32 s2, s0, 10
	s_mov_b32 s0, -1
	s_wait_kmcnt 0x0
	s_sub_co_i32 s1, s12, s2
	s_delay_alu instid0(SALU_CYCLE_1)
	s_cmp_gt_i32 s1, 0x3ff
	s_cbranch_scc0 .LBB59_2
; %bb.1:
	s_ashr_i32 s3, s2, 31
	s_mov_b32 s0, 0
	s_lshl_b64 s[16:17], s[2:3], 2
	s_delay_alu instid0(SALU_CYCLE_1)
	s_add_nc_u64 s[18:19], s[6:7], s[16:17]
	s_add_nc_u64 s[20:21], s[8:9], s[16:17]
	s_clause 0x3
	global_load_b64 v[2:3], v0, s[18:19] scale_offset
	global_load_b64 v[4:5], v0, s[20:21] scale_offset
	global_load_b64 v[6:7], v0, s[18:19] offset:2048 scale_offset
	global_load_b64 v[8:9], v0, s[20:21] offset:2048 scale_offset
	s_wait_xcnt 0x1
	s_add_nc_u64 s[18:19], s[10:11], s[16:17]
	s_clause 0x1
	global_load_b64 v[10:11], v0, s[18:19] scale_offset
	global_load_b64 v[12:13], v0, s[18:19] offset:2048 scale_offset
	s_add_nc_u64 s[16:17], s[4:5], s[16:17]
	s_wait_loadcnt 0x5
	v_mul_lo_u32 v1, v2, s13
	s_wait_loadcnt 0x4
	v_mul_lo_u32 v2, v4, s14
	v_mul_lo_u32 v3, v3, s13
	;; [unrolled: 1-line block ×3, first 2 shown]
	s_wait_loadcnt 0x3
	v_mul_lo_u32 v5, v6, s13
	s_wait_loadcnt 0x2
	v_mul_lo_u32 v6, v8, s14
	v_mul_lo_u32 v7, v7, s13
	;; [unrolled: 1-line block ×3, first 2 shown]
	s_wait_loadcnt 0x1
	v_mad_u32 v2, v2, v10, v1
	v_mad_u32 v3, v4, v11, v3
	s_wait_loadcnt 0x0
	v_mad_u32 v4, v6, v12, v5
	s_delay_alu instid0(VALU_DEP_4)
	v_mad_u32 v5, v8, v13, v7
	s_clause 0x1
	global_store_b64 v0, v[2:3], s[16:17] scale_offset
	global_store_b64 v0, v[4:5], s[16:17] offset:2048 scale_offset
.LBB59_2:
	s_and_not1_b32 vcc_lo, exec_lo, s0
	s_cbranch_vccnz .LBB59_23
; %bb.3:
	v_cmp_gt_i32_e32 vcc_lo, s1, v0
	v_dual_mov_b32 v11, 0 :: v_dual_bitop2_b32 v1, s2, v0 bitop3:0x54
	v_or_b32_e32 v10, 0x100, v0
	v_dual_mov_b32 v18, 0 :: v_dual_mov_b32 v17, 0
	v_dual_mov_b32 v13, 0 :: v_dual_mov_b32 v14, 0
	;; [unrolled: 1-line block ×5, first 2 shown]
	s_wait_xcnt 0x1
	v_mov_b32_e32 v3, 0
	s_wait_xcnt 0x0
	s_and_saveexec_b32 s3, vcc_lo
	s_cbranch_execz .LBB59_11
; %bb.4:
	s_clause 0x2
	global_load_b32 v19, v1, s[6:7] scale_offset
	global_load_b32 v20, v1, s[8:9] scale_offset
	;; [unrolled: 1-line block ×3, first 2 shown]
	v_or_b32_e32 v2, 0x100, v0
	v_dual_mov_b32 v3, 0 :: v_dual_mov_b32 v12, 0
	v_dual_mov_b32 v16, 0 :: v_dual_mov_b32 v15, 0
	;; [unrolled: 1-line block ×4, first 2 shown]
	v_mov_b32_e32 v11, 0
	s_mov_b32 s12, exec_lo
	s_wait_xcnt 0x0
	v_cmpx_gt_u32_e64 s1, v2
	s_cbranch_execz .LBB59_10
; %bb.5:
	v_dual_mov_b32 v3, 0 :: v_dual_add_nc_u32 v2, s2, v0
	v_or_b32_e32 v4, 0x200, v0
	v_dual_mov_b32 v12, 0 :: v_dual_mov_b32 v13, 0
	s_clause 0x2
	global_load_b32 v14, v2, s[6:7] offset:1024 scale_offset
	global_load_b32 v15, v2, s[8:9] offset:1024 scale_offset
	;; [unrolled: 1-line block ×3, first 2 shown]
	v_dual_mov_b32 v17, 0 :: v_dual_mov_b32 v18, 0
	v_mov_b32_e32 v11, 0
	s_mov_b32 s15, exec_lo
	s_wait_xcnt 0x0
	v_cmpx_gt_u32_e64 s1, v4
	s_cbranch_execz .LBB59_9
; %bb.6:
	v_lshlrev_b64_e32 v[6:7], 2, v[2:3]
	v_or_b32_e32 v2, 0x300, v0
	v_dual_mov_b32 v12, 0 :: v_dual_mov_b32 v11, 0
	s_delay_alu instid0(VALU_DEP_3)
	v_add_nc_u64_e32 v[4:5], s[6:7], v[6:7]
	v_add_nc_u64_e32 v[8:9], s[8:9], v[6:7]
	;; [unrolled: 1-line block ×3, first 2 shown]
	s_mov_b32 s6, exec_lo
	global_load_b32 v18, v[4:5], off offset:2048
	global_load_b32 v17, v[8:9], off offset:2048
	;; [unrolled: 1-line block ×3, first 2 shown]
	s_wait_xcnt 0x0
	v_cmpx_gt_u32_e64 s1, v2
	s_cbranch_execz .LBB59_8
; %bb.7:
	global_load_b32 v12, v[4:5], off offset:3072
	global_load_b32 v3, v[8:9], off offset:3072
	;; [unrolled: 1-line block ×3, first 2 shown]
.LBB59_8:
	s_wait_xcnt 0x0
	s_or_b32 exec_lo, exec_lo, s6
.LBB59_9:
	s_delay_alu instid0(SALU_CYCLE_1)
	s_or_b32 exec_lo, exec_lo, s15
.LBB59_10:
	s_delay_alu instid0(SALU_CYCLE_1) | instskip(NEXT) | instid1(SALU_CYCLE_1)
	s_or_b32 exec_lo, exec_lo, s12
	s_or_b32 exec_lo, exec_lo, s3
                                        ; implicit-def: $vgpr2
	s_and_saveexec_b32 s0, vcc_lo
	s_cbranch_execz .LBB59_13
	s_branch .LBB59_12
.LBB59_11:
	s_or_b32 exec_lo, exec_lo, s3
                                        ; implicit-def: $vgpr2
	s_and_saveexec_b32 s0, vcc_lo
	s_cbranch_execz .LBB59_13
.LBB59_12:
	s_wait_loadcnt 0x2
	v_mul_lo_u32 v2, v19, s13
	s_wait_loadcnt 0x1
	v_mul_lo_u32 v4, v20, s14
	s_wait_loadcnt 0x0
	s_delay_alu instid0(VALU_DEP_1)
	v_mad_u32 v2, v4, v21, v2
.LBB59_13:
	s_or_b32 exec_lo, exec_lo, s0
	s_delay_alu instid0(SALU_CYCLE_1)
	s_mov_b32 s3, exec_lo
                                        ; implicit-def: $vgpr4
	v_cmpx_gt_i32_e64 s1, v10
	s_cbranch_execz .LBB59_15
; %bb.14:
	s_wait_loadcnt 0x2
	v_mul_lo_u32 v4, v14, s13
	s_wait_loadcnt 0x1
	v_mul_lo_u32 v5, v15, s14
	s_wait_loadcnt 0x0
	s_delay_alu instid0(VALU_DEP_1)
	v_mad_u32 v4, v5, v16, v4
.LBB59_15:
	s_or_b32 exec_lo, exec_lo, s3
	v_or_b32_e32 v5, 0x200, v0
	s_delay_alu instid0(VALU_DEP_1)
	v_cmp_gt_i32_e64 s0, s1, v5
                                        ; implicit-def: $vgpr5
	s_and_saveexec_b32 s3, s0
	s_cbranch_execz .LBB59_17
; %bb.16:
	s_wait_loadcnt 0x2
	v_mul_lo_u32 v5, v18, s13
	s_wait_loadcnt 0x1
	v_mul_lo_u32 v6, v17, s14
	s_wait_loadcnt 0x0
	s_delay_alu instid0(VALU_DEP_1)
	v_mad_u32 v5, v6, v13, v5
.LBB59_17:
	s_or_b32 exec_lo, exec_lo, s3
	v_or_b32_e32 v6, 0x300, v0
	s_delay_alu instid0(VALU_DEP_1)
	v_cmp_gt_i32_e64 s0, s1, v6
                                        ; implicit-def: $vgpr6
	s_and_saveexec_b32 s3, s0
	s_cbranch_execz .LBB59_24
; %bb.18:
	s_wait_loadcnt 0x2
	v_mul_lo_u32 v6, v12, s13
	s_wait_loadcnt 0x1
	v_mul_lo_u32 v3, v3, s14
	s_wait_loadcnt 0x0
	s_delay_alu instid0(VALU_DEP_1) | instskip(SKIP_2) | instid1(SALU_CYCLE_1)
	v_mad_u32 v6, v3, v11, v6
	s_or_b32 exec_lo, exec_lo, s3
	s_and_saveexec_b32 s0, vcc_lo
	s_xor_b32 s0, exec_lo, s0
	s_cbranch_execnz .LBB59_25
.LBB59_19:
	s_or_b32 exec_lo, exec_lo, s0
	s_delay_alu instid0(SALU_CYCLE_1)
	s_mov_b32 s0, exec_lo
	v_cmpx_gt_i32_e64 s1, v0
	s_cbranch_execz .LBB59_26
.LBB59_20:
	v_add_nc_u32_e32 v1, s2, v0
	v_add_nc_u32_e32 v0, 0x100, v0
	global_store_b32 v1, v4, s[4:5] scale_offset
	s_wait_xcnt 0x0
	s_or_b32 exec_lo, exec_lo, s0
	s_delay_alu instid0(SALU_CYCLE_1)
	s_mov_b32 s0, exec_lo
	v_cmpx_gt_i32_e64 s1, v0
	s_cbranch_execnz .LBB59_27
.LBB59_21:
	s_or_b32 exec_lo, exec_lo, s0
	s_delay_alu instid0(SALU_CYCLE_1)
	s_mov_b32 s0, exec_lo
	v_cmpx_gt_i32_e64 s1, v0
	s_cbranch_execz .LBB59_23
.LBB59_22:
	v_add_nc_u32_e32 v0, s2, v0
	global_store_b32 v0, v6, s[4:5] scale_offset
.LBB59_23:
	s_endpgm
.LBB59_24:
	s_or_b32 exec_lo, exec_lo, s3
	s_and_saveexec_b32 s0, vcc_lo
	s_delay_alu instid0(SALU_CYCLE_1)
	s_xor_b32 s0, exec_lo, s0
	s_cbranch_execz .LBB59_19
.LBB59_25:
	v_mov_b32_e32 v0, v10
	global_store_b32 v1, v2, s[4:5] scale_offset
	s_wait_xcnt 0x0
	s_or_b32 exec_lo, exec_lo, s0
	s_delay_alu instid0(SALU_CYCLE_1)
	s_mov_b32 s0, exec_lo
	v_cmpx_gt_i32_e64 s1, v0
	s_cbranch_execnz .LBB59_20
.LBB59_26:
	s_or_b32 exec_lo, exec_lo, s0
	s_delay_alu instid0(SALU_CYCLE_1)
	s_mov_b32 s0, exec_lo
	v_cmpx_gt_i32_e64 s1, v0
	s_cbranch_execz .LBB59_21
.LBB59_27:
	v_add_nc_u32_e32 v1, s2, v0
	v_add_nc_u32_e32 v0, 0x100, v0
	global_store_b32 v1, v5, s[4:5] scale_offset
	s_wait_xcnt 0x0
	s_or_b32 exec_lo, exec_lo, s0
	s_delay_alu instid0(SALU_CYCLE_1)
	s_mov_b32 s0, exec_lo
	v_cmpx_gt_i32_e64 s1, v0
	s_cbranch_execnz .LBB59_22
	s_branch .LBB59_23
	.section	.rodata,"a",@progbits
	.p2align	6, 0x0
	.amdhsa_kernel _ZN2at6native29vectorized_elementwise_kernelILi2EZZZNS0_12_GLOBAL__N_116addr_kernel_cudaERNS_14TensorIteratorERKN3c106ScalarES8_ENKUlvE_clEvENKUlvE1_clEvEUliiiE0_St5arrayIPcLm4EEEEviT0_T1_
		.amdhsa_group_segment_fixed_size 0
		.amdhsa_private_segment_fixed_size 0
		.amdhsa_kernarg_size 48
		.amdhsa_user_sgpr_count 2
		.amdhsa_user_sgpr_dispatch_ptr 0
		.amdhsa_user_sgpr_queue_ptr 0
		.amdhsa_user_sgpr_kernarg_segment_ptr 1
		.amdhsa_user_sgpr_dispatch_id 0
		.amdhsa_user_sgpr_kernarg_preload_length 0
		.amdhsa_user_sgpr_kernarg_preload_offset 0
		.amdhsa_user_sgpr_private_segment_size 0
		.amdhsa_wavefront_size32 1
		.amdhsa_uses_dynamic_stack 0
		.amdhsa_enable_private_segment 0
		.amdhsa_system_sgpr_workgroup_id_x 1
		.amdhsa_system_sgpr_workgroup_id_y 0
		.amdhsa_system_sgpr_workgroup_id_z 0
		.amdhsa_system_sgpr_workgroup_info 0
		.amdhsa_system_vgpr_workitem_id 0
		.amdhsa_next_free_vgpr 22
		.amdhsa_next_free_sgpr 22
		.amdhsa_named_barrier_count 0
		.amdhsa_reserve_vcc 1
		.amdhsa_float_round_mode_32 0
		.amdhsa_float_round_mode_16_64 0
		.amdhsa_float_denorm_mode_32 3
		.amdhsa_float_denorm_mode_16_64 3
		.amdhsa_fp16_overflow 0
		.amdhsa_memory_ordered 1
		.amdhsa_forward_progress 1
		.amdhsa_inst_pref_size 11
		.amdhsa_round_robin_scheduling 0
		.amdhsa_exception_fp_ieee_invalid_op 0
		.amdhsa_exception_fp_denorm_src 0
		.amdhsa_exception_fp_ieee_div_zero 0
		.amdhsa_exception_fp_ieee_overflow 0
		.amdhsa_exception_fp_ieee_underflow 0
		.amdhsa_exception_fp_ieee_inexact 0
		.amdhsa_exception_int_div_zero 0
	.end_amdhsa_kernel
	.section	.text._ZN2at6native29vectorized_elementwise_kernelILi2EZZZNS0_12_GLOBAL__N_116addr_kernel_cudaERNS_14TensorIteratorERKN3c106ScalarES8_ENKUlvE_clEvENKUlvE1_clEvEUliiiE0_St5arrayIPcLm4EEEEviT0_T1_,"axG",@progbits,_ZN2at6native29vectorized_elementwise_kernelILi2EZZZNS0_12_GLOBAL__N_116addr_kernel_cudaERNS_14TensorIteratorERKN3c106ScalarES8_ENKUlvE_clEvENKUlvE1_clEvEUliiiE0_St5arrayIPcLm4EEEEviT0_T1_,comdat
.Lfunc_end59:
	.size	_ZN2at6native29vectorized_elementwise_kernelILi2EZZZNS0_12_GLOBAL__N_116addr_kernel_cudaERNS_14TensorIteratorERKN3c106ScalarES8_ENKUlvE_clEvENKUlvE1_clEvEUliiiE0_St5arrayIPcLm4EEEEviT0_T1_, .Lfunc_end59-_ZN2at6native29vectorized_elementwise_kernelILi2EZZZNS0_12_GLOBAL__N_116addr_kernel_cudaERNS_14TensorIteratorERKN3c106ScalarES8_ENKUlvE_clEvENKUlvE1_clEvEUliiiE0_St5arrayIPcLm4EEEEviT0_T1_
                                        ; -- End function
	.set _ZN2at6native29vectorized_elementwise_kernelILi2EZZZNS0_12_GLOBAL__N_116addr_kernel_cudaERNS_14TensorIteratorERKN3c106ScalarES8_ENKUlvE_clEvENKUlvE1_clEvEUliiiE0_St5arrayIPcLm4EEEEviT0_T1_.num_vgpr, 22
	.set _ZN2at6native29vectorized_elementwise_kernelILi2EZZZNS0_12_GLOBAL__N_116addr_kernel_cudaERNS_14TensorIteratorERKN3c106ScalarES8_ENKUlvE_clEvENKUlvE1_clEvEUliiiE0_St5arrayIPcLm4EEEEviT0_T1_.num_agpr, 0
	.set _ZN2at6native29vectorized_elementwise_kernelILi2EZZZNS0_12_GLOBAL__N_116addr_kernel_cudaERNS_14TensorIteratorERKN3c106ScalarES8_ENKUlvE_clEvENKUlvE1_clEvEUliiiE0_St5arrayIPcLm4EEEEviT0_T1_.numbered_sgpr, 22
	.set _ZN2at6native29vectorized_elementwise_kernelILi2EZZZNS0_12_GLOBAL__N_116addr_kernel_cudaERNS_14TensorIteratorERKN3c106ScalarES8_ENKUlvE_clEvENKUlvE1_clEvEUliiiE0_St5arrayIPcLm4EEEEviT0_T1_.num_named_barrier, 0
	.set _ZN2at6native29vectorized_elementwise_kernelILi2EZZZNS0_12_GLOBAL__N_116addr_kernel_cudaERNS_14TensorIteratorERKN3c106ScalarES8_ENKUlvE_clEvENKUlvE1_clEvEUliiiE0_St5arrayIPcLm4EEEEviT0_T1_.private_seg_size, 0
	.set _ZN2at6native29vectorized_elementwise_kernelILi2EZZZNS0_12_GLOBAL__N_116addr_kernel_cudaERNS_14TensorIteratorERKN3c106ScalarES8_ENKUlvE_clEvENKUlvE1_clEvEUliiiE0_St5arrayIPcLm4EEEEviT0_T1_.uses_vcc, 1
	.set _ZN2at6native29vectorized_elementwise_kernelILi2EZZZNS0_12_GLOBAL__N_116addr_kernel_cudaERNS_14TensorIteratorERKN3c106ScalarES8_ENKUlvE_clEvENKUlvE1_clEvEUliiiE0_St5arrayIPcLm4EEEEviT0_T1_.uses_flat_scratch, 0
	.set _ZN2at6native29vectorized_elementwise_kernelILi2EZZZNS0_12_GLOBAL__N_116addr_kernel_cudaERNS_14TensorIteratorERKN3c106ScalarES8_ENKUlvE_clEvENKUlvE1_clEvEUliiiE0_St5arrayIPcLm4EEEEviT0_T1_.has_dyn_sized_stack, 0
	.set _ZN2at6native29vectorized_elementwise_kernelILi2EZZZNS0_12_GLOBAL__N_116addr_kernel_cudaERNS_14TensorIteratorERKN3c106ScalarES8_ENKUlvE_clEvENKUlvE1_clEvEUliiiE0_St5arrayIPcLm4EEEEviT0_T1_.has_recursion, 0
	.set _ZN2at6native29vectorized_elementwise_kernelILi2EZZZNS0_12_GLOBAL__N_116addr_kernel_cudaERNS_14TensorIteratorERKN3c106ScalarES8_ENKUlvE_clEvENKUlvE1_clEvEUliiiE0_St5arrayIPcLm4EEEEviT0_T1_.has_indirect_call, 0
	.section	.AMDGPU.csdata,"",@progbits
; Kernel info:
; codeLenInByte = 1364
; TotalNumSgprs: 24
; NumVgprs: 22
; ScratchSize: 0
; MemoryBound: 0
; FloatMode: 240
; IeeeMode: 1
; LDSByteSize: 0 bytes/workgroup (compile time only)
; SGPRBlocks: 0
; VGPRBlocks: 1
; NumSGPRsForWavesPerEU: 24
; NumVGPRsForWavesPerEU: 22
; NamedBarCnt: 0
; Occupancy: 16
; WaveLimiterHint : 1
; COMPUTE_PGM_RSRC2:SCRATCH_EN: 0
; COMPUTE_PGM_RSRC2:USER_SGPR: 2
; COMPUTE_PGM_RSRC2:TRAP_HANDLER: 0
; COMPUTE_PGM_RSRC2:TGID_X_EN: 1
; COMPUTE_PGM_RSRC2:TGID_Y_EN: 0
; COMPUTE_PGM_RSRC2:TGID_Z_EN: 0
; COMPUTE_PGM_RSRC2:TIDIG_COMP_CNT: 0
	.section	.text._ZN2at6native27unrolled_elementwise_kernelIZZZNS0_12_GLOBAL__N_116addr_kernel_cudaERNS_14TensorIteratorERKN3c106ScalarES8_ENKUlvE_clEvENKUlvE1_clEvEUliiiE0_St5arrayIPcLm4EELi4E23TrivialOffsetCalculatorILi3EjESF_ILi1EjENS0_6memory15LoadWithoutCastENSI_16StoreWithoutCastEEEviT_T0_T2_T3_T4_T5_,"axG",@progbits,_ZN2at6native27unrolled_elementwise_kernelIZZZNS0_12_GLOBAL__N_116addr_kernel_cudaERNS_14TensorIteratorERKN3c106ScalarES8_ENKUlvE_clEvENKUlvE1_clEvEUliiiE0_St5arrayIPcLm4EELi4E23TrivialOffsetCalculatorILi3EjESF_ILi1EjENS0_6memory15LoadWithoutCastENSI_16StoreWithoutCastEEEviT_T0_T2_T3_T4_T5_,comdat
	.globl	_ZN2at6native27unrolled_elementwise_kernelIZZZNS0_12_GLOBAL__N_116addr_kernel_cudaERNS_14TensorIteratorERKN3c106ScalarES8_ENKUlvE_clEvENKUlvE1_clEvEUliiiE0_St5arrayIPcLm4EELi4E23TrivialOffsetCalculatorILi3EjESF_ILi1EjENS0_6memory15LoadWithoutCastENSI_16StoreWithoutCastEEEviT_T0_T2_T3_T4_T5_ ; -- Begin function _ZN2at6native27unrolled_elementwise_kernelIZZZNS0_12_GLOBAL__N_116addr_kernel_cudaERNS_14TensorIteratorERKN3c106ScalarES8_ENKUlvE_clEvENKUlvE1_clEvEUliiiE0_St5arrayIPcLm4EELi4E23TrivialOffsetCalculatorILi3EjESF_ILi1EjENS0_6memory15LoadWithoutCastENSI_16StoreWithoutCastEEEviT_T0_T2_T3_T4_T5_
	.p2align	8
	.type	_ZN2at6native27unrolled_elementwise_kernelIZZZNS0_12_GLOBAL__N_116addr_kernel_cudaERNS_14TensorIteratorERKN3c106ScalarES8_ENKUlvE_clEvENKUlvE1_clEvEUliiiE0_St5arrayIPcLm4EELi4E23TrivialOffsetCalculatorILi3EjESF_ILi1EjENS0_6memory15LoadWithoutCastENSI_16StoreWithoutCastEEEviT_T0_T2_T3_T4_T5_,@function
_ZN2at6native27unrolled_elementwise_kernelIZZZNS0_12_GLOBAL__N_116addr_kernel_cudaERNS_14TensorIteratorERKN3c106ScalarES8_ENKUlvE_clEvENKUlvE1_clEvEUliiiE0_St5arrayIPcLm4EELi4E23TrivialOffsetCalculatorILi3EjESF_ILi1EjENS0_6memory15LoadWithoutCastENSI_16StoreWithoutCastEEEviT_T0_T2_T3_T4_T5_: ; @_ZN2at6native27unrolled_elementwise_kernelIZZZNS0_12_GLOBAL__N_116addr_kernel_cudaERNS_14TensorIteratorERKN3c106ScalarES8_ENKUlvE_clEvENKUlvE1_clEvEUliiiE0_St5arrayIPcLm4EELi4E23TrivialOffsetCalculatorILi3EjESF_ILi1EjENS0_6memory15LoadWithoutCastENSI_16StoreWithoutCastEEEviT_T0_T2_T3_T4_T5_
; %bb.0:
	s_load_b96 s[12:14], s[0:1], 0x0
	s_bfe_u32 s3, ttmp6, 0x4000c
	s_load_b256 s[4:11], s[0:1], 0x10
	s_add_co_i32 s3, s3, 1
	s_and_b32 s2, ttmp6, 15
	s_wait_xcnt 0x0
	s_mul_i32 s0, ttmp9, s3
	s_getreg_b32 s15, hwreg(HW_REG_IB_STS2, 6, 4)
	s_add_co_i32 s2, s2, s0
	s_cmp_eq_u32 s15, 0
	v_dual_mov_b32 v3, 0 :: v_dual_mov_b32 v6, 0
	s_cselect_b32 s0, ttmp9, s2
	v_dual_mov_b32 v5, 0 :: v_dual_mov_b32 v4, 0
	s_lshl_b32 s1, s0, 10
	v_dual_mov_b32 v8, 0 :: v_dual_mov_b32 v10, 0
	v_dual_mov_b32 v11, 0 :: v_dual_mov_b32 v12, 0
	v_or_b32_e32 v1, 0x100, v0
	s_wait_kmcnt 0x0
	s_sub_co_i32 s2, s12, s1
	v_dual_mov_b32 v13, 0 :: v_dual_bitop2_b32 v2, s1, v0 bitop3:0x54
	v_cmp_gt_i32_e32 vcc_lo, s2, v0
	v_dual_mov_b32 v14, 0 :: v_dual_mov_b32 v9, 0
	v_mov_b32_e32 v7, 0
	s_and_saveexec_b32 s3, vcc_lo
	s_cbranch_execz .LBB60_8
; %bb.1:
	s_clause 0x2
	global_load_b32 v12, v2, s[6:7] scale_offset
	global_load_b32 v13, v2, s[8:9] scale_offset
	;; [unrolled: 1-line block ×3, first 2 shown]
	v_or_b32_e32 v15, 0x100, v0
	v_dual_mov_b32 v7, 0 :: v_dual_mov_b32 v9, 0
	v_dual_mov_b32 v11, 0 :: v_dual_mov_b32 v10, 0
	;; [unrolled: 1-line block ×4, first 2 shown]
	v_mov_b32_e32 v3, 0
	s_mov_b32 s12, exec_lo
	s_wait_xcnt 0x0
	v_cmpx_gt_u32_e64 s2, v15
	s_cbranch_execz .LBB60_7
; %bb.2:
	v_dual_add_nc_u32 v3, s1, v15 :: v_dual_mov_b32 v7, 0
	v_or_b32_e32 v15, 0x200, v0
	v_dual_mov_b32 v9, 0 :: v_dual_mov_b32 v4, 0
	s_clause 0x2
	global_load_b32 v8, v3, s[6:7] scale_offset
	global_load_b32 v10, v3, s[8:9] scale_offset
	;; [unrolled: 1-line block ×3, first 2 shown]
	v_dual_mov_b32 v5, 0 :: v_dual_mov_b32 v6, 0
	s_wait_xcnt 0x0
	v_mov_b32_e32 v3, 0
	s_mov_b32 s15, exec_lo
	v_cmpx_gt_u32_e64 s2, v15
	s_cbranch_execz .LBB60_6
; %bb.3:
	v_dual_add_nc_u32 v3, s1, v15 :: v_dual_mov_b32 v7, 0
	v_or_b32_e32 v15, 0x300, v0
	v_mov_b32_e32 v9, 0
	s_mov_b32 s16, exec_lo
	s_clause 0x2
	global_load_b32 v6, v3, s[6:7] scale_offset
	global_load_b32 v5, v3, s[8:9] scale_offset
	;; [unrolled: 1-line block ×3, first 2 shown]
	s_wait_xcnt 0x0
	v_mov_b32_e32 v3, 0
	v_cmpx_gt_u32_e64 s2, v15
	s_cbranch_execz .LBB60_5
; %bb.4:
	v_add_nc_u32_e32 v15, s1, v15
	s_clause 0x2
	global_load_b32 v9, v15, s[6:7] scale_offset
	global_load_b32 v7, v15, s[8:9] scale_offset
	;; [unrolled: 1-line block ×3, first 2 shown]
.LBB60_5:
	s_wait_xcnt 0x0
	s_or_b32 exec_lo, exec_lo, s16
.LBB60_6:
	s_delay_alu instid0(SALU_CYCLE_1)
	s_or_b32 exec_lo, exec_lo, s15
.LBB60_7:
	s_delay_alu instid0(SALU_CYCLE_1) | instskip(NEXT) | instid1(SALU_CYCLE_1)
	s_or_b32 exec_lo, exec_lo, s12
	s_or_b32 exec_lo, exec_lo, s3
                                        ; implicit-def: $vgpr15
	s_and_saveexec_b32 s0, vcc_lo
	s_cbranch_execz .LBB60_10
	s_branch .LBB60_9
.LBB60_8:
	s_or_b32 exec_lo, exec_lo, s3
                                        ; implicit-def: $vgpr15
	s_and_saveexec_b32 s0, vcc_lo
	s_cbranch_execz .LBB60_10
.LBB60_9:
	s_wait_loadcnt 0x2
	v_mul_lo_u32 v12, v12, s13
	s_wait_loadcnt 0x1
	v_mul_lo_u32 v13, v13, s14
	s_wait_loadcnt 0x0
	s_delay_alu instid0(VALU_DEP_1)
	v_mad_u32 v15, v13, v14, v12
.LBB60_10:
	s_or_b32 exec_lo, exec_lo, s0
	s_delay_alu instid0(SALU_CYCLE_1)
	s_mov_b32 s3, exec_lo
                                        ; implicit-def: $vgpr12
	v_cmpx_gt_i32_e64 s2, v1
	s_cbranch_execz .LBB60_12
; %bb.11:
	s_wait_loadcnt 0x2
	v_mul_lo_u32 v8, v8, s13
	s_wait_loadcnt 0x1
	v_mul_lo_u32 v10, v10, s14
	s_wait_loadcnt 0x0
	s_delay_alu instid0(VALU_DEP_1)
	v_mad_u32 v12, v10, v11, v8
.LBB60_12:
	s_or_b32 exec_lo, exec_lo, s3
	s_wait_loadcnt 0x2
	v_or_b32_e32 v8, 0x200, v0
	s_delay_alu instid0(VALU_DEP_1)
	v_cmp_gt_i32_e64 s0, s2, v8
                                        ; implicit-def: $vgpr8
	s_and_saveexec_b32 s3, s0
	s_cbranch_execz .LBB60_14
; %bb.13:
	v_mul_lo_u32 v6, v6, s13
	s_wait_loadcnt 0x1
	v_mul_lo_u32 v5, v5, s14
	s_wait_loadcnt 0x0
	s_delay_alu instid0(VALU_DEP_1)
	v_mad_u32 v8, v5, v4, v6
.LBB60_14:
	s_or_b32 exec_lo, exec_lo, s3
	s_wait_loadcnt 0x0
	v_or_b32_e32 v4, 0x300, v0
	s_delay_alu instid0(VALU_DEP_1)
	v_cmp_gt_i32_e64 s0, s2, v4
                                        ; implicit-def: $vgpr4
	s_and_saveexec_b32 s3, s0
	s_cbranch_execz .LBB60_20
; %bb.15:
	v_mul_lo_u32 v4, v9, s13
	v_mul_lo_u32 v5, v7, s14
	s_delay_alu instid0(VALU_DEP_1) | instskip(SKIP_2) | instid1(SALU_CYCLE_1)
	v_mad_u32 v4, v5, v3, v4
	s_or_b32 exec_lo, exec_lo, s3
	s_and_saveexec_b32 s0, vcc_lo
	s_xor_b32 s0, exec_lo, s0
	s_cbranch_execnz .LBB60_21
.LBB60_16:
	s_or_b32 exec_lo, exec_lo, s0
	s_delay_alu instid0(SALU_CYCLE_1)
	s_mov_b32 s0, exec_lo
	v_cmpx_gt_i32_e64 s2, v0
	s_cbranch_execz .LBB60_22
.LBB60_17:
	v_add_nc_u32_e32 v1, 0x100, v0
	s_delay_alu instid0(VALU_DEP_1) | instskip(SKIP_3) | instid1(SALU_CYCLE_1)
	v_dual_add_nc_u32 v2, s1, v0 :: v_dual_mov_b32 v0, v1
	global_store_b32 v2, v12, s[4:5] scale_offset
	s_wait_xcnt 0x0
	s_or_b32 exec_lo, exec_lo, s0
	s_mov_b32 s0, exec_lo
	v_cmpx_gt_i32_e64 s2, v0
	s_cbranch_execnz .LBB60_23
.LBB60_18:
	s_or_b32 exec_lo, exec_lo, s0
	s_delay_alu instid0(SALU_CYCLE_1)
	s_mov_b32 s0, exec_lo
	v_cmpx_gt_i32_e64 s2, v0
	s_cbranch_execz .LBB60_24
.LBB60_19:
	v_add_nc_u32_e32 v0, s1, v0
	global_store_b32 v0, v4, s[4:5] scale_offset
	s_endpgm
.LBB60_20:
	s_or_b32 exec_lo, exec_lo, s3
	s_and_saveexec_b32 s0, vcc_lo
	s_delay_alu instid0(SALU_CYCLE_1)
	s_xor_b32 s0, exec_lo, s0
	s_cbranch_execz .LBB60_16
.LBB60_21:
	v_mov_b32_e32 v0, v1
	global_store_b32 v2, v15, s[4:5] scale_offset
	s_wait_xcnt 0x0
	s_or_b32 exec_lo, exec_lo, s0
	s_delay_alu instid0(SALU_CYCLE_1)
	s_mov_b32 s0, exec_lo
	v_cmpx_gt_i32_e64 s2, v0
	s_cbranch_execnz .LBB60_17
.LBB60_22:
	s_or_b32 exec_lo, exec_lo, s0
	s_delay_alu instid0(SALU_CYCLE_1)
	s_mov_b32 s0, exec_lo
	v_cmpx_gt_i32_e64 s2, v0
	s_cbranch_execz .LBB60_18
.LBB60_23:
	v_add_nc_u32_e32 v1, 0x100, v0
	s_delay_alu instid0(VALU_DEP_1) | instskip(SKIP_3) | instid1(SALU_CYCLE_1)
	v_dual_add_nc_u32 v2, s1, v0 :: v_dual_mov_b32 v0, v1
	global_store_b32 v2, v8, s[4:5] scale_offset
	s_wait_xcnt 0x0
	s_or_b32 exec_lo, exec_lo, s0
	s_mov_b32 s0, exec_lo
	v_cmpx_gt_i32_e64 s2, v0
	s_cbranch_execnz .LBB60_19
.LBB60_24:
	s_endpgm
	.section	.rodata,"a",@progbits
	.p2align	6, 0x0
	.amdhsa_kernel _ZN2at6native27unrolled_elementwise_kernelIZZZNS0_12_GLOBAL__N_116addr_kernel_cudaERNS_14TensorIteratorERKN3c106ScalarES8_ENKUlvE_clEvENKUlvE1_clEvEUliiiE0_St5arrayIPcLm4EELi4E23TrivialOffsetCalculatorILi3EjESF_ILi1EjENS0_6memory15LoadWithoutCastENSI_16StoreWithoutCastEEEviT_T0_T2_T3_T4_T5_
		.amdhsa_group_segment_fixed_size 0
		.amdhsa_private_segment_fixed_size 0
		.amdhsa_kernarg_size 52
		.amdhsa_user_sgpr_count 2
		.amdhsa_user_sgpr_dispatch_ptr 0
		.amdhsa_user_sgpr_queue_ptr 0
		.amdhsa_user_sgpr_kernarg_segment_ptr 1
		.amdhsa_user_sgpr_dispatch_id 0
		.amdhsa_user_sgpr_kernarg_preload_length 0
		.amdhsa_user_sgpr_kernarg_preload_offset 0
		.amdhsa_user_sgpr_private_segment_size 0
		.amdhsa_wavefront_size32 1
		.amdhsa_uses_dynamic_stack 0
		.amdhsa_enable_private_segment 0
		.amdhsa_system_sgpr_workgroup_id_x 1
		.amdhsa_system_sgpr_workgroup_id_y 0
		.amdhsa_system_sgpr_workgroup_id_z 0
		.amdhsa_system_sgpr_workgroup_info 0
		.amdhsa_system_vgpr_workitem_id 0
		.amdhsa_next_free_vgpr 16
		.amdhsa_next_free_sgpr 17
		.amdhsa_named_barrier_count 0
		.amdhsa_reserve_vcc 1
		.amdhsa_float_round_mode_32 0
		.amdhsa_float_round_mode_16_64 0
		.amdhsa_float_denorm_mode_32 3
		.amdhsa_float_denorm_mode_16_64 3
		.amdhsa_fp16_overflow 0
		.amdhsa_memory_ordered 1
		.amdhsa_forward_progress 1
		.amdhsa_inst_pref_size 9
		.amdhsa_round_robin_scheduling 0
		.amdhsa_exception_fp_ieee_invalid_op 0
		.amdhsa_exception_fp_denorm_src 0
		.amdhsa_exception_fp_ieee_div_zero 0
		.amdhsa_exception_fp_ieee_overflow 0
		.amdhsa_exception_fp_ieee_underflow 0
		.amdhsa_exception_fp_ieee_inexact 0
		.amdhsa_exception_int_div_zero 0
	.end_amdhsa_kernel
	.section	.text._ZN2at6native27unrolled_elementwise_kernelIZZZNS0_12_GLOBAL__N_116addr_kernel_cudaERNS_14TensorIteratorERKN3c106ScalarES8_ENKUlvE_clEvENKUlvE1_clEvEUliiiE0_St5arrayIPcLm4EELi4E23TrivialOffsetCalculatorILi3EjESF_ILi1EjENS0_6memory15LoadWithoutCastENSI_16StoreWithoutCastEEEviT_T0_T2_T3_T4_T5_,"axG",@progbits,_ZN2at6native27unrolled_elementwise_kernelIZZZNS0_12_GLOBAL__N_116addr_kernel_cudaERNS_14TensorIteratorERKN3c106ScalarES8_ENKUlvE_clEvENKUlvE1_clEvEUliiiE0_St5arrayIPcLm4EELi4E23TrivialOffsetCalculatorILi3EjESF_ILi1EjENS0_6memory15LoadWithoutCastENSI_16StoreWithoutCastEEEviT_T0_T2_T3_T4_T5_,comdat
.Lfunc_end60:
	.size	_ZN2at6native27unrolled_elementwise_kernelIZZZNS0_12_GLOBAL__N_116addr_kernel_cudaERNS_14TensorIteratorERKN3c106ScalarES8_ENKUlvE_clEvENKUlvE1_clEvEUliiiE0_St5arrayIPcLm4EELi4E23TrivialOffsetCalculatorILi3EjESF_ILi1EjENS0_6memory15LoadWithoutCastENSI_16StoreWithoutCastEEEviT_T0_T2_T3_T4_T5_, .Lfunc_end60-_ZN2at6native27unrolled_elementwise_kernelIZZZNS0_12_GLOBAL__N_116addr_kernel_cudaERNS_14TensorIteratorERKN3c106ScalarES8_ENKUlvE_clEvENKUlvE1_clEvEUliiiE0_St5arrayIPcLm4EELi4E23TrivialOffsetCalculatorILi3EjESF_ILi1EjENS0_6memory15LoadWithoutCastENSI_16StoreWithoutCastEEEviT_T0_T2_T3_T4_T5_
                                        ; -- End function
	.set _ZN2at6native27unrolled_elementwise_kernelIZZZNS0_12_GLOBAL__N_116addr_kernel_cudaERNS_14TensorIteratorERKN3c106ScalarES8_ENKUlvE_clEvENKUlvE1_clEvEUliiiE0_St5arrayIPcLm4EELi4E23TrivialOffsetCalculatorILi3EjESF_ILi1EjENS0_6memory15LoadWithoutCastENSI_16StoreWithoutCastEEEviT_T0_T2_T3_T4_T5_.num_vgpr, 16
	.set _ZN2at6native27unrolled_elementwise_kernelIZZZNS0_12_GLOBAL__N_116addr_kernel_cudaERNS_14TensorIteratorERKN3c106ScalarES8_ENKUlvE_clEvENKUlvE1_clEvEUliiiE0_St5arrayIPcLm4EELi4E23TrivialOffsetCalculatorILi3EjESF_ILi1EjENS0_6memory15LoadWithoutCastENSI_16StoreWithoutCastEEEviT_T0_T2_T3_T4_T5_.num_agpr, 0
	.set _ZN2at6native27unrolled_elementwise_kernelIZZZNS0_12_GLOBAL__N_116addr_kernel_cudaERNS_14TensorIteratorERKN3c106ScalarES8_ENKUlvE_clEvENKUlvE1_clEvEUliiiE0_St5arrayIPcLm4EELi4E23TrivialOffsetCalculatorILi3EjESF_ILi1EjENS0_6memory15LoadWithoutCastENSI_16StoreWithoutCastEEEviT_T0_T2_T3_T4_T5_.numbered_sgpr, 17
	.set _ZN2at6native27unrolled_elementwise_kernelIZZZNS0_12_GLOBAL__N_116addr_kernel_cudaERNS_14TensorIteratorERKN3c106ScalarES8_ENKUlvE_clEvENKUlvE1_clEvEUliiiE0_St5arrayIPcLm4EELi4E23TrivialOffsetCalculatorILi3EjESF_ILi1EjENS0_6memory15LoadWithoutCastENSI_16StoreWithoutCastEEEviT_T0_T2_T3_T4_T5_.num_named_barrier, 0
	.set _ZN2at6native27unrolled_elementwise_kernelIZZZNS0_12_GLOBAL__N_116addr_kernel_cudaERNS_14TensorIteratorERKN3c106ScalarES8_ENKUlvE_clEvENKUlvE1_clEvEUliiiE0_St5arrayIPcLm4EELi4E23TrivialOffsetCalculatorILi3EjESF_ILi1EjENS0_6memory15LoadWithoutCastENSI_16StoreWithoutCastEEEviT_T0_T2_T3_T4_T5_.private_seg_size, 0
	.set _ZN2at6native27unrolled_elementwise_kernelIZZZNS0_12_GLOBAL__N_116addr_kernel_cudaERNS_14TensorIteratorERKN3c106ScalarES8_ENKUlvE_clEvENKUlvE1_clEvEUliiiE0_St5arrayIPcLm4EELi4E23TrivialOffsetCalculatorILi3EjESF_ILi1EjENS0_6memory15LoadWithoutCastENSI_16StoreWithoutCastEEEviT_T0_T2_T3_T4_T5_.uses_vcc, 1
	.set _ZN2at6native27unrolled_elementwise_kernelIZZZNS0_12_GLOBAL__N_116addr_kernel_cudaERNS_14TensorIteratorERKN3c106ScalarES8_ENKUlvE_clEvENKUlvE1_clEvEUliiiE0_St5arrayIPcLm4EELi4E23TrivialOffsetCalculatorILi3EjESF_ILi1EjENS0_6memory15LoadWithoutCastENSI_16StoreWithoutCastEEEviT_T0_T2_T3_T4_T5_.uses_flat_scratch, 0
	.set _ZN2at6native27unrolled_elementwise_kernelIZZZNS0_12_GLOBAL__N_116addr_kernel_cudaERNS_14TensorIteratorERKN3c106ScalarES8_ENKUlvE_clEvENKUlvE1_clEvEUliiiE0_St5arrayIPcLm4EELi4E23TrivialOffsetCalculatorILi3EjESF_ILi1EjENS0_6memory15LoadWithoutCastENSI_16StoreWithoutCastEEEviT_T0_T2_T3_T4_T5_.has_dyn_sized_stack, 0
	.set _ZN2at6native27unrolled_elementwise_kernelIZZZNS0_12_GLOBAL__N_116addr_kernel_cudaERNS_14TensorIteratorERKN3c106ScalarES8_ENKUlvE_clEvENKUlvE1_clEvEUliiiE0_St5arrayIPcLm4EELi4E23TrivialOffsetCalculatorILi3EjESF_ILi1EjENS0_6memory15LoadWithoutCastENSI_16StoreWithoutCastEEEviT_T0_T2_T3_T4_T5_.has_recursion, 0
	.set _ZN2at6native27unrolled_elementwise_kernelIZZZNS0_12_GLOBAL__N_116addr_kernel_cudaERNS_14TensorIteratorERKN3c106ScalarES8_ENKUlvE_clEvENKUlvE1_clEvEUliiiE0_St5arrayIPcLm4EELi4E23TrivialOffsetCalculatorILi3EjESF_ILi1EjENS0_6memory15LoadWithoutCastENSI_16StoreWithoutCastEEEviT_T0_T2_T3_T4_T5_.has_indirect_call, 0
	.section	.AMDGPU.csdata,"",@progbits
; Kernel info:
; codeLenInByte = 1080
; TotalNumSgprs: 19
; NumVgprs: 16
; ScratchSize: 0
; MemoryBound: 0
; FloatMode: 240
; IeeeMode: 1
; LDSByteSize: 0 bytes/workgroup (compile time only)
; SGPRBlocks: 0
; VGPRBlocks: 0
; NumSGPRsForWavesPerEU: 19
; NumVGPRsForWavesPerEU: 16
; NamedBarCnt: 0
; Occupancy: 16
; WaveLimiterHint : 0
; COMPUTE_PGM_RSRC2:SCRATCH_EN: 0
; COMPUTE_PGM_RSRC2:USER_SGPR: 2
; COMPUTE_PGM_RSRC2:TRAP_HANDLER: 0
; COMPUTE_PGM_RSRC2:TGID_X_EN: 1
; COMPUTE_PGM_RSRC2:TGID_Y_EN: 0
; COMPUTE_PGM_RSRC2:TGID_Z_EN: 0
; COMPUTE_PGM_RSRC2:TIDIG_COMP_CNT: 0
	.section	.text._ZN2at6native32elementwise_kernel_manual_unrollILi128ELi4EZNS0_22gpu_kernel_impl_nocastIZZZNS0_12_GLOBAL__N_116addr_kernel_cudaERNS_14TensorIteratorERKN3c106ScalarES9_ENKUlvE_clEvENKUlvE1_clEvEUliiiE0_EEvRNS_18TensorIteratorBaseERKT_EUlibE_EEviT1_,"axG",@progbits,_ZN2at6native32elementwise_kernel_manual_unrollILi128ELi4EZNS0_22gpu_kernel_impl_nocastIZZZNS0_12_GLOBAL__N_116addr_kernel_cudaERNS_14TensorIteratorERKN3c106ScalarES9_ENKUlvE_clEvENKUlvE1_clEvEUliiiE0_EEvRNS_18TensorIteratorBaseERKT_EUlibE_EEviT1_,comdat
	.globl	_ZN2at6native32elementwise_kernel_manual_unrollILi128ELi4EZNS0_22gpu_kernel_impl_nocastIZZZNS0_12_GLOBAL__N_116addr_kernel_cudaERNS_14TensorIteratorERKN3c106ScalarES9_ENKUlvE_clEvENKUlvE1_clEvEUliiiE0_EEvRNS_18TensorIteratorBaseERKT_EUlibE_EEviT1_ ; -- Begin function _ZN2at6native32elementwise_kernel_manual_unrollILi128ELi4EZNS0_22gpu_kernel_impl_nocastIZZZNS0_12_GLOBAL__N_116addr_kernel_cudaERNS_14TensorIteratorERKN3c106ScalarES9_ENKUlvE_clEvENKUlvE1_clEvEUliiiE0_EEvRNS_18TensorIteratorBaseERKT_EUlibE_EEviT1_
	.p2align	8
	.type	_ZN2at6native32elementwise_kernel_manual_unrollILi128ELi4EZNS0_22gpu_kernel_impl_nocastIZZZNS0_12_GLOBAL__N_116addr_kernel_cudaERNS_14TensorIteratorERKN3c106ScalarES9_ENKUlvE_clEvENKUlvE1_clEvEUliiiE0_EEvRNS_18TensorIteratorBaseERKT_EUlibE_EEviT1_,@function
_ZN2at6native32elementwise_kernel_manual_unrollILi128ELi4EZNS0_22gpu_kernel_impl_nocastIZZZNS0_12_GLOBAL__N_116addr_kernel_cudaERNS_14TensorIteratorERKN3c106ScalarES9_ENKUlvE_clEvENKUlvE1_clEvEUliiiE0_EEvRNS_18TensorIteratorBaseERKT_EUlibE_EEviT1_: ; @_ZN2at6native32elementwise_kernel_manual_unrollILi128ELi4EZNS0_22gpu_kernel_impl_nocastIZZZNS0_12_GLOBAL__N_116addr_kernel_cudaERNS_14TensorIteratorERKN3c106ScalarES9_ENKUlvE_clEvENKUlvE1_clEvEUliiiE0_EEvRNS_18TensorIteratorBaseERKT_EUlibE_EEviT1_
; %bb.0:
	s_clause 0x1
	s_load_b32 s33, s[0:1], 0x8
	s_load_b32 s41, s[0:1], 0x0
	s_bfe_u32 s2, ttmp6, 0x4000c
	s_and_b32 s3, ttmp6, 15
	s_add_co_i32 s2, s2, 1
	s_getreg_b32 s4, hwreg(HW_REG_IB_STS2, 6, 4)
	s_mul_i32 s2, ttmp9, s2
	s_add_nc_u64 s[20:21], s[0:1], 8
	s_add_co_i32 s3, s3, s2
	s_cmp_eq_u32 s4, 0
	s_mov_b32 s27, 0
	s_cselect_b32 s2, ttmp9, s3
	s_wait_xcnt 0x0
	s_mov_b32 s0, exec_lo
	v_lshl_or_b32 v0, s2, 9, v0
	s_delay_alu instid0(VALU_DEP_1) | instskip(SKIP_2) | instid1(SALU_CYCLE_1)
	v_or_b32_e32 v5, 0x180, v0
	s_wait_kmcnt 0x0
	s_add_co_i32 s36, s33, -1
	s_cmp_gt_u32 s36, 1
	s_cselect_b32 s37, -1, 0
	v_cmpx_le_i32_e64 s41, v5
	s_xor_b32 s38, exec_lo, s0
	s_cbranch_execz .LBB61_54
; %bb.1:
	s_clause 0x4
	s_load_b128 s[16:19], s[20:21], 0x4
	s_load_b64 s[24:25], s[20:21], 0x14
	s_load_b256 s[8:15], s[20:21], 0xc4
	s_load_b256 s[0:7], s[20:21], 0x1c8
	s_load_b64 s[22:23], s[20:21], 0x1e8
	s_cmp_lg_u32 s33, 0
	s_mov_b32 s29, s27
	s_cselect_b32 s42, -1, 0
	s_min_u32 s40, s36, 15
	s_cmp_gt_u32 s33, 1
	s_cselect_b32 s39, -1, 0
	s_wait_kmcnt 0x0
	s_mov_b32 s26, s17
	s_mov_b32 s28, s24
	s_mov_b32 s17, exec_lo
	v_cmpx_gt_i32_e64 s41, v0
	s_cbranch_execnz .LBB61_5
; %bb.2:
	s_or_b32 exec_lo, exec_lo, s17
	s_delay_alu instid0(SALU_CYCLE_1)
	s_mov_b32 s17, exec_lo
	v_cmpx_gt_i32_e64 s41, v0
	s_cbranch_execnz .LBB61_17
.LBB61_3:
	s_or_b32 exec_lo, exec_lo, s17
	s_delay_alu instid0(SALU_CYCLE_1)
	s_mov_b32 s17, exec_lo
	v_cmpx_gt_i32_e64 s41, v0
	s_cbranch_execnz .LBB61_29
.LBB61_4:
	s_or_b32 exec_lo, exec_lo, s17
	s_delay_alu instid0(SALU_CYCLE_1)
	s_mov_b32 s17, exec_lo
	v_cmpx_gt_i32_e64 s41, v0
	s_cbranch_execnz .LBB61_41
	s_branch .LBB61_53
.LBB61_5:
	s_and_not1_b32 vcc_lo, exec_lo, s37
	s_cbranch_vccnz .LBB61_11
; %bb.6:
	s_and_not1_b32 vcc_lo, exec_lo, s42
	s_cbranch_vccnz .LBB61_12
; %bb.7:
	v_dual_mov_b32 v6, 0 :: v_dual_mov_b32 v1, v0
	v_dual_mov_b32 v7, 0 :: v_dual_mov_b32 v4, 0
	v_mov_b32_e32 v5, 0
	s_add_co_i32 s24, s40, 1
	s_mov_b64 s[30:31], 0xffffffffffffffe0
	s_and_b32 s24, s24, 30
	s_add_nc_u64 s[30:31], s[20:21], s[30:31]
	s_mov_b64 s[34:35], s[20:21]
.LBB61_8:                               ; =>This Inner Loop Header: Depth=1
	s_clause 0x1
	s_load_b128 s[52:55], s[34:35], 0x4
	s_load_b64 s[56:57], s[34:35], 0x14
	s_load_b256 s[44:51], s[30:31], 0xe4
	s_add_co_i32 s24, s24, -2
	s_wait_xcnt 0x0
	s_add_nc_u64 s[34:35], s[34:35], 24
	s_cmp_lg_u32 s24, 0
	s_add_nc_u64 s[30:31], s[30:31], 32
	s_wait_kmcnt 0x0
	v_mul_hi_u32 v2, s53, v1
	s_delay_alu instid0(VALU_DEP_1) | instskip(NEXT) | instid1(VALU_DEP_1)
	v_add_nc_u32_e32 v2, v1, v2
	v_lshrrev_b32_e32 v2, s54, v2
	s_delay_alu instid0(VALU_DEP_1) | instskip(SKIP_1) | instid1(VALU_DEP_1)
	v_mul_hi_u32 v3, s56, v2
	v_mul_lo_u32 v8, v2, s52
	v_dual_add_nc_u32 v3, v2, v3 :: v_dual_sub_nc_u32 v8, v1, v8
	s_delay_alu instid0(VALU_DEP_1) | instskip(NEXT) | instid1(VALU_DEP_2)
	v_lshrrev_b32_e32 v1, s57, v3
	v_mad_u32 v5, v8, s45, v5
	v_mad_u32 v4, v8, s44, v4
	v_mad_u32 v7, v8, s47, v7
	v_mad_u32 v6, v8, s46, v6
	v_mul_lo_u32 v3, v1, s55
	s_delay_alu instid0(VALU_DEP_1) | instskip(NEXT) | instid1(VALU_DEP_1)
	v_sub_nc_u32_e32 v2, v2, v3
	v_mad_u32 v5, v2, s49, v5
	v_mad_u32 v4, v2, s48, v4
	v_mad_u32 v7, v2, s51, v7
	v_mad_u32 v6, v2, s50, v6
	s_cbranch_scc1 .LBB61_8
; %bb.9:
	s_bitcmp1_b32 s40, 0
	s_cselect_b32 s24, -1, 0
	s_delay_alu instid0(SALU_CYCLE_1)
	s_and_b32 vcc_lo, exec_lo, s24
	s_cbranch_vccnz .LBB61_13
; %bb.10:
	s_load_b96 s[48:50], s[34:35], 0x4
	s_load_b128 s[44:47], s[30:31], 0xe4
	s_wait_kmcnt 0x0
	v_mul_hi_u32 v2, s49, v1
	s_delay_alu instid0(VALU_DEP_1) | instskip(NEXT) | instid1(VALU_DEP_1)
	v_add_nc_u32_e32 v2, v1, v2
	v_lshrrev_b32_e32 v2, s50, v2
	s_delay_alu instid0(VALU_DEP_1) | instskip(NEXT) | instid1(VALU_DEP_1)
	v_mul_lo_u32 v2, v2, s48
	v_sub_nc_u32_e32 v1, v1, v2
	s_delay_alu instid0(VALU_DEP_1)
	v_mad_u32 v4, v1, s44, v4
	v_mad_u32 v5, v1, s45, v5
	;; [unrolled: 1-line block ×4, first 2 shown]
	s_cbranch_execz .LBB61_14
	s_branch .LBB61_16
.LBB61_11:
                                        ; implicit-def: $vgpr5
                                        ; implicit-def: $vgpr4
                                        ; implicit-def: $vgpr7
                                        ; implicit-def: $vgpr6
	s_branch .LBB61_14
.LBB61_12:
	v_dual_mov_b32 v5, 0 :: v_dual_mov_b32 v4, 0
	v_dual_mov_b32 v7, 0 :: v_dual_mov_b32 v6, 0
.LBB61_13:
	s_cbranch_execnz .LBB61_16
.LBB61_14:
	v_mov_b32_e32 v1, 0
	s_and_not1_b32 vcc_lo, exec_lo, s39
	s_delay_alu instid0(VALU_DEP_1) | instskip(NEXT) | instid1(VALU_DEP_1)
	v_mul_u64_e32 v[2:3], s[26:27], v[0:1]
	v_add_nc_u32_e32 v2, v0, v3
	s_delay_alu instid0(VALU_DEP_1) | instskip(NEXT) | instid1(VALU_DEP_1)
	v_lshrrev_b32_e32 v2, s18, v2
	v_mul_lo_u32 v3, v2, s16
	s_delay_alu instid0(VALU_DEP_1) | instskip(NEXT) | instid1(VALU_DEP_1)
	v_sub_nc_u32_e32 v3, v0, v3
	v_mul_lo_u32 v5, v3, s9
	v_mul_lo_u32 v4, v3, s8
	;; [unrolled: 1-line block ×4, first 2 shown]
	s_cbranch_vccnz .LBB61_16
; %bb.15:
	v_mov_b32_e32 v3, v1
	s_delay_alu instid0(VALU_DEP_1) | instskip(NEXT) | instid1(VALU_DEP_1)
	v_mul_u64_e32 v[8:9], s[28:29], v[2:3]
	v_add_nc_u32_e32 v1, v2, v9
	s_delay_alu instid0(VALU_DEP_1) | instskip(NEXT) | instid1(VALU_DEP_1)
	v_lshrrev_b32_e32 v1, s25, v1
	v_mul_lo_u32 v1, v1, s19
	s_delay_alu instid0(VALU_DEP_1) | instskip(NEXT) | instid1(VALU_DEP_1)
	v_sub_nc_u32_e32 v1, v2, v1
	v_mad_u32 v4, v1, s12, v4
	v_mad_u32 v5, v1, s13, v5
	;; [unrolled: 1-line block ×4, first 2 shown]
.LBB61_16:
	global_load_b32 v1, v5, s[2:3]
	global_load_b32 v2, v6, s[4:5]
	;; [unrolled: 1-line block ×3, first 2 shown]
	v_add_nc_u32_e32 v0, 0x80, v0
	s_wait_loadcnt 0x2
	v_mul_lo_u32 v1, v1, s22
	s_wait_loadcnt 0x1
	v_mul_lo_u32 v2, v2, s23
	s_wait_loadcnt 0x0
	s_delay_alu instid0(VALU_DEP_1) | instskip(SKIP_3) | instid1(SALU_CYCLE_1)
	v_mad_u32 v1, v2, v3, v1
	global_store_b32 v4, v1, s[0:1]
	s_wait_xcnt 0x0
	s_or_b32 exec_lo, exec_lo, s17
	s_mov_b32 s17, exec_lo
	v_cmpx_gt_i32_e64 s41, v0
	s_cbranch_execz .LBB61_3
.LBB61_17:
	s_and_not1_b32 vcc_lo, exec_lo, s37
	s_cbranch_vccnz .LBB61_23
; %bb.18:
	s_and_not1_b32 vcc_lo, exec_lo, s42
	s_cbranch_vccnz .LBB61_24
; %bb.19:
	v_dual_mov_b32 v6, 0 :: v_dual_mov_b32 v1, v0
	v_dual_mov_b32 v7, 0 :: v_dual_mov_b32 v4, 0
	v_mov_b32_e32 v5, 0
	s_add_co_i32 s24, s40, 1
	s_mov_b64 s[30:31], 0xffffffffffffffe0
	s_and_b32 s24, s24, 30
	s_add_nc_u64 s[30:31], s[20:21], s[30:31]
	s_mov_b64 s[34:35], s[20:21]
.LBB61_20:                              ; =>This Inner Loop Header: Depth=1
	s_clause 0x1
	s_load_b128 s[52:55], s[34:35], 0x4
	s_load_b64 s[56:57], s[34:35], 0x14
	s_load_b256 s[44:51], s[30:31], 0xe4
	s_add_co_i32 s24, s24, -2
	s_wait_xcnt 0x0
	s_add_nc_u64 s[34:35], s[34:35], 24
	s_cmp_eq_u32 s24, 0
	s_add_nc_u64 s[30:31], s[30:31], 32
	s_wait_kmcnt 0x0
	v_mul_hi_u32 v2, s53, v1
	s_delay_alu instid0(VALU_DEP_1) | instskip(NEXT) | instid1(VALU_DEP_1)
	v_add_nc_u32_e32 v2, v1, v2
	v_lshrrev_b32_e32 v2, s54, v2
	s_delay_alu instid0(VALU_DEP_1) | instskip(SKIP_1) | instid1(VALU_DEP_1)
	v_mul_hi_u32 v3, s56, v2
	v_mul_lo_u32 v8, v2, s52
	v_dual_add_nc_u32 v3, v2, v3 :: v_dual_sub_nc_u32 v8, v1, v8
	s_delay_alu instid0(VALU_DEP_1) | instskip(NEXT) | instid1(VALU_DEP_2)
	v_lshrrev_b32_e32 v1, s57, v3
	v_mad_u32 v5, v8, s45, v5
	v_mad_u32 v4, v8, s44, v4
	;; [unrolled: 1-line block ×4, first 2 shown]
	v_mul_lo_u32 v3, v1, s55
	s_delay_alu instid0(VALU_DEP_1) | instskip(NEXT) | instid1(VALU_DEP_1)
	v_sub_nc_u32_e32 v2, v2, v3
	v_mad_u32 v5, v2, s49, v5
	v_mad_u32 v4, v2, s48, v4
	;; [unrolled: 1-line block ×4, first 2 shown]
	s_cbranch_scc0 .LBB61_20
; %bb.21:
	s_bitcmp1_b32 s40, 0
	s_cselect_b32 s24, -1, 0
	s_delay_alu instid0(SALU_CYCLE_1)
	s_and_b32 vcc_lo, exec_lo, s24
	s_cbranch_vccnz .LBB61_25
; %bb.22:
	s_load_b96 s[48:50], s[34:35], 0x4
	s_load_b128 s[44:47], s[30:31], 0xe4
	s_wait_kmcnt 0x0
	v_mul_hi_u32 v2, s49, v1
	s_delay_alu instid0(VALU_DEP_1) | instskip(NEXT) | instid1(VALU_DEP_1)
	v_add_nc_u32_e32 v2, v1, v2
	v_lshrrev_b32_e32 v2, s50, v2
	s_delay_alu instid0(VALU_DEP_1) | instskip(NEXT) | instid1(VALU_DEP_1)
	v_mul_lo_u32 v2, v2, s48
	v_sub_nc_u32_e32 v1, v1, v2
	s_delay_alu instid0(VALU_DEP_1)
	v_mad_u32 v4, v1, s44, v4
	v_mad_u32 v5, v1, s45, v5
	;; [unrolled: 1-line block ×4, first 2 shown]
	s_branch .LBB61_25
.LBB61_23:
                                        ; implicit-def: $vgpr5
                                        ; implicit-def: $vgpr4
                                        ; implicit-def: $vgpr7
                                        ; implicit-def: $vgpr6
	s_branch .LBB61_26
.LBB61_24:
	v_dual_mov_b32 v5, 0 :: v_dual_mov_b32 v4, 0
	v_dual_mov_b32 v7, 0 :: v_dual_mov_b32 v6, 0
.LBB61_25:
	s_cbranch_execnz .LBB61_28
.LBB61_26:
	v_mov_b32_e32 v1, 0
	s_and_not1_b32 vcc_lo, exec_lo, s39
	s_delay_alu instid0(VALU_DEP_1) | instskip(NEXT) | instid1(VALU_DEP_1)
	v_mul_u64_e32 v[2:3], s[26:27], v[0:1]
	v_add_nc_u32_e32 v2, v0, v3
	s_delay_alu instid0(VALU_DEP_1) | instskip(NEXT) | instid1(VALU_DEP_1)
	v_lshrrev_b32_e32 v2, s18, v2
	v_mul_lo_u32 v3, v2, s16
	s_delay_alu instid0(VALU_DEP_1) | instskip(NEXT) | instid1(VALU_DEP_1)
	v_sub_nc_u32_e32 v3, v0, v3
	v_mul_lo_u32 v5, v3, s9
	v_mul_lo_u32 v4, v3, s8
	;; [unrolled: 1-line block ×4, first 2 shown]
	s_cbranch_vccnz .LBB61_28
; %bb.27:
	v_mov_b32_e32 v3, v1
	s_delay_alu instid0(VALU_DEP_1) | instskip(NEXT) | instid1(VALU_DEP_1)
	v_mul_u64_e32 v[8:9], s[28:29], v[2:3]
	v_add_nc_u32_e32 v1, v2, v9
	s_delay_alu instid0(VALU_DEP_1) | instskip(NEXT) | instid1(VALU_DEP_1)
	v_lshrrev_b32_e32 v1, s25, v1
	v_mul_lo_u32 v1, v1, s19
	s_delay_alu instid0(VALU_DEP_1) | instskip(NEXT) | instid1(VALU_DEP_1)
	v_sub_nc_u32_e32 v1, v2, v1
	v_mad_u32 v4, v1, s12, v4
	v_mad_u32 v5, v1, s13, v5
	v_mad_u32 v6, v1, s14, v6
	v_mad_u32 v7, v1, s15, v7
.LBB61_28:
	global_load_b32 v1, v5, s[2:3]
	global_load_b32 v2, v6, s[4:5]
	;; [unrolled: 1-line block ×3, first 2 shown]
	v_add_nc_u32_e32 v0, 0x80, v0
	s_wait_loadcnt 0x2
	v_mul_lo_u32 v1, v1, s22
	s_wait_loadcnt 0x1
	v_mul_lo_u32 v2, v2, s23
	s_wait_loadcnt 0x0
	s_delay_alu instid0(VALU_DEP_1) | instskip(SKIP_3) | instid1(SALU_CYCLE_1)
	v_mad_u32 v1, v2, v3, v1
	global_store_b32 v4, v1, s[0:1]
	s_wait_xcnt 0x0
	s_or_b32 exec_lo, exec_lo, s17
	s_mov_b32 s17, exec_lo
	v_cmpx_gt_i32_e64 s41, v0
	s_cbranch_execz .LBB61_4
.LBB61_29:
	s_and_not1_b32 vcc_lo, exec_lo, s37
	s_cbranch_vccnz .LBB61_35
; %bb.30:
	s_and_not1_b32 vcc_lo, exec_lo, s42
	s_cbranch_vccnz .LBB61_36
; %bb.31:
	v_dual_mov_b32 v6, 0 :: v_dual_mov_b32 v1, v0
	v_dual_mov_b32 v7, 0 :: v_dual_mov_b32 v4, 0
	v_mov_b32_e32 v5, 0
	s_add_co_i32 s24, s40, 1
	s_mov_b64 s[30:31], 0xffffffffffffffe0
	s_and_b32 s24, s24, 30
	s_add_nc_u64 s[30:31], s[20:21], s[30:31]
	s_mov_b64 s[34:35], s[20:21]
.LBB61_32:                              ; =>This Inner Loop Header: Depth=1
	s_clause 0x1
	s_load_b128 s[52:55], s[34:35], 0x4
	s_load_b64 s[56:57], s[34:35], 0x14
	s_load_b256 s[44:51], s[30:31], 0xe4
	s_add_co_i32 s24, s24, -2
	s_wait_xcnt 0x0
	s_add_nc_u64 s[34:35], s[34:35], 24
	s_cmp_eq_u32 s24, 0
	s_add_nc_u64 s[30:31], s[30:31], 32
	s_wait_kmcnt 0x0
	v_mul_hi_u32 v2, s53, v1
	s_delay_alu instid0(VALU_DEP_1) | instskip(NEXT) | instid1(VALU_DEP_1)
	v_add_nc_u32_e32 v2, v1, v2
	v_lshrrev_b32_e32 v2, s54, v2
	s_delay_alu instid0(VALU_DEP_1) | instskip(SKIP_1) | instid1(VALU_DEP_1)
	v_mul_hi_u32 v3, s56, v2
	v_mul_lo_u32 v8, v2, s52
	v_dual_add_nc_u32 v3, v2, v3 :: v_dual_sub_nc_u32 v8, v1, v8
	s_delay_alu instid0(VALU_DEP_1) | instskip(NEXT) | instid1(VALU_DEP_2)
	v_lshrrev_b32_e32 v1, s57, v3
	v_mad_u32 v5, v8, s45, v5
	v_mad_u32 v4, v8, s44, v4
	;; [unrolled: 1-line block ×4, first 2 shown]
	v_mul_lo_u32 v3, v1, s55
	s_delay_alu instid0(VALU_DEP_1) | instskip(NEXT) | instid1(VALU_DEP_1)
	v_sub_nc_u32_e32 v2, v2, v3
	v_mad_u32 v5, v2, s49, v5
	v_mad_u32 v4, v2, s48, v4
	;; [unrolled: 1-line block ×4, first 2 shown]
	s_cbranch_scc0 .LBB61_32
; %bb.33:
	s_bitcmp1_b32 s40, 0
	s_cselect_b32 s24, -1, 0
	s_delay_alu instid0(SALU_CYCLE_1)
	s_and_b32 vcc_lo, exec_lo, s24
	s_cbranch_vccnz .LBB61_37
; %bb.34:
	s_load_b96 s[48:50], s[34:35], 0x4
	s_load_b128 s[44:47], s[30:31], 0xe4
	s_wait_kmcnt 0x0
	v_mul_hi_u32 v2, s49, v1
	s_delay_alu instid0(VALU_DEP_1) | instskip(NEXT) | instid1(VALU_DEP_1)
	v_add_nc_u32_e32 v2, v1, v2
	v_lshrrev_b32_e32 v2, s50, v2
	s_delay_alu instid0(VALU_DEP_1) | instskip(NEXT) | instid1(VALU_DEP_1)
	v_mul_lo_u32 v2, v2, s48
	v_sub_nc_u32_e32 v1, v1, v2
	s_delay_alu instid0(VALU_DEP_1)
	v_mad_u32 v4, v1, s44, v4
	v_mad_u32 v5, v1, s45, v5
	;; [unrolled: 1-line block ×4, first 2 shown]
	s_branch .LBB61_37
.LBB61_35:
                                        ; implicit-def: $vgpr5
                                        ; implicit-def: $vgpr4
                                        ; implicit-def: $vgpr7
                                        ; implicit-def: $vgpr6
	s_branch .LBB61_38
.LBB61_36:
	v_dual_mov_b32 v5, 0 :: v_dual_mov_b32 v4, 0
	v_dual_mov_b32 v7, 0 :: v_dual_mov_b32 v6, 0
.LBB61_37:
	s_cbranch_execnz .LBB61_40
.LBB61_38:
	v_mov_b32_e32 v1, 0
	s_and_not1_b32 vcc_lo, exec_lo, s39
	s_delay_alu instid0(VALU_DEP_1) | instskip(NEXT) | instid1(VALU_DEP_1)
	v_mul_u64_e32 v[2:3], s[26:27], v[0:1]
	v_add_nc_u32_e32 v2, v0, v3
	s_delay_alu instid0(VALU_DEP_1) | instskip(NEXT) | instid1(VALU_DEP_1)
	v_lshrrev_b32_e32 v2, s18, v2
	v_mul_lo_u32 v3, v2, s16
	s_delay_alu instid0(VALU_DEP_1) | instskip(NEXT) | instid1(VALU_DEP_1)
	v_sub_nc_u32_e32 v3, v0, v3
	v_mul_lo_u32 v5, v3, s9
	v_mul_lo_u32 v4, v3, s8
	;; [unrolled: 1-line block ×4, first 2 shown]
	s_cbranch_vccnz .LBB61_40
; %bb.39:
	v_mov_b32_e32 v3, v1
	s_delay_alu instid0(VALU_DEP_1) | instskip(NEXT) | instid1(VALU_DEP_1)
	v_mul_u64_e32 v[8:9], s[28:29], v[2:3]
	v_add_nc_u32_e32 v1, v2, v9
	s_delay_alu instid0(VALU_DEP_1) | instskip(NEXT) | instid1(VALU_DEP_1)
	v_lshrrev_b32_e32 v1, s25, v1
	v_mul_lo_u32 v1, v1, s19
	s_delay_alu instid0(VALU_DEP_1) | instskip(NEXT) | instid1(VALU_DEP_1)
	v_sub_nc_u32_e32 v1, v2, v1
	v_mad_u32 v4, v1, s12, v4
	v_mad_u32 v5, v1, s13, v5
	;; [unrolled: 1-line block ×4, first 2 shown]
.LBB61_40:
	global_load_b32 v1, v5, s[2:3]
	global_load_b32 v2, v6, s[4:5]
	;; [unrolled: 1-line block ×3, first 2 shown]
	v_add_nc_u32_e32 v0, 0x80, v0
	s_wait_loadcnt 0x2
	v_mul_lo_u32 v1, v1, s22
	s_wait_loadcnt 0x1
	v_mul_lo_u32 v2, v2, s23
	s_wait_loadcnt 0x0
	s_delay_alu instid0(VALU_DEP_1) | instskip(SKIP_3) | instid1(SALU_CYCLE_1)
	v_mad_u32 v1, v2, v3, v1
	global_store_b32 v4, v1, s[0:1]
	s_wait_xcnt 0x0
	s_or_b32 exec_lo, exec_lo, s17
	s_mov_b32 s17, exec_lo
	v_cmpx_gt_i32_e64 s41, v0
	s_cbranch_execz .LBB61_53
.LBB61_41:
	s_and_not1_b32 vcc_lo, exec_lo, s37
	s_cbranch_vccnz .LBB61_47
; %bb.42:
	s_and_not1_b32 vcc_lo, exec_lo, s42
	s_cbranch_vccnz .LBB61_48
; %bb.43:
	v_dual_mov_b32 v6, 0 :: v_dual_mov_b32 v1, v0
	v_dual_mov_b32 v7, 0 :: v_dual_mov_b32 v4, 0
	v_mov_b32_e32 v5, 0
	s_add_co_i32 s24, s40, 1
	s_mov_b64 s[30:31], 0xffffffffffffffe0
	s_and_b32 s24, s24, 30
	s_add_nc_u64 s[30:31], s[20:21], s[30:31]
	s_mov_b64 s[34:35], s[20:21]
.LBB61_44:                              ; =>This Inner Loop Header: Depth=1
	s_clause 0x1
	s_load_b128 s[52:55], s[34:35], 0x4
	s_load_b64 s[42:43], s[34:35], 0x14
	s_load_b256 s[44:51], s[30:31], 0xe4
	s_add_co_i32 s24, s24, -2
	s_wait_xcnt 0x0
	s_add_nc_u64 s[34:35], s[34:35], 24
	s_cmp_eq_u32 s24, 0
	s_add_nc_u64 s[30:31], s[30:31], 32
	s_wait_kmcnt 0x0
	v_mul_hi_u32 v2, s53, v1
	s_delay_alu instid0(VALU_DEP_1) | instskip(NEXT) | instid1(VALU_DEP_1)
	v_add_nc_u32_e32 v2, v1, v2
	v_lshrrev_b32_e32 v2, s54, v2
	s_delay_alu instid0(VALU_DEP_1) | instskip(SKIP_1) | instid1(VALU_DEP_1)
	v_mul_hi_u32 v3, s42, v2
	v_mul_lo_u32 v8, v2, s52
	v_dual_add_nc_u32 v3, v2, v3 :: v_dual_sub_nc_u32 v8, v1, v8
	s_delay_alu instid0(VALU_DEP_1) | instskip(NEXT) | instid1(VALU_DEP_2)
	v_lshrrev_b32_e32 v1, s43, v3
	v_mad_u32 v5, v8, s45, v5
	v_mad_u32 v4, v8, s44, v4
	;; [unrolled: 1-line block ×4, first 2 shown]
	v_mul_lo_u32 v3, v1, s55
	s_delay_alu instid0(VALU_DEP_1) | instskip(NEXT) | instid1(VALU_DEP_1)
	v_sub_nc_u32_e32 v2, v2, v3
	v_mad_u32 v5, v2, s49, v5
	v_mad_u32 v4, v2, s48, v4
	;; [unrolled: 1-line block ×4, first 2 shown]
	s_cbranch_scc0 .LBB61_44
; %bb.45:
	s_bitcmp1_b32 s40, 0
	s_cselect_b32 s24, -1, 0
	s_delay_alu instid0(SALU_CYCLE_1)
	s_and_b32 vcc_lo, exec_lo, s24
	s_cbranch_vccnz .LBB61_49
; %bb.46:
	s_load_b96 s[44:46], s[34:35], 0x4
	s_load_b128 s[40:43], s[30:31], 0xe4
	s_wait_kmcnt 0x0
	v_mul_hi_u32 v2, s45, v1
	s_delay_alu instid0(VALU_DEP_1) | instskip(NEXT) | instid1(VALU_DEP_1)
	v_add_nc_u32_e32 v2, v1, v2
	v_lshrrev_b32_e32 v2, s46, v2
	s_delay_alu instid0(VALU_DEP_1) | instskip(NEXT) | instid1(VALU_DEP_1)
	v_mul_lo_u32 v2, v2, s44
	v_sub_nc_u32_e32 v1, v1, v2
	s_delay_alu instid0(VALU_DEP_1)
	v_mad_u32 v4, v1, s40, v4
	v_mad_u32 v5, v1, s41, v5
	;; [unrolled: 1-line block ×4, first 2 shown]
	s_branch .LBB61_49
.LBB61_47:
                                        ; implicit-def: $vgpr5
                                        ; implicit-def: $vgpr4
                                        ; implicit-def: $vgpr7
                                        ; implicit-def: $vgpr6
	s_branch .LBB61_50
.LBB61_48:
	v_dual_mov_b32 v5, 0 :: v_dual_mov_b32 v4, 0
	v_dual_mov_b32 v7, 0 :: v_dual_mov_b32 v6, 0
.LBB61_49:
	s_cbranch_execnz .LBB61_52
.LBB61_50:
	v_mov_b32_e32 v1, 0
	s_and_not1_b32 vcc_lo, exec_lo, s39
	s_delay_alu instid0(VALU_DEP_1) | instskip(NEXT) | instid1(VALU_DEP_1)
	v_mul_u64_e32 v[2:3], s[26:27], v[0:1]
	v_add_nc_u32_e32 v2, v0, v3
	s_delay_alu instid0(VALU_DEP_1) | instskip(NEXT) | instid1(VALU_DEP_1)
	v_lshrrev_b32_e32 v2, s18, v2
	v_mul_lo_u32 v3, v2, s16
	s_delay_alu instid0(VALU_DEP_1) | instskip(NEXT) | instid1(VALU_DEP_1)
	v_sub_nc_u32_e32 v0, v0, v3
	v_mul_lo_u32 v5, v0, s9
	v_mul_lo_u32 v4, v0, s8
	v_mul_lo_u32 v7, v0, s11
	v_mul_lo_u32 v6, v0, s10
	s_cbranch_vccnz .LBB61_52
; %bb.51:
	v_mov_b32_e32 v3, v1
	s_delay_alu instid0(VALU_DEP_1) | instskip(NEXT) | instid1(VALU_DEP_1)
	v_mul_u64_e32 v[0:1], s[28:29], v[2:3]
	v_add_nc_u32_e32 v0, v2, v1
	s_delay_alu instid0(VALU_DEP_1) | instskip(NEXT) | instid1(VALU_DEP_1)
	v_lshrrev_b32_e32 v0, s25, v0
	v_mul_lo_u32 v0, v0, s19
	s_delay_alu instid0(VALU_DEP_1) | instskip(NEXT) | instid1(VALU_DEP_1)
	v_sub_nc_u32_e32 v0, v2, v0
	v_mad_u32 v4, v0, s12, v4
	v_mad_u32 v5, v0, s13, v5
	;; [unrolled: 1-line block ×4, first 2 shown]
.LBB61_52:
	global_load_b32 v0, v5, s[2:3]
	global_load_b32 v1, v6, s[4:5]
	;; [unrolled: 1-line block ×3, first 2 shown]
	s_wait_loadcnt 0x2
	v_mul_lo_u32 v0, v0, s22
	s_wait_loadcnt 0x1
	v_mul_lo_u32 v1, v1, s23
	s_wait_loadcnt 0x0
	s_delay_alu instid0(VALU_DEP_1)
	v_mad_u32 v0, v1, v2, v0
	global_store_b32 v4, v0, s[0:1]
.LBB61_53:
	s_wait_xcnt 0x0
	s_or_b32 exec_lo, exec_lo, s17
                                        ; implicit-def: $vgpr5
                                        ; implicit-def: $vgpr0
.LBB61_54:
	s_and_not1_saveexec_b32 s0, s38
	s_cbranch_execz .LBB61_61
; %bb.55:
	v_cndmask_b32_e64 v7, 0, 1, s37
	s_and_not1_b32 vcc_lo, exec_lo, s37
	s_cbranch_vccnz .LBB61_62
; %bb.56:
	s_cmp_lg_u32 s33, 0
	s_mov_b32 s4, 0
	s_cbranch_scc0 .LBB61_66
; %bb.57:
	s_min_u32 s5, s36, 15
	v_dual_mov_b32 v2, 0 :: v_dual_mov_b32 v6, v0
	v_dual_mov_b32 v4, 0 :: v_dual_mov_b32 v1, 0
	v_mov_b32_e32 v3, 0
	s_add_co_i32 s2, s5, 1
	s_mov_b64 s[0:1], 0xffffffffffffffe0
	s_and_b32 s6, s2, 30
	s_add_nc_u64 s[0:1], s[20:21], s[0:1]
	s_mov_b64 s[2:3], s[20:21]
.LBB61_58:                              ; =>This Inner Loop Header: Depth=1
	s_clause 0x1
	s_load_b128 s[16:19], s[2:3], 0x4
	s_load_b64 s[22:23], s[2:3], 0x14
	s_load_b256 s[8:15], s[0:1], 0xe4
	s_add_co_i32 s6, s6, -2
	s_wait_xcnt 0x0
	s_add_nc_u64 s[2:3], s[2:3], 24
	s_cmp_lg_u32 s6, 0
	s_add_nc_u64 s[0:1], s[0:1], 32
	s_wait_kmcnt 0x0
	v_mul_hi_u32 v8, s17, v6
	s_delay_alu instid0(VALU_DEP_1) | instskip(NEXT) | instid1(VALU_DEP_1)
	v_add_nc_u32_e32 v8, v6, v8
	v_lshrrev_b32_e32 v8, s18, v8
	s_delay_alu instid0(VALU_DEP_1) | instskip(SKIP_1) | instid1(VALU_DEP_1)
	v_mul_hi_u32 v9, s22, v8
	v_mul_lo_u32 v10, v8, s16
	v_dual_add_nc_u32 v9, v8, v9 :: v_dual_sub_nc_u32 v10, v6, v10
	s_delay_alu instid0(VALU_DEP_1) | instskip(NEXT) | instid1(VALU_DEP_2)
	v_lshrrev_b32_e32 v6, s23, v9
	v_mad_u32 v3, v10, s9, v3
	v_mad_u32 v1, v10, s8, v1
	;; [unrolled: 1-line block ×4, first 2 shown]
	v_mul_lo_u32 v9, v6, s19
	s_delay_alu instid0(VALU_DEP_1) | instskip(NEXT) | instid1(VALU_DEP_1)
	v_sub_nc_u32_e32 v8, v8, v9
	v_mad_u32 v3, v8, s13, v3
	v_mad_u32 v1, v8, s12, v1
	;; [unrolled: 1-line block ×4, first 2 shown]
	s_cbranch_scc1 .LBB61_58
; %bb.59:
	s_bitcmp1_b32 s5, 0
	s_cselect_b32 s5, -1, 0
	s_delay_alu instid0(SALU_CYCLE_1)
	s_and_b32 vcc_lo, exec_lo, s5
	s_cbranch_vccnz .LBB61_63
; %bb.60:
	s_load_b96 s[12:14], s[2:3], 0x4
	s_load_b128 s[8:11], s[0:1], 0xe4
	s_wait_kmcnt 0x0
	v_mul_hi_u32 v8, s13, v6
	s_delay_alu instid0(VALU_DEP_1) | instskip(NEXT) | instid1(VALU_DEP_1)
	v_add_nc_u32_e32 v8, v6, v8
	v_lshrrev_b32_e32 v8, s14, v8
	s_delay_alu instid0(VALU_DEP_1) | instskip(NEXT) | instid1(VALU_DEP_1)
	v_mul_lo_u32 v8, v8, s12
	v_sub_nc_u32_e32 v6, v6, v8
	s_delay_alu instid0(VALU_DEP_1)
	v_mad_u32 v1, v6, s8, v1
	v_mad_u32 v3, v6, s9, v3
	;; [unrolled: 1-line block ×4, first 2 shown]
	s_and_not1_b32 vcc_lo, exec_lo, s4
	s_cbranch_vccz .LBB61_64
	s_branch .LBB61_67
.LBB61_61:
	s_endpgm
.LBB61_62:
	s_mov_b32 s4, -1
                                        ; implicit-def: $vgpr3
                                        ; implicit-def: $vgpr1
                                        ; implicit-def: $vgpr4
                                        ; implicit-def: $vgpr2
.LBB61_63:
	s_delay_alu instid0(SALU_CYCLE_1)
	s_and_not1_b32 vcc_lo, exec_lo, s4
	s_cbranch_vccnz .LBB61_67
.LBB61_64:
	s_clause 0x1
	s_load_b96 s[4:6], s[20:21], 0x4
	s_load_b128 s[0:3], s[20:21], 0xc4
	s_cmp_lt_u32 s33, 2
	s_wait_kmcnt 0x0
	v_mul_hi_u32 v1, s5, v0
	s_delay_alu instid0(VALU_DEP_1) | instskip(NEXT) | instid1(VALU_DEP_1)
	v_add_nc_u32_e32 v1, v0, v1
	v_lshrrev_b32_e32 v6, s6, v1
	s_delay_alu instid0(VALU_DEP_1) | instskip(NEXT) | instid1(VALU_DEP_1)
	v_mul_lo_u32 v1, v6, s4
	v_sub_nc_u32_e32 v2, v0, v1
	s_delay_alu instid0(VALU_DEP_1)
	v_mul_lo_u32 v3, v2, s1
	v_mul_lo_u32 v1, v2, s0
	;; [unrolled: 1-line block ×4, first 2 shown]
	s_cbranch_scc1 .LBB61_67
; %bb.65:
	s_clause 0x1
	s_load_b96 s[4:6], s[20:21], 0x10
	s_load_b128 s[0:3], s[20:21], 0xd4
	s_wait_kmcnt 0x0
	v_mul_hi_u32 v8, s5, v6
	s_delay_alu instid0(VALU_DEP_1) | instskip(NEXT) | instid1(VALU_DEP_1)
	v_add_nc_u32_e32 v8, v6, v8
	v_lshrrev_b32_e32 v8, s6, v8
	s_delay_alu instid0(VALU_DEP_1) | instskip(NEXT) | instid1(VALU_DEP_1)
	v_mul_lo_u32 v8, v8, s4
	v_sub_nc_u32_e32 v6, v6, v8
	s_delay_alu instid0(VALU_DEP_1)
	v_mad_u32 v1, v6, s0, v1
	v_mad_u32 v3, v6, s1, v3
	;; [unrolled: 1-line block ×4, first 2 shown]
	s_branch .LBB61_67
.LBB61_66:
	v_dual_mov_b32 v3, 0 :: v_dual_mov_b32 v1, 0
	v_dual_mov_b32 v4, 0 :: v_dual_mov_b32 v2, 0
	s_and_not1_b32 vcc_lo, exec_lo, s4
	s_cbranch_vccz .LBB61_64
.LBB61_67:
	v_cmp_ne_u32_e32 vcc_lo, 1, v7
	v_add_nc_u32_e32 v11, 0x80, v0
	s_cbranch_vccnz .LBB61_73
; %bb.68:
	s_cmp_lg_u32 s33, 0
	s_mov_b32 s4, 0
	s_cbranch_scc0 .LBB61_77
; %bb.69:
	s_min_u32 s5, s36, 15
	v_dual_mov_b32 v10, 0 :: v_dual_mov_b32 v12, v11
	v_dual_mov_b32 v9, 0 :: v_dual_mov_b32 v6, 0
	v_mov_b32_e32 v8, 0
	s_add_co_i32 s2, s5, 1
	s_mov_b64 s[0:1], 0xffffffffffffffe0
	s_and_b32 s6, s2, 30
	s_add_nc_u64 s[0:1], s[20:21], s[0:1]
	s_mov_b64 s[2:3], s[20:21]
.LBB61_70:                              ; =>This Inner Loop Header: Depth=1
	s_clause 0x1
	s_load_b128 s[16:19], s[2:3], 0x4
	s_load_b64 s[22:23], s[2:3], 0x14
	s_load_b256 s[8:15], s[0:1], 0xe4
	s_add_co_i32 s6, s6, -2
	s_wait_xcnt 0x0
	s_add_nc_u64 s[2:3], s[2:3], 24
	s_cmp_lg_u32 s6, 0
	s_add_nc_u64 s[0:1], s[0:1], 32
	s_wait_kmcnt 0x0
	v_mul_hi_u32 v13, s17, v12
	s_delay_alu instid0(VALU_DEP_1) | instskip(NEXT) | instid1(VALU_DEP_1)
	v_add_nc_u32_e32 v13, v12, v13
	v_lshrrev_b32_e32 v13, s18, v13
	s_delay_alu instid0(VALU_DEP_1) | instskip(SKIP_1) | instid1(VALU_DEP_1)
	v_mul_hi_u32 v14, s22, v13
	v_mul_lo_u32 v15, v13, s16
	v_dual_add_nc_u32 v14, v13, v14 :: v_dual_sub_nc_u32 v15, v12, v15
	s_delay_alu instid0(VALU_DEP_1) | instskip(NEXT) | instid1(VALU_DEP_2)
	v_lshrrev_b32_e32 v12, s23, v14
	v_mad_u32 v8, v15, s9, v8
	v_mad_u32 v6, v15, s8, v6
	;; [unrolled: 1-line block ×4, first 2 shown]
	v_mul_lo_u32 v14, v12, s19
	s_delay_alu instid0(VALU_DEP_1) | instskip(NEXT) | instid1(VALU_DEP_1)
	v_sub_nc_u32_e32 v13, v13, v14
	v_mad_u32 v8, v13, s13, v8
	v_mad_u32 v6, v13, s12, v6
	;; [unrolled: 1-line block ×4, first 2 shown]
	s_cbranch_scc1 .LBB61_70
; %bb.71:
	s_bitcmp1_b32 s5, 0
	s_cselect_b32 s5, -1, 0
	s_delay_alu instid0(SALU_CYCLE_1)
	s_and_b32 vcc_lo, exec_lo, s5
	s_cbranch_vccnz .LBB61_74
; %bb.72:
	s_load_b96 s[12:14], s[2:3], 0x4
	s_load_b128 s[8:11], s[0:1], 0xe4
	s_wait_kmcnt 0x0
	v_mul_hi_u32 v13, s13, v12
	s_delay_alu instid0(VALU_DEP_1) | instskip(NEXT) | instid1(VALU_DEP_1)
	v_add_nc_u32_e32 v13, v12, v13
	v_lshrrev_b32_e32 v13, s14, v13
	s_delay_alu instid0(VALU_DEP_1) | instskip(NEXT) | instid1(VALU_DEP_1)
	v_mul_lo_u32 v13, v13, s12
	v_sub_nc_u32_e32 v12, v12, v13
	s_delay_alu instid0(VALU_DEP_1)
	v_mad_u32 v6, v12, s8, v6
	v_mad_u32 v8, v12, s9, v8
	;; [unrolled: 1-line block ×4, first 2 shown]
	s_and_not1_b32 vcc_lo, exec_lo, s4
	s_cbranch_vccz .LBB61_75
	s_branch .LBB61_78
.LBB61_73:
	s_mov_b32 s4, -1
                                        ; implicit-def: $vgpr8
                                        ; implicit-def: $vgpr6
                                        ; implicit-def: $vgpr9
                                        ; implicit-def: $vgpr10
.LBB61_74:
	s_delay_alu instid0(SALU_CYCLE_1)
	s_and_not1_b32 vcc_lo, exec_lo, s4
	s_cbranch_vccnz .LBB61_78
.LBB61_75:
	s_clause 0x1
	s_load_b96 s[4:6], s[20:21], 0x4
	s_load_b128 s[0:3], s[20:21], 0xc4
	s_cmp_lt_u32 s33, 2
	s_wait_kmcnt 0x0
	v_mul_hi_u32 v6, s5, v11
	s_delay_alu instid0(VALU_DEP_1) | instskip(NEXT) | instid1(VALU_DEP_1)
	v_add_nc_u32_e32 v6, v11, v6
	v_lshrrev_b32_e32 v12, s6, v6
	s_delay_alu instid0(VALU_DEP_1) | instskip(NEXT) | instid1(VALU_DEP_1)
	v_mul_lo_u32 v6, v12, s4
	v_sub_nc_u32_e32 v10, v11, v6
	s_delay_alu instid0(VALU_DEP_1)
	v_mul_lo_u32 v8, v10, s1
	v_mul_lo_u32 v6, v10, s0
	;; [unrolled: 1-line block ×4, first 2 shown]
	s_cbranch_scc1 .LBB61_78
; %bb.76:
	s_clause 0x1
	s_load_b96 s[4:6], s[20:21], 0x10
	s_load_b128 s[0:3], s[20:21], 0xd4
	s_wait_kmcnt 0x0
	v_mul_hi_u32 v11, s5, v12
	s_delay_alu instid0(VALU_DEP_1) | instskip(NEXT) | instid1(VALU_DEP_1)
	v_add_nc_u32_e32 v11, v12, v11
	v_lshrrev_b32_e32 v11, s6, v11
	s_delay_alu instid0(VALU_DEP_1) | instskip(NEXT) | instid1(VALU_DEP_1)
	v_mul_lo_u32 v11, v11, s4
	v_sub_nc_u32_e32 v11, v12, v11
	s_delay_alu instid0(VALU_DEP_1)
	v_mad_u32 v6, v11, s0, v6
	v_mad_u32 v8, v11, s1, v8
	;; [unrolled: 1-line block ×4, first 2 shown]
	s_branch .LBB61_78
.LBB61_77:
	v_dual_mov_b32 v8, 0 :: v_dual_mov_b32 v6, 0
	v_dual_mov_b32 v9, 0 :: v_dual_mov_b32 v10, 0
	s_and_not1_b32 vcc_lo, exec_lo, s4
	s_cbranch_vccz .LBB61_75
.LBB61_78:
	v_cmp_ne_u32_e32 vcc_lo, 1, v7
	v_add_nc_u32_e32 v14, 0x100, v0
	s_cbranch_vccnz .LBB61_84
; %bb.79:
	s_cmp_lg_u32 s33, 0
	s_mov_b32 s4, 0
	s_cbranch_scc0 .LBB61_88
; %bb.80:
	s_min_u32 s5, s36, 15
	v_dual_mov_b32 v13, 0 :: v_dual_mov_b32 v15, v14
	v_dual_mov_b32 v12, 0 :: v_dual_mov_b32 v0, 0
	v_mov_b32_e32 v11, 0
	s_add_co_i32 s2, s5, 1
	s_mov_b64 s[0:1], 0xffffffffffffffe0
	s_and_b32 s6, s2, 30
	s_add_nc_u64 s[0:1], s[20:21], s[0:1]
	s_mov_b64 s[2:3], s[20:21]
.LBB61_81:                              ; =>This Inner Loop Header: Depth=1
	s_clause 0x1
	s_load_b128 s[16:19], s[2:3], 0x4
	s_load_b64 s[22:23], s[2:3], 0x14
	s_load_b256 s[8:15], s[0:1], 0xe4
	s_add_co_i32 s6, s6, -2
	s_wait_xcnt 0x0
	s_add_nc_u64 s[2:3], s[2:3], 24
	s_cmp_lg_u32 s6, 0
	s_add_nc_u64 s[0:1], s[0:1], 32
	s_wait_kmcnt 0x0
	v_mul_hi_u32 v16, s17, v15
	s_delay_alu instid0(VALU_DEP_1) | instskip(NEXT) | instid1(VALU_DEP_1)
	v_add_nc_u32_e32 v16, v15, v16
	v_lshrrev_b32_e32 v16, s18, v16
	s_delay_alu instid0(VALU_DEP_1) | instskip(SKIP_1) | instid1(VALU_DEP_1)
	v_mul_hi_u32 v17, s22, v16
	v_mul_lo_u32 v18, v16, s16
	v_dual_add_nc_u32 v17, v16, v17 :: v_dual_sub_nc_u32 v18, v15, v18
	s_delay_alu instid0(VALU_DEP_1) | instskip(NEXT) | instid1(VALU_DEP_2)
	v_lshrrev_b32_e32 v15, s23, v17
	v_mad_u32 v11, v18, s9, v11
	v_mad_u32 v0, v18, s8, v0
	;; [unrolled: 1-line block ×4, first 2 shown]
	v_mul_lo_u32 v17, v15, s19
	s_delay_alu instid0(VALU_DEP_1) | instskip(NEXT) | instid1(VALU_DEP_1)
	v_sub_nc_u32_e32 v16, v16, v17
	v_mad_u32 v11, v16, s13, v11
	v_mad_u32 v0, v16, s12, v0
	;; [unrolled: 1-line block ×4, first 2 shown]
	s_cbranch_scc1 .LBB61_81
; %bb.82:
	s_bitcmp1_b32 s5, 0
	s_cselect_b32 s5, -1, 0
	s_delay_alu instid0(SALU_CYCLE_1)
	s_and_b32 vcc_lo, exec_lo, s5
	s_cbranch_vccnz .LBB61_85
; %bb.83:
	s_load_b96 s[12:14], s[2:3], 0x4
	s_load_b128 s[8:11], s[0:1], 0xe4
	s_wait_kmcnt 0x0
	v_mul_hi_u32 v16, s13, v15
	s_delay_alu instid0(VALU_DEP_1) | instskip(NEXT) | instid1(VALU_DEP_1)
	v_add_nc_u32_e32 v16, v15, v16
	v_lshrrev_b32_e32 v16, s14, v16
	s_delay_alu instid0(VALU_DEP_1) | instskip(NEXT) | instid1(VALU_DEP_1)
	v_mul_lo_u32 v16, v16, s12
	v_sub_nc_u32_e32 v15, v15, v16
	s_delay_alu instid0(VALU_DEP_1)
	v_mad_u32 v0, v15, s8, v0
	v_mad_u32 v11, v15, s9, v11
	;; [unrolled: 1-line block ×4, first 2 shown]
	s_and_not1_b32 vcc_lo, exec_lo, s4
	s_cbranch_vccz .LBB61_86
	s_branch .LBB61_89
.LBB61_84:
	s_mov_b32 s4, -1
                                        ; implicit-def: $vgpr11
                                        ; implicit-def: $vgpr0
                                        ; implicit-def: $vgpr12
                                        ; implicit-def: $vgpr13
.LBB61_85:
	s_delay_alu instid0(SALU_CYCLE_1)
	s_and_not1_b32 vcc_lo, exec_lo, s4
	s_cbranch_vccnz .LBB61_89
.LBB61_86:
	s_clause 0x1
	s_load_b96 s[4:6], s[20:21], 0x4
	s_load_b128 s[0:3], s[20:21], 0xc4
	s_cmp_lt_u32 s33, 2
	s_wait_kmcnt 0x0
	v_mul_hi_u32 v0, s5, v14
	s_delay_alu instid0(VALU_DEP_1) | instskip(NEXT) | instid1(VALU_DEP_1)
	v_add_nc_u32_e32 v0, v14, v0
	v_lshrrev_b32_e32 v15, s6, v0
	s_delay_alu instid0(VALU_DEP_1) | instskip(NEXT) | instid1(VALU_DEP_1)
	v_mul_lo_u32 v0, v15, s4
	v_sub_nc_u32_e32 v13, v14, v0
	s_delay_alu instid0(VALU_DEP_1)
	v_mul_lo_u32 v11, v13, s1
	v_mul_lo_u32 v0, v13, s0
	v_mul_lo_u32 v12, v13, s3
	v_mul_lo_u32 v13, v13, s2
	s_cbranch_scc1 .LBB61_89
; %bb.87:
	s_clause 0x1
	s_load_b96 s[4:6], s[20:21], 0x10
	s_load_b128 s[0:3], s[20:21], 0xd4
	s_wait_kmcnt 0x0
	v_mul_hi_u32 v14, s5, v15
	s_delay_alu instid0(VALU_DEP_1) | instskip(NEXT) | instid1(VALU_DEP_1)
	v_add_nc_u32_e32 v14, v15, v14
	v_lshrrev_b32_e32 v14, s6, v14
	s_delay_alu instid0(VALU_DEP_1) | instskip(NEXT) | instid1(VALU_DEP_1)
	v_mul_lo_u32 v14, v14, s4
	v_sub_nc_u32_e32 v14, v15, v14
	s_delay_alu instid0(VALU_DEP_1)
	v_mad_u32 v0, v14, s0, v0
	v_mad_u32 v11, v14, s1, v11
	;; [unrolled: 1-line block ×4, first 2 shown]
	s_branch .LBB61_89
.LBB61_88:
	v_dual_mov_b32 v11, 0 :: v_dual_mov_b32 v0, 0
	v_dual_mov_b32 v12, 0 :: v_dual_mov_b32 v13, 0
	s_and_not1_b32 vcc_lo, exec_lo, s4
	s_cbranch_vccz .LBB61_86
.LBB61_89:
	v_cmp_ne_u32_e32 vcc_lo, 1, v7
	s_cbranch_vccnz .LBB61_95
; %bb.90:
	s_cmp_lg_u32 s33, 0
	s_mov_b32 s4, 0
	s_cbranch_scc0 .LBB61_99
; %bb.91:
	s_min_u32 s5, s36, 15
	v_dual_mov_b32 v16, 0 :: v_dual_mov_b32 v17, v5
	v_dual_mov_b32 v15, 0 :: v_dual_mov_b32 v7, 0
	v_mov_b32_e32 v14, 0
	s_add_co_i32 s2, s5, 1
	s_mov_b64 s[0:1], 0xffffffffffffffe0
	s_and_b32 s6, s2, 30
	s_add_nc_u64 s[0:1], s[20:21], s[0:1]
	s_mov_b64 s[2:3], s[20:21]
.LBB61_92:                              ; =>This Inner Loop Header: Depth=1
	s_clause 0x1
	s_load_b128 s[16:19], s[2:3], 0x4
	s_load_b64 s[22:23], s[2:3], 0x14
	s_load_b256 s[8:15], s[0:1], 0xe4
	s_add_co_i32 s6, s6, -2
	s_wait_xcnt 0x0
	s_add_nc_u64 s[2:3], s[2:3], 24
	s_cmp_lg_u32 s6, 0
	s_add_nc_u64 s[0:1], s[0:1], 32
	s_wait_kmcnt 0x0
	v_mul_hi_u32 v18, s17, v17
	s_delay_alu instid0(VALU_DEP_1) | instskip(NEXT) | instid1(VALU_DEP_1)
	v_add_nc_u32_e32 v18, v17, v18
	v_lshrrev_b32_e32 v18, s18, v18
	s_delay_alu instid0(VALU_DEP_1) | instskip(SKIP_1) | instid1(VALU_DEP_1)
	v_mul_hi_u32 v19, s22, v18
	v_mul_lo_u32 v20, v18, s16
	v_dual_add_nc_u32 v19, v18, v19 :: v_dual_sub_nc_u32 v20, v17, v20
	s_delay_alu instid0(VALU_DEP_1) | instskip(NEXT) | instid1(VALU_DEP_2)
	v_lshrrev_b32_e32 v17, s23, v19
	v_mad_u32 v14, v20, s9, v14
	v_mad_u32 v7, v20, s8, v7
	;; [unrolled: 1-line block ×4, first 2 shown]
	v_mul_lo_u32 v19, v17, s19
	s_delay_alu instid0(VALU_DEP_1) | instskip(NEXT) | instid1(VALU_DEP_1)
	v_sub_nc_u32_e32 v18, v18, v19
	v_mad_u32 v14, v18, s13, v14
	v_mad_u32 v7, v18, s12, v7
	;; [unrolled: 1-line block ×4, first 2 shown]
	s_cbranch_scc1 .LBB61_92
; %bb.93:
	s_bitcmp1_b32 s5, 0
	s_cselect_b32 s5, -1, 0
	s_delay_alu instid0(SALU_CYCLE_1)
	s_and_b32 vcc_lo, exec_lo, s5
	s_cbranch_vccnz .LBB61_96
; %bb.94:
	s_load_b96 s[12:14], s[2:3], 0x4
	s_load_b128 s[8:11], s[0:1], 0xe4
	s_wait_kmcnt 0x0
	v_mul_hi_u32 v18, s13, v17
	s_delay_alu instid0(VALU_DEP_1) | instskip(NEXT) | instid1(VALU_DEP_1)
	v_add_nc_u32_e32 v18, v17, v18
	v_lshrrev_b32_e32 v18, s14, v18
	s_delay_alu instid0(VALU_DEP_1) | instskip(NEXT) | instid1(VALU_DEP_1)
	v_mul_lo_u32 v18, v18, s12
	v_sub_nc_u32_e32 v17, v17, v18
	s_delay_alu instid0(VALU_DEP_1)
	v_mad_u32 v7, v17, s8, v7
	v_mad_u32 v14, v17, s9, v14
	;; [unrolled: 1-line block ×4, first 2 shown]
	s_and_not1_b32 vcc_lo, exec_lo, s4
	s_cbranch_vccz .LBB61_97
	s_branch .LBB61_100
.LBB61_95:
	s_mov_b32 s4, -1
                                        ; implicit-def: $vgpr14
                                        ; implicit-def: $vgpr7
                                        ; implicit-def: $vgpr15
                                        ; implicit-def: $vgpr16
.LBB61_96:
	s_delay_alu instid0(SALU_CYCLE_1)
	s_and_not1_b32 vcc_lo, exec_lo, s4
	s_cbranch_vccnz .LBB61_100
.LBB61_97:
	s_clause 0x1
	s_load_b96 s[4:6], s[20:21], 0x4
	s_load_b128 s[0:3], s[20:21], 0xc4
	s_cmp_lt_u32 s33, 2
	s_wait_kmcnt 0x0
	v_mul_hi_u32 v7, s5, v5
	s_delay_alu instid0(VALU_DEP_1) | instskip(NEXT) | instid1(VALU_DEP_1)
	v_add_nc_u32_e32 v7, v5, v7
	v_lshrrev_b32_e32 v17, s6, v7
	s_delay_alu instid0(VALU_DEP_1) | instskip(NEXT) | instid1(VALU_DEP_1)
	v_mul_lo_u32 v7, v17, s4
	v_sub_nc_u32_e32 v5, v5, v7
	s_delay_alu instid0(VALU_DEP_1)
	v_mul_lo_u32 v14, v5, s1
	v_mul_lo_u32 v7, v5, s0
	;; [unrolled: 1-line block ×4, first 2 shown]
	s_cbranch_scc1 .LBB61_100
; %bb.98:
	s_clause 0x1
	s_load_b96 s[4:6], s[20:21], 0x10
	s_load_b128 s[0:3], s[20:21], 0xd4
	s_wait_kmcnt 0x0
	v_mul_hi_u32 v5, s5, v17
	s_delay_alu instid0(VALU_DEP_1) | instskip(NEXT) | instid1(VALU_DEP_1)
	v_add_nc_u32_e32 v5, v17, v5
	v_lshrrev_b32_e32 v5, s6, v5
	s_delay_alu instid0(VALU_DEP_1) | instskip(NEXT) | instid1(VALU_DEP_1)
	v_mul_lo_u32 v5, v5, s4
	v_sub_nc_u32_e32 v5, v17, v5
	s_delay_alu instid0(VALU_DEP_1)
	v_mad_u32 v7, v5, s0, v7
	v_mad_u32 v14, v5, s1, v14
	v_mad_u32 v16, v5, s2, v16
	v_mad_u32 v15, v5, s3, v15
	s_branch .LBB61_100
.LBB61_99:
	v_dual_mov_b32 v14, 0 :: v_dual_mov_b32 v7, 0
	v_dual_mov_b32 v15, 0 :: v_dual_mov_b32 v16, 0
	s_and_not1_b32 vcc_lo, exec_lo, s4
	s_cbranch_vccz .LBB61_97
.LBB61_100:
	s_load_b256 s[0:7], s[20:21], 0x1c8
	s_wait_kmcnt 0x0
	global_load_b32 v5, v3, s[2:3]
	global_load_b32 v17, v2, s[4:5]
	;; [unrolled: 1-line block ×8, first 2 shown]
	s_clause 0x3
	global_load_b32 v24, v4, s[6:7]
	global_load_b32 v25, v9, s[6:7]
	;; [unrolled: 1-line block ×4, first 2 shown]
	s_wait_xcnt 0x5
	s_load_b64 s[2:3], s[20:21], 0x1e8
	s_wait_loadcnt 0xb
	s_wait_kmcnt 0x0
	v_mul_lo_u32 v2, v5, s2
	s_wait_loadcnt 0xa
	v_mul_lo_u32 v3, v17, s3
	s_wait_loadcnt 0x9
	;; [unrolled: 2-line block ×8, first 2 shown]
	v_mad_u32 v2, v3, v24, v2
	s_wait_loadcnt 0x2
	v_mad_u32 v3, v5, v25, v4
	s_wait_loadcnt 0x1
	;; [unrolled: 2-line block ×3, first 2 shown]
	s_delay_alu instid0(VALU_DEP_4)
	v_mad_u32 v5, v11, v27, v10
	s_clause 0x3
	global_store_b32 v1, v2, s[0:1]
	global_store_b32 v6, v3, s[0:1]
	;; [unrolled: 1-line block ×4, first 2 shown]
	s_endpgm
	.section	.rodata,"a",@progbits
	.p2align	6, 0x0
	.amdhsa_kernel _ZN2at6native32elementwise_kernel_manual_unrollILi128ELi4EZNS0_22gpu_kernel_impl_nocastIZZZNS0_12_GLOBAL__N_116addr_kernel_cudaERNS_14TensorIteratorERKN3c106ScalarES9_ENKUlvE_clEvENKUlvE1_clEvEUliiiE0_EEvRNS_18TensorIteratorBaseERKT_EUlibE_EEviT1_
		.amdhsa_group_segment_fixed_size 0
		.amdhsa_private_segment_fixed_size 0
		.amdhsa_kernarg_size 504
		.amdhsa_user_sgpr_count 2
		.amdhsa_user_sgpr_dispatch_ptr 0
		.amdhsa_user_sgpr_queue_ptr 0
		.amdhsa_user_sgpr_kernarg_segment_ptr 1
		.amdhsa_user_sgpr_dispatch_id 0
		.amdhsa_user_sgpr_kernarg_preload_length 0
		.amdhsa_user_sgpr_kernarg_preload_offset 0
		.amdhsa_user_sgpr_private_segment_size 0
		.amdhsa_wavefront_size32 1
		.amdhsa_uses_dynamic_stack 0
		.amdhsa_enable_private_segment 0
		.amdhsa_system_sgpr_workgroup_id_x 1
		.amdhsa_system_sgpr_workgroup_id_y 0
		.amdhsa_system_sgpr_workgroup_id_z 0
		.amdhsa_system_sgpr_workgroup_info 0
		.amdhsa_system_vgpr_workitem_id 0
		.amdhsa_next_free_vgpr 28
		.amdhsa_next_free_sgpr 58
		.amdhsa_named_barrier_count 0
		.amdhsa_reserve_vcc 1
		.amdhsa_float_round_mode_32 0
		.amdhsa_float_round_mode_16_64 0
		.amdhsa_float_denorm_mode_32 3
		.amdhsa_float_denorm_mode_16_64 3
		.amdhsa_fp16_overflow 0
		.amdhsa_memory_ordered 1
		.amdhsa_forward_progress 1
		.amdhsa_inst_pref_size 47
		.amdhsa_round_robin_scheduling 0
		.amdhsa_exception_fp_ieee_invalid_op 0
		.amdhsa_exception_fp_denorm_src 0
		.amdhsa_exception_fp_ieee_div_zero 0
		.amdhsa_exception_fp_ieee_overflow 0
		.amdhsa_exception_fp_ieee_underflow 0
		.amdhsa_exception_fp_ieee_inexact 0
		.amdhsa_exception_int_div_zero 0
	.end_amdhsa_kernel
	.section	.text._ZN2at6native32elementwise_kernel_manual_unrollILi128ELi4EZNS0_22gpu_kernel_impl_nocastIZZZNS0_12_GLOBAL__N_116addr_kernel_cudaERNS_14TensorIteratorERKN3c106ScalarES9_ENKUlvE_clEvENKUlvE1_clEvEUliiiE0_EEvRNS_18TensorIteratorBaseERKT_EUlibE_EEviT1_,"axG",@progbits,_ZN2at6native32elementwise_kernel_manual_unrollILi128ELi4EZNS0_22gpu_kernel_impl_nocastIZZZNS0_12_GLOBAL__N_116addr_kernel_cudaERNS_14TensorIteratorERKN3c106ScalarES9_ENKUlvE_clEvENKUlvE1_clEvEUliiiE0_EEvRNS_18TensorIteratorBaseERKT_EUlibE_EEviT1_,comdat
.Lfunc_end61:
	.size	_ZN2at6native32elementwise_kernel_manual_unrollILi128ELi4EZNS0_22gpu_kernel_impl_nocastIZZZNS0_12_GLOBAL__N_116addr_kernel_cudaERNS_14TensorIteratorERKN3c106ScalarES9_ENKUlvE_clEvENKUlvE1_clEvEUliiiE0_EEvRNS_18TensorIteratorBaseERKT_EUlibE_EEviT1_, .Lfunc_end61-_ZN2at6native32elementwise_kernel_manual_unrollILi128ELi4EZNS0_22gpu_kernel_impl_nocastIZZZNS0_12_GLOBAL__N_116addr_kernel_cudaERNS_14TensorIteratorERKN3c106ScalarES9_ENKUlvE_clEvENKUlvE1_clEvEUliiiE0_EEvRNS_18TensorIteratorBaseERKT_EUlibE_EEviT1_
                                        ; -- End function
	.set _ZN2at6native32elementwise_kernel_manual_unrollILi128ELi4EZNS0_22gpu_kernel_impl_nocastIZZZNS0_12_GLOBAL__N_116addr_kernel_cudaERNS_14TensorIteratorERKN3c106ScalarES9_ENKUlvE_clEvENKUlvE1_clEvEUliiiE0_EEvRNS_18TensorIteratorBaseERKT_EUlibE_EEviT1_.num_vgpr, 28
	.set _ZN2at6native32elementwise_kernel_manual_unrollILi128ELi4EZNS0_22gpu_kernel_impl_nocastIZZZNS0_12_GLOBAL__N_116addr_kernel_cudaERNS_14TensorIteratorERKN3c106ScalarES9_ENKUlvE_clEvENKUlvE1_clEvEUliiiE0_EEvRNS_18TensorIteratorBaseERKT_EUlibE_EEviT1_.num_agpr, 0
	.set _ZN2at6native32elementwise_kernel_manual_unrollILi128ELi4EZNS0_22gpu_kernel_impl_nocastIZZZNS0_12_GLOBAL__N_116addr_kernel_cudaERNS_14TensorIteratorERKN3c106ScalarES9_ENKUlvE_clEvENKUlvE1_clEvEUliiiE0_EEvRNS_18TensorIteratorBaseERKT_EUlibE_EEviT1_.numbered_sgpr, 58
	.set _ZN2at6native32elementwise_kernel_manual_unrollILi128ELi4EZNS0_22gpu_kernel_impl_nocastIZZZNS0_12_GLOBAL__N_116addr_kernel_cudaERNS_14TensorIteratorERKN3c106ScalarES9_ENKUlvE_clEvENKUlvE1_clEvEUliiiE0_EEvRNS_18TensorIteratorBaseERKT_EUlibE_EEviT1_.num_named_barrier, 0
	.set _ZN2at6native32elementwise_kernel_manual_unrollILi128ELi4EZNS0_22gpu_kernel_impl_nocastIZZZNS0_12_GLOBAL__N_116addr_kernel_cudaERNS_14TensorIteratorERKN3c106ScalarES9_ENKUlvE_clEvENKUlvE1_clEvEUliiiE0_EEvRNS_18TensorIteratorBaseERKT_EUlibE_EEviT1_.private_seg_size, 0
	.set _ZN2at6native32elementwise_kernel_manual_unrollILi128ELi4EZNS0_22gpu_kernel_impl_nocastIZZZNS0_12_GLOBAL__N_116addr_kernel_cudaERNS_14TensorIteratorERKN3c106ScalarES9_ENKUlvE_clEvENKUlvE1_clEvEUliiiE0_EEvRNS_18TensorIteratorBaseERKT_EUlibE_EEviT1_.uses_vcc, 1
	.set _ZN2at6native32elementwise_kernel_manual_unrollILi128ELi4EZNS0_22gpu_kernel_impl_nocastIZZZNS0_12_GLOBAL__N_116addr_kernel_cudaERNS_14TensorIteratorERKN3c106ScalarES9_ENKUlvE_clEvENKUlvE1_clEvEUliiiE0_EEvRNS_18TensorIteratorBaseERKT_EUlibE_EEviT1_.uses_flat_scratch, 0
	.set _ZN2at6native32elementwise_kernel_manual_unrollILi128ELi4EZNS0_22gpu_kernel_impl_nocastIZZZNS0_12_GLOBAL__N_116addr_kernel_cudaERNS_14TensorIteratorERKN3c106ScalarES9_ENKUlvE_clEvENKUlvE1_clEvEUliiiE0_EEvRNS_18TensorIteratorBaseERKT_EUlibE_EEviT1_.has_dyn_sized_stack, 0
	.set _ZN2at6native32elementwise_kernel_manual_unrollILi128ELi4EZNS0_22gpu_kernel_impl_nocastIZZZNS0_12_GLOBAL__N_116addr_kernel_cudaERNS_14TensorIteratorERKN3c106ScalarES9_ENKUlvE_clEvENKUlvE1_clEvEUliiiE0_EEvRNS_18TensorIteratorBaseERKT_EUlibE_EEviT1_.has_recursion, 0
	.set _ZN2at6native32elementwise_kernel_manual_unrollILi128ELi4EZNS0_22gpu_kernel_impl_nocastIZZZNS0_12_GLOBAL__N_116addr_kernel_cudaERNS_14TensorIteratorERKN3c106ScalarES9_ENKUlvE_clEvENKUlvE1_clEvEUliiiE0_EEvRNS_18TensorIteratorBaseERKT_EUlibE_EEviT1_.has_indirect_call, 0
	.section	.AMDGPU.csdata,"",@progbits
; Kernel info:
; codeLenInByte = 5924
; TotalNumSgprs: 60
; NumVgprs: 28
; ScratchSize: 0
; MemoryBound: 0
; FloatMode: 240
; IeeeMode: 1
; LDSByteSize: 0 bytes/workgroup (compile time only)
; SGPRBlocks: 0
; VGPRBlocks: 1
; NumSGPRsForWavesPerEU: 60
; NumVGPRsForWavesPerEU: 28
; NamedBarCnt: 0
; Occupancy: 16
; WaveLimiterHint : 1
; COMPUTE_PGM_RSRC2:SCRATCH_EN: 0
; COMPUTE_PGM_RSRC2:USER_SGPR: 2
; COMPUTE_PGM_RSRC2:TRAP_HANDLER: 0
; COMPUTE_PGM_RSRC2:TGID_X_EN: 1
; COMPUTE_PGM_RSRC2:TGID_Y_EN: 0
; COMPUTE_PGM_RSRC2:TGID_Z_EN: 0
; COMPUTE_PGM_RSRC2:TIDIG_COMP_CNT: 0
	.section	.text._ZN2at6native32elementwise_kernel_manual_unrollILi128ELi4EZNS0_15gpu_kernel_implIZZZNS0_12_GLOBAL__N_116addr_kernel_cudaERNS_14TensorIteratorERKN3c106ScalarES9_ENKUlvE_clEvENKUlvE1_clEvEUliiiE0_EEvRNS_18TensorIteratorBaseERKT_EUlibE_EEviT1_,"axG",@progbits,_ZN2at6native32elementwise_kernel_manual_unrollILi128ELi4EZNS0_15gpu_kernel_implIZZZNS0_12_GLOBAL__N_116addr_kernel_cudaERNS_14TensorIteratorERKN3c106ScalarES9_ENKUlvE_clEvENKUlvE1_clEvEUliiiE0_EEvRNS_18TensorIteratorBaseERKT_EUlibE_EEviT1_,comdat
	.globl	_ZN2at6native32elementwise_kernel_manual_unrollILi128ELi4EZNS0_15gpu_kernel_implIZZZNS0_12_GLOBAL__N_116addr_kernel_cudaERNS_14TensorIteratorERKN3c106ScalarES9_ENKUlvE_clEvENKUlvE1_clEvEUliiiE0_EEvRNS_18TensorIteratorBaseERKT_EUlibE_EEviT1_ ; -- Begin function _ZN2at6native32elementwise_kernel_manual_unrollILi128ELi4EZNS0_15gpu_kernel_implIZZZNS0_12_GLOBAL__N_116addr_kernel_cudaERNS_14TensorIteratorERKN3c106ScalarES9_ENKUlvE_clEvENKUlvE1_clEvEUliiiE0_EEvRNS_18TensorIteratorBaseERKT_EUlibE_EEviT1_
	.p2align	8
	.type	_ZN2at6native32elementwise_kernel_manual_unrollILi128ELi4EZNS0_15gpu_kernel_implIZZZNS0_12_GLOBAL__N_116addr_kernel_cudaERNS_14TensorIteratorERKN3c106ScalarES9_ENKUlvE_clEvENKUlvE1_clEvEUliiiE0_EEvRNS_18TensorIteratorBaseERKT_EUlibE_EEviT1_,@function
_ZN2at6native32elementwise_kernel_manual_unrollILi128ELi4EZNS0_15gpu_kernel_implIZZZNS0_12_GLOBAL__N_116addr_kernel_cudaERNS_14TensorIteratorERKN3c106ScalarES9_ENKUlvE_clEvENKUlvE1_clEvEUliiiE0_EEvRNS_18TensorIteratorBaseERKT_EUlibE_EEviT1_: ; @_ZN2at6native32elementwise_kernel_manual_unrollILi128ELi4EZNS0_15gpu_kernel_implIZZZNS0_12_GLOBAL__N_116addr_kernel_cudaERNS_14TensorIteratorERKN3c106ScalarES9_ENKUlvE_clEvENKUlvE1_clEvEUliiiE0_EEvRNS_18TensorIteratorBaseERKT_EUlibE_EEviT1_
; %bb.0:
	s_clause 0x1
	s_load_b96 s[16:18], s[0:1], 0x38
	s_load_b128 s[12:15], s[0:1], 0x28
	s_bfe_u32 s2, ttmp6, 0x4000c
	s_clause 0x1
	s_load_b32 s22, s[0:1], 0x0
	s_load_b256 s[4:11], s[0:1], 0x8
	s_add_co_i32 s2, s2, 1
	s_and_b32 s3, ttmp6, 15
	s_wait_xcnt 0x0
	s_mul_i32 s0, ttmp9, s2
	s_getreg_b32 s20, hwreg(HW_REG_IB_STS2, 6, 4)
	s_add_co_i32 s3, s3, s0
	s_mov_b32 s21, 0
	s_wait_kmcnt 0x0
	s_lshr_b32 s2, s18, 16
	s_lshr_b32 s19, s18, 8
	;; [unrolled: 1-line block ×3, first 2 shown]
	s_cmp_eq_u32 s20, 0
	s_cselect_b32 s0, ttmp9, s3
	s_mov_b32 s3, 0
	v_lshl_or_b32 v8, s0, 9, v0
	s_mov_b32 s0, exec_lo
	s_delay_alu instid0(VALU_DEP_1) | instskip(NEXT) | instid1(VALU_DEP_1)
	v_or_b32_e32 v0, 0x180, v8
	v_cmpx_le_i32_e64 s22, v0
	s_xor_b32 s20, exec_lo, s0
	s_cbranch_execz .LBB62_2015
; %bb.1:
	s_mov_b32 s30, -1
	s_mov_b32 s27, 0
	s_mov_b32 s25, 0
	;; [unrolled: 1-line block ×4, first 2 shown]
	s_mov_b32 s26, exec_lo
	v_cmpx_gt_i32_e64 s22, v8
	s_cbranch_execz .LBB62_500
; %bb.2:
	v_mul_lo_u32 v0, v8, s13
	s_and_b32 s0, s19, 0xff
	s_delay_alu instid0(SALU_CYCLE_1) | instskip(NEXT) | instid1(VALU_DEP_1)
	s_cmp_lt_i32 s0, 11
	v_ashrrev_i32_e32 v1, 31, v0
	s_delay_alu instid0(VALU_DEP_1)
	v_add_nc_u64_e32 v[0:1], s[6:7], v[0:1]
	s_cbranch_scc1 .LBB62_9
; %bb.3:
	s_and_b32 s21, 0xffff, s0
	s_delay_alu instid0(SALU_CYCLE_1)
	s_cmp_gt_i32 s21, 25
	s_cbranch_scc0 .LBB62_18
; %bb.4:
	s_cmp_gt_i32 s21, 28
	s_cbranch_scc0 .LBB62_28
; %bb.5:
	;; [unrolled: 3-line block ×4, first 2 shown]
	s_cmp_eq_u32 s21, 46
	s_cbranch_scc0 .LBB62_37
; %bb.8:
	global_load_b32 v2, v[0:1], off
	s_mov_b32 s23, -1
	s_wait_loadcnt 0x0
	v_lshlrev_b32_e32 v2, 16, v2
	s_delay_alu instid0(VALU_DEP_1)
	v_cvt_i32_f32_e32 v2, v2
	s_branch .LBB62_39
.LBB62_9:
                                        ; implicit-def: $vgpr2
	s_cbranch_execnz .LBB62_101
.LBB62_10:
	s_and_not1_b32 vcc_lo, exec_lo, s23
	s_cbranch_vccnz .LBB62_148
.LBB62_11:
	s_wait_xcnt 0x0
	v_mul_lo_u32 v0, v8, s14
	s_and_b32 s0, s2, 0xff
	s_delay_alu instid0(SALU_CYCLE_1) | instskip(NEXT) | instid1(VALU_DEP_1)
	s_cmp_lt_i32 s0, 11
	v_ashrrev_i32_e32 v1, 31, v0
	s_delay_alu instid0(VALU_DEP_1)
	v_add_nc_u64_e32 v[0:1], s[8:9], v[0:1]
	s_cbranch_scc1 .LBB62_19
; %bb.12:
	s_and_b32 s21, 0xffff, s0
	s_delay_alu instid0(SALU_CYCLE_1)
	s_cmp_gt_i32 s21, 25
	s_cbranch_scc0 .LBB62_29
; %bb.13:
	s_cmp_gt_i32 s21, 28
	s_cbranch_scc0 .LBB62_32
; %bb.14:
	;; [unrolled: 3-line block ×4, first 2 shown]
	s_cmp_eq_u32 s21, 46
	s_mov_b32 s28, 0
	s_cbranch_scc0 .LBB62_149
; %bb.17:
	global_load_b32 v3, v[0:1], off
	s_mov_b32 s23, -1
	s_mov_b32 s24, 0
	s_wait_loadcnt 0x0
	v_lshlrev_b32_e32 v3, 16, v3
	s_delay_alu instid0(VALU_DEP_1)
	v_cvt_i32_f32_e32 v3, v3
	s_branch .LBB62_151
.LBB62_18:
                                        ; implicit-def: $vgpr2
	s_cbranch_execnz .LBB62_68
	s_branch .LBB62_100
.LBB62_19:
	s_mov_b32 s24, 0
	s_mov_b32 s23, 0
                                        ; implicit-def: $vgpr3
	s_cbranch_execnz .LBB62_213
.LBB62_20:
	s_and_not1_b32 vcc_lo, exec_lo, s23
	s_cbranch_vccnz .LBB62_261
.LBB62_21:
	s_wait_xcnt 0x0
	v_mul_lo_u32 v0, v8, s15
	s_and_b32 s0, 0xffff, s1
	s_delay_alu instid0(SALU_CYCLE_1) | instskip(NEXT) | instid1(VALU_DEP_1)
	s_cmp_lt_i32 s0, 11
	v_ashrrev_i32_e32 v1, 31, v0
	s_delay_alu instid0(VALU_DEP_1)
	v_add_nc_u64_e32 v[0:1], s[10:11], v[0:1]
	s_cbranch_scc1 .LBB62_30
; %bb.22:
	s_cmp_gt_i32 s0, 25
	s_cbranch_scc0 .LBB62_33
; %bb.23:
	s_cmp_gt_i32 s0, 28
	s_cbranch_scc0 .LBB62_36
	;; [unrolled: 3-line block ×4, first 2 shown]
; %bb.26:
	s_cmp_eq_u32 s0, 46
	s_mov_b32 s28, 0
	s_cbranch_scc0 .LBB62_262
; %bb.27:
	global_load_b32 v4, v[0:1], off
	s_mov_b32 s21, -1
	s_mov_b32 s23, 0
	s_wait_loadcnt 0x0
	v_lshlrev_b32_e32 v4, 16, v4
	s_delay_alu instid0(VALU_DEP_1)
	v_cvt_i32_f32_e32 v4, v4
	s_branch .LBB62_264
.LBB62_28:
	s_mov_b32 s24, -1
                                        ; implicit-def: $vgpr2
	s_branch .LBB62_51
.LBB62_29:
	s_mov_b32 s28, -1
	s_mov_b32 s24, 0
	s_mov_b32 s23, 0
                                        ; implicit-def: $vgpr3
	s_branch .LBB62_179
.LBB62_30:
	s_mov_b32 s28, -1
	s_mov_b32 s23, 0
	s_mov_b32 s21, 0
                                        ; implicit-def: $vgpr4
	s_branch .LBB62_325
.LBB62_31:
	s_mov_b32 s24, -1
                                        ; implicit-def: $vgpr2
	s_branch .LBB62_46
.LBB62_32:
	s_mov_b32 s28, -1
	s_mov_b32 s24, 0
	s_mov_b32 s23, 0
                                        ; implicit-def: $vgpr3
	s_branch .LBB62_162
.LBB62_33:
	s_mov_b32 s28, -1
	s_mov_b32 s23, 0
	s_mov_b32 s21, 0
                                        ; implicit-def: $vgpr4
	s_branch .LBB62_291
.LBB62_34:
	s_mov_b32 s24, -1
	s_branch .LBB62_38
.LBB62_35:
	s_mov_b32 s28, -1
	s_mov_b32 s24, 0
	s_mov_b32 s23, 0
                                        ; implicit-def: $vgpr3
	s_branch .LBB62_157
.LBB62_36:
	s_mov_b32 s28, -1
	s_mov_b32 s23, 0
	s_mov_b32 s21, 0
                                        ; implicit-def: $vgpr4
	s_branch .LBB62_274
.LBB62_37:
	s_mov_b32 s25, -1
.LBB62_38:
                                        ; implicit-def: $vgpr2
.LBB62_39:
	s_and_b32 vcc_lo, exec_lo, s24
	s_cbranch_vccz .LBB62_45
; %bb.40:
	s_cmp_eq_u32 s21, 44
	s_cbranch_scc0 .LBB62_44
; %bb.41:
	global_load_u8 v2, v[0:1], off
	s_mov_b32 s25, 0
	s_mov_b32 s23, -1
	s_wait_loadcnt 0x0
	v_lshlrev_b32_e32 v3, 23, v2
	v_cmp_ne_u32_e32 vcc_lo, 0, v2
	s_delay_alu instid0(VALU_DEP_2) | instskip(NEXT) | instid1(VALU_DEP_1)
	v_cvt_i32_f32_e32 v3, v3
	v_cndmask_b32_e32 v2, 0, v3, vcc_lo
	s_branch .LBB62_45
.LBB62_42:
	s_mov_b32 s28, -1
	s_mov_b32 s24, 0
	s_branch .LBB62_150
.LBB62_43:
	s_mov_b32 s28, -1
	s_mov_b32 s23, 0
	s_mov_b32 s21, 0
                                        ; implicit-def: $vgpr4
	s_branch .LBB62_269
.LBB62_44:
	s_mov_b32 s25, -1
                                        ; implicit-def: $vgpr2
.LBB62_45:
	s_mov_b32 s24, 0
.LBB62_46:
	s_delay_alu instid0(SALU_CYCLE_1)
	s_and_b32 vcc_lo, exec_lo, s24
	s_cbranch_vccz .LBB62_50
; %bb.47:
	s_cmp_eq_u32 s21, 29
	s_cbranch_scc0 .LBB62_49
; %bb.48:
	global_load_b32 v2, v[0:1], off
	s_mov_b32 s23, -1
	s_mov_b32 s25, 0
	s_branch .LBB62_50
.LBB62_49:
	s_mov_b32 s25, -1
                                        ; implicit-def: $vgpr2
.LBB62_50:
	s_mov_b32 s24, 0
.LBB62_51:
	s_delay_alu instid0(SALU_CYCLE_1)
	s_and_b32 vcc_lo, exec_lo, s24
	s_cbranch_vccz .LBB62_67
; %bb.52:
	s_cmp_lt_i32 s21, 27
	s_cbranch_scc1 .LBB62_55
; %bb.53:
	s_cmp_gt_i32 s21, 27
	s_cbranch_scc0 .LBB62_56
; %bb.54:
	s_wait_loadcnt 0x0
	global_load_b32 v2, v[0:1], off
	s_mov_b32 s23, 0
	s_branch .LBB62_57
.LBB62_55:
	s_mov_b32 s23, -1
                                        ; implicit-def: $vgpr2
	s_branch .LBB62_60
.LBB62_56:
	s_mov_b32 s23, -1
                                        ; implicit-def: $vgpr2
.LBB62_57:
	s_delay_alu instid0(SALU_CYCLE_1)
	s_and_not1_b32 vcc_lo, exec_lo, s23
	s_cbranch_vccnz .LBB62_59
; %bb.58:
	s_wait_loadcnt 0x0
	global_load_u16 v2, v[0:1], off
.LBB62_59:
	s_mov_b32 s23, 0
.LBB62_60:
	s_delay_alu instid0(SALU_CYCLE_1)
	s_and_not1_b32 vcc_lo, exec_lo, s23
	s_cbranch_vccnz .LBB62_66
; %bb.61:
	global_load_u8 v3, v[0:1], off
	s_mov_b32 s24, 0
	s_mov_b32 s23, exec_lo
	s_wait_loadcnt 0x0
	v_cmpx_lt_i16_e32 0x7f, v3
	s_xor_b32 s23, exec_lo, s23
	s_cbranch_execz .LBB62_77
; %bb.62:
	v_cmp_ne_u16_e32 vcc_lo, 0x80, v3
	s_and_b32 s24, vcc_lo, exec_lo
	s_and_not1_saveexec_b32 s23, s23
	s_cbranch_execnz .LBB62_78
.LBB62_63:
	s_or_b32 exec_lo, exec_lo, s23
	v_mov_b32_e32 v2, 0
	s_and_saveexec_b32 s23, s24
	s_cbranch_execz .LBB62_65
.LBB62_64:
	v_and_b32_e32 v2, 0xffff, v3
	s_delay_alu instid0(VALU_DEP_1) | instskip(SKIP_1) | instid1(VALU_DEP_2)
	v_and_b32_e32 v4, 7, v2
	v_bfe_u32 v7, v2, 3, 4
	v_clz_i32_u32_e32 v5, v4
	s_delay_alu instid0(VALU_DEP_2) | instskip(NEXT) | instid1(VALU_DEP_2)
	v_cmp_eq_u32_e32 vcc_lo, 0, v7
	v_min_u32_e32 v5, 32, v5
	s_delay_alu instid0(VALU_DEP_1) | instskip(NEXT) | instid1(VALU_DEP_1)
	v_subrev_nc_u32_e32 v6, 28, v5
	v_dual_lshlrev_b32 v2, v6, v2 :: v_dual_sub_nc_u32 v5, 29, v5
	s_delay_alu instid0(VALU_DEP_1) | instskip(NEXT) | instid1(VALU_DEP_1)
	v_dual_lshlrev_b32 v3, 24, v3 :: v_dual_bitop2_b32 v2, 7, v2 bitop3:0x40
	v_dual_cndmask_b32 v5, v7, v5 :: v_dual_cndmask_b32 v2, v4, v2
	s_delay_alu instid0(VALU_DEP_2) | instskip(NEXT) | instid1(VALU_DEP_2)
	v_and_b32_e32 v3, 0x80000000, v3
	v_lshl_add_u32 v4, v5, 23, 0x3b800000
	s_delay_alu instid0(VALU_DEP_3) | instskip(NEXT) | instid1(VALU_DEP_1)
	v_lshlrev_b32_e32 v2, 20, v2
	v_or3_b32 v2, v3, v4, v2
	s_delay_alu instid0(VALU_DEP_1)
	v_cvt_i32_f32_e32 v2, v2
.LBB62_65:
	s_or_b32 exec_lo, exec_lo, s23
.LBB62_66:
	s_mov_b32 s23, -1
.LBB62_67:
	s_branch .LBB62_100
.LBB62_68:
	s_cmp_gt_i32 s21, 22
	s_cbranch_scc0 .LBB62_76
; %bb.69:
	s_cmp_lt_i32 s21, 24
	s_cbranch_scc1 .LBB62_79
; %bb.70:
	s_cmp_gt_i32 s21, 24
	s_cbranch_scc0 .LBB62_80
; %bb.71:
	global_load_u8 v3, v[0:1], off
	s_mov_b32 s24, 0
	s_mov_b32 s23, exec_lo
	s_wait_loadcnt 0x0
	v_cmpx_lt_i16_e32 0x7f, v3
	s_xor_b32 s23, exec_lo, s23
	s_cbranch_execz .LBB62_92
; %bb.72:
	v_cmp_ne_u16_e32 vcc_lo, 0x80, v3
	s_and_b32 s24, vcc_lo, exec_lo
	s_and_not1_saveexec_b32 s23, s23
	s_cbranch_execnz .LBB62_93
.LBB62_73:
	s_or_b32 exec_lo, exec_lo, s23
	v_mov_b32_e32 v2, 0
	s_and_saveexec_b32 s23, s24
	s_cbranch_execz .LBB62_75
.LBB62_74:
	v_and_b32_e32 v2, 0xffff, v3
	s_delay_alu instid0(VALU_DEP_1) | instskip(SKIP_1) | instid1(VALU_DEP_2)
	v_and_b32_e32 v4, 3, v2
	v_bfe_u32 v7, v2, 2, 5
	v_clz_i32_u32_e32 v5, v4
	s_delay_alu instid0(VALU_DEP_2) | instskip(NEXT) | instid1(VALU_DEP_2)
	v_cmp_eq_u32_e32 vcc_lo, 0, v7
	v_min_u32_e32 v5, 32, v5
	s_delay_alu instid0(VALU_DEP_1) | instskip(NEXT) | instid1(VALU_DEP_1)
	v_subrev_nc_u32_e32 v6, 29, v5
	v_dual_lshlrev_b32 v2, v6, v2 :: v_dual_sub_nc_u32 v5, 30, v5
	s_delay_alu instid0(VALU_DEP_1) | instskip(NEXT) | instid1(VALU_DEP_1)
	v_dual_lshlrev_b32 v3, 24, v3 :: v_dual_bitop2_b32 v2, 3, v2 bitop3:0x40
	v_dual_cndmask_b32 v5, v7, v5 :: v_dual_cndmask_b32 v2, v4, v2
	s_delay_alu instid0(VALU_DEP_2) | instskip(NEXT) | instid1(VALU_DEP_2)
	v_and_b32_e32 v3, 0x80000000, v3
	v_lshl_add_u32 v4, v5, 23, 0x37800000
	s_delay_alu instid0(VALU_DEP_3) | instskip(NEXT) | instid1(VALU_DEP_1)
	v_lshlrev_b32_e32 v2, 21, v2
	v_or3_b32 v2, v3, v4, v2
	s_delay_alu instid0(VALU_DEP_1)
	v_cvt_i32_f32_e32 v2, v2
.LBB62_75:
	s_or_b32 exec_lo, exec_lo, s23
	s_mov_b32 s23, 0
	s_branch .LBB62_81
.LBB62_76:
	s_mov_b32 s24, -1
                                        ; implicit-def: $vgpr2
	s_branch .LBB62_87
.LBB62_77:
	s_and_not1_saveexec_b32 s23, s23
	s_cbranch_execz .LBB62_63
.LBB62_78:
	v_cmp_ne_u16_e32 vcc_lo, 0, v3
	s_and_not1_b32 s24, s24, exec_lo
	s_and_b32 s28, vcc_lo, exec_lo
	s_delay_alu instid0(SALU_CYCLE_1)
	s_or_b32 s24, s24, s28
	s_or_b32 exec_lo, exec_lo, s23
	v_mov_b32_e32 v2, 0
	s_and_saveexec_b32 s23, s24
	s_cbranch_execnz .LBB62_64
	s_branch .LBB62_65
.LBB62_79:
	s_mov_b32 s23, -1
                                        ; implicit-def: $vgpr2
	s_branch .LBB62_84
.LBB62_80:
	s_mov_b32 s23, -1
                                        ; implicit-def: $vgpr2
.LBB62_81:
	s_delay_alu instid0(SALU_CYCLE_1)
	s_and_b32 vcc_lo, exec_lo, s23
	s_cbranch_vccz .LBB62_83
; %bb.82:
	s_wait_loadcnt 0x0
	global_load_u8 v2, v[0:1], off
	s_wait_loadcnt 0x0
	v_lshlrev_b32_e32 v2, 24, v2
	s_delay_alu instid0(VALU_DEP_1) | instskip(NEXT) | instid1(VALU_DEP_1)
	v_and_b32_e32 v3, 0x7f000000, v2
	v_clz_i32_u32_e32 v4, v3
	v_cmp_ne_u32_e32 vcc_lo, 0, v3
	v_add_nc_u32_e32 v6, 0x1000000, v3
	s_delay_alu instid0(VALU_DEP_3) | instskip(NEXT) | instid1(VALU_DEP_1)
	v_min_u32_e32 v4, 32, v4
	v_sub_nc_u32_e64 v4, v4, 4 clamp
	s_delay_alu instid0(VALU_DEP_1) | instskip(NEXT) | instid1(VALU_DEP_1)
	v_dual_lshlrev_b32 v5, v4, v3 :: v_dual_lshlrev_b32 v4, 23, v4
	v_lshrrev_b32_e32 v5, 4, v5
	s_delay_alu instid0(VALU_DEP_1) | instskip(NEXT) | instid1(VALU_DEP_1)
	v_dual_sub_nc_u32 v4, v5, v4 :: v_dual_ashrrev_i32 v5, 8, v6
	v_add_nc_u32_e32 v4, 0x3c000000, v4
	s_delay_alu instid0(VALU_DEP_1) | instskip(NEXT) | instid1(VALU_DEP_1)
	v_and_or_b32 v4, 0x7f800000, v5, v4
	v_cndmask_b32_e32 v3, 0, v4, vcc_lo
	s_delay_alu instid0(VALU_DEP_1) | instskip(NEXT) | instid1(VALU_DEP_1)
	v_and_or_b32 v2, 0x80000000, v2, v3
	v_cvt_i32_f32_e32 v2, v2
.LBB62_83:
	s_mov_b32 s23, 0
.LBB62_84:
	s_delay_alu instid0(SALU_CYCLE_1)
	s_and_not1_b32 vcc_lo, exec_lo, s23
	s_cbranch_vccnz .LBB62_86
; %bb.85:
	s_wait_loadcnt 0x0
	global_load_u8 v2, v[0:1], off
	s_wait_loadcnt 0x0
	v_lshlrev_b32_e32 v3, 25, v2
	v_lshlrev_b16 v2, 8, v2
	s_delay_alu instid0(VALU_DEP_1) | instskip(SKIP_1) | instid1(VALU_DEP_2)
	v_and_or_b32 v5, 0x7f00, v2, 0.5
	v_bfe_i32 v2, v2, 0, 16
	v_dual_add_f32 v5, -0.5, v5 :: v_dual_lshrrev_b32 v4, 4, v3
	v_cmp_gt_u32_e32 vcc_lo, 0x8000000, v3
	s_delay_alu instid0(VALU_DEP_2) | instskip(NEXT) | instid1(VALU_DEP_1)
	v_or_b32_e32 v4, 0x70000000, v4
	v_mul_f32_e32 v4, 0x7800000, v4
	s_delay_alu instid0(VALU_DEP_1) | instskip(NEXT) | instid1(VALU_DEP_1)
	v_cndmask_b32_e32 v3, v4, v5, vcc_lo
	v_and_or_b32 v2, 0x80000000, v2, v3
	s_delay_alu instid0(VALU_DEP_1)
	v_cvt_i32_f32_e32 v2, v2
.LBB62_86:
	s_mov_b32 s24, 0
	s_mov_b32 s23, -1
.LBB62_87:
	s_and_not1_b32 vcc_lo, exec_lo, s24
	s_cbranch_vccnz .LBB62_100
; %bb.88:
	s_cmp_gt_i32 s21, 14
	s_cbranch_scc0 .LBB62_91
; %bb.89:
	s_cmp_eq_u32 s21, 15
	s_cbranch_scc0 .LBB62_94
; %bb.90:
	s_wait_loadcnt 0x0
	global_load_u16 v2, v[0:1], off
	s_mov_b32 s23, -1
	s_mov_b32 s25, 0
	s_wait_loadcnt 0x0
	v_lshlrev_b32_e32 v2, 16, v2
	s_delay_alu instid0(VALU_DEP_1)
	v_cvt_i32_f32_e32 v2, v2
	s_branch .LBB62_95
.LBB62_91:
	s_mov_b32 s24, -1
                                        ; implicit-def: $vgpr2
	s_branch .LBB62_96
.LBB62_92:
	s_and_not1_saveexec_b32 s23, s23
	s_cbranch_execz .LBB62_73
.LBB62_93:
	v_cmp_ne_u16_e32 vcc_lo, 0, v3
	s_and_not1_b32 s24, s24, exec_lo
	s_and_b32 s28, vcc_lo, exec_lo
	s_delay_alu instid0(SALU_CYCLE_1)
	s_or_b32 s24, s24, s28
	s_or_b32 exec_lo, exec_lo, s23
	v_mov_b32_e32 v2, 0
	s_and_saveexec_b32 s23, s24
	s_cbranch_execnz .LBB62_74
	s_branch .LBB62_75
.LBB62_94:
	s_mov_b32 s25, -1
                                        ; implicit-def: $vgpr2
.LBB62_95:
	s_mov_b32 s24, 0
.LBB62_96:
	s_delay_alu instid0(SALU_CYCLE_1)
	s_and_b32 vcc_lo, exec_lo, s24
	s_cbranch_vccz .LBB62_100
; %bb.97:
	s_cmp_eq_u32 s21, 11
	s_cbranch_scc0 .LBB62_99
; %bb.98:
	s_wait_loadcnt 0x0
	global_load_u8 v2, v[0:1], off
	s_mov_b32 s25, 0
	s_mov_b32 s23, -1
	s_wait_loadcnt 0x0
	v_cmp_ne_u16_e32 vcc_lo, 0, v2
	v_cndmask_b32_e64 v2, 0, 1, vcc_lo
	s_branch .LBB62_100
.LBB62_99:
	s_mov_b32 s25, -1
                                        ; implicit-def: $vgpr2
.LBB62_100:
	s_branch .LBB62_10
.LBB62_101:
	s_and_b32 s0, 0xffff, s0
	s_delay_alu instid0(SALU_CYCLE_1)
	s_cmp_lt_i32 s0, 5
	s_cbranch_scc1 .LBB62_106
; %bb.102:
	s_cmp_lt_i32 s0, 8
	s_cbranch_scc1 .LBB62_107
; %bb.103:
	;; [unrolled: 3-line block ×3, first 2 shown]
	s_cmp_gt_i32 s0, 9
	s_cbranch_scc0 .LBB62_109
; %bb.105:
	s_wait_loadcnt 0x0
	global_load_b64 v[2:3], v[0:1], off
	s_mov_b32 s21, 0
	s_wait_loadcnt 0x0
	v_cvt_i32_f64_e32 v2, v[2:3]
	s_branch .LBB62_110
.LBB62_106:
                                        ; implicit-def: $vgpr2
	s_branch .LBB62_128
.LBB62_107:
	s_mov_b32 s21, -1
                                        ; implicit-def: $vgpr2
	s_branch .LBB62_116
.LBB62_108:
	s_mov_b32 s21, -1
                                        ; implicit-def: $vgpr2
	s_branch .LBB62_113
.LBB62_109:
	s_mov_b32 s21, -1
                                        ; implicit-def: $vgpr2
.LBB62_110:
	s_delay_alu instid0(SALU_CYCLE_1)
	s_and_not1_b32 vcc_lo, exec_lo, s21
	s_cbranch_vccnz .LBB62_112
; %bb.111:
	s_wait_loadcnt 0x0
	global_load_b32 v2, v[0:1], off
	s_wait_loadcnt 0x0
	v_cvt_i32_f32_e32 v2, v2
.LBB62_112:
	s_mov_b32 s21, 0
.LBB62_113:
	s_delay_alu instid0(SALU_CYCLE_1)
	s_and_not1_b32 vcc_lo, exec_lo, s21
	s_cbranch_vccnz .LBB62_115
; %bb.114:
	s_wait_loadcnt 0x0
	global_load_b32 v2, v[0:1], off
	s_wait_loadcnt 0x0
	v_cvt_f32_f16_e32 v2, v2
	s_delay_alu instid0(VALU_DEP_1)
	v_cvt_i32_f32_e32 v2, v2
.LBB62_115:
	s_mov_b32 s21, 0
.LBB62_116:
	s_delay_alu instid0(SALU_CYCLE_1)
	s_and_not1_b32 vcc_lo, exec_lo, s21
	s_cbranch_vccnz .LBB62_127
; %bb.117:
	s_cmp_lt_i32 s0, 6
	s_cbranch_scc1 .LBB62_120
; %bb.118:
	s_cmp_gt_i32 s0, 6
	s_cbranch_scc0 .LBB62_121
; %bb.119:
	s_wait_loadcnt 0x0
	global_load_b64 v[2:3], v[0:1], off
	s_mov_b32 s21, 0
	s_wait_loadcnt 0x0
	v_cvt_i32_f64_e32 v2, v[2:3]
	s_branch .LBB62_122
.LBB62_120:
	s_mov_b32 s21, -1
                                        ; implicit-def: $vgpr2
	s_branch .LBB62_125
.LBB62_121:
	s_mov_b32 s21, -1
                                        ; implicit-def: $vgpr2
.LBB62_122:
	s_delay_alu instid0(SALU_CYCLE_1)
	s_and_not1_b32 vcc_lo, exec_lo, s21
	s_cbranch_vccnz .LBB62_124
; %bb.123:
	s_wait_loadcnt 0x0
	global_load_b32 v2, v[0:1], off
	s_wait_loadcnt 0x0
	v_cvt_i32_f32_e32 v2, v2
.LBB62_124:
	s_mov_b32 s21, 0
.LBB62_125:
	s_delay_alu instid0(SALU_CYCLE_1)
	s_and_not1_b32 vcc_lo, exec_lo, s21
	s_cbranch_vccnz .LBB62_127
; %bb.126:
	s_wait_loadcnt 0x0
	global_load_u16 v2, v[0:1], off
	s_wait_loadcnt 0x0
	v_cvt_f32_f16_e32 v2, v2
	s_delay_alu instid0(VALU_DEP_1)
	v_cvt_i32_f32_e32 v2, v2
.LBB62_127:
	s_cbranch_execnz .LBB62_147
.LBB62_128:
	s_cmp_lt_i32 s0, 2
	s_cbranch_scc1 .LBB62_132
; %bb.129:
	s_cmp_lt_i32 s0, 3
	s_cbranch_scc1 .LBB62_133
; %bb.130:
	s_cmp_gt_i32 s0, 3
	s_cbranch_scc0 .LBB62_134
; %bb.131:
	s_wait_loadcnt 0x0
	global_load_b32 v2, v[0:1], off
	s_mov_b32 s21, 0
	s_branch .LBB62_135
.LBB62_132:
	s_mov_b32 s21, -1
                                        ; implicit-def: $vgpr2
	s_branch .LBB62_141
.LBB62_133:
	s_mov_b32 s21, -1
                                        ; implicit-def: $vgpr2
	s_branch .LBB62_138
.LBB62_134:
	s_mov_b32 s21, -1
                                        ; implicit-def: $vgpr2
.LBB62_135:
	s_delay_alu instid0(SALU_CYCLE_1)
	s_and_not1_b32 vcc_lo, exec_lo, s21
	s_cbranch_vccnz .LBB62_137
; %bb.136:
	s_wait_loadcnt 0x0
	global_load_b32 v2, v[0:1], off
.LBB62_137:
	s_mov_b32 s21, 0
.LBB62_138:
	s_delay_alu instid0(SALU_CYCLE_1)
	s_and_not1_b32 vcc_lo, exec_lo, s21
	s_cbranch_vccnz .LBB62_140
; %bb.139:
	s_wait_loadcnt 0x0
	global_load_i16 v2, v[0:1], off
.LBB62_140:
	s_mov_b32 s21, 0
.LBB62_141:
	s_delay_alu instid0(SALU_CYCLE_1)
	s_and_not1_b32 vcc_lo, exec_lo, s21
	s_cbranch_vccnz .LBB62_147
; %bb.142:
	s_cmp_gt_i32 s0, 0
	s_mov_b32 s0, 0
	s_cbranch_scc0 .LBB62_144
; %bb.143:
	s_wait_loadcnt 0x0
	global_load_i8 v2, v[0:1], off
	s_branch .LBB62_145
.LBB62_144:
	s_mov_b32 s0, -1
                                        ; implicit-def: $vgpr2
.LBB62_145:
	s_delay_alu instid0(SALU_CYCLE_1)
	s_and_not1_b32 vcc_lo, exec_lo, s0
	s_cbranch_vccnz .LBB62_147
; %bb.146:
	s_wait_loadcnt 0x0
	global_load_u8 v2, v[0:1], off
.LBB62_147:
	s_branch .LBB62_11
.LBB62_148:
	s_mov_b32 s0, 0
	s_mov_b32 s23, 0
	;; [unrolled: 1-line block ×3, first 2 shown]
	s_branch .LBB62_498
.LBB62_149:
	s_mov_b32 s24, -1
.LBB62_150:
	s_mov_b32 s23, 0
                                        ; implicit-def: $vgpr3
.LBB62_151:
	s_and_b32 vcc_lo, exec_lo, s28
	s_cbranch_vccz .LBB62_156
; %bb.152:
	s_cmp_eq_u32 s21, 44
	s_cbranch_scc0 .LBB62_155
; %bb.153:
	global_load_u8 v3, v[0:1], off
	s_mov_b32 s24, 0
	s_mov_b32 s23, -1
	s_wait_loadcnt 0x0
	v_lshlrev_b32_e32 v4, 23, v3
	v_cmp_ne_u32_e32 vcc_lo, 0, v3
	s_delay_alu instid0(VALU_DEP_2) | instskip(NEXT) | instid1(VALU_DEP_1)
	v_cvt_i32_f32_e32 v4, v4
	v_cndmask_b32_e32 v3, 0, v4, vcc_lo
	s_branch .LBB62_156
.LBB62_154:
	s_mov_b32 s28, -1
	s_mov_b32 s23, 0
	s_branch .LBB62_263
.LBB62_155:
	s_mov_b32 s24, -1
                                        ; implicit-def: $vgpr3
.LBB62_156:
	s_mov_b32 s28, 0
.LBB62_157:
	s_delay_alu instid0(SALU_CYCLE_1)
	s_and_b32 vcc_lo, exec_lo, s28
	s_cbranch_vccz .LBB62_161
; %bb.158:
	s_cmp_eq_u32 s21, 29
	s_cbranch_scc0 .LBB62_160
; %bb.159:
	global_load_b32 v3, v[0:1], off
	s_mov_b32 s23, -1
	s_mov_b32 s24, 0
	s_branch .LBB62_161
.LBB62_160:
	s_mov_b32 s24, -1
                                        ; implicit-def: $vgpr3
.LBB62_161:
	s_mov_b32 s28, 0
.LBB62_162:
	s_delay_alu instid0(SALU_CYCLE_1)
	s_and_b32 vcc_lo, exec_lo, s28
	s_cbranch_vccz .LBB62_178
; %bb.163:
	s_cmp_lt_i32 s21, 27
	s_cbranch_scc1 .LBB62_166
; %bb.164:
	s_cmp_gt_i32 s21, 27
	s_cbranch_scc0 .LBB62_167
; %bb.165:
	s_wait_loadcnt 0x0
	global_load_b32 v3, v[0:1], off
	s_mov_b32 s23, 0
	s_branch .LBB62_168
.LBB62_166:
	s_mov_b32 s23, -1
                                        ; implicit-def: $vgpr3
	s_branch .LBB62_171
.LBB62_167:
	s_mov_b32 s23, -1
                                        ; implicit-def: $vgpr3
.LBB62_168:
	s_delay_alu instid0(SALU_CYCLE_1)
	s_and_not1_b32 vcc_lo, exec_lo, s23
	s_cbranch_vccnz .LBB62_170
; %bb.169:
	s_wait_loadcnt 0x0
	global_load_u16 v3, v[0:1], off
.LBB62_170:
	s_mov_b32 s23, 0
.LBB62_171:
	s_delay_alu instid0(SALU_CYCLE_1)
	s_and_not1_b32 vcc_lo, exec_lo, s23
	s_cbranch_vccnz .LBB62_177
; %bb.172:
	global_load_u8 v4, v[0:1], off
	s_mov_b32 s28, 0
	s_mov_b32 s23, exec_lo
	s_wait_loadcnt 0x0
	v_cmpx_lt_i16_e32 0x7f, v4
	s_xor_b32 s23, exec_lo, s23
	s_cbranch_execz .LBB62_189
; %bb.173:
	v_cmp_ne_u16_e32 vcc_lo, 0x80, v4
	s_and_b32 s28, vcc_lo, exec_lo
	s_and_not1_saveexec_b32 s23, s23
	s_cbranch_execnz .LBB62_190
.LBB62_174:
	s_or_b32 exec_lo, exec_lo, s23
	v_mov_b32_e32 v3, 0
	s_and_saveexec_b32 s23, s28
	s_cbranch_execz .LBB62_176
.LBB62_175:
	v_and_b32_e32 v3, 0xffff, v4
	s_delay_alu instid0(VALU_DEP_1) | instskip(SKIP_1) | instid1(VALU_DEP_2)
	v_and_b32_e32 v5, 7, v3
	v_bfe_u32 v9, v3, 3, 4
	v_clz_i32_u32_e32 v6, v5
	s_delay_alu instid0(VALU_DEP_2) | instskip(NEXT) | instid1(VALU_DEP_2)
	v_cmp_eq_u32_e32 vcc_lo, 0, v9
	v_min_u32_e32 v6, 32, v6
	s_delay_alu instid0(VALU_DEP_1) | instskip(NEXT) | instid1(VALU_DEP_1)
	v_subrev_nc_u32_e32 v7, 28, v6
	v_dual_lshlrev_b32 v3, v7, v3 :: v_dual_sub_nc_u32 v6, 29, v6
	s_delay_alu instid0(VALU_DEP_1) | instskip(NEXT) | instid1(VALU_DEP_2)
	v_dual_lshlrev_b32 v4, 24, v4 :: v_dual_bitop2_b32 v3, 7, v3 bitop3:0x40
	v_cndmask_b32_e32 v6, v9, v6, vcc_lo
	s_delay_alu instid0(VALU_DEP_2) | instskip(NEXT) | instid1(VALU_DEP_3)
	v_cndmask_b32_e32 v3, v5, v3, vcc_lo
	v_and_b32_e32 v4, 0x80000000, v4
	s_delay_alu instid0(VALU_DEP_3) | instskip(NEXT) | instid1(VALU_DEP_3)
	v_lshl_add_u32 v5, v6, 23, 0x3b800000
	v_lshlrev_b32_e32 v3, 20, v3
	s_delay_alu instid0(VALU_DEP_1) | instskip(NEXT) | instid1(VALU_DEP_1)
	v_or3_b32 v3, v4, v5, v3
	v_cvt_i32_f32_e32 v3, v3
.LBB62_176:
	s_or_b32 exec_lo, exec_lo, s23
.LBB62_177:
	s_mov_b32 s23, -1
.LBB62_178:
	s_mov_b32 s28, 0
.LBB62_179:
	s_delay_alu instid0(SALU_CYCLE_1)
	s_and_b32 vcc_lo, exec_lo, s28
	s_cbranch_vccz .LBB62_212
; %bb.180:
	s_cmp_gt_i32 s21, 22
	s_cbranch_scc0 .LBB62_188
; %bb.181:
	s_cmp_lt_i32 s21, 24
	s_cbranch_scc1 .LBB62_191
; %bb.182:
	s_cmp_gt_i32 s21, 24
	s_cbranch_scc0 .LBB62_192
; %bb.183:
	global_load_u8 v4, v[0:1], off
	s_mov_b32 s28, 0
	s_mov_b32 s23, exec_lo
	s_wait_loadcnt 0x0
	v_cmpx_lt_i16_e32 0x7f, v4
	s_xor_b32 s23, exec_lo, s23
	s_cbranch_execz .LBB62_204
; %bb.184:
	v_cmp_ne_u16_e32 vcc_lo, 0x80, v4
	s_and_b32 s28, vcc_lo, exec_lo
	s_and_not1_saveexec_b32 s23, s23
	s_cbranch_execnz .LBB62_205
.LBB62_185:
	s_or_b32 exec_lo, exec_lo, s23
	v_mov_b32_e32 v3, 0
	s_and_saveexec_b32 s23, s28
	s_cbranch_execz .LBB62_187
.LBB62_186:
	v_and_b32_e32 v3, 0xffff, v4
	s_delay_alu instid0(VALU_DEP_1) | instskip(SKIP_1) | instid1(VALU_DEP_2)
	v_and_b32_e32 v5, 3, v3
	v_bfe_u32 v9, v3, 2, 5
	v_clz_i32_u32_e32 v6, v5
	s_delay_alu instid0(VALU_DEP_2) | instskip(NEXT) | instid1(VALU_DEP_2)
	v_cmp_eq_u32_e32 vcc_lo, 0, v9
	v_min_u32_e32 v6, 32, v6
	s_delay_alu instid0(VALU_DEP_1) | instskip(NEXT) | instid1(VALU_DEP_1)
	v_subrev_nc_u32_e32 v7, 29, v6
	v_dual_lshlrev_b32 v3, v7, v3 :: v_dual_sub_nc_u32 v6, 30, v6
	s_delay_alu instid0(VALU_DEP_1) | instskip(NEXT) | instid1(VALU_DEP_2)
	v_dual_lshlrev_b32 v4, 24, v4 :: v_dual_bitop2_b32 v3, 3, v3 bitop3:0x40
	v_cndmask_b32_e32 v6, v9, v6, vcc_lo
	s_delay_alu instid0(VALU_DEP_2) | instskip(NEXT) | instid1(VALU_DEP_3)
	v_cndmask_b32_e32 v3, v5, v3, vcc_lo
	v_and_b32_e32 v4, 0x80000000, v4
	s_delay_alu instid0(VALU_DEP_3) | instskip(NEXT) | instid1(VALU_DEP_3)
	v_lshl_add_u32 v5, v6, 23, 0x37800000
	v_lshlrev_b32_e32 v3, 21, v3
	s_delay_alu instid0(VALU_DEP_1) | instskip(NEXT) | instid1(VALU_DEP_1)
	v_or3_b32 v3, v4, v5, v3
	v_cvt_i32_f32_e32 v3, v3
.LBB62_187:
	s_or_b32 exec_lo, exec_lo, s23
	s_mov_b32 s23, 0
	s_branch .LBB62_193
.LBB62_188:
	s_mov_b32 s28, -1
                                        ; implicit-def: $vgpr3
	s_branch .LBB62_199
.LBB62_189:
	s_and_not1_saveexec_b32 s23, s23
	s_cbranch_execz .LBB62_174
.LBB62_190:
	v_cmp_ne_u16_e32 vcc_lo, 0, v4
	s_and_not1_b32 s28, s28, exec_lo
	s_and_b32 s29, vcc_lo, exec_lo
	s_delay_alu instid0(SALU_CYCLE_1)
	s_or_b32 s28, s28, s29
	s_or_b32 exec_lo, exec_lo, s23
	v_mov_b32_e32 v3, 0
	s_and_saveexec_b32 s23, s28
	s_cbranch_execnz .LBB62_175
	s_branch .LBB62_176
.LBB62_191:
	s_mov_b32 s23, -1
                                        ; implicit-def: $vgpr3
	s_branch .LBB62_196
.LBB62_192:
	s_mov_b32 s23, -1
                                        ; implicit-def: $vgpr3
.LBB62_193:
	s_delay_alu instid0(SALU_CYCLE_1)
	s_and_b32 vcc_lo, exec_lo, s23
	s_cbranch_vccz .LBB62_195
; %bb.194:
	s_wait_loadcnt 0x0
	global_load_u8 v3, v[0:1], off
	s_wait_loadcnt 0x0
	v_lshlrev_b32_e32 v3, 24, v3
	s_delay_alu instid0(VALU_DEP_1) | instskip(NEXT) | instid1(VALU_DEP_1)
	v_and_b32_e32 v4, 0x7f000000, v3
	v_clz_i32_u32_e32 v5, v4
	v_cmp_ne_u32_e32 vcc_lo, 0, v4
	v_add_nc_u32_e32 v7, 0x1000000, v4
	s_delay_alu instid0(VALU_DEP_3) | instskip(NEXT) | instid1(VALU_DEP_1)
	v_min_u32_e32 v5, 32, v5
	v_sub_nc_u32_e64 v5, v5, 4 clamp
	s_delay_alu instid0(VALU_DEP_1) | instskip(NEXT) | instid1(VALU_DEP_1)
	v_dual_lshlrev_b32 v6, v5, v4 :: v_dual_lshlrev_b32 v5, 23, v5
	v_lshrrev_b32_e32 v6, 4, v6
	s_delay_alu instid0(VALU_DEP_1) | instskip(NEXT) | instid1(VALU_DEP_1)
	v_dual_sub_nc_u32 v5, v6, v5 :: v_dual_ashrrev_i32 v6, 8, v7
	v_add_nc_u32_e32 v5, 0x3c000000, v5
	s_delay_alu instid0(VALU_DEP_1) | instskip(NEXT) | instid1(VALU_DEP_1)
	v_and_or_b32 v5, 0x7f800000, v6, v5
	v_cndmask_b32_e32 v4, 0, v5, vcc_lo
	s_delay_alu instid0(VALU_DEP_1) | instskip(NEXT) | instid1(VALU_DEP_1)
	v_and_or_b32 v3, 0x80000000, v3, v4
	v_cvt_i32_f32_e32 v3, v3
.LBB62_195:
	s_mov_b32 s23, 0
.LBB62_196:
	s_delay_alu instid0(SALU_CYCLE_1)
	s_and_not1_b32 vcc_lo, exec_lo, s23
	s_cbranch_vccnz .LBB62_198
; %bb.197:
	s_wait_loadcnt 0x0
	global_load_u8 v3, v[0:1], off
	s_wait_loadcnt 0x0
	v_lshlrev_b32_e32 v4, 25, v3
	v_lshlrev_b16 v3, 8, v3
	s_delay_alu instid0(VALU_DEP_1) | instskip(SKIP_1) | instid1(VALU_DEP_2)
	v_and_or_b32 v6, 0x7f00, v3, 0.5
	v_bfe_i32 v3, v3, 0, 16
	v_dual_add_f32 v6, -0.5, v6 :: v_dual_lshrrev_b32 v5, 4, v4
	v_cmp_gt_u32_e32 vcc_lo, 0x8000000, v4
	s_delay_alu instid0(VALU_DEP_2) | instskip(NEXT) | instid1(VALU_DEP_1)
	v_or_b32_e32 v5, 0x70000000, v5
	v_mul_f32_e32 v5, 0x7800000, v5
	s_delay_alu instid0(VALU_DEP_1) | instskip(NEXT) | instid1(VALU_DEP_1)
	v_cndmask_b32_e32 v4, v5, v6, vcc_lo
	v_and_or_b32 v3, 0x80000000, v3, v4
	s_delay_alu instid0(VALU_DEP_1)
	v_cvt_i32_f32_e32 v3, v3
.LBB62_198:
	s_mov_b32 s28, 0
	s_mov_b32 s23, -1
.LBB62_199:
	s_and_not1_b32 vcc_lo, exec_lo, s28
	s_cbranch_vccnz .LBB62_212
; %bb.200:
	s_cmp_gt_i32 s21, 14
	s_cbranch_scc0 .LBB62_203
; %bb.201:
	s_cmp_eq_u32 s21, 15
	s_cbranch_scc0 .LBB62_206
; %bb.202:
	s_wait_loadcnt 0x0
	global_load_u16 v3, v[0:1], off
	s_mov_b32 s23, -1
	s_mov_b32 s24, 0
	s_wait_loadcnt 0x0
	v_lshlrev_b32_e32 v3, 16, v3
	s_delay_alu instid0(VALU_DEP_1)
	v_cvt_i32_f32_e32 v3, v3
	s_branch .LBB62_207
.LBB62_203:
	s_mov_b32 s28, -1
                                        ; implicit-def: $vgpr3
	s_branch .LBB62_208
.LBB62_204:
	s_and_not1_saveexec_b32 s23, s23
	s_cbranch_execz .LBB62_185
.LBB62_205:
	v_cmp_ne_u16_e32 vcc_lo, 0, v4
	s_and_not1_b32 s28, s28, exec_lo
	s_and_b32 s29, vcc_lo, exec_lo
	s_delay_alu instid0(SALU_CYCLE_1)
	s_or_b32 s28, s28, s29
	s_or_b32 exec_lo, exec_lo, s23
	v_mov_b32_e32 v3, 0
	s_and_saveexec_b32 s23, s28
	s_cbranch_execnz .LBB62_186
	s_branch .LBB62_187
.LBB62_206:
	s_mov_b32 s24, -1
                                        ; implicit-def: $vgpr3
.LBB62_207:
	s_mov_b32 s28, 0
.LBB62_208:
	s_delay_alu instid0(SALU_CYCLE_1)
	s_and_b32 vcc_lo, exec_lo, s28
	s_cbranch_vccz .LBB62_212
; %bb.209:
	s_cmp_eq_u32 s21, 11
	s_cbranch_scc0 .LBB62_211
; %bb.210:
	s_wait_loadcnt 0x0
	global_load_u8 v3, v[0:1], off
	s_mov_b32 s24, 0
	s_mov_b32 s23, -1
	s_wait_loadcnt 0x0
	v_cmp_ne_u16_e32 vcc_lo, 0, v3
	v_cndmask_b32_e64 v3, 0, 1, vcc_lo
	s_branch .LBB62_212
.LBB62_211:
	s_mov_b32 s24, -1
                                        ; implicit-def: $vgpr3
.LBB62_212:
	s_branch .LBB62_20
.LBB62_213:
	s_and_b32 s0, 0xffff, s0
	s_delay_alu instid0(SALU_CYCLE_1)
	s_cmp_lt_i32 s0, 5
	s_cbranch_scc1 .LBB62_218
; %bb.214:
	s_cmp_lt_i32 s0, 8
	s_cbranch_scc1 .LBB62_219
; %bb.215:
	;; [unrolled: 3-line block ×3, first 2 shown]
	s_cmp_gt_i32 s0, 9
	s_cbranch_scc0 .LBB62_221
; %bb.217:
	global_load_b64 v[4:5], v[0:1], off
	s_mov_b32 s21, 0
	s_wait_loadcnt 0x0
	v_cvt_i32_f64_e32 v3, v[4:5]
	s_branch .LBB62_222
.LBB62_218:
	s_mov_b32 s21, -1
                                        ; implicit-def: $vgpr3
	s_branch .LBB62_240
.LBB62_219:
	s_mov_b32 s21, -1
                                        ; implicit-def: $vgpr3
	s_branch .LBB62_228
.LBB62_220:
	s_mov_b32 s21, -1
                                        ; implicit-def: $vgpr3
	s_branch .LBB62_225
.LBB62_221:
	s_mov_b32 s21, -1
                                        ; implicit-def: $vgpr3
.LBB62_222:
	s_delay_alu instid0(SALU_CYCLE_1)
	s_and_not1_b32 vcc_lo, exec_lo, s21
	s_cbranch_vccnz .LBB62_224
; %bb.223:
	s_wait_loadcnt 0x0
	global_load_b32 v3, v[0:1], off
	s_wait_loadcnt 0x0
	v_cvt_i32_f32_e32 v3, v3
.LBB62_224:
	s_mov_b32 s21, 0
.LBB62_225:
	s_delay_alu instid0(SALU_CYCLE_1)
	s_and_not1_b32 vcc_lo, exec_lo, s21
	s_cbranch_vccnz .LBB62_227
; %bb.226:
	s_wait_loadcnt 0x0
	global_load_b32 v3, v[0:1], off
	s_wait_loadcnt 0x0
	v_cvt_f32_f16_e32 v3, v3
	s_delay_alu instid0(VALU_DEP_1)
	v_cvt_i32_f32_e32 v3, v3
.LBB62_227:
	s_mov_b32 s21, 0
.LBB62_228:
	s_delay_alu instid0(SALU_CYCLE_1)
	s_and_not1_b32 vcc_lo, exec_lo, s21
	s_cbranch_vccnz .LBB62_239
; %bb.229:
	s_cmp_lt_i32 s0, 6
	s_cbranch_scc1 .LBB62_232
; %bb.230:
	s_cmp_gt_i32 s0, 6
	s_cbranch_scc0 .LBB62_233
; %bb.231:
	global_load_b64 v[4:5], v[0:1], off
	s_mov_b32 s21, 0
	s_wait_loadcnt 0x0
	v_cvt_i32_f64_e32 v3, v[4:5]
	s_branch .LBB62_234
.LBB62_232:
	s_mov_b32 s21, -1
                                        ; implicit-def: $vgpr3
	s_branch .LBB62_237
.LBB62_233:
	s_mov_b32 s21, -1
                                        ; implicit-def: $vgpr3
.LBB62_234:
	s_delay_alu instid0(SALU_CYCLE_1)
	s_and_not1_b32 vcc_lo, exec_lo, s21
	s_cbranch_vccnz .LBB62_236
; %bb.235:
	s_wait_loadcnt 0x0
	global_load_b32 v3, v[0:1], off
	s_wait_loadcnt 0x0
	v_cvt_i32_f32_e32 v3, v3
.LBB62_236:
	s_mov_b32 s21, 0
.LBB62_237:
	s_delay_alu instid0(SALU_CYCLE_1)
	s_and_not1_b32 vcc_lo, exec_lo, s21
	s_cbranch_vccnz .LBB62_239
; %bb.238:
	s_wait_loadcnt 0x0
	global_load_u16 v3, v[0:1], off
	s_wait_loadcnt 0x0
	v_cvt_f32_f16_e32 v3, v3
	s_delay_alu instid0(VALU_DEP_1)
	v_cvt_i32_f32_e32 v3, v3
.LBB62_239:
	s_mov_b32 s21, 0
.LBB62_240:
	s_delay_alu instid0(SALU_CYCLE_1)
	s_and_not1_b32 vcc_lo, exec_lo, s21
	s_cbranch_vccnz .LBB62_260
; %bb.241:
	s_cmp_lt_i32 s0, 2
	s_cbranch_scc1 .LBB62_245
; %bb.242:
	s_cmp_lt_i32 s0, 3
	s_cbranch_scc1 .LBB62_246
; %bb.243:
	s_cmp_gt_i32 s0, 3
	s_cbranch_scc0 .LBB62_247
; %bb.244:
	s_wait_loadcnt 0x0
	global_load_b32 v3, v[0:1], off
	s_mov_b32 s21, 0
	s_branch .LBB62_248
.LBB62_245:
	s_mov_b32 s21, -1
                                        ; implicit-def: $vgpr3
	s_branch .LBB62_254
.LBB62_246:
	s_mov_b32 s21, -1
                                        ; implicit-def: $vgpr3
	s_branch .LBB62_251
.LBB62_247:
	s_mov_b32 s21, -1
                                        ; implicit-def: $vgpr3
.LBB62_248:
	s_delay_alu instid0(SALU_CYCLE_1)
	s_and_not1_b32 vcc_lo, exec_lo, s21
	s_cbranch_vccnz .LBB62_250
; %bb.249:
	s_wait_loadcnt 0x0
	global_load_b32 v3, v[0:1], off
.LBB62_250:
	s_mov_b32 s21, 0
.LBB62_251:
	s_delay_alu instid0(SALU_CYCLE_1)
	s_and_not1_b32 vcc_lo, exec_lo, s21
	s_cbranch_vccnz .LBB62_253
; %bb.252:
	s_wait_loadcnt 0x0
	global_load_i16 v3, v[0:1], off
.LBB62_253:
	s_mov_b32 s21, 0
.LBB62_254:
	s_delay_alu instid0(SALU_CYCLE_1)
	s_and_not1_b32 vcc_lo, exec_lo, s21
	s_cbranch_vccnz .LBB62_260
; %bb.255:
	s_cmp_gt_i32 s0, 0
	s_mov_b32 s0, 0
	s_cbranch_scc0 .LBB62_257
; %bb.256:
	s_wait_loadcnt 0x0
	global_load_i8 v3, v[0:1], off
	s_branch .LBB62_258
.LBB62_257:
	s_mov_b32 s0, -1
                                        ; implicit-def: $vgpr3
.LBB62_258:
	s_delay_alu instid0(SALU_CYCLE_1)
	s_and_not1_b32 vcc_lo, exec_lo, s0
	s_cbranch_vccnz .LBB62_260
; %bb.259:
	s_wait_loadcnt 0x0
	global_load_u8 v3, v[0:1], off
.LBB62_260:
	s_branch .LBB62_21
.LBB62_261:
	s_mov_b32 s0, 0
	s_mov_b32 s23, 0
	s_branch .LBB62_498
.LBB62_262:
	s_mov_b32 s23, -1
.LBB62_263:
	s_mov_b32 s21, 0
                                        ; implicit-def: $vgpr4
.LBB62_264:
	s_and_b32 vcc_lo, exec_lo, s28
	s_cbranch_vccz .LBB62_268
; %bb.265:
	s_cmp_eq_u32 s0, 44
	s_cbranch_scc0 .LBB62_267
; %bb.266:
	global_load_u8 v4, v[0:1], off
	s_mov_b32 s23, 0
	s_mov_b32 s21, -1
	s_wait_loadcnt 0x0
	v_lshlrev_b32_e32 v5, 23, v4
	v_cmp_ne_u32_e32 vcc_lo, 0, v4
	s_delay_alu instid0(VALU_DEP_2) | instskip(NEXT) | instid1(VALU_DEP_1)
	v_cvt_i32_f32_e32 v5, v5
	v_cndmask_b32_e32 v4, 0, v5, vcc_lo
	s_branch .LBB62_268
.LBB62_267:
	s_mov_b32 s23, -1
                                        ; implicit-def: $vgpr4
.LBB62_268:
	s_mov_b32 s28, 0
.LBB62_269:
	s_delay_alu instid0(SALU_CYCLE_1)
	s_and_b32 vcc_lo, exec_lo, s28
	s_cbranch_vccz .LBB62_273
; %bb.270:
	s_cmp_eq_u32 s0, 29
	s_cbranch_scc0 .LBB62_272
; %bb.271:
	global_load_b32 v4, v[0:1], off
	s_mov_b32 s21, -1
	s_mov_b32 s23, 0
	s_branch .LBB62_273
.LBB62_272:
	s_mov_b32 s23, -1
                                        ; implicit-def: $vgpr4
.LBB62_273:
	s_mov_b32 s28, 0
.LBB62_274:
	s_delay_alu instid0(SALU_CYCLE_1)
	s_and_b32 vcc_lo, exec_lo, s28
	s_cbranch_vccz .LBB62_290
; %bb.275:
	s_cmp_lt_i32 s0, 27
	s_cbranch_scc1 .LBB62_278
; %bb.276:
	s_cmp_gt_i32 s0, 27
	s_cbranch_scc0 .LBB62_279
; %bb.277:
	s_wait_loadcnt 0x0
	global_load_b32 v4, v[0:1], off
	s_mov_b32 s21, 0
	s_branch .LBB62_280
.LBB62_278:
	s_mov_b32 s21, -1
                                        ; implicit-def: $vgpr4
	s_branch .LBB62_283
.LBB62_279:
	s_mov_b32 s21, -1
                                        ; implicit-def: $vgpr4
.LBB62_280:
	s_delay_alu instid0(SALU_CYCLE_1)
	s_and_not1_b32 vcc_lo, exec_lo, s21
	s_cbranch_vccnz .LBB62_282
; %bb.281:
	s_wait_loadcnt 0x0
	global_load_u16 v4, v[0:1], off
.LBB62_282:
	s_mov_b32 s21, 0
.LBB62_283:
	s_delay_alu instid0(SALU_CYCLE_1)
	s_and_not1_b32 vcc_lo, exec_lo, s21
	s_cbranch_vccnz .LBB62_289
; %bb.284:
	global_load_u8 v5, v[0:1], off
	s_mov_b32 s28, 0
	s_mov_b32 s21, exec_lo
	s_wait_loadcnt 0x0
	v_cmpx_lt_i16_e32 0x7f, v5
	s_xor_b32 s21, exec_lo, s21
	s_cbranch_execz .LBB62_301
; %bb.285:
	v_cmp_ne_u16_e32 vcc_lo, 0x80, v5
	s_and_b32 s28, vcc_lo, exec_lo
	s_and_not1_saveexec_b32 s21, s21
	s_cbranch_execnz .LBB62_302
.LBB62_286:
	s_or_b32 exec_lo, exec_lo, s21
	v_mov_b32_e32 v4, 0
	s_and_saveexec_b32 s21, s28
	s_cbranch_execz .LBB62_288
.LBB62_287:
	v_and_b32_e32 v4, 0xffff, v5
	s_delay_alu instid0(VALU_DEP_1) | instskip(SKIP_1) | instid1(VALU_DEP_2)
	v_and_b32_e32 v6, 7, v4
	v_bfe_u32 v10, v4, 3, 4
	v_clz_i32_u32_e32 v7, v6
	s_delay_alu instid0(VALU_DEP_2) | instskip(NEXT) | instid1(VALU_DEP_2)
	v_cmp_eq_u32_e32 vcc_lo, 0, v10
	v_min_u32_e32 v7, 32, v7
	s_delay_alu instid0(VALU_DEP_1) | instskip(NEXT) | instid1(VALU_DEP_1)
	v_subrev_nc_u32_e32 v9, 28, v7
	v_dual_lshlrev_b32 v4, v9, v4 :: v_dual_sub_nc_u32 v7, 29, v7
	s_delay_alu instid0(VALU_DEP_1) | instskip(NEXT) | instid1(VALU_DEP_2)
	v_dual_lshlrev_b32 v5, 24, v5 :: v_dual_bitop2_b32 v4, 7, v4 bitop3:0x40
	v_cndmask_b32_e32 v7, v10, v7, vcc_lo
	s_delay_alu instid0(VALU_DEP_2) | instskip(NEXT) | instid1(VALU_DEP_3)
	v_cndmask_b32_e32 v4, v6, v4, vcc_lo
	v_and_b32_e32 v5, 0x80000000, v5
	s_delay_alu instid0(VALU_DEP_3) | instskip(NEXT) | instid1(VALU_DEP_3)
	v_lshl_add_u32 v6, v7, 23, 0x3b800000
	v_lshlrev_b32_e32 v4, 20, v4
	s_delay_alu instid0(VALU_DEP_1) | instskip(NEXT) | instid1(VALU_DEP_1)
	v_or3_b32 v4, v5, v6, v4
	v_cvt_i32_f32_e32 v4, v4
.LBB62_288:
	s_or_b32 exec_lo, exec_lo, s21
.LBB62_289:
	s_mov_b32 s21, -1
.LBB62_290:
	s_mov_b32 s28, 0
.LBB62_291:
	s_delay_alu instid0(SALU_CYCLE_1)
	s_and_b32 vcc_lo, exec_lo, s28
	s_cbranch_vccz .LBB62_324
; %bb.292:
	s_cmp_gt_i32 s0, 22
	s_cbranch_scc0 .LBB62_300
; %bb.293:
	s_cmp_lt_i32 s0, 24
	s_cbranch_scc1 .LBB62_303
; %bb.294:
	s_cmp_gt_i32 s0, 24
	s_cbranch_scc0 .LBB62_304
; %bb.295:
	global_load_u8 v5, v[0:1], off
	s_mov_b32 s28, 0
	s_mov_b32 s21, exec_lo
	s_wait_loadcnt 0x0
	v_cmpx_lt_i16_e32 0x7f, v5
	s_xor_b32 s21, exec_lo, s21
	s_cbranch_execz .LBB62_316
; %bb.296:
	v_cmp_ne_u16_e32 vcc_lo, 0x80, v5
	s_and_b32 s28, vcc_lo, exec_lo
	s_and_not1_saveexec_b32 s21, s21
	s_cbranch_execnz .LBB62_317
.LBB62_297:
	s_or_b32 exec_lo, exec_lo, s21
	v_mov_b32_e32 v4, 0
	s_and_saveexec_b32 s21, s28
	s_cbranch_execz .LBB62_299
.LBB62_298:
	v_and_b32_e32 v4, 0xffff, v5
	s_delay_alu instid0(VALU_DEP_1) | instskip(SKIP_1) | instid1(VALU_DEP_2)
	v_and_b32_e32 v6, 3, v4
	v_bfe_u32 v10, v4, 2, 5
	v_clz_i32_u32_e32 v7, v6
	s_delay_alu instid0(VALU_DEP_2) | instskip(NEXT) | instid1(VALU_DEP_2)
	v_cmp_eq_u32_e32 vcc_lo, 0, v10
	v_min_u32_e32 v7, 32, v7
	s_delay_alu instid0(VALU_DEP_1) | instskip(NEXT) | instid1(VALU_DEP_1)
	v_subrev_nc_u32_e32 v9, 29, v7
	v_dual_lshlrev_b32 v4, v9, v4 :: v_dual_sub_nc_u32 v7, 30, v7
	s_delay_alu instid0(VALU_DEP_1) | instskip(NEXT) | instid1(VALU_DEP_2)
	v_dual_lshlrev_b32 v5, 24, v5 :: v_dual_bitop2_b32 v4, 3, v4 bitop3:0x40
	v_cndmask_b32_e32 v7, v10, v7, vcc_lo
	s_delay_alu instid0(VALU_DEP_2) | instskip(NEXT) | instid1(VALU_DEP_3)
	v_cndmask_b32_e32 v4, v6, v4, vcc_lo
	v_and_b32_e32 v5, 0x80000000, v5
	s_delay_alu instid0(VALU_DEP_3) | instskip(NEXT) | instid1(VALU_DEP_3)
	v_lshl_add_u32 v6, v7, 23, 0x37800000
	v_lshlrev_b32_e32 v4, 21, v4
	s_delay_alu instid0(VALU_DEP_1) | instskip(NEXT) | instid1(VALU_DEP_1)
	v_or3_b32 v4, v5, v6, v4
	v_cvt_i32_f32_e32 v4, v4
.LBB62_299:
	s_or_b32 exec_lo, exec_lo, s21
	s_mov_b32 s21, 0
	s_branch .LBB62_305
.LBB62_300:
	s_mov_b32 s28, -1
                                        ; implicit-def: $vgpr4
	s_branch .LBB62_311
.LBB62_301:
	s_and_not1_saveexec_b32 s21, s21
	s_cbranch_execz .LBB62_286
.LBB62_302:
	v_cmp_ne_u16_e32 vcc_lo, 0, v5
	s_and_not1_b32 s28, s28, exec_lo
	s_and_b32 s29, vcc_lo, exec_lo
	s_delay_alu instid0(SALU_CYCLE_1)
	s_or_b32 s28, s28, s29
	s_or_b32 exec_lo, exec_lo, s21
	v_mov_b32_e32 v4, 0
	s_and_saveexec_b32 s21, s28
	s_cbranch_execnz .LBB62_287
	s_branch .LBB62_288
.LBB62_303:
	s_mov_b32 s21, -1
                                        ; implicit-def: $vgpr4
	s_branch .LBB62_308
.LBB62_304:
	s_mov_b32 s21, -1
                                        ; implicit-def: $vgpr4
.LBB62_305:
	s_delay_alu instid0(SALU_CYCLE_1)
	s_and_b32 vcc_lo, exec_lo, s21
	s_cbranch_vccz .LBB62_307
; %bb.306:
	s_wait_loadcnt 0x0
	global_load_u8 v4, v[0:1], off
	s_wait_loadcnt 0x0
	v_lshlrev_b32_e32 v4, 24, v4
	s_delay_alu instid0(VALU_DEP_1) | instskip(NEXT) | instid1(VALU_DEP_1)
	v_and_b32_e32 v5, 0x7f000000, v4
	v_clz_i32_u32_e32 v6, v5
	v_add_nc_u32_e32 v9, 0x1000000, v5
	v_cmp_ne_u32_e32 vcc_lo, 0, v5
	s_delay_alu instid0(VALU_DEP_3) | instskip(NEXT) | instid1(VALU_DEP_1)
	v_min_u32_e32 v6, 32, v6
	v_sub_nc_u32_e64 v6, v6, 4 clamp
	s_delay_alu instid0(VALU_DEP_1) | instskip(NEXT) | instid1(VALU_DEP_1)
	v_dual_lshlrev_b32 v7, v6, v5 :: v_dual_lshlrev_b32 v6, 23, v6
	v_lshrrev_b32_e32 v7, 4, v7
	s_delay_alu instid0(VALU_DEP_1) | instskip(NEXT) | instid1(VALU_DEP_1)
	v_dual_sub_nc_u32 v6, v7, v6 :: v_dual_ashrrev_i32 v7, 8, v9
	v_add_nc_u32_e32 v6, 0x3c000000, v6
	s_delay_alu instid0(VALU_DEP_1) | instskip(NEXT) | instid1(VALU_DEP_1)
	v_and_or_b32 v6, 0x7f800000, v7, v6
	v_cndmask_b32_e32 v5, 0, v6, vcc_lo
	s_delay_alu instid0(VALU_DEP_1) | instskip(NEXT) | instid1(VALU_DEP_1)
	v_and_or_b32 v4, 0x80000000, v4, v5
	v_cvt_i32_f32_e32 v4, v4
.LBB62_307:
	s_mov_b32 s21, 0
.LBB62_308:
	s_delay_alu instid0(SALU_CYCLE_1)
	s_and_not1_b32 vcc_lo, exec_lo, s21
	s_cbranch_vccnz .LBB62_310
; %bb.309:
	s_wait_loadcnt 0x0
	global_load_u8 v4, v[0:1], off
	s_wait_loadcnt 0x0
	v_lshlrev_b32_e32 v5, 25, v4
	v_lshlrev_b16 v4, 8, v4
	s_delay_alu instid0(VALU_DEP_1) | instskip(SKIP_1) | instid1(VALU_DEP_2)
	v_and_or_b32 v7, 0x7f00, v4, 0.5
	v_bfe_i32 v4, v4, 0, 16
	v_dual_add_f32 v7, -0.5, v7 :: v_dual_lshrrev_b32 v6, 4, v5
	v_cmp_gt_u32_e32 vcc_lo, 0x8000000, v5
	s_delay_alu instid0(VALU_DEP_2) | instskip(NEXT) | instid1(VALU_DEP_1)
	v_or_b32_e32 v6, 0x70000000, v6
	v_mul_f32_e32 v6, 0x7800000, v6
	s_delay_alu instid0(VALU_DEP_1) | instskip(NEXT) | instid1(VALU_DEP_1)
	v_cndmask_b32_e32 v5, v6, v7, vcc_lo
	v_and_or_b32 v4, 0x80000000, v4, v5
	s_delay_alu instid0(VALU_DEP_1)
	v_cvt_i32_f32_e32 v4, v4
.LBB62_310:
	s_mov_b32 s28, 0
	s_mov_b32 s21, -1
.LBB62_311:
	s_and_not1_b32 vcc_lo, exec_lo, s28
	s_cbranch_vccnz .LBB62_324
; %bb.312:
	s_cmp_gt_i32 s0, 14
	s_cbranch_scc0 .LBB62_315
; %bb.313:
	s_cmp_eq_u32 s0, 15
	s_cbranch_scc0 .LBB62_318
; %bb.314:
	s_wait_loadcnt 0x0
	global_load_u16 v4, v[0:1], off
	s_mov_b32 s21, -1
	s_mov_b32 s23, 0
	s_wait_loadcnt 0x0
	v_lshlrev_b32_e32 v4, 16, v4
	s_delay_alu instid0(VALU_DEP_1)
	v_cvt_i32_f32_e32 v4, v4
	s_branch .LBB62_319
.LBB62_315:
	s_mov_b32 s28, -1
                                        ; implicit-def: $vgpr4
	s_branch .LBB62_320
.LBB62_316:
	s_and_not1_saveexec_b32 s21, s21
	s_cbranch_execz .LBB62_297
.LBB62_317:
	v_cmp_ne_u16_e32 vcc_lo, 0, v5
	s_and_not1_b32 s28, s28, exec_lo
	s_and_b32 s29, vcc_lo, exec_lo
	s_delay_alu instid0(SALU_CYCLE_1)
	s_or_b32 s28, s28, s29
	s_or_b32 exec_lo, exec_lo, s21
	v_mov_b32_e32 v4, 0
	s_and_saveexec_b32 s21, s28
	s_cbranch_execnz .LBB62_298
	s_branch .LBB62_299
.LBB62_318:
	s_mov_b32 s23, -1
                                        ; implicit-def: $vgpr4
.LBB62_319:
	s_mov_b32 s28, 0
.LBB62_320:
	s_delay_alu instid0(SALU_CYCLE_1)
	s_and_b32 vcc_lo, exec_lo, s28
	s_cbranch_vccz .LBB62_324
; %bb.321:
	s_cmp_eq_u32 s0, 11
	s_cbranch_scc0 .LBB62_323
; %bb.322:
	s_wait_loadcnt 0x0
	global_load_u8 v4, v[0:1], off
	s_mov_b32 s23, 0
	s_mov_b32 s21, -1
	s_wait_loadcnt 0x0
	v_cmp_ne_u16_e32 vcc_lo, 0, v4
	v_cndmask_b32_e64 v4, 0, 1, vcc_lo
	s_branch .LBB62_324
.LBB62_323:
	s_mov_b32 s23, -1
                                        ; implicit-def: $vgpr4
.LBB62_324:
	s_mov_b32 s28, 0
.LBB62_325:
	s_delay_alu instid0(SALU_CYCLE_1)
	s_and_b32 vcc_lo, exec_lo, s28
	s_cbranch_vccz .LBB62_374
; %bb.326:
	s_cmp_lt_i32 s0, 5
	s_cbranch_scc1 .LBB62_331
; %bb.327:
	s_cmp_lt_i32 s0, 8
	s_cbranch_scc1 .LBB62_332
	;; [unrolled: 3-line block ×3, first 2 shown]
; %bb.329:
	s_cmp_gt_i32 s0, 9
	s_cbranch_scc0 .LBB62_334
; %bb.330:
	s_wait_loadcnt 0x0
	global_load_b64 v[4:5], v[0:1], off
	s_mov_b32 s21, 0
	s_wait_loadcnt 0x0
	v_cvt_i32_f64_e32 v4, v[4:5]
	s_branch .LBB62_335
.LBB62_331:
	s_mov_b32 s21, -1
                                        ; implicit-def: $vgpr4
	s_branch .LBB62_353
.LBB62_332:
	s_mov_b32 s21, -1
                                        ; implicit-def: $vgpr4
	s_branch .LBB62_341
.LBB62_333:
	s_mov_b32 s21, -1
                                        ; implicit-def: $vgpr4
	s_branch .LBB62_338
.LBB62_334:
	s_mov_b32 s21, -1
                                        ; implicit-def: $vgpr4
.LBB62_335:
	s_delay_alu instid0(SALU_CYCLE_1)
	s_and_not1_b32 vcc_lo, exec_lo, s21
	s_cbranch_vccnz .LBB62_337
; %bb.336:
	s_wait_loadcnt 0x0
	global_load_b32 v4, v[0:1], off
	s_wait_loadcnt 0x0
	v_cvt_i32_f32_e32 v4, v4
.LBB62_337:
	s_mov_b32 s21, 0
.LBB62_338:
	s_delay_alu instid0(SALU_CYCLE_1)
	s_and_not1_b32 vcc_lo, exec_lo, s21
	s_cbranch_vccnz .LBB62_340
; %bb.339:
	s_wait_loadcnt 0x0
	global_load_b32 v4, v[0:1], off
	s_wait_loadcnt 0x0
	v_cvt_f32_f16_e32 v4, v4
	s_delay_alu instid0(VALU_DEP_1)
	v_cvt_i32_f32_e32 v4, v4
.LBB62_340:
	s_mov_b32 s21, 0
.LBB62_341:
	s_delay_alu instid0(SALU_CYCLE_1)
	s_and_not1_b32 vcc_lo, exec_lo, s21
	s_cbranch_vccnz .LBB62_352
; %bb.342:
	s_cmp_lt_i32 s0, 6
	s_cbranch_scc1 .LBB62_345
; %bb.343:
	s_cmp_gt_i32 s0, 6
	s_cbranch_scc0 .LBB62_346
; %bb.344:
	s_wait_loadcnt 0x0
	global_load_b64 v[4:5], v[0:1], off
	s_mov_b32 s21, 0
	s_wait_loadcnt 0x0
	v_cvt_i32_f64_e32 v4, v[4:5]
	s_branch .LBB62_347
.LBB62_345:
	s_mov_b32 s21, -1
                                        ; implicit-def: $vgpr4
	s_branch .LBB62_350
.LBB62_346:
	s_mov_b32 s21, -1
                                        ; implicit-def: $vgpr4
.LBB62_347:
	s_delay_alu instid0(SALU_CYCLE_1)
	s_and_not1_b32 vcc_lo, exec_lo, s21
	s_cbranch_vccnz .LBB62_349
; %bb.348:
	s_wait_loadcnt 0x0
	global_load_b32 v4, v[0:1], off
	s_wait_loadcnt 0x0
	v_cvt_i32_f32_e32 v4, v4
.LBB62_349:
	s_mov_b32 s21, 0
.LBB62_350:
	s_delay_alu instid0(SALU_CYCLE_1)
	s_and_not1_b32 vcc_lo, exec_lo, s21
	s_cbranch_vccnz .LBB62_352
; %bb.351:
	s_wait_loadcnt 0x0
	global_load_u16 v4, v[0:1], off
	s_wait_loadcnt 0x0
	v_cvt_f32_f16_e32 v4, v4
	s_delay_alu instid0(VALU_DEP_1)
	v_cvt_i32_f32_e32 v4, v4
.LBB62_352:
	s_mov_b32 s21, 0
.LBB62_353:
	s_delay_alu instid0(SALU_CYCLE_1)
	s_and_not1_b32 vcc_lo, exec_lo, s21
	s_cbranch_vccnz .LBB62_373
; %bb.354:
	s_cmp_lt_i32 s0, 2
	s_cbranch_scc1 .LBB62_358
; %bb.355:
	s_cmp_lt_i32 s0, 3
	s_cbranch_scc1 .LBB62_359
; %bb.356:
	s_cmp_gt_i32 s0, 3
	s_cbranch_scc0 .LBB62_360
; %bb.357:
	s_wait_loadcnt 0x0
	global_load_b32 v4, v[0:1], off
	s_mov_b32 s21, 0
	s_branch .LBB62_361
.LBB62_358:
	s_mov_b32 s21, -1
                                        ; implicit-def: $vgpr4
	s_branch .LBB62_367
.LBB62_359:
	s_mov_b32 s21, -1
                                        ; implicit-def: $vgpr4
	s_branch .LBB62_364
.LBB62_360:
	s_mov_b32 s21, -1
                                        ; implicit-def: $vgpr4
.LBB62_361:
	s_delay_alu instid0(SALU_CYCLE_1)
	s_and_not1_b32 vcc_lo, exec_lo, s21
	s_cbranch_vccnz .LBB62_363
; %bb.362:
	s_wait_loadcnt 0x0
	global_load_b32 v4, v[0:1], off
.LBB62_363:
	s_mov_b32 s21, 0
.LBB62_364:
	s_delay_alu instid0(SALU_CYCLE_1)
	s_and_not1_b32 vcc_lo, exec_lo, s21
	s_cbranch_vccnz .LBB62_366
; %bb.365:
	s_wait_loadcnt 0x0
	global_load_i16 v4, v[0:1], off
.LBB62_366:
	s_mov_b32 s21, 0
.LBB62_367:
	s_delay_alu instid0(SALU_CYCLE_1)
	s_and_not1_b32 vcc_lo, exec_lo, s21
	s_cbranch_vccnz .LBB62_373
; %bb.368:
	s_cmp_gt_i32 s0, 0
	s_mov_b32 s0, 0
	s_cbranch_scc0 .LBB62_370
; %bb.369:
	s_wait_loadcnt 0x0
	global_load_i8 v4, v[0:1], off
	s_branch .LBB62_371
.LBB62_370:
	s_mov_b32 s0, -1
                                        ; implicit-def: $vgpr4
.LBB62_371:
	s_delay_alu instid0(SALU_CYCLE_1)
	s_and_not1_b32 vcc_lo, exec_lo, s0
	s_cbranch_vccnz .LBB62_373
; %bb.372:
	s_wait_loadcnt 0x0
	global_load_u8 v4, v[0:1], off
.LBB62_373:
	s_mov_b32 s21, -1
.LBB62_374:
	s_delay_alu instid0(SALU_CYCLE_1)
	s_and_not1_b32 vcc_lo, exec_lo, s21
	s_cbranch_vccnz .LBB62_382
; %bb.375:
	s_wait_loadcnt 0x0
	v_mul_lo_u32 v0, v2, s16
	v_mul_lo_u32 v2, v8, s12
	;; [unrolled: 1-line block ×3, first 2 shown]
	s_and_b32 s21, s18, 0xff
	s_delay_alu instid0(SALU_CYCLE_1) | instskip(NEXT) | instid1(VALU_DEP_2)
	s_cmp_lt_i32 s21, 11
	v_ashrrev_i32_e32 v3, 31, v2
	s_delay_alu instid0(VALU_DEP_2) | instskip(NEXT) | instid1(VALU_DEP_2)
	v_mad_u32 v0, v1, v4, v0
	v_add_nc_u64_e32 v[2:3], s[4:5], v[2:3]
	s_cbranch_scc1 .LBB62_383
; %bb.376:
	s_and_b32 s28, 0xffff, s21
	s_delay_alu instid0(SALU_CYCLE_1)
	s_cmp_gt_i32 s28, 25
	s_cbranch_scc0 .LBB62_384
; %bb.377:
	s_cmp_gt_i32 s28, 28
	s_cbranch_scc0 .LBB62_385
; %bb.378:
	;; [unrolled: 3-line block ×4, first 2 shown]
	s_mov_b32 s30, 0
	s_mov_b32 s0, -1
	s_cmp_eq_u32 s28, 46
	s_mov_b32 s29, 0
	s_cbranch_scc0 .LBB62_388
; %bb.381:
	v_cvt_f32_i32_e32 v1, v0
	s_mov_b32 s29, -1
	s_mov_b32 s0, 0
	s_delay_alu instid0(VALU_DEP_1) | instskip(NEXT) | instid1(VALU_DEP_1)
	v_bfe_u32 v4, v1, 16, 1
	v_add3_u32 v1, v1, v4, 0x7fff
	s_delay_alu instid0(VALU_DEP_1)
	v_lshrrev_b32_e32 v1, 16, v1
	global_store_b32 v[2:3], v1, off
	s_branch .LBB62_388
.LBB62_382:
	s_mov_b32 s0, 0
	s_branch .LBB62_498
.LBB62_383:
	s_mov_b32 s28, -1
	s_mov_b32 s0, 0
	s_mov_b32 s29, 0
	s_branch .LBB62_457
.LBB62_384:
	s_mov_b32 s0, 0
	s_mov_b32 s29, 0
	s_branch .LBB62_415
.LBB62_385:
	s_mov_b32 s0, 0
	s_mov_b32 s29, 0
	s_branch .LBB62_398
.LBB62_386:
	s_mov_b32 s0, 0
	s_mov_b32 s29, 0
	s_branch .LBB62_394
.LBB62_387:
	s_mov_b32 s0, 0
	s_mov_b32 s29, 0
.LBB62_388:
	s_and_b32 vcc_lo, exec_lo, s30
	s_cbranch_vccz .LBB62_393
; %bb.389:
	s_cmp_eq_u32 s28, 44
	s_mov_b32 s0, -1
	s_cbranch_scc0 .LBB62_393
; %bb.390:
	s_wait_xcnt 0x0
	v_cvt_f32_i32_e32 v1, v0
	v_mov_b32_e32 v4, 0xff
	s_mov_b32 s29, exec_lo
	s_delay_alu instid0(VALU_DEP_2) | instskip(NEXT) | instid1(VALU_DEP_1)
	v_bfe_u32 v5, v1, 23, 8
	v_cmpx_ne_u32_e32 0xff, v5
	s_cbranch_execz .LBB62_392
; %bb.391:
	v_and_b32_e32 v4, 0x400000, v1
	v_and_or_b32 v5, 0x3fffff, v1, v5
	v_lshrrev_b32_e32 v1, 23, v1
	s_delay_alu instid0(VALU_DEP_3) | instskip(NEXT) | instid1(VALU_DEP_3)
	v_cmp_ne_u32_e32 vcc_lo, 0, v4
	v_cmp_ne_u32_e64 s0, 0, v5
	s_and_b32 s0, vcc_lo, s0
	s_delay_alu instid0(SALU_CYCLE_1) | instskip(NEXT) | instid1(VALU_DEP_1)
	v_cndmask_b32_e64 v4, 0, 1, s0
	v_add_nc_u32_e32 v4, v1, v4
.LBB62_392:
	s_or_b32 exec_lo, exec_lo, s29
	s_mov_b32 s29, -1
	s_mov_b32 s0, 0
	global_store_b8 v[2:3], v4, off
.LBB62_393:
	s_mov_b32 s30, 0
.LBB62_394:
	s_delay_alu instid0(SALU_CYCLE_1)
	s_and_b32 vcc_lo, exec_lo, s30
	s_cbranch_vccz .LBB62_397
; %bb.395:
	s_cmp_eq_u32 s28, 29
	s_mov_b32 s0, -1
	s_cbranch_scc0 .LBB62_397
; %bb.396:
	s_wait_xcnt 0x0
	v_ashrrev_i32_e32 v1, 31, v0
	s_mov_b32 s29, -1
	s_mov_b32 s0, 0
	s_mov_b32 s30, 0
	global_store_b64 v[2:3], v[0:1], off
	s_branch .LBB62_398
.LBB62_397:
	s_mov_b32 s30, 0
.LBB62_398:
	s_delay_alu instid0(SALU_CYCLE_1)
	s_and_b32 vcc_lo, exec_lo, s30
	s_cbranch_vccz .LBB62_414
; %bb.399:
	s_cmp_lt_i32 s28, 27
	s_mov_b32 s29, -1
	s_cbranch_scc1 .LBB62_405
; %bb.400:
	s_cmp_gt_i32 s28, 27
	s_cbranch_scc0 .LBB62_402
; %bb.401:
	s_mov_b32 s29, 0
	global_store_b32 v[2:3], v0, off
.LBB62_402:
	s_and_not1_b32 vcc_lo, exec_lo, s29
	s_cbranch_vccnz .LBB62_404
; %bb.403:
	global_store_b16 v[2:3], v0, off
.LBB62_404:
	s_mov_b32 s29, 0
.LBB62_405:
	s_delay_alu instid0(SALU_CYCLE_1)
	s_and_not1_b32 vcc_lo, exec_lo, s29
	s_cbranch_vccnz .LBB62_413
; %bb.406:
	s_wait_xcnt 0x0
	v_cvt_f32_i32_e32 v1, v0
	v_mov_b32_e32 v5, 0x80
	s_mov_b32 s29, exec_lo
	s_delay_alu instid0(VALU_DEP_2) | instskip(NEXT) | instid1(VALU_DEP_1)
	v_and_b32_e32 v4, 0x7fffffff, v1
	v_cmpx_gt_u32_e32 0x43800000, v4
	s_cbranch_execz .LBB62_412
; %bb.407:
	v_cmp_lt_u32_e32 vcc_lo, 0x3bffffff, v4
	s_mov_b32 s30, 0
                                        ; implicit-def: $vgpr4
	s_and_saveexec_b32 s31, vcc_lo
	s_delay_alu instid0(SALU_CYCLE_1)
	s_xor_b32 s31, exec_lo, s31
	s_cbranch_execz .LBB62_642
; %bb.408:
	v_bfe_u32 v4, v1, 20, 1
	s_mov_b32 s30, exec_lo
	s_delay_alu instid0(VALU_DEP_1) | instskip(NEXT) | instid1(VALU_DEP_1)
	v_add3_u32 v4, v1, v4, 0x487ffff
	v_lshrrev_b32_e32 v4, 20, v4
	s_and_not1_saveexec_b32 s31, s31
	s_cbranch_execnz .LBB62_643
.LBB62_409:
	s_or_b32 exec_lo, exec_lo, s31
	v_mov_b32_e32 v5, 0
	s_and_saveexec_b32 s31, s30
.LBB62_410:
	v_lshrrev_b32_e32 v1, 24, v1
	s_delay_alu instid0(VALU_DEP_1)
	v_and_or_b32 v5, 0x80, v1, v4
.LBB62_411:
	s_or_b32 exec_lo, exec_lo, s31
.LBB62_412:
	s_delay_alu instid0(SALU_CYCLE_1)
	s_or_b32 exec_lo, exec_lo, s29
	global_store_b8 v[2:3], v5, off
.LBB62_413:
	s_mov_b32 s29, -1
.LBB62_414:
	s_mov_b32 s30, 0
.LBB62_415:
	s_delay_alu instid0(SALU_CYCLE_1)
	s_and_b32 vcc_lo, exec_lo, s30
	s_cbranch_vccz .LBB62_456
; %bb.416:
	s_cmp_gt_i32 s28, 22
	s_mov_b32 s30, -1
	s_cbranch_scc0 .LBB62_448
; %bb.417:
	s_cmp_lt_i32 s28, 24
	s_mov_b32 s29, -1
	s_cbranch_scc1 .LBB62_437
; %bb.418:
	s_cmp_gt_i32 s28, 24
	s_cbranch_scc0 .LBB62_426
; %bb.419:
	s_wait_xcnt 0x0
	v_cvt_f32_i32_e32 v1, v0
	v_mov_b32_e32 v5, 0x80
	s_mov_b32 s29, exec_lo
	s_delay_alu instid0(VALU_DEP_2) | instskip(NEXT) | instid1(VALU_DEP_1)
	v_and_b32_e32 v4, 0x7fffffff, v1
	v_cmpx_gt_u32_e32 0x47800000, v4
	s_cbranch_execz .LBB62_425
; %bb.420:
	v_cmp_lt_u32_e32 vcc_lo, 0x37ffffff, v4
	s_mov_b32 s30, 0
                                        ; implicit-def: $vgpr4
	s_and_saveexec_b32 s31, vcc_lo
	s_delay_alu instid0(SALU_CYCLE_1)
	s_xor_b32 s31, exec_lo, s31
	s_cbranch_execz .LBB62_770
; %bb.421:
	v_bfe_u32 v4, v1, 21, 1
	s_mov_b32 s30, exec_lo
	s_delay_alu instid0(VALU_DEP_1) | instskip(NEXT) | instid1(VALU_DEP_1)
	v_add3_u32 v4, v1, v4, 0x88fffff
	v_lshrrev_b32_e32 v4, 21, v4
	s_and_not1_saveexec_b32 s31, s31
	s_cbranch_execnz .LBB62_771
.LBB62_422:
	s_or_b32 exec_lo, exec_lo, s31
	v_mov_b32_e32 v5, 0
	s_and_saveexec_b32 s31, s30
.LBB62_423:
	v_lshrrev_b32_e32 v1, 24, v1
	s_delay_alu instid0(VALU_DEP_1)
	v_and_or_b32 v5, 0x80, v1, v4
.LBB62_424:
	s_or_b32 exec_lo, exec_lo, s31
.LBB62_425:
	s_delay_alu instid0(SALU_CYCLE_1)
	s_or_b32 exec_lo, exec_lo, s29
	s_mov_b32 s29, 0
	global_store_b8 v[2:3], v5, off
.LBB62_426:
	s_and_b32 vcc_lo, exec_lo, s29
	s_cbranch_vccz .LBB62_436
; %bb.427:
	s_wait_xcnt 0x0
	v_cvt_f32_i32_e32 v1, v0
	s_mov_b32 s29, exec_lo
                                        ; implicit-def: $vgpr4
	s_delay_alu instid0(VALU_DEP_1) | instskip(NEXT) | instid1(VALU_DEP_1)
	v_and_b32_e32 v5, 0x7fffffff, v1
	v_cmpx_gt_u32_e32 0x43f00000, v5
	s_xor_b32 s29, exec_lo, s29
	s_cbranch_execz .LBB62_433
; %bb.428:
	s_mov_b32 s30, exec_lo
                                        ; implicit-def: $vgpr4
	v_cmpx_lt_u32_e32 0x3c7fffff, v5
	s_xor_b32 s30, exec_lo, s30
; %bb.429:
	v_bfe_u32 v4, v1, 20, 1
	s_delay_alu instid0(VALU_DEP_1) | instskip(NEXT) | instid1(VALU_DEP_1)
	v_add3_u32 v4, v1, v4, 0x407ffff
	v_and_b32_e32 v5, 0xff00000, v4
	v_lshrrev_b32_e32 v4, 20, v4
	s_delay_alu instid0(VALU_DEP_2) | instskip(NEXT) | instid1(VALU_DEP_2)
	v_cmp_ne_u32_e32 vcc_lo, 0x7f00000, v5
	v_cndmask_b32_e32 v4, 0x7e, v4, vcc_lo
; %bb.430:
	s_and_not1_saveexec_b32 s30, s30
; %bb.431:
	v_add_f32_e64 v4, 0x46800000, |v1|
; %bb.432:
	s_or_b32 exec_lo, exec_lo, s30
                                        ; implicit-def: $vgpr5
.LBB62_433:
	s_and_not1_saveexec_b32 s29, s29
; %bb.434:
	v_mov_b32_e32 v4, 0x7f
	v_cmp_lt_u32_e32 vcc_lo, 0x7f800000, v5
	s_delay_alu instid0(VALU_DEP_2)
	v_cndmask_b32_e32 v4, 0x7e, v4, vcc_lo
; %bb.435:
	s_or_b32 exec_lo, exec_lo, s29
	v_lshrrev_b32_e32 v1, 24, v1
	s_delay_alu instid0(VALU_DEP_1)
	v_and_or_b32 v1, 0x80, v1, v4
	global_store_b8 v[2:3], v1, off
.LBB62_436:
	s_mov_b32 s29, 0
.LBB62_437:
	s_delay_alu instid0(SALU_CYCLE_1)
	s_and_not1_b32 vcc_lo, exec_lo, s29
	s_cbranch_vccnz .LBB62_447
; %bb.438:
	s_wait_xcnt 0x0
	v_cvt_f32_i32_e32 v1, v0
	s_mov_b32 s29, exec_lo
                                        ; implicit-def: $vgpr4
	s_delay_alu instid0(VALU_DEP_1) | instskip(NEXT) | instid1(VALU_DEP_1)
	v_and_b32_e32 v5, 0x7fffffff, v1
	v_cmpx_gt_u32_e32 0x47800000, v5
	s_xor_b32 s29, exec_lo, s29
	s_cbranch_execz .LBB62_444
; %bb.439:
	s_mov_b32 s30, exec_lo
                                        ; implicit-def: $vgpr4
	v_cmpx_lt_u32_e32 0x387fffff, v5
	s_xor_b32 s30, exec_lo, s30
; %bb.440:
	v_bfe_u32 v4, v1, 21, 1
	s_delay_alu instid0(VALU_DEP_1) | instskip(NEXT) | instid1(VALU_DEP_1)
	v_add3_u32 v4, v1, v4, 0x80fffff
	v_lshrrev_b32_e32 v4, 21, v4
; %bb.441:
	s_and_not1_saveexec_b32 s30, s30
; %bb.442:
	v_add_f32_e64 v4, 0x43000000, |v1|
; %bb.443:
	s_or_b32 exec_lo, exec_lo, s30
                                        ; implicit-def: $vgpr5
.LBB62_444:
	s_and_not1_saveexec_b32 s29, s29
; %bb.445:
	v_mov_b32_e32 v4, 0x7f
	v_cmp_lt_u32_e32 vcc_lo, 0x7f800000, v5
	s_delay_alu instid0(VALU_DEP_2)
	v_cndmask_b32_e32 v4, 0x7c, v4, vcc_lo
; %bb.446:
	s_or_b32 exec_lo, exec_lo, s29
	v_lshrrev_b32_e32 v1, 24, v1
	s_delay_alu instid0(VALU_DEP_1)
	v_and_or_b32 v1, 0x80, v1, v4
	global_store_b8 v[2:3], v1, off
.LBB62_447:
	s_mov_b32 s30, 0
	s_mov_b32 s29, -1
.LBB62_448:
	s_and_not1_b32 vcc_lo, exec_lo, s30
	s_cbranch_vccnz .LBB62_456
; %bb.449:
	s_cmp_gt_i32 s28, 14
	s_mov_b32 s30, -1
	s_cbranch_scc0 .LBB62_453
; %bb.450:
	s_cmp_eq_u32 s28, 15
	s_mov_b32 s0, -1
	s_cbranch_scc0 .LBB62_452
; %bb.451:
	s_wait_xcnt 0x0
	v_cvt_f32_i32_e32 v1, v0
	s_mov_b32 s29, -1
	s_mov_b32 s0, 0
	s_delay_alu instid0(VALU_DEP_1) | instskip(NEXT) | instid1(VALU_DEP_1)
	v_bfe_u32 v4, v1, 16, 1
	v_add3_u32 v1, v1, v4, 0x7fff
	global_store_d16_hi_b16 v[2:3], v1, off
.LBB62_452:
	s_mov_b32 s30, 0
.LBB62_453:
	s_delay_alu instid0(SALU_CYCLE_1)
	s_and_b32 vcc_lo, exec_lo, s30
	s_cbranch_vccz .LBB62_456
; %bb.454:
	s_cmp_eq_u32 s28, 11
	s_mov_b32 s0, -1
	s_cbranch_scc0 .LBB62_456
; %bb.455:
	v_cmp_ne_u32_e32 vcc_lo, 0, v0
	s_mov_b32 s0, 0
	s_mov_b32 s29, -1
	s_wait_xcnt 0x0
	v_cndmask_b32_e64 v1, 0, 1, vcc_lo
	global_store_b8 v[2:3], v1, off
.LBB62_456:
	s_mov_b32 s28, 0
.LBB62_457:
	s_delay_alu instid0(SALU_CYCLE_1)
	s_and_b32 vcc_lo, exec_lo, s28
	s_cbranch_vccz .LBB62_496
; %bb.458:
	s_and_b32 s21, 0xffff, s21
	s_mov_b32 s28, -1
	s_cmp_lt_i32 s21, 5
	s_cbranch_scc1 .LBB62_479
; %bb.459:
	s_cmp_lt_i32 s21, 8
	s_cbranch_scc1 .LBB62_469
; %bb.460:
	;; [unrolled: 3-line block ×3, first 2 shown]
	s_cmp_gt_i32 s21, 9
	s_cbranch_scc0 .LBB62_463
; %bb.462:
	s_wait_xcnt 0x0
	v_cvt_f64_i32_e32 v[4:5], v0
	v_mov_b32_e32 v6, 0
	s_mov_b32 s28, 0
	s_delay_alu instid0(VALU_DEP_1)
	v_mov_b32_e32 v7, v6
	global_store_b128 v[2:3], v[4:7], off
.LBB62_463:
	s_and_not1_b32 vcc_lo, exec_lo, s28
	s_cbranch_vccnz .LBB62_465
; %bb.464:
	s_wait_xcnt 0x0
	v_cvt_f32_i32_e32 v4, v0
	v_mov_b32_e32 v5, 0
	global_store_b64 v[2:3], v[4:5], off
.LBB62_465:
	s_mov_b32 s28, 0
.LBB62_466:
	s_delay_alu instid0(SALU_CYCLE_1)
	s_and_not1_b32 vcc_lo, exec_lo, s28
	s_cbranch_vccnz .LBB62_468
; %bb.467:
	s_wait_xcnt 0x0
	v_cvt_f32_i32_e32 v1, v0
	s_delay_alu instid0(VALU_DEP_1) | instskip(NEXT) | instid1(VALU_DEP_1)
	v_cvt_f16_f32_e32 v1, v1
	v_and_b32_e32 v1, 0xffff, v1
	global_store_b32 v[2:3], v1, off
.LBB62_468:
	s_mov_b32 s28, 0
.LBB62_469:
	s_delay_alu instid0(SALU_CYCLE_1)
	s_and_not1_b32 vcc_lo, exec_lo, s28
	s_cbranch_vccnz .LBB62_478
; %bb.470:
	s_cmp_lt_i32 s21, 6
	s_mov_b32 s28, -1
	s_cbranch_scc1 .LBB62_476
; %bb.471:
	s_cmp_gt_i32 s21, 6
	s_cbranch_scc0 .LBB62_473
; %bb.472:
	s_wait_xcnt 0x0
	v_cvt_f64_i32_e32 v[4:5], v0
	s_mov_b32 s28, 0
	global_store_b64 v[2:3], v[4:5], off
.LBB62_473:
	s_and_not1_b32 vcc_lo, exec_lo, s28
	s_cbranch_vccnz .LBB62_475
; %bb.474:
	s_wait_xcnt 0x0
	v_cvt_f32_i32_e32 v1, v0
	global_store_b32 v[2:3], v1, off
.LBB62_475:
	s_mov_b32 s28, 0
.LBB62_476:
	s_delay_alu instid0(SALU_CYCLE_1)
	s_and_not1_b32 vcc_lo, exec_lo, s28
	s_cbranch_vccnz .LBB62_478
; %bb.477:
	s_wait_xcnt 0x0
	v_cvt_f32_i32_e32 v1, v0
	s_delay_alu instid0(VALU_DEP_1)
	v_cvt_f16_f32_e32 v1, v1
	global_store_b16 v[2:3], v1, off
.LBB62_478:
	s_mov_b32 s28, 0
.LBB62_479:
	s_delay_alu instid0(SALU_CYCLE_1)
	s_and_not1_b32 vcc_lo, exec_lo, s28
	s_cbranch_vccnz .LBB62_495
; %bb.480:
	s_cmp_lt_i32 s21, 2
	s_mov_b32 s28, -1
	s_cbranch_scc1 .LBB62_490
; %bb.481:
	s_cmp_lt_i32 s21, 3
	s_cbranch_scc1 .LBB62_487
; %bb.482:
	s_cmp_gt_i32 s21, 3
	s_cbranch_scc0 .LBB62_484
; %bb.483:
	s_wait_xcnt 0x0
	v_ashrrev_i32_e32 v1, 31, v0
	s_mov_b32 s28, 0
	global_store_b64 v[2:3], v[0:1], off
.LBB62_484:
	s_and_not1_b32 vcc_lo, exec_lo, s28
	s_cbranch_vccnz .LBB62_486
; %bb.485:
	global_store_b32 v[2:3], v0, off
.LBB62_486:
	s_mov_b32 s28, 0
.LBB62_487:
	s_delay_alu instid0(SALU_CYCLE_1)
	s_and_not1_b32 vcc_lo, exec_lo, s28
	s_cbranch_vccnz .LBB62_489
; %bb.488:
	global_store_b16 v[2:3], v0, off
.LBB62_489:
	s_mov_b32 s28, 0
.LBB62_490:
	s_delay_alu instid0(SALU_CYCLE_1)
	s_and_not1_b32 vcc_lo, exec_lo, s28
	s_cbranch_vccnz .LBB62_495
; %bb.491:
	s_cmp_gt_i32 s21, 0
	s_mov_b32 s21, -1
	s_cbranch_scc0 .LBB62_493
; %bb.492:
	s_mov_b32 s21, 0
	global_store_b8 v[2:3], v0, off
.LBB62_493:
	s_and_not1_b32 vcc_lo, exec_lo, s21
	s_cbranch_vccnz .LBB62_495
; %bb.494:
	global_store_b8 v[2:3], v0, off
.LBB62_495:
	s_mov_b32 s29, -1
.LBB62_496:
	s_delay_alu instid0(SALU_CYCLE_1)
	s_and_not1_b32 vcc_lo, exec_lo, s29
	s_cbranch_vccnz .LBB62_498
; %bb.497:
	v_add_nc_u32_e32 v8, 0x80, v8
	s_mov_b32 s28, -1
	s_branch .LBB62_499
.LBB62_498:
	s_mov_b32 s28, 0
                                        ; implicit-def: $vgpr8
.LBB62_499:
	s_and_b32 s21, s0, exec_lo
	s_and_b32 s23, s23, exec_lo
	;; [unrolled: 1-line block ×4, first 2 shown]
	s_or_not1_b32 s30, s28, exec_lo
.LBB62_500:
	s_wait_xcnt 0x0
	s_or_b32 exec_lo, exec_lo, s26
	s_mov_b32 s29, 0
	s_mov_b32 s28, 0
                                        ; implicit-def: $sgpr0
                                        ; implicit-def: $vgpr0_vgpr1
                                        ; implicit-def: $vgpr4
	s_and_saveexec_b32 s26, s30
	s_cbranch_execz .LBB62_509
; %bb.501:
	s_mov_b32 s34, -1
	s_mov_b32 s27, s25
	s_mov_b32 s30, s24
	;; [unrolled: 1-line block ×4, first 2 shown]
	s_mov_b32 s31, exec_lo
	v_cmpx_gt_i32_e64 s22, v8
	s_cbranch_execz .LBB62_1011
; %bb.502:
	v_mul_lo_u32 v0, v8, s13
	s_and_b32 s0, s19, 0xff
	s_delay_alu instid0(SALU_CYCLE_1) | instskip(NEXT) | instid1(VALU_DEP_1)
	s_cmp_lt_i32 s0, 11
	v_ashrrev_i32_e32 v1, 31, v0
	s_delay_alu instid0(VALU_DEP_1)
	v_add_nc_u64_e32 v[0:1], s[6:7], v[0:1]
	s_cbranch_scc1 .LBB62_512
; %bb.503:
	s_and_b32 s28, 0xffff, s0
	s_delay_alu instid0(SALU_CYCLE_1)
	s_cmp_gt_i32 s28, 25
	s_cbranch_scc0 .LBB62_521
; %bb.504:
	s_cmp_gt_i32 s28, 28
	s_cbranch_scc0 .LBB62_523
; %bb.505:
	s_cmp_gt_i32 s28, 43
	s_cbranch_scc0 .LBB62_525
; %bb.506:
	s_cmp_gt_i32 s28, 45
	s_cbranch_scc0 .LBB62_527
; %bb.507:
	s_cmp_eq_u32 s28, 46
	s_mov_b32 s30, 0
	s_cbranch_scc0 .LBB62_529
; %bb.508:
	s_wait_loadcnt 0x0
	global_load_b32 v2, v[0:1], off
	s_mov_b32 s29, -1
	s_mov_b32 s27, 0
	s_wait_loadcnt 0x0
	v_lshlrev_b32_e32 v2, 16, v2
	s_delay_alu instid0(VALU_DEP_1)
	v_cvt_i32_f32_e32 v2, v2
	s_branch .LBB62_531
.LBB62_509:
	s_or_b32 exec_lo, exec_lo, s26
	s_mov_b32 s22, 0
	s_and_saveexec_b32 s26, s25
	s_cbranch_execnz .LBB62_1599
.LBB62_510:
	s_or_b32 exec_lo, exec_lo, s26
	s_and_saveexec_b32 s25, s27
	s_delay_alu instid0(SALU_CYCLE_1)
	s_xor_b32 s25, exec_lo, s25
	s_cbranch_execz .LBB62_1600
.LBB62_511:
	s_wait_loadcnt 0x0
	global_load_u8 v2, v[0:1], off
	s_or_b32 s28, s28, exec_lo
	s_wait_loadcnt 0x0
	v_cmp_ne_u16_e32 vcc_lo, 0, v2
	v_cndmask_b32_e64 v4, 0, 1, vcc_lo
	s_wait_xcnt 0x0
	s_or_b32 exec_lo, exec_lo, s25
	s_and_saveexec_b32 s25, s29
	s_cbranch_execz .LBB62_1646
	s_branch .LBB62_1601
.LBB62_512:
	s_mov_b32 s29, 0
	s_mov_b32 s27, s25
                                        ; implicit-def: $vgpr2
	s_cbranch_execnz .LBB62_593
.LBB62_513:
	s_and_not1_b32 vcc_lo, exec_lo, s29
	s_cbranch_vccnz .LBB62_641
.LBB62_514:
	s_wait_xcnt 0x0
	v_mul_lo_u32 v0, v8, s14
	s_and_b32 s0, s2, 0xff
	s_delay_alu instid0(SALU_CYCLE_1) | instskip(NEXT) | instid1(VALU_DEP_1)
	s_cmp_lt_i32 s0, 11
	v_ashrrev_i32_e32 v1, 31, v0
	s_delay_alu instid0(VALU_DEP_1)
	v_add_nc_u64_e32 v[0:1], s[8:9], v[0:1]
	s_cbranch_scc1 .LBB62_522
; %bb.515:
	s_and_b32 s28, 0xffff, s0
	s_delay_alu instid0(SALU_CYCLE_1)
	s_cmp_gt_i32 s28, 25
	s_cbranch_scc0 .LBB62_524
; %bb.516:
	s_cmp_gt_i32 s28, 28
	s_cbranch_scc0 .LBB62_526
; %bb.517:
	;; [unrolled: 3-line block ×4, first 2 shown]
	s_cmp_eq_u32 s28, 46
	s_mov_b32 s33, 0
	s_cbranch_scc0 .LBB62_644
; %bb.520:
	s_wait_loadcnt 0x0
	global_load_b32 v3, v[0:1], off
	s_mov_b32 s29, -1
	s_mov_b32 s30, 0
	s_wait_loadcnt 0x0
	v_lshlrev_b32_e32 v3, 16, v3
	s_delay_alu instid0(VALU_DEP_1)
	v_cvt_i32_f32_e32 v3, v3
	s_branch .LBB62_646
.LBB62_521:
	s_mov_b32 s30, -1
	s_mov_b32 s29, 0
	s_mov_b32 s27, s25
                                        ; implicit-def: $vgpr2
	s_branch .LBB62_559
.LBB62_522:
	s_mov_b32 s28, -1
	s_mov_b32 s29, 0
	s_mov_b32 s30, s24
                                        ; implicit-def: $vgpr3
	s_branch .LBB62_707
.LBB62_523:
	s_mov_b32 s30, -1
	s_mov_b32 s29, 0
	s_mov_b32 s27, s25
                                        ; implicit-def: $vgpr2
	s_branch .LBB62_542
.LBB62_524:
	s_mov_b32 s33, -1
	s_mov_b32 s29, 0
	s_mov_b32 s30, s24
                                        ; implicit-def: $vgpr3
	s_branch .LBB62_673
.LBB62_525:
	s_mov_b32 s30, -1
	s_mov_b32 s29, 0
	s_mov_b32 s27, s25
                                        ; implicit-def: $vgpr2
	s_branch .LBB62_537
.LBB62_526:
	s_mov_b32 s33, -1
	s_mov_b32 s29, 0
	s_mov_b32 s30, s24
                                        ; implicit-def: $vgpr3
	s_branch .LBB62_656
.LBB62_527:
	s_mov_b32 s30, -1
	s_mov_b32 s29, 0
	s_mov_b32 s27, s25
	s_branch .LBB62_530
.LBB62_528:
	s_mov_b32 s33, -1
	s_mov_b32 s29, 0
	s_mov_b32 s30, s24
                                        ; implicit-def: $vgpr3
	s_branch .LBB62_651
.LBB62_529:
	s_mov_b32 s27, -1
	s_mov_b32 s29, 0
.LBB62_530:
                                        ; implicit-def: $vgpr2
.LBB62_531:
	s_and_b32 vcc_lo, exec_lo, s30
	s_cbranch_vccz .LBB62_536
; %bb.532:
	s_cmp_eq_u32 s28, 44
	s_cbranch_scc0 .LBB62_535
; %bb.533:
	s_wait_loadcnt 0x0
	global_load_u8 v2, v[0:1], off
	s_mov_b32 s27, 0
	s_mov_b32 s29, -1
	s_wait_loadcnt 0x0
	v_lshlrev_b32_e32 v3, 23, v2
	v_cmp_ne_u32_e32 vcc_lo, 0, v2
	s_delay_alu instid0(VALU_DEP_2) | instskip(NEXT) | instid1(VALU_DEP_1)
	v_cvt_i32_f32_e32 v3, v3
	v_cndmask_b32_e32 v2, 0, v3, vcc_lo
	s_branch .LBB62_536
.LBB62_534:
	s_mov_b32 s33, -1
	s_mov_b32 s29, 0
	s_mov_b32 s30, s24
	s_branch .LBB62_645
.LBB62_535:
	s_mov_b32 s27, -1
                                        ; implicit-def: $vgpr2
.LBB62_536:
	s_mov_b32 s30, 0
.LBB62_537:
	s_delay_alu instid0(SALU_CYCLE_1)
	s_and_b32 vcc_lo, exec_lo, s30
	s_cbranch_vccz .LBB62_541
; %bb.538:
	s_cmp_eq_u32 s28, 29
	s_cbranch_scc0 .LBB62_540
; %bb.539:
	s_wait_loadcnt 0x0
	global_load_b32 v2, v[0:1], off
	s_mov_b32 s29, -1
	s_mov_b32 s27, 0
	s_branch .LBB62_541
.LBB62_540:
	s_mov_b32 s27, -1
                                        ; implicit-def: $vgpr2
.LBB62_541:
	s_mov_b32 s30, 0
.LBB62_542:
	s_delay_alu instid0(SALU_CYCLE_1)
	s_and_b32 vcc_lo, exec_lo, s30
	s_cbranch_vccz .LBB62_558
; %bb.543:
	s_cmp_lt_i32 s28, 27
	s_cbranch_scc1 .LBB62_546
; %bb.544:
	s_cmp_gt_i32 s28, 27
	s_cbranch_scc0 .LBB62_547
; %bb.545:
	s_wait_loadcnt 0x0
	global_load_b32 v2, v[0:1], off
	s_mov_b32 s29, 0
	s_branch .LBB62_548
.LBB62_546:
	s_mov_b32 s29, -1
                                        ; implicit-def: $vgpr2
	s_branch .LBB62_551
.LBB62_547:
	s_mov_b32 s29, -1
                                        ; implicit-def: $vgpr2
.LBB62_548:
	s_delay_alu instid0(SALU_CYCLE_1)
	s_and_not1_b32 vcc_lo, exec_lo, s29
	s_cbranch_vccnz .LBB62_550
; %bb.549:
	s_wait_loadcnt 0x0
	global_load_u16 v2, v[0:1], off
.LBB62_550:
	s_mov_b32 s29, 0
.LBB62_551:
	s_delay_alu instid0(SALU_CYCLE_1)
	s_and_not1_b32 vcc_lo, exec_lo, s29
	s_cbranch_vccnz .LBB62_557
; %bb.552:
	s_wait_loadcnt 0x0
	global_load_u8 v3, v[0:1], off
	s_mov_b32 s30, 0
	s_mov_b32 s29, exec_lo
	s_wait_loadcnt 0x0
	v_cmpx_lt_i16_e32 0x7f, v3
	s_xor_b32 s29, exec_lo, s29
	s_cbranch_execz .LBB62_569
; %bb.553:
	v_cmp_ne_u16_e32 vcc_lo, 0x80, v3
	s_and_b32 s30, vcc_lo, exec_lo
	s_and_not1_saveexec_b32 s29, s29
	s_cbranch_execnz .LBB62_570
.LBB62_554:
	s_or_b32 exec_lo, exec_lo, s29
	v_mov_b32_e32 v2, 0
	s_and_saveexec_b32 s29, s30
	s_cbranch_execz .LBB62_556
.LBB62_555:
	v_and_b32_e32 v2, 0xffff, v3
	s_delay_alu instid0(VALU_DEP_1) | instskip(SKIP_1) | instid1(VALU_DEP_2)
	v_and_b32_e32 v4, 7, v2
	v_bfe_u32 v7, v2, 3, 4
	v_clz_i32_u32_e32 v5, v4
	s_delay_alu instid0(VALU_DEP_2) | instskip(NEXT) | instid1(VALU_DEP_2)
	v_cmp_eq_u32_e32 vcc_lo, 0, v7
	v_min_u32_e32 v5, 32, v5
	s_delay_alu instid0(VALU_DEP_1) | instskip(NEXT) | instid1(VALU_DEP_1)
	v_subrev_nc_u32_e32 v6, 28, v5
	v_dual_lshlrev_b32 v2, v6, v2 :: v_dual_sub_nc_u32 v5, 29, v5
	s_delay_alu instid0(VALU_DEP_1) | instskip(NEXT) | instid1(VALU_DEP_1)
	v_dual_lshlrev_b32 v3, 24, v3 :: v_dual_bitop2_b32 v2, 7, v2 bitop3:0x40
	v_dual_cndmask_b32 v5, v7, v5 :: v_dual_cndmask_b32 v2, v4, v2
	s_delay_alu instid0(VALU_DEP_2) | instskip(NEXT) | instid1(VALU_DEP_2)
	v_and_b32_e32 v3, 0x80000000, v3
	v_lshl_add_u32 v4, v5, 23, 0x3b800000
	s_delay_alu instid0(VALU_DEP_3) | instskip(NEXT) | instid1(VALU_DEP_1)
	v_lshlrev_b32_e32 v2, 20, v2
	v_or3_b32 v2, v3, v4, v2
	s_delay_alu instid0(VALU_DEP_1)
	v_cvt_i32_f32_e32 v2, v2
.LBB62_556:
	s_or_b32 exec_lo, exec_lo, s29
.LBB62_557:
	s_mov_b32 s29, -1
.LBB62_558:
	s_mov_b32 s30, 0
.LBB62_559:
	s_delay_alu instid0(SALU_CYCLE_1)
	s_and_b32 vcc_lo, exec_lo, s30
	s_cbranch_vccz .LBB62_592
; %bb.560:
	s_cmp_gt_i32 s28, 22
	s_cbranch_scc0 .LBB62_568
; %bb.561:
	s_cmp_lt_i32 s28, 24
	s_cbranch_scc1 .LBB62_571
; %bb.562:
	s_cmp_gt_i32 s28, 24
	s_cbranch_scc0 .LBB62_572
; %bb.563:
	s_wait_loadcnt 0x0
	global_load_u8 v3, v[0:1], off
	s_mov_b32 s30, 0
	s_mov_b32 s29, exec_lo
	s_wait_loadcnt 0x0
	v_cmpx_lt_i16_e32 0x7f, v3
	s_xor_b32 s29, exec_lo, s29
	s_cbranch_execz .LBB62_584
; %bb.564:
	v_cmp_ne_u16_e32 vcc_lo, 0x80, v3
	s_and_b32 s30, vcc_lo, exec_lo
	s_and_not1_saveexec_b32 s29, s29
	s_cbranch_execnz .LBB62_585
.LBB62_565:
	s_or_b32 exec_lo, exec_lo, s29
	v_mov_b32_e32 v2, 0
	s_and_saveexec_b32 s29, s30
	s_cbranch_execz .LBB62_567
.LBB62_566:
	v_and_b32_e32 v2, 0xffff, v3
	s_delay_alu instid0(VALU_DEP_1) | instskip(SKIP_1) | instid1(VALU_DEP_2)
	v_and_b32_e32 v4, 3, v2
	v_bfe_u32 v7, v2, 2, 5
	v_clz_i32_u32_e32 v5, v4
	s_delay_alu instid0(VALU_DEP_2) | instskip(NEXT) | instid1(VALU_DEP_2)
	v_cmp_eq_u32_e32 vcc_lo, 0, v7
	v_min_u32_e32 v5, 32, v5
	s_delay_alu instid0(VALU_DEP_1) | instskip(NEXT) | instid1(VALU_DEP_1)
	v_subrev_nc_u32_e32 v6, 29, v5
	v_dual_lshlrev_b32 v2, v6, v2 :: v_dual_sub_nc_u32 v5, 30, v5
	s_delay_alu instid0(VALU_DEP_1) | instskip(NEXT) | instid1(VALU_DEP_1)
	v_dual_lshlrev_b32 v3, 24, v3 :: v_dual_bitop2_b32 v2, 3, v2 bitop3:0x40
	v_dual_cndmask_b32 v5, v7, v5 :: v_dual_cndmask_b32 v2, v4, v2
	s_delay_alu instid0(VALU_DEP_2) | instskip(NEXT) | instid1(VALU_DEP_2)
	v_and_b32_e32 v3, 0x80000000, v3
	v_lshl_add_u32 v4, v5, 23, 0x37800000
	s_delay_alu instid0(VALU_DEP_3) | instskip(NEXT) | instid1(VALU_DEP_1)
	v_lshlrev_b32_e32 v2, 21, v2
	v_or3_b32 v2, v3, v4, v2
	s_delay_alu instid0(VALU_DEP_1)
	v_cvt_i32_f32_e32 v2, v2
.LBB62_567:
	s_or_b32 exec_lo, exec_lo, s29
	s_mov_b32 s29, 0
	s_branch .LBB62_573
.LBB62_568:
	s_mov_b32 s30, -1
                                        ; implicit-def: $vgpr2
	s_branch .LBB62_579
.LBB62_569:
	s_and_not1_saveexec_b32 s29, s29
	s_cbranch_execz .LBB62_554
.LBB62_570:
	v_cmp_ne_u16_e32 vcc_lo, 0, v3
	s_and_not1_b32 s30, s30, exec_lo
	s_and_b32 s33, vcc_lo, exec_lo
	s_delay_alu instid0(SALU_CYCLE_1)
	s_or_b32 s30, s30, s33
	s_or_b32 exec_lo, exec_lo, s29
	v_mov_b32_e32 v2, 0
	s_and_saveexec_b32 s29, s30
	s_cbranch_execnz .LBB62_555
	s_branch .LBB62_556
.LBB62_571:
	s_mov_b32 s29, -1
                                        ; implicit-def: $vgpr2
	s_branch .LBB62_576
.LBB62_572:
	s_mov_b32 s29, -1
                                        ; implicit-def: $vgpr2
.LBB62_573:
	s_delay_alu instid0(SALU_CYCLE_1)
	s_and_b32 vcc_lo, exec_lo, s29
	s_cbranch_vccz .LBB62_575
; %bb.574:
	s_wait_loadcnt 0x0
	global_load_u8 v2, v[0:1], off
	s_wait_loadcnt 0x0
	v_lshlrev_b32_e32 v2, 24, v2
	s_delay_alu instid0(VALU_DEP_1) | instskip(NEXT) | instid1(VALU_DEP_1)
	v_and_b32_e32 v3, 0x7f000000, v2
	v_clz_i32_u32_e32 v4, v3
	v_cmp_ne_u32_e32 vcc_lo, 0, v3
	v_add_nc_u32_e32 v6, 0x1000000, v3
	s_delay_alu instid0(VALU_DEP_3) | instskip(NEXT) | instid1(VALU_DEP_1)
	v_min_u32_e32 v4, 32, v4
	v_sub_nc_u32_e64 v4, v4, 4 clamp
	s_delay_alu instid0(VALU_DEP_1) | instskip(NEXT) | instid1(VALU_DEP_1)
	v_dual_lshlrev_b32 v5, v4, v3 :: v_dual_lshlrev_b32 v4, 23, v4
	v_lshrrev_b32_e32 v5, 4, v5
	s_delay_alu instid0(VALU_DEP_1) | instskip(NEXT) | instid1(VALU_DEP_1)
	v_dual_sub_nc_u32 v4, v5, v4 :: v_dual_ashrrev_i32 v5, 8, v6
	v_add_nc_u32_e32 v4, 0x3c000000, v4
	s_delay_alu instid0(VALU_DEP_1) | instskip(NEXT) | instid1(VALU_DEP_1)
	v_and_or_b32 v4, 0x7f800000, v5, v4
	v_cndmask_b32_e32 v3, 0, v4, vcc_lo
	s_delay_alu instid0(VALU_DEP_1) | instskip(NEXT) | instid1(VALU_DEP_1)
	v_and_or_b32 v2, 0x80000000, v2, v3
	v_cvt_i32_f32_e32 v2, v2
.LBB62_575:
	s_mov_b32 s29, 0
.LBB62_576:
	s_delay_alu instid0(SALU_CYCLE_1)
	s_and_not1_b32 vcc_lo, exec_lo, s29
	s_cbranch_vccnz .LBB62_578
; %bb.577:
	s_wait_loadcnt 0x0
	global_load_u8 v2, v[0:1], off
	s_wait_loadcnt 0x0
	v_lshlrev_b32_e32 v3, 25, v2
	v_lshlrev_b16 v2, 8, v2
	s_delay_alu instid0(VALU_DEP_1) | instskip(SKIP_1) | instid1(VALU_DEP_2)
	v_and_or_b32 v5, 0x7f00, v2, 0.5
	v_bfe_i32 v2, v2, 0, 16
	v_dual_add_f32 v5, -0.5, v5 :: v_dual_lshrrev_b32 v4, 4, v3
	v_cmp_gt_u32_e32 vcc_lo, 0x8000000, v3
	s_delay_alu instid0(VALU_DEP_2) | instskip(NEXT) | instid1(VALU_DEP_1)
	v_or_b32_e32 v4, 0x70000000, v4
	v_mul_f32_e32 v4, 0x7800000, v4
	s_delay_alu instid0(VALU_DEP_1) | instskip(NEXT) | instid1(VALU_DEP_1)
	v_cndmask_b32_e32 v3, v4, v5, vcc_lo
	v_and_or_b32 v2, 0x80000000, v2, v3
	s_delay_alu instid0(VALU_DEP_1)
	v_cvt_i32_f32_e32 v2, v2
.LBB62_578:
	s_mov_b32 s30, 0
	s_mov_b32 s29, -1
.LBB62_579:
	s_and_not1_b32 vcc_lo, exec_lo, s30
	s_cbranch_vccnz .LBB62_592
; %bb.580:
	s_cmp_gt_i32 s28, 14
	s_cbranch_scc0 .LBB62_583
; %bb.581:
	s_cmp_eq_u32 s28, 15
	s_cbranch_scc0 .LBB62_586
; %bb.582:
	s_wait_loadcnt 0x0
	global_load_u16 v2, v[0:1], off
	s_mov_b32 s29, -1
	s_mov_b32 s27, 0
	s_wait_loadcnt 0x0
	v_lshlrev_b32_e32 v2, 16, v2
	s_delay_alu instid0(VALU_DEP_1)
	v_cvt_i32_f32_e32 v2, v2
	s_branch .LBB62_587
.LBB62_583:
	s_mov_b32 s30, -1
                                        ; implicit-def: $vgpr2
	s_branch .LBB62_588
.LBB62_584:
	s_and_not1_saveexec_b32 s29, s29
	s_cbranch_execz .LBB62_565
.LBB62_585:
	v_cmp_ne_u16_e32 vcc_lo, 0, v3
	s_and_not1_b32 s30, s30, exec_lo
	s_and_b32 s33, vcc_lo, exec_lo
	s_delay_alu instid0(SALU_CYCLE_1)
	s_or_b32 s30, s30, s33
	s_or_b32 exec_lo, exec_lo, s29
	v_mov_b32_e32 v2, 0
	s_and_saveexec_b32 s29, s30
	s_cbranch_execnz .LBB62_566
	s_branch .LBB62_567
.LBB62_586:
	s_mov_b32 s27, -1
                                        ; implicit-def: $vgpr2
.LBB62_587:
	s_mov_b32 s30, 0
.LBB62_588:
	s_delay_alu instid0(SALU_CYCLE_1)
	s_and_b32 vcc_lo, exec_lo, s30
	s_cbranch_vccz .LBB62_592
; %bb.589:
	s_cmp_eq_u32 s28, 11
	s_cbranch_scc0 .LBB62_591
; %bb.590:
	s_wait_loadcnt 0x0
	global_load_u8 v2, v[0:1], off
	s_mov_b32 s27, 0
	s_mov_b32 s29, -1
	s_wait_loadcnt 0x0
	v_cmp_ne_u16_e32 vcc_lo, 0, v2
	v_cndmask_b32_e64 v2, 0, 1, vcc_lo
	s_branch .LBB62_592
.LBB62_591:
	s_mov_b32 s27, -1
                                        ; implicit-def: $vgpr2
.LBB62_592:
	s_branch .LBB62_513
.LBB62_593:
	s_and_b32 s0, 0xffff, s0
	s_delay_alu instid0(SALU_CYCLE_1)
	s_cmp_lt_i32 s0, 5
	s_cbranch_scc1 .LBB62_598
; %bb.594:
	s_cmp_lt_i32 s0, 8
	s_cbranch_scc1 .LBB62_599
; %bb.595:
	;; [unrolled: 3-line block ×3, first 2 shown]
	s_cmp_gt_i32 s0, 9
	s_cbranch_scc0 .LBB62_601
; %bb.597:
	s_wait_loadcnt 0x0
	global_load_b64 v[2:3], v[0:1], off
	s_mov_b32 s28, 0
	s_wait_loadcnt 0x0
	v_cvt_i32_f64_e32 v2, v[2:3]
	s_branch .LBB62_602
.LBB62_598:
	s_mov_b32 s28, -1
                                        ; implicit-def: $vgpr2
	s_branch .LBB62_620
.LBB62_599:
	s_mov_b32 s28, -1
                                        ; implicit-def: $vgpr2
	s_branch .LBB62_608
.LBB62_600:
	s_mov_b32 s28, -1
                                        ; implicit-def: $vgpr2
	s_branch .LBB62_605
.LBB62_601:
	s_mov_b32 s28, -1
                                        ; implicit-def: $vgpr2
.LBB62_602:
	s_delay_alu instid0(SALU_CYCLE_1)
	s_and_not1_b32 vcc_lo, exec_lo, s28
	s_cbranch_vccnz .LBB62_604
; %bb.603:
	s_wait_loadcnt 0x0
	global_load_b32 v2, v[0:1], off
	s_wait_loadcnt 0x0
	v_cvt_i32_f32_e32 v2, v2
.LBB62_604:
	s_mov_b32 s28, 0
.LBB62_605:
	s_delay_alu instid0(SALU_CYCLE_1)
	s_and_not1_b32 vcc_lo, exec_lo, s28
	s_cbranch_vccnz .LBB62_607
; %bb.606:
	s_wait_loadcnt 0x0
	global_load_b32 v2, v[0:1], off
	s_wait_loadcnt 0x0
	v_cvt_f32_f16_e32 v2, v2
	s_delay_alu instid0(VALU_DEP_1)
	v_cvt_i32_f32_e32 v2, v2
.LBB62_607:
	s_mov_b32 s28, 0
.LBB62_608:
	s_delay_alu instid0(SALU_CYCLE_1)
	s_and_not1_b32 vcc_lo, exec_lo, s28
	s_cbranch_vccnz .LBB62_619
; %bb.609:
	s_cmp_lt_i32 s0, 6
	s_cbranch_scc1 .LBB62_612
; %bb.610:
	s_cmp_gt_i32 s0, 6
	s_cbranch_scc0 .LBB62_613
; %bb.611:
	s_wait_loadcnt 0x0
	global_load_b64 v[2:3], v[0:1], off
	s_mov_b32 s28, 0
	s_wait_loadcnt 0x0
	v_cvt_i32_f64_e32 v2, v[2:3]
	s_branch .LBB62_614
.LBB62_612:
	s_mov_b32 s28, -1
                                        ; implicit-def: $vgpr2
	s_branch .LBB62_617
.LBB62_613:
	s_mov_b32 s28, -1
                                        ; implicit-def: $vgpr2
.LBB62_614:
	s_delay_alu instid0(SALU_CYCLE_1)
	s_and_not1_b32 vcc_lo, exec_lo, s28
	s_cbranch_vccnz .LBB62_616
; %bb.615:
	s_wait_loadcnt 0x0
	global_load_b32 v2, v[0:1], off
	s_wait_loadcnt 0x0
	v_cvt_i32_f32_e32 v2, v2
.LBB62_616:
	s_mov_b32 s28, 0
.LBB62_617:
	s_delay_alu instid0(SALU_CYCLE_1)
	s_and_not1_b32 vcc_lo, exec_lo, s28
	s_cbranch_vccnz .LBB62_619
; %bb.618:
	s_wait_loadcnt 0x0
	global_load_u16 v2, v[0:1], off
	s_wait_loadcnt 0x0
	v_cvt_f32_f16_e32 v2, v2
	s_delay_alu instid0(VALU_DEP_1)
	v_cvt_i32_f32_e32 v2, v2
.LBB62_619:
	s_mov_b32 s28, 0
.LBB62_620:
	s_delay_alu instid0(SALU_CYCLE_1)
	s_and_not1_b32 vcc_lo, exec_lo, s28
	s_cbranch_vccnz .LBB62_640
; %bb.621:
	s_cmp_lt_i32 s0, 2
	s_cbranch_scc1 .LBB62_625
; %bb.622:
	s_cmp_lt_i32 s0, 3
	s_cbranch_scc1 .LBB62_626
; %bb.623:
	s_cmp_gt_i32 s0, 3
	s_cbranch_scc0 .LBB62_627
; %bb.624:
	s_wait_loadcnt 0x0
	global_load_b32 v2, v[0:1], off
	s_mov_b32 s28, 0
	s_branch .LBB62_628
.LBB62_625:
	s_mov_b32 s28, -1
                                        ; implicit-def: $vgpr2
	s_branch .LBB62_634
.LBB62_626:
	s_mov_b32 s28, -1
                                        ; implicit-def: $vgpr2
	s_branch .LBB62_631
.LBB62_627:
	s_mov_b32 s28, -1
                                        ; implicit-def: $vgpr2
.LBB62_628:
	s_delay_alu instid0(SALU_CYCLE_1)
	s_and_not1_b32 vcc_lo, exec_lo, s28
	s_cbranch_vccnz .LBB62_630
; %bb.629:
	s_wait_loadcnt 0x0
	global_load_b32 v2, v[0:1], off
.LBB62_630:
	s_mov_b32 s28, 0
.LBB62_631:
	s_delay_alu instid0(SALU_CYCLE_1)
	s_and_not1_b32 vcc_lo, exec_lo, s28
	s_cbranch_vccnz .LBB62_633
; %bb.632:
	s_wait_loadcnt 0x0
	global_load_i16 v2, v[0:1], off
.LBB62_633:
	s_mov_b32 s28, 0
.LBB62_634:
	s_delay_alu instid0(SALU_CYCLE_1)
	s_and_not1_b32 vcc_lo, exec_lo, s28
	s_cbranch_vccnz .LBB62_640
; %bb.635:
	s_cmp_gt_i32 s0, 0
	s_mov_b32 s0, 0
	s_cbranch_scc0 .LBB62_637
; %bb.636:
	s_wait_loadcnt 0x0
	global_load_i8 v2, v[0:1], off
	s_branch .LBB62_638
.LBB62_637:
	s_mov_b32 s0, -1
                                        ; implicit-def: $vgpr2
.LBB62_638:
	s_delay_alu instid0(SALU_CYCLE_1)
	s_and_not1_b32 vcc_lo, exec_lo, s0
	s_cbranch_vccnz .LBB62_640
; %bb.639:
	s_wait_loadcnt 0x0
	global_load_u8 v2, v[0:1], off
.LBB62_640:
	s_branch .LBB62_514
.LBB62_641:
	s_mov_b32 s33, 0
	s_mov_b32 s0, s21
	;; [unrolled: 1-line block ×4, first 2 shown]
	s_branch .LBB62_1009
.LBB62_642:
	s_and_not1_saveexec_b32 s31, s31
	s_cbranch_execz .LBB62_409
.LBB62_643:
	v_add_f32_e64 v4, 0x46000000, |v1|
	s_and_not1_b32 s30, s30, exec_lo
	s_delay_alu instid0(VALU_DEP_1) | instskip(NEXT) | instid1(VALU_DEP_1)
	v_and_b32_e32 v4, 0xff, v4
	v_cmp_ne_u32_e32 vcc_lo, 0, v4
	s_and_b32 s33, vcc_lo, exec_lo
	s_delay_alu instid0(SALU_CYCLE_1)
	s_or_b32 s30, s30, s33
	s_or_b32 exec_lo, exec_lo, s31
	v_mov_b32_e32 v5, 0
	s_and_saveexec_b32 s31, s30
	s_cbranch_execnz .LBB62_410
	s_branch .LBB62_411
.LBB62_644:
	s_mov_b32 s30, -1
	s_mov_b32 s29, 0
.LBB62_645:
                                        ; implicit-def: $vgpr3
.LBB62_646:
	s_and_b32 vcc_lo, exec_lo, s33
	s_cbranch_vccz .LBB62_650
; %bb.647:
	s_cmp_eq_u32 s28, 44
	s_cbranch_scc0 .LBB62_649
; %bb.648:
	s_wait_loadcnt 0x0
	global_load_u8 v3, v[0:1], off
	s_mov_b32 s30, 0
	s_mov_b32 s29, -1
	s_wait_loadcnt 0x0
	v_lshlrev_b32_e32 v4, 23, v3
	v_cmp_ne_u32_e32 vcc_lo, 0, v3
	s_delay_alu instid0(VALU_DEP_2) | instskip(NEXT) | instid1(VALU_DEP_1)
	v_cvt_i32_f32_e32 v4, v4
	v_cndmask_b32_e32 v3, 0, v4, vcc_lo
	s_branch .LBB62_650
.LBB62_649:
	s_mov_b32 s30, -1
                                        ; implicit-def: $vgpr3
.LBB62_650:
	s_mov_b32 s33, 0
.LBB62_651:
	s_delay_alu instid0(SALU_CYCLE_1)
	s_and_b32 vcc_lo, exec_lo, s33
	s_cbranch_vccz .LBB62_655
; %bb.652:
	s_cmp_eq_u32 s28, 29
	s_cbranch_scc0 .LBB62_654
; %bb.653:
	s_wait_loadcnt 0x0
	global_load_b32 v3, v[0:1], off
	s_mov_b32 s29, -1
	s_mov_b32 s30, 0
	s_branch .LBB62_655
.LBB62_654:
	s_mov_b32 s30, -1
                                        ; implicit-def: $vgpr3
.LBB62_655:
	s_mov_b32 s33, 0
.LBB62_656:
	s_delay_alu instid0(SALU_CYCLE_1)
	s_and_b32 vcc_lo, exec_lo, s33
	s_cbranch_vccz .LBB62_672
; %bb.657:
	s_cmp_lt_i32 s28, 27
	s_cbranch_scc1 .LBB62_660
; %bb.658:
	s_cmp_gt_i32 s28, 27
	s_cbranch_scc0 .LBB62_661
; %bb.659:
	s_wait_loadcnt 0x0
	global_load_b32 v3, v[0:1], off
	s_mov_b32 s29, 0
	s_branch .LBB62_662
.LBB62_660:
	s_mov_b32 s29, -1
                                        ; implicit-def: $vgpr3
	s_branch .LBB62_665
.LBB62_661:
	s_mov_b32 s29, -1
                                        ; implicit-def: $vgpr3
.LBB62_662:
	s_delay_alu instid0(SALU_CYCLE_1)
	s_and_not1_b32 vcc_lo, exec_lo, s29
	s_cbranch_vccnz .LBB62_664
; %bb.663:
	s_wait_loadcnt 0x0
	global_load_u16 v3, v[0:1], off
.LBB62_664:
	s_mov_b32 s29, 0
.LBB62_665:
	s_delay_alu instid0(SALU_CYCLE_1)
	s_and_not1_b32 vcc_lo, exec_lo, s29
	s_cbranch_vccnz .LBB62_671
; %bb.666:
	s_wait_loadcnt 0x0
	global_load_u8 v4, v[0:1], off
	s_mov_b32 s33, 0
	s_mov_b32 s29, exec_lo
	s_wait_loadcnt 0x0
	v_cmpx_lt_i16_e32 0x7f, v4
	s_xor_b32 s29, exec_lo, s29
	s_cbranch_execz .LBB62_683
; %bb.667:
	v_cmp_ne_u16_e32 vcc_lo, 0x80, v4
	s_and_b32 s33, vcc_lo, exec_lo
	s_and_not1_saveexec_b32 s29, s29
	s_cbranch_execnz .LBB62_684
.LBB62_668:
	s_or_b32 exec_lo, exec_lo, s29
	v_mov_b32_e32 v3, 0
	s_and_saveexec_b32 s29, s33
	s_cbranch_execz .LBB62_670
.LBB62_669:
	v_and_b32_e32 v3, 0xffff, v4
	s_delay_alu instid0(VALU_DEP_1) | instskip(SKIP_1) | instid1(VALU_DEP_2)
	v_and_b32_e32 v5, 7, v3
	v_bfe_u32 v9, v3, 3, 4
	v_clz_i32_u32_e32 v6, v5
	s_delay_alu instid0(VALU_DEP_2) | instskip(NEXT) | instid1(VALU_DEP_2)
	v_cmp_eq_u32_e32 vcc_lo, 0, v9
	v_min_u32_e32 v6, 32, v6
	s_delay_alu instid0(VALU_DEP_1) | instskip(NEXT) | instid1(VALU_DEP_1)
	v_subrev_nc_u32_e32 v7, 28, v6
	v_dual_lshlrev_b32 v3, v7, v3 :: v_dual_sub_nc_u32 v6, 29, v6
	s_delay_alu instid0(VALU_DEP_1) | instskip(NEXT) | instid1(VALU_DEP_2)
	v_dual_lshlrev_b32 v4, 24, v4 :: v_dual_bitop2_b32 v3, 7, v3 bitop3:0x40
	v_cndmask_b32_e32 v6, v9, v6, vcc_lo
	s_delay_alu instid0(VALU_DEP_2) | instskip(NEXT) | instid1(VALU_DEP_3)
	v_cndmask_b32_e32 v3, v5, v3, vcc_lo
	v_and_b32_e32 v4, 0x80000000, v4
	s_delay_alu instid0(VALU_DEP_3) | instskip(NEXT) | instid1(VALU_DEP_3)
	v_lshl_add_u32 v5, v6, 23, 0x3b800000
	v_lshlrev_b32_e32 v3, 20, v3
	s_delay_alu instid0(VALU_DEP_1) | instskip(NEXT) | instid1(VALU_DEP_1)
	v_or3_b32 v3, v4, v5, v3
	v_cvt_i32_f32_e32 v3, v3
.LBB62_670:
	s_or_b32 exec_lo, exec_lo, s29
.LBB62_671:
	s_mov_b32 s29, -1
.LBB62_672:
	s_mov_b32 s33, 0
.LBB62_673:
	s_delay_alu instid0(SALU_CYCLE_1)
	s_and_b32 vcc_lo, exec_lo, s33
	s_cbranch_vccz .LBB62_706
; %bb.674:
	s_cmp_gt_i32 s28, 22
	s_cbranch_scc0 .LBB62_682
; %bb.675:
	s_cmp_lt_i32 s28, 24
	s_cbranch_scc1 .LBB62_685
; %bb.676:
	s_cmp_gt_i32 s28, 24
	s_cbranch_scc0 .LBB62_686
; %bb.677:
	s_wait_loadcnt 0x0
	global_load_u8 v4, v[0:1], off
	s_mov_b32 s33, 0
	s_mov_b32 s29, exec_lo
	s_wait_loadcnt 0x0
	v_cmpx_lt_i16_e32 0x7f, v4
	s_xor_b32 s29, exec_lo, s29
	s_cbranch_execz .LBB62_698
; %bb.678:
	v_cmp_ne_u16_e32 vcc_lo, 0x80, v4
	s_and_b32 s33, vcc_lo, exec_lo
	s_and_not1_saveexec_b32 s29, s29
	s_cbranch_execnz .LBB62_699
.LBB62_679:
	s_or_b32 exec_lo, exec_lo, s29
	v_mov_b32_e32 v3, 0
	s_and_saveexec_b32 s29, s33
	s_cbranch_execz .LBB62_681
.LBB62_680:
	v_and_b32_e32 v3, 0xffff, v4
	s_delay_alu instid0(VALU_DEP_1) | instskip(SKIP_1) | instid1(VALU_DEP_2)
	v_and_b32_e32 v5, 3, v3
	v_bfe_u32 v9, v3, 2, 5
	v_clz_i32_u32_e32 v6, v5
	s_delay_alu instid0(VALU_DEP_2) | instskip(NEXT) | instid1(VALU_DEP_2)
	v_cmp_eq_u32_e32 vcc_lo, 0, v9
	v_min_u32_e32 v6, 32, v6
	s_delay_alu instid0(VALU_DEP_1) | instskip(NEXT) | instid1(VALU_DEP_1)
	v_subrev_nc_u32_e32 v7, 29, v6
	v_dual_lshlrev_b32 v3, v7, v3 :: v_dual_sub_nc_u32 v6, 30, v6
	s_delay_alu instid0(VALU_DEP_1) | instskip(NEXT) | instid1(VALU_DEP_2)
	v_dual_lshlrev_b32 v4, 24, v4 :: v_dual_bitop2_b32 v3, 3, v3 bitop3:0x40
	v_cndmask_b32_e32 v6, v9, v6, vcc_lo
	s_delay_alu instid0(VALU_DEP_2) | instskip(NEXT) | instid1(VALU_DEP_3)
	v_cndmask_b32_e32 v3, v5, v3, vcc_lo
	v_and_b32_e32 v4, 0x80000000, v4
	s_delay_alu instid0(VALU_DEP_3) | instskip(NEXT) | instid1(VALU_DEP_3)
	v_lshl_add_u32 v5, v6, 23, 0x37800000
	v_lshlrev_b32_e32 v3, 21, v3
	s_delay_alu instid0(VALU_DEP_1) | instskip(NEXT) | instid1(VALU_DEP_1)
	v_or3_b32 v3, v4, v5, v3
	v_cvt_i32_f32_e32 v3, v3
.LBB62_681:
	s_or_b32 exec_lo, exec_lo, s29
	s_mov_b32 s29, 0
	s_branch .LBB62_687
.LBB62_682:
	s_mov_b32 s33, -1
                                        ; implicit-def: $vgpr3
	s_branch .LBB62_693
.LBB62_683:
	s_and_not1_saveexec_b32 s29, s29
	s_cbranch_execz .LBB62_668
.LBB62_684:
	v_cmp_ne_u16_e32 vcc_lo, 0, v4
	s_and_not1_b32 s33, s33, exec_lo
	s_and_b32 s34, vcc_lo, exec_lo
	s_delay_alu instid0(SALU_CYCLE_1)
	s_or_b32 s33, s33, s34
	s_or_b32 exec_lo, exec_lo, s29
	v_mov_b32_e32 v3, 0
	s_and_saveexec_b32 s29, s33
	s_cbranch_execnz .LBB62_669
	s_branch .LBB62_670
.LBB62_685:
	s_mov_b32 s29, -1
                                        ; implicit-def: $vgpr3
	s_branch .LBB62_690
.LBB62_686:
	s_mov_b32 s29, -1
                                        ; implicit-def: $vgpr3
.LBB62_687:
	s_delay_alu instid0(SALU_CYCLE_1)
	s_and_b32 vcc_lo, exec_lo, s29
	s_cbranch_vccz .LBB62_689
; %bb.688:
	s_wait_loadcnt 0x0
	global_load_u8 v3, v[0:1], off
	s_wait_loadcnt 0x0
	v_lshlrev_b32_e32 v3, 24, v3
	s_delay_alu instid0(VALU_DEP_1) | instskip(NEXT) | instid1(VALU_DEP_1)
	v_and_b32_e32 v4, 0x7f000000, v3
	v_clz_i32_u32_e32 v5, v4
	v_cmp_ne_u32_e32 vcc_lo, 0, v4
	v_add_nc_u32_e32 v7, 0x1000000, v4
	s_delay_alu instid0(VALU_DEP_3) | instskip(NEXT) | instid1(VALU_DEP_1)
	v_min_u32_e32 v5, 32, v5
	v_sub_nc_u32_e64 v5, v5, 4 clamp
	s_delay_alu instid0(VALU_DEP_1) | instskip(NEXT) | instid1(VALU_DEP_1)
	v_dual_lshlrev_b32 v6, v5, v4 :: v_dual_lshlrev_b32 v5, 23, v5
	v_lshrrev_b32_e32 v6, 4, v6
	s_delay_alu instid0(VALU_DEP_1) | instskip(NEXT) | instid1(VALU_DEP_1)
	v_dual_sub_nc_u32 v5, v6, v5 :: v_dual_ashrrev_i32 v6, 8, v7
	v_add_nc_u32_e32 v5, 0x3c000000, v5
	s_delay_alu instid0(VALU_DEP_1) | instskip(NEXT) | instid1(VALU_DEP_1)
	v_and_or_b32 v5, 0x7f800000, v6, v5
	v_cndmask_b32_e32 v4, 0, v5, vcc_lo
	s_delay_alu instid0(VALU_DEP_1) | instskip(NEXT) | instid1(VALU_DEP_1)
	v_and_or_b32 v3, 0x80000000, v3, v4
	v_cvt_i32_f32_e32 v3, v3
.LBB62_689:
	s_mov_b32 s29, 0
.LBB62_690:
	s_delay_alu instid0(SALU_CYCLE_1)
	s_and_not1_b32 vcc_lo, exec_lo, s29
	s_cbranch_vccnz .LBB62_692
; %bb.691:
	s_wait_loadcnt 0x0
	global_load_u8 v3, v[0:1], off
	s_wait_loadcnt 0x0
	v_lshlrev_b32_e32 v4, 25, v3
	v_lshlrev_b16 v3, 8, v3
	s_delay_alu instid0(VALU_DEP_1) | instskip(SKIP_1) | instid1(VALU_DEP_2)
	v_and_or_b32 v6, 0x7f00, v3, 0.5
	v_bfe_i32 v3, v3, 0, 16
	v_dual_add_f32 v6, -0.5, v6 :: v_dual_lshrrev_b32 v5, 4, v4
	v_cmp_gt_u32_e32 vcc_lo, 0x8000000, v4
	s_delay_alu instid0(VALU_DEP_2) | instskip(NEXT) | instid1(VALU_DEP_1)
	v_or_b32_e32 v5, 0x70000000, v5
	v_mul_f32_e32 v5, 0x7800000, v5
	s_delay_alu instid0(VALU_DEP_1) | instskip(NEXT) | instid1(VALU_DEP_1)
	v_cndmask_b32_e32 v4, v5, v6, vcc_lo
	v_and_or_b32 v3, 0x80000000, v3, v4
	s_delay_alu instid0(VALU_DEP_1)
	v_cvt_i32_f32_e32 v3, v3
.LBB62_692:
	s_mov_b32 s33, 0
	s_mov_b32 s29, -1
.LBB62_693:
	s_and_not1_b32 vcc_lo, exec_lo, s33
	s_cbranch_vccnz .LBB62_706
; %bb.694:
	s_cmp_gt_i32 s28, 14
	s_cbranch_scc0 .LBB62_697
; %bb.695:
	s_cmp_eq_u32 s28, 15
	s_cbranch_scc0 .LBB62_700
; %bb.696:
	s_wait_loadcnt 0x0
	global_load_u16 v3, v[0:1], off
	s_mov_b32 s29, -1
	s_mov_b32 s30, 0
	s_wait_loadcnt 0x0
	v_lshlrev_b32_e32 v3, 16, v3
	s_delay_alu instid0(VALU_DEP_1)
	v_cvt_i32_f32_e32 v3, v3
	s_branch .LBB62_701
.LBB62_697:
	s_mov_b32 s33, -1
                                        ; implicit-def: $vgpr3
	s_branch .LBB62_702
.LBB62_698:
	s_and_not1_saveexec_b32 s29, s29
	s_cbranch_execz .LBB62_679
.LBB62_699:
	v_cmp_ne_u16_e32 vcc_lo, 0, v4
	s_and_not1_b32 s33, s33, exec_lo
	s_and_b32 s34, vcc_lo, exec_lo
	s_delay_alu instid0(SALU_CYCLE_1)
	s_or_b32 s33, s33, s34
	s_or_b32 exec_lo, exec_lo, s29
	v_mov_b32_e32 v3, 0
	s_and_saveexec_b32 s29, s33
	s_cbranch_execnz .LBB62_680
	s_branch .LBB62_681
.LBB62_700:
	s_mov_b32 s30, -1
                                        ; implicit-def: $vgpr3
.LBB62_701:
	s_mov_b32 s33, 0
.LBB62_702:
	s_delay_alu instid0(SALU_CYCLE_1)
	s_and_b32 vcc_lo, exec_lo, s33
	s_cbranch_vccz .LBB62_706
; %bb.703:
	s_cmp_eq_u32 s28, 11
	s_cbranch_scc0 .LBB62_705
; %bb.704:
	s_wait_loadcnt 0x0
	global_load_u8 v3, v[0:1], off
	s_mov_b32 s30, 0
	s_mov_b32 s29, -1
	s_wait_loadcnt 0x0
	v_cmp_ne_u16_e32 vcc_lo, 0, v3
	v_cndmask_b32_e64 v3, 0, 1, vcc_lo
	s_branch .LBB62_706
.LBB62_705:
	s_mov_b32 s30, -1
                                        ; implicit-def: $vgpr3
.LBB62_706:
	s_mov_b32 s28, 0
.LBB62_707:
	s_delay_alu instid0(SALU_CYCLE_1)
	s_and_b32 vcc_lo, exec_lo, s28
	s_cbranch_vccz .LBB62_756
; %bb.708:
	s_and_b32 s0, 0xffff, s0
	s_delay_alu instid0(SALU_CYCLE_1)
	s_cmp_lt_i32 s0, 5
	s_cbranch_scc1 .LBB62_713
; %bb.709:
	s_cmp_lt_i32 s0, 8
	s_cbranch_scc1 .LBB62_714
; %bb.710:
	;; [unrolled: 3-line block ×3, first 2 shown]
	s_cmp_gt_i32 s0, 9
	s_cbranch_scc0 .LBB62_716
; %bb.712:
	s_wait_loadcnt 0x0
	global_load_b64 v[4:5], v[0:1], off
	s_mov_b32 s28, 0
	s_wait_loadcnt 0x0
	v_cvt_i32_f64_e32 v3, v[4:5]
	s_branch .LBB62_717
.LBB62_713:
	s_mov_b32 s28, -1
                                        ; implicit-def: $vgpr3
	s_branch .LBB62_735
.LBB62_714:
	s_mov_b32 s28, -1
                                        ; implicit-def: $vgpr3
	s_branch .LBB62_723
.LBB62_715:
	s_mov_b32 s28, -1
                                        ; implicit-def: $vgpr3
	s_branch .LBB62_720
.LBB62_716:
	s_mov_b32 s28, -1
                                        ; implicit-def: $vgpr3
.LBB62_717:
	s_delay_alu instid0(SALU_CYCLE_1)
	s_and_not1_b32 vcc_lo, exec_lo, s28
	s_cbranch_vccnz .LBB62_719
; %bb.718:
	s_wait_loadcnt 0x0
	global_load_b32 v3, v[0:1], off
	s_wait_loadcnt 0x0
	v_cvt_i32_f32_e32 v3, v3
.LBB62_719:
	s_mov_b32 s28, 0
.LBB62_720:
	s_delay_alu instid0(SALU_CYCLE_1)
	s_and_not1_b32 vcc_lo, exec_lo, s28
	s_cbranch_vccnz .LBB62_722
; %bb.721:
	s_wait_loadcnt 0x0
	global_load_b32 v3, v[0:1], off
	s_wait_loadcnt 0x0
	v_cvt_f32_f16_e32 v3, v3
	s_delay_alu instid0(VALU_DEP_1)
	v_cvt_i32_f32_e32 v3, v3
.LBB62_722:
	s_mov_b32 s28, 0
.LBB62_723:
	s_delay_alu instid0(SALU_CYCLE_1)
	s_and_not1_b32 vcc_lo, exec_lo, s28
	s_cbranch_vccnz .LBB62_734
; %bb.724:
	s_cmp_lt_i32 s0, 6
	s_cbranch_scc1 .LBB62_727
; %bb.725:
	s_cmp_gt_i32 s0, 6
	s_cbranch_scc0 .LBB62_728
; %bb.726:
	s_wait_loadcnt 0x0
	global_load_b64 v[4:5], v[0:1], off
	s_mov_b32 s28, 0
	s_wait_loadcnt 0x0
	v_cvt_i32_f64_e32 v3, v[4:5]
	s_branch .LBB62_729
.LBB62_727:
	s_mov_b32 s28, -1
                                        ; implicit-def: $vgpr3
	s_branch .LBB62_732
.LBB62_728:
	s_mov_b32 s28, -1
                                        ; implicit-def: $vgpr3
.LBB62_729:
	s_delay_alu instid0(SALU_CYCLE_1)
	s_and_not1_b32 vcc_lo, exec_lo, s28
	s_cbranch_vccnz .LBB62_731
; %bb.730:
	s_wait_loadcnt 0x0
	global_load_b32 v3, v[0:1], off
	s_wait_loadcnt 0x0
	v_cvt_i32_f32_e32 v3, v3
.LBB62_731:
	s_mov_b32 s28, 0
.LBB62_732:
	s_delay_alu instid0(SALU_CYCLE_1)
	s_and_not1_b32 vcc_lo, exec_lo, s28
	s_cbranch_vccnz .LBB62_734
; %bb.733:
	s_wait_loadcnt 0x0
	global_load_u16 v3, v[0:1], off
	s_wait_loadcnt 0x0
	v_cvt_f32_f16_e32 v3, v3
	s_delay_alu instid0(VALU_DEP_1)
	v_cvt_i32_f32_e32 v3, v3
.LBB62_734:
	s_mov_b32 s28, 0
.LBB62_735:
	s_delay_alu instid0(SALU_CYCLE_1)
	s_and_not1_b32 vcc_lo, exec_lo, s28
	s_cbranch_vccnz .LBB62_755
; %bb.736:
	s_cmp_lt_i32 s0, 2
	s_cbranch_scc1 .LBB62_740
; %bb.737:
	s_cmp_lt_i32 s0, 3
	s_cbranch_scc1 .LBB62_741
; %bb.738:
	s_cmp_gt_i32 s0, 3
	s_cbranch_scc0 .LBB62_742
; %bb.739:
	s_wait_loadcnt 0x0
	global_load_b32 v3, v[0:1], off
	s_mov_b32 s28, 0
	s_branch .LBB62_743
.LBB62_740:
	s_mov_b32 s28, -1
                                        ; implicit-def: $vgpr3
	s_branch .LBB62_749
.LBB62_741:
	s_mov_b32 s28, -1
                                        ; implicit-def: $vgpr3
	s_branch .LBB62_746
.LBB62_742:
	s_mov_b32 s28, -1
                                        ; implicit-def: $vgpr3
.LBB62_743:
	s_delay_alu instid0(SALU_CYCLE_1)
	s_and_not1_b32 vcc_lo, exec_lo, s28
	s_cbranch_vccnz .LBB62_745
; %bb.744:
	s_wait_loadcnt 0x0
	global_load_b32 v3, v[0:1], off
.LBB62_745:
	s_mov_b32 s28, 0
.LBB62_746:
	s_delay_alu instid0(SALU_CYCLE_1)
	s_and_not1_b32 vcc_lo, exec_lo, s28
	s_cbranch_vccnz .LBB62_748
; %bb.747:
	s_wait_loadcnt 0x0
	global_load_i16 v3, v[0:1], off
.LBB62_748:
	s_mov_b32 s28, 0
.LBB62_749:
	s_delay_alu instid0(SALU_CYCLE_1)
	s_and_not1_b32 vcc_lo, exec_lo, s28
	s_cbranch_vccnz .LBB62_755
; %bb.750:
	s_cmp_gt_i32 s0, 0
	s_mov_b32 s0, 0
	s_cbranch_scc0 .LBB62_752
; %bb.751:
	s_wait_loadcnt 0x0
	global_load_i8 v3, v[0:1], off
	s_branch .LBB62_753
.LBB62_752:
	s_mov_b32 s0, -1
                                        ; implicit-def: $vgpr3
.LBB62_753:
	s_delay_alu instid0(SALU_CYCLE_1)
	s_and_not1_b32 vcc_lo, exec_lo, s0
	s_cbranch_vccnz .LBB62_755
; %bb.754:
	s_wait_loadcnt 0x0
	global_load_u8 v3, v[0:1], off
.LBB62_755:
	s_mov_b32 s29, -1
.LBB62_756:
	s_delay_alu instid0(SALU_CYCLE_1)
	s_and_not1_b32 vcc_lo, exec_lo, s29
	s_cbranch_vccnz .LBB62_764
; %bb.757:
	s_wait_xcnt 0x0
	v_mul_lo_u32 v0, v8, s15
	s_and_b32 s0, 0xffff, s1
	s_delay_alu instid0(SALU_CYCLE_1) | instskip(NEXT) | instid1(VALU_DEP_1)
	s_cmp_lt_i32 s0, 11
	v_ashrrev_i32_e32 v1, 31, v0
	s_delay_alu instid0(VALU_DEP_1)
	v_add_nc_u64_e32 v[0:1], s[10:11], v[0:1]
	s_cbranch_scc1 .LBB62_765
; %bb.758:
	s_cmp_gt_i32 s0, 25
	s_cbranch_scc0 .LBB62_766
; %bb.759:
	s_cmp_gt_i32 s0, 28
	s_cbranch_scc0 .LBB62_767
	;; [unrolled: 3-line block ×4, first 2 shown]
; %bb.762:
	s_cmp_eq_u32 s0, 46
	s_mov_b32 s33, 0
	s_cbranch_scc0 .LBB62_772
; %bb.763:
	s_wait_loadcnt 0x0
	global_load_b32 v4, v[0:1], off
	s_mov_b32 s29, -1
	s_mov_b32 s28, 0
	s_wait_loadcnt 0x0
	v_lshlrev_b32_e32 v4, 16, v4
	s_delay_alu instid0(VALU_DEP_1)
	v_cvt_i32_f32_e32 v4, v4
	s_branch .LBB62_774
.LBB62_764:
	s_mov_b32 s33, 0
	s_mov_b32 s0, s21
	;; [unrolled: 1-line block ×3, first 2 shown]
	s_branch .LBB62_1009
.LBB62_765:
	s_mov_b32 s33, -1
	s_mov_b32 s29, 0
	s_mov_b32 s28, s23
                                        ; implicit-def: $vgpr4
	s_branch .LBB62_835
.LBB62_766:
	s_mov_b32 s33, -1
	s_mov_b32 s29, 0
	s_mov_b32 s28, s23
                                        ; implicit-def: $vgpr4
	s_branch .LBB62_801
.LBB62_767:
	s_mov_b32 s33, -1
	s_mov_b32 s29, 0
	s_mov_b32 s28, s23
                                        ; implicit-def: $vgpr4
	s_branch .LBB62_784
.LBB62_768:
	s_mov_b32 s33, -1
	s_mov_b32 s29, 0
	s_mov_b32 s28, s23
                                        ; implicit-def: $vgpr4
	s_branch .LBB62_779
.LBB62_769:
	s_mov_b32 s33, -1
	s_mov_b32 s29, 0
	s_mov_b32 s28, s23
	s_branch .LBB62_773
.LBB62_770:
	s_and_not1_saveexec_b32 s31, s31
	s_cbranch_execz .LBB62_422
.LBB62_771:
	v_add_f32_e64 v4, 0x42800000, |v1|
	s_and_not1_b32 s30, s30, exec_lo
	s_delay_alu instid0(VALU_DEP_1) | instskip(NEXT) | instid1(VALU_DEP_1)
	v_and_b32_e32 v4, 0xff, v4
	v_cmp_ne_u32_e32 vcc_lo, 0, v4
	s_and_b32 s33, vcc_lo, exec_lo
	s_delay_alu instid0(SALU_CYCLE_1)
	s_or_b32 s30, s30, s33
	s_or_b32 exec_lo, exec_lo, s31
	v_mov_b32_e32 v5, 0
	s_and_saveexec_b32 s31, s30
	s_cbranch_execnz .LBB62_423
	s_branch .LBB62_424
.LBB62_772:
	s_mov_b32 s28, -1
	s_mov_b32 s29, 0
.LBB62_773:
                                        ; implicit-def: $vgpr4
.LBB62_774:
	s_and_b32 vcc_lo, exec_lo, s33
	s_cbranch_vccz .LBB62_778
; %bb.775:
	s_cmp_eq_u32 s0, 44
	s_cbranch_scc0 .LBB62_777
; %bb.776:
	s_wait_loadcnt 0x0
	global_load_u8 v4, v[0:1], off
	s_mov_b32 s28, 0
	s_mov_b32 s29, -1
	s_wait_loadcnt 0x0
	v_lshlrev_b32_e32 v5, 23, v4
	v_cmp_ne_u32_e32 vcc_lo, 0, v4
	s_delay_alu instid0(VALU_DEP_2) | instskip(NEXT) | instid1(VALU_DEP_1)
	v_cvt_i32_f32_e32 v5, v5
	v_cndmask_b32_e32 v4, 0, v5, vcc_lo
	s_branch .LBB62_778
.LBB62_777:
	s_mov_b32 s28, -1
                                        ; implicit-def: $vgpr4
.LBB62_778:
	s_mov_b32 s33, 0
.LBB62_779:
	s_delay_alu instid0(SALU_CYCLE_1)
	s_and_b32 vcc_lo, exec_lo, s33
	s_cbranch_vccz .LBB62_783
; %bb.780:
	s_cmp_eq_u32 s0, 29
	s_cbranch_scc0 .LBB62_782
; %bb.781:
	s_wait_loadcnt 0x0
	global_load_b32 v4, v[0:1], off
	s_mov_b32 s29, -1
	s_mov_b32 s28, 0
	s_branch .LBB62_783
.LBB62_782:
	s_mov_b32 s28, -1
                                        ; implicit-def: $vgpr4
.LBB62_783:
	s_mov_b32 s33, 0
.LBB62_784:
	s_delay_alu instid0(SALU_CYCLE_1)
	s_and_b32 vcc_lo, exec_lo, s33
	s_cbranch_vccz .LBB62_800
; %bb.785:
	s_cmp_lt_i32 s0, 27
	s_cbranch_scc1 .LBB62_788
; %bb.786:
	s_cmp_gt_i32 s0, 27
	s_cbranch_scc0 .LBB62_789
; %bb.787:
	s_wait_loadcnt 0x0
	global_load_b32 v4, v[0:1], off
	s_mov_b32 s29, 0
	s_branch .LBB62_790
.LBB62_788:
	s_mov_b32 s29, -1
                                        ; implicit-def: $vgpr4
	s_branch .LBB62_793
.LBB62_789:
	s_mov_b32 s29, -1
                                        ; implicit-def: $vgpr4
.LBB62_790:
	s_delay_alu instid0(SALU_CYCLE_1)
	s_and_not1_b32 vcc_lo, exec_lo, s29
	s_cbranch_vccnz .LBB62_792
; %bb.791:
	s_wait_loadcnt 0x0
	global_load_u16 v4, v[0:1], off
.LBB62_792:
	s_mov_b32 s29, 0
.LBB62_793:
	s_delay_alu instid0(SALU_CYCLE_1)
	s_and_not1_b32 vcc_lo, exec_lo, s29
	s_cbranch_vccnz .LBB62_799
; %bb.794:
	global_load_u8 v5, v[0:1], off
	s_mov_b32 s33, 0
	s_mov_b32 s29, exec_lo
	s_wait_loadcnt 0x0
	v_cmpx_lt_i16_e32 0x7f, v5
	s_xor_b32 s29, exec_lo, s29
	s_cbranch_execz .LBB62_811
; %bb.795:
	v_cmp_ne_u16_e32 vcc_lo, 0x80, v5
	s_and_b32 s33, vcc_lo, exec_lo
	s_and_not1_saveexec_b32 s29, s29
	s_cbranch_execnz .LBB62_812
.LBB62_796:
	s_or_b32 exec_lo, exec_lo, s29
	v_mov_b32_e32 v4, 0
	s_and_saveexec_b32 s29, s33
	s_cbranch_execz .LBB62_798
.LBB62_797:
	v_and_b32_e32 v4, 0xffff, v5
	s_delay_alu instid0(VALU_DEP_1) | instskip(SKIP_1) | instid1(VALU_DEP_2)
	v_and_b32_e32 v6, 7, v4
	v_bfe_u32 v10, v4, 3, 4
	v_clz_i32_u32_e32 v7, v6
	s_delay_alu instid0(VALU_DEP_2) | instskip(NEXT) | instid1(VALU_DEP_2)
	v_cmp_eq_u32_e32 vcc_lo, 0, v10
	v_min_u32_e32 v7, 32, v7
	s_delay_alu instid0(VALU_DEP_1) | instskip(NEXT) | instid1(VALU_DEP_1)
	v_subrev_nc_u32_e32 v9, 28, v7
	v_dual_lshlrev_b32 v4, v9, v4 :: v_dual_sub_nc_u32 v7, 29, v7
	s_delay_alu instid0(VALU_DEP_1) | instskip(NEXT) | instid1(VALU_DEP_2)
	v_dual_lshlrev_b32 v5, 24, v5 :: v_dual_bitop2_b32 v4, 7, v4 bitop3:0x40
	v_cndmask_b32_e32 v7, v10, v7, vcc_lo
	s_delay_alu instid0(VALU_DEP_2) | instskip(NEXT) | instid1(VALU_DEP_3)
	v_cndmask_b32_e32 v4, v6, v4, vcc_lo
	v_and_b32_e32 v5, 0x80000000, v5
	s_delay_alu instid0(VALU_DEP_3) | instskip(NEXT) | instid1(VALU_DEP_3)
	v_lshl_add_u32 v6, v7, 23, 0x3b800000
	v_lshlrev_b32_e32 v4, 20, v4
	s_delay_alu instid0(VALU_DEP_1) | instskip(NEXT) | instid1(VALU_DEP_1)
	v_or3_b32 v4, v5, v6, v4
	v_cvt_i32_f32_e32 v4, v4
.LBB62_798:
	s_or_b32 exec_lo, exec_lo, s29
.LBB62_799:
	s_mov_b32 s29, -1
.LBB62_800:
	s_mov_b32 s33, 0
.LBB62_801:
	s_delay_alu instid0(SALU_CYCLE_1)
	s_and_b32 vcc_lo, exec_lo, s33
	s_cbranch_vccz .LBB62_834
; %bb.802:
	s_cmp_gt_i32 s0, 22
	s_cbranch_scc0 .LBB62_810
; %bb.803:
	s_cmp_lt_i32 s0, 24
	s_cbranch_scc1 .LBB62_813
; %bb.804:
	s_cmp_gt_i32 s0, 24
	s_cbranch_scc0 .LBB62_814
; %bb.805:
	global_load_u8 v5, v[0:1], off
	s_mov_b32 s33, 0
	s_mov_b32 s29, exec_lo
	s_wait_loadcnt 0x0
	v_cmpx_lt_i16_e32 0x7f, v5
	s_xor_b32 s29, exec_lo, s29
	s_cbranch_execz .LBB62_826
; %bb.806:
	v_cmp_ne_u16_e32 vcc_lo, 0x80, v5
	s_and_b32 s33, vcc_lo, exec_lo
	s_and_not1_saveexec_b32 s29, s29
	s_cbranch_execnz .LBB62_827
.LBB62_807:
	s_or_b32 exec_lo, exec_lo, s29
	v_mov_b32_e32 v4, 0
	s_and_saveexec_b32 s29, s33
	s_cbranch_execz .LBB62_809
.LBB62_808:
	v_and_b32_e32 v4, 0xffff, v5
	s_delay_alu instid0(VALU_DEP_1) | instskip(SKIP_1) | instid1(VALU_DEP_2)
	v_and_b32_e32 v6, 3, v4
	v_bfe_u32 v10, v4, 2, 5
	v_clz_i32_u32_e32 v7, v6
	s_delay_alu instid0(VALU_DEP_2) | instskip(NEXT) | instid1(VALU_DEP_2)
	v_cmp_eq_u32_e32 vcc_lo, 0, v10
	v_min_u32_e32 v7, 32, v7
	s_delay_alu instid0(VALU_DEP_1) | instskip(NEXT) | instid1(VALU_DEP_1)
	v_subrev_nc_u32_e32 v9, 29, v7
	v_dual_lshlrev_b32 v4, v9, v4 :: v_dual_sub_nc_u32 v7, 30, v7
	s_delay_alu instid0(VALU_DEP_1) | instskip(NEXT) | instid1(VALU_DEP_2)
	v_dual_lshlrev_b32 v5, 24, v5 :: v_dual_bitop2_b32 v4, 3, v4 bitop3:0x40
	v_cndmask_b32_e32 v7, v10, v7, vcc_lo
	s_delay_alu instid0(VALU_DEP_2) | instskip(NEXT) | instid1(VALU_DEP_3)
	v_cndmask_b32_e32 v4, v6, v4, vcc_lo
	v_and_b32_e32 v5, 0x80000000, v5
	s_delay_alu instid0(VALU_DEP_3) | instskip(NEXT) | instid1(VALU_DEP_3)
	v_lshl_add_u32 v6, v7, 23, 0x37800000
	v_lshlrev_b32_e32 v4, 21, v4
	s_delay_alu instid0(VALU_DEP_1) | instskip(NEXT) | instid1(VALU_DEP_1)
	v_or3_b32 v4, v5, v6, v4
	v_cvt_i32_f32_e32 v4, v4
.LBB62_809:
	s_or_b32 exec_lo, exec_lo, s29
	s_mov_b32 s29, 0
	s_branch .LBB62_815
.LBB62_810:
	s_mov_b32 s33, -1
                                        ; implicit-def: $vgpr4
	s_branch .LBB62_821
.LBB62_811:
	s_and_not1_saveexec_b32 s29, s29
	s_cbranch_execz .LBB62_796
.LBB62_812:
	v_cmp_ne_u16_e32 vcc_lo, 0, v5
	s_and_not1_b32 s33, s33, exec_lo
	s_and_b32 s34, vcc_lo, exec_lo
	s_delay_alu instid0(SALU_CYCLE_1)
	s_or_b32 s33, s33, s34
	s_or_b32 exec_lo, exec_lo, s29
	v_mov_b32_e32 v4, 0
	s_and_saveexec_b32 s29, s33
	s_cbranch_execnz .LBB62_797
	s_branch .LBB62_798
.LBB62_813:
	s_mov_b32 s29, -1
                                        ; implicit-def: $vgpr4
	s_branch .LBB62_818
.LBB62_814:
	s_mov_b32 s29, -1
                                        ; implicit-def: $vgpr4
.LBB62_815:
	s_delay_alu instid0(SALU_CYCLE_1)
	s_and_b32 vcc_lo, exec_lo, s29
	s_cbranch_vccz .LBB62_817
; %bb.816:
	s_wait_loadcnt 0x0
	global_load_u8 v4, v[0:1], off
	s_wait_loadcnt 0x0
	v_lshlrev_b32_e32 v4, 24, v4
	s_delay_alu instid0(VALU_DEP_1) | instskip(NEXT) | instid1(VALU_DEP_1)
	v_and_b32_e32 v5, 0x7f000000, v4
	v_clz_i32_u32_e32 v6, v5
	v_add_nc_u32_e32 v9, 0x1000000, v5
	v_cmp_ne_u32_e32 vcc_lo, 0, v5
	s_delay_alu instid0(VALU_DEP_3) | instskip(NEXT) | instid1(VALU_DEP_1)
	v_min_u32_e32 v6, 32, v6
	v_sub_nc_u32_e64 v6, v6, 4 clamp
	s_delay_alu instid0(VALU_DEP_1) | instskip(NEXT) | instid1(VALU_DEP_1)
	v_dual_lshlrev_b32 v7, v6, v5 :: v_dual_lshlrev_b32 v6, 23, v6
	v_lshrrev_b32_e32 v7, 4, v7
	s_delay_alu instid0(VALU_DEP_1) | instskip(NEXT) | instid1(VALU_DEP_1)
	v_dual_sub_nc_u32 v6, v7, v6 :: v_dual_ashrrev_i32 v7, 8, v9
	v_add_nc_u32_e32 v6, 0x3c000000, v6
	s_delay_alu instid0(VALU_DEP_1) | instskip(NEXT) | instid1(VALU_DEP_1)
	v_and_or_b32 v6, 0x7f800000, v7, v6
	v_cndmask_b32_e32 v5, 0, v6, vcc_lo
	s_delay_alu instid0(VALU_DEP_1) | instskip(NEXT) | instid1(VALU_DEP_1)
	v_and_or_b32 v4, 0x80000000, v4, v5
	v_cvt_i32_f32_e32 v4, v4
.LBB62_817:
	s_mov_b32 s29, 0
.LBB62_818:
	s_delay_alu instid0(SALU_CYCLE_1)
	s_and_not1_b32 vcc_lo, exec_lo, s29
	s_cbranch_vccnz .LBB62_820
; %bb.819:
	s_wait_loadcnt 0x0
	global_load_u8 v4, v[0:1], off
	s_wait_loadcnt 0x0
	v_lshlrev_b32_e32 v5, 25, v4
	v_lshlrev_b16 v4, 8, v4
	s_delay_alu instid0(VALU_DEP_1) | instskip(SKIP_1) | instid1(VALU_DEP_2)
	v_and_or_b32 v7, 0x7f00, v4, 0.5
	v_bfe_i32 v4, v4, 0, 16
	v_dual_add_f32 v7, -0.5, v7 :: v_dual_lshrrev_b32 v6, 4, v5
	v_cmp_gt_u32_e32 vcc_lo, 0x8000000, v5
	s_delay_alu instid0(VALU_DEP_2) | instskip(NEXT) | instid1(VALU_DEP_1)
	v_or_b32_e32 v6, 0x70000000, v6
	v_mul_f32_e32 v6, 0x7800000, v6
	s_delay_alu instid0(VALU_DEP_1) | instskip(NEXT) | instid1(VALU_DEP_1)
	v_cndmask_b32_e32 v5, v6, v7, vcc_lo
	v_and_or_b32 v4, 0x80000000, v4, v5
	s_delay_alu instid0(VALU_DEP_1)
	v_cvt_i32_f32_e32 v4, v4
.LBB62_820:
	s_mov_b32 s33, 0
	s_mov_b32 s29, -1
.LBB62_821:
	s_and_not1_b32 vcc_lo, exec_lo, s33
	s_cbranch_vccnz .LBB62_834
; %bb.822:
	s_cmp_gt_i32 s0, 14
	s_cbranch_scc0 .LBB62_825
; %bb.823:
	s_cmp_eq_u32 s0, 15
	s_cbranch_scc0 .LBB62_828
; %bb.824:
	s_wait_loadcnt 0x0
	global_load_u16 v4, v[0:1], off
	s_mov_b32 s29, -1
	s_mov_b32 s28, 0
	s_wait_loadcnt 0x0
	v_lshlrev_b32_e32 v4, 16, v4
	s_delay_alu instid0(VALU_DEP_1)
	v_cvt_i32_f32_e32 v4, v4
	s_branch .LBB62_829
.LBB62_825:
	s_mov_b32 s33, -1
                                        ; implicit-def: $vgpr4
	s_branch .LBB62_830
.LBB62_826:
	s_and_not1_saveexec_b32 s29, s29
	s_cbranch_execz .LBB62_807
.LBB62_827:
	v_cmp_ne_u16_e32 vcc_lo, 0, v5
	s_and_not1_b32 s33, s33, exec_lo
	s_and_b32 s34, vcc_lo, exec_lo
	s_delay_alu instid0(SALU_CYCLE_1)
	s_or_b32 s33, s33, s34
	s_or_b32 exec_lo, exec_lo, s29
	v_mov_b32_e32 v4, 0
	s_and_saveexec_b32 s29, s33
	s_cbranch_execnz .LBB62_808
	s_branch .LBB62_809
.LBB62_828:
	s_mov_b32 s28, -1
                                        ; implicit-def: $vgpr4
.LBB62_829:
	s_mov_b32 s33, 0
.LBB62_830:
	s_delay_alu instid0(SALU_CYCLE_1)
	s_and_b32 vcc_lo, exec_lo, s33
	s_cbranch_vccz .LBB62_834
; %bb.831:
	s_cmp_eq_u32 s0, 11
	s_cbranch_scc0 .LBB62_833
; %bb.832:
	s_wait_loadcnt 0x0
	global_load_u8 v4, v[0:1], off
	s_mov_b32 s28, 0
	s_mov_b32 s29, -1
	s_wait_loadcnt 0x0
	v_cmp_ne_u16_e32 vcc_lo, 0, v4
	v_cndmask_b32_e64 v4, 0, 1, vcc_lo
	s_branch .LBB62_834
.LBB62_833:
	s_mov_b32 s28, -1
                                        ; implicit-def: $vgpr4
.LBB62_834:
	s_mov_b32 s33, 0
.LBB62_835:
	s_delay_alu instid0(SALU_CYCLE_1)
	s_and_b32 vcc_lo, exec_lo, s33
	s_cbranch_vccz .LBB62_884
; %bb.836:
	s_cmp_lt_i32 s0, 5
	s_cbranch_scc1 .LBB62_841
; %bb.837:
	s_cmp_lt_i32 s0, 8
	s_cbranch_scc1 .LBB62_842
	;; [unrolled: 3-line block ×3, first 2 shown]
; %bb.839:
	s_cmp_gt_i32 s0, 9
	s_cbranch_scc0 .LBB62_844
; %bb.840:
	s_wait_loadcnt 0x0
	global_load_b64 v[4:5], v[0:1], off
	s_mov_b32 s29, 0
	s_wait_loadcnt 0x0
	v_cvt_i32_f64_e32 v4, v[4:5]
	s_branch .LBB62_845
.LBB62_841:
	s_mov_b32 s29, -1
                                        ; implicit-def: $vgpr4
	s_branch .LBB62_863
.LBB62_842:
	s_mov_b32 s29, -1
                                        ; implicit-def: $vgpr4
	s_branch .LBB62_851
.LBB62_843:
	s_mov_b32 s29, -1
                                        ; implicit-def: $vgpr4
	s_branch .LBB62_848
.LBB62_844:
	s_mov_b32 s29, -1
                                        ; implicit-def: $vgpr4
.LBB62_845:
	s_delay_alu instid0(SALU_CYCLE_1)
	s_and_not1_b32 vcc_lo, exec_lo, s29
	s_cbranch_vccnz .LBB62_847
; %bb.846:
	s_wait_loadcnt 0x0
	global_load_b32 v4, v[0:1], off
	s_wait_loadcnt 0x0
	v_cvt_i32_f32_e32 v4, v4
.LBB62_847:
	s_mov_b32 s29, 0
.LBB62_848:
	s_delay_alu instid0(SALU_CYCLE_1)
	s_and_not1_b32 vcc_lo, exec_lo, s29
	s_cbranch_vccnz .LBB62_850
; %bb.849:
	s_wait_loadcnt 0x0
	global_load_b32 v4, v[0:1], off
	s_wait_loadcnt 0x0
	v_cvt_f32_f16_e32 v4, v4
	s_delay_alu instid0(VALU_DEP_1)
	v_cvt_i32_f32_e32 v4, v4
.LBB62_850:
	s_mov_b32 s29, 0
.LBB62_851:
	s_delay_alu instid0(SALU_CYCLE_1)
	s_and_not1_b32 vcc_lo, exec_lo, s29
	s_cbranch_vccnz .LBB62_862
; %bb.852:
	s_cmp_lt_i32 s0, 6
	s_cbranch_scc1 .LBB62_855
; %bb.853:
	s_cmp_gt_i32 s0, 6
	s_cbranch_scc0 .LBB62_856
; %bb.854:
	s_wait_loadcnt 0x0
	global_load_b64 v[4:5], v[0:1], off
	s_mov_b32 s29, 0
	s_wait_loadcnt 0x0
	v_cvt_i32_f64_e32 v4, v[4:5]
	s_branch .LBB62_857
.LBB62_855:
	s_mov_b32 s29, -1
                                        ; implicit-def: $vgpr4
	s_branch .LBB62_860
.LBB62_856:
	s_mov_b32 s29, -1
                                        ; implicit-def: $vgpr4
.LBB62_857:
	s_delay_alu instid0(SALU_CYCLE_1)
	s_and_not1_b32 vcc_lo, exec_lo, s29
	s_cbranch_vccnz .LBB62_859
; %bb.858:
	s_wait_loadcnt 0x0
	global_load_b32 v4, v[0:1], off
	s_wait_loadcnt 0x0
	v_cvt_i32_f32_e32 v4, v4
.LBB62_859:
	s_mov_b32 s29, 0
.LBB62_860:
	s_delay_alu instid0(SALU_CYCLE_1)
	s_and_not1_b32 vcc_lo, exec_lo, s29
	s_cbranch_vccnz .LBB62_862
; %bb.861:
	s_wait_loadcnt 0x0
	global_load_u16 v4, v[0:1], off
	s_wait_loadcnt 0x0
	v_cvt_f32_f16_e32 v4, v4
	s_delay_alu instid0(VALU_DEP_1)
	v_cvt_i32_f32_e32 v4, v4
.LBB62_862:
	s_mov_b32 s29, 0
.LBB62_863:
	s_delay_alu instid0(SALU_CYCLE_1)
	s_and_not1_b32 vcc_lo, exec_lo, s29
	s_cbranch_vccnz .LBB62_883
; %bb.864:
	s_cmp_lt_i32 s0, 2
	s_cbranch_scc1 .LBB62_868
; %bb.865:
	s_cmp_lt_i32 s0, 3
	s_cbranch_scc1 .LBB62_869
; %bb.866:
	s_cmp_gt_i32 s0, 3
	s_cbranch_scc0 .LBB62_870
; %bb.867:
	s_wait_loadcnt 0x0
	global_load_b32 v4, v[0:1], off
	s_mov_b32 s29, 0
	s_branch .LBB62_871
.LBB62_868:
	s_mov_b32 s29, -1
                                        ; implicit-def: $vgpr4
	s_branch .LBB62_877
.LBB62_869:
	s_mov_b32 s29, -1
                                        ; implicit-def: $vgpr4
	s_branch .LBB62_874
.LBB62_870:
	s_mov_b32 s29, -1
                                        ; implicit-def: $vgpr4
.LBB62_871:
	s_delay_alu instid0(SALU_CYCLE_1)
	s_and_not1_b32 vcc_lo, exec_lo, s29
	s_cbranch_vccnz .LBB62_873
; %bb.872:
	s_wait_loadcnt 0x0
	global_load_b32 v4, v[0:1], off
.LBB62_873:
	s_mov_b32 s29, 0
.LBB62_874:
	s_delay_alu instid0(SALU_CYCLE_1)
	s_and_not1_b32 vcc_lo, exec_lo, s29
	s_cbranch_vccnz .LBB62_876
; %bb.875:
	s_wait_loadcnt 0x0
	global_load_i16 v4, v[0:1], off
.LBB62_876:
	s_mov_b32 s29, 0
.LBB62_877:
	s_delay_alu instid0(SALU_CYCLE_1)
	s_and_not1_b32 vcc_lo, exec_lo, s29
	s_cbranch_vccnz .LBB62_883
; %bb.878:
	s_cmp_gt_i32 s0, 0
	s_mov_b32 s0, 0
	s_cbranch_scc0 .LBB62_880
; %bb.879:
	s_wait_loadcnt 0x0
	global_load_i8 v4, v[0:1], off
	s_branch .LBB62_881
.LBB62_880:
	s_mov_b32 s0, -1
                                        ; implicit-def: $vgpr4
.LBB62_881:
	s_delay_alu instid0(SALU_CYCLE_1)
	s_and_not1_b32 vcc_lo, exec_lo, s0
	s_cbranch_vccnz .LBB62_883
; %bb.882:
	s_wait_loadcnt 0x0
	global_load_u8 v4, v[0:1], off
.LBB62_883:
	s_mov_b32 s29, -1
.LBB62_884:
	s_delay_alu instid0(SALU_CYCLE_1)
	s_and_not1_b32 vcc_lo, exec_lo, s29
	s_cbranch_vccnz .LBB62_892
; %bb.885:
	s_wait_loadcnt 0x0
	v_mul_lo_u32 v0, v2, s16
	v_mul_lo_u32 v2, v8, s12
	;; [unrolled: 1-line block ×3, first 2 shown]
	s_and_b32 s29, s18, 0xff
	s_delay_alu instid0(SALU_CYCLE_1) | instskip(NEXT) | instid1(VALU_DEP_2)
	s_cmp_lt_i32 s29, 11
	v_ashrrev_i32_e32 v3, 31, v2
	s_delay_alu instid0(VALU_DEP_2) | instskip(NEXT) | instid1(VALU_DEP_2)
	v_mad_u32 v0, v1, v4, v0
	v_add_nc_u64_e32 v[2:3], s[4:5], v[2:3]
	s_cbranch_scc1 .LBB62_893
; %bb.886:
	s_and_b32 s33, 0xffff, s29
	s_delay_alu instid0(SALU_CYCLE_1)
	s_cmp_gt_i32 s33, 25
	s_cbranch_scc0 .LBB62_894
; %bb.887:
	s_cmp_gt_i32 s33, 28
	s_cbranch_scc0 .LBB62_895
; %bb.888:
	;; [unrolled: 3-line block ×4, first 2 shown]
	s_mov_b32 s35, 0
	s_mov_b32 s0, -1
	s_cmp_eq_u32 s33, 46
	s_mov_b32 s34, 0
	s_cbranch_scc0 .LBB62_898
; %bb.891:
	v_cvt_f32_i32_e32 v1, v0
	s_mov_b32 s34, -1
	s_mov_b32 s0, 0
	s_delay_alu instid0(VALU_DEP_1) | instskip(NEXT) | instid1(VALU_DEP_1)
	v_bfe_u32 v4, v1, 16, 1
	v_add3_u32 v1, v1, v4, 0x7fff
	s_delay_alu instid0(VALU_DEP_1)
	v_lshrrev_b32_e32 v1, 16, v1
	global_store_b32 v[2:3], v1, off
	s_branch .LBB62_898
.LBB62_892:
	s_mov_b32 s33, 0
	s_mov_b32 s0, s21
	s_branch .LBB62_1009
.LBB62_893:
	s_mov_b32 s33, -1
	s_mov_b32 s34, 0
	s_mov_b32 s0, s21
	s_branch .LBB62_967
.LBB62_894:
	s_mov_b32 s35, -1
	s_mov_b32 s34, 0
	s_mov_b32 s0, s21
	s_branch .LBB62_925
.LBB62_895:
	s_mov_b32 s35, -1
	s_mov_b32 s34, 0
	s_mov_b32 s0, s21
	s_branch .LBB62_908
.LBB62_896:
	s_mov_b32 s35, -1
	s_mov_b32 s34, 0
	s_mov_b32 s0, s21
	s_branch .LBB62_904
.LBB62_897:
	s_mov_b32 s35, -1
	s_mov_b32 s34, 0
	s_mov_b32 s0, s21
.LBB62_898:
	s_and_b32 vcc_lo, exec_lo, s35
	s_cbranch_vccz .LBB62_903
; %bb.899:
	s_cmp_eq_u32 s33, 44
	s_mov_b32 s0, -1
	s_cbranch_scc0 .LBB62_903
; %bb.900:
	s_wait_xcnt 0x0
	v_cvt_f32_i32_e32 v1, v0
	v_mov_b32_e32 v4, 0xff
	s_mov_b32 s34, exec_lo
	s_delay_alu instid0(VALU_DEP_2) | instskip(NEXT) | instid1(VALU_DEP_1)
	v_bfe_u32 v5, v1, 23, 8
	v_cmpx_ne_u32_e32 0xff, v5
	s_cbranch_execz .LBB62_902
; %bb.901:
	v_and_b32_e32 v4, 0x400000, v1
	v_and_or_b32 v5, 0x3fffff, v1, v5
	v_lshrrev_b32_e32 v1, 23, v1
	s_delay_alu instid0(VALU_DEP_3) | instskip(NEXT) | instid1(VALU_DEP_3)
	v_cmp_ne_u32_e32 vcc_lo, 0, v4
	v_cmp_ne_u32_e64 s0, 0, v5
	s_and_b32 s0, vcc_lo, s0
	s_delay_alu instid0(SALU_CYCLE_1) | instskip(NEXT) | instid1(VALU_DEP_1)
	v_cndmask_b32_e64 v4, 0, 1, s0
	v_add_nc_u32_e32 v4, v1, v4
.LBB62_902:
	s_or_b32 exec_lo, exec_lo, s34
	s_mov_b32 s34, -1
	s_mov_b32 s0, 0
	global_store_b8 v[2:3], v4, off
.LBB62_903:
	s_mov_b32 s35, 0
.LBB62_904:
	s_delay_alu instid0(SALU_CYCLE_1)
	s_and_b32 vcc_lo, exec_lo, s35
	s_cbranch_vccz .LBB62_907
; %bb.905:
	s_cmp_eq_u32 s33, 29
	s_mov_b32 s0, -1
	s_cbranch_scc0 .LBB62_907
; %bb.906:
	s_wait_xcnt 0x0
	v_ashrrev_i32_e32 v1, 31, v0
	s_mov_b32 s34, -1
	s_mov_b32 s0, 0
	s_mov_b32 s35, 0
	global_store_b64 v[2:3], v[0:1], off
	s_branch .LBB62_908
.LBB62_907:
	s_mov_b32 s35, 0
.LBB62_908:
	s_delay_alu instid0(SALU_CYCLE_1)
	s_and_b32 vcc_lo, exec_lo, s35
	s_cbranch_vccz .LBB62_924
; %bb.909:
	s_cmp_lt_i32 s33, 27
	s_mov_b32 s34, -1
	s_cbranch_scc1 .LBB62_915
; %bb.910:
	s_cmp_gt_i32 s33, 27
	s_cbranch_scc0 .LBB62_912
; %bb.911:
	s_mov_b32 s34, 0
	global_store_b32 v[2:3], v0, off
.LBB62_912:
	s_and_not1_b32 vcc_lo, exec_lo, s34
	s_cbranch_vccnz .LBB62_914
; %bb.913:
	global_store_b16 v[2:3], v0, off
.LBB62_914:
	s_mov_b32 s34, 0
.LBB62_915:
	s_delay_alu instid0(SALU_CYCLE_1)
	s_and_not1_b32 vcc_lo, exec_lo, s34
	s_cbranch_vccnz .LBB62_923
; %bb.916:
	s_wait_xcnt 0x0
	v_cvt_f32_i32_e32 v1, v0
	v_mov_b32_e32 v5, 0x80
	s_mov_b32 s34, exec_lo
	s_delay_alu instid0(VALU_DEP_2) | instskip(NEXT) | instid1(VALU_DEP_1)
	v_and_b32_e32 v4, 0x7fffffff, v1
	v_cmpx_gt_u32_e32 0x43800000, v4
	s_cbranch_execz .LBB62_922
; %bb.917:
	v_cmp_lt_u32_e32 vcc_lo, 0x3bffffff, v4
	s_mov_b32 s35, 0
                                        ; implicit-def: $vgpr4
	s_and_saveexec_b32 s36, vcc_lo
	s_delay_alu instid0(SALU_CYCLE_1)
	s_xor_b32 s36, exec_lo, s36
	s_cbranch_execz .LBB62_1151
; %bb.918:
	v_bfe_u32 v4, v1, 20, 1
	s_mov_b32 s35, exec_lo
	s_delay_alu instid0(VALU_DEP_1) | instskip(NEXT) | instid1(VALU_DEP_1)
	v_add3_u32 v4, v1, v4, 0x487ffff
	v_lshrrev_b32_e32 v4, 20, v4
	s_and_not1_saveexec_b32 s36, s36
	s_cbranch_execnz .LBB62_1152
.LBB62_919:
	s_or_b32 exec_lo, exec_lo, s36
	v_mov_b32_e32 v5, 0
	s_and_saveexec_b32 s36, s35
.LBB62_920:
	v_lshrrev_b32_e32 v1, 24, v1
	s_delay_alu instid0(VALU_DEP_1)
	v_and_or_b32 v5, 0x80, v1, v4
.LBB62_921:
	s_or_b32 exec_lo, exec_lo, s36
.LBB62_922:
	s_delay_alu instid0(SALU_CYCLE_1)
	s_or_b32 exec_lo, exec_lo, s34
	global_store_b8 v[2:3], v5, off
.LBB62_923:
	s_mov_b32 s34, -1
.LBB62_924:
	s_mov_b32 s35, 0
.LBB62_925:
	s_delay_alu instid0(SALU_CYCLE_1)
	s_and_b32 vcc_lo, exec_lo, s35
	s_cbranch_vccz .LBB62_966
; %bb.926:
	s_cmp_gt_i32 s33, 22
	s_mov_b32 s35, -1
	s_cbranch_scc0 .LBB62_958
; %bb.927:
	s_cmp_lt_i32 s33, 24
	s_mov_b32 s34, -1
	s_cbranch_scc1 .LBB62_947
; %bb.928:
	s_cmp_gt_i32 s33, 24
	s_cbranch_scc0 .LBB62_936
; %bb.929:
	s_wait_xcnt 0x0
	v_cvt_f32_i32_e32 v1, v0
	v_mov_b32_e32 v5, 0x80
	s_mov_b32 s34, exec_lo
	s_delay_alu instid0(VALU_DEP_2) | instskip(NEXT) | instid1(VALU_DEP_1)
	v_and_b32_e32 v4, 0x7fffffff, v1
	v_cmpx_gt_u32_e32 0x47800000, v4
	s_cbranch_execz .LBB62_935
; %bb.930:
	v_cmp_lt_u32_e32 vcc_lo, 0x37ffffff, v4
	s_mov_b32 s35, 0
                                        ; implicit-def: $vgpr4
	s_and_saveexec_b32 s36, vcc_lo
	s_delay_alu instid0(SALU_CYCLE_1)
	s_xor_b32 s36, exec_lo, s36
	s_cbranch_execz .LBB62_1279
; %bb.931:
	v_bfe_u32 v4, v1, 21, 1
	s_mov_b32 s35, exec_lo
	s_delay_alu instid0(VALU_DEP_1) | instskip(NEXT) | instid1(VALU_DEP_1)
	v_add3_u32 v4, v1, v4, 0x88fffff
	v_lshrrev_b32_e32 v4, 21, v4
	s_and_not1_saveexec_b32 s36, s36
	s_cbranch_execnz .LBB62_1280
.LBB62_932:
	s_or_b32 exec_lo, exec_lo, s36
	v_mov_b32_e32 v5, 0
	s_and_saveexec_b32 s36, s35
.LBB62_933:
	v_lshrrev_b32_e32 v1, 24, v1
	s_delay_alu instid0(VALU_DEP_1)
	v_and_or_b32 v5, 0x80, v1, v4
.LBB62_934:
	s_or_b32 exec_lo, exec_lo, s36
.LBB62_935:
	s_delay_alu instid0(SALU_CYCLE_1)
	s_or_b32 exec_lo, exec_lo, s34
	s_mov_b32 s34, 0
	global_store_b8 v[2:3], v5, off
.LBB62_936:
	s_and_b32 vcc_lo, exec_lo, s34
	s_cbranch_vccz .LBB62_946
; %bb.937:
	s_wait_xcnt 0x0
	v_cvt_f32_i32_e32 v1, v0
	s_mov_b32 s34, exec_lo
                                        ; implicit-def: $vgpr4
	s_delay_alu instid0(VALU_DEP_1) | instskip(NEXT) | instid1(VALU_DEP_1)
	v_and_b32_e32 v5, 0x7fffffff, v1
	v_cmpx_gt_u32_e32 0x43f00000, v5
	s_xor_b32 s34, exec_lo, s34
	s_cbranch_execz .LBB62_943
; %bb.938:
	s_mov_b32 s35, exec_lo
                                        ; implicit-def: $vgpr4
	v_cmpx_lt_u32_e32 0x3c7fffff, v5
	s_xor_b32 s35, exec_lo, s35
; %bb.939:
	v_bfe_u32 v4, v1, 20, 1
	s_delay_alu instid0(VALU_DEP_1) | instskip(NEXT) | instid1(VALU_DEP_1)
	v_add3_u32 v4, v1, v4, 0x407ffff
	v_and_b32_e32 v5, 0xff00000, v4
	v_lshrrev_b32_e32 v4, 20, v4
	s_delay_alu instid0(VALU_DEP_2) | instskip(NEXT) | instid1(VALU_DEP_2)
	v_cmp_ne_u32_e32 vcc_lo, 0x7f00000, v5
	v_cndmask_b32_e32 v4, 0x7e, v4, vcc_lo
; %bb.940:
	s_and_not1_saveexec_b32 s35, s35
; %bb.941:
	v_add_f32_e64 v4, 0x46800000, |v1|
; %bb.942:
	s_or_b32 exec_lo, exec_lo, s35
                                        ; implicit-def: $vgpr5
.LBB62_943:
	s_and_not1_saveexec_b32 s34, s34
; %bb.944:
	v_mov_b32_e32 v4, 0x7f
	v_cmp_lt_u32_e32 vcc_lo, 0x7f800000, v5
	s_delay_alu instid0(VALU_DEP_2)
	v_cndmask_b32_e32 v4, 0x7e, v4, vcc_lo
; %bb.945:
	s_or_b32 exec_lo, exec_lo, s34
	v_lshrrev_b32_e32 v1, 24, v1
	s_delay_alu instid0(VALU_DEP_1)
	v_and_or_b32 v1, 0x80, v1, v4
	global_store_b8 v[2:3], v1, off
.LBB62_946:
	s_mov_b32 s34, 0
.LBB62_947:
	s_delay_alu instid0(SALU_CYCLE_1)
	s_and_not1_b32 vcc_lo, exec_lo, s34
	s_cbranch_vccnz .LBB62_957
; %bb.948:
	s_wait_xcnt 0x0
	v_cvt_f32_i32_e32 v1, v0
	s_mov_b32 s34, exec_lo
                                        ; implicit-def: $vgpr4
	s_delay_alu instid0(VALU_DEP_1) | instskip(NEXT) | instid1(VALU_DEP_1)
	v_and_b32_e32 v5, 0x7fffffff, v1
	v_cmpx_gt_u32_e32 0x47800000, v5
	s_xor_b32 s34, exec_lo, s34
	s_cbranch_execz .LBB62_954
; %bb.949:
	s_mov_b32 s35, exec_lo
                                        ; implicit-def: $vgpr4
	v_cmpx_lt_u32_e32 0x387fffff, v5
	s_xor_b32 s35, exec_lo, s35
; %bb.950:
	v_bfe_u32 v4, v1, 21, 1
	s_delay_alu instid0(VALU_DEP_1) | instskip(NEXT) | instid1(VALU_DEP_1)
	v_add3_u32 v4, v1, v4, 0x80fffff
	v_lshrrev_b32_e32 v4, 21, v4
; %bb.951:
	s_and_not1_saveexec_b32 s35, s35
; %bb.952:
	v_add_f32_e64 v4, 0x43000000, |v1|
; %bb.953:
	s_or_b32 exec_lo, exec_lo, s35
                                        ; implicit-def: $vgpr5
.LBB62_954:
	s_and_not1_saveexec_b32 s34, s34
; %bb.955:
	v_mov_b32_e32 v4, 0x7f
	v_cmp_lt_u32_e32 vcc_lo, 0x7f800000, v5
	s_delay_alu instid0(VALU_DEP_2)
	v_cndmask_b32_e32 v4, 0x7c, v4, vcc_lo
; %bb.956:
	s_or_b32 exec_lo, exec_lo, s34
	v_lshrrev_b32_e32 v1, 24, v1
	s_delay_alu instid0(VALU_DEP_1)
	v_and_or_b32 v1, 0x80, v1, v4
	global_store_b8 v[2:3], v1, off
.LBB62_957:
	s_mov_b32 s35, 0
	s_mov_b32 s34, -1
.LBB62_958:
	s_and_not1_b32 vcc_lo, exec_lo, s35
	s_cbranch_vccnz .LBB62_966
; %bb.959:
	s_cmp_gt_i32 s33, 14
	s_mov_b32 s35, -1
	s_cbranch_scc0 .LBB62_963
; %bb.960:
	s_cmp_eq_u32 s33, 15
	s_mov_b32 s0, -1
	s_cbranch_scc0 .LBB62_962
; %bb.961:
	s_wait_xcnt 0x0
	v_cvt_f32_i32_e32 v1, v0
	s_mov_b32 s34, -1
	s_mov_b32 s0, 0
	s_delay_alu instid0(VALU_DEP_1) | instskip(NEXT) | instid1(VALU_DEP_1)
	v_bfe_u32 v4, v1, 16, 1
	v_add3_u32 v1, v1, v4, 0x7fff
	global_store_d16_hi_b16 v[2:3], v1, off
.LBB62_962:
	s_mov_b32 s35, 0
.LBB62_963:
	s_delay_alu instid0(SALU_CYCLE_1)
	s_and_b32 vcc_lo, exec_lo, s35
	s_cbranch_vccz .LBB62_966
; %bb.964:
	s_cmp_eq_u32 s33, 11
	s_mov_b32 s0, -1
	s_cbranch_scc0 .LBB62_966
; %bb.965:
	v_cmp_ne_u32_e32 vcc_lo, 0, v0
	s_mov_b32 s0, 0
	s_mov_b32 s34, -1
	s_wait_xcnt 0x0
	v_cndmask_b32_e64 v1, 0, 1, vcc_lo
	global_store_b8 v[2:3], v1, off
.LBB62_966:
	s_mov_b32 s33, 0
.LBB62_967:
	s_delay_alu instid0(SALU_CYCLE_1)
	s_and_b32 vcc_lo, exec_lo, s33
	s_cbranch_vccz .LBB62_1006
; %bb.968:
	s_and_b32 s29, 0xffff, s29
	s_mov_b32 s33, -1
	s_cmp_lt_i32 s29, 5
	s_cbranch_scc1 .LBB62_989
; %bb.969:
	s_cmp_lt_i32 s29, 8
	s_cbranch_scc1 .LBB62_979
; %bb.970:
	;; [unrolled: 3-line block ×3, first 2 shown]
	s_cmp_gt_i32 s29, 9
	s_cbranch_scc0 .LBB62_973
; %bb.972:
	s_wait_xcnt 0x0
	v_cvt_f64_i32_e32 v[4:5], v0
	v_mov_b32_e32 v6, 0
	s_mov_b32 s33, 0
	s_delay_alu instid0(VALU_DEP_1)
	v_mov_b32_e32 v7, v6
	global_store_b128 v[2:3], v[4:7], off
.LBB62_973:
	s_and_not1_b32 vcc_lo, exec_lo, s33
	s_cbranch_vccnz .LBB62_975
; %bb.974:
	s_wait_xcnt 0x0
	v_cvt_f32_i32_e32 v4, v0
	v_mov_b32_e32 v5, 0
	global_store_b64 v[2:3], v[4:5], off
.LBB62_975:
	s_mov_b32 s33, 0
.LBB62_976:
	s_delay_alu instid0(SALU_CYCLE_1)
	s_and_not1_b32 vcc_lo, exec_lo, s33
	s_cbranch_vccnz .LBB62_978
; %bb.977:
	s_wait_xcnt 0x0
	v_cvt_f32_i32_e32 v1, v0
	s_delay_alu instid0(VALU_DEP_1) | instskip(NEXT) | instid1(VALU_DEP_1)
	v_cvt_f16_f32_e32 v1, v1
	v_and_b32_e32 v1, 0xffff, v1
	global_store_b32 v[2:3], v1, off
.LBB62_978:
	s_mov_b32 s33, 0
.LBB62_979:
	s_delay_alu instid0(SALU_CYCLE_1)
	s_and_not1_b32 vcc_lo, exec_lo, s33
	s_cbranch_vccnz .LBB62_988
; %bb.980:
	s_cmp_lt_i32 s29, 6
	s_mov_b32 s33, -1
	s_cbranch_scc1 .LBB62_986
; %bb.981:
	s_cmp_gt_i32 s29, 6
	s_cbranch_scc0 .LBB62_983
; %bb.982:
	s_wait_xcnt 0x0
	v_cvt_f64_i32_e32 v[4:5], v0
	s_mov_b32 s33, 0
	global_store_b64 v[2:3], v[4:5], off
.LBB62_983:
	s_and_not1_b32 vcc_lo, exec_lo, s33
	s_cbranch_vccnz .LBB62_985
; %bb.984:
	s_wait_xcnt 0x0
	v_cvt_f32_i32_e32 v1, v0
	global_store_b32 v[2:3], v1, off
.LBB62_985:
	s_mov_b32 s33, 0
.LBB62_986:
	s_delay_alu instid0(SALU_CYCLE_1)
	s_and_not1_b32 vcc_lo, exec_lo, s33
	s_cbranch_vccnz .LBB62_988
; %bb.987:
	s_wait_xcnt 0x0
	v_cvt_f32_i32_e32 v1, v0
	s_delay_alu instid0(VALU_DEP_1)
	v_cvt_f16_f32_e32 v1, v1
	global_store_b16 v[2:3], v1, off
.LBB62_988:
	s_mov_b32 s33, 0
.LBB62_989:
	s_delay_alu instid0(SALU_CYCLE_1)
	s_and_not1_b32 vcc_lo, exec_lo, s33
	s_cbranch_vccnz .LBB62_1005
; %bb.990:
	s_cmp_lt_i32 s29, 2
	s_mov_b32 s33, -1
	s_cbranch_scc1 .LBB62_1000
; %bb.991:
	s_cmp_lt_i32 s29, 3
	s_cbranch_scc1 .LBB62_997
; %bb.992:
	s_cmp_gt_i32 s29, 3
	s_cbranch_scc0 .LBB62_994
; %bb.993:
	s_wait_xcnt 0x0
	v_ashrrev_i32_e32 v1, 31, v0
	s_mov_b32 s33, 0
	global_store_b64 v[2:3], v[0:1], off
.LBB62_994:
	s_and_not1_b32 vcc_lo, exec_lo, s33
	s_cbranch_vccnz .LBB62_996
; %bb.995:
	global_store_b32 v[2:3], v0, off
.LBB62_996:
	s_mov_b32 s33, 0
.LBB62_997:
	s_delay_alu instid0(SALU_CYCLE_1)
	s_and_not1_b32 vcc_lo, exec_lo, s33
	s_cbranch_vccnz .LBB62_999
; %bb.998:
	global_store_b16 v[2:3], v0, off
.LBB62_999:
	s_mov_b32 s33, 0
.LBB62_1000:
	s_delay_alu instid0(SALU_CYCLE_1)
	s_and_not1_b32 vcc_lo, exec_lo, s33
	s_cbranch_vccnz .LBB62_1005
; %bb.1001:
	s_cmp_gt_i32 s29, 0
	s_mov_b32 s29, -1
	s_cbranch_scc0 .LBB62_1003
; %bb.1002:
	s_mov_b32 s29, 0
	global_store_b8 v[2:3], v0, off
.LBB62_1003:
	s_and_not1_b32 vcc_lo, exec_lo, s29
	s_cbranch_vccnz .LBB62_1005
; %bb.1004:
	global_store_b8 v[2:3], v0, off
.LBB62_1005:
	s_mov_b32 s34, -1
.LBB62_1006:
	s_delay_alu instid0(SALU_CYCLE_1)
	s_and_not1_b32 vcc_lo, exec_lo, s34
	s_cbranch_vccnz .LBB62_1008
; %bb.1007:
	v_add_nc_u32_e32 v8, 0x80, v8
	s_mov_b32 s33, -1
	s_branch .LBB62_1010
.LBB62_1008:
	s_mov_b32 s33, 0
.LBB62_1009:
                                        ; implicit-def: $vgpr8
.LBB62_1010:
	s_and_not1_b32 s29, s21, exec_lo
	s_and_b32 s0, s0, exec_lo
	s_and_not1_b32 s34, s23, exec_lo
	s_and_b32 s35, s28, exec_lo
	s_or_b32 s28, s29, s0
	s_or_b32 s29, s34, s35
	s_and_not1_b32 s0, s24, exec_lo
	s_and_b32 s30, s30, exec_lo
	s_and_not1_b32 s34, s25, exec_lo
	s_and_b32 s27, s27, exec_lo
	s_or_b32 s30, s0, s30
	s_or_b32 s27, s34, s27
	s_or_not1_b32 s34, s33, exec_lo
.LBB62_1011:
	s_wait_xcnt 0x0
	s_or_b32 exec_lo, exec_lo, s31
	s_mov_b32 s33, 0
	s_mov_b32 s35, 0
	;; [unrolled: 1-line block ×3, first 2 shown]
                                        ; implicit-def: $sgpr0
                                        ; implicit-def: $vgpr0_vgpr1
                                        ; implicit-def: $vgpr4
	s_and_saveexec_b32 s31, s34
	s_cbranch_execz .LBB62_1598
; %bb.1012:
	s_mov_b32 s41, -1
	s_mov_b32 s34, s27
	s_mov_b32 s35, s30
	;; [unrolled: 1-line block ×4, first 2 shown]
	s_mov_b32 s33, exec_lo
	v_cmpx_gt_i32_e64 s22, v8
	s_cbranch_execz .LBB62_1520
; %bb.1013:
	v_mul_lo_u32 v0, v8, s13
	s_and_b32 s0, s19, 0xff
	s_delay_alu instid0(SALU_CYCLE_1) | instskip(NEXT) | instid1(VALU_DEP_1)
	s_cmp_lt_i32 s0, 11
	v_ashrrev_i32_e32 v1, 31, v0
	s_delay_alu instid0(VALU_DEP_1)
	v_add_nc_u64_e32 v[0:1], s[6:7], v[0:1]
	s_cbranch_scc1 .LBB62_1020
; %bb.1014:
	s_and_b32 s35, 0xffff, s0
	s_delay_alu instid0(SALU_CYCLE_1)
	s_cmp_gt_i32 s35, 25
	s_cbranch_scc0 .LBB62_1021
; %bb.1015:
	s_cmp_gt_i32 s35, 28
	s_cbranch_scc0 .LBB62_1022
; %bb.1016:
	;; [unrolled: 3-line block ×4, first 2 shown]
	s_cmp_eq_u32 s35, 46
	s_mov_b32 s37, 0
	s_cbranch_scc0 .LBB62_1025
; %bb.1019:
	s_wait_loadcnt 0x0
	global_load_b32 v2, v[0:1], off
	s_mov_b32 s36, -1
	s_mov_b32 s34, 0
	s_wait_loadcnt 0x0
	v_lshlrev_b32_e32 v2, 16, v2
	s_delay_alu instid0(VALU_DEP_1)
	v_cvt_i32_f32_e32 v2, v2
	s_branch .LBB62_1027
.LBB62_1020:
	s_mov_b32 s35, -1
	s_mov_b32 s36, 0
	s_mov_b32 s34, s27
                                        ; implicit-def: $vgpr2
	s_branch .LBB62_1088
.LBB62_1021:
	s_mov_b32 s37, -1
	s_mov_b32 s36, 0
	s_mov_b32 s34, s27
                                        ; implicit-def: $vgpr2
	s_branch .LBB62_1054
.LBB62_1022:
	s_mov_b32 s37, -1
	s_mov_b32 s36, 0
	s_mov_b32 s34, s27
                                        ; implicit-def: $vgpr2
	s_branch .LBB62_1037
.LBB62_1023:
	s_mov_b32 s37, -1
	s_mov_b32 s36, 0
	s_mov_b32 s34, s27
                                        ; implicit-def: $vgpr2
	s_branch .LBB62_1032
.LBB62_1024:
	s_mov_b32 s37, -1
	s_mov_b32 s36, 0
	s_mov_b32 s34, s27
	s_branch .LBB62_1026
.LBB62_1025:
	s_mov_b32 s34, -1
	s_mov_b32 s36, 0
.LBB62_1026:
                                        ; implicit-def: $vgpr2
.LBB62_1027:
	s_and_b32 vcc_lo, exec_lo, s37
	s_cbranch_vccz .LBB62_1031
; %bb.1028:
	s_cmp_eq_u32 s35, 44
	s_cbranch_scc0 .LBB62_1030
; %bb.1029:
	s_wait_loadcnt 0x0
	global_load_u8 v2, v[0:1], off
	s_mov_b32 s34, 0
	s_mov_b32 s36, -1
	s_wait_loadcnt 0x0
	v_lshlrev_b32_e32 v3, 23, v2
	v_cmp_ne_u32_e32 vcc_lo, 0, v2
	s_delay_alu instid0(VALU_DEP_2) | instskip(NEXT) | instid1(VALU_DEP_1)
	v_cvt_i32_f32_e32 v3, v3
	v_cndmask_b32_e32 v2, 0, v3, vcc_lo
	s_branch .LBB62_1031
.LBB62_1030:
	s_mov_b32 s34, -1
                                        ; implicit-def: $vgpr2
.LBB62_1031:
	s_mov_b32 s37, 0
.LBB62_1032:
	s_delay_alu instid0(SALU_CYCLE_1)
	s_and_b32 vcc_lo, exec_lo, s37
	s_cbranch_vccz .LBB62_1036
; %bb.1033:
	s_cmp_eq_u32 s35, 29
	s_cbranch_scc0 .LBB62_1035
; %bb.1034:
	s_wait_loadcnt 0x0
	global_load_b32 v2, v[0:1], off
	s_mov_b32 s36, -1
	s_mov_b32 s34, 0
	s_branch .LBB62_1036
.LBB62_1035:
	s_mov_b32 s34, -1
                                        ; implicit-def: $vgpr2
.LBB62_1036:
	s_mov_b32 s37, 0
.LBB62_1037:
	s_delay_alu instid0(SALU_CYCLE_1)
	s_and_b32 vcc_lo, exec_lo, s37
	s_cbranch_vccz .LBB62_1053
; %bb.1038:
	s_cmp_lt_i32 s35, 27
	s_cbranch_scc1 .LBB62_1041
; %bb.1039:
	s_cmp_gt_i32 s35, 27
	s_cbranch_scc0 .LBB62_1042
; %bb.1040:
	s_wait_loadcnt 0x0
	global_load_b32 v2, v[0:1], off
	s_mov_b32 s36, 0
	s_branch .LBB62_1043
.LBB62_1041:
	s_mov_b32 s36, -1
                                        ; implicit-def: $vgpr2
	s_branch .LBB62_1046
.LBB62_1042:
	s_mov_b32 s36, -1
                                        ; implicit-def: $vgpr2
.LBB62_1043:
	s_delay_alu instid0(SALU_CYCLE_1)
	s_and_not1_b32 vcc_lo, exec_lo, s36
	s_cbranch_vccnz .LBB62_1045
; %bb.1044:
	s_wait_loadcnt 0x0
	global_load_u16 v2, v[0:1], off
.LBB62_1045:
	s_mov_b32 s36, 0
.LBB62_1046:
	s_delay_alu instid0(SALU_CYCLE_1)
	s_and_not1_b32 vcc_lo, exec_lo, s36
	s_cbranch_vccnz .LBB62_1052
; %bb.1047:
	s_wait_loadcnt 0x0
	global_load_u8 v3, v[0:1], off
	s_mov_b32 s37, 0
	s_mov_b32 s36, exec_lo
	s_wait_loadcnt 0x0
	v_cmpx_lt_i16_e32 0x7f, v3
	s_xor_b32 s36, exec_lo, s36
	s_cbranch_execz .LBB62_1064
; %bb.1048:
	v_cmp_ne_u16_e32 vcc_lo, 0x80, v3
	s_and_b32 s37, vcc_lo, exec_lo
	s_and_not1_saveexec_b32 s36, s36
	s_cbranch_execnz .LBB62_1065
.LBB62_1049:
	s_or_b32 exec_lo, exec_lo, s36
	v_mov_b32_e32 v2, 0
	s_and_saveexec_b32 s36, s37
	s_cbranch_execz .LBB62_1051
.LBB62_1050:
	v_and_b32_e32 v2, 0xffff, v3
	s_delay_alu instid0(VALU_DEP_1) | instskip(SKIP_1) | instid1(VALU_DEP_2)
	v_and_b32_e32 v4, 7, v2
	v_bfe_u32 v7, v2, 3, 4
	v_clz_i32_u32_e32 v5, v4
	s_delay_alu instid0(VALU_DEP_2) | instskip(NEXT) | instid1(VALU_DEP_2)
	v_cmp_eq_u32_e32 vcc_lo, 0, v7
	v_min_u32_e32 v5, 32, v5
	s_delay_alu instid0(VALU_DEP_1) | instskip(NEXT) | instid1(VALU_DEP_1)
	v_subrev_nc_u32_e32 v6, 28, v5
	v_dual_lshlrev_b32 v2, v6, v2 :: v_dual_sub_nc_u32 v5, 29, v5
	s_delay_alu instid0(VALU_DEP_1) | instskip(NEXT) | instid1(VALU_DEP_1)
	v_dual_lshlrev_b32 v3, 24, v3 :: v_dual_bitop2_b32 v2, 7, v2 bitop3:0x40
	v_dual_cndmask_b32 v5, v7, v5 :: v_dual_cndmask_b32 v2, v4, v2
	s_delay_alu instid0(VALU_DEP_2) | instskip(NEXT) | instid1(VALU_DEP_2)
	v_and_b32_e32 v3, 0x80000000, v3
	v_lshl_add_u32 v4, v5, 23, 0x3b800000
	s_delay_alu instid0(VALU_DEP_3) | instskip(NEXT) | instid1(VALU_DEP_1)
	v_lshlrev_b32_e32 v2, 20, v2
	v_or3_b32 v2, v3, v4, v2
	s_delay_alu instid0(VALU_DEP_1)
	v_cvt_i32_f32_e32 v2, v2
.LBB62_1051:
	s_or_b32 exec_lo, exec_lo, s36
.LBB62_1052:
	s_mov_b32 s36, -1
.LBB62_1053:
	s_mov_b32 s37, 0
.LBB62_1054:
	s_delay_alu instid0(SALU_CYCLE_1)
	s_and_b32 vcc_lo, exec_lo, s37
	s_cbranch_vccz .LBB62_1087
; %bb.1055:
	s_cmp_gt_i32 s35, 22
	s_cbranch_scc0 .LBB62_1063
; %bb.1056:
	s_cmp_lt_i32 s35, 24
	s_cbranch_scc1 .LBB62_1066
; %bb.1057:
	s_cmp_gt_i32 s35, 24
	s_cbranch_scc0 .LBB62_1067
; %bb.1058:
	s_wait_loadcnt 0x0
	global_load_u8 v3, v[0:1], off
	s_mov_b32 s37, 0
	s_mov_b32 s36, exec_lo
	s_wait_loadcnt 0x0
	v_cmpx_lt_i16_e32 0x7f, v3
	s_xor_b32 s36, exec_lo, s36
	s_cbranch_execz .LBB62_1079
; %bb.1059:
	v_cmp_ne_u16_e32 vcc_lo, 0x80, v3
	s_and_b32 s37, vcc_lo, exec_lo
	s_and_not1_saveexec_b32 s36, s36
	s_cbranch_execnz .LBB62_1080
.LBB62_1060:
	s_or_b32 exec_lo, exec_lo, s36
	v_mov_b32_e32 v2, 0
	s_and_saveexec_b32 s36, s37
	s_cbranch_execz .LBB62_1062
.LBB62_1061:
	v_and_b32_e32 v2, 0xffff, v3
	s_delay_alu instid0(VALU_DEP_1) | instskip(SKIP_1) | instid1(VALU_DEP_2)
	v_and_b32_e32 v4, 3, v2
	v_bfe_u32 v7, v2, 2, 5
	v_clz_i32_u32_e32 v5, v4
	s_delay_alu instid0(VALU_DEP_2) | instskip(NEXT) | instid1(VALU_DEP_2)
	v_cmp_eq_u32_e32 vcc_lo, 0, v7
	v_min_u32_e32 v5, 32, v5
	s_delay_alu instid0(VALU_DEP_1) | instskip(NEXT) | instid1(VALU_DEP_1)
	v_subrev_nc_u32_e32 v6, 29, v5
	v_dual_lshlrev_b32 v2, v6, v2 :: v_dual_sub_nc_u32 v5, 30, v5
	s_delay_alu instid0(VALU_DEP_1) | instskip(NEXT) | instid1(VALU_DEP_1)
	v_dual_lshlrev_b32 v3, 24, v3 :: v_dual_bitop2_b32 v2, 3, v2 bitop3:0x40
	v_dual_cndmask_b32 v5, v7, v5 :: v_dual_cndmask_b32 v2, v4, v2
	s_delay_alu instid0(VALU_DEP_2) | instskip(NEXT) | instid1(VALU_DEP_2)
	v_and_b32_e32 v3, 0x80000000, v3
	v_lshl_add_u32 v4, v5, 23, 0x37800000
	s_delay_alu instid0(VALU_DEP_3) | instskip(NEXT) | instid1(VALU_DEP_1)
	v_lshlrev_b32_e32 v2, 21, v2
	v_or3_b32 v2, v3, v4, v2
	s_delay_alu instid0(VALU_DEP_1)
	v_cvt_i32_f32_e32 v2, v2
.LBB62_1062:
	s_or_b32 exec_lo, exec_lo, s36
	s_mov_b32 s36, 0
	s_branch .LBB62_1068
.LBB62_1063:
	s_mov_b32 s37, -1
                                        ; implicit-def: $vgpr2
	s_branch .LBB62_1074
.LBB62_1064:
	s_and_not1_saveexec_b32 s36, s36
	s_cbranch_execz .LBB62_1049
.LBB62_1065:
	v_cmp_ne_u16_e32 vcc_lo, 0, v3
	s_and_not1_b32 s37, s37, exec_lo
	s_and_b32 s38, vcc_lo, exec_lo
	s_delay_alu instid0(SALU_CYCLE_1)
	s_or_b32 s37, s37, s38
	s_or_b32 exec_lo, exec_lo, s36
	v_mov_b32_e32 v2, 0
	s_and_saveexec_b32 s36, s37
	s_cbranch_execnz .LBB62_1050
	s_branch .LBB62_1051
.LBB62_1066:
	s_mov_b32 s36, -1
                                        ; implicit-def: $vgpr2
	s_branch .LBB62_1071
.LBB62_1067:
	s_mov_b32 s36, -1
                                        ; implicit-def: $vgpr2
.LBB62_1068:
	s_delay_alu instid0(SALU_CYCLE_1)
	s_and_b32 vcc_lo, exec_lo, s36
	s_cbranch_vccz .LBB62_1070
; %bb.1069:
	s_wait_loadcnt 0x0
	global_load_u8 v2, v[0:1], off
	s_wait_loadcnt 0x0
	v_lshlrev_b32_e32 v2, 24, v2
	s_delay_alu instid0(VALU_DEP_1) | instskip(NEXT) | instid1(VALU_DEP_1)
	v_and_b32_e32 v3, 0x7f000000, v2
	v_clz_i32_u32_e32 v4, v3
	v_cmp_ne_u32_e32 vcc_lo, 0, v3
	v_add_nc_u32_e32 v6, 0x1000000, v3
	s_delay_alu instid0(VALU_DEP_3) | instskip(NEXT) | instid1(VALU_DEP_1)
	v_min_u32_e32 v4, 32, v4
	v_sub_nc_u32_e64 v4, v4, 4 clamp
	s_delay_alu instid0(VALU_DEP_1) | instskip(NEXT) | instid1(VALU_DEP_1)
	v_dual_lshlrev_b32 v5, v4, v3 :: v_dual_lshlrev_b32 v4, 23, v4
	v_lshrrev_b32_e32 v5, 4, v5
	s_delay_alu instid0(VALU_DEP_1) | instskip(NEXT) | instid1(VALU_DEP_1)
	v_dual_sub_nc_u32 v4, v5, v4 :: v_dual_ashrrev_i32 v5, 8, v6
	v_add_nc_u32_e32 v4, 0x3c000000, v4
	s_delay_alu instid0(VALU_DEP_1) | instskip(NEXT) | instid1(VALU_DEP_1)
	v_and_or_b32 v4, 0x7f800000, v5, v4
	v_cndmask_b32_e32 v3, 0, v4, vcc_lo
	s_delay_alu instid0(VALU_DEP_1) | instskip(NEXT) | instid1(VALU_DEP_1)
	v_and_or_b32 v2, 0x80000000, v2, v3
	v_cvt_i32_f32_e32 v2, v2
.LBB62_1070:
	s_mov_b32 s36, 0
.LBB62_1071:
	s_delay_alu instid0(SALU_CYCLE_1)
	s_and_not1_b32 vcc_lo, exec_lo, s36
	s_cbranch_vccnz .LBB62_1073
; %bb.1072:
	s_wait_loadcnt 0x0
	global_load_u8 v2, v[0:1], off
	s_wait_loadcnt 0x0
	v_lshlrev_b32_e32 v3, 25, v2
	v_lshlrev_b16 v2, 8, v2
	s_delay_alu instid0(VALU_DEP_1) | instskip(SKIP_1) | instid1(VALU_DEP_2)
	v_and_or_b32 v5, 0x7f00, v2, 0.5
	v_bfe_i32 v2, v2, 0, 16
	v_dual_add_f32 v5, -0.5, v5 :: v_dual_lshrrev_b32 v4, 4, v3
	v_cmp_gt_u32_e32 vcc_lo, 0x8000000, v3
	s_delay_alu instid0(VALU_DEP_2) | instskip(NEXT) | instid1(VALU_DEP_1)
	v_or_b32_e32 v4, 0x70000000, v4
	v_mul_f32_e32 v4, 0x7800000, v4
	s_delay_alu instid0(VALU_DEP_1) | instskip(NEXT) | instid1(VALU_DEP_1)
	v_cndmask_b32_e32 v3, v4, v5, vcc_lo
	v_and_or_b32 v2, 0x80000000, v2, v3
	s_delay_alu instid0(VALU_DEP_1)
	v_cvt_i32_f32_e32 v2, v2
.LBB62_1073:
	s_mov_b32 s37, 0
	s_mov_b32 s36, -1
.LBB62_1074:
	s_and_not1_b32 vcc_lo, exec_lo, s37
	s_cbranch_vccnz .LBB62_1087
; %bb.1075:
	s_cmp_gt_i32 s35, 14
	s_cbranch_scc0 .LBB62_1078
; %bb.1076:
	s_cmp_eq_u32 s35, 15
	s_cbranch_scc0 .LBB62_1081
; %bb.1077:
	s_wait_loadcnt 0x0
	global_load_u16 v2, v[0:1], off
	s_mov_b32 s36, -1
	s_mov_b32 s34, 0
	s_wait_loadcnt 0x0
	v_lshlrev_b32_e32 v2, 16, v2
	s_delay_alu instid0(VALU_DEP_1)
	v_cvt_i32_f32_e32 v2, v2
	s_branch .LBB62_1082
.LBB62_1078:
	s_mov_b32 s37, -1
                                        ; implicit-def: $vgpr2
	s_branch .LBB62_1083
.LBB62_1079:
	s_and_not1_saveexec_b32 s36, s36
	s_cbranch_execz .LBB62_1060
.LBB62_1080:
	v_cmp_ne_u16_e32 vcc_lo, 0, v3
	s_and_not1_b32 s37, s37, exec_lo
	s_and_b32 s38, vcc_lo, exec_lo
	s_delay_alu instid0(SALU_CYCLE_1)
	s_or_b32 s37, s37, s38
	s_or_b32 exec_lo, exec_lo, s36
	v_mov_b32_e32 v2, 0
	s_and_saveexec_b32 s36, s37
	s_cbranch_execnz .LBB62_1061
	s_branch .LBB62_1062
.LBB62_1081:
	s_mov_b32 s34, -1
                                        ; implicit-def: $vgpr2
.LBB62_1082:
	s_mov_b32 s37, 0
.LBB62_1083:
	s_delay_alu instid0(SALU_CYCLE_1)
	s_and_b32 vcc_lo, exec_lo, s37
	s_cbranch_vccz .LBB62_1087
; %bb.1084:
	s_cmp_eq_u32 s35, 11
	s_cbranch_scc0 .LBB62_1086
; %bb.1085:
	s_wait_loadcnt 0x0
	global_load_u8 v2, v[0:1], off
	s_mov_b32 s34, 0
	s_mov_b32 s36, -1
	s_wait_loadcnt 0x0
	v_cmp_ne_u16_e32 vcc_lo, 0, v2
	v_cndmask_b32_e64 v2, 0, 1, vcc_lo
	s_branch .LBB62_1087
.LBB62_1086:
	s_mov_b32 s34, -1
                                        ; implicit-def: $vgpr2
.LBB62_1087:
	s_mov_b32 s35, 0
.LBB62_1088:
	s_delay_alu instid0(SALU_CYCLE_1)
	s_and_b32 vcc_lo, exec_lo, s35
	s_cbranch_vccz .LBB62_1137
; %bb.1089:
	s_and_b32 s0, 0xffff, s0
	s_delay_alu instid0(SALU_CYCLE_1)
	s_cmp_lt_i32 s0, 5
	s_cbranch_scc1 .LBB62_1094
; %bb.1090:
	s_cmp_lt_i32 s0, 8
	s_cbranch_scc1 .LBB62_1095
; %bb.1091:
	;; [unrolled: 3-line block ×3, first 2 shown]
	s_cmp_gt_i32 s0, 9
	s_cbranch_scc0 .LBB62_1097
; %bb.1093:
	s_wait_loadcnt 0x0
	global_load_b64 v[2:3], v[0:1], off
	s_mov_b32 s35, 0
	s_wait_loadcnt 0x0
	v_cvt_i32_f64_e32 v2, v[2:3]
	s_branch .LBB62_1098
.LBB62_1094:
	s_mov_b32 s35, -1
                                        ; implicit-def: $vgpr2
	s_branch .LBB62_1116
.LBB62_1095:
	s_mov_b32 s35, -1
                                        ; implicit-def: $vgpr2
	s_branch .LBB62_1104
.LBB62_1096:
	s_mov_b32 s35, -1
                                        ; implicit-def: $vgpr2
	s_branch .LBB62_1101
.LBB62_1097:
	s_mov_b32 s35, -1
                                        ; implicit-def: $vgpr2
.LBB62_1098:
	s_delay_alu instid0(SALU_CYCLE_1)
	s_and_not1_b32 vcc_lo, exec_lo, s35
	s_cbranch_vccnz .LBB62_1100
; %bb.1099:
	s_wait_loadcnt 0x0
	global_load_b32 v2, v[0:1], off
	s_wait_loadcnt 0x0
	v_cvt_i32_f32_e32 v2, v2
.LBB62_1100:
	s_mov_b32 s35, 0
.LBB62_1101:
	s_delay_alu instid0(SALU_CYCLE_1)
	s_and_not1_b32 vcc_lo, exec_lo, s35
	s_cbranch_vccnz .LBB62_1103
; %bb.1102:
	s_wait_loadcnt 0x0
	global_load_b32 v2, v[0:1], off
	s_wait_loadcnt 0x0
	v_cvt_f32_f16_e32 v2, v2
	s_delay_alu instid0(VALU_DEP_1)
	v_cvt_i32_f32_e32 v2, v2
.LBB62_1103:
	s_mov_b32 s35, 0
.LBB62_1104:
	s_delay_alu instid0(SALU_CYCLE_1)
	s_and_not1_b32 vcc_lo, exec_lo, s35
	s_cbranch_vccnz .LBB62_1115
; %bb.1105:
	s_cmp_lt_i32 s0, 6
	s_cbranch_scc1 .LBB62_1108
; %bb.1106:
	s_cmp_gt_i32 s0, 6
	s_cbranch_scc0 .LBB62_1109
; %bb.1107:
	s_wait_loadcnt 0x0
	global_load_b64 v[2:3], v[0:1], off
	s_mov_b32 s35, 0
	s_wait_loadcnt 0x0
	v_cvt_i32_f64_e32 v2, v[2:3]
	s_branch .LBB62_1110
.LBB62_1108:
	s_mov_b32 s35, -1
                                        ; implicit-def: $vgpr2
	s_branch .LBB62_1113
.LBB62_1109:
	s_mov_b32 s35, -1
                                        ; implicit-def: $vgpr2
.LBB62_1110:
	s_delay_alu instid0(SALU_CYCLE_1)
	s_and_not1_b32 vcc_lo, exec_lo, s35
	s_cbranch_vccnz .LBB62_1112
; %bb.1111:
	s_wait_loadcnt 0x0
	global_load_b32 v2, v[0:1], off
	s_wait_loadcnt 0x0
	v_cvt_i32_f32_e32 v2, v2
.LBB62_1112:
	s_mov_b32 s35, 0
.LBB62_1113:
	s_delay_alu instid0(SALU_CYCLE_1)
	s_and_not1_b32 vcc_lo, exec_lo, s35
	s_cbranch_vccnz .LBB62_1115
; %bb.1114:
	s_wait_loadcnt 0x0
	global_load_u16 v2, v[0:1], off
	s_wait_loadcnt 0x0
	v_cvt_f32_f16_e32 v2, v2
	s_delay_alu instid0(VALU_DEP_1)
	v_cvt_i32_f32_e32 v2, v2
.LBB62_1115:
	s_mov_b32 s35, 0
.LBB62_1116:
	s_delay_alu instid0(SALU_CYCLE_1)
	s_and_not1_b32 vcc_lo, exec_lo, s35
	s_cbranch_vccnz .LBB62_1136
; %bb.1117:
	s_cmp_lt_i32 s0, 2
	s_cbranch_scc1 .LBB62_1121
; %bb.1118:
	s_cmp_lt_i32 s0, 3
	s_cbranch_scc1 .LBB62_1122
; %bb.1119:
	s_cmp_gt_i32 s0, 3
	s_cbranch_scc0 .LBB62_1123
; %bb.1120:
	s_wait_loadcnt 0x0
	global_load_b32 v2, v[0:1], off
	s_mov_b32 s35, 0
	s_branch .LBB62_1124
.LBB62_1121:
	s_mov_b32 s35, -1
                                        ; implicit-def: $vgpr2
	s_branch .LBB62_1130
.LBB62_1122:
	s_mov_b32 s35, -1
                                        ; implicit-def: $vgpr2
	s_branch .LBB62_1127
.LBB62_1123:
	s_mov_b32 s35, -1
                                        ; implicit-def: $vgpr2
.LBB62_1124:
	s_delay_alu instid0(SALU_CYCLE_1)
	s_and_not1_b32 vcc_lo, exec_lo, s35
	s_cbranch_vccnz .LBB62_1126
; %bb.1125:
	s_wait_loadcnt 0x0
	global_load_b32 v2, v[0:1], off
.LBB62_1126:
	s_mov_b32 s35, 0
.LBB62_1127:
	s_delay_alu instid0(SALU_CYCLE_1)
	s_and_not1_b32 vcc_lo, exec_lo, s35
	s_cbranch_vccnz .LBB62_1129
; %bb.1128:
	s_wait_loadcnt 0x0
	global_load_i16 v2, v[0:1], off
.LBB62_1129:
	s_mov_b32 s35, 0
.LBB62_1130:
	s_delay_alu instid0(SALU_CYCLE_1)
	s_and_not1_b32 vcc_lo, exec_lo, s35
	s_cbranch_vccnz .LBB62_1136
; %bb.1131:
	s_cmp_gt_i32 s0, 0
	s_mov_b32 s0, 0
	s_cbranch_scc0 .LBB62_1133
; %bb.1132:
	s_wait_loadcnt 0x0
	global_load_i8 v2, v[0:1], off
	s_branch .LBB62_1134
.LBB62_1133:
	s_mov_b32 s0, -1
                                        ; implicit-def: $vgpr2
.LBB62_1134:
	s_delay_alu instid0(SALU_CYCLE_1)
	s_and_not1_b32 vcc_lo, exec_lo, s0
	s_cbranch_vccnz .LBB62_1136
; %bb.1135:
	s_wait_loadcnt 0x0
	global_load_u8 v2, v[0:1], off
.LBB62_1136:
	s_mov_b32 s36, -1
.LBB62_1137:
	s_delay_alu instid0(SALU_CYCLE_1)
	s_and_not1_b32 vcc_lo, exec_lo, s36
	s_cbranch_vccnz .LBB62_1145
; %bb.1138:
	s_wait_xcnt 0x0
	v_mul_lo_u32 v0, v8, s14
	s_and_b32 s0, s2, 0xff
	s_delay_alu instid0(SALU_CYCLE_1) | instskip(NEXT) | instid1(VALU_DEP_1)
	s_cmp_lt_i32 s0, 11
	v_ashrrev_i32_e32 v1, 31, v0
	s_delay_alu instid0(VALU_DEP_1)
	v_add_nc_u64_e32 v[0:1], s[8:9], v[0:1]
	s_cbranch_scc1 .LBB62_1146
; %bb.1139:
	s_and_b32 s36, 0xffff, s0
	s_delay_alu instid0(SALU_CYCLE_1)
	s_cmp_gt_i32 s36, 25
	s_cbranch_scc0 .LBB62_1147
; %bb.1140:
	s_cmp_gt_i32 s36, 28
	s_cbranch_scc0 .LBB62_1148
; %bb.1141:
	;; [unrolled: 3-line block ×4, first 2 shown]
	s_cmp_eq_u32 s36, 46
	s_mov_b32 s38, 0
	s_cbranch_scc0 .LBB62_1153
; %bb.1144:
	s_wait_loadcnt 0x0
	global_load_b32 v3, v[0:1], off
	s_mov_b32 s37, -1
	s_mov_b32 s35, 0
	s_wait_loadcnt 0x0
	v_lshlrev_b32_e32 v3, 16, v3
	s_delay_alu instid0(VALU_DEP_1)
	v_cvt_i32_f32_e32 v3, v3
	s_branch .LBB62_1155
.LBB62_1145:
	s_mov_b32 s38, 0
	s_mov_b32 s0, s28
	;; [unrolled: 1-line block ×4, first 2 shown]
	s_branch .LBB62_1518
.LBB62_1146:
	s_mov_b32 s36, -1
	s_mov_b32 s37, 0
	s_mov_b32 s35, s30
                                        ; implicit-def: $vgpr3
	s_branch .LBB62_1216
.LBB62_1147:
	s_mov_b32 s38, -1
	s_mov_b32 s37, 0
	s_mov_b32 s35, s30
                                        ; implicit-def: $vgpr3
	s_branch .LBB62_1182
.LBB62_1148:
	s_mov_b32 s38, -1
	s_mov_b32 s37, 0
	s_mov_b32 s35, s30
                                        ; implicit-def: $vgpr3
	s_branch .LBB62_1165
.LBB62_1149:
	s_mov_b32 s38, -1
	s_mov_b32 s37, 0
	s_mov_b32 s35, s30
                                        ; implicit-def: $vgpr3
	s_branch .LBB62_1160
.LBB62_1150:
	s_mov_b32 s38, -1
	s_mov_b32 s37, 0
	s_mov_b32 s35, s30
	s_branch .LBB62_1154
.LBB62_1151:
	s_and_not1_saveexec_b32 s36, s36
	s_cbranch_execz .LBB62_919
.LBB62_1152:
	v_add_f32_e64 v4, 0x46000000, |v1|
	s_and_not1_b32 s35, s35, exec_lo
	s_delay_alu instid0(VALU_DEP_1) | instskip(NEXT) | instid1(VALU_DEP_1)
	v_and_b32_e32 v4, 0xff, v4
	v_cmp_ne_u32_e32 vcc_lo, 0, v4
	s_and_b32 s37, vcc_lo, exec_lo
	s_delay_alu instid0(SALU_CYCLE_1)
	s_or_b32 s35, s35, s37
	s_or_b32 exec_lo, exec_lo, s36
	v_mov_b32_e32 v5, 0
	s_and_saveexec_b32 s36, s35
	s_cbranch_execnz .LBB62_920
	s_branch .LBB62_921
.LBB62_1153:
	s_mov_b32 s35, -1
	s_mov_b32 s37, 0
.LBB62_1154:
                                        ; implicit-def: $vgpr3
.LBB62_1155:
	s_and_b32 vcc_lo, exec_lo, s38
	s_cbranch_vccz .LBB62_1159
; %bb.1156:
	s_cmp_eq_u32 s36, 44
	s_cbranch_scc0 .LBB62_1158
; %bb.1157:
	s_wait_loadcnt 0x0
	global_load_u8 v3, v[0:1], off
	s_mov_b32 s35, 0
	s_mov_b32 s37, -1
	s_wait_loadcnt 0x0
	v_lshlrev_b32_e32 v4, 23, v3
	v_cmp_ne_u32_e32 vcc_lo, 0, v3
	s_delay_alu instid0(VALU_DEP_2) | instskip(NEXT) | instid1(VALU_DEP_1)
	v_cvt_i32_f32_e32 v4, v4
	v_cndmask_b32_e32 v3, 0, v4, vcc_lo
	s_branch .LBB62_1159
.LBB62_1158:
	s_mov_b32 s35, -1
                                        ; implicit-def: $vgpr3
.LBB62_1159:
	s_mov_b32 s38, 0
.LBB62_1160:
	s_delay_alu instid0(SALU_CYCLE_1)
	s_and_b32 vcc_lo, exec_lo, s38
	s_cbranch_vccz .LBB62_1164
; %bb.1161:
	s_cmp_eq_u32 s36, 29
	s_cbranch_scc0 .LBB62_1163
; %bb.1162:
	s_wait_loadcnt 0x0
	global_load_b32 v3, v[0:1], off
	s_mov_b32 s37, -1
	s_mov_b32 s35, 0
	s_branch .LBB62_1164
.LBB62_1163:
	s_mov_b32 s35, -1
                                        ; implicit-def: $vgpr3
.LBB62_1164:
	s_mov_b32 s38, 0
.LBB62_1165:
	s_delay_alu instid0(SALU_CYCLE_1)
	s_and_b32 vcc_lo, exec_lo, s38
	s_cbranch_vccz .LBB62_1181
; %bb.1166:
	s_cmp_lt_i32 s36, 27
	s_cbranch_scc1 .LBB62_1169
; %bb.1167:
	s_cmp_gt_i32 s36, 27
	s_cbranch_scc0 .LBB62_1170
; %bb.1168:
	s_wait_loadcnt 0x0
	global_load_b32 v3, v[0:1], off
	s_mov_b32 s37, 0
	s_branch .LBB62_1171
.LBB62_1169:
	s_mov_b32 s37, -1
                                        ; implicit-def: $vgpr3
	s_branch .LBB62_1174
.LBB62_1170:
	s_mov_b32 s37, -1
                                        ; implicit-def: $vgpr3
.LBB62_1171:
	s_delay_alu instid0(SALU_CYCLE_1)
	s_and_not1_b32 vcc_lo, exec_lo, s37
	s_cbranch_vccnz .LBB62_1173
; %bb.1172:
	s_wait_loadcnt 0x0
	global_load_u16 v3, v[0:1], off
.LBB62_1173:
	s_mov_b32 s37, 0
.LBB62_1174:
	s_delay_alu instid0(SALU_CYCLE_1)
	s_and_not1_b32 vcc_lo, exec_lo, s37
	s_cbranch_vccnz .LBB62_1180
; %bb.1175:
	s_wait_loadcnt 0x0
	global_load_u8 v4, v[0:1], off
	s_mov_b32 s38, 0
	s_mov_b32 s37, exec_lo
	s_wait_loadcnt 0x0
	v_cmpx_lt_i16_e32 0x7f, v4
	s_xor_b32 s37, exec_lo, s37
	s_cbranch_execz .LBB62_1192
; %bb.1176:
	v_cmp_ne_u16_e32 vcc_lo, 0x80, v4
	s_and_b32 s38, vcc_lo, exec_lo
	s_and_not1_saveexec_b32 s37, s37
	s_cbranch_execnz .LBB62_1193
.LBB62_1177:
	s_or_b32 exec_lo, exec_lo, s37
	v_mov_b32_e32 v3, 0
	s_and_saveexec_b32 s37, s38
	s_cbranch_execz .LBB62_1179
.LBB62_1178:
	v_and_b32_e32 v3, 0xffff, v4
	s_delay_alu instid0(VALU_DEP_1) | instskip(SKIP_1) | instid1(VALU_DEP_2)
	v_and_b32_e32 v5, 7, v3
	v_bfe_u32 v9, v3, 3, 4
	v_clz_i32_u32_e32 v6, v5
	s_delay_alu instid0(VALU_DEP_2) | instskip(NEXT) | instid1(VALU_DEP_2)
	v_cmp_eq_u32_e32 vcc_lo, 0, v9
	v_min_u32_e32 v6, 32, v6
	s_delay_alu instid0(VALU_DEP_1) | instskip(NEXT) | instid1(VALU_DEP_1)
	v_subrev_nc_u32_e32 v7, 28, v6
	v_dual_lshlrev_b32 v3, v7, v3 :: v_dual_sub_nc_u32 v6, 29, v6
	s_delay_alu instid0(VALU_DEP_1) | instskip(NEXT) | instid1(VALU_DEP_2)
	v_dual_lshlrev_b32 v4, 24, v4 :: v_dual_bitop2_b32 v3, 7, v3 bitop3:0x40
	v_cndmask_b32_e32 v6, v9, v6, vcc_lo
	s_delay_alu instid0(VALU_DEP_2) | instskip(NEXT) | instid1(VALU_DEP_3)
	v_cndmask_b32_e32 v3, v5, v3, vcc_lo
	v_and_b32_e32 v4, 0x80000000, v4
	s_delay_alu instid0(VALU_DEP_3) | instskip(NEXT) | instid1(VALU_DEP_3)
	v_lshl_add_u32 v5, v6, 23, 0x3b800000
	v_lshlrev_b32_e32 v3, 20, v3
	s_delay_alu instid0(VALU_DEP_1) | instskip(NEXT) | instid1(VALU_DEP_1)
	v_or3_b32 v3, v4, v5, v3
	v_cvt_i32_f32_e32 v3, v3
.LBB62_1179:
	s_or_b32 exec_lo, exec_lo, s37
.LBB62_1180:
	s_mov_b32 s37, -1
.LBB62_1181:
	s_mov_b32 s38, 0
.LBB62_1182:
	s_delay_alu instid0(SALU_CYCLE_1)
	s_and_b32 vcc_lo, exec_lo, s38
	s_cbranch_vccz .LBB62_1215
; %bb.1183:
	s_cmp_gt_i32 s36, 22
	s_cbranch_scc0 .LBB62_1191
; %bb.1184:
	s_cmp_lt_i32 s36, 24
	s_cbranch_scc1 .LBB62_1194
; %bb.1185:
	s_cmp_gt_i32 s36, 24
	s_cbranch_scc0 .LBB62_1195
; %bb.1186:
	s_wait_loadcnt 0x0
	global_load_u8 v4, v[0:1], off
	s_mov_b32 s38, 0
	s_mov_b32 s37, exec_lo
	s_wait_loadcnt 0x0
	v_cmpx_lt_i16_e32 0x7f, v4
	s_xor_b32 s37, exec_lo, s37
	s_cbranch_execz .LBB62_1207
; %bb.1187:
	v_cmp_ne_u16_e32 vcc_lo, 0x80, v4
	s_and_b32 s38, vcc_lo, exec_lo
	s_and_not1_saveexec_b32 s37, s37
	s_cbranch_execnz .LBB62_1208
.LBB62_1188:
	s_or_b32 exec_lo, exec_lo, s37
	v_mov_b32_e32 v3, 0
	s_and_saveexec_b32 s37, s38
	s_cbranch_execz .LBB62_1190
.LBB62_1189:
	v_and_b32_e32 v3, 0xffff, v4
	s_delay_alu instid0(VALU_DEP_1) | instskip(SKIP_1) | instid1(VALU_DEP_2)
	v_and_b32_e32 v5, 3, v3
	v_bfe_u32 v9, v3, 2, 5
	v_clz_i32_u32_e32 v6, v5
	s_delay_alu instid0(VALU_DEP_2) | instskip(NEXT) | instid1(VALU_DEP_2)
	v_cmp_eq_u32_e32 vcc_lo, 0, v9
	v_min_u32_e32 v6, 32, v6
	s_delay_alu instid0(VALU_DEP_1) | instskip(NEXT) | instid1(VALU_DEP_1)
	v_subrev_nc_u32_e32 v7, 29, v6
	v_dual_lshlrev_b32 v3, v7, v3 :: v_dual_sub_nc_u32 v6, 30, v6
	s_delay_alu instid0(VALU_DEP_1) | instskip(NEXT) | instid1(VALU_DEP_2)
	v_dual_lshlrev_b32 v4, 24, v4 :: v_dual_bitop2_b32 v3, 3, v3 bitop3:0x40
	v_cndmask_b32_e32 v6, v9, v6, vcc_lo
	s_delay_alu instid0(VALU_DEP_2) | instskip(NEXT) | instid1(VALU_DEP_3)
	v_cndmask_b32_e32 v3, v5, v3, vcc_lo
	v_and_b32_e32 v4, 0x80000000, v4
	s_delay_alu instid0(VALU_DEP_3) | instskip(NEXT) | instid1(VALU_DEP_3)
	v_lshl_add_u32 v5, v6, 23, 0x37800000
	v_lshlrev_b32_e32 v3, 21, v3
	s_delay_alu instid0(VALU_DEP_1) | instskip(NEXT) | instid1(VALU_DEP_1)
	v_or3_b32 v3, v4, v5, v3
	v_cvt_i32_f32_e32 v3, v3
.LBB62_1190:
	s_or_b32 exec_lo, exec_lo, s37
	s_mov_b32 s37, 0
	s_branch .LBB62_1196
.LBB62_1191:
	s_mov_b32 s38, -1
                                        ; implicit-def: $vgpr3
	s_branch .LBB62_1202
.LBB62_1192:
	s_and_not1_saveexec_b32 s37, s37
	s_cbranch_execz .LBB62_1177
.LBB62_1193:
	v_cmp_ne_u16_e32 vcc_lo, 0, v4
	s_and_not1_b32 s38, s38, exec_lo
	s_and_b32 s39, vcc_lo, exec_lo
	s_delay_alu instid0(SALU_CYCLE_1)
	s_or_b32 s38, s38, s39
	s_or_b32 exec_lo, exec_lo, s37
	v_mov_b32_e32 v3, 0
	s_and_saveexec_b32 s37, s38
	s_cbranch_execnz .LBB62_1178
	s_branch .LBB62_1179
.LBB62_1194:
	s_mov_b32 s37, -1
                                        ; implicit-def: $vgpr3
	s_branch .LBB62_1199
.LBB62_1195:
	s_mov_b32 s37, -1
                                        ; implicit-def: $vgpr3
.LBB62_1196:
	s_delay_alu instid0(SALU_CYCLE_1)
	s_and_b32 vcc_lo, exec_lo, s37
	s_cbranch_vccz .LBB62_1198
; %bb.1197:
	s_wait_loadcnt 0x0
	global_load_u8 v3, v[0:1], off
	s_wait_loadcnt 0x0
	v_lshlrev_b32_e32 v3, 24, v3
	s_delay_alu instid0(VALU_DEP_1) | instskip(NEXT) | instid1(VALU_DEP_1)
	v_and_b32_e32 v4, 0x7f000000, v3
	v_clz_i32_u32_e32 v5, v4
	v_cmp_ne_u32_e32 vcc_lo, 0, v4
	v_add_nc_u32_e32 v7, 0x1000000, v4
	s_delay_alu instid0(VALU_DEP_3) | instskip(NEXT) | instid1(VALU_DEP_1)
	v_min_u32_e32 v5, 32, v5
	v_sub_nc_u32_e64 v5, v5, 4 clamp
	s_delay_alu instid0(VALU_DEP_1) | instskip(NEXT) | instid1(VALU_DEP_1)
	v_dual_lshlrev_b32 v6, v5, v4 :: v_dual_lshlrev_b32 v5, 23, v5
	v_lshrrev_b32_e32 v6, 4, v6
	s_delay_alu instid0(VALU_DEP_1) | instskip(NEXT) | instid1(VALU_DEP_1)
	v_dual_sub_nc_u32 v5, v6, v5 :: v_dual_ashrrev_i32 v6, 8, v7
	v_add_nc_u32_e32 v5, 0x3c000000, v5
	s_delay_alu instid0(VALU_DEP_1) | instskip(NEXT) | instid1(VALU_DEP_1)
	v_and_or_b32 v5, 0x7f800000, v6, v5
	v_cndmask_b32_e32 v4, 0, v5, vcc_lo
	s_delay_alu instid0(VALU_DEP_1) | instskip(NEXT) | instid1(VALU_DEP_1)
	v_and_or_b32 v3, 0x80000000, v3, v4
	v_cvt_i32_f32_e32 v3, v3
.LBB62_1198:
	s_mov_b32 s37, 0
.LBB62_1199:
	s_delay_alu instid0(SALU_CYCLE_1)
	s_and_not1_b32 vcc_lo, exec_lo, s37
	s_cbranch_vccnz .LBB62_1201
; %bb.1200:
	s_wait_loadcnt 0x0
	global_load_u8 v3, v[0:1], off
	s_wait_loadcnt 0x0
	v_lshlrev_b32_e32 v4, 25, v3
	v_lshlrev_b16 v3, 8, v3
	s_delay_alu instid0(VALU_DEP_1) | instskip(SKIP_1) | instid1(VALU_DEP_2)
	v_and_or_b32 v6, 0x7f00, v3, 0.5
	v_bfe_i32 v3, v3, 0, 16
	v_dual_add_f32 v6, -0.5, v6 :: v_dual_lshrrev_b32 v5, 4, v4
	v_cmp_gt_u32_e32 vcc_lo, 0x8000000, v4
	s_delay_alu instid0(VALU_DEP_2) | instskip(NEXT) | instid1(VALU_DEP_1)
	v_or_b32_e32 v5, 0x70000000, v5
	v_mul_f32_e32 v5, 0x7800000, v5
	s_delay_alu instid0(VALU_DEP_1) | instskip(NEXT) | instid1(VALU_DEP_1)
	v_cndmask_b32_e32 v4, v5, v6, vcc_lo
	v_and_or_b32 v3, 0x80000000, v3, v4
	s_delay_alu instid0(VALU_DEP_1)
	v_cvt_i32_f32_e32 v3, v3
.LBB62_1201:
	s_mov_b32 s38, 0
	s_mov_b32 s37, -1
.LBB62_1202:
	s_and_not1_b32 vcc_lo, exec_lo, s38
	s_cbranch_vccnz .LBB62_1215
; %bb.1203:
	s_cmp_gt_i32 s36, 14
	s_cbranch_scc0 .LBB62_1206
; %bb.1204:
	s_cmp_eq_u32 s36, 15
	s_cbranch_scc0 .LBB62_1209
; %bb.1205:
	s_wait_loadcnt 0x0
	global_load_u16 v3, v[0:1], off
	s_mov_b32 s37, -1
	s_mov_b32 s35, 0
	s_wait_loadcnt 0x0
	v_lshlrev_b32_e32 v3, 16, v3
	s_delay_alu instid0(VALU_DEP_1)
	v_cvt_i32_f32_e32 v3, v3
	s_branch .LBB62_1210
.LBB62_1206:
	s_mov_b32 s38, -1
                                        ; implicit-def: $vgpr3
	s_branch .LBB62_1211
.LBB62_1207:
	s_and_not1_saveexec_b32 s37, s37
	s_cbranch_execz .LBB62_1188
.LBB62_1208:
	v_cmp_ne_u16_e32 vcc_lo, 0, v4
	s_and_not1_b32 s38, s38, exec_lo
	s_and_b32 s39, vcc_lo, exec_lo
	s_delay_alu instid0(SALU_CYCLE_1)
	s_or_b32 s38, s38, s39
	s_or_b32 exec_lo, exec_lo, s37
	v_mov_b32_e32 v3, 0
	s_and_saveexec_b32 s37, s38
	s_cbranch_execnz .LBB62_1189
	s_branch .LBB62_1190
.LBB62_1209:
	s_mov_b32 s35, -1
                                        ; implicit-def: $vgpr3
.LBB62_1210:
	s_mov_b32 s38, 0
.LBB62_1211:
	s_delay_alu instid0(SALU_CYCLE_1)
	s_and_b32 vcc_lo, exec_lo, s38
	s_cbranch_vccz .LBB62_1215
; %bb.1212:
	s_cmp_eq_u32 s36, 11
	s_cbranch_scc0 .LBB62_1214
; %bb.1213:
	s_wait_loadcnt 0x0
	global_load_u8 v3, v[0:1], off
	s_mov_b32 s35, 0
	s_mov_b32 s37, -1
	s_wait_loadcnt 0x0
	v_cmp_ne_u16_e32 vcc_lo, 0, v3
	v_cndmask_b32_e64 v3, 0, 1, vcc_lo
	s_branch .LBB62_1215
.LBB62_1214:
	s_mov_b32 s35, -1
                                        ; implicit-def: $vgpr3
.LBB62_1215:
	s_mov_b32 s36, 0
.LBB62_1216:
	s_delay_alu instid0(SALU_CYCLE_1)
	s_and_b32 vcc_lo, exec_lo, s36
	s_cbranch_vccz .LBB62_1265
; %bb.1217:
	s_and_b32 s0, 0xffff, s0
	s_delay_alu instid0(SALU_CYCLE_1)
	s_cmp_lt_i32 s0, 5
	s_cbranch_scc1 .LBB62_1222
; %bb.1218:
	s_cmp_lt_i32 s0, 8
	s_cbranch_scc1 .LBB62_1223
; %bb.1219:
	;; [unrolled: 3-line block ×3, first 2 shown]
	s_cmp_gt_i32 s0, 9
	s_cbranch_scc0 .LBB62_1225
; %bb.1221:
	s_wait_loadcnt 0x0
	global_load_b64 v[4:5], v[0:1], off
	s_mov_b32 s36, 0
	s_wait_loadcnt 0x0
	v_cvt_i32_f64_e32 v3, v[4:5]
	s_branch .LBB62_1226
.LBB62_1222:
	s_mov_b32 s36, -1
                                        ; implicit-def: $vgpr3
	s_branch .LBB62_1244
.LBB62_1223:
	s_mov_b32 s36, -1
                                        ; implicit-def: $vgpr3
	s_branch .LBB62_1232
.LBB62_1224:
	s_mov_b32 s36, -1
                                        ; implicit-def: $vgpr3
	s_branch .LBB62_1229
.LBB62_1225:
	s_mov_b32 s36, -1
                                        ; implicit-def: $vgpr3
.LBB62_1226:
	s_delay_alu instid0(SALU_CYCLE_1)
	s_and_not1_b32 vcc_lo, exec_lo, s36
	s_cbranch_vccnz .LBB62_1228
; %bb.1227:
	s_wait_loadcnt 0x0
	global_load_b32 v3, v[0:1], off
	s_wait_loadcnt 0x0
	v_cvt_i32_f32_e32 v3, v3
.LBB62_1228:
	s_mov_b32 s36, 0
.LBB62_1229:
	s_delay_alu instid0(SALU_CYCLE_1)
	s_and_not1_b32 vcc_lo, exec_lo, s36
	s_cbranch_vccnz .LBB62_1231
; %bb.1230:
	s_wait_loadcnt 0x0
	global_load_b32 v3, v[0:1], off
	s_wait_loadcnt 0x0
	v_cvt_f32_f16_e32 v3, v3
	s_delay_alu instid0(VALU_DEP_1)
	v_cvt_i32_f32_e32 v3, v3
.LBB62_1231:
	s_mov_b32 s36, 0
.LBB62_1232:
	s_delay_alu instid0(SALU_CYCLE_1)
	s_and_not1_b32 vcc_lo, exec_lo, s36
	s_cbranch_vccnz .LBB62_1243
; %bb.1233:
	s_cmp_lt_i32 s0, 6
	s_cbranch_scc1 .LBB62_1236
; %bb.1234:
	s_cmp_gt_i32 s0, 6
	s_cbranch_scc0 .LBB62_1237
; %bb.1235:
	s_wait_loadcnt 0x0
	global_load_b64 v[4:5], v[0:1], off
	s_mov_b32 s36, 0
	s_wait_loadcnt 0x0
	v_cvt_i32_f64_e32 v3, v[4:5]
	s_branch .LBB62_1238
.LBB62_1236:
	s_mov_b32 s36, -1
                                        ; implicit-def: $vgpr3
	s_branch .LBB62_1241
.LBB62_1237:
	s_mov_b32 s36, -1
                                        ; implicit-def: $vgpr3
.LBB62_1238:
	s_delay_alu instid0(SALU_CYCLE_1)
	s_and_not1_b32 vcc_lo, exec_lo, s36
	s_cbranch_vccnz .LBB62_1240
; %bb.1239:
	s_wait_loadcnt 0x0
	global_load_b32 v3, v[0:1], off
	s_wait_loadcnt 0x0
	v_cvt_i32_f32_e32 v3, v3
.LBB62_1240:
	s_mov_b32 s36, 0
.LBB62_1241:
	s_delay_alu instid0(SALU_CYCLE_1)
	s_and_not1_b32 vcc_lo, exec_lo, s36
	s_cbranch_vccnz .LBB62_1243
; %bb.1242:
	s_wait_loadcnt 0x0
	global_load_u16 v3, v[0:1], off
	s_wait_loadcnt 0x0
	v_cvt_f32_f16_e32 v3, v3
	s_delay_alu instid0(VALU_DEP_1)
	v_cvt_i32_f32_e32 v3, v3
.LBB62_1243:
	s_mov_b32 s36, 0
.LBB62_1244:
	s_delay_alu instid0(SALU_CYCLE_1)
	s_and_not1_b32 vcc_lo, exec_lo, s36
	s_cbranch_vccnz .LBB62_1264
; %bb.1245:
	s_cmp_lt_i32 s0, 2
	s_cbranch_scc1 .LBB62_1249
; %bb.1246:
	s_cmp_lt_i32 s0, 3
	s_cbranch_scc1 .LBB62_1250
; %bb.1247:
	s_cmp_gt_i32 s0, 3
	s_cbranch_scc0 .LBB62_1251
; %bb.1248:
	s_wait_loadcnt 0x0
	global_load_b32 v3, v[0:1], off
	s_mov_b32 s36, 0
	s_branch .LBB62_1252
.LBB62_1249:
	s_mov_b32 s36, -1
                                        ; implicit-def: $vgpr3
	s_branch .LBB62_1258
.LBB62_1250:
	s_mov_b32 s36, -1
                                        ; implicit-def: $vgpr3
	s_branch .LBB62_1255
.LBB62_1251:
	s_mov_b32 s36, -1
                                        ; implicit-def: $vgpr3
.LBB62_1252:
	s_delay_alu instid0(SALU_CYCLE_1)
	s_and_not1_b32 vcc_lo, exec_lo, s36
	s_cbranch_vccnz .LBB62_1254
; %bb.1253:
	s_wait_loadcnt 0x0
	global_load_b32 v3, v[0:1], off
.LBB62_1254:
	s_mov_b32 s36, 0
.LBB62_1255:
	s_delay_alu instid0(SALU_CYCLE_1)
	s_and_not1_b32 vcc_lo, exec_lo, s36
	s_cbranch_vccnz .LBB62_1257
; %bb.1256:
	s_wait_loadcnt 0x0
	global_load_i16 v3, v[0:1], off
.LBB62_1257:
	s_mov_b32 s36, 0
.LBB62_1258:
	s_delay_alu instid0(SALU_CYCLE_1)
	s_and_not1_b32 vcc_lo, exec_lo, s36
	s_cbranch_vccnz .LBB62_1264
; %bb.1259:
	s_cmp_gt_i32 s0, 0
	s_mov_b32 s0, 0
	s_cbranch_scc0 .LBB62_1261
; %bb.1260:
	s_wait_loadcnt 0x0
	global_load_i8 v3, v[0:1], off
	s_branch .LBB62_1262
.LBB62_1261:
	s_mov_b32 s0, -1
                                        ; implicit-def: $vgpr3
.LBB62_1262:
	s_delay_alu instid0(SALU_CYCLE_1)
	s_and_not1_b32 vcc_lo, exec_lo, s0
	s_cbranch_vccnz .LBB62_1264
; %bb.1263:
	s_wait_loadcnt 0x0
	global_load_u8 v3, v[0:1], off
.LBB62_1264:
	s_mov_b32 s37, -1
.LBB62_1265:
	s_delay_alu instid0(SALU_CYCLE_1)
	s_and_not1_b32 vcc_lo, exec_lo, s37
	s_cbranch_vccnz .LBB62_1273
; %bb.1266:
	s_wait_xcnt 0x0
	v_mul_lo_u32 v0, v8, s15
	s_and_b32 s0, 0xffff, s1
	s_delay_alu instid0(SALU_CYCLE_1) | instskip(NEXT) | instid1(VALU_DEP_1)
	s_cmp_lt_i32 s0, 11
	v_ashrrev_i32_e32 v1, 31, v0
	s_delay_alu instid0(VALU_DEP_1)
	v_add_nc_u64_e32 v[0:1], s[10:11], v[0:1]
	s_cbranch_scc1 .LBB62_1274
; %bb.1267:
	s_cmp_gt_i32 s0, 25
	s_cbranch_scc0 .LBB62_1275
; %bb.1268:
	s_cmp_gt_i32 s0, 28
	s_cbranch_scc0 .LBB62_1276
	;; [unrolled: 3-line block ×4, first 2 shown]
; %bb.1271:
	s_cmp_eq_u32 s0, 46
	s_mov_b32 s38, 0
	s_cbranch_scc0 .LBB62_1281
; %bb.1272:
	s_wait_loadcnt 0x0
	global_load_b32 v4, v[0:1], off
	s_mov_b32 s37, -1
	s_mov_b32 s36, 0
	s_wait_loadcnt 0x0
	v_lshlrev_b32_e32 v4, 16, v4
	s_delay_alu instid0(VALU_DEP_1)
	v_cvt_i32_f32_e32 v4, v4
	s_branch .LBB62_1283
.LBB62_1273:
	s_mov_b32 s38, 0
	s_mov_b32 s0, s28
	;; [unrolled: 1-line block ×3, first 2 shown]
	s_branch .LBB62_1518
.LBB62_1274:
	s_mov_b32 s38, -1
	s_mov_b32 s37, 0
	s_mov_b32 s36, s29
                                        ; implicit-def: $vgpr4
	s_branch .LBB62_1344
.LBB62_1275:
	s_mov_b32 s38, -1
	s_mov_b32 s37, 0
	s_mov_b32 s36, s29
                                        ; implicit-def: $vgpr4
	s_branch .LBB62_1310
.LBB62_1276:
	s_mov_b32 s38, -1
	s_mov_b32 s37, 0
	s_mov_b32 s36, s29
                                        ; implicit-def: $vgpr4
	s_branch .LBB62_1293
.LBB62_1277:
	s_mov_b32 s38, -1
	s_mov_b32 s37, 0
	s_mov_b32 s36, s29
                                        ; implicit-def: $vgpr4
	s_branch .LBB62_1288
.LBB62_1278:
	s_mov_b32 s38, -1
	s_mov_b32 s37, 0
	s_mov_b32 s36, s29
	s_branch .LBB62_1282
.LBB62_1279:
	s_and_not1_saveexec_b32 s36, s36
	s_cbranch_execz .LBB62_932
.LBB62_1280:
	v_add_f32_e64 v4, 0x42800000, |v1|
	s_and_not1_b32 s35, s35, exec_lo
	s_delay_alu instid0(VALU_DEP_1) | instskip(NEXT) | instid1(VALU_DEP_1)
	v_and_b32_e32 v4, 0xff, v4
	v_cmp_ne_u32_e32 vcc_lo, 0, v4
	s_and_b32 s37, vcc_lo, exec_lo
	s_delay_alu instid0(SALU_CYCLE_1)
	s_or_b32 s35, s35, s37
	s_or_b32 exec_lo, exec_lo, s36
	v_mov_b32_e32 v5, 0
	s_and_saveexec_b32 s36, s35
	s_cbranch_execnz .LBB62_933
	s_branch .LBB62_934
.LBB62_1281:
	s_mov_b32 s36, -1
	s_mov_b32 s37, 0
.LBB62_1282:
                                        ; implicit-def: $vgpr4
.LBB62_1283:
	s_and_b32 vcc_lo, exec_lo, s38
	s_cbranch_vccz .LBB62_1287
; %bb.1284:
	s_cmp_eq_u32 s0, 44
	s_cbranch_scc0 .LBB62_1286
; %bb.1285:
	s_wait_loadcnt 0x0
	global_load_u8 v4, v[0:1], off
	s_mov_b32 s36, 0
	s_mov_b32 s37, -1
	s_wait_loadcnt 0x0
	v_lshlrev_b32_e32 v5, 23, v4
	v_cmp_ne_u32_e32 vcc_lo, 0, v4
	s_delay_alu instid0(VALU_DEP_2) | instskip(NEXT) | instid1(VALU_DEP_1)
	v_cvt_i32_f32_e32 v5, v5
	v_cndmask_b32_e32 v4, 0, v5, vcc_lo
	s_branch .LBB62_1287
.LBB62_1286:
	s_mov_b32 s36, -1
                                        ; implicit-def: $vgpr4
.LBB62_1287:
	s_mov_b32 s38, 0
.LBB62_1288:
	s_delay_alu instid0(SALU_CYCLE_1)
	s_and_b32 vcc_lo, exec_lo, s38
	s_cbranch_vccz .LBB62_1292
; %bb.1289:
	s_cmp_eq_u32 s0, 29
	s_cbranch_scc0 .LBB62_1291
; %bb.1290:
	s_wait_loadcnt 0x0
	global_load_b32 v4, v[0:1], off
	s_mov_b32 s37, -1
	s_mov_b32 s36, 0
	s_branch .LBB62_1292
.LBB62_1291:
	s_mov_b32 s36, -1
                                        ; implicit-def: $vgpr4
.LBB62_1292:
	s_mov_b32 s38, 0
.LBB62_1293:
	s_delay_alu instid0(SALU_CYCLE_1)
	s_and_b32 vcc_lo, exec_lo, s38
	s_cbranch_vccz .LBB62_1309
; %bb.1294:
	s_cmp_lt_i32 s0, 27
	s_cbranch_scc1 .LBB62_1297
; %bb.1295:
	s_cmp_gt_i32 s0, 27
	s_cbranch_scc0 .LBB62_1298
; %bb.1296:
	s_wait_loadcnt 0x0
	global_load_b32 v4, v[0:1], off
	s_mov_b32 s37, 0
	s_branch .LBB62_1299
.LBB62_1297:
	s_mov_b32 s37, -1
                                        ; implicit-def: $vgpr4
	s_branch .LBB62_1302
.LBB62_1298:
	s_mov_b32 s37, -1
                                        ; implicit-def: $vgpr4
.LBB62_1299:
	s_delay_alu instid0(SALU_CYCLE_1)
	s_and_not1_b32 vcc_lo, exec_lo, s37
	s_cbranch_vccnz .LBB62_1301
; %bb.1300:
	s_wait_loadcnt 0x0
	global_load_u16 v4, v[0:1], off
.LBB62_1301:
	s_mov_b32 s37, 0
.LBB62_1302:
	s_delay_alu instid0(SALU_CYCLE_1)
	s_and_not1_b32 vcc_lo, exec_lo, s37
	s_cbranch_vccnz .LBB62_1308
; %bb.1303:
	global_load_u8 v5, v[0:1], off
	s_mov_b32 s38, 0
	s_mov_b32 s37, exec_lo
	s_wait_loadcnt 0x0
	v_cmpx_lt_i16_e32 0x7f, v5
	s_xor_b32 s37, exec_lo, s37
	s_cbranch_execz .LBB62_1320
; %bb.1304:
	v_cmp_ne_u16_e32 vcc_lo, 0x80, v5
	s_and_b32 s38, vcc_lo, exec_lo
	s_and_not1_saveexec_b32 s37, s37
	s_cbranch_execnz .LBB62_1321
.LBB62_1305:
	s_or_b32 exec_lo, exec_lo, s37
	v_mov_b32_e32 v4, 0
	s_and_saveexec_b32 s37, s38
	s_cbranch_execz .LBB62_1307
.LBB62_1306:
	v_and_b32_e32 v4, 0xffff, v5
	s_delay_alu instid0(VALU_DEP_1) | instskip(SKIP_1) | instid1(VALU_DEP_2)
	v_and_b32_e32 v6, 7, v4
	v_bfe_u32 v10, v4, 3, 4
	v_clz_i32_u32_e32 v7, v6
	s_delay_alu instid0(VALU_DEP_2) | instskip(NEXT) | instid1(VALU_DEP_2)
	v_cmp_eq_u32_e32 vcc_lo, 0, v10
	v_min_u32_e32 v7, 32, v7
	s_delay_alu instid0(VALU_DEP_1) | instskip(NEXT) | instid1(VALU_DEP_1)
	v_subrev_nc_u32_e32 v9, 28, v7
	v_dual_lshlrev_b32 v4, v9, v4 :: v_dual_sub_nc_u32 v7, 29, v7
	s_delay_alu instid0(VALU_DEP_1) | instskip(NEXT) | instid1(VALU_DEP_2)
	v_dual_lshlrev_b32 v5, 24, v5 :: v_dual_bitop2_b32 v4, 7, v4 bitop3:0x40
	v_cndmask_b32_e32 v7, v10, v7, vcc_lo
	s_delay_alu instid0(VALU_DEP_2) | instskip(NEXT) | instid1(VALU_DEP_3)
	v_cndmask_b32_e32 v4, v6, v4, vcc_lo
	v_and_b32_e32 v5, 0x80000000, v5
	s_delay_alu instid0(VALU_DEP_3) | instskip(NEXT) | instid1(VALU_DEP_3)
	v_lshl_add_u32 v6, v7, 23, 0x3b800000
	v_lshlrev_b32_e32 v4, 20, v4
	s_delay_alu instid0(VALU_DEP_1) | instskip(NEXT) | instid1(VALU_DEP_1)
	v_or3_b32 v4, v5, v6, v4
	v_cvt_i32_f32_e32 v4, v4
.LBB62_1307:
	s_or_b32 exec_lo, exec_lo, s37
.LBB62_1308:
	s_mov_b32 s37, -1
.LBB62_1309:
	s_mov_b32 s38, 0
.LBB62_1310:
	s_delay_alu instid0(SALU_CYCLE_1)
	s_and_b32 vcc_lo, exec_lo, s38
	s_cbranch_vccz .LBB62_1343
; %bb.1311:
	s_cmp_gt_i32 s0, 22
	s_cbranch_scc0 .LBB62_1319
; %bb.1312:
	s_cmp_lt_i32 s0, 24
	s_cbranch_scc1 .LBB62_1322
; %bb.1313:
	s_cmp_gt_i32 s0, 24
	s_cbranch_scc0 .LBB62_1323
; %bb.1314:
	global_load_u8 v5, v[0:1], off
	s_mov_b32 s38, 0
	s_mov_b32 s37, exec_lo
	s_wait_loadcnt 0x0
	v_cmpx_lt_i16_e32 0x7f, v5
	s_xor_b32 s37, exec_lo, s37
	s_cbranch_execz .LBB62_1335
; %bb.1315:
	v_cmp_ne_u16_e32 vcc_lo, 0x80, v5
	s_and_b32 s38, vcc_lo, exec_lo
	s_and_not1_saveexec_b32 s37, s37
	s_cbranch_execnz .LBB62_1336
.LBB62_1316:
	s_or_b32 exec_lo, exec_lo, s37
	v_mov_b32_e32 v4, 0
	s_and_saveexec_b32 s37, s38
	s_cbranch_execz .LBB62_1318
.LBB62_1317:
	v_and_b32_e32 v4, 0xffff, v5
	s_delay_alu instid0(VALU_DEP_1) | instskip(SKIP_1) | instid1(VALU_DEP_2)
	v_and_b32_e32 v6, 3, v4
	v_bfe_u32 v10, v4, 2, 5
	v_clz_i32_u32_e32 v7, v6
	s_delay_alu instid0(VALU_DEP_2) | instskip(NEXT) | instid1(VALU_DEP_2)
	v_cmp_eq_u32_e32 vcc_lo, 0, v10
	v_min_u32_e32 v7, 32, v7
	s_delay_alu instid0(VALU_DEP_1) | instskip(NEXT) | instid1(VALU_DEP_1)
	v_subrev_nc_u32_e32 v9, 29, v7
	v_dual_lshlrev_b32 v4, v9, v4 :: v_dual_sub_nc_u32 v7, 30, v7
	s_delay_alu instid0(VALU_DEP_1) | instskip(NEXT) | instid1(VALU_DEP_2)
	v_dual_lshlrev_b32 v5, 24, v5 :: v_dual_bitop2_b32 v4, 3, v4 bitop3:0x40
	v_cndmask_b32_e32 v7, v10, v7, vcc_lo
	s_delay_alu instid0(VALU_DEP_2) | instskip(NEXT) | instid1(VALU_DEP_3)
	v_cndmask_b32_e32 v4, v6, v4, vcc_lo
	v_and_b32_e32 v5, 0x80000000, v5
	s_delay_alu instid0(VALU_DEP_3) | instskip(NEXT) | instid1(VALU_DEP_3)
	v_lshl_add_u32 v6, v7, 23, 0x37800000
	v_lshlrev_b32_e32 v4, 21, v4
	s_delay_alu instid0(VALU_DEP_1) | instskip(NEXT) | instid1(VALU_DEP_1)
	v_or3_b32 v4, v5, v6, v4
	v_cvt_i32_f32_e32 v4, v4
.LBB62_1318:
	s_or_b32 exec_lo, exec_lo, s37
	s_mov_b32 s37, 0
	s_branch .LBB62_1324
.LBB62_1319:
	s_mov_b32 s38, -1
                                        ; implicit-def: $vgpr4
	s_branch .LBB62_1330
.LBB62_1320:
	s_and_not1_saveexec_b32 s37, s37
	s_cbranch_execz .LBB62_1305
.LBB62_1321:
	v_cmp_ne_u16_e32 vcc_lo, 0, v5
	s_and_not1_b32 s38, s38, exec_lo
	s_and_b32 s39, vcc_lo, exec_lo
	s_delay_alu instid0(SALU_CYCLE_1)
	s_or_b32 s38, s38, s39
	s_or_b32 exec_lo, exec_lo, s37
	v_mov_b32_e32 v4, 0
	s_and_saveexec_b32 s37, s38
	s_cbranch_execnz .LBB62_1306
	s_branch .LBB62_1307
.LBB62_1322:
	s_mov_b32 s37, -1
                                        ; implicit-def: $vgpr4
	s_branch .LBB62_1327
.LBB62_1323:
	s_mov_b32 s37, -1
                                        ; implicit-def: $vgpr4
.LBB62_1324:
	s_delay_alu instid0(SALU_CYCLE_1)
	s_and_b32 vcc_lo, exec_lo, s37
	s_cbranch_vccz .LBB62_1326
; %bb.1325:
	s_wait_loadcnt 0x0
	global_load_u8 v4, v[0:1], off
	s_wait_loadcnt 0x0
	v_lshlrev_b32_e32 v4, 24, v4
	s_delay_alu instid0(VALU_DEP_1) | instskip(NEXT) | instid1(VALU_DEP_1)
	v_and_b32_e32 v5, 0x7f000000, v4
	v_clz_i32_u32_e32 v6, v5
	v_add_nc_u32_e32 v9, 0x1000000, v5
	v_cmp_ne_u32_e32 vcc_lo, 0, v5
	s_delay_alu instid0(VALU_DEP_3) | instskip(NEXT) | instid1(VALU_DEP_1)
	v_min_u32_e32 v6, 32, v6
	v_sub_nc_u32_e64 v6, v6, 4 clamp
	s_delay_alu instid0(VALU_DEP_1) | instskip(NEXT) | instid1(VALU_DEP_1)
	v_dual_lshlrev_b32 v7, v6, v5 :: v_dual_lshlrev_b32 v6, 23, v6
	v_lshrrev_b32_e32 v7, 4, v7
	s_delay_alu instid0(VALU_DEP_1) | instskip(NEXT) | instid1(VALU_DEP_1)
	v_dual_sub_nc_u32 v6, v7, v6 :: v_dual_ashrrev_i32 v7, 8, v9
	v_add_nc_u32_e32 v6, 0x3c000000, v6
	s_delay_alu instid0(VALU_DEP_1) | instskip(NEXT) | instid1(VALU_DEP_1)
	v_and_or_b32 v6, 0x7f800000, v7, v6
	v_cndmask_b32_e32 v5, 0, v6, vcc_lo
	s_delay_alu instid0(VALU_DEP_1) | instskip(NEXT) | instid1(VALU_DEP_1)
	v_and_or_b32 v4, 0x80000000, v4, v5
	v_cvt_i32_f32_e32 v4, v4
.LBB62_1326:
	s_mov_b32 s37, 0
.LBB62_1327:
	s_delay_alu instid0(SALU_CYCLE_1)
	s_and_not1_b32 vcc_lo, exec_lo, s37
	s_cbranch_vccnz .LBB62_1329
; %bb.1328:
	s_wait_loadcnt 0x0
	global_load_u8 v4, v[0:1], off
	s_wait_loadcnt 0x0
	v_lshlrev_b32_e32 v5, 25, v4
	v_lshlrev_b16 v4, 8, v4
	s_delay_alu instid0(VALU_DEP_1) | instskip(SKIP_1) | instid1(VALU_DEP_2)
	v_and_or_b32 v7, 0x7f00, v4, 0.5
	v_bfe_i32 v4, v4, 0, 16
	v_dual_add_f32 v7, -0.5, v7 :: v_dual_lshrrev_b32 v6, 4, v5
	v_cmp_gt_u32_e32 vcc_lo, 0x8000000, v5
	s_delay_alu instid0(VALU_DEP_2) | instskip(NEXT) | instid1(VALU_DEP_1)
	v_or_b32_e32 v6, 0x70000000, v6
	v_mul_f32_e32 v6, 0x7800000, v6
	s_delay_alu instid0(VALU_DEP_1) | instskip(NEXT) | instid1(VALU_DEP_1)
	v_cndmask_b32_e32 v5, v6, v7, vcc_lo
	v_and_or_b32 v4, 0x80000000, v4, v5
	s_delay_alu instid0(VALU_DEP_1)
	v_cvt_i32_f32_e32 v4, v4
.LBB62_1329:
	s_mov_b32 s38, 0
	s_mov_b32 s37, -1
.LBB62_1330:
	s_and_not1_b32 vcc_lo, exec_lo, s38
	s_cbranch_vccnz .LBB62_1343
; %bb.1331:
	s_cmp_gt_i32 s0, 14
	s_cbranch_scc0 .LBB62_1334
; %bb.1332:
	s_cmp_eq_u32 s0, 15
	s_cbranch_scc0 .LBB62_1337
; %bb.1333:
	s_wait_loadcnt 0x0
	global_load_u16 v4, v[0:1], off
	s_mov_b32 s37, -1
	s_mov_b32 s36, 0
	s_wait_loadcnt 0x0
	v_lshlrev_b32_e32 v4, 16, v4
	s_delay_alu instid0(VALU_DEP_1)
	v_cvt_i32_f32_e32 v4, v4
	s_branch .LBB62_1338
.LBB62_1334:
	s_mov_b32 s38, -1
                                        ; implicit-def: $vgpr4
	s_branch .LBB62_1339
.LBB62_1335:
	s_and_not1_saveexec_b32 s37, s37
	s_cbranch_execz .LBB62_1316
.LBB62_1336:
	v_cmp_ne_u16_e32 vcc_lo, 0, v5
	s_and_not1_b32 s38, s38, exec_lo
	s_and_b32 s39, vcc_lo, exec_lo
	s_delay_alu instid0(SALU_CYCLE_1)
	s_or_b32 s38, s38, s39
	s_or_b32 exec_lo, exec_lo, s37
	v_mov_b32_e32 v4, 0
	s_and_saveexec_b32 s37, s38
	s_cbranch_execnz .LBB62_1317
	s_branch .LBB62_1318
.LBB62_1337:
	s_mov_b32 s36, -1
                                        ; implicit-def: $vgpr4
.LBB62_1338:
	s_mov_b32 s38, 0
.LBB62_1339:
	s_delay_alu instid0(SALU_CYCLE_1)
	s_and_b32 vcc_lo, exec_lo, s38
	s_cbranch_vccz .LBB62_1343
; %bb.1340:
	s_cmp_eq_u32 s0, 11
	s_cbranch_scc0 .LBB62_1342
; %bb.1341:
	s_wait_loadcnt 0x0
	global_load_u8 v4, v[0:1], off
	s_mov_b32 s36, 0
	s_mov_b32 s37, -1
	s_wait_loadcnt 0x0
	v_cmp_ne_u16_e32 vcc_lo, 0, v4
	v_cndmask_b32_e64 v4, 0, 1, vcc_lo
	s_branch .LBB62_1343
.LBB62_1342:
	s_mov_b32 s36, -1
                                        ; implicit-def: $vgpr4
.LBB62_1343:
	s_mov_b32 s38, 0
.LBB62_1344:
	s_delay_alu instid0(SALU_CYCLE_1)
	s_and_b32 vcc_lo, exec_lo, s38
	s_cbranch_vccz .LBB62_1393
; %bb.1345:
	s_cmp_lt_i32 s0, 5
	s_cbranch_scc1 .LBB62_1350
; %bb.1346:
	s_cmp_lt_i32 s0, 8
	s_cbranch_scc1 .LBB62_1351
	;; [unrolled: 3-line block ×3, first 2 shown]
; %bb.1348:
	s_cmp_gt_i32 s0, 9
	s_cbranch_scc0 .LBB62_1353
; %bb.1349:
	s_wait_loadcnt 0x0
	global_load_b64 v[4:5], v[0:1], off
	s_mov_b32 s37, 0
	s_wait_loadcnt 0x0
	v_cvt_i32_f64_e32 v4, v[4:5]
	s_branch .LBB62_1354
.LBB62_1350:
	s_mov_b32 s37, -1
                                        ; implicit-def: $vgpr4
	s_branch .LBB62_1372
.LBB62_1351:
	s_mov_b32 s37, -1
                                        ; implicit-def: $vgpr4
	s_branch .LBB62_1360
.LBB62_1352:
	s_mov_b32 s37, -1
                                        ; implicit-def: $vgpr4
	s_branch .LBB62_1357
.LBB62_1353:
	s_mov_b32 s37, -1
                                        ; implicit-def: $vgpr4
.LBB62_1354:
	s_delay_alu instid0(SALU_CYCLE_1)
	s_and_not1_b32 vcc_lo, exec_lo, s37
	s_cbranch_vccnz .LBB62_1356
; %bb.1355:
	s_wait_loadcnt 0x0
	global_load_b32 v4, v[0:1], off
	s_wait_loadcnt 0x0
	v_cvt_i32_f32_e32 v4, v4
.LBB62_1356:
	s_mov_b32 s37, 0
.LBB62_1357:
	s_delay_alu instid0(SALU_CYCLE_1)
	s_and_not1_b32 vcc_lo, exec_lo, s37
	s_cbranch_vccnz .LBB62_1359
; %bb.1358:
	s_wait_loadcnt 0x0
	global_load_b32 v4, v[0:1], off
	s_wait_loadcnt 0x0
	v_cvt_f32_f16_e32 v4, v4
	s_delay_alu instid0(VALU_DEP_1)
	v_cvt_i32_f32_e32 v4, v4
.LBB62_1359:
	s_mov_b32 s37, 0
.LBB62_1360:
	s_delay_alu instid0(SALU_CYCLE_1)
	s_and_not1_b32 vcc_lo, exec_lo, s37
	s_cbranch_vccnz .LBB62_1371
; %bb.1361:
	s_cmp_lt_i32 s0, 6
	s_cbranch_scc1 .LBB62_1364
; %bb.1362:
	s_cmp_gt_i32 s0, 6
	s_cbranch_scc0 .LBB62_1365
; %bb.1363:
	s_wait_loadcnt 0x0
	global_load_b64 v[4:5], v[0:1], off
	s_mov_b32 s37, 0
	s_wait_loadcnt 0x0
	v_cvt_i32_f64_e32 v4, v[4:5]
	s_branch .LBB62_1366
.LBB62_1364:
	s_mov_b32 s37, -1
                                        ; implicit-def: $vgpr4
	s_branch .LBB62_1369
.LBB62_1365:
	s_mov_b32 s37, -1
                                        ; implicit-def: $vgpr4
.LBB62_1366:
	s_delay_alu instid0(SALU_CYCLE_1)
	s_and_not1_b32 vcc_lo, exec_lo, s37
	s_cbranch_vccnz .LBB62_1368
; %bb.1367:
	s_wait_loadcnt 0x0
	global_load_b32 v4, v[0:1], off
	s_wait_loadcnt 0x0
	v_cvt_i32_f32_e32 v4, v4
.LBB62_1368:
	s_mov_b32 s37, 0
.LBB62_1369:
	s_delay_alu instid0(SALU_CYCLE_1)
	s_and_not1_b32 vcc_lo, exec_lo, s37
	s_cbranch_vccnz .LBB62_1371
; %bb.1370:
	s_wait_loadcnt 0x0
	global_load_u16 v4, v[0:1], off
	s_wait_loadcnt 0x0
	v_cvt_f32_f16_e32 v4, v4
	s_delay_alu instid0(VALU_DEP_1)
	v_cvt_i32_f32_e32 v4, v4
.LBB62_1371:
	s_mov_b32 s37, 0
.LBB62_1372:
	s_delay_alu instid0(SALU_CYCLE_1)
	s_and_not1_b32 vcc_lo, exec_lo, s37
	s_cbranch_vccnz .LBB62_1392
; %bb.1373:
	s_cmp_lt_i32 s0, 2
	s_cbranch_scc1 .LBB62_1377
; %bb.1374:
	s_cmp_lt_i32 s0, 3
	s_cbranch_scc1 .LBB62_1378
; %bb.1375:
	s_cmp_gt_i32 s0, 3
	s_cbranch_scc0 .LBB62_1379
; %bb.1376:
	s_wait_loadcnt 0x0
	global_load_b32 v4, v[0:1], off
	s_mov_b32 s37, 0
	s_branch .LBB62_1380
.LBB62_1377:
	s_mov_b32 s37, -1
                                        ; implicit-def: $vgpr4
	s_branch .LBB62_1386
.LBB62_1378:
	s_mov_b32 s37, -1
                                        ; implicit-def: $vgpr4
	s_branch .LBB62_1383
.LBB62_1379:
	s_mov_b32 s37, -1
                                        ; implicit-def: $vgpr4
.LBB62_1380:
	s_delay_alu instid0(SALU_CYCLE_1)
	s_and_not1_b32 vcc_lo, exec_lo, s37
	s_cbranch_vccnz .LBB62_1382
; %bb.1381:
	s_wait_loadcnt 0x0
	global_load_b32 v4, v[0:1], off
.LBB62_1382:
	s_mov_b32 s37, 0
.LBB62_1383:
	s_delay_alu instid0(SALU_CYCLE_1)
	s_and_not1_b32 vcc_lo, exec_lo, s37
	s_cbranch_vccnz .LBB62_1385
; %bb.1384:
	s_wait_loadcnt 0x0
	global_load_i16 v4, v[0:1], off
.LBB62_1385:
	s_mov_b32 s37, 0
.LBB62_1386:
	s_delay_alu instid0(SALU_CYCLE_1)
	s_and_not1_b32 vcc_lo, exec_lo, s37
	s_cbranch_vccnz .LBB62_1392
; %bb.1387:
	s_cmp_gt_i32 s0, 0
	s_mov_b32 s0, 0
	s_cbranch_scc0 .LBB62_1389
; %bb.1388:
	s_wait_loadcnt 0x0
	global_load_i8 v4, v[0:1], off
	s_branch .LBB62_1390
.LBB62_1389:
	s_mov_b32 s0, -1
                                        ; implicit-def: $vgpr4
.LBB62_1390:
	s_delay_alu instid0(SALU_CYCLE_1)
	s_and_not1_b32 vcc_lo, exec_lo, s0
	s_cbranch_vccnz .LBB62_1392
; %bb.1391:
	s_wait_loadcnt 0x0
	global_load_u8 v4, v[0:1], off
.LBB62_1392:
	s_mov_b32 s37, -1
.LBB62_1393:
	s_delay_alu instid0(SALU_CYCLE_1)
	s_and_not1_b32 vcc_lo, exec_lo, s37
	s_cbranch_vccnz .LBB62_1401
; %bb.1394:
	s_wait_loadcnt 0x0
	v_mul_lo_u32 v0, v2, s16
	v_mul_lo_u32 v2, v8, s12
	;; [unrolled: 1-line block ×3, first 2 shown]
	s_and_b32 s37, s18, 0xff
	s_delay_alu instid0(SALU_CYCLE_1) | instskip(NEXT) | instid1(VALU_DEP_2)
	s_cmp_lt_i32 s37, 11
	v_ashrrev_i32_e32 v3, 31, v2
	s_delay_alu instid0(VALU_DEP_2) | instskip(NEXT) | instid1(VALU_DEP_2)
	v_mad_u32 v0, v1, v4, v0
	v_add_nc_u64_e32 v[2:3], s[4:5], v[2:3]
	s_cbranch_scc1 .LBB62_1402
; %bb.1395:
	s_and_b32 s38, 0xffff, s37
	s_delay_alu instid0(SALU_CYCLE_1)
	s_cmp_gt_i32 s38, 25
	s_cbranch_scc0 .LBB62_1403
; %bb.1396:
	s_cmp_gt_i32 s38, 28
	s_cbranch_scc0 .LBB62_1404
; %bb.1397:
	;; [unrolled: 3-line block ×4, first 2 shown]
	s_mov_b32 s40, 0
	s_mov_b32 s0, -1
	s_cmp_eq_u32 s38, 46
	s_mov_b32 s39, 0
	s_cbranch_scc0 .LBB62_1407
; %bb.1400:
	v_cvt_f32_i32_e32 v1, v0
	s_mov_b32 s39, -1
	s_mov_b32 s0, 0
	s_delay_alu instid0(VALU_DEP_1) | instskip(NEXT) | instid1(VALU_DEP_1)
	v_bfe_u32 v4, v1, 16, 1
	v_add3_u32 v1, v1, v4, 0x7fff
	s_delay_alu instid0(VALU_DEP_1)
	v_lshrrev_b32_e32 v1, 16, v1
	global_store_b32 v[2:3], v1, off
	s_branch .LBB62_1407
.LBB62_1401:
	s_mov_b32 s38, 0
	s_mov_b32 s0, s28
	s_branch .LBB62_1518
.LBB62_1402:
	s_mov_b32 s38, -1
	s_mov_b32 s39, 0
	s_mov_b32 s0, s28
	s_branch .LBB62_1476
.LBB62_1403:
	s_mov_b32 s40, -1
	s_mov_b32 s39, 0
	s_mov_b32 s0, s28
	s_branch .LBB62_1434
.LBB62_1404:
	s_mov_b32 s40, -1
	s_mov_b32 s39, 0
	s_mov_b32 s0, s28
	s_branch .LBB62_1417
.LBB62_1405:
	s_mov_b32 s40, -1
	s_mov_b32 s39, 0
	s_mov_b32 s0, s28
	s_branch .LBB62_1413
.LBB62_1406:
	s_mov_b32 s40, -1
	s_mov_b32 s39, 0
	s_mov_b32 s0, s28
.LBB62_1407:
	s_and_b32 vcc_lo, exec_lo, s40
	s_cbranch_vccz .LBB62_1412
; %bb.1408:
	s_cmp_eq_u32 s38, 44
	s_mov_b32 s0, -1
	s_cbranch_scc0 .LBB62_1412
; %bb.1409:
	s_wait_xcnt 0x0
	v_cvt_f32_i32_e32 v1, v0
	v_mov_b32_e32 v4, 0xff
	s_mov_b32 s39, exec_lo
	s_delay_alu instid0(VALU_DEP_2) | instskip(NEXT) | instid1(VALU_DEP_1)
	v_bfe_u32 v5, v1, 23, 8
	v_cmpx_ne_u32_e32 0xff, v5
	s_cbranch_execz .LBB62_1411
; %bb.1410:
	v_and_b32_e32 v4, 0x400000, v1
	v_and_or_b32 v5, 0x3fffff, v1, v5
	v_lshrrev_b32_e32 v1, 23, v1
	s_delay_alu instid0(VALU_DEP_3) | instskip(NEXT) | instid1(VALU_DEP_3)
	v_cmp_ne_u32_e32 vcc_lo, 0, v4
	v_cmp_ne_u32_e64 s0, 0, v5
	s_and_b32 s0, vcc_lo, s0
	s_delay_alu instid0(SALU_CYCLE_1) | instskip(NEXT) | instid1(VALU_DEP_1)
	v_cndmask_b32_e64 v4, 0, 1, s0
	v_add_nc_u32_e32 v4, v1, v4
.LBB62_1411:
	s_or_b32 exec_lo, exec_lo, s39
	s_mov_b32 s39, -1
	s_mov_b32 s0, 0
	global_store_b8 v[2:3], v4, off
.LBB62_1412:
	s_mov_b32 s40, 0
.LBB62_1413:
	s_delay_alu instid0(SALU_CYCLE_1)
	s_and_b32 vcc_lo, exec_lo, s40
	s_cbranch_vccz .LBB62_1416
; %bb.1414:
	s_cmp_eq_u32 s38, 29
	s_mov_b32 s0, -1
	s_cbranch_scc0 .LBB62_1416
; %bb.1415:
	s_wait_xcnt 0x0
	v_ashrrev_i32_e32 v1, 31, v0
	s_mov_b32 s39, -1
	s_mov_b32 s0, 0
	s_mov_b32 s40, 0
	global_store_b64 v[2:3], v[0:1], off
	s_branch .LBB62_1417
.LBB62_1416:
	s_mov_b32 s40, 0
.LBB62_1417:
	s_delay_alu instid0(SALU_CYCLE_1)
	s_and_b32 vcc_lo, exec_lo, s40
	s_cbranch_vccz .LBB62_1433
; %bb.1418:
	s_cmp_lt_i32 s38, 27
	s_mov_b32 s39, -1
	s_cbranch_scc1 .LBB62_1424
; %bb.1419:
	s_cmp_gt_i32 s38, 27
	s_cbranch_scc0 .LBB62_1421
; %bb.1420:
	s_mov_b32 s39, 0
	global_store_b32 v[2:3], v0, off
.LBB62_1421:
	s_and_not1_b32 vcc_lo, exec_lo, s39
	s_cbranch_vccnz .LBB62_1423
; %bb.1422:
	global_store_b16 v[2:3], v0, off
.LBB62_1423:
	s_mov_b32 s39, 0
.LBB62_1424:
	s_delay_alu instid0(SALU_CYCLE_1)
	s_and_not1_b32 vcc_lo, exec_lo, s39
	s_cbranch_vccnz .LBB62_1432
; %bb.1425:
	s_wait_xcnt 0x0
	v_cvt_f32_i32_e32 v1, v0
	v_mov_b32_e32 v5, 0x80
	s_mov_b32 s39, exec_lo
	s_delay_alu instid0(VALU_DEP_2) | instskip(NEXT) | instid1(VALU_DEP_1)
	v_and_b32_e32 v4, 0x7fffffff, v1
	v_cmpx_gt_u32_e32 0x43800000, v4
	s_cbranch_execz .LBB62_1431
; %bb.1426:
	v_cmp_lt_u32_e32 vcc_lo, 0x3bffffff, v4
	s_mov_b32 s40, 0
                                        ; implicit-def: $vgpr4
	s_and_saveexec_b32 s41, vcc_lo
	s_delay_alu instid0(SALU_CYCLE_1)
	s_xor_b32 s41, exec_lo, s41
	s_cbranch_execz .LBB62_2655
; %bb.1427:
	v_bfe_u32 v4, v1, 20, 1
	s_mov_b32 s40, exec_lo
	s_delay_alu instid0(VALU_DEP_1) | instskip(NEXT) | instid1(VALU_DEP_1)
	v_add3_u32 v4, v1, v4, 0x487ffff
	v_lshrrev_b32_e32 v4, 20, v4
	s_and_not1_saveexec_b32 s41, s41
	s_cbranch_execnz .LBB62_2656
.LBB62_1428:
	s_or_b32 exec_lo, exec_lo, s41
	v_mov_b32_e32 v5, 0
	s_and_saveexec_b32 s41, s40
.LBB62_1429:
	v_lshrrev_b32_e32 v1, 24, v1
	s_delay_alu instid0(VALU_DEP_1)
	v_and_or_b32 v5, 0x80, v1, v4
.LBB62_1430:
	s_or_b32 exec_lo, exec_lo, s41
.LBB62_1431:
	s_delay_alu instid0(SALU_CYCLE_1)
	s_or_b32 exec_lo, exec_lo, s39
	global_store_b8 v[2:3], v5, off
.LBB62_1432:
	s_mov_b32 s39, -1
.LBB62_1433:
	s_mov_b32 s40, 0
.LBB62_1434:
	s_delay_alu instid0(SALU_CYCLE_1)
	s_and_b32 vcc_lo, exec_lo, s40
	s_cbranch_vccz .LBB62_1475
; %bb.1435:
	s_cmp_gt_i32 s38, 22
	s_mov_b32 s40, -1
	s_cbranch_scc0 .LBB62_1467
; %bb.1436:
	s_cmp_lt_i32 s38, 24
	s_mov_b32 s39, -1
	s_cbranch_scc1 .LBB62_1456
; %bb.1437:
	s_cmp_gt_i32 s38, 24
	s_cbranch_scc0 .LBB62_1445
; %bb.1438:
	s_wait_xcnt 0x0
	v_cvt_f32_i32_e32 v1, v0
	v_mov_b32_e32 v5, 0x80
	s_mov_b32 s39, exec_lo
	s_delay_alu instid0(VALU_DEP_2) | instskip(NEXT) | instid1(VALU_DEP_1)
	v_and_b32_e32 v4, 0x7fffffff, v1
	v_cmpx_gt_u32_e32 0x47800000, v4
	s_cbranch_execz .LBB62_1444
; %bb.1439:
	v_cmp_lt_u32_e32 vcc_lo, 0x37ffffff, v4
	s_mov_b32 s40, 0
                                        ; implicit-def: $vgpr4
	s_and_saveexec_b32 s41, vcc_lo
	s_delay_alu instid0(SALU_CYCLE_1)
	s_xor_b32 s41, exec_lo, s41
	s_cbranch_execz .LBB62_2784
; %bb.1440:
	v_bfe_u32 v4, v1, 21, 1
	s_mov_b32 s40, exec_lo
	s_delay_alu instid0(VALU_DEP_1) | instskip(NEXT) | instid1(VALU_DEP_1)
	v_add3_u32 v4, v1, v4, 0x88fffff
	v_lshrrev_b32_e32 v4, 21, v4
	s_and_not1_saveexec_b32 s41, s41
	s_cbranch_execnz .LBB62_2785
.LBB62_1441:
	s_or_b32 exec_lo, exec_lo, s41
	v_mov_b32_e32 v5, 0
	s_and_saveexec_b32 s41, s40
.LBB62_1442:
	v_lshrrev_b32_e32 v1, 24, v1
	s_delay_alu instid0(VALU_DEP_1)
	v_and_or_b32 v5, 0x80, v1, v4
.LBB62_1443:
	s_or_b32 exec_lo, exec_lo, s41
.LBB62_1444:
	s_delay_alu instid0(SALU_CYCLE_1)
	s_or_b32 exec_lo, exec_lo, s39
	s_mov_b32 s39, 0
	global_store_b8 v[2:3], v5, off
.LBB62_1445:
	s_and_b32 vcc_lo, exec_lo, s39
	s_cbranch_vccz .LBB62_1455
; %bb.1446:
	s_wait_xcnt 0x0
	v_cvt_f32_i32_e32 v1, v0
	s_mov_b32 s39, exec_lo
                                        ; implicit-def: $vgpr4
	s_delay_alu instid0(VALU_DEP_1) | instskip(NEXT) | instid1(VALU_DEP_1)
	v_and_b32_e32 v5, 0x7fffffff, v1
	v_cmpx_gt_u32_e32 0x43f00000, v5
	s_xor_b32 s39, exec_lo, s39
	s_cbranch_execz .LBB62_1452
; %bb.1447:
	s_mov_b32 s40, exec_lo
                                        ; implicit-def: $vgpr4
	v_cmpx_lt_u32_e32 0x3c7fffff, v5
	s_xor_b32 s40, exec_lo, s40
; %bb.1448:
	v_bfe_u32 v4, v1, 20, 1
	s_delay_alu instid0(VALU_DEP_1) | instskip(NEXT) | instid1(VALU_DEP_1)
	v_add3_u32 v4, v1, v4, 0x407ffff
	v_and_b32_e32 v5, 0xff00000, v4
	v_lshrrev_b32_e32 v4, 20, v4
	s_delay_alu instid0(VALU_DEP_2) | instskip(NEXT) | instid1(VALU_DEP_2)
	v_cmp_ne_u32_e32 vcc_lo, 0x7f00000, v5
	v_cndmask_b32_e32 v4, 0x7e, v4, vcc_lo
; %bb.1449:
	s_and_not1_saveexec_b32 s40, s40
; %bb.1450:
	v_add_f32_e64 v4, 0x46800000, |v1|
; %bb.1451:
	s_or_b32 exec_lo, exec_lo, s40
                                        ; implicit-def: $vgpr5
.LBB62_1452:
	s_and_not1_saveexec_b32 s39, s39
; %bb.1453:
	v_mov_b32_e32 v4, 0x7f
	v_cmp_lt_u32_e32 vcc_lo, 0x7f800000, v5
	s_delay_alu instid0(VALU_DEP_2)
	v_cndmask_b32_e32 v4, 0x7e, v4, vcc_lo
; %bb.1454:
	s_or_b32 exec_lo, exec_lo, s39
	v_lshrrev_b32_e32 v1, 24, v1
	s_delay_alu instid0(VALU_DEP_1)
	v_and_or_b32 v1, 0x80, v1, v4
	global_store_b8 v[2:3], v1, off
.LBB62_1455:
	s_mov_b32 s39, 0
.LBB62_1456:
	s_delay_alu instid0(SALU_CYCLE_1)
	s_and_not1_b32 vcc_lo, exec_lo, s39
	s_cbranch_vccnz .LBB62_1466
; %bb.1457:
	s_wait_xcnt 0x0
	v_cvt_f32_i32_e32 v1, v0
	s_mov_b32 s39, exec_lo
                                        ; implicit-def: $vgpr4
	s_delay_alu instid0(VALU_DEP_1) | instskip(NEXT) | instid1(VALU_DEP_1)
	v_and_b32_e32 v5, 0x7fffffff, v1
	v_cmpx_gt_u32_e32 0x47800000, v5
	s_xor_b32 s39, exec_lo, s39
	s_cbranch_execz .LBB62_1463
; %bb.1458:
	s_mov_b32 s40, exec_lo
                                        ; implicit-def: $vgpr4
	v_cmpx_lt_u32_e32 0x387fffff, v5
	s_xor_b32 s40, exec_lo, s40
; %bb.1459:
	v_bfe_u32 v4, v1, 21, 1
	s_delay_alu instid0(VALU_DEP_1) | instskip(NEXT) | instid1(VALU_DEP_1)
	v_add3_u32 v4, v1, v4, 0x80fffff
	v_lshrrev_b32_e32 v4, 21, v4
; %bb.1460:
	s_and_not1_saveexec_b32 s40, s40
; %bb.1461:
	v_add_f32_e64 v4, 0x43000000, |v1|
; %bb.1462:
	s_or_b32 exec_lo, exec_lo, s40
                                        ; implicit-def: $vgpr5
.LBB62_1463:
	s_and_not1_saveexec_b32 s39, s39
; %bb.1464:
	v_mov_b32_e32 v4, 0x7f
	v_cmp_lt_u32_e32 vcc_lo, 0x7f800000, v5
	s_delay_alu instid0(VALU_DEP_2)
	v_cndmask_b32_e32 v4, 0x7c, v4, vcc_lo
; %bb.1465:
	s_or_b32 exec_lo, exec_lo, s39
	v_lshrrev_b32_e32 v1, 24, v1
	s_delay_alu instid0(VALU_DEP_1)
	v_and_or_b32 v1, 0x80, v1, v4
	global_store_b8 v[2:3], v1, off
.LBB62_1466:
	s_mov_b32 s40, 0
	s_mov_b32 s39, -1
.LBB62_1467:
	s_and_not1_b32 vcc_lo, exec_lo, s40
	s_cbranch_vccnz .LBB62_1475
; %bb.1468:
	s_cmp_gt_i32 s38, 14
	s_mov_b32 s40, -1
	s_cbranch_scc0 .LBB62_1472
; %bb.1469:
	s_cmp_eq_u32 s38, 15
	s_mov_b32 s0, -1
	s_cbranch_scc0 .LBB62_1471
; %bb.1470:
	s_wait_xcnt 0x0
	v_cvt_f32_i32_e32 v1, v0
	s_mov_b32 s39, -1
	s_mov_b32 s0, 0
	s_delay_alu instid0(VALU_DEP_1) | instskip(NEXT) | instid1(VALU_DEP_1)
	v_bfe_u32 v4, v1, 16, 1
	v_add3_u32 v1, v1, v4, 0x7fff
	global_store_d16_hi_b16 v[2:3], v1, off
.LBB62_1471:
	s_mov_b32 s40, 0
.LBB62_1472:
	s_delay_alu instid0(SALU_CYCLE_1)
	s_and_b32 vcc_lo, exec_lo, s40
	s_cbranch_vccz .LBB62_1475
; %bb.1473:
	s_cmp_eq_u32 s38, 11
	s_mov_b32 s0, -1
	s_cbranch_scc0 .LBB62_1475
; %bb.1474:
	v_cmp_ne_u32_e32 vcc_lo, 0, v0
	s_mov_b32 s0, 0
	s_mov_b32 s39, -1
	s_wait_xcnt 0x0
	v_cndmask_b32_e64 v1, 0, 1, vcc_lo
	global_store_b8 v[2:3], v1, off
.LBB62_1475:
	s_mov_b32 s38, 0
.LBB62_1476:
	s_delay_alu instid0(SALU_CYCLE_1)
	s_and_b32 vcc_lo, exec_lo, s38
	s_cbranch_vccz .LBB62_1515
; %bb.1477:
	s_and_b32 s37, 0xffff, s37
	s_mov_b32 s38, -1
	s_cmp_lt_i32 s37, 5
	s_cbranch_scc1 .LBB62_1498
; %bb.1478:
	s_cmp_lt_i32 s37, 8
	s_cbranch_scc1 .LBB62_1488
; %bb.1479:
	;; [unrolled: 3-line block ×3, first 2 shown]
	s_cmp_gt_i32 s37, 9
	s_cbranch_scc0 .LBB62_1482
; %bb.1481:
	s_wait_xcnt 0x0
	v_cvt_f64_i32_e32 v[4:5], v0
	v_mov_b32_e32 v6, 0
	s_mov_b32 s38, 0
	s_delay_alu instid0(VALU_DEP_1)
	v_mov_b32_e32 v7, v6
	global_store_b128 v[2:3], v[4:7], off
.LBB62_1482:
	s_and_not1_b32 vcc_lo, exec_lo, s38
	s_cbranch_vccnz .LBB62_1484
; %bb.1483:
	s_wait_xcnt 0x0
	v_cvt_f32_i32_e32 v4, v0
	v_mov_b32_e32 v5, 0
	global_store_b64 v[2:3], v[4:5], off
.LBB62_1484:
	s_mov_b32 s38, 0
.LBB62_1485:
	s_delay_alu instid0(SALU_CYCLE_1)
	s_and_not1_b32 vcc_lo, exec_lo, s38
	s_cbranch_vccnz .LBB62_1487
; %bb.1486:
	s_wait_xcnt 0x0
	v_cvt_f32_i32_e32 v1, v0
	s_delay_alu instid0(VALU_DEP_1) | instskip(NEXT) | instid1(VALU_DEP_1)
	v_cvt_f16_f32_e32 v1, v1
	v_and_b32_e32 v1, 0xffff, v1
	global_store_b32 v[2:3], v1, off
.LBB62_1487:
	s_mov_b32 s38, 0
.LBB62_1488:
	s_delay_alu instid0(SALU_CYCLE_1)
	s_and_not1_b32 vcc_lo, exec_lo, s38
	s_cbranch_vccnz .LBB62_1497
; %bb.1489:
	s_cmp_lt_i32 s37, 6
	s_mov_b32 s38, -1
	s_cbranch_scc1 .LBB62_1495
; %bb.1490:
	s_cmp_gt_i32 s37, 6
	s_cbranch_scc0 .LBB62_1492
; %bb.1491:
	s_wait_xcnt 0x0
	v_cvt_f64_i32_e32 v[4:5], v0
	s_mov_b32 s38, 0
	global_store_b64 v[2:3], v[4:5], off
.LBB62_1492:
	s_and_not1_b32 vcc_lo, exec_lo, s38
	s_cbranch_vccnz .LBB62_1494
; %bb.1493:
	s_wait_xcnt 0x0
	v_cvt_f32_i32_e32 v1, v0
	global_store_b32 v[2:3], v1, off
.LBB62_1494:
	s_mov_b32 s38, 0
.LBB62_1495:
	s_delay_alu instid0(SALU_CYCLE_1)
	s_and_not1_b32 vcc_lo, exec_lo, s38
	s_cbranch_vccnz .LBB62_1497
; %bb.1496:
	s_wait_xcnt 0x0
	v_cvt_f32_i32_e32 v1, v0
	s_delay_alu instid0(VALU_DEP_1)
	v_cvt_f16_f32_e32 v1, v1
	global_store_b16 v[2:3], v1, off
.LBB62_1497:
	s_mov_b32 s38, 0
.LBB62_1498:
	s_delay_alu instid0(SALU_CYCLE_1)
	s_and_not1_b32 vcc_lo, exec_lo, s38
	s_cbranch_vccnz .LBB62_1514
; %bb.1499:
	s_cmp_lt_i32 s37, 2
	s_mov_b32 s38, -1
	s_cbranch_scc1 .LBB62_1509
; %bb.1500:
	s_cmp_lt_i32 s37, 3
	s_cbranch_scc1 .LBB62_1506
; %bb.1501:
	s_cmp_gt_i32 s37, 3
	s_cbranch_scc0 .LBB62_1503
; %bb.1502:
	s_wait_xcnt 0x0
	v_ashrrev_i32_e32 v1, 31, v0
	s_mov_b32 s38, 0
	global_store_b64 v[2:3], v[0:1], off
.LBB62_1503:
	s_and_not1_b32 vcc_lo, exec_lo, s38
	s_cbranch_vccnz .LBB62_1505
; %bb.1504:
	global_store_b32 v[2:3], v0, off
.LBB62_1505:
	s_mov_b32 s38, 0
.LBB62_1506:
	s_delay_alu instid0(SALU_CYCLE_1)
	s_and_not1_b32 vcc_lo, exec_lo, s38
	s_cbranch_vccnz .LBB62_1508
; %bb.1507:
	global_store_b16 v[2:3], v0, off
.LBB62_1508:
	s_mov_b32 s38, 0
.LBB62_1509:
	s_delay_alu instid0(SALU_CYCLE_1)
	s_and_not1_b32 vcc_lo, exec_lo, s38
	s_cbranch_vccnz .LBB62_1514
; %bb.1510:
	s_cmp_gt_i32 s37, 0
	s_mov_b32 s37, -1
	s_cbranch_scc0 .LBB62_1512
; %bb.1511:
	s_mov_b32 s37, 0
	global_store_b8 v[2:3], v0, off
.LBB62_1512:
	s_and_not1_b32 vcc_lo, exec_lo, s37
	s_cbranch_vccnz .LBB62_1514
; %bb.1513:
	global_store_b8 v[2:3], v0, off
.LBB62_1514:
	s_mov_b32 s39, -1
.LBB62_1515:
	s_delay_alu instid0(SALU_CYCLE_1)
	s_and_not1_b32 vcc_lo, exec_lo, s39
	s_cbranch_vccnz .LBB62_1517
; %bb.1516:
	v_add_nc_u32_e32 v8, 0x80, v8
	s_mov_b32 s38, -1
	s_branch .LBB62_1519
.LBB62_1517:
	s_mov_b32 s38, 0
.LBB62_1518:
                                        ; implicit-def: $vgpr8
.LBB62_1519:
	s_and_not1_b32 s37, s28, exec_lo
	s_and_b32 s0, s0, exec_lo
	s_and_not1_b32 s39, s29, exec_lo
	s_and_b32 s36, s36, exec_lo
	s_or_b32 s37, s37, s0
	s_or_b32 s36, s39, s36
	s_and_not1_b32 s0, s30, exec_lo
	s_and_b32 s35, s35, exec_lo
	s_and_not1_b32 s39, s27, exec_lo
	s_and_b32 s34, s34, exec_lo
	s_or_b32 s35, s0, s35
	s_or_b32 s34, s39, s34
	s_or_not1_b32 s41, s38, exec_lo
.LBB62_1520:
	s_wait_xcnt 0x0
	s_or_b32 exec_lo, exec_lo, s33
	s_mov_b32 s38, 0
	s_mov_b32 s39, 0
	;; [unrolled: 1-line block ×3, first 2 shown]
                                        ; implicit-def: $sgpr0
                                        ; implicit-def: $vgpr0_vgpr1
                                        ; implicit-def: $vgpr4
	s_and_saveexec_b32 s33, s41
	s_cbranch_execz .LBB62_1597
; %bb.1521:
	v_cmp_gt_i32_e32 vcc_lo, s22, v8
	s_mov_b32 s41, s34
	s_mov_b32 s42, 0
                                        ; implicit-def: $sgpr0
                                        ; implicit-def: $vgpr0_vgpr1
                                        ; implicit-def: $vgpr4
	s_and_saveexec_b32 s22, vcc_lo
	s_cbranch_execz .LBB62_1596
; %bb.1522:
	v_mul_lo_u32 v0, v8, s13
	s_and_b32 s0, s19, 0xff
	s_delay_alu instid0(SALU_CYCLE_1) | instskip(NEXT) | instid1(VALU_DEP_1)
	s_cmp_lt_i32 s0, 11
	v_ashrrev_i32_e32 v1, 31, v0
	s_delay_alu instid0(VALU_DEP_1)
	v_add_nc_u64_e32 v[0:1], s[6:7], v[0:1]
	s_cbranch_scc1 .LBB62_1529
; %bb.1523:
	s_and_b32 s39, 0xffff, s0
	s_delay_alu instid0(SALU_CYCLE_1)
	s_cmp_gt_i32 s39, 25
	s_cbranch_scc0 .LBB62_1530
; %bb.1524:
	s_cmp_gt_i32 s39, 28
	s_cbranch_scc0 .LBB62_1531
; %bb.1525:
	;; [unrolled: 3-line block ×4, first 2 shown]
	s_cmp_eq_u32 s39, 46
	s_cbranch_scc0 .LBB62_1534
; %bb.1528:
	s_wait_loadcnt 0x0
	global_load_b32 v2, v[0:1], off
	s_mov_b32 s41, -1
	s_wait_loadcnt 0x0
	v_lshlrev_b32_e32 v2, 16, v2
	s_delay_alu instid0(VALU_DEP_1)
	v_cvt_i32_f32_e32 v4, v2
	s_branch .LBB62_1536
.LBB62_1529:
	s_mov_b32 s39, -1
	s_mov_b32 s41, 0
	s_mov_b32 s38, s34
                                        ; implicit-def: $vgpr4
	s_branch .LBB62_1595
.LBB62_1530:
	s_mov_b32 s42, -1
	s_mov_b32 s41, 0
	s_mov_b32 s38, s34
                                        ; implicit-def: $vgpr4
	s_branch .LBB62_1563
.LBB62_1531:
	s_mov_b32 s42, -1
	s_mov_b32 s41, 0
	s_mov_b32 s38, s34
                                        ; implicit-def: $vgpr4
	s_branch .LBB62_1546
.LBB62_1532:
	s_mov_b32 s42, -1
	s_mov_b32 s41, 0
	s_mov_b32 s38, s34
                                        ; implicit-def: $vgpr4
	s_branch .LBB62_1541
.LBB62_1533:
	s_mov_b32 s42, -1
	s_mov_b32 s41, 0
	s_mov_b32 s38, s34
	s_branch .LBB62_1535
.LBB62_1534:
	s_mov_b32 s38, -1
	s_mov_b32 s41, 0
.LBB62_1535:
                                        ; implicit-def: $vgpr4
.LBB62_1536:
	s_and_b32 vcc_lo, exec_lo, s42
	s_cbranch_vccz .LBB62_1540
; %bb.1537:
	s_cmp_eq_u32 s39, 44
	s_cbranch_scc0 .LBB62_1539
; %bb.1538:
	s_wait_loadcnt 0x0
	global_load_u8 v2, v[0:1], off
	s_mov_b32 s38, 0
	s_mov_b32 s41, -1
	s_wait_loadcnt 0x0
	v_lshlrev_b32_e32 v3, 23, v2
	v_cmp_ne_u32_e32 vcc_lo, 0, v2
	s_delay_alu instid0(VALU_DEP_2) | instskip(NEXT) | instid1(VALU_DEP_1)
	v_cvt_i32_f32_e32 v3, v3
	v_cndmask_b32_e32 v4, 0, v3, vcc_lo
	s_branch .LBB62_1540
.LBB62_1539:
	s_mov_b32 s38, -1
                                        ; implicit-def: $vgpr4
.LBB62_1540:
	s_mov_b32 s42, 0
.LBB62_1541:
	s_delay_alu instid0(SALU_CYCLE_1)
	s_and_b32 vcc_lo, exec_lo, s42
	s_cbranch_vccz .LBB62_1545
; %bb.1542:
	s_cmp_eq_u32 s39, 29
	s_cbranch_scc0 .LBB62_1544
; %bb.1543:
	s_wait_loadcnt 0x0
	global_load_b32 v4, v[0:1], off
	s_mov_b32 s38, 0
	s_mov_b32 s41, -1
	s_branch .LBB62_1545
.LBB62_1544:
	s_mov_b32 s38, -1
                                        ; implicit-def: $vgpr4
.LBB62_1545:
	s_mov_b32 s42, 0
.LBB62_1546:
	s_delay_alu instid0(SALU_CYCLE_1)
	s_and_b32 vcc_lo, exec_lo, s42
	s_cbranch_vccz .LBB62_1562
; %bb.1547:
	s_cmp_lt_i32 s39, 27
	s_cbranch_scc1 .LBB62_1550
; %bb.1548:
	s_cmp_gt_i32 s39, 27
	s_cbranch_scc0 .LBB62_1551
; %bb.1549:
	s_wait_loadcnt 0x0
	global_load_b32 v4, v[0:1], off
	s_mov_b32 s41, 0
	s_branch .LBB62_1552
.LBB62_1550:
	s_mov_b32 s41, -1
                                        ; implicit-def: $vgpr4
	s_branch .LBB62_1555
.LBB62_1551:
	s_mov_b32 s41, -1
                                        ; implicit-def: $vgpr4
.LBB62_1552:
	s_delay_alu instid0(SALU_CYCLE_1)
	s_and_not1_b32 vcc_lo, exec_lo, s41
	s_cbranch_vccnz .LBB62_1554
; %bb.1553:
	s_wait_loadcnt 0x0
	global_load_u16 v4, v[0:1], off
.LBB62_1554:
	s_mov_b32 s41, 0
.LBB62_1555:
	s_delay_alu instid0(SALU_CYCLE_1)
	s_and_not1_b32 vcc_lo, exec_lo, s41
	s_cbranch_vccnz .LBB62_1561
; %bb.1556:
	s_wait_loadcnt 0x0
	global_load_u8 v2, v[0:1], off
	s_mov_b32 s42, 0
	s_mov_b32 s41, exec_lo
	s_wait_loadcnt 0x0
	v_cmpx_lt_i16_e32 0x7f, v2
	s_xor_b32 s41, exec_lo, s41
	s_cbranch_execz .LBB62_1573
; %bb.1557:
	v_cmp_ne_u16_e32 vcc_lo, 0x80, v2
	s_and_b32 s42, vcc_lo, exec_lo
	s_and_not1_saveexec_b32 s41, s41
	s_cbranch_execnz .LBB62_1574
.LBB62_1558:
	s_or_b32 exec_lo, exec_lo, s41
	v_mov_b32_e32 v4, 0
	s_and_saveexec_b32 s41, s42
	s_cbranch_execz .LBB62_1560
.LBB62_1559:
	v_and_b32_e32 v3, 0xffff, v2
	s_delay_alu instid0(VALU_DEP_1) | instskip(SKIP_1) | instid1(VALU_DEP_2)
	v_and_b32_e32 v4, 7, v3
	v_bfe_u32 v7, v3, 3, 4
	v_clz_i32_u32_e32 v5, v4
	s_delay_alu instid0(VALU_DEP_2) | instskip(NEXT) | instid1(VALU_DEP_2)
	v_cmp_eq_u32_e32 vcc_lo, 0, v7
	v_min_u32_e32 v5, 32, v5
	s_delay_alu instid0(VALU_DEP_1) | instskip(NEXT) | instid1(VALU_DEP_1)
	v_subrev_nc_u32_e32 v6, 28, v5
	v_dual_lshlrev_b32 v3, v6, v3 :: v_dual_sub_nc_u32 v5, 29, v5
	s_delay_alu instid0(VALU_DEP_1) | instskip(NEXT) | instid1(VALU_DEP_1)
	v_dual_lshlrev_b32 v2, 24, v2 :: v_dual_bitop2_b32 v3, 7, v3 bitop3:0x40
	v_dual_cndmask_b32 v5, v7, v5, vcc_lo :: v_dual_cndmask_b32 v3, v4, v3, vcc_lo
	s_delay_alu instid0(VALU_DEP_2) | instskip(NEXT) | instid1(VALU_DEP_2)
	v_and_b32_e32 v2, 0x80000000, v2
	v_lshl_add_u32 v4, v5, 23, 0x3b800000
	s_delay_alu instid0(VALU_DEP_3) | instskip(NEXT) | instid1(VALU_DEP_1)
	v_lshlrev_b32_e32 v3, 20, v3
	v_or3_b32 v2, v2, v4, v3
	s_delay_alu instid0(VALU_DEP_1)
	v_cvt_i32_f32_e32 v4, v2
.LBB62_1560:
	s_or_b32 exec_lo, exec_lo, s41
.LBB62_1561:
	s_mov_b32 s41, -1
.LBB62_1562:
	s_mov_b32 s42, 0
.LBB62_1563:
	s_delay_alu instid0(SALU_CYCLE_1)
	s_and_b32 vcc_lo, exec_lo, s42
	s_cbranch_vccz .LBB62_1594
; %bb.1564:
	s_cmp_gt_i32 s39, 22
	s_cbranch_scc0 .LBB62_1572
; %bb.1565:
	s_cmp_lt_i32 s39, 24
	s_cbranch_scc1 .LBB62_1575
; %bb.1566:
	s_cmp_gt_i32 s39, 24
	s_cbranch_scc0 .LBB62_1576
; %bb.1567:
	s_wait_loadcnt 0x0
	global_load_u8 v2, v[0:1], off
	s_mov_b32 s41, 0
	s_mov_b32 s40, exec_lo
	s_wait_loadcnt 0x0
	v_cmpx_lt_i16_e32 0x7f, v2
	s_xor_b32 s40, exec_lo, s40
	s_cbranch_execz .LBB62_1588
; %bb.1568:
	v_cmp_ne_u16_e32 vcc_lo, 0x80, v2
	s_and_b32 s41, vcc_lo, exec_lo
	s_and_not1_saveexec_b32 s40, s40
	s_cbranch_execnz .LBB62_1589
.LBB62_1569:
	s_or_b32 exec_lo, exec_lo, s40
	v_mov_b32_e32 v4, 0
	s_and_saveexec_b32 s40, s41
	s_cbranch_execz .LBB62_1571
.LBB62_1570:
	v_and_b32_e32 v3, 0xffff, v2
	s_delay_alu instid0(VALU_DEP_1) | instskip(SKIP_1) | instid1(VALU_DEP_2)
	v_and_b32_e32 v4, 3, v3
	v_bfe_u32 v7, v3, 2, 5
	v_clz_i32_u32_e32 v5, v4
	s_delay_alu instid0(VALU_DEP_2) | instskip(NEXT) | instid1(VALU_DEP_2)
	v_cmp_eq_u32_e32 vcc_lo, 0, v7
	v_min_u32_e32 v5, 32, v5
	s_delay_alu instid0(VALU_DEP_1) | instskip(NEXT) | instid1(VALU_DEP_1)
	v_subrev_nc_u32_e32 v6, 29, v5
	v_dual_lshlrev_b32 v3, v6, v3 :: v_dual_sub_nc_u32 v5, 30, v5
	s_delay_alu instid0(VALU_DEP_1) | instskip(NEXT) | instid1(VALU_DEP_1)
	v_dual_lshlrev_b32 v2, 24, v2 :: v_dual_bitop2_b32 v3, 3, v3 bitop3:0x40
	v_dual_cndmask_b32 v5, v7, v5, vcc_lo :: v_dual_cndmask_b32 v3, v4, v3, vcc_lo
	s_delay_alu instid0(VALU_DEP_2) | instskip(NEXT) | instid1(VALU_DEP_2)
	v_and_b32_e32 v2, 0x80000000, v2
	v_lshl_add_u32 v4, v5, 23, 0x37800000
	s_delay_alu instid0(VALU_DEP_3) | instskip(NEXT) | instid1(VALU_DEP_1)
	v_lshlrev_b32_e32 v3, 21, v3
	v_or3_b32 v2, v2, v4, v3
	s_delay_alu instid0(VALU_DEP_1)
	v_cvt_i32_f32_e32 v4, v2
.LBB62_1571:
	s_or_b32 exec_lo, exec_lo, s40
	s_mov_b32 s40, 0
	s_branch .LBB62_1577
.LBB62_1572:
	s_mov_b32 s40, -1
                                        ; implicit-def: $vgpr4
	s_branch .LBB62_1583
.LBB62_1573:
	s_and_not1_saveexec_b32 s41, s41
	s_cbranch_execz .LBB62_1558
.LBB62_1574:
	v_cmp_ne_u16_e32 vcc_lo, 0, v2
	s_and_not1_b32 s42, s42, exec_lo
	s_and_b32 s43, vcc_lo, exec_lo
	s_delay_alu instid0(SALU_CYCLE_1)
	s_or_b32 s42, s42, s43
	s_or_b32 exec_lo, exec_lo, s41
	v_mov_b32_e32 v4, 0
	s_and_saveexec_b32 s41, s42
	s_cbranch_execnz .LBB62_1559
	s_branch .LBB62_1560
.LBB62_1575:
	s_mov_b32 s40, -1
                                        ; implicit-def: $vgpr4
	s_branch .LBB62_1580
.LBB62_1576:
	s_mov_b32 s40, -1
                                        ; implicit-def: $vgpr4
.LBB62_1577:
	s_delay_alu instid0(SALU_CYCLE_1)
	s_and_b32 vcc_lo, exec_lo, s40
	s_cbranch_vccz .LBB62_1579
; %bb.1578:
	s_wait_loadcnt 0x0
	global_load_u8 v2, v[0:1], off
	s_wait_loadcnt 0x0
	v_lshlrev_b32_e32 v2, 24, v2
	s_delay_alu instid0(VALU_DEP_1) | instskip(NEXT) | instid1(VALU_DEP_1)
	v_and_b32_e32 v3, 0x7f000000, v2
	v_clz_i32_u32_e32 v4, v3
	v_cmp_ne_u32_e32 vcc_lo, 0, v3
	v_add_nc_u32_e32 v6, 0x1000000, v3
	s_delay_alu instid0(VALU_DEP_3) | instskip(NEXT) | instid1(VALU_DEP_1)
	v_min_u32_e32 v4, 32, v4
	v_sub_nc_u32_e64 v4, v4, 4 clamp
	s_delay_alu instid0(VALU_DEP_1) | instskip(NEXT) | instid1(VALU_DEP_1)
	v_dual_lshlrev_b32 v5, v4, v3 :: v_dual_lshlrev_b32 v4, 23, v4
	v_lshrrev_b32_e32 v5, 4, v5
	s_delay_alu instid0(VALU_DEP_1) | instskip(NEXT) | instid1(VALU_DEP_1)
	v_dual_sub_nc_u32 v4, v5, v4 :: v_dual_ashrrev_i32 v5, 8, v6
	v_add_nc_u32_e32 v4, 0x3c000000, v4
	s_delay_alu instid0(VALU_DEP_1) | instskip(NEXT) | instid1(VALU_DEP_1)
	v_and_or_b32 v4, 0x7f800000, v5, v4
	v_cndmask_b32_e32 v3, 0, v4, vcc_lo
	s_delay_alu instid0(VALU_DEP_1) | instskip(NEXT) | instid1(VALU_DEP_1)
	v_and_or_b32 v2, 0x80000000, v2, v3
	v_cvt_i32_f32_e32 v4, v2
.LBB62_1579:
	s_mov_b32 s40, 0
.LBB62_1580:
	s_delay_alu instid0(SALU_CYCLE_1)
	s_and_not1_b32 vcc_lo, exec_lo, s40
	s_cbranch_vccnz .LBB62_1582
; %bb.1581:
	s_wait_loadcnt 0x0
	global_load_u8 v2, v[0:1], off
	s_wait_loadcnt 0x0
	v_lshlrev_b32_e32 v3, 25, v2
	v_lshlrev_b16 v2, 8, v2
	s_delay_alu instid0(VALU_DEP_1) | instskip(SKIP_1) | instid1(VALU_DEP_2)
	v_and_or_b32 v5, 0x7f00, v2, 0.5
	v_bfe_i32 v2, v2, 0, 16
	v_dual_add_f32 v5, -0.5, v5 :: v_dual_lshrrev_b32 v4, 4, v3
	v_cmp_gt_u32_e32 vcc_lo, 0x8000000, v3
	s_delay_alu instid0(VALU_DEP_2) | instskip(NEXT) | instid1(VALU_DEP_1)
	v_or_b32_e32 v4, 0x70000000, v4
	v_mul_f32_e32 v4, 0x7800000, v4
	s_delay_alu instid0(VALU_DEP_1) | instskip(NEXT) | instid1(VALU_DEP_1)
	v_cndmask_b32_e32 v3, v4, v5, vcc_lo
	v_and_or_b32 v2, 0x80000000, v2, v3
	s_delay_alu instid0(VALU_DEP_1)
	v_cvt_i32_f32_e32 v4, v2
.LBB62_1582:
	s_mov_b32 s40, 0
	s_mov_b32 s41, -1
.LBB62_1583:
	s_and_not1_b32 vcc_lo, exec_lo, s40
	s_mov_b32 s40, 0
	s_cbranch_vccnz .LBB62_1594
; %bb.1584:
	s_cmp_gt_i32 s39, 14
	s_cbranch_scc0 .LBB62_1587
; %bb.1585:
	s_cmp_eq_u32 s39, 15
	s_cbranch_scc0 .LBB62_1590
; %bb.1586:
	s_wait_loadcnt 0x0
	global_load_u16 v2, v[0:1], off
	s_mov_b32 s38, 0
	s_mov_b32 s41, -1
	s_wait_loadcnt 0x0
	v_lshlrev_b32_e32 v2, 16, v2
	s_delay_alu instid0(VALU_DEP_1)
	v_cvt_i32_f32_e32 v4, v2
	s_branch .LBB62_1592
.LBB62_1587:
	s_mov_b32 s40, -1
	s_branch .LBB62_1591
.LBB62_1588:
	s_and_not1_saveexec_b32 s40, s40
	s_cbranch_execz .LBB62_1569
.LBB62_1589:
	v_cmp_ne_u16_e32 vcc_lo, 0, v2
	s_and_not1_b32 s41, s41, exec_lo
	s_and_b32 s42, vcc_lo, exec_lo
	s_delay_alu instid0(SALU_CYCLE_1)
	s_or_b32 s41, s41, s42
	s_or_b32 exec_lo, exec_lo, s40
	v_mov_b32_e32 v4, 0
	s_and_saveexec_b32 s40, s41
	s_cbranch_execnz .LBB62_1570
	s_branch .LBB62_1571
.LBB62_1590:
	s_mov_b32 s38, -1
.LBB62_1591:
                                        ; implicit-def: $vgpr4
.LBB62_1592:
	s_and_b32 vcc_lo, exec_lo, s40
	s_mov_b32 s40, 0
	s_cbranch_vccz .LBB62_1594
; %bb.1593:
	s_cmp_lg_u32 s39, 11
	s_mov_b32 s40, -1
	s_cselect_b32 s39, -1, 0
	s_and_not1_b32 s38, s38, exec_lo
	s_and_b32 s39, s39, exec_lo
	s_delay_alu instid0(SALU_CYCLE_1)
	s_or_b32 s38, s38, s39
.LBB62_1594:
	s_mov_b32 s39, 0
.LBB62_1595:
	s_and_b32 s42, s41, exec_lo
	s_and_not1_b32 s41, s34, exec_lo
	s_and_b32 s43, s38, exec_lo
	s_and_b32 s39, s39, exec_lo
	;; [unrolled: 1-line block ×3, first 2 shown]
	s_or_b32 s41, s41, s43
.LBB62_1596:
	s_wait_xcnt 0x0
	s_or_b32 exec_lo, exec_lo, s22
	s_delay_alu instid0(SALU_CYCLE_1)
	s_and_not1_b32 s22, s34, exec_lo
	s_and_b32 s34, s41, exec_lo
	s_and_b32 s40, s42, exec_lo
	;; [unrolled: 1-line block ×4, first 2 shown]
	s_or_b32 s34, s22, s34
.LBB62_1597:
	s_or_b32 exec_lo, exec_lo, s33
	s_delay_alu instid0(SALU_CYCLE_1)
	s_and_not1_b32 s22, s28, exec_lo
	s_and_b32 s28, s37, exec_lo
	s_and_not1_b32 s30, s30, exec_lo
	s_or_b32 s28, s22, s28
	s_and_not1_b32 s22, s29, exec_lo
	s_and_b32 s29, s36, exec_lo
	s_and_b32 s33, s35, exec_lo
	s_or_b32 s29, s22, s29
	s_and_not1_b32 s22, s27, exec_lo
	s_and_b32 s27, s34, exec_lo
	s_or_b32 s30, s30, s33
	s_and_b32 s36, s40, exec_lo
	s_and_b32 s35, s39, exec_lo
	;; [unrolled: 1-line block ×3, first 2 shown]
	s_or_b32 s27, s22, s27
.LBB62_1598:
	s_or_b32 exec_lo, exec_lo, s31
	s_delay_alu instid0(SALU_CYCLE_1)
	s_and_not1_b32 s21, s21, exec_lo
	s_and_b32 s22, s28, exec_lo
	s_and_not1_b32 s24, s24, exec_lo
	s_or_b32 s21, s21, s22
	s_and_not1_b32 s22, s23, exec_lo
	s_and_b32 s23, s29, exec_lo
	s_and_b32 s28, s30, exec_lo
	s_or_b32 s23, s22, s23
	s_and_not1_b32 s22, s25, exec_lo
	s_and_b32 s25, s27, exec_lo
	s_or_b32 s24, s24, s28
	s_and_b32 s28, s36, exec_lo
	s_and_b32 s29, s35, exec_lo
	;; [unrolled: 1-line block ×3, first 2 shown]
	s_or_b32 s25, s22, s25
	s_or_b32 exec_lo, exec_lo, s26
	s_mov_b32 s22, 0
	s_and_saveexec_b32 s26, s25
	s_cbranch_execz .LBB62_510
.LBB62_1599:
	s_mov_b32 s22, exec_lo
	s_and_not1_b32 s27, s27, exec_lo
	s_trap 2
	s_or_b32 exec_lo, exec_lo, s26
	s_and_saveexec_b32 s25, s27
	s_delay_alu instid0(SALU_CYCLE_1)
	s_xor_b32 s25, exec_lo, s25
	s_cbranch_execnz .LBB62_511
.LBB62_1600:
	s_or_b32 exec_lo, exec_lo, s25
	s_and_saveexec_b32 s25, s29
	s_cbranch_execz .LBB62_1646
.LBB62_1601:
	s_sext_i32_i16 s26, s0
	s_delay_alu instid0(SALU_CYCLE_1)
	s_cmp_lt_i32 s26, 5
	s_cbranch_scc1 .LBB62_1606
; %bb.1602:
	s_cmp_lt_i32 s26, 8
	s_cbranch_scc1 .LBB62_1607
; %bb.1603:
	;; [unrolled: 3-line block ×3, first 2 shown]
	s_cmp_gt_i32 s26, 9
	s_cbranch_scc0 .LBB62_1609
; %bb.1605:
	s_wait_loadcnt 0x0
	global_load_b64 v[2:3], v[0:1], off
	s_mov_b32 s26, 0
	s_wait_loadcnt 0x0
	v_cvt_i32_f64_e32 v4, v[2:3]
	s_branch .LBB62_1610
.LBB62_1606:
                                        ; implicit-def: $vgpr4
	s_branch .LBB62_1627
.LBB62_1607:
                                        ; implicit-def: $vgpr4
	s_branch .LBB62_1616
.LBB62_1608:
	s_mov_b32 s26, -1
                                        ; implicit-def: $vgpr4
	s_branch .LBB62_1613
.LBB62_1609:
	s_mov_b32 s26, -1
                                        ; implicit-def: $vgpr4
.LBB62_1610:
	s_delay_alu instid0(SALU_CYCLE_1)
	s_and_not1_b32 vcc_lo, exec_lo, s26
	s_cbranch_vccnz .LBB62_1612
; %bb.1611:
	s_wait_loadcnt 0x0
	global_load_b32 v2, v[0:1], off
	s_wait_loadcnt 0x0
	v_cvt_i32_f32_e32 v4, v2
.LBB62_1612:
	s_mov_b32 s26, 0
.LBB62_1613:
	s_delay_alu instid0(SALU_CYCLE_1)
	s_and_not1_b32 vcc_lo, exec_lo, s26
	s_cbranch_vccnz .LBB62_1615
; %bb.1614:
	s_wait_loadcnt 0x0
	global_load_b32 v2, v[0:1], off
	s_wait_loadcnt 0x0
	v_cvt_f32_f16_e32 v2, v2
	s_delay_alu instid0(VALU_DEP_1)
	v_cvt_i32_f32_e32 v4, v2
.LBB62_1615:
	s_cbranch_execnz .LBB62_1626
.LBB62_1616:
	s_sext_i32_i16 s26, s0
	s_delay_alu instid0(SALU_CYCLE_1)
	s_cmp_lt_i32 s26, 6
	s_cbranch_scc1 .LBB62_1619
; %bb.1617:
	s_cmp_gt_i32 s26, 6
	s_cbranch_scc0 .LBB62_1620
; %bb.1618:
	s_wait_loadcnt 0x0
	global_load_b64 v[2:3], v[0:1], off
	s_mov_b32 s26, 0
	s_wait_loadcnt 0x0
	v_cvt_i32_f64_e32 v4, v[2:3]
	s_branch .LBB62_1621
.LBB62_1619:
	s_mov_b32 s26, -1
                                        ; implicit-def: $vgpr4
	s_branch .LBB62_1624
.LBB62_1620:
	s_mov_b32 s26, -1
                                        ; implicit-def: $vgpr4
.LBB62_1621:
	s_delay_alu instid0(SALU_CYCLE_1)
	s_and_not1_b32 vcc_lo, exec_lo, s26
	s_cbranch_vccnz .LBB62_1623
; %bb.1622:
	s_wait_loadcnt 0x0
	global_load_b32 v2, v[0:1], off
	s_wait_loadcnt 0x0
	v_cvt_i32_f32_e32 v4, v2
.LBB62_1623:
	s_mov_b32 s26, 0
.LBB62_1624:
	s_delay_alu instid0(SALU_CYCLE_1)
	s_and_not1_b32 vcc_lo, exec_lo, s26
	s_cbranch_vccnz .LBB62_1626
; %bb.1625:
	s_wait_loadcnt 0x0
	global_load_u16 v2, v[0:1], off
	s_wait_loadcnt 0x0
	v_cvt_f32_f16_e32 v2, v2
	s_delay_alu instid0(VALU_DEP_1)
	v_cvt_i32_f32_e32 v4, v2
.LBB62_1626:
	s_cbranch_execnz .LBB62_1645
.LBB62_1627:
	s_sext_i32_i16 s26, s0
	s_delay_alu instid0(SALU_CYCLE_1)
	s_cmp_lt_i32 s26, 2
	s_cbranch_scc1 .LBB62_1631
; %bb.1628:
	s_cmp_lt_i32 s26, 3
	s_cbranch_scc1 .LBB62_1632
; %bb.1629:
	s_cmp_gt_i32 s26, 3
	s_cbranch_scc0 .LBB62_1633
; %bb.1630:
	s_wait_loadcnt 0x0
	global_load_b32 v4, v[0:1], off
	s_mov_b32 s26, 0
	s_branch .LBB62_1634
.LBB62_1631:
                                        ; implicit-def: $vgpr4
	s_branch .LBB62_1640
.LBB62_1632:
	s_mov_b32 s26, -1
                                        ; implicit-def: $vgpr4
	s_branch .LBB62_1637
.LBB62_1633:
	s_mov_b32 s26, -1
                                        ; implicit-def: $vgpr4
.LBB62_1634:
	s_delay_alu instid0(SALU_CYCLE_1)
	s_and_not1_b32 vcc_lo, exec_lo, s26
	s_cbranch_vccnz .LBB62_1636
; %bb.1635:
	s_wait_loadcnt 0x0
	global_load_b32 v4, v[0:1], off
.LBB62_1636:
	s_mov_b32 s26, 0
.LBB62_1637:
	s_delay_alu instid0(SALU_CYCLE_1)
	s_and_not1_b32 vcc_lo, exec_lo, s26
	s_cbranch_vccnz .LBB62_1639
; %bb.1638:
	s_wait_loadcnt 0x0
	global_load_i16 v4, v[0:1], off
.LBB62_1639:
	s_cbranch_execnz .LBB62_1645
.LBB62_1640:
	s_sext_i32_i16 s0, s0
	s_delay_alu instid0(SALU_CYCLE_1)
	s_cmp_gt_i32 s0, 0
	s_mov_b32 s0, 0
	s_cbranch_scc0 .LBB62_1642
; %bb.1641:
	s_wait_loadcnt 0x0
	global_load_i8 v4, v[0:1], off
	s_branch .LBB62_1643
.LBB62_1642:
	s_mov_b32 s0, -1
                                        ; implicit-def: $vgpr4
.LBB62_1643:
	s_delay_alu instid0(SALU_CYCLE_1)
	s_and_not1_b32 vcc_lo, exec_lo, s0
	s_cbranch_vccnz .LBB62_1645
; %bb.1644:
	s_wait_loadcnt 0x0
	global_load_u8 v4, v[0:1], off
.LBB62_1645:
	s_or_b32 s28, s28, exec_lo
.LBB62_1646:
	s_wait_xcnt 0x0
	s_or_b32 exec_lo, exec_lo, s25
	s_mov_b32 s26, 0
	s_mov_b32 s29, 0
	;; [unrolled: 1-line block ×3, first 2 shown]
                                        ; implicit-def: $sgpr0
                                        ; implicit-def: $vgpr0_vgpr1
                                        ; implicit-def: $vgpr5
	s_and_saveexec_b32 s25, s28
	s_cbranch_execz .LBB62_1654
; %bb.1647:
	v_mul_lo_u32 v0, v8, s14
	s_and_b32 s0, s2, 0xff
	s_delay_alu instid0(SALU_CYCLE_1) | instskip(NEXT) | instid1(VALU_DEP_1)
	s_cmp_lt_i32 s0, 11
	v_ashrrev_i32_e32 v1, 31, v0
	s_delay_alu instid0(VALU_DEP_1)
	v_add_nc_u64_e32 v[0:1], s[8:9], v[0:1]
	s_cbranch_scc1 .LBB62_1657
; %bb.1648:
	s_and_b32 s27, 0xffff, s0
	s_mov_b32 s28, 0
	s_cmp_gt_i32 s27, 25
	s_cbranch_scc0 .LBB62_1658
; %bb.1649:
	s_cmp_gt_i32 s27, 28
	s_cbranch_scc0 .LBB62_1659
; %bb.1650:
	;; [unrolled: 3-line block ×4, first 2 shown]
	s_cmp_eq_u32 s27, 46
	s_mov_b32 s30, 0
	s_cbranch_scc0 .LBB62_1662
; %bb.1653:
	s_wait_loadcnt 0x0
	global_load_b32 v2, v[0:1], off
	s_mov_b32 s29, -1
	s_wait_loadcnt 0x0
	v_lshlrev_b32_e32 v2, 16, v2
	s_delay_alu instid0(VALU_DEP_1)
	v_cvt_i32_f32_e32 v5, v2
	s_branch .LBB62_1664
.LBB62_1654:
	s_or_b32 exec_lo, exec_lo, s25
	s_and_saveexec_b32 s25, s24
	s_cbranch_execnz .LBB62_1723
.LBB62_1655:
	s_or_b32 exec_lo, exec_lo, s25
	s_and_saveexec_b32 s24, s26
	s_delay_alu instid0(SALU_CYCLE_1)
	s_xor_b32 s24, exec_lo, s24
	s_cbranch_execz .LBB62_1724
.LBB62_1656:
	s_wait_loadcnt 0x0
	global_load_u8 v2, v[0:1], off
	s_or_b32 s27, s27, exec_lo
	s_wait_loadcnt 0x0
	v_cmp_ne_u16_e32 vcc_lo, 0, v2
	v_cndmask_b32_e64 v5, 0, 1, vcc_lo
	s_wait_xcnt 0x0
	s_or_b32 exec_lo, exec_lo, s24
	s_and_saveexec_b32 s24, s29
	s_cbranch_execz .LBB62_1770
	s_branch .LBB62_1725
.LBB62_1657:
	s_mov_b32 s30, -1
	s_mov_b32 s28, 0
	s_mov_b32 s26, s24
                                        ; implicit-def: $vgpr5
	s_branch .LBB62_1722
.LBB62_1658:
	s_mov_b32 s26, s24
                                        ; implicit-def: $vgpr5
	s_cbranch_execnz .LBB62_1691
	s_branch .LBB62_1721
.LBB62_1659:
	s_mov_b32 s30, -1
	s_mov_b32 s26, s24
                                        ; implicit-def: $vgpr5
	s_branch .LBB62_1674
.LBB62_1660:
	s_mov_b32 s30, -1
	s_mov_b32 s26, s24
                                        ; implicit-def: $vgpr5
	s_branch .LBB62_1669
.LBB62_1661:
	s_mov_b32 s30, -1
	s_mov_b32 s26, s24
	s_branch .LBB62_1663
.LBB62_1662:
	s_mov_b32 s26, -1
.LBB62_1663:
                                        ; implicit-def: $vgpr5
.LBB62_1664:
	s_and_b32 vcc_lo, exec_lo, s30
	s_cbranch_vccz .LBB62_1668
; %bb.1665:
	s_cmp_eq_u32 s27, 44
	s_cbranch_scc0 .LBB62_1667
; %bb.1666:
	s_wait_loadcnt 0x0
	global_load_u8 v2, v[0:1], off
	s_mov_b32 s26, 0
	s_mov_b32 s29, -1
	s_wait_loadcnt 0x0
	v_lshlrev_b32_e32 v3, 23, v2
	v_cmp_ne_u32_e32 vcc_lo, 0, v2
	s_delay_alu instid0(VALU_DEP_2) | instskip(NEXT) | instid1(VALU_DEP_1)
	v_cvt_i32_f32_e32 v3, v3
	v_cndmask_b32_e32 v5, 0, v3, vcc_lo
	s_branch .LBB62_1668
.LBB62_1667:
	s_mov_b32 s26, -1
                                        ; implicit-def: $vgpr5
.LBB62_1668:
	s_mov_b32 s30, 0
.LBB62_1669:
	s_delay_alu instid0(SALU_CYCLE_1)
	s_and_b32 vcc_lo, exec_lo, s30
	s_cbranch_vccz .LBB62_1673
; %bb.1670:
	s_cmp_eq_u32 s27, 29
	s_cbranch_scc0 .LBB62_1672
; %bb.1671:
	global_load_b32 v5, v[0:1], off
	s_mov_b32 s26, 0
	s_mov_b32 s29, -1
	s_branch .LBB62_1673
.LBB62_1672:
	s_mov_b32 s26, -1
                                        ; implicit-def: $vgpr5
.LBB62_1673:
	s_mov_b32 s30, 0
.LBB62_1674:
	s_delay_alu instid0(SALU_CYCLE_1)
	s_and_b32 vcc_lo, exec_lo, s30
	s_cbranch_vccz .LBB62_1690
; %bb.1675:
	s_cmp_lt_i32 s27, 27
	s_cbranch_scc1 .LBB62_1678
; %bb.1676:
	s_cmp_gt_i32 s27, 27
	s_cbranch_scc0 .LBB62_1679
; %bb.1677:
	s_wait_loadcnt 0x0
	global_load_b32 v5, v[0:1], off
	s_mov_b32 s29, 0
	s_branch .LBB62_1680
.LBB62_1678:
	s_mov_b32 s29, -1
                                        ; implicit-def: $vgpr5
	s_branch .LBB62_1683
.LBB62_1679:
	s_mov_b32 s29, -1
                                        ; implicit-def: $vgpr5
.LBB62_1680:
	s_delay_alu instid0(SALU_CYCLE_1)
	s_and_not1_b32 vcc_lo, exec_lo, s29
	s_cbranch_vccnz .LBB62_1682
; %bb.1681:
	s_wait_loadcnt 0x0
	global_load_u16 v5, v[0:1], off
.LBB62_1682:
	s_mov_b32 s29, 0
.LBB62_1683:
	s_delay_alu instid0(SALU_CYCLE_1)
	s_and_not1_b32 vcc_lo, exec_lo, s29
	s_cbranch_vccnz .LBB62_1689
; %bb.1684:
	s_wait_loadcnt 0x0
	global_load_u8 v2, v[0:1], off
	s_mov_b32 s30, 0
	s_mov_b32 s29, exec_lo
	s_wait_loadcnt 0x0
	v_cmpx_lt_i16_e32 0x7f, v2
	s_xor_b32 s29, exec_lo, s29
	s_cbranch_execz .LBB62_1700
; %bb.1685:
	v_cmp_ne_u16_e32 vcc_lo, 0x80, v2
	s_and_b32 s30, vcc_lo, exec_lo
	s_and_not1_saveexec_b32 s29, s29
	s_cbranch_execnz .LBB62_1701
.LBB62_1686:
	s_or_b32 exec_lo, exec_lo, s29
	v_mov_b32_e32 v5, 0
	s_and_saveexec_b32 s29, s30
	s_cbranch_execz .LBB62_1688
.LBB62_1687:
	v_and_b32_e32 v3, 0xffff, v2
	s_delay_alu instid0(VALU_DEP_1) | instskip(SKIP_1) | instid1(VALU_DEP_2)
	v_and_b32_e32 v5, 7, v3
	v_bfe_u32 v9, v3, 3, 4
	v_clz_i32_u32_e32 v6, v5
	s_delay_alu instid0(VALU_DEP_2) | instskip(NEXT) | instid1(VALU_DEP_2)
	v_cmp_eq_u32_e32 vcc_lo, 0, v9
	v_min_u32_e32 v6, 32, v6
	s_delay_alu instid0(VALU_DEP_1) | instskip(NEXT) | instid1(VALU_DEP_1)
	v_subrev_nc_u32_e32 v7, 28, v6
	v_dual_lshlrev_b32 v3, v7, v3 :: v_dual_sub_nc_u32 v6, 29, v6
	s_delay_alu instid0(VALU_DEP_1) | instskip(NEXT) | instid1(VALU_DEP_1)
	v_dual_lshlrev_b32 v2, 24, v2 :: v_dual_bitop2_b32 v3, 7, v3 bitop3:0x40
	v_cndmask_b32_e32 v3, v5, v3, vcc_lo
	s_delay_alu instid0(VALU_DEP_3) | instskip(NEXT) | instid1(VALU_DEP_3)
	v_cndmask_b32_e32 v6, v9, v6, vcc_lo
	v_and_b32_e32 v2, 0x80000000, v2
	s_delay_alu instid0(VALU_DEP_3) | instskip(NEXT) | instid1(VALU_DEP_3)
	v_lshlrev_b32_e32 v3, 20, v3
	v_lshl_add_u32 v5, v6, 23, 0x3b800000
	s_delay_alu instid0(VALU_DEP_1) | instskip(NEXT) | instid1(VALU_DEP_1)
	v_or3_b32 v2, v2, v5, v3
	v_cvt_i32_f32_e32 v5, v2
.LBB62_1688:
	s_or_b32 exec_lo, exec_lo, s29
.LBB62_1689:
	s_mov_b32 s29, -1
.LBB62_1690:
	s_branch .LBB62_1721
.LBB62_1691:
	s_cmp_gt_i32 s27, 22
	s_cbranch_scc0 .LBB62_1699
; %bb.1692:
	s_cmp_lt_i32 s27, 24
	s_cbranch_scc1 .LBB62_1702
; %bb.1693:
	s_cmp_gt_i32 s27, 24
	s_cbranch_scc0 .LBB62_1703
; %bb.1694:
	s_wait_loadcnt 0x0
	global_load_u8 v2, v[0:1], off
	s_mov_b32 s29, 0
	s_mov_b32 s28, exec_lo
	s_wait_loadcnt 0x0
	v_cmpx_lt_i16_e32 0x7f, v2
	s_xor_b32 s28, exec_lo, s28
	s_cbranch_execz .LBB62_1715
; %bb.1695:
	v_cmp_ne_u16_e32 vcc_lo, 0x80, v2
	s_and_b32 s29, vcc_lo, exec_lo
	s_and_not1_saveexec_b32 s28, s28
	s_cbranch_execnz .LBB62_1716
.LBB62_1696:
	s_or_b32 exec_lo, exec_lo, s28
	v_mov_b32_e32 v5, 0
	s_and_saveexec_b32 s28, s29
	s_cbranch_execz .LBB62_1698
.LBB62_1697:
	v_and_b32_e32 v3, 0xffff, v2
	s_delay_alu instid0(VALU_DEP_1) | instskip(SKIP_1) | instid1(VALU_DEP_2)
	v_and_b32_e32 v5, 3, v3
	v_bfe_u32 v9, v3, 2, 5
	v_clz_i32_u32_e32 v6, v5
	s_delay_alu instid0(VALU_DEP_2) | instskip(NEXT) | instid1(VALU_DEP_2)
	v_cmp_eq_u32_e32 vcc_lo, 0, v9
	v_min_u32_e32 v6, 32, v6
	s_delay_alu instid0(VALU_DEP_1) | instskip(NEXT) | instid1(VALU_DEP_1)
	v_subrev_nc_u32_e32 v7, 29, v6
	v_dual_lshlrev_b32 v3, v7, v3 :: v_dual_sub_nc_u32 v6, 30, v6
	s_delay_alu instid0(VALU_DEP_1) | instskip(NEXT) | instid1(VALU_DEP_1)
	v_dual_lshlrev_b32 v2, 24, v2 :: v_dual_bitop2_b32 v3, 3, v3 bitop3:0x40
	v_cndmask_b32_e32 v3, v5, v3, vcc_lo
	s_delay_alu instid0(VALU_DEP_3) | instskip(NEXT) | instid1(VALU_DEP_3)
	v_cndmask_b32_e32 v6, v9, v6, vcc_lo
	v_and_b32_e32 v2, 0x80000000, v2
	s_delay_alu instid0(VALU_DEP_3) | instskip(NEXT) | instid1(VALU_DEP_3)
	v_lshlrev_b32_e32 v3, 21, v3
	v_lshl_add_u32 v5, v6, 23, 0x37800000
	s_delay_alu instid0(VALU_DEP_1) | instskip(NEXT) | instid1(VALU_DEP_1)
	v_or3_b32 v2, v2, v5, v3
	v_cvt_i32_f32_e32 v5, v2
.LBB62_1698:
	s_or_b32 exec_lo, exec_lo, s28
	s_mov_b32 s28, 0
	s_branch .LBB62_1704
.LBB62_1699:
	s_mov_b32 s28, -1
                                        ; implicit-def: $vgpr5
	s_branch .LBB62_1710
.LBB62_1700:
	s_and_not1_saveexec_b32 s29, s29
	s_cbranch_execz .LBB62_1686
.LBB62_1701:
	v_cmp_ne_u16_e32 vcc_lo, 0, v2
	s_and_not1_b32 s30, s30, exec_lo
	s_and_b32 s31, vcc_lo, exec_lo
	s_delay_alu instid0(SALU_CYCLE_1)
	s_or_b32 s30, s30, s31
	s_or_b32 exec_lo, exec_lo, s29
	v_mov_b32_e32 v5, 0
	s_and_saveexec_b32 s29, s30
	s_cbranch_execnz .LBB62_1687
	s_branch .LBB62_1688
.LBB62_1702:
	s_mov_b32 s28, -1
                                        ; implicit-def: $vgpr5
	s_branch .LBB62_1707
.LBB62_1703:
	s_mov_b32 s28, -1
                                        ; implicit-def: $vgpr5
.LBB62_1704:
	s_delay_alu instid0(SALU_CYCLE_1)
	s_and_b32 vcc_lo, exec_lo, s28
	s_cbranch_vccz .LBB62_1706
; %bb.1705:
	s_wait_loadcnt 0x0
	global_load_u8 v2, v[0:1], off
	s_wait_loadcnt 0x0
	v_lshlrev_b32_e32 v2, 24, v2
	s_delay_alu instid0(VALU_DEP_1) | instskip(NEXT) | instid1(VALU_DEP_1)
	v_and_b32_e32 v3, 0x7f000000, v2
	v_clz_i32_u32_e32 v5, v3
	v_add_nc_u32_e32 v7, 0x1000000, v3
	v_cmp_ne_u32_e32 vcc_lo, 0, v3
	s_delay_alu instid0(VALU_DEP_3) | instskip(NEXT) | instid1(VALU_DEP_1)
	v_min_u32_e32 v5, 32, v5
	v_sub_nc_u32_e64 v5, v5, 4 clamp
	s_delay_alu instid0(VALU_DEP_1) | instskip(NEXT) | instid1(VALU_DEP_1)
	v_dual_lshlrev_b32 v6, v5, v3 :: v_dual_lshlrev_b32 v5, 23, v5
	v_lshrrev_b32_e32 v6, 4, v6
	s_delay_alu instid0(VALU_DEP_1) | instskip(NEXT) | instid1(VALU_DEP_1)
	v_dual_sub_nc_u32 v5, v6, v5 :: v_dual_ashrrev_i32 v6, 8, v7
	v_add_nc_u32_e32 v5, 0x3c000000, v5
	s_delay_alu instid0(VALU_DEP_1) | instskip(NEXT) | instid1(VALU_DEP_1)
	v_and_or_b32 v5, 0x7f800000, v6, v5
	v_cndmask_b32_e32 v3, 0, v5, vcc_lo
	s_delay_alu instid0(VALU_DEP_1) | instskip(NEXT) | instid1(VALU_DEP_1)
	v_and_or_b32 v2, 0x80000000, v2, v3
	v_cvt_i32_f32_e32 v5, v2
.LBB62_1706:
	s_mov_b32 s28, 0
.LBB62_1707:
	s_delay_alu instid0(SALU_CYCLE_1)
	s_and_not1_b32 vcc_lo, exec_lo, s28
	s_cbranch_vccnz .LBB62_1709
; %bb.1708:
	s_wait_loadcnt 0x0
	global_load_u8 v2, v[0:1], off
	s_wait_loadcnt 0x0
	v_lshlrev_b32_e32 v3, 25, v2
	v_lshlrev_b16 v2, 8, v2
	s_delay_alu instid0(VALU_DEP_2) | instskip(NEXT) | instid1(VALU_DEP_2)
	v_cmp_gt_u32_e32 vcc_lo, 0x8000000, v3
	v_and_or_b32 v6, 0x7f00, v2, 0.5
	v_lshrrev_b32_e32 v5, 4, v3
	v_bfe_i32 v2, v2, 0, 16
	s_delay_alu instid0(VALU_DEP_3) | instskip(NEXT) | instid1(VALU_DEP_3)
	v_add_f32_e32 v6, -0.5, v6
	v_or_b32_e32 v5, 0x70000000, v5
	s_delay_alu instid0(VALU_DEP_1) | instskip(NEXT) | instid1(VALU_DEP_1)
	v_mul_f32_e32 v5, 0x7800000, v5
	v_cndmask_b32_e32 v3, v5, v6, vcc_lo
	s_delay_alu instid0(VALU_DEP_1) | instskip(NEXT) | instid1(VALU_DEP_1)
	v_and_or_b32 v2, 0x80000000, v2, v3
	v_cvt_i32_f32_e32 v5, v2
.LBB62_1709:
	s_mov_b32 s28, 0
	s_mov_b32 s29, -1
.LBB62_1710:
	s_and_not1_b32 vcc_lo, exec_lo, s28
	s_mov_b32 s28, 0
	s_cbranch_vccnz .LBB62_1721
; %bb.1711:
	s_cmp_gt_i32 s27, 14
	s_cbranch_scc0 .LBB62_1714
; %bb.1712:
	s_cmp_eq_u32 s27, 15
	s_cbranch_scc0 .LBB62_1717
; %bb.1713:
	s_wait_loadcnt 0x0
	global_load_u16 v2, v[0:1], off
	s_mov_b32 s26, 0
	s_mov_b32 s29, -1
	s_wait_loadcnt 0x0
	v_lshlrev_b32_e32 v2, 16, v2
	s_delay_alu instid0(VALU_DEP_1)
	v_cvt_i32_f32_e32 v5, v2
	s_branch .LBB62_1719
.LBB62_1714:
	s_mov_b32 s28, -1
	s_branch .LBB62_1718
.LBB62_1715:
	s_and_not1_saveexec_b32 s28, s28
	s_cbranch_execz .LBB62_1696
.LBB62_1716:
	v_cmp_ne_u16_e32 vcc_lo, 0, v2
	s_and_not1_b32 s29, s29, exec_lo
	s_and_b32 s30, vcc_lo, exec_lo
	s_delay_alu instid0(SALU_CYCLE_1)
	s_or_b32 s29, s29, s30
	s_or_b32 exec_lo, exec_lo, s28
	v_mov_b32_e32 v5, 0
	s_and_saveexec_b32 s28, s29
	s_cbranch_execnz .LBB62_1697
	s_branch .LBB62_1698
.LBB62_1717:
	s_mov_b32 s26, -1
.LBB62_1718:
                                        ; implicit-def: $vgpr5
.LBB62_1719:
	s_and_b32 vcc_lo, exec_lo, s28
	s_mov_b32 s28, 0
	s_cbranch_vccz .LBB62_1721
; %bb.1720:
	s_cmp_lg_u32 s27, 11
	s_mov_b32 s28, -1
	s_cselect_b32 s27, -1, 0
	s_and_not1_b32 s26, s26, exec_lo
	s_and_b32 s27, s27, exec_lo
	s_delay_alu instid0(SALU_CYCLE_1)
	s_or_b32 s26, s26, s27
.LBB62_1721:
	s_mov_b32 s30, 0
.LBB62_1722:
	s_and_b32 s27, s29, exec_lo
	s_and_b32 s29, s30, exec_lo
	s_and_not1_b32 s24, s24, exec_lo
	s_and_b32 s30, s26, exec_lo
	s_and_b32 s26, s28, exec_lo
	s_or_b32 s24, s24, s30
	s_wait_xcnt 0x0
	s_or_b32 exec_lo, exec_lo, s25
	s_and_saveexec_b32 s25, s24
	s_cbranch_execz .LBB62_1655
.LBB62_1723:
	s_or_b32 s22, s22, exec_lo
	s_and_not1_b32 s26, s26, exec_lo
	s_trap 2
	s_or_b32 exec_lo, exec_lo, s25
	s_and_saveexec_b32 s24, s26
	s_delay_alu instid0(SALU_CYCLE_1)
	s_xor_b32 s24, exec_lo, s24
	s_cbranch_execnz .LBB62_1656
.LBB62_1724:
	s_or_b32 exec_lo, exec_lo, s24
	s_and_saveexec_b32 s24, s29
	s_cbranch_execz .LBB62_1770
.LBB62_1725:
	s_sext_i32_i16 s25, s0
	s_delay_alu instid0(SALU_CYCLE_1)
	s_cmp_lt_i32 s25, 5
	s_cbranch_scc1 .LBB62_1730
; %bb.1726:
	s_cmp_lt_i32 s25, 8
	s_cbranch_scc1 .LBB62_1731
; %bb.1727:
	;; [unrolled: 3-line block ×3, first 2 shown]
	s_cmp_gt_i32 s25, 9
	s_cbranch_scc0 .LBB62_1733
; %bb.1729:
	s_wait_loadcnt 0x0
	global_load_b64 v[2:3], v[0:1], off
	s_mov_b32 s25, 0
	s_wait_loadcnt 0x0
	v_cvt_i32_f64_e32 v5, v[2:3]
	s_branch .LBB62_1734
.LBB62_1730:
                                        ; implicit-def: $vgpr5
	s_branch .LBB62_1751
.LBB62_1731:
                                        ; implicit-def: $vgpr5
	s_branch .LBB62_1740
.LBB62_1732:
	s_mov_b32 s25, -1
                                        ; implicit-def: $vgpr5
	s_branch .LBB62_1737
.LBB62_1733:
	s_mov_b32 s25, -1
                                        ; implicit-def: $vgpr5
.LBB62_1734:
	s_delay_alu instid0(SALU_CYCLE_1)
	s_and_not1_b32 vcc_lo, exec_lo, s25
	s_cbranch_vccnz .LBB62_1736
; %bb.1735:
	s_wait_loadcnt 0x0
	global_load_b32 v2, v[0:1], off
	s_wait_loadcnt 0x0
	v_cvt_i32_f32_e32 v5, v2
.LBB62_1736:
	s_mov_b32 s25, 0
.LBB62_1737:
	s_delay_alu instid0(SALU_CYCLE_1)
	s_and_not1_b32 vcc_lo, exec_lo, s25
	s_cbranch_vccnz .LBB62_1739
; %bb.1738:
	s_wait_loadcnt 0x0
	global_load_b32 v2, v[0:1], off
	s_wait_loadcnt 0x0
	v_cvt_f32_f16_e32 v2, v2
	s_delay_alu instid0(VALU_DEP_1)
	v_cvt_i32_f32_e32 v5, v2
.LBB62_1739:
	s_cbranch_execnz .LBB62_1750
.LBB62_1740:
	s_sext_i32_i16 s25, s0
	s_delay_alu instid0(SALU_CYCLE_1)
	s_cmp_lt_i32 s25, 6
	s_cbranch_scc1 .LBB62_1743
; %bb.1741:
	s_cmp_gt_i32 s25, 6
	s_cbranch_scc0 .LBB62_1744
; %bb.1742:
	s_wait_loadcnt 0x0
	global_load_b64 v[2:3], v[0:1], off
	s_mov_b32 s25, 0
	s_wait_loadcnt 0x0
	v_cvt_i32_f64_e32 v5, v[2:3]
	s_branch .LBB62_1745
.LBB62_1743:
	s_mov_b32 s25, -1
                                        ; implicit-def: $vgpr5
	s_branch .LBB62_1748
.LBB62_1744:
	s_mov_b32 s25, -1
                                        ; implicit-def: $vgpr5
.LBB62_1745:
	s_delay_alu instid0(SALU_CYCLE_1)
	s_and_not1_b32 vcc_lo, exec_lo, s25
	s_cbranch_vccnz .LBB62_1747
; %bb.1746:
	s_wait_loadcnt 0x0
	global_load_b32 v2, v[0:1], off
	s_wait_loadcnt 0x0
	v_cvt_i32_f32_e32 v5, v2
.LBB62_1747:
	s_mov_b32 s25, 0
.LBB62_1748:
	s_delay_alu instid0(SALU_CYCLE_1)
	s_and_not1_b32 vcc_lo, exec_lo, s25
	s_cbranch_vccnz .LBB62_1750
; %bb.1749:
	s_wait_loadcnt 0x0
	global_load_u16 v2, v[0:1], off
	s_wait_loadcnt 0x0
	v_cvt_f32_f16_e32 v2, v2
	s_delay_alu instid0(VALU_DEP_1)
	v_cvt_i32_f32_e32 v5, v2
.LBB62_1750:
	s_cbranch_execnz .LBB62_1769
.LBB62_1751:
	s_sext_i32_i16 s25, s0
	s_delay_alu instid0(SALU_CYCLE_1)
	s_cmp_lt_i32 s25, 2
	s_cbranch_scc1 .LBB62_1755
; %bb.1752:
	s_cmp_lt_i32 s25, 3
	s_cbranch_scc1 .LBB62_1756
; %bb.1753:
	s_cmp_gt_i32 s25, 3
	s_cbranch_scc0 .LBB62_1757
; %bb.1754:
	s_wait_loadcnt 0x0
	global_load_b32 v5, v[0:1], off
	s_mov_b32 s25, 0
	s_branch .LBB62_1758
.LBB62_1755:
                                        ; implicit-def: $vgpr5
	s_branch .LBB62_1764
.LBB62_1756:
	s_mov_b32 s25, -1
                                        ; implicit-def: $vgpr5
	s_branch .LBB62_1761
.LBB62_1757:
	s_mov_b32 s25, -1
                                        ; implicit-def: $vgpr5
.LBB62_1758:
	s_delay_alu instid0(SALU_CYCLE_1)
	s_and_not1_b32 vcc_lo, exec_lo, s25
	s_cbranch_vccnz .LBB62_1760
; %bb.1759:
	s_wait_loadcnt 0x0
	global_load_b32 v5, v[0:1], off
.LBB62_1760:
	s_mov_b32 s25, 0
.LBB62_1761:
	s_delay_alu instid0(SALU_CYCLE_1)
	s_and_not1_b32 vcc_lo, exec_lo, s25
	s_cbranch_vccnz .LBB62_1763
; %bb.1762:
	s_wait_loadcnt 0x0
	global_load_i16 v5, v[0:1], off
.LBB62_1763:
	s_cbranch_execnz .LBB62_1769
.LBB62_1764:
	s_sext_i32_i16 s0, s0
	s_delay_alu instid0(SALU_CYCLE_1)
	s_cmp_gt_i32 s0, 0
	s_mov_b32 s0, 0
	s_cbranch_scc0 .LBB62_1766
; %bb.1765:
	s_wait_loadcnt 0x0
	global_load_i8 v5, v[0:1], off
	s_branch .LBB62_1767
.LBB62_1766:
	s_mov_b32 s0, -1
                                        ; implicit-def: $vgpr5
.LBB62_1767:
	s_delay_alu instid0(SALU_CYCLE_1)
	s_and_not1_b32 vcc_lo, exec_lo, s0
	s_cbranch_vccnz .LBB62_1769
; %bb.1768:
	s_wait_loadcnt 0x0
	global_load_u8 v5, v[0:1], off
.LBB62_1769:
	s_or_b32 s27, s27, exec_lo
.LBB62_1770:
	s_wait_xcnt 0x0
	s_or_b32 exec_lo, exec_lo, s24
	s_mov_b32 s25, 0
	s_mov_b32 s24, 0
	;; [unrolled: 1-line block ×3, first 2 shown]
                                        ; implicit-def: $vgpr0_vgpr1
                                        ; implicit-def: $vgpr6
	s_and_saveexec_b32 s0, s27
	s_cbranch_execz .LBB62_1778
; %bb.1771:
	v_mul_lo_u32 v0, v8, s15
	s_and_b32 s24, 0xffff, s1
	s_delay_alu instid0(SALU_CYCLE_1) | instskip(NEXT) | instid1(VALU_DEP_1)
	s_cmp_lt_i32 s24, 11
	v_ashrrev_i32_e32 v1, 31, v0
	s_delay_alu instid0(VALU_DEP_1)
	v_add_nc_u64_e32 v[0:1], s[10:11], v[0:1]
	s_cbranch_scc1 .LBB62_1781
; %bb.1772:
	s_cmp_gt_i32 s24, 25
	s_mov_b32 s27, 0
	s_cbranch_scc0 .LBB62_1782
; %bb.1773:
	s_cmp_gt_i32 s24, 28
	s_cbranch_scc0 .LBB62_1783
; %bb.1774:
	s_cmp_gt_i32 s24, 43
	;; [unrolled: 3-line block ×3, first 2 shown]
	s_cbranch_scc0 .LBB62_1785
; %bb.1776:
	s_cmp_eq_u32 s24, 46
	s_mov_b32 s28, 0
	s_cbranch_scc0 .LBB62_1786
; %bb.1777:
	s_wait_loadcnt 0x0
	global_load_b32 v2, v[0:1], off
	s_mov_b32 s26, -1
	s_wait_loadcnt 0x0
	v_lshlrev_b32_e32 v2, 16, v2
	s_delay_alu instid0(VALU_DEP_1)
	v_cvt_i32_f32_e32 v6, v2
	s_branch .LBB62_1788
.LBB62_1778:
	s_or_b32 exec_lo, exec_lo, s0
	s_and_saveexec_b32 s0, s23
	s_cbranch_execnz .LBB62_1847
.LBB62_1779:
	s_or_b32 exec_lo, exec_lo, s0
	s_and_saveexec_b32 s0, s25
	s_delay_alu instid0(SALU_CYCLE_1)
	s_xor_b32 s0, exec_lo, s0
	s_cbranch_execz .LBB62_1848
.LBB62_1780:
	s_wait_loadcnt 0x0
	global_load_u8 v2, v[0:1], off
	s_or_b32 s26, s26, exec_lo
	s_wait_loadcnt 0x0
	v_cmp_ne_u16_e32 vcc_lo, 0, v2
	v_cndmask_b32_e64 v6, 0, 1, vcc_lo
	s_wait_xcnt 0x0
	s_or_b32 exec_lo, exec_lo, s0
	s_and_saveexec_b32 s0, s24
	s_cbranch_execz .LBB62_1894
	s_branch .LBB62_1849
.LBB62_1781:
	s_mov_b32 s24, -1
	s_mov_b32 s27, 0
	s_mov_b32 s25, s23
                                        ; implicit-def: $vgpr6
	s_branch .LBB62_1846
.LBB62_1782:
	s_mov_b32 s25, s23
                                        ; implicit-def: $vgpr6
	s_cbranch_execnz .LBB62_1815
	s_branch .LBB62_1845
.LBB62_1783:
	s_mov_b32 s28, -1
	s_mov_b32 s25, s23
                                        ; implicit-def: $vgpr6
	s_branch .LBB62_1798
.LBB62_1784:
	s_mov_b32 s28, -1
	s_mov_b32 s25, s23
                                        ; implicit-def: $vgpr6
	s_branch .LBB62_1793
.LBB62_1785:
	s_mov_b32 s28, -1
	s_mov_b32 s25, s23
	s_branch .LBB62_1787
.LBB62_1786:
	s_mov_b32 s25, -1
.LBB62_1787:
                                        ; implicit-def: $vgpr6
.LBB62_1788:
	s_and_b32 vcc_lo, exec_lo, s28
	s_cbranch_vccz .LBB62_1792
; %bb.1789:
	s_cmp_eq_u32 s24, 44
	s_cbranch_scc0 .LBB62_1791
; %bb.1790:
	s_wait_loadcnt 0x0
	global_load_u8 v2, v[0:1], off
	s_mov_b32 s25, 0
	s_mov_b32 s26, -1
	s_wait_loadcnt 0x0
	v_lshlrev_b32_e32 v3, 23, v2
	v_cmp_ne_u32_e32 vcc_lo, 0, v2
	s_delay_alu instid0(VALU_DEP_2) | instskip(NEXT) | instid1(VALU_DEP_1)
	v_cvt_i32_f32_e32 v3, v3
	v_cndmask_b32_e32 v6, 0, v3, vcc_lo
	s_branch .LBB62_1792
.LBB62_1791:
	s_mov_b32 s25, -1
                                        ; implicit-def: $vgpr6
.LBB62_1792:
	s_mov_b32 s28, 0
.LBB62_1793:
	s_delay_alu instid0(SALU_CYCLE_1)
	s_and_b32 vcc_lo, exec_lo, s28
	s_cbranch_vccz .LBB62_1797
; %bb.1794:
	s_cmp_eq_u32 s24, 29
	s_cbranch_scc0 .LBB62_1796
; %bb.1795:
	global_load_b32 v6, v[0:1], off
	s_mov_b32 s25, 0
	s_mov_b32 s26, -1
	s_branch .LBB62_1797
.LBB62_1796:
	s_mov_b32 s25, -1
                                        ; implicit-def: $vgpr6
.LBB62_1797:
	s_mov_b32 s28, 0
.LBB62_1798:
	s_delay_alu instid0(SALU_CYCLE_1)
	s_and_b32 vcc_lo, exec_lo, s28
	s_cbranch_vccz .LBB62_1814
; %bb.1799:
	s_cmp_lt_i32 s24, 27
	s_cbranch_scc1 .LBB62_1802
; %bb.1800:
	s_cmp_gt_i32 s24, 27
	s_cbranch_scc0 .LBB62_1803
; %bb.1801:
	s_wait_loadcnt 0x0
	global_load_b32 v6, v[0:1], off
	s_mov_b32 s26, 0
	s_branch .LBB62_1804
.LBB62_1802:
	s_mov_b32 s26, -1
                                        ; implicit-def: $vgpr6
	s_branch .LBB62_1807
.LBB62_1803:
	s_mov_b32 s26, -1
                                        ; implicit-def: $vgpr6
.LBB62_1804:
	s_delay_alu instid0(SALU_CYCLE_1)
	s_and_not1_b32 vcc_lo, exec_lo, s26
	s_cbranch_vccnz .LBB62_1806
; %bb.1805:
	s_wait_loadcnt 0x0
	global_load_u16 v6, v[0:1], off
.LBB62_1806:
	s_mov_b32 s26, 0
.LBB62_1807:
	s_delay_alu instid0(SALU_CYCLE_1)
	s_and_not1_b32 vcc_lo, exec_lo, s26
	s_cbranch_vccnz .LBB62_1813
; %bb.1808:
	s_wait_loadcnt 0x0
	global_load_u8 v2, v[0:1], off
	s_mov_b32 s28, 0
	s_mov_b32 s26, exec_lo
	s_wait_loadcnt 0x0
	v_cmpx_lt_i16_e32 0x7f, v2
	s_xor_b32 s26, exec_lo, s26
	s_cbranch_execz .LBB62_1824
; %bb.1809:
	v_cmp_ne_u16_e32 vcc_lo, 0x80, v2
	s_and_b32 s28, vcc_lo, exec_lo
	s_and_not1_saveexec_b32 s26, s26
	s_cbranch_execnz .LBB62_1825
.LBB62_1810:
	s_or_b32 exec_lo, exec_lo, s26
	v_mov_b32_e32 v6, 0
	s_and_saveexec_b32 s26, s28
	s_cbranch_execz .LBB62_1812
.LBB62_1811:
	v_and_b32_e32 v3, 0xffff, v2
	s_delay_alu instid0(VALU_DEP_1) | instskip(SKIP_1) | instid1(VALU_DEP_2)
	v_dual_lshlrev_b32 v2, 24, v2 :: v_dual_bitop2_b32 v6, 7, v3 bitop3:0x40
	v_bfe_u32 v10, v3, 3, 4
	v_and_b32_e32 v2, 0x80000000, v2
	s_delay_alu instid0(VALU_DEP_3) | instskip(NEXT) | instid1(VALU_DEP_3)
	v_clz_i32_u32_e32 v7, v6
	v_cmp_eq_u32_e32 vcc_lo, 0, v10
	s_delay_alu instid0(VALU_DEP_2) | instskip(NEXT) | instid1(VALU_DEP_1)
	v_min_u32_e32 v7, 32, v7
	v_subrev_nc_u32_e32 v9, 28, v7
	v_sub_nc_u32_e32 v7, 29, v7
	s_delay_alu instid0(VALU_DEP_2) | instskip(NEXT) | instid1(VALU_DEP_2)
	v_lshlrev_b32_e32 v3, v9, v3
	v_cndmask_b32_e32 v7, v10, v7, vcc_lo
	s_delay_alu instid0(VALU_DEP_2) | instskip(NEXT) | instid1(VALU_DEP_1)
	v_and_b32_e32 v3, 7, v3
	v_cndmask_b32_e32 v3, v6, v3, vcc_lo
	s_delay_alu instid0(VALU_DEP_3) | instskip(NEXT) | instid1(VALU_DEP_2)
	v_lshl_add_u32 v6, v7, 23, 0x3b800000
	v_lshlrev_b32_e32 v3, 20, v3
	s_delay_alu instid0(VALU_DEP_1) | instskip(NEXT) | instid1(VALU_DEP_1)
	v_or3_b32 v2, v2, v6, v3
	v_cvt_i32_f32_e32 v6, v2
.LBB62_1812:
	s_or_b32 exec_lo, exec_lo, s26
.LBB62_1813:
	s_mov_b32 s26, -1
.LBB62_1814:
	s_branch .LBB62_1845
.LBB62_1815:
	s_cmp_gt_i32 s24, 22
	s_cbranch_scc0 .LBB62_1823
; %bb.1816:
	s_cmp_lt_i32 s24, 24
	s_cbranch_scc1 .LBB62_1826
; %bb.1817:
	s_cmp_gt_i32 s24, 24
	s_cbranch_scc0 .LBB62_1827
; %bb.1818:
	s_wait_loadcnt 0x0
	global_load_u8 v2, v[0:1], off
	s_mov_b32 s26, exec_lo
	s_wait_loadcnt 0x0
	v_cmpx_lt_i16_e32 0x7f, v2
	s_xor_b32 s26, exec_lo, s26
	s_cbranch_execz .LBB62_1839
; %bb.1819:
	v_cmp_ne_u16_e32 vcc_lo, 0x80, v2
	s_and_b32 s27, vcc_lo, exec_lo
	s_and_not1_saveexec_b32 s26, s26
	s_cbranch_execnz .LBB62_1840
.LBB62_1820:
	s_or_b32 exec_lo, exec_lo, s26
	v_mov_b32_e32 v6, 0
	s_and_saveexec_b32 s26, s27
	s_cbranch_execz .LBB62_1822
.LBB62_1821:
	v_and_b32_e32 v3, 0xffff, v2
	s_delay_alu instid0(VALU_DEP_1) | instskip(SKIP_1) | instid1(VALU_DEP_2)
	v_dual_lshlrev_b32 v2, 24, v2 :: v_dual_bitop2_b32 v6, 3, v3 bitop3:0x40
	v_bfe_u32 v10, v3, 2, 5
	v_and_b32_e32 v2, 0x80000000, v2
	s_delay_alu instid0(VALU_DEP_3) | instskip(NEXT) | instid1(VALU_DEP_3)
	v_clz_i32_u32_e32 v7, v6
	v_cmp_eq_u32_e32 vcc_lo, 0, v10
	s_delay_alu instid0(VALU_DEP_2) | instskip(NEXT) | instid1(VALU_DEP_1)
	v_min_u32_e32 v7, 32, v7
	v_subrev_nc_u32_e32 v9, 29, v7
	v_sub_nc_u32_e32 v7, 30, v7
	s_delay_alu instid0(VALU_DEP_2) | instskip(NEXT) | instid1(VALU_DEP_2)
	v_lshlrev_b32_e32 v3, v9, v3
	v_cndmask_b32_e32 v7, v10, v7, vcc_lo
	s_delay_alu instid0(VALU_DEP_2) | instskip(NEXT) | instid1(VALU_DEP_1)
	v_and_b32_e32 v3, 3, v3
	v_cndmask_b32_e32 v3, v6, v3, vcc_lo
	s_delay_alu instid0(VALU_DEP_3) | instskip(NEXT) | instid1(VALU_DEP_2)
	v_lshl_add_u32 v6, v7, 23, 0x37800000
	v_lshlrev_b32_e32 v3, 21, v3
	s_delay_alu instid0(VALU_DEP_1) | instskip(NEXT) | instid1(VALU_DEP_1)
	v_or3_b32 v2, v2, v6, v3
	v_cvt_i32_f32_e32 v6, v2
.LBB62_1822:
	s_or_b32 exec_lo, exec_lo, s26
	s_mov_b32 s26, 0
	s_branch .LBB62_1828
.LBB62_1823:
	s_mov_b32 s27, -1
                                        ; implicit-def: $vgpr6
	s_branch .LBB62_1834
.LBB62_1824:
	s_and_not1_saveexec_b32 s26, s26
	s_cbranch_execz .LBB62_1810
.LBB62_1825:
	v_cmp_ne_u16_e32 vcc_lo, 0, v2
	s_and_not1_b32 s28, s28, exec_lo
	s_and_b32 s29, vcc_lo, exec_lo
	s_delay_alu instid0(SALU_CYCLE_1)
	s_or_b32 s28, s28, s29
	s_or_b32 exec_lo, exec_lo, s26
	v_mov_b32_e32 v6, 0
	s_and_saveexec_b32 s26, s28
	s_cbranch_execnz .LBB62_1811
	s_branch .LBB62_1812
.LBB62_1826:
	s_mov_b32 s26, -1
                                        ; implicit-def: $vgpr6
	s_branch .LBB62_1831
.LBB62_1827:
	s_mov_b32 s26, -1
                                        ; implicit-def: $vgpr6
.LBB62_1828:
	s_delay_alu instid0(SALU_CYCLE_1)
	s_and_b32 vcc_lo, exec_lo, s26
	s_cbranch_vccz .LBB62_1830
; %bb.1829:
	s_wait_loadcnt 0x0
	global_load_u8 v2, v[0:1], off
	s_wait_loadcnt 0x0
	v_lshlrev_b32_e32 v2, 24, v2
	s_delay_alu instid0(VALU_DEP_1) | instskip(NEXT) | instid1(VALU_DEP_1)
	v_and_b32_e32 v3, 0x7f000000, v2
	v_clz_i32_u32_e32 v6, v3
	v_add_nc_u32_e32 v9, 0x1000000, v3
	v_cmp_ne_u32_e32 vcc_lo, 0, v3
	s_delay_alu instid0(VALU_DEP_3) | instskip(NEXT) | instid1(VALU_DEP_1)
	v_min_u32_e32 v6, 32, v6
	v_sub_nc_u32_e64 v6, v6, 4 clamp
	s_delay_alu instid0(VALU_DEP_1) | instskip(NEXT) | instid1(VALU_DEP_1)
	v_dual_lshlrev_b32 v7, v6, v3 :: v_dual_lshlrev_b32 v6, 23, v6
	v_lshrrev_b32_e32 v7, 4, v7
	s_delay_alu instid0(VALU_DEP_1) | instskip(NEXT) | instid1(VALU_DEP_1)
	v_dual_sub_nc_u32 v6, v7, v6 :: v_dual_ashrrev_i32 v7, 8, v9
	v_add_nc_u32_e32 v6, 0x3c000000, v6
	s_delay_alu instid0(VALU_DEP_1) | instskip(NEXT) | instid1(VALU_DEP_1)
	v_and_or_b32 v6, 0x7f800000, v7, v6
	v_cndmask_b32_e32 v3, 0, v6, vcc_lo
	s_delay_alu instid0(VALU_DEP_1) | instskip(NEXT) | instid1(VALU_DEP_1)
	v_and_or_b32 v2, 0x80000000, v2, v3
	v_cvt_i32_f32_e32 v6, v2
.LBB62_1830:
	s_mov_b32 s26, 0
.LBB62_1831:
	s_delay_alu instid0(SALU_CYCLE_1)
	s_and_not1_b32 vcc_lo, exec_lo, s26
	s_cbranch_vccnz .LBB62_1833
; %bb.1832:
	s_wait_loadcnt 0x0
	global_load_u8 v2, v[0:1], off
	s_wait_loadcnt 0x0
	v_lshlrev_b32_e32 v3, 25, v2
	v_lshlrev_b16 v2, 8, v2
	s_delay_alu instid0(VALU_DEP_1) | instskip(SKIP_1) | instid1(VALU_DEP_2)
	v_and_or_b32 v7, 0x7f00, v2, 0.5
	v_bfe_i32 v2, v2, 0, 16
	v_add_f32_e32 v7, -0.5, v7
	v_lshrrev_b32_e32 v6, 4, v3
	v_cmp_gt_u32_e32 vcc_lo, 0x8000000, v3
	s_delay_alu instid0(VALU_DEP_2) | instskip(NEXT) | instid1(VALU_DEP_1)
	v_or_b32_e32 v6, 0x70000000, v6
	v_mul_f32_e32 v6, 0x7800000, v6
	s_delay_alu instid0(VALU_DEP_1) | instskip(NEXT) | instid1(VALU_DEP_1)
	v_cndmask_b32_e32 v3, v6, v7, vcc_lo
	v_and_or_b32 v2, 0x80000000, v2, v3
	s_delay_alu instid0(VALU_DEP_1)
	v_cvt_i32_f32_e32 v6, v2
.LBB62_1833:
	s_mov_b32 s27, 0
	s_mov_b32 s26, -1
.LBB62_1834:
	s_and_not1_b32 vcc_lo, exec_lo, s27
	s_mov_b32 s27, 0
	s_cbranch_vccnz .LBB62_1845
; %bb.1835:
	s_cmp_gt_i32 s24, 14
	s_cbranch_scc0 .LBB62_1838
; %bb.1836:
	s_cmp_eq_u32 s24, 15
	s_cbranch_scc0 .LBB62_1841
; %bb.1837:
	s_wait_loadcnt 0x0
	global_load_u16 v2, v[0:1], off
	s_mov_b32 s25, 0
	s_mov_b32 s26, -1
	s_wait_loadcnt 0x0
	v_lshlrev_b32_e32 v2, 16, v2
	s_delay_alu instid0(VALU_DEP_1)
	v_cvt_i32_f32_e32 v6, v2
	s_branch .LBB62_1843
.LBB62_1838:
	s_mov_b32 s27, -1
	s_branch .LBB62_1842
.LBB62_1839:
	s_and_not1_saveexec_b32 s26, s26
	s_cbranch_execz .LBB62_1820
.LBB62_1840:
	v_cmp_ne_u16_e32 vcc_lo, 0, v2
	s_and_not1_b32 s27, s27, exec_lo
	s_and_b32 s28, vcc_lo, exec_lo
	s_delay_alu instid0(SALU_CYCLE_1)
	s_or_b32 s27, s27, s28
	s_or_b32 exec_lo, exec_lo, s26
	v_mov_b32_e32 v6, 0
	s_and_saveexec_b32 s26, s27
	s_cbranch_execnz .LBB62_1821
	s_branch .LBB62_1822
.LBB62_1841:
	s_mov_b32 s25, -1
.LBB62_1842:
                                        ; implicit-def: $vgpr6
.LBB62_1843:
	s_and_b32 vcc_lo, exec_lo, s27
	s_mov_b32 s27, 0
	s_cbranch_vccz .LBB62_1845
; %bb.1844:
	s_cmp_lg_u32 s24, 11
	s_mov_b32 s27, -1
	s_cselect_b32 s24, -1, 0
	s_and_not1_b32 s25, s25, exec_lo
	s_and_b32 s24, s24, exec_lo
	s_delay_alu instid0(SALU_CYCLE_1)
	s_or_b32 s25, s25, s24
.LBB62_1845:
	s_mov_b32 s24, 0
.LBB62_1846:
	s_and_not1_b32 s23, s23, exec_lo
	s_and_b32 s28, s25, exec_lo
	s_and_b32 s26, s26, exec_lo
	;; [unrolled: 1-line block ×4, first 2 shown]
	s_or_b32 s23, s23, s28
	s_wait_xcnt 0x0
	s_or_b32 exec_lo, exec_lo, s0
	s_and_saveexec_b32 s0, s23
	s_cbranch_execz .LBB62_1779
.LBB62_1847:
	s_or_b32 s22, s22, exec_lo
	s_and_not1_b32 s25, s25, exec_lo
	s_trap 2
	s_or_b32 exec_lo, exec_lo, s0
	s_and_saveexec_b32 s0, s25
	s_delay_alu instid0(SALU_CYCLE_1)
	s_xor_b32 s0, exec_lo, s0
	s_cbranch_execnz .LBB62_1780
.LBB62_1848:
	s_or_b32 exec_lo, exec_lo, s0
	s_and_saveexec_b32 s0, s24
	s_cbranch_execz .LBB62_1894
.LBB62_1849:
	s_sext_i32_i16 s23, s1
	s_delay_alu instid0(SALU_CYCLE_1)
	s_cmp_lt_i32 s23, 5
	s_cbranch_scc1 .LBB62_1854
; %bb.1850:
	s_cmp_lt_i32 s23, 8
	s_cbranch_scc1 .LBB62_1855
; %bb.1851:
	;; [unrolled: 3-line block ×3, first 2 shown]
	s_cmp_gt_i32 s23, 9
	s_cbranch_scc0 .LBB62_1857
; %bb.1853:
	s_wait_loadcnt 0x0
	global_load_b64 v[2:3], v[0:1], off
	s_mov_b32 s23, 0
	s_wait_loadcnt 0x0
	v_cvt_i32_f64_e32 v6, v[2:3]
	s_branch .LBB62_1858
.LBB62_1854:
                                        ; implicit-def: $vgpr6
	s_branch .LBB62_1875
.LBB62_1855:
                                        ; implicit-def: $vgpr6
	s_branch .LBB62_1864
.LBB62_1856:
	s_mov_b32 s23, -1
                                        ; implicit-def: $vgpr6
	s_branch .LBB62_1861
.LBB62_1857:
	s_mov_b32 s23, -1
                                        ; implicit-def: $vgpr6
.LBB62_1858:
	s_delay_alu instid0(SALU_CYCLE_1)
	s_and_not1_b32 vcc_lo, exec_lo, s23
	s_cbranch_vccnz .LBB62_1860
; %bb.1859:
	s_wait_loadcnt 0x0
	global_load_b32 v2, v[0:1], off
	s_wait_loadcnt 0x0
	v_cvt_i32_f32_e32 v6, v2
.LBB62_1860:
	s_mov_b32 s23, 0
.LBB62_1861:
	s_delay_alu instid0(SALU_CYCLE_1)
	s_and_not1_b32 vcc_lo, exec_lo, s23
	s_cbranch_vccnz .LBB62_1863
; %bb.1862:
	s_wait_loadcnt 0x0
	global_load_b32 v2, v[0:1], off
	s_wait_loadcnt 0x0
	v_cvt_f32_f16_e32 v2, v2
	s_delay_alu instid0(VALU_DEP_1)
	v_cvt_i32_f32_e32 v6, v2
.LBB62_1863:
	s_cbranch_execnz .LBB62_1874
.LBB62_1864:
	s_sext_i32_i16 s23, s1
	s_delay_alu instid0(SALU_CYCLE_1)
	s_cmp_lt_i32 s23, 6
	s_cbranch_scc1 .LBB62_1867
; %bb.1865:
	s_cmp_gt_i32 s23, 6
	s_cbranch_scc0 .LBB62_1868
; %bb.1866:
	s_wait_loadcnt 0x0
	global_load_b64 v[2:3], v[0:1], off
	s_mov_b32 s23, 0
	s_wait_loadcnt 0x0
	v_cvt_i32_f64_e32 v6, v[2:3]
	s_branch .LBB62_1869
.LBB62_1867:
	s_mov_b32 s23, -1
                                        ; implicit-def: $vgpr6
	s_branch .LBB62_1872
.LBB62_1868:
	s_mov_b32 s23, -1
                                        ; implicit-def: $vgpr6
.LBB62_1869:
	s_delay_alu instid0(SALU_CYCLE_1)
	s_and_not1_b32 vcc_lo, exec_lo, s23
	s_cbranch_vccnz .LBB62_1871
; %bb.1870:
	s_wait_loadcnt 0x0
	global_load_b32 v2, v[0:1], off
	s_wait_loadcnt 0x0
	v_cvt_i32_f32_e32 v6, v2
.LBB62_1871:
	s_mov_b32 s23, 0
.LBB62_1872:
	s_delay_alu instid0(SALU_CYCLE_1)
	s_and_not1_b32 vcc_lo, exec_lo, s23
	s_cbranch_vccnz .LBB62_1874
; %bb.1873:
	s_wait_loadcnt 0x0
	global_load_u16 v2, v[0:1], off
	s_wait_loadcnt 0x0
	v_cvt_f32_f16_e32 v2, v2
	s_delay_alu instid0(VALU_DEP_1)
	v_cvt_i32_f32_e32 v6, v2
.LBB62_1874:
	s_cbranch_execnz .LBB62_1893
.LBB62_1875:
	s_sext_i32_i16 s23, s1
	s_delay_alu instid0(SALU_CYCLE_1)
	s_cmp_lt_i32 s23, 2
	s_cbranch_scc1 .LBB62_1879
; %bb.1876:
	s_cmp_lt_i32 s23, 3
	s_cbranch_scc1 .LBB62_1880
; %bb.1877:
	s_cmp_gt_i32 s23, 3
	s_cbranch_scc0 .LBB62_1881
; %bb.1878:
	s_wait_loadcnt 0x0
	global_load_b32 v6, v[0:1], off
	s_mov_b32 s23, 0
	s_branch .LBB62_1882
.LBB62_1879:
                                        ; implicit-def: $vgpr6
	s_branch .LBB62_1888
.LBB62_1880:
	s_mov_b32 s23, -1
                                        ; implicit-def: $vgpr6
	s_branch .LBB62_1885
.LBB62_1881:
	s_mov_b32 s23, -1
                                        ; implicit-def: $vgpr6
.LBB62_1882:
	s_delay_alu instid0(SALU_CYCLE_1)
	s_and_not1_b32 vcc_lo, exec_lo, s23
	s_cbranch_vccnz .LBB62_1884
; %bb.1883:
	s_wait_loadcnt 0x0
	global_load_b32 v6, v[0:1], off
.LBB62_1884:
	s_mov_b32 s23, 0
.LBB62_1885:
	s_delay_alu instid0(SALU_CYCLE_1)
	s_and_not1_b32 vcc_lo, exec_lo, s23
	s_cbranch_vccnz .LBB62_1887
; %bb.1886:
	s_wait_loadcnt 0x0
	global_load_i16 v6, v[0:1], off
.LBB62_1887:
	s_cbranch_execnz .LBB62_1893
.LBB62_1888:
	s_sext_i32_i16 s23, s1
	s_delay_alu instid0(SALU_CYCLE_1)
	s_cmp_gt_i32 s23, 0
	s_mov_b32 s23, 0
	s_cbranch_scc0 .LBB62_1890
; %bb.1889:
	s_wait_loadcnt 0x0
	global_load_i8 v6, v[0:1], off
	s_branch .LBB62_1891
.LBB62_1890:
	s_mov_b32 s23, -1
                                        ; implicit-def: $vgpr6
.LBB62_1891:
	s_delay_alu instid0(SALU_CYCLE_1)
	s_and_not1_b32 vcc_lo, exec_lo, s23
	s_cbranch_vccnz .LBB62_1893
; %bb.1892:
	s_wait_loadcnt 0x0
	global_load_u8 v6, v[0:1], off
.LBB62_1893:
	s_or_b32 s26, s26, exec_lo
.LBB62_1894:
	s_wait_xcnt 0x0
	s_or_b32 exec_lo, exec_lo, s0
	s_mov_b32 s0, 0
	s_mov_b32 s25, 0
                                        ; implicit-def: $sgpr23
                                        ; implicit-def: $vgpr2_vgpr3
                                        ; implicit-def: $vgpr0
	s_and_saveexec_b32 s24, s26
	s_cbranch_execz .LBB62_1902
; %bb.1895:
	s_wait_loadcnt 0x0
	v_mul_lo_u32 v2, v8, s12
	v_mul_lo_u32 v0, v4, s16
	;; [unrolled: 1-line block ×3, first 2 shown]
	s_and_b32 s23, s18, 0xff
	s_delay_alu instid0(SALU_CYCLE_1) | instskip(NEXT) | instid1(VALU_DEP_3)
	s_cmp_lt_i32 s23, 11
	v_ashrrev_i32_e32 v3, 31, v2
	s_delay_alu instid0(VALU_DEP_2) | instskip(NEXT) | instid1(VALU_DEP_2)
	v_mad_u32 v0, v1, v6, v0
	v_add_nc_u64_e32 v[2:3], s[4:5], v[2:3]
	s_cbranch_scc1 .LBB62_1905
; %bb.1896:
	s_and_b32 s25, 0xffff, s23
	s_mov_b32 s26, -1
	s_cmp_gt_i32 s25, 25
	s_mov_b32 s0, s21
	s_cbranch_scc0 .LBB62_1933
; %bb.1897:
	s_cmp_gt_i32 s25, 28
	s_mov_b32 s0, s21
	s_cbranch_scc0 .LBB62_1917
; %bb.1898:
	;; [unrolled: 4-line block ×4, first 2 shown]
	s_cmp_eq_u32 s25, 46
	s_mov_b32 s0, -1
	s_cbranch_scc0 .LBB62_1906
; %bb.1901:
	v_cvt_f32_i32_e32 v1, v0
	s_mov_b32 s0, 0
	s_mov_b32 s26, 0
	s_delay_alu instid0(VALU_DEP_1) | instskip(NEXT) | instid1(VALU_DEP_1)
	v_bfe_u32 v4, v1, 16, 1
	v_add3_u32 v1, v1, v4, 0x7fff
	s_delay_alu instid0(VALU_DEP_1)
	v_lshrrev_b32_e32 v1, 16, v1
	global_store_b32 v[2:3], v1, off
	s_branch .LBB62_1907
.LBB62_1902:
	s_or_b32 exec_lo, exec_lo, s24
	s_and_saveexec_b32 s24, s21
	s_cbranch_execnz .LBB62_1975
.LBB62_1903:
	s_or_b32 exec_lo, exec_lo, s24
	s_and_saveexec_b32 s21, s0
	s_delay_alu instid0(SALU_CYCLE_1)
	s_xor_b32 s0, exec_lo, s21
	s_cbranch_execz .LBB62_1976
.LBB62_1904:
	v_cmp_ne_u32_e32 vcc_lo, 0, v0
	v_cndmask_b32_e64 v1, 0, 1, vcc_lo
	s_wait_loadcnt 0x0
	global_store_b8 v[2:3], v1, off
	s_wait_xcnt 0x0
	s_or_b32 exec_lo, exec_lo, s0
	s_and_saveexec_b32 s0, s25
	s_delay_alu instid0(SALU_CYCLE_1)
	s_xor_b32 s0, exec_lo, s0
	s_cbranch_execz .LBB62_2014
	s_branch .LBB62_1977
.LBB62_1905:
	s_mov_b32 s27, 0
	s_mov_b32 s26, -1
	s_mov_b32 s0, s21
	s_branch .LBB62_1974
.LBB62_1906:
	s_mov_b32 s26, 0
.LBB62_1907:
	s_delay_alu instid0(SALU_CYCLE_1)
	s_and_b32 vcc_lo, exec_lo, s26
	s_cbranch_vccz .LBB62_1912
; %bb.1908:
	s_cmp_eq_u32 s25, 44
	s_mov_b32 s0, -1
	s_cbranch_scc0 .LBB62_1912
; %bb.1909:
	s_wait_xcnt 0x0
	v_cvt_f32_i32_e32 v1, v0
	v_mov_b32_e32 v4, 0xff
	s_mov_b32 s26, exec_lo
	s_delay_alu instid0(VALU_DEP_2) | instskip(NEXT) | instid1(VALU_DEP_1)
	v_bfe_u32 v5, v1, 23, 8
	v_cmpx_ne_u32_e32 0xff, v5
	s_cbranch_execz .LBB62_1911
; %bb.1910:
	v_and_b32_e32 v4, 0x400000, v1
	v_and_or_b32 v5, 0x3fffff, v1, v5
	v_lshrrev_b32_e32 v1, 23, v1
	s_delay_alu instid0(VALU_DEP_3) | instskip(NEXT) | instid1(VALU_DEP_3)
	v_cmp_ne_u32_e32 vcc_lo, 0, v4
	v_cmp_ne_u32_e64 s0, 0, v5
	s_and_b32 s0, vcc_lo, s0
	s_delay_alu instid0(SALU_CYCLE_1) | instskip(NEXT) | instid1(VALU_DEP_1)
	v_cndmask_b32_e64 v4, 0, 1, s0
	v_add_nc_u32_e32 v4, v1, v4
.LBB62_1911:
	s_or_b32 exec_lo, exec_lo, s26
	s_mov_b32 s0, 0
	global_store_b8 v[2:3], v4, off
.LBB62_1912:
	s_mov_b32 s26, 0
.LBB62_1913:
	s_delay_alu instid0(SALU_CYCLE_1)
	s_and_b32 vcc_lo, exec_lo, s26
	s_cbranch_vccz .LBB62_1916
; %bb.1914:
	s_cmp_eq_u32 s25, 29
	s_mov_b32 s0, -1
	s_cbranch_scc0 .LBB62_1916
; %bb.1915:
	s_wait_xcnt 0x0
	v_ashrrev_i32_e32 v1, 31, v0
	s_mov_b32 s0, 0
	s_mov_b32 s26, 0
	global_store_b64 v[2:3], v[0:1], off
	s_branch .LBB62_1917
.LBB62_1916:
	s_mov_b32 s26, 0
.LBB62_1917:
	s_delay_alu instid0(SALU_CYCLE_1)
	s_and_b32 vcc_lo, exec_lo, s26
	s_cbranch_vccz .LBB62_1932
; %bb.1918:
	s_cmp_lt_i32 s25, 27
	s_mov_b32 s26, -1
	s_cbranch_scc1 .LBB62_1924
; %bb.1919:
	s_cmp_gt_i32 s25, 27
	s_cbranch_scc0 .LBB62_1921
; %bb.1920:
	s_mov_b32 s26, 0
	global_store_b32 v[2:3], v0, off
.LBB62_1921:
	s_and_not1_b32 vcc_lo, exec_lo, s26
	s_cbranch_vccnz .LBB62_1923
; %bb.1922:
	global_store_b16 v[2:3], v0, off
.LBB62_1923:
	s_mov_b32 s26, 0
.LBB62_1924:
	s_delay_alu instid0(SALU_CYCLE_1)
	s_and_not1_b32 vcc_lo, exec_lo, s26
	s_cbranch_vccnz .LBB62_1932
; %bb.1925:
	s_wait_xcnt 0x0
	v_cvt_f32_i32_e32 v1, v0
	v_mov_b32_e32 v5, 0x80
	s_mov_b32 s26, exec_lo
	s_delay_alu instid0(VALU_DEP_2) | instskip(NEXT) | instid1(VALU_DEP_1)
	v_and_b32_e32 v4, 0x7fffffff, v1
	v_cmpx_gt_u32_e32 0x43800000, v4
	s_cbranch_execz .LBB62_1931
; %bb.1926:
	v_cmp_lt_u32_e32 vcc_lo, 0x3bffffff, v4
	s_mov_b32 s27, 0
                                        ; implicit-def: $vgpr4
	s_and_saveexec_b32 s28, vcc_lo
	s_delay_alu instid0(SALU_CYCLE_1)
	s_xor_b32 s28, exec_lo, s28
	s_cbranch_execz .LBB62_2029
; %bb.1927:
	v_bfe_u32 v4, v1, 20, 1
	s_mov_b32 s27, exec_lo
	s_delay_alu instid0(VALU_DEP_1) | instskip(NEXT) | instid1(VALU_DEP_1)
	v_add3_u32 v4, v1, v4, 0x487ffff
	v_lshrrev_b32_e32 v4, 20, v4
	s_and_not1_saveexec_b32 s28, s28
	s_cbranch_execnz .LBB62_2030
.LBB62_1928:
	s_or_b32 exec_lo, exec_lo, s28
	v_mov_b32_e32 v5, 0
	s_and_saveexec_b32 s28, s27
.LBB62_1929:
	v_lshrrev_b32_e32 v1, 24, v1
	s_delay_alu instid0(VALU_DEP_1)
	v_and_or_b32 v5, 0x80, v1, v4
.LBB62_1930:
	s_or_b32 exec_lo, exec_lo, s28
.LBB62_1931:
	s_delay_alu instid0(SALU_CYCLE_1)
	s_or_b32 exec_lo, exec_lo, s26
	global_store_b8 v[2:3], v5, off
.LBB62_1932:
	s_mov_b32 s26, 0
.LBB62_1933:
	s_delay_alu instid0(SALU_CYCLE_1)
	s_and_b32 vcc_lo, exec_lo, s26
	s_mov_b32 s26, 0
	s_cbranch_vccz .LBB62_1973
; %bb.1934:
	s_cmp_gt_i32 s25, 22
	s_mov_b32 s27, -1
	s_cbranch_scc0 .LBB62_1966
; %bb.1935:
	s_cmp_lt_i32 s25, 24
	s_cbranch_scc1 .LBB62_1955
; %bb.1936:
	s_cmp_gt_i32 s25, 24
	s_cbranch_scc0 .LBB62_1944
; %bb.1937:
	s_wait_xcnt 0x0
	v_cvt_f32_i32_e32 v1, v0
	v_mov_b32_e32 v5, 0x80
	s_mov_b32 s27, exec_lo
	s_delay_alu instid0(VALU_DEP_2) | instskip(NEXT) | instid1(VALU_DEP_1)
	v_and_b32_e32 v4, 0x7fffffff, v1
	v_cmpx_gt_u32_e32 0x47800000, v4
	s_cbranch_execz .LBB62_1943
; %bb.1938:
	v_cmp_lt_u32_e32 vcc_lo, 0x37ffffff, v4
	s_mov_b32 s28, 0
                                        ; implicit-def: $vgpr4
	s_and_saveexec_b32 s29, vcc_lo
	s_delay_alu instid0(SALU_CYCLE_1)
	s_xor_b32 s29, exec_lo, s29
	s_cbranch_execz .LBB62_2150
; %bb.1939:
	v_bfe_u32 v4, v1, 21, 1
	s_mov_b32 s28, exec_lo
	s_delay_alu instid0(VALU_DEP_1) | instskip(NEXT) | instid1(VALU_DEP_1)
	v_add3_u32 v4, v1, v4, 0x88fffff
	v_lshrrev_b32_e32 v4, 21, v4
	s_and_not1_saveexec_b32 s29, s29
	s_cbranch_execnz .LBB62_2151
.LBB62_1940:
	s_or_b32 exec_lo, exec_lo, s29
	v_mov_b32_e32 v5, 0
	s_and_saveexec_b32 s29, s28
.LBB62_1941:
	v_lshrrev_b32_e32 v1, 24, v1
	s_delay_alu instid0(VALU_DEP_1)
	v_and_or_b32 v5, 0x80, v1, v4
.LBB62_1942:
	s_or_b32 exec_lo, exec_lo, s29
.LBB62_1943:
	s_delay_alu instid0(SALU_CYCLE_1)
	s_or_b32 exec_lo, exec_lo, s27
	s_mov_b32 s27, 0
	global_store_b8 v[2:3], v5, off
.LBB62_1944:
	s_and_b32 vcc_lo, exec_lo, s27
	s_cbranch_vccz .LBB62_1954
; %bb.1945:
	s_wait_xcnt 0x0
	v_cvt_f32_i32_e32 v1, v0
	s_mov_b32 s27, exec_lo
                                        ; implicit-def: $vgpr4
	s_delay_alu instid0(VALU_DEP_1) | instskip(NEXT) | instid1(VALU_DEP_1)
	v_and_b32_e32 v5, 0x7fffffff, v1
	v_cmpx_gt_u32_e32 0x43f00000, v5
	s_xor_b32 s27, exec_lo, s27
	s_cbranch_execz .LBB62_1951
; %bb.1946:
	s_mov_b32 s28, exec_lo
                                        ; implicit-def: $vgpr4
	v_cmpx_lt_u32_e32 0x3c7fffff, v5
	s_xor_b32 s28, exec_lo, s28
; %bb.1947:
	v_bfe_u32 v4, v1, 20, 1
	s_delay_alu instid0(VALU_DEP_1) | instskip(NEXT) | instid1(VALU_DEP_1)
	v_add3_u32 v4, v1, v4, 0x407ffff
	v_and_b32_e32 v5, 0xff00000, v4
	v_lshrrev_b32_e32 v4, 20, v4
	s_delay_alu instid0(VALU_DEP_2) | instskip(NEXT) | instid1(VALU_DEP_2)
	v_cmp_ne_u32_e32 vcc_lo, 0x7f00000, v5
	v_cndmask_b32_e32 v4, 0x7e, v4, vcc_lo
; %bb.1948:
	s_and_not1_saveexec_b32 s28, s28
; %bb.1949:
	v_add_f32_e64 v4, 0x46800000, |v1|
; %bb.1950:
	s_or_b32 exec_lo, exec_lo, s28
                                        ; implicit-def: $vgpr5
.LBB62_1951:
	s_and_not1_saveexec_b32 s27, s27
; %bb.1952:
	v_mov_b32_e32 v4, 0x7f
	v_cmp_lt_u32_e32 vcc_lo, 0x7f800000, v5
	s_delay_alu instid0(VALU_DEP_2)
	v_cndmask_b32_e32 v4, 0x7e, v4, vcc_lo
; %bb.1953:
	s_or_b32 exec_lo, exec_lo, s27
	v_lshrrev_b32_e32 v1, 24, v1
	s_delay_alu instid0(VALU_DEP_1)
	v_and_or_b32 v1, 0x80, v1, v4
	global_store_b8 v[2:3], v1, off
.LBB62_1954:
	s_mov_b32 s27, 0
.LBB62_1955:
	s_delay_alu instid0(SALU_CYCLE_1)
	s_and_not1_b32 vcc_lo, exec_lo, s27
	s_cbranch_vccnz .LBB62_1965
; %bb.1956:
	s_wait_xcnt 0x0
	v_cvt_f32_i32_e32 v1, v0
	s_mov_b32 s27, exec_lo
                                        ; implicit-def: $vgpr4
	s_delay_alu instid0(VALU_DEP_1) | instskip(NEXT) | instid1(VALU_DEP_1)
	v_and_b32_e32 v5, 0x7fffffff, v1
	v_cmpx_gt_u32_e32 0x47800000, v5
	s_xor_b32 s27, exec_lo, s27
	s_cbranch_execz .LBB62_1962
; %bb.1957:
	s_mov_b32 s28, exec_lo
                                        ; implicit-def: $vgpr4
	v_cmpx_lt_u32_e32 0x387fffff, v5
	s_xor_b32 s28, exec_lo, s28
; %bb.1958:
	v_bfe_u32 v4, v1, 21, 1
	s_delay_alu instid0(VALU_DEP_1) | instskip(NEXT) | instid1(VALU_DEP_1)
	v_add3_u32 v4, v1, v4, 0x80fffff
	v_lshrrev_b32_e32 v4, 21, v4
; %bb.1959:
	s_and_not1_saveexec_b32 s28, s28
; %bb.1960:
	v_add_f32_e64 v4, 0x43000000, |v1|
; %bb.1961:
	s_or_b32 exec_lo, exec_lo, s28
                                        ; implicit-def: $vgpr5
.LBB62_1962:
	s_and_not1_saveexec_b32 s27, s27
; %bb.1963:
	v_mov_b32_e32 v4, 0x7f
	v_cmp_lt_u32_e32 vcc_lo, 0x7f800000, v5
	s_delay_alu instid0(VALU_DEP_2)
	v_cndmask_b32_e32 v4, 0x7c, v4, vcc_lo
; %bb.1964:
	s_or_b32 exec_lo, exec_lo, s27
	v_lshrrev_b32_e32 v1, 24, v1
	s_delay_alu instid0(VALU_DEP_1)
	v_and_or_b32 v1, 0x80, v1, v4
	global_store_b8 v[2:3], v1, off
.LBB62_1965:
	s_mov_b32 s27, 0
.LBB62_1966:
	s_delay_alu instid0(SALU_CYCLE_1)
	s_and_not1_b32 vcc_lo, exec_lo, s27
	s_mov_b32 s27, 0
	s_cbranch_vccnz .LBB62_1974
; %bb.1967:
	s_cmp_gt_i32 s25, 14
	s_mov_b32 s27, -1
	s_cbranch_scc0 .LBB62_1971
; %bb.1968:
	s_cmp_eq_u32 s25, 15
	s_mov_b32 s0, -1
	s_cbranch_scc0 .LBB62_1970
; %bb.1969:
	s_wait_xcnt 0x0
	v_cvt_f32_i32_e32 v1, v0
	s_mov_b32 s0, 0
	s_delay_alu instid0(VALU_DEP_1) | instskip(NEXT) | instid1(VALU_DEP_1)
	v_bfe_u32 v4, v1, 16, 1
	v_add3_u32 v1, v1, v4, 0x7fff
	global_store_d16_hi_b16 v[2:3], v1, off
.LBB62_1970:
	s_mov_b32 s27, 0
.LBB62_1971:
	s_delay_alu instid0(SALU_CYCLE_1)
	s_and_b32 vcc_lo, exec_lo, s27
	s_mov_b32 s27, 0
	s_cbranch_vccz .LBB62_1974
; %bb.1972:
	s_cmp_lg_u32 s25, 11
	s_mov_b32 s27, -1
	s_cselect_b32 s25, -1, 0
	s_and_not1_b32 s0, s0, exec_lo
	s_and_b32 s25, s25, exec_lo
	s_delay_alu instid0(SALU_CYCLE_1)
	s_or_b32 s0, s0, s25
	s_branch .LBB62_1974
.LBB62_1973:
	s_mov_b32 s27, 0
.LBB62_1974:
	s_and_b32 s25, s26, exec_lo
	s_and_not1_b32 s21, s21, exec_lo
	s_and_b32 s26, s0, exec_lo
	s_and_b32 s0, s27, exec_lo
	s_or_b32 s21, s21, s26
	s_wait_xcnt 0x0
	s_or_b32 exec_lo, exec_lo, s24
	s_and_saveexec_b32 s24, s21
	s_cbranch_execz .LBB62_1903
.LBB62_1975:
	s_or_b32 s22, s22, exec_lo
	s_and_not1_b32 s0, s0, exec_lo
	s_trap 2
	s_or_b32 exec_lo, exec_lo, s24
	s_and_saveexec_b32 s21, s0
	s_delay_alu instid0(SALU_CYCLE_1)
	s_xor_b32 s0, exec_lo, s21
	s_cbranch_execnz .LBB62_1904
.LBB62_1976:
	s_or_b32 exec_lo, exec_lo, s0
	s_and_saveexec_b32 s0, s25
	s_delay_alu instid0(SALU_CYCLE_1)
	s_xor_b32 s0, exec_lo, s0
	s_cbranch_execz .LBB62_2014
.LBB62_1977:
	s_sext_i32_i16 s24, s23
	s_mov_b32 s21, -1
	s_cmp_lt_i32 s24, 5
	s_cbranch_scc1 .LBB62_1998
; %bb.1978:
	s_cmp_lt_i32 s24, 8
	s_cbranch_scc1 .LBB62_1988
; %bb.1979:
	;; [unrolled: 3-line block ×3, first 2 shown]
	s_cmp_gt_i32 s24, 9
	s_cbranch_scc0 .LBB62_1982
; %bb.1981:
	s_wait_loadcnt 0x0
	v_cvt_f64_i32_e32 v[4:5], v0
	v_mov_b32_e32 v6, 0
	s_mov_b32 s21, 0
	s_delay_alu instid0(VALU_DEP_1)
	v_mov_b32_e32 v7, v6
	global_store_b128 v[2:3], v[4:7], off
.LBB62_1982:
	s_and_not1_b32 vcc_lo, exec_lo, s21
	s_cbranch_vccnz .LBB62_1984
; %bb.1983:
	s_wait_loadcnt 0x0
	v_cvt_f32_i32_e32 v4, v0
	v_mov_b32_e32 v5, 0
	global_store_b64 v[2:3], v[4:5], off
.LBB62_1984:
	s_mov_b32 s21, 0
.LBB62_1985:
	s_delay_alu instid0(SALU_CYCLE_1)
	s_and_not1_b32 vcc_lo, exec_lo, s21
	s_cbranch_vccnz .LBB62_1987
; %bb.1986:
	v_cvt_f32_i32_e32 v1, v0
	s_delay_alu instid0(VALU_DEP_1) | instskip(NEXT) | instid1(VALU_DEP_1)
	v_cvt_f16_f32_e32 v1, v1
	v_and_b32_e32 v1, 0xffff, v1
	s_wait_loadcnt 0x0
	global_store_b32 v[2:3], v1, off
.LBB62_1987:
	s_mov_b32 s21, 0
.LBB62_1988:
	s_delay_alu instid0(SALU_CYCLE_1)
	s_and_not1_b32 vcc_lo, exec_lo, s21
	s_cbranch_vccnz .LBB62_1997
; %bb.1989:
	s_sext_i32_i16 s24, s23
	s_mov_b32 s21, -1
	s_cmp_lt_i32 s24, 6
	s_cbranch_scc1 .LBB62_1995
; %bb.1990:
	s_cmp_gt_i32 s24, 6
	s_cbranch_scc0 .LBB62_1992
; %bb.1991:
	s_wait_loadcnt 0x0
	v_cvt_f64_i32_e32 v[4:5], v0
	s_mov_b32 s21, 0
	global_store_b64 v[2:3], v[4:5], off
.LBB62_1992:
	s_and_not1_b32 vcc_lo, exec_lo, s21
	s_cbranch_vccnz .LBB62_1994
; %bb.1993:
	s_wait_xcnt 0x0
	v_cvt_f32_i32_e32 v1, v0
	s_wait_loadcnt 0x0
	global_store_b32 v[2:3], v1, off
.LBB62_1994:
	s_mov_b32 s21, 0
.LBB62_1995:
	s_delay_alu instid0(SALU_CYCLE_1)
	s_and_not1_b32 vcc_lo, exec_lo, s21
	s_cbranch_vccnz .LBB62_1997
; %bb.1996:
	s_wait_xcnt 0x0
	v_cvt_f32_i32_e32 v1, v0
	s_delay_alu instid0(VALU_DEP_1)
	v_cvt_f16_f32_e32 v1, v1
	s_wait_loadcnt 0x0
	global_store_b16 v[2:3], v1, off
.LBB62_1997:
	s_mov_b32 s21, 0
.LBB62_1998:
	s_delay_alu instid0(SALU_CYCLE_1)
	s_and_not1_b32 vcc_lo, exec_lo, s21
	s_cbranch_vccnz .LBB62_2014
; %bb.1999:
	s_sext_i32_i16 s24, s23
	s_mov_b32 s21, -1
	s_cmp_lt_i32 s24, 2
	s_cbranch_scc1 .LBB62_2009
; %bb.2000:
	s_cmp_lt_i32 s24, 3
	s_cbranch_scc1 .LBB62_2006
; %bb.2001:
	s_cmp_gt_i32 s24, 3
	s_cbranch_scc0 .LBB62_2003
; %bb.2002:
	s_wait_xcnt 0x0
	v_ashrrev_i32_e32 v1, 31, v0
	s_mov_b32 s21, 0
	s_wait_loadcnt 0x0
	global_store_b64 v[2:3], v[0:1], off
.LBB62_2003:
	s_and_not1_b32 vcc_lo, exec_lo, s21
	s_cbranch_vccnz .LBB62_2005
; %bb.2004:
	s_wait_loadcnt 0x0
	global_store_b32 v[2:3], v0, off
.LBB62_2005:
	s_mov_b32 s21, 0
.LBB62_2006:
	s_delay_alu instid0(SALU_CYCLE_1)
	s_and_not1_b32 vcc_lo, exec_lo, s21
	s_cbranch_vccnz .LBB62_2008
; %bb.2007:
	s_wait_loadcnt 0x0
	global_store_b16 v[2:3], v0, off
.LBB62_2008:
	s_mov_b32 s21, 0
.LBB62_2009:
	s_delay_alu instid0(SALU_CYCLE_1)
	s_and_not1_b32 vcc_lo, exec_lo, s21
	s_cbranch_vccnz .LBB62_2014
; %bb.2010:
	s_sext_i32_i16 s21, s23
	s_delay_alu instid0(SALU_CYCLE_1)
	s_cmp_gt_i32 s21, 0
	s_mov_b32 s21, -1
	s_cbranch_scc0 .LBB62_2012
; %bb.2011:
	s_mov_b32 s21, 0
	s_wait_loadcnt 0x0
	global_store_b8 v[2:3], v0, off
.LBB62_2012:
	s_and_not1_b32 vcc_lo, exec_lo, s21
	s_cbranch_vccnz .LBB62_2014
; %bb.2013:
	s_wait_loadcnt 0x0
	global_store_b8 v[2:3], v0, off
.LBB62_2014:
	s_wait_xcnt 0x0
	s_or_b32 exec_lo, exec_lo, s0
	s_delay_alu instid0(SALU_CYCLE_1)
	s_and_b32 s21, s22, exec_lo
                                        ; implicit-def: $vgpr8
.LBB62_2015:
	s_or_saveexec_b32 s20, s20
	s_mov_b32 s0, 0
                                        ; implicit-def: $sgpr22
                                        ; implicit-def: $vgpr0_vgpr1
                                        ; implicit-def: $vgpr2
	s_xor_b32 exec_lo, exec_lo, s20
	s_cbranch_execz .LBB62_3970
; %bb.2016:
	v_mul_lo_u32 v0, s13, v8
	s_and_b32 s19, s19, 0xff
	s_delay_alu instid0(SALU_CYCLE_1) | instskip(NEXT) | instid1(VALU_DEP_1)
	s_cmp_lt_i32 s19, 11
	v_ashrrev_i32_e32 v1, 31, v0
	s_wait_loadcnt 0x0
	s_delay_alu instid0(VALU_DEP_1)
	v_add_nc_u64_e32 v[2:3], s[6:7], v[0:1]
	s_cbranch_scc1 .LBB62_2023
; %bb.2017:
	s_and_b32 s0, 0xffff, s19
	s_mov_b32 s22, 0
	s_cmp_gt_i32 s0, 25
	s_cbranch_scc0 .LBB62_2025
; %bb.2018:
	s_cmp_gt_i32 s0, 28
	s_cbranch_scc0 .LBB62_2026
; %bb.2019:
	;; [unrolled: 3-line block ×4, first 2 shown]
	s_cmp_eq_u32 s0, 46
	s_mov_b32 s24, 0
	s_cbranch_scc0 .LBB62_2031
; %bb.2022:
	global_load_b32 v1, v[2:3], off
	s_mov_b32 s23, -1
	s_wait_loadcnt 0x0
	v_lshlrev_b32_e32 v1, 16, v1
	s_delay_alu instid0(VALU_DEP_1)
	v_cvt_i32_f32_e32 v9, v1
	s_branch .LBB62_2033
.LBB62_2023:
	s_mov_b32 s23, 0
	s_mov_b32 s3, s21
                                        ; implicit-def: $vgpr9
	s_cbranch_execnz .LBB62_2091
.LBB62_2024:
	s_and_not1_b32 vcc_lo, exec_lo, s23
	s_cbranch_vccz .LBB62_2136
	s_branch .LBB62_3968
.LBB62_2025:
	s_mov_b32 s23, 0
                                        ; implicit-def: $vgpr9
	s_cbranch_execnz .LBB62_2058
	s_branch .LBB62_2087
.LBB62_2026:
	s_mov_b32 s23, 0
                                        ; implicit-def: $vgpr9
	s_cbranch_execz .LBB62_2057
	s_branch .LBB62_2042
.LBB62_2027:
	s_mov_b32 s23, 0
                                        ; implicit-def: $vgpr9
	s_cbranch_execnz .LBB62_2038
	s_branch .LBB62_2041
.LBB62_2028:
	s_mov_b32 s24, -1
	s_branch .LBB62_2032
.LBB62_2029:
	s_and_not1_saveexec_b32 s28, s28
	s_cbranch_execz .LBB62_1928
.LBB62_2030:
	v_add_f32_e64 v4, 0x46000000, |v1|
	s_and_not1_b32 s27, s27, exec_lo
	s_delay_alu instid0(VALU_DEP_1) | instskip(NEXT) | instid1(VALU_DEP_1)
	v_and_b32_e32 v4, 0xff, v4
	v_cmp_ne_u32_e32 vcc_lo, 0, v4
	s_and_b32 s29, vcc_lo, exec_lo
	s_delay_alu instid0(SALU_CYCLE_1)
	s_or_b32 s27, s27, s29
	s_or_b32 exec_lo, exec_lo, s28
	v_mov_b32_e32 v5, 0
	s_and_saveexec_b32 s28, s27
	s_cbranch_execnz .LBB62_1929
	s_branch .LBB62_1930
.LBB62_2031:
	s_mov_b32 s3, -1
.LBB62_2032:
	s_mov_b32 s23, 0
                                        ; implicit-def: $vgpr9
.LBB62_2033:
	s_and_b32 vcc_lo, exec_lo, s24
	s_cbranch_vccz .LBB62_2036
; %bb.2034:
	s_cmp_eq_u32 s0, 44
	s_cbranch_scc0 .LBB62_2037
; %bb.2035:
	global_load_u8 v1, v[2:3], off
	s_mov_b32 s3, 0
	s_mov_b32 s23, -1
	s_wait_loadcnt 0x0
	v_lshlrev_b32_e32 v4, 23, v1
	v_cmp_ne_u32_e32 vcc_lo, 0, v1
	s_delay_alu instid0(VALU_DEP_2) | instskip(NEXT) | instid1(VALU_DEP_1)
	v_cvt_i32_f32_e32 v4, v4
	v_cndmask_b32_e32 v9, 0, v4, vcc_lo
.LBB62_2036:
	s_branch .LBB62_2041
.LBB62_2037:
	s_mov_b32 s3, -1
                                        ; implicit-def: $vgpr9
	s_branch .LBB62_2041
.LBB62_2038:
	s_cmp_eq_u32 s0, 29
	s_cbranch_scc0 .LBB62_2040
; %bb.2039:
	global_load_b32 v9, v[2:3], off
	s_mov_b32 s3, 0
	s_mov_b32 s23, -1
	s_branch .LBB62_2041
.LBB62_2040:
	s_mov_b32 s3, -1
                                        ; implicit-def: $vgpr9
.LBB62_2041:
	s_branch .LBB62_2057
.LBB62_2042:
	s_cmp_lt_i32 s0, 27
	s_cbranch_scc1 .LBB62_2045
; %bb.2043:
	s_cmp_gt_i32 s0, 27
	s_cbranch_scc0 .LBB62_2046
; %bb.2044:
	s_wait_loadcnt 0x0
	global_load_b32 v9, v[2:3], off
	s_mov_b32 s23, 0
	s_branch .LBB62_2047
.LBB62_2045:
	s_mov_b32 s23, -1
                                        ; implicit-def: $vgpr9
	s_branch .LBB62_2050
.LBB62_2046:
	s_mov_b32 s23, -1
                                        ; implicit-def: $vgpr9
.LBB62_2047:
	s_delay_alu instid0(SALU_CYCLE_1)
	s_and_not1_b32 vcc_lo, exec_lo, s23
	s_cbranch_vccnz .LBB62_2049
; %bb.2048:
	s_wait_loadcnt 0x0
	global_load_u16 v9, v[2:3], off
.LBB62_2049:
	s_mov_b32 s23, 0
.LBB62_2050:
	s_delay_alu instid0(SALU_CYCLE_1)
	s_and_not1_b32 vcc_lo, exec_lo, s23
	s_cbranch_vccnz .LBB62_2056
; %bb.2051:
	global_load_u8 v1, v[2:3], off
	s_mov_b32 s24, 0
	s_mov_b32 s23, exec_lo
	s_wait_loadcnt 0x0
	v_cmpx_lt_i16_e32 0x7f, v1
	s_xor_b32 s23, exec_lo, s23
	s_cbranch_execz .LBB62_2067
; %bb.2052:
	v_cmp_ne_u16_e32 vcc_lo, 0x80, v1
	s_and_b32 s24, vcc_lo, exec_lo
	s_and_not1_saveexec_b32 s23, s23
	s_cbranch_execnz .LBB62_2068
.LBB62_2053:
	s_or_b32 exec_lo, exec_lo, s23
	v_mov_b32_e32 v9, 0
	s_and_saveexec_b32 s23, s24
	s_cbranch_execz .LBB62_2055
.LBB62_2054:
	v_and_b32_e32 v4, 0xffff, v1
	s_delay_alu instid0(VALU_DEP_1) | instskip(SKIP_1) | instid1(VALU_DEP_2)
	v_and_b32_e32 v5, 7, v4
	v_bfe_u32 v9, v4, 3, 4
	v_clz_i32_u32_e32 v6, v5
	s_delay_alu instid0(VALU_DEP_2) | instskip(NEXT) | instid1(VALU_DEP_2)
	v_cmp_eq_u32_e32 vcc_lo, 0, v9
	v_min_u32_e32 v6, 32, v6
	s_delay_alu instid0(VALU_DEP_1) | instskip(NEXT) | instid1(VALU_DEP_1)
	v_subrev_nc_u32_e32 v7, 28, v6
	v_dual_lshlrev_b32 v4, v7, v4 :: v_dual_sub_nc_u32 v6, 29, v6
	s_delay_alu instid0(VALU_DEP_1) | instskip(NEXT) | instid1(VALU_DEP_2)
	v_dual_lshlrev_b32 v1, 24, v1 :: v_dual_bitop2_b32 v4, 7, v4 bitop3:0x40
	v_cndmask_b32_e32 v6, v9, v6, vcc_lo
	s_delay_alu instid0(VALU_DEP_2) | instskip(NEXT) | instid1(VALU_DEP_3)
	v_cndmask_b32_e32 v4, v5, v4, vcc_lo
	v_and_b32_e32 v1, 0x80000000, v1
	s_delay_alu instid0(VALU_DEP_3) | instskip(NEXT) | instid1(VALU_DEP_3)
	v_lshl_add_u32 v5, v6, 23, 0x3b800000
	v_lshlrev_b32_e32 v4, 20, v4
	s_delay_alu instid0(VALU_DEP_1) | instskip(NEXT) | instid1(VALU_DEP_1)
	v_or3_b32 v1, v1, v5, v4
	v_cvt_i32_f32_e32 v9, v1
.LBB62_2055:
	s_or_b32 exec_lo, exec_lo, s23
.LBB62_2056:
	s_mov_b32 s23, -1
.LBB62_2057:
	s_branch .LBB62_2087
.LBB62_2058:
	s_cmp_gt_i32 s0, 22
	s_cbranch_scc0 .LBB62_2066
; %bb.2059:
	s_cmp_lt_i32 s0, 24
	s_cbranch_scc1 .LBB62_2069
; %bb.2060:
	s_cmp_gt_i32 s0, 24
	s_cbranch_scc0 .LBB62_2070
; %bb.2061:
	global_load_u8 v1, v[2:3], off
	s_mov_b32 s23, 0
	s_mov_b32 s22, exec_lo
	s_wait_loadcnt 0x0
	v_cmpx_lt_i16_e32 0x7f, v1
	s_xor_b32 s22, exec_lo, s22
	s_cbranch_execz .LBB62_2081
; %bb.2062:
	v_cmp_ne_u16_e32 vcc_lo, 0x80, v1
	s_and_b32 s23, vcc_lo, exec_lo
	s_and_not1_saveexec_b32 s22, s22
	s_cbranch_execnz .LBB62_2082
.LBB62_2063:
	s_or_b32 exec_lo, exec_lo, s22
	v_mov_b32_e32 v9, 0
	s_and_saveexec_b32 s22, s23
	s_cbranch_execz .LBB62_2065
.LBB62_2064:
	v_and_b32_e32 v4, 0xffff, v1
	s_delay_alu instid0(VALU_DEP_1) | instskip(SKIP_1) | instid1(VALU_DEP_2)
	v_and_b32_e32 v5, 3, v4
	v_bfe_u32 v9, v4, 2, 5
	v_clz_i32_u32_e32 v6, v5
	s_delay_alu instid0(VALU_DEP_2) | instskip(NEXT) | instid1(VALU_DEP_2)
	v_cmp_eq_u32_e32 vcc_lo, 0, v9
	v_min_u32_e32 v6, 32, v6
	s_delay_alu instid0(VALU_DEP_1) | instskip(NEXT) | instid1(VALU_DEP_1)
	v_subrev_nc_u32_e32 v7, 29, v6
	v_dual_lshlrev_b32 v4, v7, v4 :: v_dual_sub_nc_u32 v6, 30, v6
	s_delay_alu instid0(VALU_DEP_1) | instskip(NEXT) | instid1(VALU_DEP_2)
	v_dual_lshlrev_b32 v1, 24, v1 :: v_dual_bitop2_b32 v4, 3, v4 bitop3:0x40
	v_cndmask_b32_e32 v6, v9, v6, vcc_lo
	s_delay_alu instid0(VALU_DEP_2) | instskip(NEXT) | instid1(VALU_DEP_3)
	v_cndmask_b32_e32 v4, v5, v4, vcc_lo
	v_and_b32_e32 v1, 0x80000000, v1
	s_delay_alu instid0(VALU_DEP_3) | instskip(NEXT) | instid1(VALU_DEP_3)
	v_lshl_add_u32 v5, v6, 23, 0x37800000
	v_lshlrev_b32_e32 v4, 21, v4
	s_delay_alu instid0(VALU_DEP_1) | instskip(NEXT) | instid1(VALU_DEP_1)
	v_or3_b32 v1, v1, v5, v4
	v_cvt_i32_f32_e32 v9, v1
.LBB62_2065:
	s_or_b32 exec_lo, exec_lo, s22
	s_mov_b32 s22, 0
	s_branch .LBB62_2071
.LBB62_2066:
                                        ; implicit-def: $vgpr9
	s_mov_b32 s22, 0
	s_branch .LBB62_2077
.LBB62_2067:
	s_and_not1_saveexec_b32 s23, s23
	s_cbranch_execz .LBB62_2053
.LBB62_2068:
	v_cmp_ne_u16_e32 vcc_lo, 0, v1
	s_and_not1_b32 s24, s24, exec_lo
	s_and_b32 s25, vcc_lo, exec_lo
	s_delay_alu instid0(SALU_CYCLE_1)
	s_or_b32 s24, s24, s25
	s_or_b32 exec_lo, exec_lo, s23
	v_mov_b32_e32 v9, 0
	s_and_saveexec_b32 s23, s24
	s_cbranch_execnz .LBB62_2054
	s_branch .LBB62_2055
.LBB62_2069:
	s_mov_b32 s22, -1
                                        ; implicit-def: $vgpr9
	s_branch .LBB62_2074
.LBB62_2070:
	s_mov_b32 s22, -1
                                        ; implicit-def: $vgpr9
.LBB62_2071:
	s_delay_alu instid0(SALU_CYCLE_1)
	s_and_b32 vcc_lo, exec_lo, s22
	s_cbranch_vccz .LBB62_2073
; %bb.2072:
	global_load_u8 v1, v[2:3], off
	s_wait_loadcnt 0x0
	v_lshlrev_b32_e32 v1, 24, v1
	s_delay_alu instid0(VALU_DEP_1) | instskip(NEXT) | instid1(VALU_DEP_1)
	v_and_b32_e32 v4, 0x7f000000, v1
	v_clz_i32_u32_e32 v5, v4
	v_cmp_ne_u32_e32 vcc_lo, 0, v4
	v_add_nc_u32_e32 v7, 0x1000000, v4
	s_delay_alu instid0(VALU_DEP_3) | instskip(NEXT) | instid1(VALU_DEP_1)
	v_min_u32_e32 v5, 32, v5
	v_sub_nc_u32_e64 v5, v5, 4 clamp
	s_delay_alu instid0(VALU_DEP_1) | instskip(NEXT) | instid1(VALU_DEP_1)
	v_dual_lshlrev_b32 v6, v5, v4 :: v_dual_lshlrev_b32 v5, 23, v5
	v_lshrrev_b32_e32 v6, 4, v6
	s_delay_alu instid0(VALU_DEP_1) | instskip(NEXT) | instid1(VALU_DEP_1)
	v_dual_sub_nc_u32 v5, v6, v5 :: v_dual_ashrrev_i32 v6, 8, v7
	v_add_nc_u32_e32 v5, 0x3c000000, v5
	s_delay_alu instid0(VALU_DEP_1) | instskip(NEXT) | instid1(VALU_DEP_1)
	v_and_or_b32 v5, 0x7f800000, v6, v5
	v_cndmask_b32_e32 v4, 0, v5, vcc_lo
	s_delay_alu instid0(VALU_DEP_1) | instskip(NEXT) | instid1(VALU_DEP_1)
	v_and_or_b32 v1, 0x80000000, v1, v4
	v_cvt_i32_f32_e32 v9, v1
.LBB62_2073:
	s_mov_b32 s22, 0
.LBB62_2074:
	s_delay_alu instid0(SALU_CYCLE_1)
	s_and_not1_b32 vcc_lo, exec_lo, s22
	s_cbranch_vccnz .LBB62_2076
; %bb.2075:
	global_load_u8 v1, v[2:3], off
	s_wait_loadcnt 0x0
	v_lshlrev_b32_e32 v4, 25, v1
	v_lshlrev_b16 v1, 8, v1
	s_delay_alu instid0(VALU_DEP_1) | instskip(SKIP_1) | instid1(VALU_DEP_2)
	v_and_or_b32 v6, 0x7f00, v1, 0.5
	v_bfe_i32 v1, v1, 0, 16
	v_dual_add_f32 v6, -0.5, v6 :: v_dual_lshrrev_b32 v5, 4, v4
	v_cmp_gt_u32_e32 vcc_lo, 0x8000000, v4
	s_delay_alu instid0(VALU_DEP_2) | instskip(NEXT) | instid1(VALU_DEP_1)
	v_or_b32_e32 v5, 0x70000000, v5
	v_mul_f32_e32 v5, 0x7800000, v5
	s_delay_alu instid0(VALU_DEP_1) | instskip(NEXT) | instid1(VALU_DEP_1)
	v_cndmask_b32_e32 v4, v5, v6, vcc_lo
	v_and_or_b32 v1, 0x80000000, v1, v4
	s_delay_alu instid0(VALU_DEP_1)
	v_cvt_i32_f32_e32 v9, v1
.LBB62_2076:
	s_mov_b32 s23, -1
	s_mov_b32 s22, 0
	s_cbranch_execnz .LBB62_2087
.LBB62_2077:
	s_cmp_gt_i32 s0, 14
	s_cbranch_scc0 .LBB62_2080
; %bb.2078:
	s_cmp_eq_u32 s0, 15
	s_cbranch_scc0 .LBB62_2083
; %bb.2079:
	global_load_u16 v1, v[2:3], off
	s_mov_b32 s3, 0
	s_mov_b32 s23, -1
	s_wait_loadcnt 0x0
	v_lshlrev_b32_e32 v1, 16, v1
	s_delay_alu instid0(VALU_DEP_1)
	v_cvt_i32_f32_e32 v9, v1
	s_branch .LBB62_2085
.LBB62_2080:
	s_mov_b32 s22, -1
	s_branch .LBB62_2084
.LBB62_2081:
	s_and_not1_saveexec_b32 s22, s22
	s_cbranch_execz .LBB62_2063
.LBB62_2082:
	v_cmp_ne_u16_e32 vcc_lo, 0, v1
	s_and_not1_b32 s23, s23, exec_lo
	s_and_b32 s24, vcc_lo, exec_lo
	s_delay_alu instid0(SALU_CYCLE_1)
	s_or_b32 s23, s23, s24
	s_or_b32 exec_lo, exec_lo, s22
	v_mov_b32_e32 v9, 0
	s_and_saveexec_b32 s22, s23
	s_cbranch_execnz .LBB62_2064
	s_branch .LBB62_2065
.LBB62_2083:
	s_mov_b32 s3, -1
.LBB62_2084:
                                        ; implicit-def: $vgpr9
.LBB62_2085:
	s_and_b32 vcc_lo, exec_lo, s22
	s_mov_b32 s22, 0
	s_cbranch_vccz .LBB62_2087
; %bb.2086:
	s_cmp_lg_u32 s0, 11
	s_mov_b32 s22, -1
	s_cselect_b32 s3, -1, 0
.LBB62_2087:
	s_delay_alu instid0(SALU_CYCLE_1)
	s_and_b32 vcc_lo, exec_lo, s3
	s_mov_b32 s3, s21
	s_cbranch_vccnz .LBB62_2148
; %bb.2088:
	s_and_not1_b32 vcc_lo, exec_lo, s22
	s_cbranch_vccnz .LBB62_2090
.LBB62_2089:
	global_load_u8 v1, v[2:3], off
	s_mov_b32 s23, -1
	s_wait_loadcnt 0x0
	v_cmp_ne_u16_e32 vcc_lo, 0, v1
	v_cndmask_b32_e64 v9, 0, 1, vcc_lo
.LBB62_2090:
	s_branch .LBB62_2024
.LBB62_2091:
	s_and_b32 s0, 0xffff, s19
	s_delay_alu instid0(SALU_CYCLE_1)
	s_cmp_lt_i32 s0, 5
	s_cbranch_scc1 .LBB62_2096
; %bb.2092:
	s_cmp_lt_i32 s0, 8
	s_cbranch_scc1 .LBB62_2097
; %bb.2093:
	;; [unrolled: 3-line block ×3, first 2 shown]
	s_cmp_gt_i32 s0, 9
	s_cbranch_scc0 .LBB62_2099
; %bb.2095:
	global_load_b64 v[4:5], v[2:3], off
	s_mov_b32 s22, 0
	s_wait_loadcnt 0x0
	v_cvt_i32_f64_e32 v9, v[4:5]
	s_branch .LBB62_2100
.LBB62_2096:
                                        ; implicit-def: $vgpr9
	s_branch .LBB62_2117
.LBB62_2097:
                                        ; implicit-def: $vgpr9
	s_branch .LBB62_2106
.LBB62_2098:
	s_mov_b32 s22, -1
                                        ; implicit-def: $vgpr9
	s_branch .LBB62_2103
.LBB62_2099:
	s_mov_b32 s22, -1
                                        ; implicit-def: $vgpr9
.LBB62_2100:
	s_delay_alu instid0(SALU_CYCLE_1)
	s_and_not1_b32 vcc_lo, exec_lo, s22
	s_cbranch_vccnz .LBB62_2102
; %bb.2101:
	global_load_b32 v1, v[2:3], off
	s_wait_loadcnt 0x0
	v_cvt_i32_f32_e32 v9, v1
.LBB62_2102:
	s_mov_b32 s22, 0
.LBB62_2103:
	s_delay_alu instid0(SALU_CYCLE_1)
	s_and_not1_b32 vcc_lo, exec_lo, s22
	s_cbranch_vccnz .LBB62_2105
; %bb.2104:
	global_load_b32 v1, v[2:3], off
	s_wait_loadcnt 0x0
	v_cvt_f32_f16_e32 v1, v1
	s_delay_alu instid0(VALU_DEP_1)
	v_cvt_i32_f32_e32 v9, v1
.LBB62_2105:
	s_cbranch_execnz .LBB62_2116
.LBB62_2106:
	s_cmp_lt_i32 s0, 6
	s_cbranch_scc1 .LBB62_2109
; %bb.2107:
	s_cmp_gt_i32 s0, 6
	s_cbranch_scc0 .LBB62_2110
; %bb.2108:
	global_load_b64 v[4:5], v[2:3], off
	s_mov_b32 s22, 0
	s_wait_loadcnt 0x0
	v_cvt_i32_f64_e32 v9, v[4:5]
	s_branch .LBB62_2111
.LBB62_2109:
	s_mov_b32 s22, -1
                                        ; implicit-def: $vgpr9
	s_branch .LBB62_2114
.LBB62_2110:
	s_mov_b32 s22, -1
                                        ; implicit-def: $vgpr9
.LBB62_2111:
	s_delay_alu instid0(SALU_CYCLE_1)
	s_and_not1_b32 vcc_lo, exec_lo, s22
	s_cbranch_vccnz .LBB62_2113
; %bb.2112:
	global_load_b32 v1, v[2:3], off
	s_wait_loadcnt 0x0
	v_cvt_i32_f32_e32 v9, v1
.LBB62_2113:
	s_mov_b32 s22, 0
.LBB62_2114:
	s_delay_alu instid0(SALU_CYCLE_1)
	s_and_not1_b32 vcc_lo, exec_lo, s22
	s_cbranch_vccnz .LBB62_2116
; %bb.2115:
	global_load_u16 v1, v[2:3], off
	s_wait_loadcnt 0x0
	v_cvt_f32_f16_e32 v1, v1
	s_delay_alu instid0(VALU_DEP_1)
	v_cvt_i32_f32_e32 v9, v1
.LBB62_2116:
	s_cbranch_execnz .LBB62_2135
.LBB62_2117:
	s_cmp_lt_i32 s0, 2
	s_cbranch_scc1 .LBB62_2121
; %bb.2118:
	s_cmp_lt_i32 s0, 3
	s_cbranch_scc1 .LBB62_2122
; %bb.2119:
	s_cmp_gt_i32 s0, 3
	s_cbranch_scc0 .LBB62_2123
; %bb.2120:
	s_wait_loadcnt 0x0
	global_load_b32 v9, v[2:3], off
	s_mov_b32 s22, 0
	s_branch .LBB62_2124
.LBB62_2121:
                                        ; implicit-def: $vgpr9
	s_branch .LBB62_2130
.LBB62_2122:
	s_mov_b32 s22, -1
                                        ; implicit-def: $vgpr9
	s_branch .LBB62_2127
.LBB62_2123:
	s_mov_b32 s22, -1
                                        ; implicit-def: $vgpr9
.LBB62_2124:
	s_delay_alu instid0(SALU_CYCLE_1)
	s_and_not1_b32 vcc_lo, exec_lo, s22
	s_cbranch_vccnz .LBB62_2126
; %bb.2125:
	s_wait_loadcnt 0x0
	global_load_b32 v9, v[2:3], off
.LBB62_2126:
	s_mov_b32 s22, 0
.LBB62_2127:
	s_delay_alu instid0(SALU_CYCLE_1)
	s_and_not1_b32 vcc_lo, exec_lo, s22
	s_cbranch_vccnz .LBB62_2129
; %bb.2128:
	s_wait_loadcnt 0x0
	global_load_i16 v9, v[2:3], off
.LBB62_2129:
	s_cbranch_execnz .LBB62_2135
.LBB62_2130:
	s_cmp_gt_i32 s0, 0
	s_mov_b32 s0, 0
	s_cbranch_scc0 .LBB62_2132
; %bb.2131:
	s_wait_loadcnt 0x0
	global_load_i8 v9, v[2:3], off
	s_branch .LBB62_2133
.LBB62_2132:
	s_mov_b32 s0, -1
                                        ; implicit-def: $vgpr9
.LBB62_2133:
	s_delay_alu instid0(SALU_CYCLE_1)
	s_and_not1_b32 vcc_lo, exec_lo, s0
	s_cbranch_vccnz .LBB62_2135
; %bb.2134:
	s_wait_loadcnt 0x0
	global_load_u8 v9, v[2:3], off
.LBB62_2135:
.LBB62_2136:
	s_wait_xcnt 0x0
	v_mul_lo_u32 v2, s14, v8
	s_and_b32 s2, s2, 0xff
	s_delay_alu instid0(SALU_CYCLE_1) | instskip(NEXT) | instid1(VALU_DEP_1)
	s_cmp_lt_i32 s2, 11
	v_ashrrev_i32_e32 v3, 31, v2
	s_delay_alu instid0(VALU_DEP_1)
	v_add_nc_u64_e32 v[4:5], s[8:9], v[2:3]
	s_cbranch_scc1 .LBB62_2143
; %bb.2137:
	s_and_b32 s0, 0xffff, s2
	s_mov_b32 s23, 0
	s_cmp_gt_i32 s0, 25
	s_cbranch_scc0 .LBB62_2145
; %bb.2138:
	s_cmp_gt_i32 s0, 28
	s_cbranch_scc0 .LBB62_2146
; %bb.2139:
	;; [unrolled: 3-line block ×4, first 2 shown]
	s_cmp_eq_u32 s0, 46
	s_mov_b32 s25, 0
	s_cbranch_scc0 .LBB62_2152
; %bb.2142:
	global_load_b32 v1, v[4:5], off
	s_mov_b32 s22, 0
	s_mov_b32 s24, -1
	s_wait_loadcnt 0x0
	v_lshlrev_b32_e32 v1, 16, v1
	s_delay_alu instid0(VALU_DEP_1)
	v_cvt_i32_f32_e32 v10, v1
	s_branch .LBB62_2154
.LBB62_2143:
	s_mov_b32 s24, 0
                                        ; implicit-def: $vgpr10
	s_cbranch_execnz .LBB62_2215
.LBB62_2144:
	s_and_not1_b32 vcc_lo, exec_lo, s24
	s_cbranch_vccnz .LBB62_3968
	s_branch .LBB62_2262
.LBB62_2145:
	s_mov_b32 s24, 0
	s_mov_b32 s22, 0
                                        ; implicit-def: $vgpr10
	s_cbranch_execnz .LBB62_2181
	s_branch .LBB62_2211
.LBB62_2146:
	s_mov_b32 s25, -1
	s_mov_b32 s24, 0
	s_mov_b32 s22, 0
                                        ; implicit-def: $vgpr10
	s_branch .LBB62_2164
.LBB62_2147:
	s_mov_b32 s25, -1
	s_mov_b32 s24, 0
	s_mov_b32 s22, 0
                                        ; implicit-def: $vgpr10
	s_branch .LBB62_2159
.LBB62_2148:
	s_or_b32 s3, s21, exec_lo
	s_trap 2
	s_cbranch_execz .LBB62_2089
	s_branch .LBB62_2090
.LBB62_2149:
	s_mov_b32 s25, -1
	s_mov_b32 s24, 0
	s_mov_b32 s22, 0
	s_branch .LBB62_2153
.LBB62_2150:
	s_and_not1_saveexec_b32 s29, s29
	s_cbranch_execz .LBB62_1940
.LBB62_2151:
	v_add_f32_e64 v4, 0x42800000, |v1|
	s_and_not1_b32 s28, s28, exec_lo
	s_delay_alu instid0(VALU_DEP_1) | instskip(NEXT) | instid1(VALU_DEP_1)
	v_and_b32_e32 v4, 0xff, v4
	v_cmp_ne_u32_e32 vcc_lo, 0, v4
	s_and_b32 s30, vcc_lo, exec_lo
	s_delay_alu instid0(SALU_CYCLE_1)
	s_or_b32 s28, s28, s30
	s_or_b32 exec_lo, exec_lo, s29
	v_mov_b32_e32 v5, 0
	s_and_saveexec_b32 s29, s28
	s_cbranch_execnz .LBB62_1941
	s_branch .LBB62_1942
.LBB62_2152:
	s_mov_b32 s22, -1
	s_mov_b32 s24, 0
.LBB62_2153:
                                        ; implicit-def: $vgpr10
.LBB62_2154:
	s_and_b32 vcc_lo, exec_lo, s25
	s_cbranch_vccz .LBB62_2158
; %bb.2155:
	s_cmp_eq_u32 s0, 44
	s_cbranch_scc0 .LBB62_2157
; %bb.2156:
	global_load_u8 v1, v[4:5], off
	s_mov_b32 s22, 0
	s_mov_b32 s24, -1
	s_wait_loadcnt 0x0
	v_lshlrev_b32_e32 v3, 23, v1
	v_cmp_ne_u32_e32 vcc_lo, 0, v1
	s_delay_alu instid0(VALU_DEP_2) | instskip(NEXT) | instid1(VALU_DEP_1)
	v_cvt_i32_f32_e32 v3, v3
	v_cndmask_b32_e32 v10, 0, v3, vcc_lo
	s_branch .LBB62_2158
.LBB62_2157:
	s_mov_b32 s22, -1
                                        ; implicit-def: $vgpr10
.LBB62_2158:
	s_mov_b32 s25, 0
.LBB62_2159:
	s_delay_alu instid0(SALU_CYCLE_1)
	s_and_b32 vcc_lo, exec_lo, s25
	s_cbranch_vccz .LBB62_2163
; %bb.2160:
	s_cmp_eq_u32 s0, 29
	s_cbranch_scc0 .LBB62_2162
; %bb.2161:
	global_load_b32 v10, v[4:5], off
	s_mov_b32 s22, 0
	s_mov_b32 s24, -1
	s_branch .LBB62_2163
.LBB62_2162:
	s_mov_b32 s22, -1
                                        ; implicit-def: $vgpr10
.LBB62_2163:
	s_mov_b32 s25, 0
.LBB62_2164:
	s_delay_alu instid0(SALU_CYCLE_1)
	s_and_b32 vcc_lo, exec_lo, s25
	s_cbranch_vccz .LBB62_2180
; %bb.2165:
	s_cmp_lt_i32 s0, 27
	s_cbranch_scc1 .LBB62_2168
; %bb.2166:
	s_cmp_gt_i32 s0, 27
	s_cbranch_scc0 .LBB62_2169
; %bb.2167:
	s_wait_loadcnt 0x0
	global_load_b32 v10, v[4:5], off
	s_mov_b32 s24, 0
	s_branch .LBB62_2170
.LBB62_2168:
	s_mov_b32 s24, -1
                                        ; implicit-def: $vgpr10
	s_branch .LBB62_2173
.LBB62_2169:
	s_mov_b32 s24, -1
                                        ; implicit-def: $vgpr10
.LBB62_2170:
	s_delay_alu instid0(SALU_CYCLE_1)
	s_and_not1_b32 vcc_lo, exec_lo, s24
	s_cbranch_vccnz .LBB62_2172
; %bb.2171:
	s_wait_loadcnt 0x0
	global_load_u16 v10, v[4:5], off
.LBB62_2172:
	s_mov_b32 s24, 0
.LBB62_2173:
	s_delay_alu instid0(SALU_CYCLE_1)
	s_and_not1_b32 vcc_lo, exec_lo, s24
	s_cbranch_vccnz .LBB62_2179
; %bb.2174:
	global_load_u8 v1, v[4:5], off
	s_mov_b32 s25, 0
	s_mov_b32 s24, exec_lo
	s_wait_loadcnt 0x0
	v_cmpx_lt_i16_e32 0x7f, v1
	s_xor_b32 s24, exec_lo, s24
	s_cbranch_execz .LBB62_2190
; %bb.2175:
	v_cmp_ne_u16_e32 vcc_lo, 0x80, v1
	s_and_b32 s25, vcc_lo, exec_lo
	s_and_not1_saveexec_b32 s24, s24
	s_cbranch_execnz .LBB62_2191
.LBB62_2176:
	s_or_b32 exec_lo, exec_lo, s24
	v_mov_b32_e32 v10, 0
	s_and_saveexec_b32 s24, s25
	s_cbranch_execz .LBB62_2178
.LBB62_2177:
	v_and_b32_e32 v3, 0xffff, v1
	s_delay_alu instid0(VALU_DEP_1) | instskip(SKIP_1) | instid1(VALU_DEP_2)
	v_dual_lshlrev_b32 v1, 24, v1 :: v_dual_bitop2_b32 v6, 7, v3 bitop3:0x40
	v_bfe_u32 v11, v3, 3, 4
	v_and_b32_e32 v1, 0x80000000, v1
	s_delay_alu instid0(VALU_DEP_3) | instskip(NEXT) | instid1(VALU_DEP_3)
	v_clz_i32_u32_e32 v7, v6
	v_cmp_eq_u32_e32 vcc_lo, 0, v11
	s_delay_alu instid0(VALU_DEP_2) | instskip(NEXT) | instid1(VALU_DEP_1)
	v_min_u32_e32 v7, 32, v7
	v_subrev_nc_u32_e32 v10, 28, v7
	v_sub_nc_u32_e32 v7, 29, v7
	s_delay_alu instid0(VALU_DEP_2) | instskip(NEXT) | instid1(VALU_DEP_2)
	v_lshlrev_b32_e32 v3, v10, v3
	v_cndmask_b32_e32 v7, v11, v7, vcc_lo
	s_delay_alu instid0(VALU_DEP_2) | instskip(NEXT) | instid1(VALU_DEP_1)
	v_and_b32_e32 v3, 7, v3
	v_cndmask_b32_e32 v3, v6, v3, vcc_lo
	s_delay_alu instid0(VALU_DEP_3) | instskip(NEXT) | instid1(VALU_DEP_2)
	v_lshl_add_u32 v6, v7, 23, 0x3b800000
	v_lshlrev_b32_e32 v3, 20, v3
	s_delay_alu instid0(VALU_DEP_1) | instskip(NEXT) | instid1(VALU_DEP_1)
	v_or3_b32 v1, v1, v6, v3
	v_cvt_i32_f32_e32 v10, v1
.LBB62_2178:
	s_or_b32 exec_lo, exec_lo, s24
.LBB62_2179:
	s_mov_b32 s24, -1
.LBB62_2180:
	s_branch .LBB62_2211
.LBB62_2181:
	s_cmp_gt_i32 s0, 22
	s_cbranch_scc0 .LBB62_2189
; %bb.2182:
	s_cmp_lt_i32 s0, 24
	s_cbranch_scc1 .LBB62_2192
; %bb.2183:
	s_cmp_gt_i32 s0, 24
	s_cbranch_scc0 .LBB62_2193
; %bb.2184:
	global_load_u8 v1, v[4:5], off
	s_mov_b32 s24, 0
	s_mov_b32 s23, exec_lo
	s_wait_loadcnt 0x0
	v_cmpx_lt_i16_e32 0x7f, v1
	s_xor_b32 s23, exec_lo, s23
	s_cbranch_execz .LBB62_2205
; %bb.2185:
	v_cmp_ne_u16_e32 vcc_lo, 0x80, v1
	s_and_b32 s24, vcc_lo, exec_lo
	s_and_not1_saveexec_b32 s23, s23
	s_cbranch_execnz .LBB62_2206
.LBB62_2186:
	s_or_b32 exec_lo, exec_lo, s23
	v_mov_b32_e32 v10, 0
	s_and_saveexec_b32 s23, s24
	s_cbranch_execz .LBB62_2188
.LBB62_2187:
	v_and_b32_e32 v3, 0xffff, v1
	s_delay_alu instid0(VALU_DEP_1) | instskip(SKIP_1) | instid1(VALU_DEP_2)
	v_dual_lshlrev_b32 v1, 24, v1 :: v_dual_bitop2_b32 v6, 3, v3 bitop3:0x40
	v_bfe_u32 v11, v3, 2, 5
	v_and_b32_e32 v1, 0x80000000, v1
	s_delay_alu instid0(VALU_DEP_3) | instskip(NEXT) | instid1(VALU_DEP_3)
	v_clz_i32_u32_e32 v7, v6
	v_cmp_eq_u32_e32 vcc_lo, 0, v11
	s_delay_alu instid0(VALU_DEP_2) | instskip(NEXT) | instid1(VALU_DEP_1)
	v_min_u32_e32 v7, 32, v7
	v_subrev_nc_u32_e32 v10, 29, v7
	v_sub_nc_u32_e32 v7, 30, v7
	s_delay_alu instid0(VALU_DEP_2) | instskip(NEXT) | instid1(VALU_DEP_2)
	v_lshlrev_b32_e32 v3, v10, v3
	v_cndmask_b32_e32 v7, v11, v7, vcc_lo
	s_delay_alu instid0(VALU_DEP_2) | instskip(NEXT) | instid1(VALU_DEP_1)
	v_and_b32_e32 v3, 3, v3
	v_cndmask_b32_e32 v3, v6, v3, vcc_lo
	s_delay_alu instid0(VALU_DEP_3) | instskip(NEXT) | instid1(VALU_DEP_2)
	v_lshl_add_u32 v6, v7, 23, 0x37800000
	v_lshlrev_b32_e32 v3, 21, v3
	s_delay_alu instid0(VALU_DEP_1) | instskip(NEXT) | instid1(VALU_DEP_1)
	v_or3_b32 v1, v1, v6, v3
	v_cvt_i32_f32_e32 v10, v1
.LBB62_2188:
	s_or_b32 exec_lo, exec_lo, s23
	s_mov_b32 s23, 0
	s_branch .LBB62_2194
.LBB62_2189:
	s_mov_b32 s23, -1
                                        ; implicit-def: $vgpr10
	s_branch .LBB62_2200
.LBB62_2190:
	s_and_not1_saveexec_b32 s24, s24
	s_cbranch_execz .LBB62_2176
.LBB62_2191:
	v_cmp_ne_u16_e32 vcc_lo, 0, v1
	s_and_not1_b32 s25, s25, exec_lo
	s_and_b32 s26, vcc_lo, exec_lo
	s_delay_alu instid0(SALU_CYCLE_1)
	s_or_b32 s25, s25, s26
	s_or_b32 exec_lo, exec_lo, s24
	v_mov_b32_e32 v10, 0
	s_and_saveexec_b32 s24, s25
	s_cbranch_execnz .LBB62_2177
	s_branch .LBB62_2178
.LBB62_2192:
	s_mov_b32 s23, -1
                                        ; implicit-def: $vgpr10
	s_branch .LBB62_2197
.LBB62_2193:
	s_mov_b32 s23, -1
                                        ; implicit-def: $vgpr10
.LBB62_2194:
	s_delay_alu instid0(SALU_CYCLE_1)
	s_and_b32 vcc_lo, exec_lo, s23
	s_cbranch_vccz .LBB62_2196
; %bb.2195:
	global_load_u8 v1, v[4:5], off
	s_wait_loadcnt 0x0
	v_lshlrev_b32_e32 v1, 24, v1
	s_delay_alu instid0(VALU_DEP_1) | instskip(NEXT) | instid1(VALU_DEP_1)
	v_and_b32_e32 v3, 0x7f000000, v1
	v_clz_i32_u32_e32 v6, v3
	v_cmp_ne_u32_e32 vcc_lo, 0, v3
	v_add_nc_u32_e32 v10, 0x1000000, v3
	s_delay_alu instid0(VALU_DEP_3) | instskip(NEXT) | instid1(VALU_DEP_1)
	v_min_u32_e32 v6, 32, v6
	v_sub_nc_u32_e64 v6, v6, 4 clamp
	s_delay_alu instid0(VALU_DEP_1) | instskip(NEXT) | instid1(VALU_DEP_1)
	v_dual_lshlrev_b32 v7, v6, v3 :: v_dual_lshlrev_b32 v6, 23, v6
	v_lshrrev_b32_e32 v7, 4, v7
	s_delay_alu instid0(VALU_DEP_1) | instskip(SKIP_1) | instid1(VALU_DEP_2)
	v_sub_nc_u32_e32 v6, v7, v6
	v_ashrrev_i32_e32 v7, 8, v10
	v_add_nc_u32_e32 v6, 0x3c000000, v6
	s_delay_alu instid0(VALU_DEP_1) | instskip(NEXT) | instid1(VALU_DEP_1)
	v_and_or_b32 v6, 0x7f800000, v7, v6
	v_cndmask_b32_e32 v3, 0, v6, vcc_lo
	s_delay_alu instid0(VALU_DEP_1) | instskip(NEXT) | instid1(VALU_DEP_1)
	v_and_or_b32 v1, 0x80000000, v1, v3
	v_cvt_i32_f32_e32 v10, v1
.LBB62_2196:
	s_mov_b32 s23, 0
.LBB62_2197:
	s_delay_alu instid0(SALU_CYCLE_1)
	s_and_not1_b32 vcc_lo, exec_lo, s23
	s_cbranch_vccnz .LBB62_2199
; %bb.2198:
	global_load_u8 v1, v[4:5], off
	s_wait_loadcnt 0x0
	v_lshlrev_b32_e32 v3, 25, v1
	v_lshlrev_b16 v1, 8, v1
	s_delay_alu instid0(VALU_DEP_1) | instskip(SKIP_1) | instid1(VALU_DEP_2)
	v_and_or_b32 v7, 0x7f00, v1, 0.5
	v_bfe_i32 v1, v1, 0, 16
	v_add_f32_e32 v7, -0.5, v7
	v_lshrrev_b32_e32 v6, 4, v3
	v_cmp_gt_u32_e32 vcc_lo, 0x8000000, v3
	s_delay_alu instid0(VALU_DEP_2) | instskip(NEXT) | instid1(VALU_DEP_1)
	v_or_b32_e32 v6, 0x70000000, v6
	v_mul_f32_e32 v6, 0x7800000, v6
	s_delay_alu instid0(VALU_DEP_1) | instskip(NEXT) | instid1(VALU_DEP_1)
	v_cndmask_b32_e32 v3, v6, v7, vcc_lo
	v_and_or_b32 v1, 0x80000000, v1, v3
	s_delay_alu instid0(VALU_DEP_1)
	v_cvt_i32_f32_e32 v10, v1
.LBB62_2199:
	s_mov_b32 s23, 0
	s_mov_b32 s24, -1
.LBB62_2200:
	s_and_not1_b32 vcc_lo, exec_lo, s23
	s_mov_b32 s23, 0
	s_cbranch_vccnz .LBB62_2211
; %bb.2201:
	s_cmp_gt_i32 s0, 14
	s_cbranch_scc0 .LBB62_2204
; %bb.2202:
	s_cmp_eq_u32 s0, 15
	s_cbranch_scc0 .LBB62_2207
; %bb.2203:
	global_load_u16 v1, v[4:5], off
	s_mov_b32 s22, 0
	s_mov_b32 s24, -1
	s_wait_loadcnt 0x0
	v_lshlrev_b32_e32 v1, 16, v1
	s_delay_alu instid0(VALU_DEP_1)
	v_cvt_i32_f32_e32 v10, v1
	s_branch .LBB62_2209
.LBB62_2204:
	s_mov_b32 s23, -1
	s_branch .LBB62_2208
.LBB62_2205:
	s_and_not1_saveexec_b32 s23, s23
	s_cbranch_execz .LBB62_2186
.LBB62_2206:
	v_cmp_ne_u16_e32 vcc_lo, 0, v1
	s_and_not1_b32 s24, s24, exec_lo
	s_and_b32 s25, vcc_lo, exec_lo
	s_delay_alu instid0(SALU_CYCLE_1)
	s_or_b32 s24, s24, s25
	s_or_b32 exec_lo, exec_lo, s23
	v_mov_b32_e32 v10, 0
	s_and_saveexec_b32 s23, s24
	s_cbranch_execnz .LBB62_2187
	s_branch .LBB62_2188
.LBB62_2207:
	s_mov_b32 s22, -1
.LBB62_2208:
                                        ; implicit-def: $vgpr10
.LBB62_2209:
	s_and_b32 vcc_lo, exec_lo, s23
	s_mov_b32 s23, 0
	s_cbranch_vccz .LBB62_2211
; %bb.2210:
	s_cmp_lg_u32 s0, 11
	s_mov_b32 s23, -1
	s_cselect_b32 s22, -1, 0
.LBB62_2211:
	s_delay_alu instid0(SALU_CYCLE_1)
	s_and_b32 vcc_lo, exec_lo, s22
	s_cbranch_vccnz .LBB62_2274
; %bb.2212:
	s_and_not1_b32 vcc_lo, exec_lo, s23
	s_cbranch_vccnz .LBB62_2214
.LBB62_2213:
	global_load_u8 v1, v[4:5], off
	s_mov_b32 s24, -1
	s_wait_loadcnt 0x0
	v_cmp_ne_u16_e32 vcc_lo, 0, v1
	v_cndmask_b32_e64 v10, 0, 1, vcc_lo
.LBB62_2214:
	s_branch .LBB62_2144
.LBB62_2215:
	s_and_b32 s0, 0xffff, s2
	s_delay_alu instid0(SALU_CYCLE_1)
	s_cmp_lt_i32 s0, 5
	s_cbranch_scc1 .LBB62_2220
; %bb.2216:
	s_cmp_lt_i32 s0, 8
	s_cbranch_scc1 .LBB62_2221
; %bb.2217:
	;; [unrolled: 3-line block ×3, first 2 shown]
	s_cmp_gt_i32 s0, 9
	s_cbranch_scc0 .LBB62_2223
; %bb.2219:
	global_load_b64 v[6:7], v[4:5], off
	s_mov_b32 s22, 0
	s_wait_loadcnt 0x0
	v_cvt_i32_f64_e32 v10, v[6:7]
	s_branch .LBB62_2224
.LBB62_2220:
                                        ; implicit-def: $vgpr10
	s_branch .LBB62_2242
.LBB62_2221:
	s_mov_b32 s22, -1
                                        ; implicit-def: $vgpr10
	s_branch .LBB62_2230
.LBB62_2222:
	s_mov_b32 s22, -1
                                        ; implicit-def: $vgpr10
	s_branch .LBB62_2227
.LBB62_2223:
	s_mov_b32 s22, -1
                                        ; implicit-def: $vgpr10
.LBB62_2224:
	s_delay_alu instid0(SALU_CYCLE_1)
	s_and_not1_b32 vcc_lo, exec_lo, s22
	s_cbranch_vccnz .LBB62_2226
; %bb.2225:
	global_load_b32 v1, v[4:5], off
	s_wait_loadcnt 0x0
	v_cvt_i32_f32_e32 v10, v1
.LBB62_2226:
	s_mov_b32 s22, 0
.LBB62_2227:
	s_delay_alu instid0(SALU_CYCLE_1)
	s_and_not1_b32 vcc_lo, exec_lo, s22
	s_cbranch_vccnz .LBB62_2229
; %bb.2228:
	global_load_b32 v1, v[4:5], off
	s_wait_loadcnt 0x0
	v_cvt_f32_f16_e32 v1, v1
	s_delay_alu instid0(VALU_DEP_1)
	v_cvt_i32_f32_e32 v10, v1
.LBB62_2229:
	s_mov_b32 s22, 0
.LBB62_2230:
	s_delay_alu instid0(SALU_CYCLE_1)
	s_and_not1_b32 vcc_lo, exec_lo, s22
	s_cbranch_vccnz .LBB62_2241
; %bb.2231:
	s_cmp_lt_i32 s0, 6
	s_cbranch_scc1 .LBB62_2234
; %bb.2232:
	s_cmp_gt_i32 s0, 6
	s_cbranch_scc0 .LBB62_2235
; %bb.2233:
	global_load_b64 v[6:7], v[4:5], off
	s_mov_b32 s22, 0
	s_wait_loadcnt 0x0
	v_cvt_i32_f64_e32 v10, v[6:7]
	s_branch .LBB62_2236
.LBB62_2234:
	s_mov_b32 s22, -1
                                        ; implicit-def: $vgpr10
	s_branch .LBB62_2239
.LBB62_2235:
	s_mov_b32 s22, -1
                                        ; implicit-def: $vgpr10
.LBB62_2236:
	s_delay_alu instid0(SALU_CYCLE_1)
	s_and_not1_b32 vcc_lo, exec_lo, s22
	s_cbranch_vccnz .LBB62_2238
; %bb.2237:
	global_load_b32 v1, v[4:5], off
	s_wait_loadcnt 0x0
	v_cvt_i32_f32_e32 v10, v1
.LBB62_2238:
	s_mov_b32 s22, 0
.LBB62_2239:
	s_delay_alu instid0(SALU_CYCLE_1)
	s_and_not1_b32 vcc_lo, exec_lo, s22
	s_cbranch_vccnz .LBB62_2241
; %bb.2240:
	global_load_u16 v1, v[4:5], off
	s_wait_loadcnt 0x0
	v_cvt_f32_f16_e32 v1, v1
	s_delay_alu instid0(VALU_DEP_1)
	v_cvt_i32_f32_e32 v10, v1
.LBB62_2241:
	s_cbranch_execnz .LBB62_2261
.LBB62_2242:
	s_cmp_lt_i32 s0, 2
	s_cbranch_scc1 .LBB62_2246
; %bb.2243:
	s_cmp_lt_i32 s0, 3
	s_cbranch_scc1 .LBB62_2247
; %bb.2244:
	s_cmp_gt_i32 s0, 3
	s_cbranch_scc0 .LBB62_2248
; %bb.2245:
	s_wait_loadcnt 0x0
	global_load_b32 v10, v[4:5], off
	s_mov_b32 s22, 0
	s_branch .LBB62_2249
.LBB62_2246:
	s_mov_b32 s22, -1
                                        ; implicit-def: $vgpr10
	s_branch .LBB62_2255
.LBB62_2247:
	s_mov_b32 s22, -1
                                        ; implicit-def: $vgpr10
	s_branch .LBB62_2252
.LBB62_2248:
	s_mov_b32 s22, -1
                                        ; implicit-def: $vgpr10
.LBB62_2249:
	s_delay_alu instid0(SALU_CYCLE_1)
	s_and_not1_b32 vcc_lo, exec_lo, s22
	s_cbranch_vccnz .LBB62_2251
; %bb.2250:
	s_wait_loadcnt 0x0
	global_load_b32 v10, v[4:5], off
.LBB62_2251:
	s_mov_b32 s22, 0
.LBB62_2252:
	s_delay_alu instid0(SALU_CYCLE_1)
	s_and_not1_b32 vcc_lo, exec_lo, s22
	s_cbranch_vccnz .LBB62_2254
; %bb.2253:
	s_wait_loadcnt 0x0
	global_load_i16 v10, v[4:5], off
.LBB62_2254:
	s_mov_b32 s22, 0
.LBB62_2255:
	s_delay_alu instid0(SALU_CYCLE_1)
	s_and_not1_b32 vcc_lo, exec_lo, s22
	s_cbranch_vccnz .LBB62_2261
; %bb.2256:
	s_cmp_gt_i32 s0, 0
	s_mov_b32 s0, 0
	s_cbranch_scc0 .LBB62_2258
; %bb.2257:
	s_wait_loadcnt 0x0
	global_load_i8 v10, v[4:5], off
	s_branch .LBB62_2259
.LBB62_2258:
	s_mov_b32 s0, -1
                                        ; implicit-def: $vgpr10
.LBB62_2259:
	s_delay_alu instid0(SALU_CYCLE_1)
	s_and_not1_b32 vcc_lo, exec_lo, s0
	s_cbranch_vccnz .LBB62_2261
; %bb.2260:
	s_wait_loadcnt 0x0
	global_load_u8 v10, v[4:5], off
.LBB62_2261:
.LBB62_2262:
	s_wait_xcnt 0x0
	v_mul_lo_u32 v4, s15, v8
	s_and_b32 s0, 0xffff, s1
	s_delay_alu instid0(SALU_CYCLE_1) | instskip(NEXT) | instid1(VALU_DEP_1)
	s_cmp_lt_i32 s0, 11
	v_ashrrev_i32_e32 v5, 31, v4
	s_delay_alu instid0(VALU_DEP_1)
	v_add_nc_u64_e32 v[6:7], s[10:11], v[4:5]
	s_cbranch_scc1 .LBB62_2269
; %bb.2263:
	s_cmp_gt_i32 s0, 25
	s_mov_b32 s22, 0
	s_cbranch_scc0 .LBB62_2271
; %bb.2264:
	s_cmp_gt_i32 s0, 28
	s_cbranch_scc0 .LBB62_2272
; %bb.2265:
	s_cmp_gt_i32 s0, 43
	;; [unrolled: 3-line block ×3, first 2 shown]
	s_cbranch_scc0 .LBB62_2275
; %bb.2267:
	s_cmp_eq_u32 s0, 46
	s_mov_b32 s24, 0
	s_cbranch_scc0 .LBB62_2276
; %bb.2268:
	global_load_b32 v1, v[6:7], off
	s_mov_b32 s1, 0
	s_mov_b32 s23, -1
	s_wait_loadcnt 0x0
	v_lshlrev_b32_e32 v1, 16, v1
	s_delay_alu instid0(VALU_DEP_1)
	v_cvt_i32_f32_e32 v12, v1
	s_branch .LBB62_2278
.LBB62_2269:
	s_mov_b32 s23, 0
                                        ; implicit-def: $vgpr12
	s_cbranch_execnz .LBB62_2340
.LBB62_2270:
	s_and_not1_b32 vcc_lo, exec_lo, s23
	s_cbranch_vccnz .LBB62_3968
	s_branch .LBB62_2388
.LBB62_2271:
	s_mov_b32 s24, -1
	s_mov_b32 s23, 0
	s_mov_b32 s1, 0
                                        ; implicit-def: $vgpr12
	s_branch .LBB62_2305
.LBB62_2272:
	s_mov_b32 s24, -1
	s_mov_b32 s23, 0
	s_mov_b32 s1, 0
                                        ; implicit-def: $vgpr12
	s_branch .LBB62_2288
.LBB62_2273:
	s_mov_b32 s24, -1
	s_mov_b32 s23, 0
	s_mov_b32 s1, 0
                                        ; implicit-def: $vgpr12
	s_branch .LBB62_2283
.LBB62_2274:
	s_or_b32 s3, s3, exec_lo
	s_trap 2
	s_cbranch_execz .LBB62_2213
	s_branch .LBB62_2214
.LBB62_2275:
	s_mov_b32 s24, -1
	s_mov_b32 s23, 0
	s_mov_b32 s1, 0
	s_branch .LBB62_2277
.LBB62_2276:
	s_mov_b32 s1, -1
	s_mov_b32 s23, 0
.LBB62_2277:
                                        ; implicit-def: $vgpr12
.LBB62_2278:
	s_and_b32 vcc_lo, exec_lo, s24
	s_cbranch_vccz .LBB62_2282
; %bb.2279:
	s_cmp_eq_u32 s0, 44
	s_cbranch_scc0 .LBB62_2281
; %bb.2280:
	global_load_u8 v1, v[6:7], off
	s_mov_b32 s1, 0
	s_mov_b32 s23, -1
	s_wait_loadcnt 0x0
	v_lshlrev_b32_e32 v3, 23, v1
	v_cmp_ne_u32_e32 vcc_lo, 0, v1
	s_delay_alu instid0(VALU_DEP_2) | instskip(NEXT) | instid1(VALU_DEP_1)
	v_cvt_i32_f32_e32 v3, v3
	v_cndmask_b32_e32 v12, 0, v3, vcc_lo
	s_branch .LBB62_2282
.LBB62_2281:
	s_mov_b32 s1, -1
                                        ; implicit-def: $vgpr12
.LBB62_2282:
	s_mov_b32 s24, 0
.LBB62_2283:
	s_delay_alu instid0(SALU_CYCLE_1)
	s_and_b32 vcc_lo, exec_lo, s24
	s_cbranch_vccz .LBB62_2287
; %bb.2284:
	s_cmp_eq_u32 s0, 29
	s_cbranch_scc0 .LBB62_2286
; %bb.2285:
	global_load_b32 v12, v[6:7], off
	s_mov_b32 s1, 0
	s_mov_b32 s23, -1
	s_branch .LBB62_2287
.LBB62_2286:
	s_mov_b32 s1, -1
                                        ; implicit-def: $vgpr12
.LBB62_2287:
	s_mov_b32 s24, 0
.LBB62_2288:
	s_delay_alu instid0(SALU_CYCLE_1)
	s_and_b32 vcc_lo, exec_lo, s24
	s_cbranch_vccz .LBB62_2304
; %bb.2289:
	s_cmp_lt_i32 s0, 27
	s_cbranch_scc1 .LBB62_2292
; %bb.2290:
	s_cmp_gt_i32 s0, 27
	s_cbranch_scc0 .LBB62_2293
; %bb.2291:
	s_wait_loadcnt 0x0
	global_load_b32 v12, v[6:7], off
	s_mov_b32 s23, 0
	s_branch .LBB62_2294
.LBB62_2292:
	s_mov_b32 s23, -1
                                        ; implicit-def: $vgpr12
	s_branch .LBB62_2297
.LBB62_2293:
	s_mov_b32 s23, -1
                                        ; implicit-def: $vgpr12
.LBB62_2294:
	s_delay_alu instid0(SALU_CYCLE_1)
	s_and_not1_b32 vcc_lo, exec_lo, s23
	s_cbranch_vccnz .LBB62_2296
; %bb.2295:
	s_wait_loadcnt 0x0
	global_load_u16 v12, v[6:7], off
.LBB62_2296:
	s_mov_b32 s23, 0
.LBB62_2297:
	s_delay_alu instid0(SALU_CYCLE_1)
	s_and_not1_b32 vcc_lo, exec_lo, s23
	s_cbranch_vccnz .LBB62_2303
; %bb.2298:
	global_load_u8 v1, v[6:7], off
	s_mov_b32 s24, 0
	s_mov_b32 s23, exec_lo
	s_wait_loadcnt 0x0
	v_cmpx_lt_i16_e32 0x7f, v1
	s_xor_b32 s23, exec_lo, s23
	s_cbranch_execz .LBB62_2315
; %bb.2299:
	v_cmp_ne_u16_e32 vcc_lo, 0x80, v1
	s_and_b32 s24, vcc_lo, exec_lo
	s_and_not1_saveexec_b32 s23, s23
	s_cbranch_execnz .LBB62_2316
.LBB62_2300:
	s_or_b32 exec_lo, exec_lo, s23
	v_mov_b32_e32 v12, 0
	s_and_saveexec_b32 s23, s24
	s_cbranch_execz .LBB62_2302
.LBB62_2301:
	v_and_b32_e32 v3, 0xffff, v1
	s_delay_alu instid0(VALU_DEP_1) | instskip(SKIP_1) | instid1(VALU_DEP_2)
	v_dual_lshlrev_b32 v1, 24, v1 :: v_dual_bitop2_b32 v5, 7, v3 bitop3:0x40
	v_bfe_u32 v13, v3, 3, 4
	v_and_b32_e32 v1, 0x80000000, v1
	s_delay_alu instid0(VALU_DEP_3) | instskip(NEXT) | instid1(VALU_DEP_3)
	v_clz_i32_u32_e32 v11, v5
	v_cmp_eq_u32_e32 vcc_lo, 0, v13
	s_delay_alu instid0(VALU_DEP_2) | instskip(NEXT) | instid1(VALU_DEP_1)
	v_min_u32_e32 v11, 32, v11
	v_subrev_nc_u32_e32 v12, 28, v11
	v_sub_nc_u32_e32 v11, 29, v11
	s_delay_alu instid0(VALU_DEP_2) | instskip(NEXT) | instid1(VALU_DEP_2)
	v_lshlrev_b32_e32 v3, v12, v3
	v_cndmask_b32_e32 v11, v13, v11, vcc_lo
	s_delay_alu instid0(VALU_DEP_2) | instskip(NEXT) | instid1(VALU_DEP_1)
	v_and_b32_e32 v3, 7, v3
	v_cndmask_b32_e32 v3, v5, v3, vcc_lo
	s_delay_alu instid0(VALU_DEP_3) | instskip(NEXT) | instid1(VALU_DEP_2)
	v_lshl_add_u32 v5, v11, 23, 0x3b800000
	v_lshlrev_b32_e32 v3, 20, v3
	s_delay_alu instid0(VALU_DEP_1) | instskip(NEXT) | instid1(VALU_DEP_1)
	v_or3_b32 v1, v1, v5, v3
	v_cvt_i32_f32_e32 v12, v1
.LBB62_2302:
	s_or_b32 exec_lo, exec_lo, s23
.LBB62_2303:
	s_mov_b32 s23, -1
.LBB62_2304:
	s_mov_b32 s24, 0
.LBB62_2305:
	s_delay_alu instid0(SALU_CYCLE_1)
	s_and_b32 vcc_lo, exec_lo, s24
	s_cbranch_vccz .LBB62_2336
; %bb.2306:
	s_cmp_gt_i32 s0, 22
	s_cbranch_scc0 .LBB62_2314
; %bb.2307:
	s_cmp_lt_i32 s0, 24
	s_cbranch_scc1 .LBB62_2317
; %bb.2308:
	s_cmp_gt_i32 s0, 24
	s_cbranch_scc0 .LBB62_2318
; %bb.2309:
	global_load_u8 v1, v[6:7], off
	s_mov_b32 s23, 0
	s_mov_b32 s22, exec_lo
	s_wait_loadcnt 0x0
	v_cmpx_lt_i16_e32 0x7f, v1
	s_xor_b32 s22, exec_lo, s22
	s_cbranch_execz .LBB62_2330
; %bb.2310:
	v_cmp_ne_u16_e32 vcc_lo, 0x80, v1
	s_and_b32 s23, vcc_lo, exec_lo
	s_and_not1_saveexec_b32 s22, s22
	s_cbranch_execnz .LBB62_2331
.LBB62_2311:
	s_or_b32 exec_lo, exec_lo, s22
	v_mov_b32_e32 v12, 0
	s_and_saveexec_b32 s22, s23
	s_cbranch_execz .LBB62_2313
.LBB62_2312:
	v_and_b32_e32 v3, 0xffff, v1
	s_delay_alu instid0(VALU_DEP_1) | instskip(SKIP_1) | instid1(VALU_DEP_2)
	v_dual_lshlrev_b32 v1, 24, v1 :: v_dual_bitop2_b32 v5, 3, v3 bitop3:0x40
	v_bfe_u32 v13, v3, 2, 5
	v_and_b32_e32 v1, 0x80000000, v1
	s_delay_alu instid0(VALU_DEP_3) | instskip(NEXT) | instid1(VALU_DEP_3)
	v_clz_i32_u32_e32 v11, v5
	v_cmp_eq_u32_e32 vcc_lo, 0, v13
	s_delay_alu instid0(VALU_DEP_2) | instskip(NEXT) | instid1(VALU_DEP_1)
	v_min_u32_e32 v11, 32, v11
	v_subrev_nc_u32_e32 v12, 29, v11
	v_sub_nc_u32_e32 v11, 30, v11
	s_delay_alu instid0(VALU_DEP_2) | instskip(NEXT) | instid1(VALU_DEP_2)
	v_lshlrev_b32_e32 v3, v12, v3
	v_cndmask_b32_e32 v11, v13, v11, vcc_lo
	s_delay_alu instid0(VALU_DEP_2) | instskip(NEXT) | instid1(VALU_DEP_1)
	v_and_b32_e32 v3, 3, v3
	v_cndmask_b32_e32 v3, v5, v3, vcc_lo
	s_delay_alu instid0(VALU_DEP_3) | instskip(NEXT) | instid1(VALU_DEP_2)
	v_lshl_add_u32 v5, v11, 23, 0x37800000
	v_lshlrev_b32_e32 v3, 21, v3
	s_delay_alu instid0(VALU_DEP_1) | instskip(NEXT) | instid1(VALU_DEP_1)
	v_or3_b32 v1, v1, v5, v3
	v_cvt_i32_f32_e32 v12, v1
.LBB62_2313:
	s_or_b32 exec_lo, exec_lo, s22
	s_mov_b32 s22, 0
	s_branch .LBB62_2319
.LBB62_2314:
	s_mov_b32 s22, -1
                                        ; implicit-def: $vgpr12
	s_branch .LBB62_2325
.LBB62_2315:
	s_and_not1_saveexec_b32 s23, s23
	s_cbranch_execz .LBB62_2300
.LBB62_2316:
	v_cmp_ne_u16_e32 vcc_lo, 0, v1
	s_and_not1_b32 s24, s24, exec_lo
	s_and_b32 s25, vcc_lo, exec_lo
	s_delay_alu instid0(SALU_CYCLE_1)
	s_or_b32 s24, s24, s25
	s_or_b32 exec_lo, exec_lo, s23
	v_mov_b32_e32 v12, 0
	s_and_saveexec_b32 s23, s24
	s_cbranch_execnz .LBB62_2301
	s_branch .LBB62_2302
.LBB62_2317:
	s_mov_b32 s22, -1
                                        ; implicit-def: $vgpr12
	s_branch .LBB62_2322
.LBB62_2318:
	s_mov_b32 s22, -1
                                        ; implicit-def: $vgpr12
.LBB62_2319:
	s_delay_alu instid0(SALU_CYCLE_1)
	s_and_b32 vcc_lo, exec_lo, s22
	s_cbranch_vccz .LBB62_2321
; %bb.2320:
	global_load_u8 v1, v[6:7], off
	s_wait_loadcnt 0x0
	v_lshlrev_b32_e32 v1, 24, v1
	s_delay_alu instid0(VALU_DEP_1) | instskip(NEXT) | instid1(VALU_DEP_1)
	v_and_b32_e32 v3, 0x7f000000, v1
	v_clz_i32_u32_e32 v5, v3
	v_cmp_ne_u32_e32 vcc_lo, 0, v3
	v_add_nc_u32_e32 v12, 0x1000000, v3
	s_delay_alu instid0(VALU_DEP_3) | instskip(NEXT) | instid1(VALU_DEP_1)
	v_min_u32_e32 v5, 32, v5
	v_sub_nc_u32_e64 v5, v5, 4 clamp
	s_delay_alu instid0(VALU_DEP_1) | instskip(NEXT) | instid1(VALU_DEP_1)
	v_dual_lshlrev_b32 v11, v5, v3 :: v_dual_lshlrev_b32 v5, 23, v5
	v_lshrrev_b32_e32 v11, 4, v11
	s_delay_alu instid0(VALU_DEP_1) | instskip(NEXT) | instid1(VALU_DEP_1)
	v_dual_sub_nc_u32 v5, v11, v5 :: v_dual_ashrrev_i32 v11, 8, v12
	v_add_nc_u32_e32 v5, 0x3c000000, v5
	s_delay_alu instid0(VALU_DEP_1) | instskip(NEXT) | instid1(VALU_DEP_1)
	v_and_or_b32 v5, 0x7f800000, v11, v5
	v_cndmask_b32_e32 v3, 0, v5, vcc_lo
	s_delay_alu instid0(VALU_DEP_1) | instskip(NEXT) | instid1(VALU_DEP_1)
	v_and_or_b32 v1, 0x80000000, v1, v3
	v_cvt_i32_f32_e32 v12, v1
.LBB62_2321:
	s_mov_b32 s22, 0
.LBB62_2322:
	s_delay_alu instid0(SALU_CYCLE_1)
	s_and_not1_b32 vcc_lo, exec_lo, s22
	s_cbranch_vccnz .LBB62_2324
; %bb.2323:
	global_load_u8 v1, v[6:7], off
	s_wait_loadcnt 0x0
	v_lshlrev_b32_e32 v3, 25, v1
	v_lshlrev_b16 v1, 8, v1
	s_delay_alu instid0(VALU_DEP_1) | instskip(SKIP_1) | instid1(VALU_DEP_2)
	v_and_or_b32 v11, 0x7f00, v1, 0.5
	v_bfe_i32 v1, v1, 0, 16
	v_add_f32_e32 v11, -0.5, v11
	v_lshrrev_b32_e32 v5, 4, v3
	v_cmp_gt_u32_e32 vcc_lo, 0x8000000, v3
	s_delay_alu instid0(VALU_DEP_2) | instskip(NEXT) | instid1(VALU_DEP_1)
	v_or_b32_e32 v5, 0x70000000, v5
	v_mul_f32_e32 v5, 0x7800000, v5
	s_delay_alu instid0(VALU_DEP_1) | instskip(NEXT) | instid1(VALU_DEP_1)
	v_cndmask_b32_e32 v3, v5, v11, vcc_lo
	v_and_or_b32 v1, 0x80000000, v1, v3
	s_delay_alu instid0(VALU_DEP_1)
	v_cvt_i32_f32_e32 v12, v1
.LBB62_2324:
	s_mov_b32 s22, 0
	s_mov_b32 s23, -1
.LBB62_2325:
	s_and_not1_b32 vcc_lo, exec_lo, s22
	s_mov_b32 s22, 0
	s_cbranch_vccnz .LBB62_2336
; %bb.2326:
	s_cmp_gt_i32 s0, 14
	s_cbranch_scc0 .LBB62_2329
; %bb.2327:
	s_cmp_eq_u32 s0, 15
	s_cbranch_scc0 .LBB62_2332
; %bb.2328:
	global_load_u16 v1, v[6:7], off
	s_mov_b32 s1, 0
	s_mov_b32 s23, -1
	s_wait_loadcnt 0x0
	v_lshlrev_b32_e32 v1, 16, v1
	s_delay_alu instid0(VALU_DEP_1)
	v_cvt_i32_f32_e32 v12, v1
	s_branch .LBB62_2334
.LBB62_2329:
	s_mov_b32 s22, -1
	s_branch .LBB62_2333
.LBB62_2330:
	s_and_not1_saveexec_b32 s22, s22
	s_cbranch_execz .LBB62_2311
.LBB62_2331:
	v_cmp_ne_u16_e32 vcc_lo, 0, v1
	s_and_not1_b32 s23, s23, exec_lo
	s_and_b32 s24, vcc_lo, exec_lo
	s_delay_alu instid0(SALU_CYCLE_1)
	s_or_b32 s23, s23, s24
	s_or_b32 exec_lo, exec_lo, s22
	v_mov_b32_e32 v12, 0
	s_and_saveexec_b32 s22, s23
	s_cbranch_execnz .LBB62_2312
	s_branch .LBB62_2313
.LBB62_2332:
	s_mov_b32 s1, -1
.LBB62_2333:
                                        ; implicit-def: $vgpr12
.LBB62_2334:
	s_and_b32 vcc_lo, exec_lo, s22
	s_mov_b32 s22, 0
	s_cbranch_vccz .LBB62_2336
; %bb.2335:
	s_cmp_lg_u32 s0, 11
	s_mov_b32 s22, -1
	s_cselect_b32 s1, -1, 0
.LBB62_2336:
	s_delay_alu instid0(SALU_CYCLE_1)
	s_and_b32 vcc_lo, exec_lo, s1
	s_cbranch_vccnz .LBB62_2399
; %bb.2337:
	s_and_not1_b32 vcc_lo, exec_lo, s22
	s_cbranch_vccnz .LBB62_2339
.LBB62_2338:
	global_load_u8 v1, v[6:7], off
	s_mov_b32 s23, -1
	s_wait_loadcnt 0x0
	v_cmp_ne_u16_e32 vcc_lo, 0, v1
	v_cndmask_b32_e64 v12, 0, 1, vcc_lo
.LBB62_2339:
	s_branch .LBB62_2270
.LBB62_2340:
	s_cmp_lt_i32 s0, 5
	s_cbranch_scc1 .LBB62_2345
; %bb.2341:
	s_cmp_lt_i32 s0, 8
	s_cbranch_scc1 .LBB62_2346
; %bb.2342:
	;; [unrolled: 3-line block ×3, first 2 shown]
	s_cmp_gt_i32 s0, 9
	s_cbranch_scc0 .LBB62_2348
; %bb.2344:
	s_wait_loadcnt 0x0
	global_load_b64 v[12:13], v[6:7], off
	s_mov_b32 s1, 0
	s_wait_loadcnt 0x0
	v_cvt_i32_f64_e32 v12, v[12:13]
	s_branch .LBB62_2349
.LBB62_2345:
	s_mov_b32 s1, -1
                                        ; implicit-def: $vgpr12
	s_branch .LBB62_2367
.LBB62_2346:
	s_mov_b32 s1, -1
                                        ; implicit-def: $vgpr12
	s_branch .LBB62_2355
.LBB62_2347:
	s_mov_b32 s1, -1
                                        ; implicit-def: $vgpr12
	s_branch .LBB62_2352
.LBB62_2348:
	s_mov_b32 s1, -1
                                        ; implicit-def: $vgpr12
.LBB62_2349:
	s_delay_alu instid0(SALU_CYCLE_1)
	s_and_not1_b32 vcc_lo, exec_lo, s1
	s_cbranch_vccnz .LBB62_2351
; %bb.2350:
	global_load_b32 v1, v[6:7], off
	s_wait_loadcnt 0x0
	v_cvt_i32_f32_e32 v12, v1
.LBB62_2351:
	s_mov_b32 s1, 0
.LBB62_2352:
	s_delay_alu instid0(SALU_CYCLE_1)
	s_and_not1_b32 vcc_lo, exec_lo, s1
	s_cbranch_vccnz .LBB62_2354
; %bb.2353:
	global_load_b32 v1, v[6:7], off
	s_wait_loadcnt 0x0
	v_cvt_f32_f16_e32 v1, v1
	s_delay_alu instid0(VALU_DEP_1)
	v_cvt_i32_f32_e32 v12, v1
.LBB62_2354:
	s_mov_b32 s1, 0
.LBB62_2355:
	s_delay_alu instid0(SALU_CYCLE_1)
	s_and_not1_b32 vcc_lo, exec_lo, s1
	s_cbranch_vccnz .LBB62_2366
; %bb.2356:
	s_cmp_lt_i32 s0, 6
	s_cbranch_scc1 .LBB62_2359
; %bb.2357:
	s_cmp_gt_i32 s0, 6
	s_cbranch_scc0 .LBB62_2360
; %bb.2358:
	s_wait_loadcnt 0x0
	global_load_b64 v[12:13], v[6:7], off
	s_mov_b32 s1, 0
	s_wait_loadcnt 0x0
	v_cvt_i32_f64_e32 v12, v[12:13]
	s_branch .LBB62_2361
.LBB62_2359:
	s_mov_b32 s1, -1
                                        ; implicit-def: $vgpr12
	s_branch .LBB62_2364
.LBB62_2360:
	s_mov_b32 s1, -1
                                        ; implicit-def: $vgpr12
.LBB62_2361:
	s_delay_alu instid0(SALU_CYCLE_1)
	s_and_not1_b32 vcc_lo, exec_lo, s1
	s_cbranch_vccnz .LBB62_2363
; %bb.2362:
	global_load_b32 v1, v[6:7], off
	s_wait_loadcnt 0x0
	v_cvt_i32_f32_e32 v12, v1
.LBB62_2363:
	s_mov_b32 s1, 0
.LBB62_2364:
	s_delay_alu instid0(SALU_CYCLE_1)
	s_and_not1_b32 vcc_lo, exec_lo, s1
	s_cbranch_vccnz .LBB62_2366
; %bb.2365:
	global_load_u16 v1, v[6:7], off
	s_wait_loadcnt 0x0
	v_cvt_f32_f16_e32 v1, v1
	s_delay_alu instid0(VALU_DEP_1)
	v_cvt_i32_f32_e32 v12, v1
.LBB62_2366:
	s_mov_b32 s1, 0
.LBB62_2367:
	s_delay_alu instid0(SALU_CYCLE_1)
	s_and_not1_b32 vcc_lo, exec_lo, s1
	s_cbranch_vccnz .LBB62_2387
; %bb.2368:
	s_cmp_lt_i32 s0, 2
	s_cbranch_scc1 .LBB62_2372
; %bb.2369:
	s_cmp_lt_i32 s0, 3
	s_cbranch_scc1 .LBB62_2373
; %bb.2370:
	s_cmp_gt_i32 s0, 3
	s_cbranch_scc0 .LBB62_2374
; %bb.2371:
	s_wait_loadcnt 0x0
	global_load_b32 v12, v[6:7], off
	s_mov_b32 s1, 0
	s_branch .LBB62_2375
.LBB62_2372:
	s_mov_b32 s1, -1
                                        ; implicit-def: $vgpr12
	s_branch .LBB62_2381
.LBB62_2373:
	s_mov_b32 s1, -1
                                        ; implicit-def: $vgpr12
	s_branch .LBB62_2378
.LBB62_2374:
	s_mov_b32 s1, -1
                                        ; implicit-def: $vgpr12
.LBB62_2375:
	s_delay_alu instid0(SALU_CYCLE_1)
	s_and_not1_b32 vcc_lo, exec_lo, s1
	s_cbranch_vccnz .LBB62_2377
; %bb.2376:
	s_wait_loadcnt 0x0
	global_load_b32 v12, v[6:7], off
.LBB62_2377:
	s_mov_b32 s1, 0
.LBB62_2378:
	s_delay_alu instid0(SALU_CYCLE_1)
	s_and_not1_b32 vcc_lo, exec_lo, s1
	s_cbranch_vccnz .LBB62_2380
; %bb.2379:
	s_wait_loadcnt 0x0
	global_load_i16 v12, v[6:7], off
.LBB62_2380:
	s_mov_b32 s1, 0
.LBB62_2381:
	s_delay_alu instid0(SALU_CYCLE_1)
	s_and_not1_b32 vcc_lo, exec_lo, s1
	s_cbranch_vccnz .LBB62_2387
; %bb.2382:
	s_cmp_gt_i32 s0, 0
	s_mov_b32 s1, 0
	s_cbranch_scc0 .LBB62_2384
; %bb.2383:
	s_wait_loadcnt 0x0
	global_load_i8 v12, v[6:7], off
	s_branch .LBB62_2385
.LBB62_2384:
	s_mov_b32 s1, -1
                                        ; implicit-def: $vgpr12
.LBB62_2385:
	s_delay_alu instid0(SALU_CYCLE_1)
	s_and_not1_b32 vcc_lo, exec_lo, s1
	s_cbranch_vccnz .LBB62_2387
; %bb.2386:
	s_wait_loadcnt 0x0
	global_load_u8 v12, v[6:7], off
.LBB62_2387:
.LBB62_2388:
	s_lshl_b32 s1, s13, 7
	s_cmp_lt_i32 s19, 11
	v_add_nc_u32_e32 v0, s1, v0
	s_delay_alu instid0(VALU_DEP_1) | instskip(SKIP_1) | instid1(VALU_DEP_1)
	v_ashrrev_i32_e32 v1, 31, v0
	s_wait_xcnt 0x0
	v_add_nc_u64_e32 v[6:7], s[6:7], v[0:1]
	s_cbranch_scc1 .LBB62_2395
; %bb.2389:
	s_and_b32 s13, 0xffff, s19
	s_mov_b32 s23, 0
	s_cmp_gt_i32 s13, 25
	s_cbranch_scc0 .LBB62_2396
; %bb.2390:
	s_cmp_gt_i32 s13, 28
	s_cbranch_scc0 .LBB62_2397
; %bb.2391:
	;; [unrolled: 3-line block ×4, first 2 shown]
	s_cmp_eq_u32 s13, 46
	s_mov_b32 s25, 0
	s_cbranch_scc0 .LBB62_2401
; %bb.2394:
	global_load_b32 v1, v[6:7], off
	s_mov_b32 s22, 0
	s_mov_b32 s24, -1
	s_wait_loadcnt 0x0
	v_lshlrev_b32_e32 v1, 16, v1
	s_delay_alu instid0(VALU_DEP_1)
	v_cvt_i32_f32_e32 v11, v1
	s_branch .LBB62_2403
.LBB62_2395:
	s_mov_b32 s13, -1
	s_mov_b32 s24, 0
                                        ; implicit-def: $vgpr11
	s_branch .LBB62_2465
.LBB62_2396:
	s_mov_b32 s25, -1
	s_mov_b32 s24, 0
	s_mov_b32 s22, 0
                                        ; implicit-def: $vgpr11
	s_branch .LBB62_2430
.LBB62_2397:
	s_mov_b32 s25, -1
	s_mov_b32 s24, 0
	s_mov_b32 s22, 0
                                        ; implicit-def: $vgpr11
	s_branch .LBB62_2413
.LBB62_2398:
	s_mov_b32 s25, -1
	s_mov_b32 s24, 0
	s_mov_b32 s22, 0
                                        ; implicit-def: $vgpr11
	s_branch .LBB62_2408
.LBB62_2399:
	s_or_b32 s3, s3, exec_lo
	s_trap 2
	s_cbranch_execz .LBB62_2338
	s_branch .LBB62_2339
.LBB62_2400:
	s_mov_b32 s25, -1
	s_mov_b32 s24, 0
	s_mov_b32 s22, 0
	s_branch .LBB62_2402
.LBB62_2401:
	s_mov_b32 s22, -1
	s_mov_b32 s24, 0
.LBB62_2402:
                                        ; implicit-def: $vgpr11
.LBB62_2403:
	s_and_b32 vcc_lo, exec_lo, s25
	s_cbranch_vccz .LBB62_2407
; %bb.2404:
	s_cmp_eq_u32 s13, 44
	s_cbranch_scc0 .LBB62_2406
; %bb.2405:
	global_load_u8 v1, v[6:7], off
	s_mov_b32 s22, 0
	s_mov_b32 s24, -1
	s_wait_loadcnt 0x0
	v_lshlrev_b32_e32 v3, 23, v1
	v_cmp_ne_u32_e32 vcc_lo, 0, v1
	s_delay_alu instid0(VALU_DEP_2) | instskip(NEXT) | instid1(VALU_DEP_1)
	v_cvt_i32_f32_e32 v3, v3
	v_cndmask_b32_e32 v11, 0, v3, vcc_lo
	s_branch .LBB62_2407
.LBB62_2406:
	s_mov_b32 s22, -1
                                        ; implicit-def: $vgpr11
.LBB62_2407:
	s_mov_b32 s25, 0
.LBB62_2408:
	s_delay_alu instid0(SALU_CYCLE_1)
	s_and_b32 vcc_lo, exec_lo, s25
	s_cbranch_vccz .LBB62_2412
; %bb.2409:
	s_cmp_eq_u32 s13, 29
	s_cbranch_scc0 .LBB62_2411
; %bb.2410:
	global_load_b32 v11, v[6:7], off
	s_mov_b32 s22, 0
	s_mov_b32 s24, -1
	s_branch .LBB62_2412
.LBB62_2411:
	s_mov_b32 s22, -1
                                        ; implicit-def: $vgpr11
.LBB62_2412:
	s_mov_b32 s25, 0
.LBB62_2413:
	s_delay_alu instid0(SALU_CYCLE_1)
	s_and_b32 vcc_lo, exec_lo, s25
	s_cbranch_vccz .LBB62_2429
; %bb.2414:
	s_cmp_lt_i32 s13, 27
	s_cbranch_scc1 .LBB62_2417
; %bb.2415:
	s_cmp_gt_i32 s13, 27
	s_cbranch_scc0 .LBB62_2418
; %bb.2416:
	s_wait_loadcnt 0x0
	global_load_b32 v11, v[6:7], off
	s_mov_b32 s24, 0
	s_branch .LBB62_2419
.LBB62_2417:
	s_mov_b32 s24, -1
                                        ; implicit-def: $vgpr11
	s_branch .LBB62_2422
.LBB62_2418:
	s_mov_b32 s24, -1
                                        ; implicit-def: $vgpr11
.LBB62_2419:
	s_delay_alu instid0(SALU_CYCLE_1)
	s_and_not1_b32 vcc_lo, exec_lo, s24
	s_cbranch_vccnz .LBB62_2421
; %bb.2420:
	s_wait_loadcnt 0x0
	global_load_u16 v11, v[6:7], off
.LBB62_2421:
	s_mov_b32 s24, 0
.LBB62_2422:
	s_delay_alu instid0(SALU_CYCLE_1)
	s_and_not1_b32 vcc_lo, exec_lo, s24
	s_cbranch_vccnz .LBB62_2428
; %bb.2423:
	global_load_u8 v1, v[6:7], off
	s_mov_b32 s25, 0
	s_mov_b32 s24, exec_lo
	s_wait_loadcnt 0x0
	v_cmpx_lt_i16_e32 0x7f, v1
	s_xor_b32 s24, exec_lo, s24
	s_cbranch_execz .LBB62_2440
; %bb.2424:
	v_cmp_ne_u16_e32 vcc_lo, 0x80, v1
	s_and_b32 s25, vcc_lo, exec_lo
	s_and_not1_saveexec_b32 s24, s24
	s_cbranch_execnz .LBB62_2441
.LBB62_2425:
	s_or_b32 exec_lo, exec_lo, s24
	v_mov_b32_e32 v11, 0
	s_and_saveexec_b32 s24, s25
	s_cbranch_execz .LBB62_2427
.LBB62_2426:
	v_and_b32_e32 v3, 0xffff, v1
	s_delay_alu instid0(VALU_DEP_1) | instskip(SKIP_1) | instid1(VALU_DEP_2)
	v_dual_lshlrev_b32 v1, 24, v1 :: v_dual_bitop2_b32 v5, 7, v3 bitop3:0x40
	v_bfe_u32 v14, v3, 3, 4
	v_and_b32_e32 v1, 0x80000000, v1
	s_delay_alu instid0(VALU_DEP_3) | instskip(NEXT) | instid1(VALU_DEP_3)
	v_clz_i32_u32_e32 v11, v5
	v_cmp_eq_u32_e32 vcc_lo, 0, v14
	s_delay_alu instid0(VALU_DEP_2) | instskip(NEXT) | instid1(VALU_DEP_1)
	v_min_u32_e32 v11, 32, v11
	v_subrev_nc_u32_e32 v13, 28, v11
	v_sub_nc_u32_e32 v11, 29, v11
	s_delay_alu instid0(VALU_DEP_2) | instskip(NEXT) | instid1(VALU_DEP_2)
	v_lshlrev_b32_e32 v3, v13, v3
	v_cndmask_b32_e32 v11, v14, v11, vcc_lo
	s_delay_alu instid0(VALU_DEP_2) | instskip(NEXT) | instid1(VALU_DEP_1)
	v_and_b32_e32 v3, 7, v3
	v_cndmask_b32_e32 v3, v5, v3, vcc_lo
	s_delay_alu instid0(VALU_DEP_3) | instskip(NEXT) | instid1(VALU_DEP_2)
	v_lshl_add_u32 v5, v11, 23, 0x3b800000
	v_lshlrev_b32_e32 v3, 20, v3
	s_delay_alu instid0(VALU_DEP_1) | instskip(NEXT) | instid1(VALU_DEP_1)
	v_or3_b32 v1, v1, v5, v3
	v_cvt_i32_f32_e32 v11, v1
.LBB62_2427:
	s_or_b32 exec_lo, exec_lo, s24
.LBB62_2428:
	s_mov_b32 s24, -1
.LBB62_2429:
	s_mov_b32 s25, 0
.LBB62_2430:
	s_delay_alu instid0(SALU_CYCLE_1)
	s_and_b32 vcc_lo, exec_lo, s25
	s_cbranch_vccz .LBB62_2461
; %bb.2431:
	s_cmp_gt_i32 s13, 22
	s_cbranch_scc0 .LBB62_2439
; %bb.2432:
	s_cmp_lt_i32 s13, 24
	s_cbranch_scc1 .LBB62_2442
; %bb.2433:
	s_cmp_gt_i32 s13, 24
	s_cbranch_scc0 .LBB62_2443
; %bb.2434:
	global_load_u8 v1, v[6:7], off
	s_mov_b32 s24, 0
	s_mov_b32 s23, exec_lo
	s_wait_loadcnt 0x0
	v_cmpx_lt_i16_e32 0x7f, v1
	s_xor_b32 s23, exec_lo, s23
	s_cbranch_execz .LBB62_2455
; %bb.2435:
	v_cmp_ne_u16_e32 vcc_lo, 0x80, v1
	s_and_b32 s24, vcc_lo, exec_lo
	s_and_not1_saveexec_b32 s23, s23
	s_cbranch_execnz .LBB62_2456
.LBB62_2436:
	s_or_b32 exec_lo, exec_lo, s23
	v_mov_b32_e32 v11, 0
	s_and_saveexec_b32 s23, s24
	s_cbranch_execz .LBB62_2438
.LBB62_2437:
	v_and_b32_e32 v3, 0xffff, v1
	s_delay_alu instid0(VALU_DEP_1) | instskip(SKIP_1) | instid1(VALU_DEP_2)
	v_dual_lshlrev_b32 v1, 24, v1 :: v_dual_bitop2_b32 v5, 3, v3 bitop3:0x40
	v_bfe_u32 v14, v3, 2, 5
	v_and_b32_e32 v1, 0x80000000, v1
	s_delay_alu instid0(VALU_DEP_3) | instskip(NEXT) | instid1(VALU_DEP_3)
	v_clz_i32_u32_e32 v11, v5
	v_cmp_eq_u32_e32 vcc_lo, 0, v14
	s_delay_alu instid0(VALU_DEP_2) | instskip(NEXT) | instid1(VALU_DEP_1)
	v_min_u32_e32 v11, 32, v11
	v_subrev_nc_u32_e32 v13, 29, v11
	v_sub_nc_u32_e32 v11, 30, v11
	s_delay_alu instid0(VALU_DEP_2) | instskip(NEXT) | instid1(VALU_DEP_2)
	v_lshlrev_b32_e32 v3, v13, v3
	v_cndmask_b32_e32 v11, v14, v11, vcc_lo
	s_delay_alu instid0(VALU_DEP_2) | instskip(NEXT) | instid1(VALU_DEP_1)
	v_and_b32_e32 v3, 3, v3
	v_cndmask_b32_e32 v3, v5, v3, vcc_lo
	s_delay_alu instid0(VALU_DEP_3) | instskip(NEXT) | instid1(VALU_DEP_2)
	v_lshl_add_u32 v5, v11, 23, 0x37800000
	v_lshlrev_b32_e32 v3, 21, v3
	s_delay_alu instid0(VALU_DEP_1) | instskip(NEXT) | instid1(VALU_DEP_1)
	v_or3_b32 v1, v1, v5, v3
	v_cvt_i32_f32_e32 v11, v1
.LBB62_2438:
	s_or_b32 exec_lo, exec_lo, s23
	s_mov_b32 s23, 0
	s_branch .LBB62_2444
.LBB62_2439:
	s_mov_b32 s23, -1
                                        ; implicit-def: $vgpr11
	s_branch .LBB62_2450
.LBB62_2440:
	s_and_not1_saveexec_b32 s24, s24
	s_cbranch_execz .LBB62_2425
.LBB62_2441:
	v_cmp_ne_u16_e32 vcc_lo, 0, v1
	s_and_not1_b32 s25, s25, exec_lo
	s_and_b32 s26, vcc_lo, exec_lo
	s_delay_alu instid0(SALU_CYCLE_1)
	s_or_b32 s25, s25, s26
	s_or_b32 exec_lo, exec_lo, s24
	v_mov_b32_e32 v11, 0
	s_and_saveexec_b32 s24, s25
	s_cbranch_execnz .LBB62_2426
	s_branch .LBB62_2427
.LBB62_2442:
	s_mov_b32 s23, -1
                                        ; implicit-def: $vgpr11
	s_branch .LBB62_2447
.LBB62_2443:
	s_mov_b32 s23, -1
                                        ; implicit-def: $vgpr11
.LBB62_2444:
	s_delay_alu instid0(SALU_CYCLE_1)
	s_and_b32 vcc_lo, exec_lo, s23
	s_cbranch_vccz .LBB62_2446
; %bb.2445:
	global_load_u8 v1, v[6:7], off
	s_wait_loadcnt 0x0
	v_lshlrev_b32_e32 v1, 24, v1
	s_delay_alu instid0(VALU_DEP_1) | instskip(NEXT) | instid1(VALU_DEP_1)
	v_and_b32_e32 v3, 0x7f000000, v1
	v_clz_i32_u32_e32 v5, v3
	v_add_nc_u32_e32 v13, 0x1000000, v3
	v_cmp_ne_u32_e32 vcc_lo, 0, v3
	s_delay_alu instid0(VALU_DEP_3) | instskip(NEXT) | instid1(VALU_DEP_1)
	v_min_u32_e32 v5, 32, v5
	v_sub_nc_u32_e64 v5, v5, 4 clamp
	s_delay_alu instid0(VALU_DEP_1) | instskip(NEXT) | instid1(VALU_DEP_1)
	v_dual_lshlrev_b32 v11, v5, v3 :: v_dual_lshlrev_b32 v5, 23, v5
	v_lshrrev_b32_e32 v11, 4, v11
	s_delay_alu instid0(VALU_DEP_1) | instskip(SKIP_1) | instid1(VALU_DEP_2)
	v_sub_nc_u32_e32 v5, v11, v5
	v_ashrrev_i32_e32 v11, 8, v13
	v_add_nc_u32_e32 v5, 0x3c000000, v5
	s_delay_alu instid0(VALU_DEP_1) | instskip(NEXT) | instid1(VALU_DEP_1)
	v_and_or_b32 v5, 0x7f800000, v11, v5
	v_cndmask_b32_e32 v3, 0, v5, vcc_lo
	s_delay_alu instid0(VALU_DEP_1) | instskip(NEXT) | instid1(VALU_DEP_1)
	v_and_or_b32 v1, 0x80000000, v1, v3
	v_cvt_i32_f32_e32 v11, v1
.LBB62_2446:
	s_mov_b32 s23, 0
.LBB62_2447:
	s_delay_alu instid0(SALU_CYCLE_1)
	s_and_not1_b32 vcc_lo, exec_lo, s23
	s_cbranch_vccnz .LBB62_2449
; %bb.2448:
	global_load_u8 v1, v[6:7], off
	s_wait_loadcnt 0x0
	v_lshlrev_b32_e32 v3, 25, v1
	v_lshlrev_b16 v1, 8, v1
	s_delay_alu instid0(VALU_DEP_1) | instskip(SKIP_1) | instid1(VALU_DEP_2)
	v_and_or_b32 v11, 0x7f00, v1, 0.5
	v_bfe_i32 v1, v1, 0, 16
	v_add_f32_e32 v11, -0.5, v11
	v_lshrrev_b32_e32 v5, 4, v3
	v_cmp_gt_u32_e32 vcc_lo, 0x8000000, v3
	s_delay_alu instid0(VALU_DEP_2) | instskip(NEXT) | instid1(VALU_DEP_1)
	v_or_b32_e32 v5, 0x70000000, v5
	v_mul_f32_e32 v5, 0x7800000, v5
	s_delay_alu instid0(VALU_DEP_1) | instskip(NEXT) | instid1(VALU_DEP_1)
	v_cndmask_b32_e32 v3, v5, v11, vcc_lo
	v_and_or_b32 v1, 0x80000000, v1, v3
	s_delay_alu instid0(VALU_DEP_1)
	v_cvt_i32_f32_e32 v11, v1
.LBB62_2449:
	s_mov_b32 s23, 0
	s_mov_b32 s24, -1
.LBB62_2450:
	s_and_not1_b32 vcc_lo, exec_lo, s23
	s_mov_b32 s23, 0
	s_cbranch_vccnz .LBB62_2461
; %bb.2451:
	s_cmp_gt_i32 s13, 14
	s_cbranch_scc0 .LBB62_2454
; %bb.2452:
	s_cmp_eq_u32 s13, 15
	s_cbranch_scc0 .LBB62_2457
; %bb.2453:
	global_load_u16 v1, v[6:7], off
	s_mov_b32 s22, 0
	s_mov_b32 s24, -1
	s_wait_loadcnt 0x0
	v_lshlrev_b32_e32 v1, 16, v1
	s_delay_alu instid0(VALU_DEP_1)
	v_cvt_i32_f32_e32 v11, v1
	s_branch .LBB62_2459
.LBB62_2454:
	s_mov_b32 s23, -1
	s_branch .LBB62_2458
.LBB62_2455:
	s_and_not1_saveexec_b32 s23, s23
	s_cbranch_execz .LBB62_2436
.LBB62_2456:
	v_cmp_ne_u16_e32 vcc_lo, 0, v1
	s_and_not1_b32 s24, s24, exec_lo
	s_and_b32 s25, vcc_lo, exec_lo
	s_delay_alu instid0(SALU_CYCLE_1)
	s_or_b32 s24, s24, s25
	s_or_b32 exec_lo, exec_lo, s23
	v_mov_b32_e32 v11, 0
	s_and_saveexec_b32 s23, s24
	s_cbranch_execnz .LBB62_2437
	s_branch .LBB62_2438
.LBB62_2457:
	s_mov_b32 s22, -1
.LBB62_2458:
                                        ; implicit-def: $vgpr11
.LBB62_2459:
	s_and_b32 vcc_lo, exec_lo, s23
	s_mov_b32 s23, 0
	s_cbranch_vccz .LBB62_2461
; %bb.2460:
	s_cmp_lg_u32 s13, 11
	s_mov_b32 s23, -1
	s_cselect_b32 s22, -1, 0
.LBB62_2461:
	s_delay_alu instid0(SALU_CYCLE_1)
	s_and_b32 vcc_lo, exec_lo, s22
	s_cbranch_vccnz .LBB62_2526
; %bb.2462:
	s_and_not1_b32 vcc_lo, exec_lo, s23
	s_cbranch_vccnz .LBB62_2464
.LBB62_2463:
	global_load_u8 v1, v[6:7], off
	s_mov_b32 s24, -1
	s_wait_loadcnt 0x0
	v_cmp_ne_u16_e32 vcc_lo, 0, v1
	v_cndmask_b32_e64 v11, 0, 1, vcc_lo
.LBB62_2464:
	s_mov_b32 s13, 0
.LBB62_2465:
	s_delay_alu instid0(SALU_CYCLE_1)
	s_and_b32 vcc_lo, exec_lo, s13
	s_cbranch_vccz .LBB62_2514
; %bb.2466:
	s_and_b32 s13, 0xffff, s19
	s_delay_alu instid0(SALU_CYCLE_1)
	s_cmp_lt_i32 s13, 5
	s_cbranch_scc1 .LBB62_2471
; %bb.2467:
	s_cmp_lt_i32 s13, 8
	s_cbranch_scc1 .LBB62_2472
; %bb.2468:
	;; [unrolled: 3-line block ×3, first 2 shown]
	s_cmp_gt_i32 s13, 9
	s_cbranch_scc0 .LBB62_2474
; %bb.2470:
	global_load_b64 v[14:15], v[6:7], off
	s_mov_b32 s22, 0
	s_wait_loadcnt 0x0
	v_cvt_i32_f64_e32 v11, v[14:15]
	s_branch .LBB62_2475
.LBB62_2471:
	s_mov_b32 s22, -1
                                        ; implicit-def: $vgpr11
	s_branch .LBB62_2493
.LBB62_2472:
	s_mov_b32 s22, -1
                                        ; implicit-def: $vgpr11
	s_branch .LBB62_2481
.LBB62_2473:
	s_mov_b32 s22, -1
                                        ; implicit-def: $vgpr11
	s_branch .LBB62_2478
.LBB62_2474:
	s_mov_b32 s22, -1
                                        ; implicit-def: $vgpr11
.LBB62_2475:
	s_delay_alu instid0(SALU_CYCLE_1)
	s_and_not1_b32 vcc_lo, exec_lo, s22
	s_cbranch_vccnz .LBB62_2477
; %bb.2476:
	global_load_b32 v1, v[6:7], off
	s_wait_loadcnt 0x0
	v_cvt_i32_f32_e32 v11, v1
.LBB62_2477:
	s_mov_b32 s22, 0
.LBB62_2478:
	s_delay_alu instid0(SALU_CYCLE_1)
	s_and_not1_b32 vcc_lo, exec_lo, s22
	s_cbranch_vccnz .LBB62_2480
; %bb.2479:
	global_load_b32 v1, v[6:7], off
	s_wait_loadcnt 0x0
	v_cvt_f32_f16_e32 v1, v1
	s_delay_alu instid0(VALU_DEP_1)
	v_cvt_i32_f32_e32 v11, v1
.LBB62_2480:
	s_mov_b32 s22, 0
.LBB62_2481:
	s_delay_alu instid0(SALU_CYCLE_1)
	s_and_not1_b32 vcc_lo, exec_lo, s22
	s_cbranch_vccnz .LBB62_2492
; %bb.2482:
	s_cmp_lt_i32 s13, 6
	s_cbranch_scc1 .LBB62_2485
; %bb.2483:
	s_cmp_gt_i32 s13, 6
	s_cbranch_scc0 .LBB62_2486
; %bb.2484:
	global_load_b64 v[14:15], v[6:7], off
	s_mov_b32 s22, 0
	s_wait_loadcnt 0x0
	v_cvt_i32_f64_e32 v11, v[14:15]
	s_branch .LBB62_2487
.LBB62_2485:
	s_mov_b32 s22, -1
                                        ; implicit-def: $vgpr11
	s_branch .LBB62_2490
.LBB62_2486:
	s_mov_b32 s22, -1
                                        ; implicit-def: $vgpr11
.LBB62_2487:
	s_delay_alu instid0(SALU_CYCLE_1)
	s_and_not1_b32 vcc_lo, exec_lo, s22
	s_cbranch_vccnz .LBB62_2489
; %bb.2488:
	global_load_b32 v1, v[6:7], off
	s_wait_loadcnt 0x0
	v_cvt_i32_f32_e32 v11, v1
.LBB62_2489:
	s_mov_b32 s22, 0
.LBB62_2490:
	s_delay_alu instid0(SALU_CYCLE_1)
	s_and_not1_b32 vcc_lo, exec_lo, s22
	s_cbranch_vccnz .LBB62_2492
; %bb.2491:
	global_load_u16 v1, v[6:7], off
	s_wait_loadcnt 0x0
	v_cvt_f32_f16_e32 v1, v1
	s_delay_alu instid0(VALU_DEP_1)
	v_cvt_i32_f32_e32 v11, v1
.LBB62_2492:
	s_mov_b32 s22, 0
.LBB62_2493:
	s_delay_alu instid0(SALU_CYCLE_1)
	s_and_not1_b32 vcc_lo, exec_lo, s22
	s_cbranch_vccnz .LBB62_2513
; %bb.2494:
	s_cmp_lt_i32 s13, 2
	s_cbranch_scc1 .LBB62_2498
; %bb.2495:
	s_cmp_lt_i32 s13, 3
	s_cbranch_scc1 .LBB62_2499
; %bb.2496:
	s_cmp_gt_i32 s13, 3
	s_cbranch_scc0 .LBB62_2500
; %bb.2497:
	s_wait_loadcnt 0x0
	global_load_b32 v11, v[6:7], off
	s_mov_b32 s22, 0
	s_branch .LBB62_2501
.LBB62_2498:
	s_mov_b32 s22, -1
                                        ; implicit-def: $vgpr11
	s_branch .LBB62_2507
.LBB62_2499:
	s_mov_b32 s22, -1
                                        ; implicit-def: $vgpr11
	s_branch .LBB62_2504
.LBB62_2500:
	s_mov_b32 s22, -1
                                        ; implicit-def: $vgpr11
.LBB62_2501:
	s_delay_alu instid0(SALU_CYCLE_1)
	s_and_not1_b32 vcc_lo, exec_lo, s22
	s_cbranch_vccnz .LBB62_2503
; %bb.2502:
	s_wait_loadcnt 0x0
	global_load_b32 v11, v[6:7], off
.LBB62_2503:
	s_mov_b32 s22, 0
.LBB62_2504:
	s_delay_alu instid0(SALU_CYCLE_1)
	s_and_not1_b32 vcc_lo, exec_lo, s22
	s_cbranch_vccnz .LBB62_2506
; %bb.2505:
	s_wait_loadcnt 0x0
	global_load_i16 v11, v[6:7], off
.LBB62_2506:
	s_mov_b32 s22, 0
.LBB62_2507:
	s_delay_alu instid0(SALU_CYCLE_1)
	s_and_not1_b32 vcc_lo, exec_lo, s22
	s_cbranch_vccnz .LBB62_2513
; %bb.2508:
	s_cmp_gt_i32 s13, 0
	s_mov_b32 s13, 0
	s_cbranch_scc0 .LBB62_2510
; %bb.2509:
	s_wait_loadcnt 0x0
	global_load_i8 v11, v[6:7], off
	s_branch .LBB62_2511
.LBB62_2510:
	s_mov_b32 s13, -1
                                        ; implicit-def: $vgpr11
.LBB62_2511:
	s_delay_alu instid0(SALU_CYCLE_1)
	s_and_not1_b32 vcc_lo, exec_lo, s13
	s_cbranch_vccnz .LBB62_2513
; %bb.2512:
	s_wait_loadcnt 0x0
	global_load_u8 v11, v[6:7], off
.LBB62_2513:
	s_mov_b32 s24, -1
.LBB62_2514:
	s_delay_alu instid0(SALU_CYCLE_1)
	s_and_not1_b32 vcc_lo, exec_lo, s24
	s_cbranch_vccnz .LBB62_3968
; %bb.2515:
	s_lshl_b32 s13, s14, 7
	s_cmp_lt_i32 s2, 11
	v_add_nc_u32_e32 v2, s13, v2
	s_delay_alu instid0(VALU_DEP_1) | instskip(SKIP_1) | instid1(VALU_DEP_1)
	v_ashrrev_i32_e32 v3, 31, v2
	s_wait_xcnt 0x0
	v_add_nc_u64_e32 v[6:7], s[8:9], v[2:3]
	s_cbranch_scc1 .LBB62_2522
; %bb.2516:
	s_and_b32 s14, 0xffff, s2
	s_mov_b32 s23, 0
	s_cmp_gt_i32 s14, 25
	s_cbranch_scc0 .LBB62_2523
; %bb.2517:
	s_cmp_gt_i32 s14, 28
	s_cbranch_scc0 .LBB62_2524
; %bb.2518:
	;; [unrolled: 3-line block ×4, first 2 shown]
	s_cmp_eq_u32 s14, 46
	s_mov_b32 s25, 0
	s_cbranch_scc0 .LBB62_2528
; %bb.2521:
	global_load_b32 v1, v[6:7], off
	s_mov_b32 s22, 0
	s_mov_b32 s24, -1
	s_wait_loadcnt 0x0
	v_lshlrev_b32_e32 v1, 16, v1
	s_delay_alu instid0(VALU_DEP_1)
	v_cvt_i32_f32_e32 v13, v1
	s_branch .LBB62_2530
.LBB62_2522:
	s_mov_b32 s14, -1
	s_mov_b32 s24, 0
                                        ; implicit-def: $vgpr13
	s_branch .LBB62_2592
.LBB62_2523:
	s_mov_b32 s25, -1
	s_mov_b32 s24, 0
	s_mov_b32 s22, 0
                                        ; implicit-def: $vgpr13
	s_branch .LBB62_2557
.LBB62_2524:
	s_mov_b32 s25, -1
	s_mov_b32 s24, 0
	s_mov_b32 s22, 0
                                        ; implicit-def: $vgpr13
	s_branch .LBB62_2540
.LBB62_2525:
	s_mov_b32 s25, -1
	s_mov_b32 s24, 0
	s_mov_b32 s22, 0
                                        ; implicit-def: $vgpr13
	s_branch .LBB62_2535
.LBB62_2526:
	s_or_b32 s3, s3, exec_lo
	s_trap 2
	s_cbranch_execz .LBB62_2463
	s_branch .LBB62_2464
.LBB62_2527:
	s_mov_b32 s25, -1
	s_mov_b32 s24, 0
	s_mov_b32 s22, 0
	s_branch .LBB62_2529
.LBB62_2528:
	s_mov_b32 s22, -1
	s_mov_b32 s24, 0
.LBB62_2529:
                                        ; implicit-def: $vgpr13
.LBB62_2530:
	s_and_b32 vcc_lo, exec_lo, s25
	s_cbranch_vccz .LBB62_2534
; %bb.2531:
	s_cmp_eq_u32 s14, 44
	s_cbranch_scc0 .LBB62_2533
; %bb.2532:
	global_load_u8 v1, v[6:7], off
	s_mov_b32 s22, 0
	s_mov_b32 s24, -1
	s_wait_loadcnt 0x0
	v_lshlrev_b32_e32 v3, 23, v1
	v_cmp_ne_u32_e32 vcc_lo, 0, v1
	s_delay_alu instid0(VALU_DEP_2) | instskip(NEXT) | instid1(VALU_DEP_1)
	v_cvt_i32_f32_e32 v3, v3
	v_cndmask_b32_e32 v13, 0, v3, vcc_lo
	s_branch .LBB62_2534
.LBB62_2533:
	s_mov_b32 s22, -1
                                        ; implicit-def: $vgpr13
.LBB62_2534:
	s_mov_b32 s25, 0
.LBB62_2535:
	s_delay_alu instid0(SALU_CYCLE_1)
	s_and_b32 vcc_lo, exec_lo, s25
	s_cbranch_vccz .LBB62_2539
; %bb.2536:
	s_cmp_eq_u32 s14, 29
	s_cbranch_scc0 .LBB62_2538
; %bb.2537:
	global_load_b32 v13, v[6:7], off
	s_mov_b32 s22, 0
	s_mov_b32 s24, -1
	s_branch .LBB62_2539
.LBB62_2538:
	s_mov_b32 s22, -1
                                        ; implicit-def: $vgpr13
.LBB62_2539:
	s_mov_b32 s25, 0
.LBB62_2540:
	s_delay_alu instid0(SALU_CYCLE_1)
	s_and_b32 vcc_lo, exec_lo, s25
	s_cbranch_vccz .LBB62_2556
; %bb.2541:
	s_cmp_lt_i32 s14, 27
	s_cbranch_scc1 .LBB62_2544
; %bb.2542:
	s_cmp_gt_i32 s14, 27
	s_cbranch_scc0 .LBB62_2545
; %bb.2543:
	s_wait_loadcnt 0x0
	global_load_b32 v13, v[6:7], off
	s_mov_b32 s24, 0
	s_branch .LBB62_2546
.LBB62_2544:
	s_mov_b32 s24, -1
                                        ; implicit-def: $vgpr13
	s_branch .LBB62_2549
.LBB62_2545:
	s_mov_b32 s24, -1
                                        ; implicit-def: $vgpr13
.LBB62_2546:
	s_delay_alu instid0(SALU_CYCLE_1)
	s_and_not1_b32 vcc_lo, exec_lo, s24
	s_cbranch_vccnz .LBB62_2548
; %bb.2547:
	s_wait_loadcnt 0x0
	global_load_u16 v13, v[6:7], off
.LBB62_2548:
	s_mov_b32 s24, 0
.LBB62_2549:
	s_delay_alu instid0(SALU_CYCLE_1)
	s_and_not1_b32 vcc_lo, exec_lo, s24
	s_cbranch_vccnz .LBB62_2555
; %bb.2550:
	global_load_u8 v1, v[6:7], off
	s_mov_b32 s25, 0
	s_mov_b32 s24, exec_lo
	s_wait_loadcnt 0x0
	v_cmpx_lt_i16_e32 0x7f, v1
	s_xor_b32 s24, exec_lo, s24
	s_cbranch_execz .LBB62_2567
; %bb.2551:
	v_cmp_ne_u16_e32 vcc_lo, 0x80, v1
	s_and_b32 s25, vcc_lo, exec_lo
	s_and_not1_saveexec_b32 s24, s24
	s_cbranch_execnz .LBB62_2568
.LBB62_2552:
	s_or_b32 exec_lo, exec_lo, s24
	v_mov_b32_e32 v13, 0
	s_and_saveexec_b32 s24, s25
	s_cbranch_execz .LBB62_2554
.LBB62_2553:
	v_and_b32_e32 v3, 0xffff, v1
	s_delay_alu instid0(VALU_DEP_1) | instskip(SKIP_1) | instid1(VALU_DEP_2)
	v_and_b32_e32 v5, 7, v3
	v_bfe_u32 v15, v3, 3, 4
	v_clz_i32_u32_e32 v13, v5
	s_delay_alu instid0(VALU_DEP_2) | instskip(NEXT) | instid1(VALU_DEP_2)
	v_cmp_eq_u32_e32 vcc_lo, 0, v15
	v_min_u32_e32 v13, 32, v13
	s_delay_alu instid0(VALU_DEP_1) | instskip(NEXT) | instid1(VALU_DEP_1)
	v_subrev_nc_u32_e32 v14, 28, v13
	v_dual_lshlrev_b32 v3, v14, v3 :: v_dual_sub_nc_u32 v13, 29, v13
	s_delay_alu instid0(VALU_DEP_1) | instskip(NEXT) | instid1(VALU_DEP_1)
	v_dual_lshlrev_b32 v1, 24, v1 :: v_dual_bitop2_b32 v3, 7, v3 bitop3:0x40
	v_dual_cndmask_b32 v3, v5, v3, vcc_lo :: v_dual_cndmask_b32 v13, v15, v13, vcc_lo
	s_delay_alu instid0(VALU_DEP_2) | instskip(NEXT) | instid1(VALU_DEP_2)
	v_and_b32_e32 v1, 0x80000000, v1
	v_lshlrev_b32_e32 v3, 20, v3
	s_delay_alu instid0(VALU_DEP_3) | instskip(NEXT) | instid1(VALU_DEP_1)
	v_lshl_add_u32 v5, v13, 23, 0x3b800000
	v_or3_b32 v1, v1, v5, v3
	s_delay_alu instid0(VALU_DEP_1)
	v_cvt_i32_f32_e32 v13, v1
.LBB62_2554:
	s_or_b32 exec_lo, exec_lo, s24
.LBB62_2555:
	s_mov_b32 s24, -1
.LBB62_2556:
	s_mov_b32 s25, 0
.LBB62_2557:
	s_delay_alu instid0(SALU_CYCLE_1)
	s_and_b32 vcc_lo, exec_lo, s25
	s_cbranch_vccz .LBB62_2588
; %bb.2558:
	s_cmp_gt_i32 s14, 22
	s_cbranch_scc0 .LBB62_2566
; %bb.2559:
	s_cmp_lt_i32 s14, 24
	s_cbranch_scc1 .LBB62_2569
; %bb.2560:
	s_cmp_gt_i32 s14, 24
	s_cbranch_scc0 .LBB62_2570
; %bb.2561:
	global_load_u8 v1, v[6:7], off
	s_mov_b32 s24, 0
	s_mov_b32 s23, exec_lo
	s_wait_loadcnt 0x0
	v_cmpx_lt_i16_e32 0x7f, v1
	s_xor_b32 s23, exec_lo, s23
	s_cbranch_execz .LBB62_2582
; %bb.2562:
	v_cmp_ne_u16_e32 vcc_lo, 0x80, v1
	s_and_b32 s24, vcc_lo, exec_lo
	s_and_not1_saveexec_b32 s23, s23
	s_cbranch_execnz .LBB62_2583
.LBB62_2563:
	s_or_b32 exec_lo, exec_lo, s23
	v_mov_b32_e32 v13, 0
	s_and_saveexec_b32 s23, s24
	s_cbranch_execz .LBB62_2565
.LBB62_2564:
	v_and_b32_e32 v3, 0xffff, v1
	s_delay_alu instid0(VALU_DEP_1) | instskip(SKIP_1) | instid1(VALU_DEP_2)
	v_and_b32_e32 v5, 3, v3
	v_bfe_u32 v15, v3, 2, 5
	v_clz_i32_u32_e32 v13, v5
	s_delay_alu instid0(VALU_DEP_2) | instskip(NEXT) | instid1(VALU_DEP_2)
	v_cmp_eq_u32_e32 vcc_lo, 0, v15
	v_min_u32_e32 v13, 32, v13
	s_delay_alu instid0(VALU_DEP_1) | instskip(NEXT) | instid1(VALU_DEP_1)
	v_subrev_nc_u32_e32 v14, 29, v13
	v_dual_lshlrev_b32 v3, v14, v3 :: v_dual_sub_nc_u32 v13, 30, v13
	s_delay_alu instid0(VALU_DEP_1) | instskip(NEXT) | instid1(VALU_DEP_1)
	v_dual_lshlrev_b32 v1, 24, v1 :: v_dual_bitop2_b32 v3, 3, v3 bitop3:0x40
	v_dual_cndmask_b32 v3, v5, v3, vcc_lo :: v_dual_cndmask_b32 v13, v15, v13, vcc_lo
	s_delay_alu instid0(VALU_DEP_2) | instskip(NEXT) | instid1(VALU_DEP_2)
	v_and_b32_e32 v1, 0x80000000, v1
	v_lshlrev_b32_e32 v3, 21, v3
	s_delay_alu instid0(VALU_DEP_3) | instskip(NEXT) | instid1(VALU_DEP_1)
	v_lshl_add_u32 v5, v13, 23, 0x37800000
	v_or3_b32 v1, v1, v5, v3
	s_delay_alu instid0(VALU_DEP_1)
	v_cvt_i32_f32_e32 v13, v1
.LBB62_2565:
	s_or_b32 exec_lo, exec_lo, s23
	s_mov_b32 s23, 0
	s_branch .LBB62_2571
.LBB62_2566:
	s_mov_b32 s23, -1
                                        ; implicit-def: $vgpr13
	s_branch .LBB62_2577
.LBB62_2567:
	s_and_not1_saveexec_b32 s24, s24
	s_cbranch_execz .LBB62_2552
.LBB62_2568:
	v_cmp_ne_u16_e32 vcc_lo, 0, v1
	s_and_not1_b32 s25, s25, exec_lo
	s_and_b32 s26, vcc_lo, exec_lo
	s_delay_alu instid0(SALU_CYCLE_1)
	s_or_b32 s25, s25, s26
	s_or_b32 exec_lo, exec_lo, s24
	v_mov_b32_e32 v13, 0
	s_and_saveexec_b32 s24, s25
	s_cbranch_execnz .LBB62_2553
	s_branch .LBB62_2554
.LBB62_2569:
	s_mov_b32 s23, -1
                                        ; implicit-def: $vgpr13
	s_branch .LBB62_2574
.LBB62_2570:
	s_mov_b32 s23, -1
                                        ; implicit-def: $vgpr13
.LBB62_2571:
	s_delay_alu instid0(SALU_CYCLE_1)
	s_and_b32 vcc_lo, exec_lo, s23
	s_cbranch_vccz .LBB62_2573
; %bb.2572:
	global_load_u8 v1, v[6:7], off
	s_wait_loadcnt 0x0
	v_lshlrev_b32_e32 v1, 24, v1
	s_delay_alu instid0(VALU_DEP_1) | instskip(NEXT) | instid1(VALU_DEP_1)
	v_and_b32_e32 v3, 0x7f000000, v1
	v_clz_i32_u32_e32 v5, v3
	v_cmp_ne_u32_e32 vcc_lo, 0, v3
	v_add_nc_u32_e32 v14, 0x1000000, v3
	s_delay_alu instid0(VALU_DEP_3) | instskip(NEXT) | instid1(VALU_DEP_1)
	v_min_u32_e32 v5, 32, v5
	v_sub_nc_u32_e64 v5, v5, 4 clamp
	s_delay_alu instid0(VALU_DEP_1) | instskip(NEXT) | instid1(VALU_DEP_1)
	v_dual_lshlrev_b32 v13, v5, v3 :: v_dual_lshlrev_b32 v5, 23, v5
	v_lshrrev_b32_e32 v13, 4, v13
	s_delay_alu instid0(VALU_DEP_1) | instskip(NEXT) | instid1(VALU_DEP_1)
	v_dual_sub_nc_u32 v5, v13, v5 :: v_dual_ashrrev_i32 v13, 8, v14
	v_add_nc_u32_e32 v5, 0x3c000000, v5
	s_delay_alu instid0(VALU_DEP_1) | instskip(NEXT) | instid1(VALU_DEP_1)
	v_and_or_b32 v5, 0x7f800000, v13, v5
	v_cndmask_b32_e32 v3, 0, v5, vcc_lo
	s_delay_alu instid0(VALU_DEP_1) | instskip(NEXT) | instid1(VALU_DEP_1)
	v_and_or_b32 v1, 0x80000000, v1, v3
	v_cvt_i32_f32_e32 v13, v1
.LBB62_2573:
	s_mov_b32 s23, 0
.LBB62_2574:
	s_delay_alu instid0(SALU_CYCLE_1)
	s_and_not1_b32 vcc_lo, exec_lo, s23
	s_cbranch_vccnz .LBB62_2576
; %bb.2575:
	global_load_u8 v1, v[6:7], off
	s_wait_loadcnt 0x0
	v_lshlrev_b32_e32 v3, 25, v1
	v_lshlrev_b16 v1, 8, v1
	s_delay_alu instid0(VALU_DEP_2) | instskip(NEXT) | instid1(VALU_DEP_2)
	v_cmp_gt_u32_e32 vcc_lo, 0x8000000, v3
	v_and_or_b32 v13, 0x7f00, v1, 0.5
	v_lshrrev_b32_e32 v5, 4, v3
	v_bfe_i32 v1, v1, 0, 16
	s_delay_alu instid0(VALU_DEP_3) | instskip(NEXT) | instid1(VALU_DEP_3)
	v_add_f32_e32 v13, -0.5, v13
	v_or_b32_e32 v5, 0x70000000, v5
	s_delay_alu instid0(VALU_DEP_1) | instskip(NEXT) | instid1(VALU_DEP_1)
	v_mul_f32_e32 v5, 0x7800000, v5
	v_cndmask_b32_e32 v3, v5, v13, vcc_lo
	s_delay_alu instid0(VALU_DEP_1) | instskip(NEXT) | instid1(VALU_DEP_1)
	v_and_or_b32 v1, 0x80000000, v1, v3
	v_cvt_i32_f32_e32 v13, v1
.LBB62_2576:
	s_mov_b32 s23, 0
	s_mov_b32 s24, -1
.LBB62_2577:
	s_and_not1_b32 vcc_lo, exec_lo, s23
	s_mov_b32 s23, 0
	s_cbranch_vccnz .LBB62_2588
; %bb.2578:
	s_cmp_gt_i32 s14, 14
	s_cbranch_scc0 .LBB62_2581
; %bb.2579:
	s_cmp_eq_u32 s14, 15
	s_cbranch_scc0 .LBB62_2584
; %bb.2580:
	global_load_u16 v1, v[6:7], off
	s_mov_b32 s22, 0
	s_mov_b32 s24, -1
	s_wait_loadcnt 0x0
	v_lshlrev_b32_e32 v1, 16, v1
	s_delay_alu instid0(VALU_DEP_1)
	v_cvt_i32_f32_e32 v13, v1
	s_branch .LBB62_2586
.LBB62_2581:
	s_mov_b32 s23, -1
	s_branch .LBB62_2585
.LBB62_2582:
	s_and_not1_saveexec_b32 s23, s23
	s_cbranch_execz .LBB62_2563
.LBB62_2583:
	v_cmp_ne_u16_e32 vcc_lo, 0, v1
	s_and_not1_b32 s24, s24, exec_lo
	s_and_b32 s25, vcc_lo, exec_lo
	s_delay_alu instid0(SALU_CYCLE_1)
	s_or_b32 s24, s24, s25
	s_or_b32 exec_lo, exec_lo, s23
	v_mov_b32_e32 v13, 0
	s_and_saveexec_b32 s23, s24
	s_cbranch_execnz .LBB62_2564
	s_branch .LBB62_2565
.LBB62_2584:
	s_mov_b32 s22, -1
.LBB62_2585:
                                        ; implicit-def: $vgpr13
.LBB62_2586:
	s_and_b32 vcc_lo, exec_lo, s23
	s_mov_b32 s23, 0
	s_cbranch_vccz .LBB62_2588
; %bb.2587:
	s_cmp_lg_u32 s14, 11
	s_mov_b32 s23, -1
	s_cselect_b32 s22, -1, 0
.LBB62_2588:
	s_delay_alu instid0(SALU_CYCLE_1)
	s_and_b32 vcc_lo, exec_lo, s22
	s_cbranch_vccnz .LBB62_2653
; %bb.2589:
	s_and_not1_b32 vcc_lo, exec_lo, s23
	s_cbranch_vccnz .LBB62_2591
.LBB62_2590:
	global_load_u8 v1, v[6:7], off
	s_mov_b32 s24, -1
	s_wait_loadcnt 0x0
	v_cmp_ne_u16_e32 vcc_lo, 0, v1
	v_cndmask_b32_e64 v13, 0, 1, vcc_lo
.LBB62_2591:
	s_mov_b32 s14, 0
.LBB62_2592:
	s_delay_alu instid0(SALU_CYCLE_1)
	s_and_b32 vcc_lo, exec_lo, s14
	s_cbranch_vccz .LBB62_2641
; %bb.2593:
	s_and_b32 s14, 0xffff, s2
	s_delay_alu instid0(SALU_CYCLE_1)
	s_cmp_lt_i32 s14, 5
	s_cbranch_scc1 .LBB62_2598
; %bb.2594:
	s_cmp_lt_i32 s14, 8
	s_cbranch_scc1 .LBB62_2599
; %bb.2595:
	;; [unrolled: 3-line block ×3, first 2 shown]
	s_cmp_gt_i32 s14, 9
	s_cbranch_scc0 .LBB62_2601
; %bb.2597:
	global_load_b64 v[14:15], v[6:7], off
	s_mov_b32 s22, 0
	s_wait_loadcnt 0x0
	v_cvt_i32_f64_e32 v13, v[14:15]
	s_branch .LBB62_2602
.LBB62_2598:
	s_mov_b32 s22, -1
                                        ; implicit-def: $vgpr13
	s_branch .LBB62_2620
.LBB62_2599:
	s_mov_b32 s22, -1
                                        ; implicit-def: $vgpr13
	s_branch .LBB62_2608
.LBB62_2600:
	s_mov_b32 s22, -1
                                        ; implicit-def: $vgpr13
	s_branch .LBB62_2605
.LBB62_2601:
	s_mov_b32 s22, -1
                                        ; implicit-def: $vgpr13
.LBB62_2602:
	s_delay_alu instid0(SALU_CYCLE_1)
	s_and_not1_b32 vcc_lo, exec_lo, s22
	s_cbranch_vccnz .LBB62_2604
; %bb.2603:
	global_load_b32 v1, v[6:7], off
	s_wait_loadcnt 0x0
	v_cvt_i32_f32_e32 v13, v1
.LBB62_2604:
	s_mov_b32 s22, 0
.LBB62_2605:
	s_delay_alu instid0(SALU_CYCLE_1)
	s_and_not1_b32 vcc_lo, exec_lo, s22
	s_cbranch_vccnz .LBB62_2607
; %bb.2606:
	global_load_b32 v1, v[6:7], off
	s_wait_loadcnt 0x0
	v_cvt_f32_f16_e32 v1, v1
	s_delay_alu instid0(VALU_DEP_1)
	v_cvt_i32_f32_e32 v13, v1
.LBB62_2607:
	s_mov_b32 s22, 0
.LBB62_2608:
	s_delay_alu instid0(SALU_CYCLE_1)
	s_and_not1_b32 vcc_lo, exec_lo, s22
	s_cbranch_vccnz .LBB62_2619
; %bb.2609:
	s_cmp_lt_i32 s14, 6
	s_cbranch_scc1 .LBB62_2612
; %bb.2610:
	s_cmp_gt_i32 s14, 6
	s_cbranch_scc0 .LBB62_2613
; %bb.2611:
	global_load_b64 v[14:15], v[6:7], off
	s_mov_b32 s22, 0
	s_wait_loadcnt 0x0
	v_cvt_i32_f64_e32 v13, v[14:15]
	s_branch .LBB62_2614
.LBB62_2612:
	s_mov_b32 s22, -1
                                        ; implicit-def: $vgpr13
	s_branch .LBB62_2617
.LBB62_2613:
	s_mov_b32 s22, -1
                                        ; implicit-def: $vgpr13
.LBB62_2614:
	s_delay_alu instid0(SALU_CYCLE_1)
	s_and_not1_b32 vcc_lo, exec_lo, s22
	s_cbranch_vccnz .LBB62_2616
; %bb.2615:
	global_load_b32 v1, v[6:7], off
	s_wait_loadcnt 0x0
	v_cvt_i32_f32_e32 v13, v1
.LBB62_2616:
	s_mov_b32 s22, 0
.LBB62_2617:
	s_delay_alu instid0(SALU_CYCLE_1)
	s_and_not1_b32 vcc_lo, exec_lo, s22
	s_cbranch_vccnz .LBB62_2619
; %bb.2618:
	global_load_u16 v1, v[6:7], off
	s_wait_loadcnt 0x0
	v_cvt_f32_f16_e32 v1, v1
	s_delay_alu instid0(VALU_DEP_1)
	v_cvt_i32_f32_e32 v13, v1
.LBB62_2619:
	s_mov_b32 s22, 0
.LBB62_2620:
	s_delay_alu instid0(SALU_CYCLE_1)
	s_and_not1_b32 vcc_lo, exec_lo, s22
	s_cbranch_vccnz .LBB62_2640
; %bb.2621:
	s_cmp_lt_i32 s14, 2
	s_cbranch_scc1 .LBB62_2625
; %bb.2622:
	s_cmp_lt_i32 s14, 3
	s_cbranch_scc1 .LBB62_2626
; %bb.2623:
	s_cmp_gt_i32 s14, 3
	s_cbranch_scc0 .LBB62_2627
; %bb.2624:
	s_wait_loadcnt 0x0
	global_load_b32 v13, v[6:7], off
	s_mov_b32 s22, 0
	s_branch .LBB62_2628
.LBB62_2625:
	s_mov_b32 s22, -1
                                        ; implicit-def: $vgpr13
	s_branch .LBB62_2634
.LBB62_2626:
	s_mov_b32 s22, -1
                                        ; implicit-def: $vgpr13
	s_branch .LBB62_2631
.LBB62_2627:
	s_mov_b32 s22, -1
                                        ; implicit-def: $vgpr13
.LBB62_2628:
	s_delay_alu instid0(SALU_CYCLE_1)
	s_and_not1_b32 vcc_lo, exec_lo, s22
	s_cbranch_vccnz .LBB62_2630
; %bb.2629:
	s_wait_loadcnt 0x0
	global_load_b32 v13, v[6:7], off
.LBB62_2630:
	s_mov_b32 s22, 0
.LBB62_2631:
	s_delay_alu instid0(SALU_CYCLE_1)
	s_and_not1_b32 vcc_lo, exec_lo, s22
	s_cbranch_vccnz .LBB62_2633
; %bb.2632:
	s_wait_loadcnt 0x0
	global_load_i16 v13, v[6:7], off
.LBB62_2633:
	s_mov_b32 s22, 0
.LBB62_2634:
	s_delay_alu instid0(SALU_CYCLE_1)
	s_and_not1_b32 vcc_lo, exec_lo, s22
	s_cbranch_vccnz .LBB62_2640
; %bb.2635:
	s_cmp_gt_i32 s14, 0
	s_mov_b32 s14, 0
	s_cbranch_scc0 .LBB62_2637
; %bb.2636:
	s_wait_loadcnt 0x0
	global_load_i8 v13, v[6:7], off
	s_branch .LBB62_2638
.LBB62_2637:
	s_mov_b32 s14, -1
                                        ; implicit-def: $vgpr13
.LBB62_2638:
	s_delay_alu instid0(SALU_CYCLE_1)
	s_and_not1_b32 vcc_lo, exec_lo, s14
	s_cbranch_vccnz .LBB62_2640
; %bb.2639:
	s_wait_loadcnt 0x0
	global_load_u8 v13, v[6:7], off
.LBB62_2640:
	s_mov_b32 s24, -1
.LBB62_2641:
	s_delay_alu instid0(SALU_CYCLE_1)
	s_and_not1_b32 vcc_lo, exec_lo, s24
	s_cbranch_vccnz .LBB62_3968
; %bb.2642:
	s_lshl_b32 s14, s15, 7
	s_cmp_lt_i32 s0, 11
	v_add_nc_u32_e32 v4, s14, v4
	s_delay_alu instid0(VALU_DEP_1) | instskip(SKIP_1) | instid1(VALU_DEP_1)
	v_ashrrev_i32_e32 v5, 31, v4
	s_wait_xcnt 0x0
	v_add_nc_u64_e32 v[6:7], s[10:11], v[4:5]
	s_cbranch_scc1 .LBB62_2649
; %bb.2643:
	s_cmp_gt_i32 s0, 25
	s_mov_b32 s22, 0
	s_cbranch_scc0 .LBB62_2650
; %bb.2644:
	s_cmp_gt_i32 s0, 28
	s_cbranch_scc0 .LBB62_2651
; %bb.2645:
	s_cmp_gt_i32 s0, 43
	;; [unrolled: 3-line block ×3, first 2 shown]
	s_cbranch_scc0 .LBB62_2654
; %bb.2647:
	s_cmp_eq_u32 s0, 46
	s_mov_b32 s24, 0
	s_cbranch_scc0 .LBB62_2657
; %bb.2648:
	global_load_b32 v1, v[6:7], off
	s_mov_b32 s15, 0
	s_mov_b32 s23, -1
	s_wait_loadcnt 0x0
	v_lshlrev_b32_e32 v1, 16, v1
	s_delay_alu instid0(VALU_DEP_1)
	v_cvt_i32_f32_e32 v15, v1
	s_branch .LBB62_2659
.LBB62_2649:
	s_mov_b32 s15, -1
	s_mov_b32 s23, 0
                                        ; implicit-def: $vgpr15
	s_branch .LBB62_2721
.LBB62_2650:
	s_mov_b32 s24, -1
	s_mov_b32 s23, 0
	s_mov_b32 s15, 0
                                        ; implicit-def: $vgpr15
	s_branch .LBB62_2686
.LBB62_2651:
	s_mov_b32 s24, -1
	s_mov_b32 s23, 0
	s_mov_b32 s15, 0
                                        ; implicit-def: $vgpr15
	s_branch .LBB62_2669
.LBB62_2652:
	s_mov_b32 s24, -1
	s_mov_b32 s23, 0
	s_mov_b32 s15, 0
                                        ; implicit-def: $vgpr15
	s_branch .LBB62_2664
.LBB62_2653:
	s_or_b32 s3, s3, exec_lo
	s_trap 2
	s_cbranch_execz .LBB62_2590
	s_branch .LBB62_2591
.LBB62_2654:
	s_mov_b32 s24, -1
	s_mov_b32 s23, 0
	s_mov_b32 s15, 0
	s_branch .LBB62_2658
.LBB62_2655:
	s_and_not1_saveexec_b32 s41, s41
	s_cbranch_execz .LBB62_1428
.LBB62_2656:
	v_add_f32_e64 v4, 0x46000000, |v1|
	s_and_not1_b32 s40, s40, exec_lo
	s_delay_alu instid0(VALU_DEP_1) | instskip(NEXT) | instid1(VALU_DEP_1)
	v_and_b32_e32 v4, 0xff, v4
	v_cmp_ne_u32_e32 vcc_lo, 0, v4
	s_and_b32 s42, vcc_lo, exec_lo
	s_delay_alu instid0(SALU_CYCLE_1)
	s_or_b32 s40, s40, s42
	s_or_b32 exec_lo, exec_lo, s41
	v_mov_b32_e32 v5, 0
	s_and_saveexec_b32 s41, s40
	s_cbranch_execnz .LBB62_1429
	s_branch .LBB62_1430
.LBB62_2657:
	s_mov_b32 s15, -1
	s_mov_b32 s23, 0
.LBB62_2658:
                                        ; implicit-def: $vgpr15
.LBB62_2659:
	s_and_b32 vcc_lo, exec_lo, s24
	s_cbranch_vccz .LBB62_2663
; %bb.2660:
	s_cmp_eq_u32 s0, 44
	s_cbranch_scc0 .LBB62_2662
; %bb.2661:
	global_load_u8 v1, v[6:7], off
	s_mov_b32 s15, 0
	s_mov_b32 s23, -1
	s_wait_loadcnt 0x0
	v_lshlrev_b32_e32 v3, 23, v1
	v_cmp_ne_u32_e32 vcc_lo, 0, v1
	s_delay_alu instid0(VALU_DEP_2) | instskip(NEXT) | instid1(VALU_DEP_1)
	v_cvt_i32_f32_e32 v3, v3
	v_cndmask_b32_e32 v15, 0, v3, vcc_lo
	s_branch .LBB62_2663
.LBB62_2662:
	s_mov_b32 s15, -1
                                        ; implicit-def: $vgpr15
.LBB62_2663:
	s_mov_b32 s24, 0
.LBB62_2664:
	s_delay_alu instid0(SALU_CYCLE_1)
	s_and_b32 vcc_lo, exec_lo, s24
	s_cbranch_vccz .LBB62_2668
; %bb.2665:
	s_cmp_eq_u32 s0, 29
	s_cbranch_scc0 .LBB62_2667
; %bb.2666:
	global_load_b32 v15, v[6:7], off
	s_mov_b32 s15, 0
	s_mov_b32 s23, -1
	s_branch .LBB62_2668
.LBB62_2667:
	s_mov_b32 s15, -1
                                        ; implicit-def: $vgpr15
.LBB62_2668:
	s_mov_b32 s24, 0
.LBB62_2669:
	s_delay_alu instid0(SALU_CYCLE_1)
	s_and_b32 vcc_lo, exec_lo, s24
	s_cbranch_vccz .LBB62_2685
; %bb.2670:
	s_cmp_lt_i32 s0, 27
	s_cbranch_scc1 .LBB62_2673
; %bb.2671:
	s_cmp_gt_i32 s0, 27
	s_cbranch_scc0 .LBB62_2674
; %bb.2672:
	s_wait_loadcnt 0x0
	global_load_b32 v15, v[6:7], off
	s_mov_b32 s23, 0
	s_branch .LBB62_2675
.LBB62_2673:
	s_mov_b32 s23, -1
                                        ; implicit-def: $vgpr15
	s_branch .LBB62_2678
.LBB62_2674:
	s_mov_b32 s23, -1
                                        ; implicit-def: $vgpr15
.LBB62_2675:
	s_delay_alu instid0(SALU_CYCLE_1)
	s_and_not1_b32 vcc_lo, exec_lo, s23
	s_cbranch_vccnz .LBB62_2677
; %bb.2676:
	s_wait_loadcnt 0x0
	global_load_u16 v15, v[6:7], off
.LBB62_2677:
	s_mov_b32 s23, 0
.LBB62_2678:
	s_delay_alu instid0(SALU_CYCLE_1)
	s_and_not1_b32 vcc_lo, exec_lo, s23
	s_cbranch_vccnz .LBB62_2684
; %bb.2679:
	global_load_u8 v1, v[6:7], off
	s_mov_b32 s24, 0
	s_mov_b32 s23, exec_lo
	s_wait_loadcnt 0x0
	v_cmpx_lt_i16_e32 0x7f, v1
	s_xor_b32 s23, exec_lo, s23
	s_cbranch_execz .LBB62_2696
; %bb.2680:
	v_cmp_ne_u16_e32 vcc_lo, 0x80, v1
	s_and_b32 s24, vcc_lo, exec_lo
	s_and_not1_saveexec_b32 s23, s23
	s_cbranch_execnz .LBB62_2697
.LBB62_2681:
	s_or_b32 exec_lo, exec_lo, s23
	v_mov_b32_e32 v15, 0
	s_and_saveexec_b32 s23, s24
	s_cbranch_execz .LBB62_2683
.LBB62_2682:
	v_and_b32_e32 v3, 0xffff, v1
	s_delay_alu instid0(VALU_DEP_1) | instskip(SKIP_1) | instid1(VALU_DEP_2)
	v_and_b32_e32 v5, 7, v3
	v_bfe_u32 v16, v3, 3, 4
	v_clz_i32_u32_e32 v14, v5
	s_delay_alu instid0(VALU_DEP_2) | instskip(NEXT) | instid1(VALU_DEP_2)
	v_cmp_eq_u32_e32 vcc_lo, 0, v16
	v_min_u32_e32 v14, 32, v14
	s_delay_alu instid0(VALU_DEP_1) | instskip(NEXT) | instid1(VALU_DEP_1)
	v_subrev_nc_u32_e32 v15, 28, v14
	v_dual_lshlrev_b32 v3, v15, v3 :: v_dual_sub_nc_u32 v14, 29, v14
	s_delay_alu instid0(VALU_DEP_1) | instskip(NEXT) | instid1(VALU_DEP_1)
	v_dual_lshlrev_b32 v1, 24, v1 :: v_dual_bitop2_b32 v3, 7, v3 bitop3:0x40
	v_dual_cndmask_b32 v14, v16, v14 :: v_dual_cndmask_b32 v3, v5, v3
	s_delay_alu instid0(VALU_DEP_2) | instskip(NEXT) | instid1(VALU_DEP_2)
	v_and_b32_e32 v1, 0x80000000, v1
	v_lshl_add_u32 v5, v14, 23, 0x3b800000
	s_delay_alu instid0(VALU_DEP_3) | instskip(NEXT) | instid1(VALU_DEP_1)
	v_lshlrev_b32_e32 v3, 20, v3
	v_or3_b32 v1, v1, v5, v3
	s_delay_alu instid0(VALU_DEP_1)
	v_cvt_i32_f32_e32 v15, v1
.LBB62_2683:
	s_or_b32 exec_lo, exec_lo, s23
.LBB62_2684:
	s_mov_b32 s23, -1
.LBB62_2685:
	s_mov_b32 s24, 0
.LBB62_2686:
	s_delay_alu instid0(SALU_CYCLE_1)
	s_and_b32 vcc_lo, exec_lo, s24
	s_cbranch_vccz .LBB62_2717
; %bb.2687:
	s_cmp_gt_i32 s0, 22
	s_cbranch_scc0 .LBB62_2695
; %bb.2688:
	s_cmp_lt_i32 s0, 24
	s_cbranch_scc1 .LBB62_2698
; %bb.2689:
	s_cmp_gt_i32 s0, 24
	s_cbranch_scc0 .LBB62_2699
; %bb.2690:
	global_load_u8 v1, v[6:7], off
	s_mov_b32 s23, 0
	s_mov_b32 s22, exec_lo
	s_wait_loadcnt 0x0
	v_cmpx_lt_i16_e32 0x7f, v1
	s_xor_b32 s22, exec_lo, s22
	s_cbranch_execz .LBB62_2711
; %bb.2691:
	v_cmp_ne_u16_e32 vcc_lo, 0x80, v1
	s_and_b32 s23, vcc_lo, exec_lo
	s_and_not1_saveexec_b32 s22, s22
	s_cbranch_execnz .LBB62_2712
.LBB62_2692:
	s_or_b32 exec_lo, exec_lo, s22
	v_mov_b32_e32 v15, 0
	s_and_saveexec_b32 s22, s23
	s_cbranch_execz .LBB62_2694
.LBB62_2693:
	v_and_b32_e32 v3, 0xffff, v1
	s_delay_alu instid0(VALU_DEP_1) | instskip(SKIP_1) | instid1(VALU_DEP_2)
	v_and_b32_e32 v5, 3, v3
	v_bfe_u32 v16, v3, 2, 5
	v_clz_i32_u32_e32 v14, v5
	s_delay_alu instid0(VALU_DEP_2) | instskip(NEXT) | instid1(VALU_DEP_2)
	v_cmp_eq_u32_e32 vcc_lo, 0, v16
	v_min_u32_e32 v14, 32, v14
	s_delay_alu instid0(VALU_DEP_1) | instskip(NEXT) | instid1(VALU_DEP_1)
	v_subrev_nc_u32_e32 v15, 29, v14
	v_dual_lshlrev_b32 v3, v15, v3 :: v_dual_sub_nc_u32 v14, 30, v14
	s_delay_alu instid0(VALU_DEP_1) | instskip(NEXT) | instid1(VALU_DEP_1)
	v_dual_lshlrev_b32 v1, 24, v1 :: v_dual_bitop2_b32 v3, 3, v3 bitop3:0x40
	v_dual_cndmask_b32 v14, v16, v14 :: v_dual_cndmask_b32 v3, v5, v3
	s_delay_alu instid0(VALU_DEP_2) | instskip(NEXT) | instid1(VALU_DEP_2)
	v_and_b32_e32 v1, 0x80000000, v1
	v_lshl_add_u32 v5, v14, 23, 0x37800000
	s_delay_alu instid0(VALU_DEP_3) | instskip(NEXT) | instid1(VALU_DEP_1)
	v_lshlrev_b32_e32 v3, 21, v3
	v_or3_b32 v1, v1, v5, v3
	s_delay_alu instid0(VALU_DEP_1)
	v_cvt_i32_f32_e32 v15, v1
.LBB62_2694:
	s_or_b32 exec_lo, exec_lo, s22
	s_mov_b32 s22, 0
	s_branch .LBB62_2700
.LBB62_2695:
	s_mov_b32 s22, -1
                                        ; implicit-def: $vgpr15
	s_branch .LBB62_2706
.LBB62_2696:
	s_and_not1_saveexec_b32 s23, s23
	s_cbranch_execz .LBB62_2681
.LBB62_2697:
	v_cmp_ne_u16_e32 vcc_lo, 0, v1
	s_and_not1_b32 s24, s24, exec_lo
	s_and_b32 s25, vcc_lo, exec_lo
	s_delay_alu instid0(SALU_CYCLE_1)
	s_or_b32 s24, s24, s25
	s_or_b32 exec_lo, exec_lo, s23
	v_mov_b32_e32 v15, 0
	s_and_saveexec_b32 s23, s24
	s_cbranch_execnz .LBB62_2682
	s_branch .LBB62_2683
.LBB62_2698:
	s_mov_b32 s22, -1
                                        ; implicit-def: $vgpr15
	s_branch .LBB62_2703
.LBB62_2699:
	s_mov_b32 s22, -1
                                        ; implicit-def: $vgpr15
.LBB62_2700:
	s_delay_alu instid0(SALU_CYCLE_1)
	s_and_b32 vcc_lo, exec_lo, s22
	s_cbranch_vccz .LBB62_2702
; %bb.2701:
	global_load_u8 v1, v[6:7], off
	s_wait_loadcnt 0x0
	v_lshlrev_b32_e32 v1, 24, v1
	s_delay_alu instid0(VALU_DEP_1) | instskip(NEXT) | instid1(VALU_DEP_1)
	v_and_b32_e32 v3, 0x7f000000, v1
	v_clz_i32_u32_e32 v5, v3
	v_add_nc_u32_e32 v15, 0x1000000, v3
	v_cmp_ne_u32_e32 vcc_lo, 0, v3
	s_delay_alu instid0(VALU_DEP_3) | instskip(NEXT) | instid1(VALU_DEP_1)
	v_min_u32_e32 v5, 32, v5
	v_sub_nc_u32_e64 v5, v5, 4 clamp
	s_delay_alu instid0(VALU_DEP_1) | instskip(NEXT) | instid1(VALU_DEP_1)
	v_dual_lshlrev_b32 v14, v5, v3 :: v_dual_lshlrev_b32 v5, 23, v5
	v_lshrrev_b32_e32 v14, 4, v14
	s_delay_alu instid0(VALU_DEP_1) | instskip(NEXT) | instid1(VALU_DEP_1)
	v_dual_sub_nc_u32 v5, v14, v5 :: v_dual_ashrrev_i32 v14, 8, v15
	v_add_nc_u32_e32 v5, 0x3c000000, v5
	s_delay_alu instid0(VALU_DEP_1) | instskip(NEXT) | instid1(VALU_DEP_1)
	v_and_or_b32 v5, 0x7f800000, v14, v5
	v_cndmask_b32_e32 v3, 0, v5, vcc_lo
	s_delay_alu instid0(VALU_DEP_1) | instskip(NEXT) | instid1(VALU_DEP_1)
	v_and_or_b32 v1, 0x80000000, v1, v3
	v_cvt_i32_f32_e32 v15, v1
.LBB62_2702:
	s_mov_b32 s22, 0
.LBB62_2703:
	s_delay_alu instid0(SALU_CYCLE_1)
	s_and_not1_b32 vcc_lo, exec_lo, s22
	s_cbranch_vccnz .LBB62_2705
; %bb.2704:
	global_load_u8 v1, v[6:7], off
	s_wait_loadcnt 0x0
	v_lshlrev_b32_e32 v3, 25, v1
	v_lshlrev_b16 v1, 8, v1
	s_delay_alu instid0(VALU_DEP_1) | instskip(SKIP_1) | instid1(VALU_DEP_2)
	v_and_or_b32 v14, 0x7f00, v1, 0.5
	v_bfe_i32 v1, v1, 0, 16
	v_dual_add_f32 v14, -0.5, v14 :: v_dual_lshrrev_b32 v5, 4, v3
	v_cmp_gt_u32_e32 vcc_lo, 0x8000000, v3
	s_delay_alu instid0(VALU_DEP_2) | instskip(NEXT) | instid1(VALU_DEP_1)
	v_or_b32_e32 v5, 0x70000000, v5
	v_mul_f32_e32 v5, 0x7800000, v5
	s_delay_alu instid0(VALU_DEP_1) | instskip(NEXT) | instid1(VALU_DEP_1)
	v_cndmask_b32_e32 v3, v5, v14, vcc_lo
	v_and_or_b32 v1, 0x80000000, v1, v3
	s_delay_alu instid0(VALU_DEP_1)
	v_cvt_i32_f32_e32 v15, v1
.LBB62_2705:
	s_mov_b32 s22, 0
	s_mov_b32 s23, -1
.LBB62_2706:
	s_and_not1_b32 vcc_lo, exec_lo, s22
	s_mov_b32 s22, 0
	s_cbranch_vccnz .LBB62_2717
; %bb.2707:
	s_cmp_gt_i32 s0, 14
	s_cbranch_scc0 .LBB62_2710
; %bb.2708:
	s_cmp_eq_u32 s0, 15
	s_cbranch_scc0 .LBB62_2713
; %bb.2709:
	global_load_u16 v1, v[6:7], off
	s_mov_b32 s15, 0
	s_mov_b32 s23, -1
	s_wait_loadcnt 0x0
	v_lshlrev_b32_e32 v1, 16, v1
	s_delay_alu instid0(VALU_DEP_1)
	v_cvt_i32_f32_e32 v15, v1
	s_branch .LBB62_2715
.LBB62_2710:
	s_mov_b32 s22, -1
	s_branch .LBB62_2714
.LBB62_2711:
	s_and_not1_saveexec_b32 s22, s22
	s_cbranch_execz .LBB62_2692
.LBB62_2712:
	v_cmp_ne_u16_e32 vcc_lo, 0, v1
	s_and_not1_b32 s23, s23, exec_lo
	s_and_b32 s24, vcc_lo, exec_lo
	s_delay_alu instid0(SALU_CYCLE_1)
	s_or_b32 s23, s23, s24
	s_or_b32 exec_lo, exec_lo, s22
	v_mov_b32_e32 v15, 0
	s_and_saveexec_b32 s22, s23
	s_cbranch_execnz .LBB62_2693
	s_branch .LBB62_2694
.LBB62_2713:
	s_mov_b32 s15, -1
.LBB62_2714:
                                        ; implicit-def: $vgpr15
.LBB62_2715:
	s_and_b32 vcc_lo, exec_lo, s22
	s_mov_b32 s22, 0
	s_cbranch_vccz .LBB62_2717
; %bb.2716:
	s_cmp_lg_u32 s0, 11
	s_mov_b32 s22, -1
	s_cselect_b32 s15, -1, 0
.LBB62_2717:
	s_delay_alu instid0(SALU_CYCLE_1)
	s_and_b32 vcc_lo, exec_lo, s15
	s_cbranch_vccnz .LBB62_2782
; %bb.2718:
	s_and_not1_b32 vcc_lo, exec_lo, s22
	s_cbranch_vccnz .LBB62_2720
.LBB62_2719:
	global_load_u8 v1, v[6:7], off
	s_mov_b32 s23, -1
	s_wait_loadcnt 0x0
	v_cmp_ne_u16_e32 vcc_lo, 0, v1
	v_cndmask_b32_e64 v15, 0, 1, vcc_lo
.LBB62_2720:
	s_mov_b32 s15, 0
.LBB62_2721:
	s_delay_alu instid0(SALU_CYCLE_1)
	s_and_b32 vcc_lo, exec_lo, s15
	s_cbranch_vccz .LBB62_2770
; %bb.2722:
	s_cmp_lt_i32 s0, 5
	s_cbranch_scc1 .LBB62_2727
; %bb.2723:
	s_cmp_lt_i32 s0, 8
	s_cbranch_scc1 .LBB62_2728
	;; [unrolled: 3-line block ×3, first 2 shown]
; %bb.2725:
	s_cmp_gt_i32 s0, 9
	s_cbranch_scc0 .LBB62_2730
; %bb.2726:
	s_wait_loadcnt 0x0
	global_load_b64 v[14:15], v[6:7], off
	s_mov_b32 s15, 0
	s_wait_loadcnt 0x0
	v_cvt_i32_f64_e32 v15, v[14:15]
	s_branch .LBB62_2731
.LBB62_2727:
	s_mov_b32 s15, -1
                                        ; implicit-def: $vgpr15
	s_branch .LBB62_2749
.LBB62_2728:
	s_mov_b32 s15, -1
                                        ; implicit-def: $vgpr15
	s_branch .LBB62_2737
.LBB62_2729:
	s_mov_b32 s15, -1
                                        ; implicit-def: $vgpr15
	s_branch .LBB62_2734
.LBB62_2730:
	s_mov_b32 s15, -1
                                        ; implicit-def: $vgpr15
.LBB62_2731:
	s_delay_alu instid0(SALU_CYCLE_1)
	s_and_not1_b32 vcc_lo, exec_lo, s15
	s_cbranch_vccnz .LBB62_2733
; %bb.2732:
	global_load_b32 v1, v[6:7], off
	s_wait_loadcnt 0x0
	v_cvt_i32_f32_e32 v15, v1
.LBB62_2733:
	s_mov_b32 s15, 0
.LBB62_2734:
	s_delay_alu instid0(SALU_CYCLE_1)
	s_and_not1_b32 vcc_lo, exec_lo, s15
	s_cbranch_vccnz .LBB62_2736
; %bb.2735:
	global_load_b32 v1, v[6:7], off
	s_wait_loadcnt 0x0
	v_cvt_f32_f16_e32 v1, v1
	s_delay_alu instid0(VALU_DEP_1)
	v_cvt_i32_f32_e32 v15, v1
.LBB62_2736:
	s_mov_b32 s15, 0
.LBB62_2737:
	s_delay_alu instid0(SALU_CYCLE_1)
	s_and_not1_b32 vcc_lo, exec_lo, s15
	s_cbranch_vccnz .LBB62_2748
; %bb.2738:
	s_cmp_lt_i32 s0, 6
	s_cbranch_scc1 .LBB62_2741
; %bb.2739:
	s_cmp_gt_i32 s0, 6
	s_cbranch_scc0 .LBB62_2742
; %bb.2740:
	s_wait_loadcnt 0x0
	global_load_b64 v[14:15], v[6:7], off
	s_mov_b32 s15, 0
	s_wait_loadcnt 0x0
	v_cvt_i32_f64_e32 v15, v[14:15]
	s_branch .LBB62_2743
.LBB62_2741:
	s_mov_b32 s15, -1
                                        ; implicit-def: $vgpr15
	s_branch .LBB62_2746
.LBB62_2742:
	s_mov_b32 s15, -1
                                        ; implicit-def: $vgpr15
.LBB62_2743:
	s_delay_alu instid0(SALU_CYCLE_1)
	s_and_not1_b32 vcc_lo, exec_lo, s15
	s_cbranch_vccnz .LBB62_2745
; %bb.2744:
	global_load_b32 v1, v[6:7], off
	s_wait_loadcnt 0x0
	v_cvt_i32_f32_e32 v15, v1
.LBB62_2745:
	s_mov_b32 s15, 0
.LBB62_2746:
	s_delay_alu instid0(SALU_CYCLE_1)
	s_and_not1_b32 vcc_lo, exec_lo, s15
	s_cbranch_vccnz .LBB62_2748
; %bb.2747:
	global_load_u16 v1, v[6:7], off
	s_wait_loadcnt 0x0
	v_cvt_f32_f16_e32 v1, v1
	s_delay_alu instid0(VALU_DEP_1)
	v_cvt_i32_f32_e32 v15, v1
.LBB62_2748:
	s_mov_b32 s15, 0
.LBB62_2749:
	s_delay_alu instid0(SALU_CYCLE_1)
	s_and_not1_b32 vcc_lo, exec_lo, s15
	s_cbranch_vccnz .LBB62_2769
; %bb.2750:
	s_cmp_lt_i32 s0, 2
	s_cbranch_scc1 .LBB62_2754
; %bb.2751:
	s_cmp_lt_i32 s0, 3
	s_cbranch_scc1 .LBB62_2755
; %bb.2752:
	s_cmp_gt_i32 s0, 3
	s_cbranch_scc0 .LBB62_2756
; %bb.2753:
	s_wait_loadcnt 0x0
	global_load_b32 v15, v[6:7], off
	s_mov_b32 s15, 0
	s_branch .LBB62_2757
.LBB62_2754:
	s_mov_b32 s15, -1
                                        ; implicit-def: $vgpr15
	s_branch .LBB62_2763
.LBB62_2755:
	s_mov_b32 s15, -1
                                        ; implicit-def: $vgpr15
	s_branch .LBB62_2760
.LBB62_2756:
	s_mov_b32 s15, -1
                                        ; implicit-def: $vgpr15
.LBB62_2757:
	s_delay_alu instid0(SALU_CYCLE_1)
	s_and_not1_b32 vcc_lo, exec_lo, s15
	s_cbranch_vccnz .LBB62_2759
; %bb.2758:
	s_wait_loadcnt 0x0
	global_load_b32 v15, v[6:7], off
.LBB62_2759:
	s_mov_b32 s15, 0
.LBB62_2760:
	s_delay_alu instid0(SALU_CYCLE_1)
	s_and_not1_b32 vcc_lo, exec_lo, s15
	s_cbranch_vccnz .LBB62_2762
; %bb.2761:
	s_wait_loadcnt 0x0
	global_load_i16 v15, v[6:7], off
.LBB62_2762:
	s_mov_b32 s15, 0
.LBB62_2763:
	s_delay_alu instid0(SALU_CYCLE_1)
	s_and_not1_b32 vcc_lo, exec_lo, s15
	s_cbranch_vccnz .LBB62_2769
; %bb.2764:
	s_cmp_gt_i32 s0, 0
	s_mov_b32 s15, 0
	s_cbranch_scc0 .LBB62_2766
; %bb.2765:
	s_wait_loadcnt 0x0
	global_load_i8 v15, v[6:7], off
	s_branch .LBB62_2767
.LBB62_2766:
	s_mov_b32 s15, -1
                                        ; implicit-def: $vgpr15
.LBB62_2767:
	s_delay_alu instid0(SALU_CYCLE_1)
	s_and_not1_b32 vcc_lo, exec_lo, s15
	s_cbranch_vccnz .LBB62_2769
; %bb.2768:
	s_wait_loadcnt 0x0
	global_load_u8 v15, v[6:7], off
.LBB62_2769:
	s_mov_b32 s23, -1
.LBB62_2770:
	s_delay_alu instid0(SALU_CYCLE_1)
	s_and_not1_b32 vcc_lo, exec_lo, s23
	s_cbranch_vccnz .LBB62_3968
; %bb.2771:
	v_add_nc_u32_e32 v0, s1, v0
	s_cmp_lt_i32 s19, 11
	s_delay_alu instid0(VALU_DEP_1) | instskip(SKIP_1) | instid1(VALU_DEP_1)
	v_ashrrev_i32_e32 v1, 31, v0
	s_wait_xcnt 0x0
	v_add_nc_u64_e32 v[6:7], s[6:7], v[0:1]
	s_cbranch_scc1 .LBB62_2778
; %bb.2772:
	s_and_b32 s15, 0xffff, s19
	s_mov_b32 s23, 0
	s_cmp_gt_i32 s15, 25
	s_cbranch_scc0 .LBB62_2779
; %bb.2773:
	s_cmp_gt_i32 s15, 28
	s_cbranch_scc0 .LBB62_2780
; %bb.2774:
	;; [unrolled: 3-line block ×4, first 2 shown]
	s_cmp_eq_u32 s15, 46
	s_mov_b32 s25, 0
	s_cbranch_scc0 .LBB62_2786
; %bb.2777:
	global_load_b32 v1, v[6:7], off
	s_mov_b32 s22, 0
	s_mov_b32 s24, -1
	s_wait_loadcnt 0x0
	v_lshlrev_b32_e32 v1, 16, v1
	s_delay_alu instid0(VALU_DEP_1)
	v_cvt_i32_f32_e32 v14, v1
	s_branch .LBB62_2788
.LBB62_2778:
	s_mov_b32 s15, -1
	s_mov_b32 s24, 0
                                        ; implicit-def: $vgpr14
	s_branch .LBB62_2850
.LBB62_2779:
	s_mov_b32 s25, -1
	s_mov_b32 s24, 0
	s_mov_b32 s22, 0
                                        ; implicit-def: $vgpr14
	s_branch .LBB62_2815
.LBB62_2780:
	s_mov_b32 s25, -1
	s_mov_b32 s24, 0
	s_mov_b32 s22, 0
                                        ; implicit-def: $vgpr14
	s_branch .LBB62_2798
.LBB62_2781:
	s_mov_b32 s25, -1
	s_mov_b32 s24, 0
	s_mov_b32 s22, 0
                                        ; implicit-def: $vgpr14
	s_branch .LBB62_2793
.LBB62_2782:
	s_or_b32 s3, s3, exec_lo
	s_trap 2
	s_cbranch_execz .LBB62_2719
	s_branch .LBB62_2720
.LBB62_2783:
	s_mov_b32 s25, -1
	s_mov_b32 s24, 0
	s_mov_b32 s22, 0
	s_branch .LBB62_2787
.LBB62_2784:
	s_and_not1_saveexec_b32 s41, s41
	s_cbranch_execz .LBB62_1441
.LBB62_2785:
	v_add_f32_e64 v4, 0x42800000, |v1|
	s_and_not1_b32 s40, s40, exec_lo
	s_delay_alu instid0(VALU_DEP_1) | instskip(NEXT) | instid1(VALU_DEP_1)
	v_and_b32_e32 v4, 0xff, v4
	v_cmp_ne_u32_e32 vcc_lo, 0, v4
	s_and_b32 s42, vcc_lo, exec_lo
	s_delay_alu instid0(SALU_CYCLE_1)
	s_or_b32 s40, s40, s42
	s_or_b32 exec_lo, exec_lo, s41
	v_mov_b32_e32 v5, 0
	s_and_saveexec_b32 s41, s40
	s_cbranch_execnz .LBB62_1442
	s_branch .LBB62_1443
.LBB62_2786:
	s_mov_b32 s22, -1
	s_mov_b32 s24, 0
.LBB62_2787:
                                        ; implicit-def: $vgpr14
.LBB62_2788:
	s_and_b32 vcc_lo, exec_lo, s25
	s_cbranch_vccz .LBB62_2792
; %bb.2789:
	s_cmp_eq_u32 s15, 44
	s_cbranch_scc0 .LBB62_2791
; %bb.2790:
	global_load_u8 v1, v[6:7], off
	s_mov_b32 s22, 0
	s_mov_b32 s24, -1
	s_wait_loadcnt 0x0
	v_lshlrev_b32_e32 v3, 23, v1
	v_cmp_ne_u32_e32 vcc_lo, 0, v1
	s_delay_alu instid0(VALU_DEP_2) | instskip(NEXT) | instid1(VALU_DEP_1)
	v_cvt_i32_f32_e32 v3, v3
	v_cndmask_b32_e32 v14, 0, v3, vcc_lo
	s_branch .LBB62_2792
.LBB62_2791:
	s_mov_b32 s22, -1
                                        ; implicit-def: $vgpr14
.LBB62_2792:
	s_mov_b32 s25, 0
.LBB62_2793:
	s_delay_alu instid0(SALU_CYCLE_1)
	s_and_b32 vcc_lo, exec_lo, s25
	s_cbranch_vccz .LBB62_2797
; %bb.2794:
	s_cmp_eq_u32 s15, 29
	s_cbranch_scc0 .LBB62_2796
; %bb.2795:
	global_load_b32 v14, v[6:7], off
	s_mov_b32 s22, 0
	s_mov_b32 s24, -1
	s_branch .LBB62_2797
.LBB62_2796:
	s_mov_b32 s22, -1
                                        ; implicit-def: $vgpr14
.LBB62_2797:
	s_mov_b32 s25, 0
.LBB62_2798:
	s_delay_alu instid0(SALU_CYCLE_1)
	s_and_b32 vcc_lo, exec_lo, s25
	s_cbranch_vccz .LBB62_2814
; %bb.2799:
	s_cmp_lt_i32 s15, 27
	s_cbranch_scc1 .LBB62_2802
; %bb.2800:
	s_cmp_gt_i32 s15, 27
	s_cbranch_scc0 .LBB62_2803
; %bb.2801:
	s_wait_loadcnt 0x0
	global_load_b32 v14, v[6:7], off
	s_mov_b32 s24, 0
	s_branch .LBB62_2804
.LBB62_2802:
	s_mov_b32 s24, -1
                                        ; implicit-def: $vgpr14
	s_branch .LBB62_2807
.LBB62_2803:
	s_mov_b32 s24, -1
                                        ; implicit-def: $vgpr14
.LBB62_2804:
	s_delay_alu instid0(SALU_CYCLE_1)
	s_and_not1_b32 vcc_lo, exec_lo, s24
	s_cbranch_vccnz .LBB62_2806
; %bb.2805:
	s_wait_loadcnt 0x0
	global_load_u16 v14, v[6:7], off
.LBB62_2806:
	s_mov_b32 s24, 0
.LBB62_2807:
	s_delay_alu instid0(SALU_CYCLE_1)
	s_and_not1_b32 vcc_lo, exec_lo, s24
	s_cbranch_vccnz .LBB62_2813
; %bb.2808:
	global_load_u8 v1, v[6:7], off
	s_mov_b32 s25, 0
	s_mov_b32 s24, exec_lo
	s_wait_loadcnt 0x0
	v_cmpx_lt_i16_e32 0x7f, v1
	s_xor_b32 s24, exec_lo, s24
	s_cbranch_execz .LBB62_2825
; %bb.2809:
	v_cmp_ne_u16_e32 vcc_lo, 0x80, v1
	s_and_b32 s25, vcc_lo, exec_lo
	s_and_not1_saveexec_b32 s24, s24
	s_cbranch_execnz .LBB62_2826
.LBB62_2810:
	s_or_b32 exec_lo, exec_lo, s24
	v_mov_b32_e32 v14, 0
	s_and_saveexec_b32 s24, s25
	s_cbranch_execz .LBB62_2812
.LBB62_2811:
	v_and_b32_e32 v3, 0xffff, v1
	s_delay_alu instid0(VALU_DEP_1) | instskip(SKIP_1) | instid1(VALU_DEP_2)
	v_and_b32_e32 v5, 7, v3
	v_bfe_u32 v17, v3, 3, 4
	v_clz_i32_u32_e32 v14, v5
	s_delay_alu instid0(VALU_DEP_2) | instskip(NEXT) | instid1(VALU_DEP_2)
	v_cmp_eq_u32_e32 vcc_lo, 0, v17
	v_min_u32_e32 v14, 32, v14
	s_delay_alu instid0(VALU_DEP_1) | instskip(NEXT) | instid1(VALU_DEP_1)
	v_subrev_nc_u32_e32 v16, 28, v14
	v_dual_lshlrev_b32 v3, v16, v3 :: v_dual_sub_nc_u32 v14, 29, v14
	s_delay_alu instid0(VALU_DEP_1) | instskip(NEXT) | instid1(VALU_DEP_2)
	v_dual_lshlrev_b32 v1, 24, v1 :: v_dual_bitop2_b32 v3, 7, v3 bitop3:0x40
	v_cndmask_b32_e32 v14, v17, v14, vcc_lo
	s_delay_alu instid0(VALU_DEP_2) | instskip(NEXT) | instid1(VALU_DEP_3)
	v_cndmask_b32_e32 v3, v5, v3, vcc_lo
	v_and_b32_e32 v1, 0x80000000, v1
	s_delay_alu instid0(VALU_DEP_3) | instskip(NEXT) | instid1(VALU_DEP_3)
	v_lshl_add_u32 v5, v14, 23, 0x3b800000
	v_lshlrev_b32_e32 v3, 20, v3
	s_delay_alu instid0(VALU_DEP_1) | instskip(NEXT) | instid1(VALU_DEP_1)
	v_or3_b32 v1, v1, v5, v3
	v_cvt_i32_f32_e32 v14, v1
.LBB62_2812:
	s_or_b32 exec_lo, exec_lo, s24
.LBB62_2813:
	s_mov_b32 s24, -1
.LBB62_2814:
	s_mov_b32 s25, 0
.LBB62_2815:
	s_delay_alu instid0(SALU_CYCLE_1)
	s_and_b32 vcc_lo, exec_lo, s25
	s_cbranch_vccz .LBB62_2846
; %bb.2816:
	s_cmp_gt_i32 s15, 22
	s_cbranch_scc0 .LBB62_2824
; %bb.2817:
	s_cmp_lt_i32 s15, 24
	s_cbranch_scc1 .LBB62_2827
; %bb.2818:
	s_cmp_gt_i32 s15, 24
	s_cbranch_scc0 .LBB62_2828
; %bb.2819:
	global_load_u8 v1, v[6:7], off
	s_mov_b32 s24, 0
	s_mov_b32 s23, exec_lo
	s_wait_loadcnt 0x0
	v_cmpx_lt_i16_e32 0x7f, v1
	s_xor_b32 s23, exec_lo, s23
	s_cbranch_execz .LBB62_2840
; %bb.2820:
	v_cmp_ne_u16_e32 vcc_lo, 0x80, v1
	s_and_b32 s24, vcc_lo, exec_lo
	s_and_not1_saveexec_b32 s23, s23
	s_cbranch_execnz .LBB62_2841
.LBB62_2821:
	s_or_b32 exec_lo, exec_lo, s23
	v_mov_b32_e32 v14, 0
	s_and_saveexec_b32 s23, s24
	s_cbranch_execz .LBB62_2823
.LBB62_2822:
	v_and_b32_e32 v3, 0xffff, v1
	s_delay_alu instid0(VALU_DEP_1) | instskip(SKIP_1) | instid1(VALU_DEP_2)
	v_and_b32_e32 v5, 3, v3
	v_bfe_u32 v17, v3, 2, 5
	v_clz_i32_u32_e32 v14, v5
	s_delay_alu instid0(VALU_DEP_2) | instskip(NEXT) | instid1(VALU_DEP_2)
	v_cmp_eq_u32_e32 vcc_lo, 0, v17
	v_min_u32_e32 v14, 32, v14
	s_delay_alu instid0(VALU_DEP_1) | instskip(NEXT) | instid1(VALU_DEP_1)
	v_subrev_nc_u32_e32 v16, 29, v14
	v_dual_lshlrev_b32 v3, v16, v3 :: v_dual_sub_nc_u32 v14, 30, v14
	s_delay_alu instid0(VALU_DEP_1) | instskip(NEXT) | instid1(VALU_DEP_2)
	v_dual_lshlrev_b32 v1, 24, v1 :: v_dual_bitop2_b32 v3, 3, v3 bitop3:0x40
	v_cndmask_b32_e32 v14, v17, v14, vcc_lo
	s_delay_alu instid0(VALU_DEP_2) | instskip(NEXT) | instid1(VALU_DEP_3)
	v_cndmask_b32_e32 v3, v5, v3, vcc_lo
	v_and_b32_e32 v1, 0x80000000, v1
	s_delay_alu instid0(VALU_DEP_3) | instskip(NEXT) | instid1(VALU_DEP_3)
	v_lshl_add_u32 v5, v14, 23, 0x37800000
	v_lshlrev_b32_e32 v3, 21, v3
	s_delay_alu instid0(VALU_DEP_1) | instskip(NEXT) | instid1(VALU_DEP_1)
	v_or3_b32 v1, v1, v5, v3
	v_cvt_i32_f32_e32 v14, v1
.LBB62_2823:
	s_or_b32 exec_lo, exec_lo, s23
	s_mov_b32 s23, 0
	s_branch .LBB62_2829
.LBB62_2824:
	s_mov_b32 s23, -1
                                        ; implicit-def: $vgpr14
	s_branch .LBB62_2835
.LBB62_2825:
	s_and_not1_saveexec_b32 s24, s24
	s_cbranch_execz .LBB62_2810
.LBB62_2826:
	v_cmp_ne_u16_e32 vcc_lo, 0, v1
	s_and_not1_b32 s25, s25, exec_lo
	s_and_b32 s26, vcc_lo, exec_lo
	s_delay_alu instid0(SALU_CYCLE_1)
	s_or_b32 s25, s25, s26
	s_or_b32 exec_lo, exec_lo, s24
	v_mov_b32_e32 v14, 0
	s_and_saveexec_b32 s24, s25
	s_cbranch_execnz .LBB62_2811
	s_branch .LBB62_2812
.LBB62_2827:
	s_mov_b32 s23, -1
                                        ; implicit-def: $vgpr14
	s_branch .LBB62_2832
.LBB62_2828:
	s_mov_b32 s23, -1
                                        ; implicit-def: $vgpr14
.LBB62_2829:
	s_delay_alu instid0(SALU_CYCLE_1)
	s_and_b32 vcc_lo, exec_lo, s23
	s_cbranch_vccz .LBB62_2831
; %bb.2830:
	global_load_u8 v1, v[6:7], off
	s_wait_loadcnt 0x0
	v_lshlrev_b32_e32 v1, 24, v1
	s_delay_alu instid0(VALU_DEP_1) | instskip(NEXT) | instid1(VALU_DEP_1)
	v_and_b32_e32 v3, 0x7f000000, v1
	v_clz_i32_u32_e32 v5, v3
	v_cmp_ne_u32_e32 vcc_lo, 0, v3
	v_add_nc_u32_e32 v16, 0x1000000, v3
	s_delay_alu instid0(VALU_DEP_3) | instskip(NEXT) | instid1(VALU_DEP_1)
	v_min_u32_e32 v5, 32, v5
	v_sub_nc_u32_e64 v5, v5, 4 clamp
	s_delay_alu instid0(VALU_DEP_1) | instskip(NEXT) | instid1(VALU_DEP_1)
	v_dual_lshlrev_b32 v14, v5, v3 :: v_dual_lshlrev_b32 v5, 23, v5
	v_lshrrev_b32_e32 v14, 4, v14
	s_delay_alu instid0(VALU_DEP_1) | instskip(NEXT) | instid1(VALU_DEP_1)
	v_dual_sub_nc_u32 v5, v14, v5 :: v_dual_ashrrev_i32 v14, 8, v16
	v_add_nc_u32_e32 v5, 0x3c000000, v5
	s_delay_alu instid0(VALU_DEP_1) | instskip(NEXT) | instid1(VALU_DEP_1)
	v_and_or_b32 v5, 0x7f800000, v14, v5
	v_cndmask_b32_e32 v3, 0, v5, vcc_lo
	s_delay_alu instid0(VALU_DEP_1) | instskip(NEXT) | instid1(VALU_DEP_1)
	v_and_or_b32 v1, 0x80000000, v1, v3
	v_cvt_i32_f32_e32 v14, v1
.LBB62_2831:
	s_mov_b32 s23, 0
.LBB62_2832:
	s_delay_alu instid0(SALU_CYCLE_1)
	s_and_not1_b32 vcc_lo, exec_lo, s23
	s_cbranch_vccnz .LBB62_2834
; %bb.2833:
	global_load_u8 v1, v[6:7], off
	s_wait_loadcnt 0x0
	v_lshlrev_b32_e32 v3, 25, v1
	v_lshlrev_b16 v1, 8, v1
	s_delay_alu instid0(VALU_DEP_1) | instskip(SKIP_1) | instid1(VALU_DEP_2)
	v_and_or_b32 v14, 0x7f00, v1, 0.5
	v_bfe_i32 v1, v1, 0, 16
	v_dual_add_f32 v14, -0.5, v14 :: v_dual_lshrrev_b32 v5, 4, v3
	v_cmp_gt_u32_e32 vcc_lo, 0x8000000, v3
	s_delay_alu instid0(VALU_DEP_2) | instskip(NEXT) | instid1(VALU_DEP_1)
	v_or_b32_e32 v5, 0x70000000, v5
	v_mul_f32_e32 v5, 0x7800000, v5
	s_delay_alu instid0(VALU_DEP_1) | instskip(NEXT) | instid1(VALU_DEP_1)
	v_cndmask_b32_e32 v3, v5, v14, vcc_lo
	v_and_or_b32 v1, 0x80000000, v1, v3
	s_delay_alu instid0(VALU_DEP_1)
	v_cvt_i32_f32_e32 v14, v1
.LBB62_2834:
	s_mov_b32 s23, 0
	s_mov_b32 s24, -1
.LBB62_2835:
	s_and_not1_b32 vcc_lo, exec_lo, s23
	s_mov_b32 s23, 0
	s_cbranch_vccnz .LBB62_2846
; %bb.2836:
	s_cmp_gt_i32 s15, 14
	s_cbranch_scc0 .LBB62_2839
; %bb.2837:
	s_cmp_eq_u32 s15, 15
	s_cbranch_scc0 .LBB62_2842
; %bb.2838:
	global_load_u16 v1, v[6:7], off
	s_mov_b32 s22, 0
	s_mov_b32 s24, -1
	s_wait_loadcnt 0x0
	v_lshlrev_b32_e32 v1, 16, v1
	s_delay_alu instid0(VALU_DEP_1)
	v_cvt_i32_f32_e32 v14, v1
	s_branch .LBB62_2844
.LBB62_2839:
	s_mov_b32 s23, -1
	s_branch .LBB62_2843
.LBB62_2840:
	s_and_not1_saveexec_b32 s23, s23
	s_cbranch_execz .LBB62_2821
.LBB62_2841:
	v_cmp_ne_u16_e32 vcc_lo, 0, v1
	s_and_not1_b32 s24, s24, exec_lo
	s_and_b32 s25, vcc_lo, exec_lo
	s_delay_alu instid0(SALU_CYCLE_1)
	s_or_b32 s24, s24, s25
	s_or_b32 exec_lo, exec_lo, s23
	v_mov_b32_e32 v14, 0
	s_and_saveexec_b32 s23, s24
	s_cbranch_execnz .LBB62_2822
	s_branch .LBB62_2823
.LBB62_2842:
	s_mov_b32 s22, -1
.LBB62_2843:
                                        ; implicit-def: $vgpr14
.LBB62_2844:
	s_and_b32 vcc_lo, exec_lo, s23
	s_mov_b32 s23, 0
	s_cbranch_vccz .LBB62_2846
; %bb.2845:
	s_cmp_lg_u32 s15, 11
	s_mov_b32 s23, -1
	s_cselect_b32 s22, -1, 0
.LBB62_2846:
	s_delay_alu instid0(SALU_CYCLE_1)
	s_and_b32 vcc_lo, exec_lo, s22
	s_cbranch_vccnz .LBB62_2911
; %bb.2847:
	s_and_not1_b32 vcc_lo, exec_lo, s23
	s_cbranch_vccnz .LBB62_2849
.LBB62_2848:
	global_load_u8 v1, v[6:7], off
	s_mov_b32 s24, -1
	s_wait_loadcnt 0x0
	v_cmp_ne_u16_e32 vcc_lo, 0, v1
	v_cndmask_b32_e64 v14, 0, 1, vcc_lo
.LBB62_2849:
	s_mov_b32 s15, 0
.LBB62_2850:
	s_delay_alu instid0(SALU_CYCLE_1)
	s_and_b32 vcc_lo, exec_lo, s15
	s_cbranch_vccz .LBB62_2899
; %bb.2851:
	s_and_b32 s15, 0xffff, s19
	s_delay_alu instid0(SALU_CYCLE_1)
	s_cmp_lt_i32 s15, 5
	s_cbranch_scc1 .LBB62_2856
; %bb.2852:
	s_cmp_lt_i32 s15, 8
	s_cbranch_scc1 .LBB62_2857
; %bb.2853:
	;; [unrolled: 3-line block ×3, first 2 shown]
	s_cmp_gt_i32 s15, 9
	s_cbranch_scc0 .LBB62_2859
; %bb.2855:
	global_load_b64 v[16:17], v[6:7], off
	s_mov_b32 s22, 0
	s_wait_loadcnt 0x0
	v_cvt_i32_f64_e32 v14, v[16:17]
	s_branch .LBB62_2860
.LBB62_2856:
	s_mov_b32 s22, -1
                                        ; implicit-def: $vgpr14
	s_branch .LBB62_2878
.LBB62_2857:
	s_mov_b32 s22, -1
                                        ; implicit-def: $vgpr14
	s_branch .LBB62_2866
.LBB62_2858:
	s_mov_b32 s22, -1
                                        ; implicit-def: $vgpr14
	s_branch .LBB62_2863
.LBB62_2859:
	s_mov_b32 s22, -1
                                        ; implicit-def: $vgpr14
.LBB62_2860:
	s_delay_alu instid0(SALU_CYCLE_1)
	s_and_not1_b32 vcc_lo, exec_lo, s22
	s_cbranch_vccnz .LBB62_2862
; %bb.2861:
	global_load_b32 v1, v[6:7], off
	s_wait_loadcnt 0x0
	v_cvt_i32_f32_e32 v14, v1
.LBB62_2862:
	s_mov_b32 s22, 0
.LBB62_2863:
	s_delay_alu instid0(SALU_CYCLE_1)
	s_and_not1_b32 vcc_lo, exec_lo, s22
	s_cbranch_vccnz .LBB62_2865
; %bb.2864:
	global_load_b32 v1, v[6:7], off
	s_wait_loadcnt 0x0
	v_cvt_f32_f16_e32 v1, v1
	s_delay_alu instid0(VALU_DEP_1)
	v_cvt_i32_f32_e32 v14, v1
.LBB62_2865:
	s_mov_b32 s22, 0
.LBB62_2866:
	s_delay_alu instid0(SALU_CYCLE_1)
	s_and_not1_b32 vcc_lo, exec_lo, s22
	s_cbranch_vccnz .LBB62_2877
; %bb.2867:
	s_cmp_lt_i32 s15, 6
	s_cbranch_scc1 .LBB62_2870
; %bb.2868:
	s_cmp_gt_i32 s15, 6
	s_cbranch_scc0 .LBB62_2871
; %bb.2869:
	global_load_b64 v[16:17], v[6:7], off
	s_mov_b32 s22, 0
	s_wait_loadcnt 0x0
	v_cvt_i32_f64_e32 v14, v[16:17]
	s_branch .LBB62_2872
.LBB62_2870:
	s_mov_b32 s22, -1
                                        ; implicit-def: $vgpr14
	s_branch .LBB62_2875
.LBB62_2871:
	s_mov_b32 s22, -1
                                        ; implicit-def: $vgpr14
.LBB62_2872:
	s_delay_alu instid0(SALU_CYCLE_1)
	s_and_not1_b32 vcc_lo, exec_lo, s22
	s_cbranch_vccnz .LBB62_2874
; %bb.2873:
	global_load_b32 v1, v[6:7], off
	s_wait_loadcnt 0x0
	v_cvt_i32_f32_e32 v14, v1
.LBB62_2874:
	s_mov_b32 s22, 0
.LBB62_2875:
	s_delay_alu instid0(SALU_CYCLE_1)
	s_and_not1_b32 vcc_lo, exec_lo, s22
	s_cbranch_vccnz .LBB62_2877
; %bb.2876:
	global_load_u16 v1, v[6:7], off
	s_wait_loadcnt 0x0
	v_cvt_f32_f16_e32 v1, v1
	s_delay_alu instid0(VALU_DEP_1)
	v_cvt_i32_f32_e32 v14, v1
.LBB62_2877:
	s_mov_b32 s22, 0
.LBB62_2878:
	s_delay_alu instid0(SALU_CYCLE_1)
	s_and_not1_b32 vcc_lo, exec_lo, s22
	s_cbranch_vccnz .LBB62_2898
; %bb.2879:
	s_cmp_lt_i32 s15, 2
	s_cbranch_scc1 .LBB62_2883
; %bb.2880:
	s_cmp_lt_i32 s15, 3
	s_cbranch_scc1 .LBB62_2884
; %bb.2881:
	s_cmp_gt_i32 s15, 3
	s_cbranch_scc0 .LBB62_2885
; %bb.2882:
	s_wait_loadcnt 0x0
	global_load_b32 v14, v[6:7], off
	s_mov_b32 s22, 0
	s_branch .LBB62_2886
.LBB62_2883:
	s_mov_b32 s22, -1
                                        ; implicit-def: $vgpr14
	s_branch .LBB62_2892
.LBB62_2884:
	s_mov_b32 s22, -1
                                        ; implicit-def: $vgpr14
	s_branch .LBB62_2889
.LBB62_2885:
	s_mov_b32 s22, -1
                                        ; implicit-def: $vgpr14
.LBB62_2886:
	s_delay_alu instid0(SALU_CYCLE_1)
	s_and_not1_b32 vcc_lo, exec_lo, s22
	s_cbranch_vccnz .LBB62_2888
; %bb.2887:
	s_wait_loadcnt 0x0
	global_load_b32 v14, v[6:7], off
.LBB62_2888:
	s_mov_b32 s22, 0
.LBB62_2889:
	s_delay_alu instid0(SALU_CYCLE_1)
	s_and_not1_b32 vcc_lo, exec_lo, s22
	s_cbranch_vccnz .LBB62_2891
; %bb.2890:
	s_wait_loadcnt 0x0
	global_load_i16 v14, v[6:7], off
.LBB62_2891:
	s_mov_b32 s22, 0
.LBB62_2892:
	s_delay_alu instid0(SALU_CYCLE_1)
	s_and_not1_b32 vcc_lo, exec_lo, s22
	s_cbranch_vccnz .LBB62_2898
; %bb.2893:
	s_cmp_gt_i32 s15, 0
	s_mov_b32 s15, 0
	s_cbranch_scc0 .LBB62_2895
; %bb.2894:
	s_wait_loadcnt 0x0
	global_load_i8 v14, v[6:7], off
	s_branch .LBB62_2896
.LBB62_2895:
	s_mov_b32 s15, -1
                                        ; implicit-def: $vgpr14
.LBB62_2896:
	s_delay_alu instid0(SALU_CYCLE_1)
	s_and_not1_b32 vcc_lo, exec_lo, s15
	s_cbranch_vccnz .LBB62_2898
; %bb.2897:
	s_wait_loadcnt 0x0
	global_load_u8 v14, v[6:7], off
.LBB62_2898:
	s_mov_b32 s24, -1
.LBB62_2899:
	s_delay_alu instid0(SALU_CYCLE_1)
	s_and_not1_b32 vcc_lo, exec_lo, s24
	s_cbranch_vccnz .LBB62_3968
; %bb.2900:
	v_add_nc_u32_e32 v2, s13, v2
	s_cmp_lt_i32 s2, 11
	s_delay_alu instid0(VALU_DEP_1) | instskip(SKIP_1) | instid1(VALU_DEP_1)
	v_ashrrev_i32_e32 v3, 31, v2
	s_wait_xcnt 0x0
	v_add_nc_u64_e32 v[6:7], s[8:9], v[2:3]
	s_cbranch_scc1 .LBB62_2907
; %bb.2901:
	s_and_b32 s15, 0xffff, s2
	s_mov_b32 s23, 0
	s_cmp_gt_i32 s15, 25
	s_cbranch_scc0 .LBB62_2908
; %bb.2902:
	s_cmp_gt_i32 s15, 28
	s_cbranch_scc0 .LBB62_2909
; %bb.2903:
	;; [unrolled: 3-line block ×4, first 2 shown]
	s_cmp_eq_u32 s15, 46
	s_mov_b32 s25, 0
	s_cbranch_scc0 .LBB62_2913
; %bb.2906:
	global_load_b32 v1, v[6:7], off
	s_mov_b32 s22, 0
	s_mov_b32 s24, -1
	s_wait_loadcnt 0x0
	v_lshlrev_b32_e32 v1, 16, v1
	s_delay_alu instid0(VALU_DEP_1)
	v_cvt_i32_f32_e32 v16, v1
	s_branch .LBB62_2915
.LBB62_2907:
	s_mov_b32 s15, -1
	s_mov_b32 s24, 0
                                        ; implicit-def: $vgpr16
	s_branch .LBB62_2977
.LBB62_2908:
	s_mov_b32 s25, -1
	s_mov_b32 s24, 0
	s_mov_b32 s22, 0
                                        ; implicit-def: $vgpr16
	s_branch .LBB62_2942
.LBB62_2909:
	s_mov_b32 s25, -1
	s_mov_b32 s24, 0
	s_mov_b32 s22, 0
                                        ; implicit-def: $vgpr16
	s_branch .LBB62_2925
.LBB62_2910:
	s_mov_b32 s25, -1
	s_mov_b32 s24, 0
	s_mov_b32 s22, 0
                                        ; implicit-def: $vgpr16
	s_branch .LBB62_2920
.LBB62_2911:
	s_or_b32 s3, s3, exec_lo
	s_trap 2
	s_cbranch_execz .LBB62_2848
	s_branch .LBB62_2849
.LBB62_2912:
	s_mov_b32 s25, -1
	s_mov_b32 s24, 0
	s_mov_b32 s22, 0
	s_branch .LBB62_2914
.LBB62_2913:
	s_mov_b32 s22, -1
	s_mov_b32 s24, 0
.LBB62_2914:
                                        ; implicit-def: $vgpr16
.LBB62_2915:
	s_and_b32 vcc_lo, exec_lo, s25
	s_cbranch_vccz .LBB62_2919
; %bb.2916:
	s_cmp_eq_u32 s15, 44
	s_cbranch_scc0 .LBB62_2918
; %bb.2917:
	global_load_u8 v1, v[6:7], off
	s_mov_b32 s22, 0
	s_mov_b32 s24, -1
	s_wait_loadcnt 0x0
	v_lshlrev_b32_e32 v3, 23, v1
	v_cmp_ne_u32_e32 vcc_lo, 0, v1
	s_delay_alu instid0(VALU_DEP_2) | instskip(NEXT) | instid1(VALU_DEP_1)
	v_cvt_i32_f32_e32 v3, v3
	v_cndmask_b32_e32 v16, 0, v3, vcc_lo
	s_branch .LBB62_2919
.LBB62_2918:
	s_mov_b32 s22, -1
                                        ; implicit-def: $vgpr16
.LBB62_2919:
	s_mov_b32 s25, 0
.LBB62_2920:
	s_delay_alu instid0(SALU_CYCLE_1)
	s_and_b32 vcc_lo, exec_lo, s25
	s_cbranch_vccz .LBB62_2924
; %bb.2921:
	s_cmp_eq_u32 s15, 29
	s_cbranch_scc0 .LBB62_2923
; %bb.2922:
	global_load_b32 v16, v[6:7], off
	s_mov_b32 s22, 0
	s_mov_b32 s24, -1
	s_branch .LBB62_2924
.LBB62_2923:
	s_mov_b32 s22, -1
                                        ; implicit-def: $vgpr16
.LBB62_2924:
	s_mov_b32 s25, 0
.LBB62_2925:
	s_delay_alu instid0(SALU_CYCLE_1)
	s_and_b32 vcc_lo, exec_lo, s25
	s_cbranch_vccz .LBB62_2941
; %bb.2926:
	s_cmp_lt_i32 s15, 27
	s_cbranch_scc1 .LBB62_2929
; %bb.2927:
	s_cmp_gt_i32 s15, 27
	s_cbranch_scc0 .LBB62_2930
; %bb.2928:
	s_wait_loadcnt 0x0
	global_load_b32 v16, v[6:7], off
	s_mov_b32 s24, 0
	s_branch .LBB62_2931
.LBB62_2929:
	s_mov_b32 s24, -1
                                        ; implicit-def: $vgpr16
	s_branch .LBB62_2934
.LBB62_2930:
	s_mov_b32 s24, -1
                                        ; implicit-def: $vgpr16
.LBB62_2931:
	s_delay_alu instid0(SALU_CYCLE_1)
	s_and_not1_b32 vcc_lo, exec_lo, s24
	s_cbranch_vccnz .LBB62_2933
; %bb.2932:
	s_wait_loadcnt 0x0
	global_load_u16 v16, v[6:7], off
.LBB62_2933:
	s_mov_b32 s24, 0
.LBB62_2934:
	s_delay_alu instid0(SALU_CYCLE_1)
	s_and_not1_b32 vcc_lo, exec_lo, s24
	s_cbranch_vccnz .LBB62_2940
; %bb.2935:
	global_load_u8 v1, v[6:7], off
	s_mov_b32 s25, 0
	s_mov_b32 s24, exec_lo
	s_wait_loadcnt 0x0
	v_cmpx_lt_i16_e32 0x7f, v1
	s_xor_b32 s24, exec_lo, s24
	s_cbranch_execz .LBB62_2952
; %bb.2936:
	v_cmp_ne_u16_e32 vcc_lo, 0x80, v1
	s_and_b32 s25, vcc_lo, exec_lo
	s_and_not1_saveexec_b32 s24, s24
	s_cbranch_execnz .LBB62_2953
.LBB62_2937:
	s_or_b32 exec_lo, exec_lo, s24
	v_mov_b32_e32 v16, 0
	s_and_saveexec_b32 s24, s25
	s_cbranch_execz .LBB62_2939
.LBB62_2938:
	v_and_b32_e32 v3, 0xffff, v1
	s_delay_alu instid0(VALU_DEP_1) | instskip(SKIP_1) | instid1(VALU_DEP_2)
	v_and_b32_e32 v5, 7, v3
	v_bfe_u32 v18, v3, 3, 4
	v_clz_i32_u32_e32 v16, v5
	s_delay_alu instid0(VALU_DEP_2) | instskip(NEXT) | instid1(VALU_DEP_2)
	v_cmp_eq_u32_e32 vcc_lo, 0, v18
	v_min_u32_e32 v16, 32, v16
	s_delay_alu instid0(VALU_DEP_1) | instskip(NEXT) | instid1(VALU_DEP_1)
	v_subrev_nc_u32_e32 v17, 28, v16
	v_dual_lshlrev_b32 v3, v17, v3 :: v_dual_sub_nc_u32 v16, 29, v16
	s_delay_alu instid0(VALU_DEP_1) | instskip(NEXT) | instid1(VALU_DEP_1)
	v_dual_lshlrev_b32 v1, 24, v1 :: v_dual_bitop2_b32 v3, 7, v3 bitop3:0x40
	v_dual_cndmask_b32 v16, v18, v16 :: v_dual_cndmask_b32 v3, v5, v3
	s_delay_alu instid0(VALU_DEP_2) | instskip(NEXT) | instid1(VALU_DEP_2)
	v_and_b32_e32 v1, 0x80000000, v1
	v_lshl_add_u32 v5, v16, 23, 0x3b800000
	s_delay_alu instid0(VALU_DEP_3) | instskip(NEXT) | instid1(VALU_DEP_1)
	v_lshlrev_b32_e32 v3, 20, v3
	v_or3_b32 v1, v1, v5, v3
	s_delay_alu instid0(VALU_DEP_1)
	v_cvt_i32_f32_e32 v16, v1
.LBB62_2939:
	s_or_b32 exec_lo, exec_lo, s24
.LBB62_2940:
	s_mov_b32 s24, -1
.LBB62_2941:
	s_mov_b32 s25, 0
.LBB62_2942:
	s_delay_alu instid0(SALU_CYCLE_1)
	s_and_b32 vcc_lo, exec_lo, s25
	s_cbranch_vccz .LBB62_2973
; %bb.2943:
	s_cmp_gt_i32 s15, 22
	s_cbranch_scc0 .LBB62_2951
; %bb.2944:
	s_cmp_lt_i32 s15, 24
	s_cbranch_scc1 .LBB62_2954
; %bb.2945:
	s_cmp_gt_i32 s15, 24
	s_cbranch_scc0 .LBB62_2955
; %bb.2946:
	global_load_u8 v1, v[6:7], off
	s_mov_b32 s24, 0
	s_mov_b32 s23, exec_lo
	s_wait_loadcnt 0x0
	v_cmpx_lt_i16_e32 0x7f, v1
	s_xor_b32 s23, exec_lo, s23
	s_cbranch_execz .LBB62_2967
; %bb.2947:
	v_cmp_ne_u16_e32 vcc_lo, 0x80, v1
	s_and_b32 s24, vcc_lo, exec_lo
	s_and_not1_saveexec_b32 s23, s23
	s_cbranch_execnz .LBB62_2968
.LBB62_2948:
	s_or_b32 exec_lo, exec_lo, s23
	v_mov_b32_e32 v16, 0
	s_and_saveexec_b32 s23, s24
	s_cbranch_execz .LBB62_2950
.LBB62_2949:
	v_and_b32_e32 v3, 0xffff, v1
	s_delay_alu instid0(VALU_DEP_1) | instskip(SKIP_1) | instid1(VALU_DEP_2)
	v_and_b32_e32 v5, 3, v3
	v_bfe_u32 v18, v3, 2, 5
	v_clz_i32_u32_e32 v16, v5
	s_delay_alu instid0(VALU_DEP_2) | instskip(NEXT) | instid1(VALU_DEP_2)
	v_cmp_eq_u32_e32 vcc_lo, 0, v18
	v_min_u32_e32 v16, 32, v16
	s_delay_alu instid0(VALU_DEP_1) | instskip(NEXT) | instid1(VALU_DEP_1)
	v_subrev_nc_u32_e32 v17, 29, v16
	v_dual_lshlrev_b32 v3, v17, v3 :: v_dual_sub_nc_u32 v16, 30, v16
	s_delay_alu instid0(VALU_DEP_1) | instskip(NEXT) | instid1(VALU_DEP_1)
	v_dual_lshlrev_b32 v1, 24, v1 :: v_dual_bitop2_b32 v3, 3, v3 bitop3:0x40
	v_dual_cndmask_b32 v16, v18, v16 :: v_dual_cndmask_b32 v3, v5, v3
	s_delay_alu instid0(VALU_DEP_2) | instskip(NEXT) | instid1(VALU_DEP_2)
	v_and_b32_e32 v1, 0x80000000, v1
	v_lshl_add_u32 v5, v16, 23, 0x37800000
	s_delay_alu instid0(VALU_DEP_3) | instskip(NEXT) | instid1(VALU_DEP_1)
	v_lshlrev_b32_e32 v3, 21, v3
	v_or3_b32 v1, v1, v5, v3
	s_delay_alu instid0(VALU_DEP_1)
	v_cvt_i32_f32_e32 v16, v1
.LBB62_2950:
	s_or_b32 exec_lo, exec_lo, s23
	s_mov_b32 s23, 0
	s_branch .LBB62_2956
.LBB62_2951:
	s_mov_b32 s23, -1
                                        ; implicit-def: $vgpr16
	s_branch .LBB62_2962
.LBB62_2952:
	s_and_not1_saveexec_b32 s24, s24
	s_cbranch_execz .LBB62_2937
.LBB62_2953:
	v_cmp_ne_u16_e32 vcc_lo, 0, v1
	s_and_not1_b32 s25, s25, exec_lo
	s_and_b32 s26, vcc_lo, exec_lo
	s_delay_alu instid0(SALU_CYCLE_1)
	s_or_b32 s25, s25, s26
	s_or_b32 exec_lo, exec_lo, s24
	v_mov_b32_e32 v16, 0
	s_and_saveexec_b32 s24, s25
	s_cbranch_execnz .LBB62_2938
	s_branch .LBB62_2939
.LBB62_2954:
	s_mov_b32 s23, -1
                                        ; implicit-def: $vgpr16
	s_branch .LBB62_2959
.LBB62_2955:
	s_mov_b32 s23, -1
                                        ; implicit-def: $vgpr16
.LBB62_2956:
	s_delay_alu instid0(SALU_CYCLE_1)
	s_and_b32 vcc_lo, exec_lo, s23
	s_cbranch_vccz .LBB62_2958
; %bb.2957:
	global_load_u8 v1, v[6:7], off
	s_wait_loadcnt 0x0
	v_lshlrev_b32_e32 v1, 24, v1
	s_delay_alu instid0(VALU_DEP_1) | instskip(NEXT) | instid1(VALU_DEP_1)
	v_and_b32_e32 v3, 0x7f000000, v1
	v_clz_i32_u32_e32 v5, v3
	v_add_nc_u32_e32 v17, 0x1000000, v3
	v_cmp_ne_u32_e32 vcc_lo, 0, v3
	s_delay_alu instid0(VALU_DEP_3) | instskip(NEXT) | instid1(VALU_DEP_1)
	v_min_u32_e32 v5, 32, v5
	v_sub_nc_u32_e64 v5, v5, 4 clamp
	s_delay_alu instid0(VALU_DEP_1) | instskip(NEXT) | instid1(VALU_DEP_1)
	v_dual_lshlrev_b32 v16, v5, v3 :: v_dual_lshlrev_b32 v5, 23, v5
	v_lshrrev_b32_e32 v16, 4, v16
	s_delay_alu instid0(VALU_DEP_1) | instskip(SKIP_1) | instid1(VALU_DEP_2)
	v_sub_nc_u32_e32 v5, v16, v5
	v_ashrrev_i32_e32 v16, 8, v17
	v_add_nc_u32_e32 v5, 0x3c000000, v5
	s_delay_alu instid0(VALU_DEP_1) | instskip(NEXT) | instid1(VALU_DEP_1)
	v_and_or_b32 v5, 0x7f800000, v16, v5
	v_cndmask_b32_e32 v3, 0, v5, vcc_lo
	s_delay_alu instid0(VALU_DEP_1) | instskip(NEXT) | instid1(VALU_DEP_1)
	v_and_or_b32 v1, 0x80000000, v1, v3
	v_cvt_i32_f32_e32 v16, v1
.LBB62_2958:
	s_mov_b32 s23, 0
.LBB62_2959:
	s_delay_alu instid0(SALU_CYCLE_1)
	s_and_not1_b32 vcc_lo, exec_lo, s23
	s_cbranch_vccnz .LBB62_2961
; %bb.2960:
	global_load_u8 v1, v[6:7], off
	s_wait_loadcnt 0x0
	v_lshlrev_b32_e32 v3, 25, v1
	v_lshlrev_b16 v1, 8, v1
	s_delay_alu instid0(VALU_DEP_1) | instskip(SKIP_1) | instid1(VALU_DEP_2)
	v_and_or_b32 v16, 0x7f00, v1, 0.5
	v_bfe_i32 v1, v1, 0, 16
	v_dual_add_f32 v16, -0.5, v16 :: v_dual_lshrrev_b32 v5, 4, v3
	v_cmp_gt_u32_e32 vcc_lo, 0x8000000, v3
	s_delay_alu instid0(VALU_DEP_2) | instskip(NEXT) | instid1(VALU_DEP_1)
	v_or_b32_e32 v5, 0x70000000, v5
	v_mul_f32_e32 v5, 0x7800000, v5
	s_delay_alu instid0(VALU_DEP_1) | instskip(NEXT) | instid1(VALU_DEP_1)
	v_cndmask_b32_e32 v3, v5, v16, vcc_lo
	v_and_or_b32 v1, 0x80000000, v1, v3
	s_delay_alu instid0(VALU_DEP_1)
	v_cvt_i32_f32_e32 v16, v1
.LBB62_2961:
	s_mov_b32 s23, 0
	s_mov_b32 s24, -1
.LBB62_2962:
	s_and_not1_b32 vcc_lo, exec_lo, s23
	s_mov_b32 s23, 0
	s_cbranch_vccnz .LBB62_2973
; %bb.2963:
	s_cmp_gt_i32 s15, 14
	s_cbranch_scc0 .LBB62_2966
; %bb.2964:
	s_cmp_eq_u32 s15, 15
	s_cbranch_scc0 .LBB62_2969
; %bb.2965:
	global_load_u16 v1, v[6:7], off
	s_mov_b32 s22, 0
	s_mov_b32 s24, -1
	s_wait_loadcnt 0x0
	v_lshlrev_b32_e32 v1, 16, v1
	s_delay_alu instid0(VALU_DEP_1)
	v_cvt_i32_f32_e32 v16, v1
	s_branch .LBB62_2971
.LBB62_2966:
	s_mov_b32 s23, -1
	s_branch .LBB62_2970
.LBB62_2967:
	s_and_not1_saveexec_b32 s23, s23
	s_cbranch_execz .LBB62_2948
.LBB62_2968:
	v_cmp_ne_u16_e32 vcc_lo, 0, v1
	s_and_not1_b32 s24, s24, exec_lo
	s_and_b32 s25, vcc_lo, exec_lo
	s_delay_alu instid0(SALU_CYCLE_1)
	s_or_b32 s24, s24, s25
	s_or_b32 exec_lo, exec_lo, s23
	v_mov_b32_e32 v16, 0
	s_and_saveexec_b32 s23, s24
	s_cbranch_execnz .LBB62_2949
	s_branch .LBB62_2950
.LBB62_2969:
	s_mov_b32 s22, -1
.LBB62_2970:
                                        ; implicit-def: $vgpr16
.LBB62_2971:
	s_and_b32 vcc_lo, exec_lo, s23
	s_mov_b32 s23, 0
	s_cbranch_vccz .LBB62_2973
; %bb.2972:
	s_cmp_lg_u32 s15, 11
	s_mov_b32 s23, -1
	s_cselect_b32 s22, -1, 0
.LBB62_2973:
	s_delay_alu instid0(SALU_CYCLE_1)
	s_and_b32 vcc_lo, exec_lo, s22
	s_cbranch_vccnz .LBB62_3038
; %bb.2974:
	s_and_not1_b32 vcc_lo, exec_lo, s23
	s_cbranch_vccnz .LBB62_2976
.LBB62_2975:
	global_load_u8 v1, v[6:7], off
	s_mov_b32 s24, -1
	s_wait_loadcnt 0x0
	v_cmp_ne_u16_e32 vcc_lo, 0, v1
	v_cndmask_b32_e64 v16, 0, 1, vcc_lo
.LBB62_2976:
	s_mov_b32 s15, 0
.LBB62_2977:
	s_delay_alu instid0(SALU_CYCLE_1)
	s_and_b32 vcc_lo, exec_lo, s15
	s_cbranch_vccz .LBB62_3026
; %bb.2978:
	s_and_b32 s15, 0xffff, s2
	s_delay_alu instid0(SALU_CYCLE_1)
	s_cmp_lt_i32 s15, 5
	s_cbranch_scc1 .LBB62_2983
; %bb.2979:
	s_cmp_lt_i32 s15, 8
	s_cbranch_scc1 .LBB62_2984
; %bb.2980:
	;; [unrolled: 3-line block ×3, first 2 shown]
	s_cmp_gt_i32 s15, 9
	s_cbranch_scc0 .LBB62_2986
; %bb.2982:
	s_wait_loadcnt 0x0
	global_load_b64 v[16:17], v[6:7], off
	s_mov_b32 s22, 0
	s_wait_loadcnt 0x0
	v_cvt_i32_f64_e32 v16, v[16:17]
	s_branch .LBB62_2987
.LBB62_2983:
	s_mov_b32 s22, -1
                                        ; implicit-def: $vgpr16
	s_branch .LBB62_3005
.LBB62_2984:
	s_mov_b32 s22, -1
                                        ; implicit-def: $vgpr16
	s_branch .LBB62_2993
.LBB62_2985:
	s_mov_b32 s22, -1
                                        ; implicit-def: $vgpr16
	s_branch .LBB62_2990
.LBB62_2986:
	s_mov_b32 s22, -1
                                        ; implicit-def: $vgpr16
.LBB62_2987:
	s_delay_alu instid0(SALU_CYCLE_1)
	s_and_not1_b32 vcc_lo, exec_lo, s22
	s_cbranch_vccnz .LBB62_2989
; %bb.2988:
	global_load_b32 v1, v[6:7], off
	s_wait_loadcnt 0x0
	v_cvt_i32_f32_e32 v16, v1
.LBB62_2989:
	s_mov_b32 s22, 0
.LBB62_2990:
	s_delay_alu instid0(SALU_CYCLE_1)
	s_and_not1_b32 vcc_lo, exec_lo, s22
	s_cbranch_vccnz .LBB62_2992
; %bb.2991:
	global_load_b32 v1, v[6:7], off
	s_wait_loadcnt 0x0
	v_cvt_f32_f16_e32 v1, v1
	s_delay_alu instid0(VALU_DEP_1)
	v_cvt_i32_f32_e32 v16, v1
.LBB62_2992:
	s_mov_b32 s22, 0
.LBB62_2993:
	s_delay_alu instid0(SALU_CYCLE_1)
	s_and_not1_b32 vcc_lo, exec_lo, s22
	s_cbranch_vccnz .LBB62_3004
; %bb.2994:
	s_cmp_lt_i32 s15, 6
	s_cbranch_scc1 .LBB62_2997
; %bb.2995:
	s_cmp_gt_i32 s15, 6
	s_cbranch_scc0 .LBB62_2998
; %bb.2996:
	s_wait_loadcnt 0x0
	global_load_b64 v[16:17], v[6:7], off
	s_mov_b32 s22, 0
	s_wait_loadcnt 0x0
	v_cvt_i32_f64_e32 v16, v[16:17]
	s_branch .LBB62_2999
.LBB62_2997:
	s_mov_b32 s22, -1
                                        ; implicit-def: $vgpr16
	s_branch .LBB62_3002
.LBB62_2998:
	s_mov_b32 s22, -1
                                        ; implicit-def: $vgpr16
.LBB62_2999:
	s_delay_alu instid0(SALU_CYCLE_1)
	s_and_not1_b32 vcc_lo, exec_lo, s22
	s_cbranch_vccnz .LBB62_3001
; %bb.3000:
	global_load_b32 v1, v[6:7], off
	s_wait_loadcnt 0x0
	v_cvt_i32_f32_e32 v16, v1
.LBB62_3001:
	s_mov_b32 s22, 0
.LBB62_3002:
	s_delay_alu instid0(SALU_CYCLE_1)
	s_and_not1_b32 vcc_lo, exec_lo, s22
	s_cbranch_vccnz .LBB62_3004
; %bb.3003:
	global_load_u16 v1, v[6:7], off
	s_wait_loadcnt 0x0
	v_cvt_f32_f16_e32 v1, v1
	s_delay_alu instid0(VALU_DEP_1)
	v_cvt_i32_f32_e32 v16, v1
.LBB62_3004:
	s_mov_b32 s22, 0
.LBB62_3005:
	s_delay_alu instid0(SALU_CYCLE_1)
	s_and_not1_b32 vcc_lo, exec_lo, s22
	s_cbranch_vccnz .LBB62_3025
; %bb.3006:
	s_cmp_lt_i32 s15, 2
	s_cbranch_scc1 .LBB62_3010
; %bb.3007:
	s_cmp_lt_i32 s15, 3
	s_cbranch_scc1 .LBB62_3011
; %bb.3008:
	s_cmp_gt_i32 s15, 3
	s_cbranch_scc0 .LBB62_3012
; %bb.3009:
	s_wait_loadcnt 0x0
	global_load_b32 v16, v[6:7], off
	s_mov_b32 s22, 0
	s_branch .LBB62_3013
.LBB62_3010:
	s_mov_b32 s22, -1
                                        ; implicit-def: $vgpr16
	s_branch .LBB62_3019
.LBB62_3011:
	s_mov_b32 s22, -1
                                        ; implicit-def: $vgpr16
	s_branch .LBB62_3016
.LBB62_3012:
	s_mov_b32 s22, -1
                                        ; implicit-def: $vgpr16
.LBB62_3013:
	s_delay_alu instid0(SALU_CYCLE_1)
	s_and_not1_b32 vcc_lo, exec_lo, s22
	s_cbranch_vccnz .LBB62_3015
; %bb.3014:
	s_wait_loadcnt 0x0
	global_load_b32 v16, v[6:7], off
.LBB62_3015:
	s_mov_b32 s22, 0
.LBB62_3016:
	s_delay_alu instid0(SALU_CYCLE_1)
	s_and_not1_b32 vcc_lo, exec_lo, s22
	s_cbranch_vccnz .LBB62_3018
; %bb.3017:
	s_wait_loadcnt 0x0
	global_load_i16 v16, v[6:7], off
.LBB62_3018:
	s_mov_b32 s22, 0
.LBB62_3019:
	s_delay_alu instid0(SALU_CYCLE_1)
	s_and_not1_b32 vcc_lo, exec_lo, s22
	s_cbranch_vccnz .LBB62_3025
; %bb.3020:
	s_cmp_gt_i32 s15, 0
	s_mov_b32 s15, 0
	s_cbranch_scc0 .LBB62_3022
; %bb.3021:
	s_wait_loadcnt 0x0
	global_load_i8 v16, v[6:7], off
	s_branch .LBB62_3023
.LBB62_3022:
	s_mov_b32 s15, -1
                                        ; implicit-def: $vgpr16
.LBB62_3023:
	s_delay_alu instid0(SALU_CYCLE_1)
	s_and_not1_b32 vcc_lo, exec_lo, s15
	s_cbranch_vccnz .LBB62_3025
; %bb.3024:
	s_wait_loadcnt 0x0
	global_load_u8 v16, v[6:7], off
.LBB62_3025:
	s_mov_b32 s24, -1
.LBB62_3026:
	s_delay_alu instid0(SALU_CYCLE_1)
	s_and_not1_b32 vcc_lo, exec_lo, s24
	s_cbranch_vccnz .LBB62_3968
; %bb.3027:
	v_add_nc_u32_e32 v4, s14, v4
	s_cmp_lt_i32 s0, 11
	s_delay_alu instid0(VALU_DEP_1) | instskip(SKIP_1) | instid1(VALU_DEP_1)
	v_ashrrev_i32_e32 v5, 31, v4
	s_wait_xcnt 0x0
	v_add_nc_u64_e32 v[6:7], s[10:11], v[4:5]
	s_cbranch_scc1 .LBB62_3034
; %bb.3028:
	s_cmp_gt_i32 s0, 25
	s_mov_b32 s22, 0
	s_cbranch_scc0 .LBB62_3035
; %bb.3029:
	s_cmp_gt_i32 s0, 28
	s_cbranch_scc0 .LBB62_3036
; %bb.3030:
	s_cmp_gt_i32 s0, 43
	;; [unrolled: 3-line block ×3, first 2 shown]
	s_cbranch_scc0 .LBB62_3039
; %bb.3032:
	s_cmp_eq_u32 s0, 46
	s_mov_b32 s24, 0
	s_cbranch_scc0 .LBB62_3040
; %bb.3033:
	global_load_b32 v1, v[6:7], off
	s_mov_b32 s15, 0
	s_mov_b32 s23, -1
	s_wait_loadcnt 0x0
	v_lshlrev_b32_e32 v1, 16, v1
	s_delay_alu instid0(VALU_DEP_1)
	v_cvt_i32_f32_e32 v17, v1
	s_branch .LBB62_3042
.LBB62_3034:
	s_mov_b32 s15, -1
	s_mov_b32 s23, 0
                                        ; implicit-def: $vgpr17
	s_branch .LBB62_3104
.LBB62_3035:
	s_mov_b32 s24, -1
	s_mov_b32 s23, 0
	s_mov_b32 s15, 0
                                        ; implicit-def: $vgpr17
	s_branch .LBB62_3069
.LBB62_3036:
	s_mov_b32 s24, -1
	s_mov_b32 s23, 0
	s_mov_b32 s15, 0
                                        ; implicit-def: $vgpr17
	s_branch .LBB62_3052
.LBB62_3037:
	s_mov_b32 s24, -1
	s_mov_b32 s23, 0
	s_mov_b32 s15, 0
                                        ; implicit-def: $vgpr17
	s_branch .LBB62_3047
.LBB62_3038:
	s_or_b32 s3, s3, exec_lo
	s_trap 2
	s_cbranch_execz .LBB62_2975
	s_branch .LBB62_2976
.LBB62_3039:
	s_mov_b32 s24, -1
	s_mov_b32 s23, 0
	s_mov_b32 s15, 0
	s_branch .LBB62_3041
.LBB62_3040:
	s_mov_b32 s15, -1
	s_mov_b32 s23, 0
.LBB62_3041:
                                        ; implicit-def: $vgpr17
.LBB62_3042:
	s_and_b32 vcc_lo, exec_lo, s24
	s_cbranch_vccz .LBB62_3046
; %bb.3043:
	s_cmp_eq_u32 s0, 44
	s_cbranch_scc0 .LBB62_3045
; %bb.3044:
	global_load_u8 v1, v[6:7], off
	s_mov_b32 s15, 0
	s_mov_b32 s23, -1
	s_wait_loadcnt 0x0
	v_lshlrev_b32_e32 v3, 23, v1
	v_cmp_ne_u32_e32 vcc_lo, 0, v1
	s_delay_alu instid0(VALU_DEP_2) | instskip(NEXT) | instid1(VALU_DEP_1)
	v_cvt_i32_f32_e32 v3, v3
	v_cndmask_b32_e32 v17, 0, v3, vcc_lo
	s_branch .LBB62_3046
.LBB62_3045:
	s_mov_b32 s15, -1
                                        ; implicit-def: $vgpr17
.LBB62_3046:
	s_mov_b32 s24, 0
.LBB62_3047:
	s_delay_alu instid0(SALU_CYCLE_1)
	s_and_b32 vcc_lo, exec_lo, s24
	s_cbranch_vccz .LBB62_3051
; %bb.3048:
	s_cmp_eq_u32 s0, 29
	s_cbranch_scc0 .LBB62_3050
; %bb.3049:
	global_load_b32 v17, v[6:7], off
	s_mov_b32 s15, 0
	s_mov_b32 s23, -1
	s_branch .LBB62_3051
.LBB62_3050:
	s_mov_b32 s15, -1
                                        ; implicit-def: $vgpr17
.LBB62_3051:
	s_mov_b32 s24, 0
.LBB62_3052:
	s_delay_alu instid0(SALU_CYCLE_1)
	s_and_b32 vcc_lo, exec_lo, s24
	s_cbranch_vccz .LBB62_3068
; %bb.3053:
	s_cmp_lt_i32 s0, 27
	s_cbranch_scc1 .LBB62_3056
; %bb.3054:
	s_cmp_gt_i32 s0, 27
	s_cbranch_scc0 .LBB62_3057
; %bb.3055:
	s_wait_loadcnt 0x0
	global_load_b32 v17, v[6:7], off
	s_mov_b32 s23, 0
	s_branch .LBB62_3058
.LBB62_3056:
	s_mov_b32 s23, -1
                                        ; implicit-def: $vgpr17
	s_branch .LBB62_3061
.LBB62_3057:
	s_mov_b32 s23, -1
                                        ; implicit-def: $vgpr17
.LBB62_3058:
	s_delay_alu instid0(SALU_CYCLE_1)
	s_and_not1_b32 vcc_lo, exec_lo, s23
	s_cbranch_vccnz .LBB62_3060
; %bb.3059:
	s_wait_loadcnt 0x0
	global_load_u16 v17, v[6:7], off
.LBB62_3060:
	s_mov_b32 s23, 0
.LBB62_3061:
	s_delay_alu instid0(SALU_CYCLE_1)
	s_and_not1_b32 vcc_lo, exec_lo, s23
	s_cbranch_vccnz .LBB62_3067
; %bb.3062:
	global_load_u8 v1, v[6:7], off
	s_mov_b32 s24, 0
	s_mov_b32 s23, exec_lo
	s_wait_loadcnt 0x0
	v_cmpx_lt_i16_e32 0x7f, v1
	s_xor_b32 s23, exec_lo, s23
	s_cbranch_execz .LBB62_3079
; %bb.3063:
	v_cmp_ne_u16_e32 vcc_lo, 0x80, v1
	s_and_b32 s24, vcc_lo, exec_lo
	s_and_not1_saveexec_b32 s23, s23
	s_cbranch_execnz .LBB62_3080
.LBB62_3064:
	s_or_b32 exec_lo, exec_lo, s23
	v_mov_b32_e32 v17, 0
	s_and_saveexec_b32 s23, s24
	s_cbranch_execz .LBB62_3066
.LBB62_3065:
	v_and_b32_e32 v3, 0xffff, v1
	s_delay_alu instid0(VALU_DEP_1) | instskip(SKIP_1) | instid1(VALU_DEP_2)
	v_and_b32_e32 v5, 7, v3
	v_bfe_u32 v19, v3, 3, 4
	v_clz_i32_u32_e32 v17, v5
	s_delay_alu instid0(VALU_DEP_2) | instskip(NEXT) | instid1(VALU_DEP_2)
	v_cmp_eq_u32_e32 vcc_lo, 0, v19
	v_min_u32_e32 v17, 32, v17
	s_delay_alu instid0(VALU_DEP_1) | instskip(NEXT) | instid1(VALU_DEP_1)
	v_subrev_nc_u32_e32 v18, 28, v17
	v_dual_lshlrev_b32 v3, v18, v3 :: v_dual_sub_nc_u32 v17, 29, v17
	s_delay_alu instid0(VALU_DEP_1) | instskip(NEXT) | instid1(VALU_DEP_1)
	v_dual_lshlrev_b32 v1, 24, v1 :: v_dual_bitop2_b32 v3, 7, v3 bitop3:0x40
	v_dual_cndmask_b32 v3, v5, v3, vcc_lo :: v_dual_cndmask_b32 v17, v19, v17, vcc_lo
	s_delay_alu instid0(VALU_DEP_2) | instskip(NEXT) | instid1(VALU_DEP_2)
	v_and_b32_e32 v1, 0x80000000, v1
	v_lshlrev_b32_e32 v3, 20, v3
	s_delay_alu instid0(VALU_DEP_3) | instskip(NEXT) | instid1(VALU_DEP_1)
	v_lshl_add_u32 v5, v17, 23, 0x3b800000
	v_or3_b32 v1, v1, v5, v3
	s_delay_alu instid0(VALU_DEP_1)
	v_cvt_i32_f32_e32 v17, v1
.LBB62_3066:
	s_or_b32 exec_lo, exec_lo, s23
.LBB62_3067:
	s_mov_b32 s23, -1
.LBB62_3068:
	s_mov_b32 s24, 0
.LBB62_3069:
	s_delay_alu instid0(SALU_CYCLE_1)
	s_and_b32 vcc_lo, exec_lo, s24
	s_cbranch_vccz .LBB62_3100
; %bb.3070:
	s_cmp_gt_i32 s0, 22
	s_cbranch_scc0 .LBB62_3078
; %bb.3071:
	s_cmp_lt_i32 s0, 24
	s_cbranch_scc1 .LBB62_3081
; %bb.3072:
	s_cmp_gt_i32 s0, 24
	s_cbranch_scc0 .LBB62_3082
; %bb.3073:
	global_load_u8 v1, v[6:7], off
	s_mov_b32 s23, 0
	s_mov_b32 s22, exec_lo
	s_wait_loadcnt 0x0
	v_cmpx_lt_i16_e32 0x7f, v1
	s_xor_b32 s22, exec_lo, s22
	s_cbranch_execz .LBB62_3094
; %bb.3074:
	v_cmp_ne_u16_e32 vcc_lo, 0x80, v1
	s_and_b32 s23, vcc_lo, exec_lo
	s_and_not1_saveexec_b32 s22, s22
	s_cbranch_execnz .LBB62_3095
.LBB62_3075:
	s_or_b32 exec_lo, exec_lo, s22
	v_mov_b32_e32 v17, 0
	s_and_saveexec_b32 s22, s23
	s_cbranch_execz .LBB62_3077
.LBB62_3076:
	v_and_b32_e32 v3, 0xffff, v1
	s_delay_alu instid0(VALU_DEP_1) | instskip(SKIP_1) | instid1(VALU_DEP_2)
	v_and_b32_e32 v5, 3, v3
	v_bfe_u32 v19, v3, 2, 5
	v_clz_i32_u32_e32 v17, v5
	s_delay_alu instid0(VALU_DEP_2) | instskip(NEXT) | instid1(VALU_DEP_2)
	v_cmp_eq_u32_e32 vcc_lo, 0, v19
	v_min_u32_e32 v17, 32, v17
	s_delay_alu instid0(VALU_DEP_1) | instskip(NEXT) | instid1(VALU_DEP_1)
	v_subrev_nc_u32_e32 v18, 29, v17
	v_dual_lshlrev_b32 v3, v18, v3 :: v_dual_sub_nc_u32 v17, 30, v17
	s_delay_alu instid0(VALU_DEP_1) | instskip(NEXT) | instid1(VALU_DEP_1)
	v_dual_lshlrev_b32 v1, 24, v1 :: v_dual_bitop2_b32 v3, 3, v3 bitop3:0x40
	v_dual_cndmask_b32 v3, v5, v3, vcc_lo :: v_dual_cndmask_b32 v17, v19, v17, vcc_lo
	s_delay_alu instid0(VALU_DEP_2) | instskip(NEXT) | instid1(VALU_DEP_2)
	v_and_b32_e32 v1, 0x80000000, v1
	v_lshlrev_b32_e32 v3, 21, v3
	s_delay_alu instid0(VALU_DEP_3) | instskip(NEXT) | instid1(VALU_DEP_1)
	v_lshl_add_u32 v5, v17, 23, 0x37800000
	v_or3_b32 v1, v1, v5, v3
	s_delay_alu instid0(VALU_DEP_1)
	v_cvt_i32_f32_e32 v17, v1
.LBB62_3077:
	s_or_b32 exec_lo, exec_lo, s22
	s_mov_b32 s22, 0
	s_branch .LBB62_3083
.LBB62_3078:
	s_mov_b32 s22, -1
                                        ; implicit-def: $vgpr17
	s_branch .LBB62_3089
.LBB62_3079:
	s_and_not1_saveexec_b32 s23, s23
	s_cbranch_execz .LBB62_3064
.LBB62_3080:
	v_cmp_ne_u16_e32 vcc_lo, 0, v1
	s_and_not1_b32 s24, s24, exec_lo
	s_and_b32 s25, vcc_lo, exec_lo
	s_delay_alu instid0(SALU_CYCLE_1)
	s_or_b32 s24, s24, s25
	s_or_b32 exec_lo, exec_lo, s23
	v_mov_b32_e32 v17, 0
	s_and_saveexec_b32 s23, s24
	s_cbranch_execnz .LBB62_3065
	s_branch .LBB62_3066
.LBB62_3081:
	s_mov_b32 s22, -1
                                        ; implicit-def: $vgpr17
	s_branch .LBB62_3086
.LBB62_3082:
	s_mov_b32 s22, -1
                                        ; implicit-def: $vgpr17
.LBB62_3083:
	s_delay_alu instid0(SALU_CYCLE_1)
	s_and_b32 vcc_lo, exec_lo, s22
	s_cbranch_vccz .LBB62_3085
; %bb.3084:
	global_load_u8 v1, v[6:7], off
	s_wait_loadcnt 0x0
	v_lshlrev_b32_e32 v1, 24, v1
	s_delay_alu instid0(VALU_DEP_1) | instskip(NEXT) | instid1(VALU_DEP_1)
	v_and_b32_e32 v3, 0x7f000000, v1
	v_clz_i32_u32_e32 v5, v3
	v_cmp_ne_u32_e32 vcc_lo, 0, v3
	v_add_nc_u32_e32 v18, 0x1000000, v3
	s_delay_alu instid0(VALU_DEP_3) | instskip(NEXT) | instid1(VALU_DEP_1)
	v_min_u32_e32 v5, 32, v5
	v_sub_nc_u32_e64 v5, v5, 4 clamp
	s_delay_alu instid0(VALU_DEP_1) | instskip(NEXT) | instid1(VALU_DEP_1)
	v_dual_lshlrev_b32 v17, v5, v3 :: v_dual_lshlrev_b32 v5, 23, v5
	v_lshrrev_b32_e32 v17, 4, v17
	s_delay_alu instid0(VALU_DEP_1) | instskip(NEXT) | instid1(VALU_DEP_1)
	v_dual_sub_nc_u32 v5, v17, v5 :: v_dual_ashrrev_i32 v17, 8, v18
	v_add_nc_u32_e32 v5, 0x3c000000, v5
	s_delay_alu instid0(VALU_DEP_1) | instskip(NEXT) | instid1(VALU_DEP_1)
	v_and_or_b32 v5, 0x7f800000, v17, v5
	v_cndmask_b32_e32 v3, 0, v5, vcc_lo
	s_delay_alu instid0(VALU_DEP_1) | instskip(NEXT) | instid1(VALU_DEP_1)
	v_and_or_b32 v1, 0x80000000, v1, v3
	v_cvt_i32_f32_e32 v17, v1
.LBB62_3085:
	s_mov_b32 s22, 0
.LBB62_3086:
	s_delay_alu instid0(SALU_CYCLE_1)
	s_and_not1_b32 vcc_lo, exec_lo, s22
	s_cbranch_vccnz .LBB62_3088
; %bb.3087:
	global_load_u8 v1, v[6:7], off
	s_wait_loadcnt 0x0
	v_lshlrev_b32_e32 v3, 25, v1
	v_lshlrev_b16 v1, 8, v1
	s_delay_alu instid0(VALU_DEP_2) | instskip(NEXT) | instid1(VALU_DEP_2)
	v_cmp_gt_u32_e32 vcc_lo, 0x8000000, v3
	v_and_or_b32 v17, 0x7f00, v1, 0.5
	v_lshrrev_b32_e32 v5, 4, v3
	v_bfe_i32 v1, v1, 0, 16
	s_delay_alu instid0(VALU_DEP_3) | instskip(NEXT) | instid1(VALU_DEP_3)
	v_add_f32_e32 v17, -0.5, v17
	v_or_b32_e32 v5, 0x70000000, v5
	s_delay_alu instid0(VALU_DEP_1) | instskip(NEXT) | instid1(VALU_DEP_1)
	v_mul_f32_e32 v5, 0x7800000, v5
	v_cndmask_b32_e32 v3, v5, v17, vcc_lo
	s_delay_alu instid0(VALU_DEP_1) | instskip(NEXT) | instid1(VALU_DEP_1)
	v_and_or_b32 v1, 0x80000000, v1, v3
	v_cvt_i32_f32_e32 v17, v1
.LBB62_3088:
	s_mov_b32 s22, 0
	s_mov_b32 s23, -1
.LBB62_3089:
	s_and_not1_b32 vcc_lo, exec_lo, s22
	s_mov_b32 s22, 0
	s_cbranch_vccnz .LBB62_3100
; %bb.3090:
	s_cmp_gt_i32 s0, 14
	s_cbranch_scc0 .LBB62_3093
; %bb.3091:
	s_cmp_eq_u32 s0, 15
	s_cbranch_scc0 .LBB62_3096
; %bb.3092:
	global_load_u16 v1, v[6:7], off
	s_mov_b32 s15, 0
	s_mov_b32 s23, -1
	s_wait_loadcnt 0x0
	v_lshlrev_b32_e32 v1, 16, v1
	s_delay_alu instid0(VALU_DEP_1)
	v_cvt_i32_f32_e32 v17, v1
	s_branch .LBB62_3098
.LBB62_3093:
	s_mov_b32 s22, -1
	s_branch .LBB62_3097
.LBB62_3094:
	s_and_not1_saveexec_b32 s22, s22
	s_cbranch_execz .LBB62_3075
.LBB62_3095:
	v_cmp_ne_u16_e32 vcc_lo, 0, v1
	s_and_not1_b32 s23, s23, exec_lo
	s_and_b32 s24, vcc_lo, exec_lo
	s_delay_alu instid0(SALU_CYCLE_1)
	s_or_b32 s23, s23, s24
	s_or_b32 exec_lo, exec_lo, s22
	v_mov_b32_e32 v17, 0
	s_and_saveexec_b32 s22, s23
	s_cbranch_execnz .LBB62_3076
	s_branch .LBB62_3077
.LBB62_3096:
	s_mov_b32 s15, -1
.LBB62_3097:
                                        ; implicit-def: $vgpr17
.LBB62_3098:
	s_and_b32 vcc_lo, exec_lo, s22
	s_mov_b32 s22, 0
	s_cbranch_vccz .LBB62_3100
; %bb.3099:
	s_cmp_lg_u32 s0, 11
	s_mov_b32 s22, -1
	s_cselect_b32 s15, -1, 0
.LBB62_3100:
	s_delay_alu instid0(SALU_CYCLE_1)
	s_and_b32 vcc_lo, exec_lo, s15
	s_cbranch_vccnz .LBB62_3165
; %bb.3101:
	s_and_not1_b32 vcc_lo, exec_lo, s22
	s_cbranch_vccnz .LBB62_3103
.LBB62_3102:
	global_load_u8 v1, v[6:7], off
	s_mov_b32 s23, -1
	s_wait_loadcnt 0x0
	v_cmp_ne_u16_e32 vcc_lo, 0, v1
	v_cndmask_b32_e64 v17, 0, 1, vcc_lo
.LBB62_3103:
	s_mov_b32 s15, 0
.LBB62_3104:
	s_delay_alu instid0(SALU_CYCLE_1)
	s_and_b32 vcc_lo, exec_lo, s15
	s_cbranch_vccz .LBB62_3153
; %bb.3105:
	s_cmp_lt_i32 s0, 5
	s_cbranch_scc1 .LBB62_3110
; %bb.3106:
	s_cmp_lt_i32 s0, 8
	s_cbranch_scc1 .LBB62_3111
	;; [unrolled: 3-line block ×3, first 2 shown]
; %bb.3108:
	s_cmp_gt_i32 s0, 9
	s_cbranch_scc0 .LBB62_3113
; %bb.3109:
	global_load_b64 v[18:19], v[6:7], off
	s_mov_b32 s15, 0
	s_wait_loadcnt 0x0
	v_cvt_i32_f64_e32 v17, v[18:19]
	s_branch .LBB62_3114
.LBB62_3110:
	s_mov_b32 s15, -1
                                        ; implicit-def: $vgpr17
	s_branch .LBB62_3132
.LBB62_3111:
	s_mov_b32 s15, -1
                                        ; implicit-def: $vgpr17
	s_branch .LBB62_3120
.LBB62_3112:
	s_mov_b32 s15, -1
                                        ; implicit-def: $vgpr17
	s_branch .LBB62_3117
.LBB62_3113:
	s_mov_b32 s15, -1
                                        ; implicit-def: $vgpr17
.LBB62_3114:
	s_delay_alu instid0(SALU_CYCLE_1)
	s_and_not1_b32 vcc_lo, exec_lo, s15
	s_cbranch_vccnz .LBB62_3116
; %bb.3115:
	global_load_b32 v1, v[6:7], off
	s_wait_loadcnt 0x0
	v_cvt_i32_f32_e32 v17, v1
.LBB62_3116:
	s_mov_b32 s15, 0
.LBB62_3117:
	s_delay_alu instid0(SALU_CYCLE_1)
	s_and_not1_b32 vcc_lo, exec_lo, s15
	s_cbranch_vccnz .LBB62_3119
; %bb.3118:
	global_load_b32 v1, v[6:7], off
	s_wait_loadcnt 0x0
	v_cvt_f32_f16_e32 v1, v1
	s_delay_alu instid0(VALU_DEP_1)
	v_cvt_i32_f32_e32 v17, v1
.LBB62_3119:
	s_mov_b32 s15, 0
.LBB62_3120:
	s_delay_alu instid0(SALU_CYCLE_1)
	s_and_not1_b32 vcc_lo, exec_lo, s15
	s_cbranch_vccnz .LBB62_3131
; %bb.3121:
	s_cmp_lt_i32 s0, 6
	s_cbranch_scc1 .LBB62_3124
; %bb.3122:
	s_cmp_gt_i32 s0, 6
	s_cbranch_scc0 .LBB62_3125
; %bb.3123:
	global_load_b64 v[18:19], v[6:7], off
	s_mov_b32 s15, 0
	s_wait_loadcnt 0x0
	v_cvt_i32_f64_e32 v17, v[18:19]
	s_branch .LBB62_3126
.LBB62_3124:
	s_mov_b32 s15, -1
                                        ; implicit-def: $vgpr17
	s_branch .LBB62_3129
.LBB62_3125:
	s_mov_b32 s15, -1
                                        ; implicit-def: $vgpr17
.LBB62_3126:
	s_delay_alu instid0(SALU_CYCLE_1)
	s_and_not1_b32 vcc_lo, exec_lo, s15
	s_cbranch_vccnz .LBB62_3128
; %bb.3127:
	global_load_b32 v1, v[6:7], off
	s_wait_loadcnt 0x0
	v_cvt_i32_f32_e32 v17, v1
.LBB62_3128:
	s_mov_b32 s15, 0
.LBB62_3129:
	s_delay_alu instid0(SALU_CYCLE_1)
	s_and_not1_b32 vcc_lo, exec_lo, s15
	s_cbranch_vccnz .LBB62_3131
; %bb.3130:
	global_load_u16 v1, v[6:7], off
	s_wait_loadcnt 0x0
	v_cvt_f32_f16_e32 v1, v1
	s_delay_alu instid0(VALU_DEP_1)
	v_cvt_i32_f32_e32 v17, v1
.LBB62_3131:
	s_mov_b32 s15, 0
.LBB62_3132:
	s_delay_alu instid0(SALU_CYCLE_1)
	s_and_not1_b32 vcc_lo, exec_lo, s15
	s_cbranch_vccnz .LBB62_3152
; %bb.3133:
	s_cmp_lt_i32 s0, 2
	s_cbranch_scc1 .LBB62_3137
; %bb.3134:
	s_cmp_lt_i32 s0, 3
	s_cbranch_scc1 .LBB62_3138
; %bb.3135:
	s_cmp_gt_i32 s0, 3
	s_cbranch_scc0 .LBB62_3139
; %bb.3136:
	s_wait_loadcnt 0x0
	global_load_b32 v17, v[6:7], off
	s_mov_b32 s15, 0
	s_branch .LBB62_3140
.LBB62_3137:
	s_mov_b32 s15, -1
                                        ; implicit-def: $vgpr17
	s_branch .LBB62_3146
.LBB62_3138:
	s_mov_b32 s15, -1
                                        ; implicit-def: $vgpr17
	s_branch .LBB62_3143
.LBB62_3139:
	s_mov_b32 s15, -1
                                        ; implicit-def: $vgpr17
.LBB62_3140:
	s_delay_alu instid0(SALU_CYCLE_1)
	s_and_not1_b32 vcc_lo, exec_lo, s15
	s_cbranch_vccnz .LBB62_3142
; %bb.3141:
	s_wait_loadcnt 0x0
	global_load_b32 v17, v[6:7], off
.LBB62_3142:
	s_mov_b32 s15, 0
.LBB62_3143:
	s_delay_alu instid0(SALU_CYCLE_1)
	s_and_not1_b32 vcc_lo, exec_lo, s15
	s_cbranch_vccnz .LBB62_3145
; %bb.3144:
	s_wait_loadcnt 0x0
	global_load_i16 v17, v[6:7], off
.LBB62_3145:
	s_mov_b32 s15, 0
.LBB62_3146:
	s_delay_alu instid0(SALU_CYCLE_1)
	s_and_not1_b32 vcc_lo, exec_lo, s15
	s_cbranch_vccnz .LBB62_3152
; %bb.3147:
	s_cmp_gt_i32 s0, 0
	s_mov_b32 s15, 0
	s_cbranch_scc0 .LBB62_3149
; %bb.3148:
	s_wait_loadcnt 0x0
	global_load_i8 v17, v[6:7], off
	s_branch .LBB62_3150
.LBB62_3149:
	s_mov_b32 s15, -1
                                        ; implicit-def: $vgpr17
.LBB62_3150:
	s_delay_alu instid0(SALU_CYCLE_1)
	s_and_not1_b32 vcc_lo, exec_lo, s15
	s_cbranch_vccnz .LBB62_3152
; %bb.3151:
	s_wait_loadcnt 0x0
	global_load_u8 v17, v[6:7], off
.LBB62_3152:
	s_mov_b32 s23, -1
.LBB62_3153:
	s_delay_alu instid0(SALU_CYCLE_1)
	s_and_not1_b32 vcc_lo, exec_lo, s23
	s_cbranch_vccnz .LBB62_3968
; %bb.3154:
	v_add_nc_u32_e32 v0, s1, v0
	s_cmp_lt_i32 s19, 11
	s_delay_alu instid0(VALU_DEP_1) | instskip(NEXT) | instid1(VALU_DEP_1)
	v_ashrrev_i32_e32 v1, 31, v0
	v_add_nc_u64_e32 v[0:1], s[6:7], v[0:1]
	s_cbranch_scc1 .LBB62_3161
; %bb.3155:
	s_and_b32 s1, 0xffff, s19
	s_mov_b32 s7, 0
	s_cmp_gt_i32 s1, 25
	s_cbranch_scc0 .LBB62_3162
; %bb.3156:
	s_cmp_gt_i32 s1, 28
	s_cbranch_scc0 .LBB62_3163
; %bb.3157:
	s_cmp_gt_i32 s1, 43
	s_cbranch_scc0 .LBB62_3164
; %bb.3158:
	s_cmp_gt_i32 s1, 45
	s_cbranch_scc0 .LBB62_3166
; %bb.3159:
	s_cmp_eq_u32 s1, 46
	s_mov_b32 s22, 0
	s_cbranch_scc0 .LBB62_3167
; %bb.3160:
	global_load_b32 v3, v[0:1], off
	s_mov_b32 s6, 0
	s_mov_b32 s15, -1
	s_wait_loadcnt 0x0
	v_lshlrev_b32_e32 v3, 16, v3
	s_wait_xcnt 0x1
	s_delay_alu instid0(VALU_DEP_1)
	v_cvt_i32_f32_e32 v6, v3
	s_branch .LBB62_3169
.LBB62_3161:
	s_mov_b32 s1, -1
	s_mov_b32 s15, 0
                                        ; implicit-def: $vgpr6
	s_branch .LBB62_3231
.LBB62_3162:
	s_mov_b32 s22, -1
	s_mov_b32 s15, 0
	s_mov_b32 s6, 0
                                        ; implicit-def: $vgpr6
	s_branch .LBB62_3196
.LBB62_3163:
	s_mov_b32 s22, -1
	s_mov_b32 s15, 0
	s_mov_b32 s6, 0
                                        ; implicit-def: $vgpr6
	s_branch .LBB62_3179
.LBB62_3164:
	s_mov_b32 s22, -1
	s_mov_b32 s15, 0
	s_mov_b32 s6, 0
                                        ; implicit-def: $vgpr6
	s_branch .LBB62_3174
.LBB62_3165:
	s_or_b32 s3, s3, exec_lo
	s_trap 2
	s_cbranch_execz .LBB62_3102
	s_branch .LBB62_3103
.LBB62_3166:
	s_mov_b32 s22, -1
	s_mov_b32 s15, 0
	s_mov_b32 s6, 0
	s_branch .LBB62_3168
.LBB62_3167:
	s_mov_b32 s6, -1
	s_mov_b32 s15, 0
.LBB62_3168:
                                        ; implicit-def: $vgpr6
.LBB62_3169:
	s_and_b32 vcc_lo, exec_lo, s22
	s_cbranch_vccz .LBB62_3173
; %bb.3170:
	s_cmp_eq_u32 s1, 44
	s_cbranch_scc0 .LBB62_3172
; %bb.3171:
	global_load_u8 v3, v[0:1], off
	s_mov_b32 s6, 0
	s_mov_b32 s15, -1
	s_wait_loadcnt 0x0
	v_lshlrev_b32_e32 v5, 23, v3
	v_cmp_ne_u32_e32 vcc_lo, 0, v3
	s_delay_alu instid0(VALU_DEP_2) | instskip(SKIP_1) | instid1(VALU_DEP_1)
	v_cvt_i32_f32_e32 v5, v5
	s_wait_xcnt 0x1
	v_cndmask_b32_e32 v6, 0, v5, vcc_lo
	s_branch .LBB62_3173
.LBB62_3172:
	s_mov_b32 s6, -1
                                        ; implicit-def: $vgpr6
.LBB62_3173:
	s_mov_b32 s22, 0
.LBB62_3174:
	s_delay_alu instid0(SALU_CYCLE_1)
	s_and_b32 vcc_lo, exec_lo, s22
	s_cbranch_vccz .LBB62_3178
; %bb.3175:
	s_cmp_eq_u32 s1, 29
	s_cbranch_scc0 .LBB62_3177
; %bb.3176:
	global_load_b32 v6, v[0:1], off
	s_mov_b32 s6, 0
	s_mov_b32 s15, -1
	s_branch .LBB62_3178
.LBB62_3177:
	s_mov_b32 s6, -1
                                        ; implicit-def: $vgpr6
.LBB62_3178:
	s_mov_b32 s22, 0
.LBB62_3179:
	s_delay_alu instid0(SALU_CYCLE_1)
	s_and_b32 vcc_lo, exec_lo, s22
	s_cbranch_vccz .LBB62_3195
; %bb.3180:
	s_cmp_lt_i32 s1, 27
	s_cbranch_scc1 .LBB62_3183
; %bb.3181:
	s_cmp_gt_i32 s1, 27
	s_cbranch_scc0 .LBB62_3184
; %bb.3182:
	s_wait_loadcnt 0x0
	global_load_b32 v6, v[0:1], off
	s_mov_b32 s15, 0
	s_branch .LBB62_3185
.LBB62_3183:
	s_mov_b32 s15, -1
                                        ; implicit-def: $vgpr6
	s_branch .LBB62_3188
.LBB62_3184:
	s_mov_b32 s15, -1
                                        ; implicit-def: $vgpr6
.LBB62_3185:
	s_delay_alu instid0(SALU_CYCLE_1)
	s_and_not1_b32 vcc_lo, exec_lo, s15
	s_cbranch_vccnz .LBB62_3187
; %bb.3186:
	s_wait_loadcnt 0x0
	global_load_u16 v6, v[0:1], off
.LBB62_3187:
	s_mov_b32 s15, 0
.LBB62_3188:
	s_delay_alu instid0(SALU_CYCLE_1)
	s_and_not1_b32 vcc_lo, exec_lo, s15
	s_cbranch_vccnz .LBB62_3194
; %bb.3189:
	global_load_u8 v3, v[0:1], off
	s_mov_b32 s22, 0
	s_mov_b32 s15, exec_lo
	s_wait_loadcnt 0x0
	v_cmpx_lt_i16_e32 0x7f, v3
	s_xor_b32 s15, exec_lo, s15
	s_cbranch_execz .LBB62_3206
; %bb.3190:
	v_cmp_ne_u16_e32 vcc_lo, 0x80, v3
	s_and_b32 s22, vcc_lo, exec_lo
	s_and_not1_saveexec_b32 s15, s15
	s_cbranch_execnz .LBB62_3207
.LBB62_3191:
	s_or_b32 exec_lo, exec_lo, s15
	v_mov_b32_e32 v6, 0
	s_and_saveexec_b32 s15, s22
	s_cbranch_execz .LBB62_3193
.LBB62_3192:
	v_and_b32_e32 v5, 0xffff, v3
	s_delay_alu instid0(VALU_DEP_1) | instskip(SKIP_1) | instid1(VALU_DEP_2)
	v_and_b32_e32 v6, 7, v5
	v_bfe_u32 v19, v5, 3, 4
	v_clz_i32_u32_e32 v7, v6
	s_delay_alu instid0(VALU_DEP_2) | instskip(NEXT) | instid1(VALU_DEP_2)
	v_cmp_eq_u32_e32 vcc_lo, 0, v19
	v_min_u32_e32 v7, 32, v7
	s_delay_alu instid0(VALU_DEP_1) | instskip(NEXT) | instid1(VALU_DEP_1)
	v_subrev_nc_u32_e32 v18, 28, v7
	v_dual_lshlrev_b32 v5, v18, v5 :: v_dual_sub_nc_u32 v7, 29, v7
	s_delay_alu instid0(VALU_DEP_1) | instskip(NEXT) | instid1(VALU_DEP_1)
	v_dual_lshlrev_b32 v3, 24, v3 :: v_dual_bitop2_b32 v5, 7, v5 bitop3:0x40
	v_dual_cndmask_b32 v5, v6, v5, vcc_lo :: v_dual_cndmask_b32 v7, v19, v7, vcc_lo
	s_delay_alu instid0(VALU_DEP_2) | instskip(NEXT) | instid1(VALU_DEP_2)
	v_and_b32_e32 v3, 0x80000000, v3
	v_lshlrev_b32_e32 v5, 20, v5
	s_delay_alu instid0(VALU_DEP_3) | instskip(NEXT) | instid1(VALU_DEP_1)
	v_lshl_add_u32 v6, v7, 23, 0x3b800000
	v_or3_b32 v3, v3, v6, v5
	s_delay_alu instid0(VALU_DEP_1)
	v_cvt_i32_f32_e32 v6, v3
.LBB62_3193:
	s_or_b32 exec_lo, exec_lo, s15
.LBB62_3194:
	s_mov_b32 s15, -1
.LBB62_3195:
	s_mov_b32 s22, 0
.LBB62_3196:
	s_delay_alu instid0(SALU_CYCLE_1)
	s_and_b32 vcc_lo, exec_lo, s22
	s_cbranch_vccz .LBB62_3227
; %bb.3197:
	s_cmp_gt_i32 s1, 22
	s_cbranch_scc0 .LBB62_3205
; %bb.3198:
	s_cmp_lt_i32 s1, 24
	s_cbranch_scc1 .LBB62_3208
; %bb.3199:
	s_cmp_gt_i32 s1, 24
	s_cbranch_scc0 .LBB62_3209
; %bb.3200:
	global_load_u8 v3, v[0:1], off
	s_mov_b32 s15, 0
	s_mov_b32 s7, exec_lo
	s_wait_loadcnt 0x0
	v_cmpx_lt_i16_e32 0x7f, v3
	s_xor_b32 s7, exec_lo, s7
	s_cbranch_execz .LBB62_3221
; %bb.3201:
	v_cmp_ne_u16_e32 vcc_lo, 0x80, v3
	s_and_b32 s15, vcc_lo, exec_lo
	s_and_not1_saveexec_b32 s7, s7
	s_cbranch_execnz .LBB62_3222
.LBB62_3202:
	s_or_b32 exec_lo, exec_lo, s7
	v_mov_b32_e32 v6, 0
	s_and_saveexec_b32 s7, s15
	s_cbranch_execz .LBB62_3204
.LBB62_3203:
	v_and_b32_e32 v5, 0xffff, v3
	s_delay_alu instid0(VALU_DEP_1) | instskip(SKIP_1) | instid1(VALU_DEP_2)
	v_and_b32_e32 v6, 3, v5
	v_bfe_u32 v19, v5, 2, 5
	v_clz_i32_u32_e32 v7, v6
	s_delay_alu instid0(VALU_DEP_2) | instskip(NEXT) | instid1(VALU_DEP_2)
	v_cmp_eq_u32_e32 vcc_lo, 0, v19
	v_min_u32_e32 v7, 32, v7
	s_delay_alu instid0(VALU_DEP_1) | instskip(NEXT) | instid1(VALU_DEP_1)
	v_subrev_nc_u32_e32 v18, 29, v7
	v_dual_lshlrev_b32 v5, v18, v5 :: v_dual_sub_nc_u32 v7, 30, v7
	s_delay_alu instid0(VALU_DEP_1) | instskip(NEXT) | instid1(VALU_DEP_1)
	v_dual_lshlrev_b32 v3, 24, v3 :: v_dual_bitop2_b32 v5, 3, v5 bitop3:0x40
	v_dual_cndmask_b32 v5, v6, v5, vcc_lo :: v_dual_cndmask_b32 v7, v19, v7, vcc_lo
	s_delay_alu instid0(VALU_DEP_2) | instskip(NEXT) | instid1(VALU_DEP_2)
	v_and_b32_e32 v3, 0x80000000, v3
	v_lshlrev_b32_e32 v5, 21, v5
	s_delay_alu instid0(VALU_DEP_3) | instskip(NEXT) | instid1(VALU_DEP_1)
	v_lshl_add_u32 v6, v7, 23, 0x37800000
	v_or3_b32 v3, v3, v6, v5
	s_delay_alu instid0(VALU_DEP_1)
	v_cvt_i32_f32_e32 v6, v3
.LBB62_3204:
	s_or_b32 exec_lo, exec_lo, s7
	s_mov_b32 s7, 0
	s_branch .LBB62_3210
.LBB62_3205:
	s_mov_b32 s7, -1
                                        ; implicit-def: $vgpr6
	s_branch .LBB62_3216
.LBB62_3206:
	s_and_not1_saveexec_b32 s15, s15
	s_cbranch_execz .LBB62_3191
.LBB62_3207:
	v_cmp_ne_u16_e32 vcc_lo, 0, v3
	s_and_not1_b32 s22, s22, exec_lo
	s_and_b32 s23, vcc_lo, exec_lo
	s_delay_alu instid0(SALU_CYCLE_1)
	s_or_b32 s22, s22, s23
	s_or_b32 exec_lo, exec_lo, s15
	v_mov_b32_e32 v6, 0
	s_and_saveexec_b32 s15, s22
	s_cbranch_execnz .LBB62_3192
	s_branch .LBB62_3193
.LBB62_3208:
	s_mov_b32 s7, -1
                                        ; implicit-def: $vgpr6
	s_branch .LBB62_3213
.LBB62_3209:
	s_mov_b32 s7, -1
                                        ; implicit-def: $vgpr6
.LBB62_3210:
	s_delay_alu instid0(SALU_CYCLE_1)
	s_and_b32 vcc_lo, exec_lo, s7
	s_cbranch_vccz .LBB62_3212
; %bb.3211:
	global_load_u8 v3, v[0:1], off
	s_wait_loadcnt 0x0
	v_lshlrev_b32_e32 v3, 24, v3
	s_delay_alu instid0(VALU_DEP_1) | instskip(SKIP_1) | instid1(VALU_DEP_1)
	v_and_b32_e32 v5, 0x7f000000, v3
	s_wait_xcnt 0x1
	v_clz_i32_u32_e32 v6, v5
	v_cmp_ne_u32_e32 vcc_lo, 0, v5
	v_add_nc_u32_e32 v18, 0x1000000, v5
	s_delay_alu instid0(VALU_DEP_3) | instskip(NEXT) | instid1(VALU_DEP_1)
	v_min_u32_e32 v6, 32, v6
	v_sub_nc_u32_e64 v6, v6, 4 clamp
	s_delay_alu instid0(VALU_DEP_1) | instskip(NEXT) | instid1(VALU_DEP_1)
	v_dual_lshlrev_b32 v7, v6, v5 :: v_dual_lshlrev_b32 v6, 23, v6
	v_lshrrev_b32_e32 v7, 4, v7
	s_delay_alu instid0(VALU_DEP_1) | instskip(SKIP_1) | instid1(VALU_DEP_2)
	v_sub_nc_u32_e32 v6, v7, v6
	v_ashrrev_i32_e32 v7, 8, v18
	v_add_nc_u32_e32 v6, 0x3c000000, v6
	s_delay_alu instid0(VALU_DEP_1) | instskip(NEXT) | instid1(VALU_DEP_1)
	v_and_or_b32 v6, 0x7f800000, v7, v6
	v_cndmask_b32_e32 v5, 0, v6, vcc_lo
	s_delay_alu instid0(VALU_DEP_1) | instskip(NEXT) | instid1(VALU_DEP_1)
	v_and_or_b32 v3, 0x80000000, v3, v5
	v_cvt_i32_f32_e32 v6, v3
.LBB62_3212:
	s_mov_b32 s7, 0
.LBB62_3213:
	s_delay_alu instid0(SALU_CYCLE_1)
	s_and_not1_b32 vcc_lo, exec_lo, s7
	s_cbranch_vccnz .LBB62_3215
; %bb.3214:
	global_load_u8 v3, v[0:1], off
	s_wait_loadcnt 0x0
	v_lshlrev_b32_e32 v5, 25, v3
	v_lshlrev_b16 v3, 8, v3
	s_wait_xcnt 0x1
	s_delay_alu instid0(VALU_DEP_1) | instskip(NEXT) | instid1(VALU_DEP_3)
	v_and_or_b32 v7, 0x7f00, v3, 0.5
	v_lshrrev_b32_e32 v6, 4, v5
	v_bfe_i32 v3, v3, 0, 16
	s_delay_alu instid0(VALU_DEP_3) | instskip(NEXT) | instid1(VALU_DEP_3)
	v_add_f32_e32 v7, -0.5, v7
	v_or_b32_e32 v6, 0x70000000, v6
	s_delay_alu instid0(VALU_DEP_1) | instskip(SKIP_1) | instid1(VALU_DEP_2)
	v_mul_f32_e32 v6, 0x7800000, v6
	v_cmp_gt_u32_e32 vcc_lo, 0x8000000, v5
	v_cndmask_b32_e32 v5, v6, v7, vcc_lo
	s_delay_alu instid0(VALU_DEP_1) | instskip(NEXT) | instid1(VALU_DEP_1)
	v_and_or_b32 v3, 0x80000000, v3, v5
	v_cvt_i32_f32_e32 v6, v3
.LBB62_3215:
	s_mov_b32 s7, 0
	s_mov_b32 s15, -1
.LBB62_3216:
	s_and_not1_b32 vcc_lo, exec_lo, s7
	s_mov_b32 s7, 0
	s_cbranch_vccnz .LBB62_3227
; %bb.3217:
	s_cmp_gt_i32 s1, 14
	s_cbranch_scc0 .LBB62_3220
; %bb.3218:
	s_cmp_eq_u32 s1, 15
	s_cbranch_scc0 .LBB62_3223
; %bb.3219:
	global_load_u16 v3, v[0:1], off
	s_mov_b32 s6, 0
	s_mov_b32 s15, -1
	s_wait_loadcnt 0x0
	v_lshlrev_b32_e32 v3, 16, v3
	s_wait_xcnt 0x1
	s_delay_alu instid0(VALU_DEP_1)
	v_cvt_i32_f32_e32 v6, v3
	s_branch .LBB62_3225
.LBB62_3220:
	s_mov_b32 s7, -1
	s_branch .LBB62_3224
.LBB62_3221:
	s_and_not1_saveexec_b32 s7, s7
	s_cbranch_execz .LBB62_3202
.LBB62_3222:
	v_cmp_ne_u16_e32 vcc_lo, 0, v3
	s_and_not1_b32 s15, s15, exec_lo
	s_and_b32 s22, vcc_lo, exec_lo
	s_delay_alu instid0(SALU_CYCLE_1)
	s_or_b32 s15, s15, s22
	s_or_b32 exec_lo, exec_lo, s7
	v_mov_b32_e32 v6, 0
	s_and_saveexec_b32 s7, s15
	s_cbranch_execnz .LBB62_3203
	s_branch .LBB62_3204
.LBB62_3223:
	s_mov_b32 s6, -1
.LBB62_3224:
                                        ; implicit-def: $vgpr6
.LBB62_3225:
	s_and_b32 vcc_lo, exec_lo, s7
	s_mov_b32 s7, 0
	s_cbranch_vccz .LBB62_3227
; %bb.3226:
	s_cmp_lg_u32 s1, 11
	s_mov_b32 s7, -1
	s_cselect_b32 s6, -1, 0
.LBB62_3227:
	s_delay_alu instid0(SALU_CYCLE_1)
	s_and_b32 vcc_lo, exec_lo, s6
	s_cbranch_vccnz .LBB62_3292
; %bb.3228:
	s_and_not1_b32 vcc_lo, exec_lo, s7
	s_cbranch_vccnz .LBB62_3230
.LBB62_3229:
	global_load_u8 v3, v[0:1], off
	s_mov_b32 s15, -1
	s_wait_loadcnt 0x0
	v_cmp_ne_u16_e32 vcc_lo, 0, v3
	s_wait_xcnt 0x1
	v_cndmask_b32_e64 v6, 0, 1, vcc_lo
.LBB62_3230:
	s_mov_b32 s1, 0
.LBB62_3231:
	s_delay_alu instid0(SALU_CYCLE_1)
	s_and_b32 vcc_lo, exec_lo, s1
	s_cbranch_vccz .LBB62_3280
; %bb.3232:
	s_and_b32 s1, 0xffff, s19
	s_delay_alu instid0(SALU_CYCLE_1)
	s_cmp_lt_i32 s1, 5
	s_cbranch_scc1 .LBB62_3237
; %bb.3233:
	s_cmp_lt_i32 s1, 8
	s_cbranch_scc1 .LBB62_3238
; %bb.3234:
	;; [unrolled: 3-line block ×3, first 2 shown]
	s_cmp_gt_i32 s1, 9
	s_cbranch_scc0 .LBB62_3240
; %bb.3236:
	s_wait_loadcnt 0x0
	global_load_b64 v[6:7], v[0:1], off
	s_mov_b32 s6, 0
	s_wait_loadcnt 0x0
	v_cvt_i32_f64_e32 v6, v[6:7]
	s_branch .LBB62_3241
.LBB62_3237:
	s_mov_b32 s6, -1
                                        ; implicit-def: $vgpr6
	s_branch .LBB62_3259
.LBB62_3238:
	s_mov_b32 s6, -1
                                        ; implicit-def: $vgpr6
	s_branch .LBB62_3247
.LBB62_3239:
	s_mov_b32 s6, -1
                                        ; implicit-def: $vgpr6
	s_branch .LBB62_3244
.LBB62_3240:
	s_mov_b32 s6, -1
                                        ; implicit-def: $vgpr6
.LBB62_3241:
	s_delay_alu instid0(SALU_CYCLE_1)
	s_and_not1_b32 vcc_lo, exec_lo, s6
	s_cbranch_vccnz .LBB62_3243
; %bb.3242:
	global_load_b32 v3, v[0:1], off
	s_wait_loadcnt 0x0
	s_wait_xcnt 0x1
	v_cvt_i32_f32_e32 v6, v3
.LBB62_3243:
	s_mov_b32 s6, 0
.LBB62_3244:
	s_delay_alu instid0(SALU_CYCLE_1)
	s_and_not1_b32 vcc_lo, exec_lo, s6
	s_cbranch_vccnz .LBB62_3246
; %bb.3245:
	global_load_b32 v3, v[0:1], off
	s_wait_loadcnt 0x0
	v_cvt_f32_f16_e32 v3, v3
	s_wait_xcnt 0x1
	s_delay_alu instid0(VALU_DEP_1)
	v_cvt_i32_f32_e32 v6, v3
.LBB62_3246:
	s_mov_b32 s6, 0
.LBB62_3247:
	s_delay_alu instid0(SALU_CYCLE_1)
	s_and_not1_b32 vcc_lo, exec_lo, s6
	s_cbranch_vccnz .LBB62_3258
; %bb.3248:
	s_cmp_lt_i32 s1, 6
	s_cbranch_scc1 .LBB62_3251
; %bb.3249:
	s_cmp_gt_i32 s1, 6
	s_cbranch_scc0 .LBB62_3252
; %bb.3250:
	s_wait_loadcnt 0x0
	global_load_b64 v[6:7], v[0:1], off
	s_mov_b32 s6, 0
	s_wait_loadcnt 0x0
	v_cvt_i32_f64_e32 v6, v[6:7]
	s_branch .LBB62_3253
.LBB62_3251:
	s_mov_b32 s6, -1
                                        ; implicit-def: $vgpr6
	s_branch .LBB62_3256
.LBB62_3252:
	s_mov_b32 s6, -1
                                        ; implicit-def: $vgpr6
.LBB62_3253:
	s_delay_alu instid0(SALU_CYCLE_1)
	s_and_not1_b32 vcc_lo, exec_lo, s6
	s_cbranch_vccnz .LBB62_3255
; %bb.3254:
	global_load_b32 v3, v[0:1], off
	s_wait_loadcnt 0x0
	s_wait_xcnt 0x1
	v_cvt_i32_f32_e32 v6, v3
.LBB62_3255:
	s_mov_b32 s6, 0
.LBB62_3256:
	s_delay_alu instid0(SALU_CYCLE_1)
	s_and_not1_b32 vcc_lo, exec_lo, s6
	s_cbranch_vccnz .LBB62_3258
; %bb.3257:
	global_load_u16 v3, v[0:1], off
	s_wait_loadcnt 0x0
	v_cvt_f32_f16_e32 v3, v3
	s_wait_xcnt 0x1
	s_delay_alu instid0(VALU_DEP_1)
	v_cvt_i32_f32_e32 v6, v3
.LBB62_3258:
	s_mov_b32 s6, 0
.LBB62_3259:
	s_delay_alu instid0(SALU_CYCLE_1)
	s_and_not1_b32 vcc_lo, exec_lo, s6
	s_cbranch_vccnz .LBB62_3279
; %bb.3260:
	s_cmp_lt_i32 s1, 2
	s_cbranch_scc1 .LBB62_3264
; %bb.3261:
	s_cmp_lt_i32 s1, 3
	s_cbranch_scc1 .LBB62_3265
; %bb.3262:
	s_cmp_gt_i32 s1, 3
	s_cbranch_scc0 .LBB62_3266
; %bb.3263:
	s_wait_loadcnt 0x0
	global_load_b32 v6, v[0:1], off
	s_mov_b32 s6, 0
	s_branch .LBB62_3267
.LBB62_3264:
	s_mov_b32 s6, -1
                                        ; implicit-def: $vgpr6
	s_branch .LBB62_3273
.LBB62_3265:
	s_mov_b32 s6, -1
                                        ; implicit-def: $vgpr6
	s_branch .LBB62_3270
.LBB62_3266:
	s_mov_b32 s6, -1
                                        ; implicit-def: $vgpr6
.LBB62_3267:
	s_delay_alu instid0(SALU_CYCLE_1)
	s_and_not1_b32 vcc_lo, exec_lo, s6
	s_cbranch_vccnz .LBB62_3269
; %bb.3268:
	s_wait_loadcnt 0x0
	global_load_b32 v6, v[0:1], off
.LBB62_3269:
	s_mov_b32 s6, 0
.LBB62_3270:
	s_delay_alu instid0(SALU_CYCLE_1)
	s_and_not1_b32 vcc_lo, exec_lo, s6
	s_cbranch_vccnz .LBB62_3272
; %bb.3271:
	s_wait_loadcnt 0x0
	global_load_i16 v6, v[0:1], off
.LBB62_3272:
	s_mov_b32 s6, 0
.LBB62_3273:
	s_delay_alu instid0(SALU_CYCLE_1)
	s_and_not1_b32 vcc_lo, exec_lo, s6
	s_cbranch_vccnz .LBB62_3279
; %bb.3274:
	s_cmp_gt_i32 s1, 0
	s_mov_b32 s1, 0
	s_cbranch_scc0 .LBB62_3276
; %bb.3275:
	s_wait_loadcnt 0x0
	global_load_i8 v6, v[0:1], off
	s_branch .LBB62_3277
.LBB62_3276:
	s_mov_b32 s1, -1
                                        ; implicit-def: $vgpr6
.LBB62_3277:
	s_delay_alu instid0(SALU_CYCLE_1)
	s_and_not1_b32 vcc_lo, exec_lo, s1
	s_cbranch_vccnz .LBB62_3279
; %bb.3278:
	s_wait_loadcnt 0x0
	global_load_u8 v6, v[0:1], off
.LBB62_3279:
	s_mov_b32 s15, -1
.LBB62_3280:
	s_delay_alu instid0(SALU_CYCLE_1)
	s_and_not1_b32 vcc_lo, exec_lo, s15
	s_cbranch_vccnz .LBB62_3968
; %bb.3281:
	s_wait_xcnt 0x0
	v_add_nc_u32_e32 v0, s13, v2
	s_cmp_lt_i32 s2, 11
	s_delay_alu instid0(VALU_DEP_1) | instskip(NEXT) | instid1(VALU_DEP_1)
	v_ashrrev_i32_e32 v1, 31, v0
	v_add_nc_u64_e32 v[0:1], s[8:9], v[0:1]
	s_cbranch_scc1 .LBB62_3288
; %bb.3282:
	s_and_b32 s1, 0xffff, s2
	s_mov_b32 s7, 0
	s_cmp_gt_i32 s1, 25
	s_cbranch_scc0 .LBB62_3289
; %bb.3283:
	s_cmp_gt_i32 s1, 28
	s_cbranch_scc0 .LBB62_3290
; %bb.3284:
	;; [unrolled: 3-line block ×4, first 2 shown]
	s_cmp_eq_u32 s1, 46
	s_mov_b32 s9, 0
	s_cbranch_scc0 .LBB62_3294
; %bb.3287:
	global_load_b32 v2, v[0:1], off
	s_mov_b32 s6, 0
	s_mov_b32 s8, -1
	s_wait_loadcnt 0x0
	v_lshlrev_b32_e32 v2, 16, v2
	s_delay_alu instid0(VALU_DEP_1)
	v_cvt_i32_f32_e32 v7, v2
	s_branch .LBB62_3296
.LBB62_3288:
	s_mov_b32 s1, -1
	s_mov_b32 s8, 0
                                        ; implicit-def: $vgpr7
	s_branch .LBB62_3358
.LBB62_3289:
	s_mov_b32 s9, -1
	s_mov_b32 s8, 0
	s_mov_b32 s6, 0
                                        ; implicit-def: $vgpr7
	s_branch .LBB62_3323
.LBB62_3290:
	s_mov_b32 s9, -1
	s_mov_b32 s8, 0
	s_mov_b32 s6, 0
                                        ; implicit-def: $vgpr7
	s_branch .LBB62_3306
.LBB62_3291:
	s_mov_b32 s9, -1
	s_mov_b32 s8, 0
	s_mov_b32 s6, 0
                                        ; implicit-def: $vgpr7
	s_branch .LBB62_3301
.LBB62_3292:
	s_or_b32 s3, s3, exec_lo
	s_trap 2
	s_cbranch_execz .LBB62_3229
	s_branch .LBB62_3230
.LBB62_3293:
	s_mov_b32 s9, -1
	s_mov_b32 s8, 0
	s_mov_b32 s6, 0
	s_branch .LBB62_3295
.LBB62_3294:
	s_mov_b32 s6, -1
	s_mov_b32 s8, 0
.LBB62_3295:
                                        ; implicit-def: $vgpr7
.LBB62_3296:
	s_and_b32 vcc_lo, exec_lo, s9
	s_cbranch_vccz .LBB62_3300
; %bb.3297:
	s_cmp_eq_u32 s1, 44
	s_cbranch_scc0 .LBB62_3299
; %bb.3298:
	global_load_u8 v2, v[0:1], off
	s_mov_b32 s6, 0
	s_mov_b32 s8, -1
	s_wait_loadcnt 0x0
	v_lshlrev_b32_e32 v3, 23, v2
	v_cmp_ne_u32_e32 vcc_lo, 0, v2
	s_delay_alu instid0(VALU_DEP_2) | instskip(NEXT) | instid1(VALU_DEP_1)
	v_cvt_i32_f32_e32 v3, v3
	v_cndmask_b32_e32 v7, 0, v3, vcc_lo
	s_branch .LBB62_3300
.LBB62_3299:
	s_mov_b32 s6, -1
                                        ; implicit-def: $vgpr7
.LBB62_3300:
	s_mov_b32 s9, 0
.LBB62_3301:
	s_delay_alu instid0(SALU_CYCLE_1)
	s_and_b32 vcc_lo, exec_lo, s9
	s_cbranch_vccz .LBB62_3305
; %bb.3302:
	s_cmp_eq_u32 s1, 29
	s_cbranch_scc0 .LBB62_3304
; %bb.3303:
	global_load_b32 v7, v[0:1], off
	s_mov_b32 s6, 0
	s_mov_b32 s8, -1
	s_branch .LBB62_3305
.LBB62_3304:
	s_mov_b32 s6, -1
                                        ; implicit-def: $vgpr7
.LBB62_3305:
	s_mov_b32 s9, 0
.LBB62_3306:
	s_delay_alu instid0(SALU_CYCLE_1)
	s_and_b32 vcc_lo, exec_lo, s9
	s_cbranch_vccz .LBB62_3322
; %bb.3307:
	s_cmp_lt_i32 s1, 27
	s_cbranch_scc1 .LBB62_3310
; %bb.3308:
	s_cmp_gt_i32 s1, 27
	s_cbranch_scc0 .LBB62_3311
; %bb.3309:
	s_wait_loadcnt 0x0
	global_load_b32 v7, v[0:1], off
	s_mov_b32 s8, 0
	s_branch .LBB62_3312
.LBB62_3310:
	s_mov_b32 s8, -1
                                        ; implicit-def: $vgpr7
	s_branch .LBB62_3315
.LBB62_3311:
	s_mov_b32 s8, -1
                                        ; implicit-def: $vgpr7
.LBB62_3312:
	s_delay_alu instid0(SALU_CYCLE_1)
	s_and_not1_b32 vcc_lo, exec_lo, s8
	s_cbranch_vccnz .LBB62_3314
; %bb.3313:
	s_wait_loadcnt 0x0
	global_load_u16 v7, v[0:1], off
.LBB62_3314:
	s_mov_b32 s8, 0
.LBB62_3315:
	s_delay_alu instid0(SALU_CYCLE_1)
	s_and_not1_b32 vcc_lo, exec_lo, s8
	s_cbranch_vccnz .LBB62_3321
; %bb.3316:
	global_load_u8 v2, v[0:1], off
	s_mov_b32 s9, 0
	s_mov_b32 s8, exec_lo
	s_wait_loadcnt 0x0
	v_cmpx_lt_i16_e32 0x7f, v2
	s_xor_b32 s8, exec_lo, s8
	s_cbranch_execz .LBB62_3333
; %bb.3317:
	v_cmp_ne_u16_e32 vcc_lo, 0x80, v2
	s_and_b32 s9, vcc_lo, exec_lo
	s_and_not1_saveexec_b32 s8, s8
	s_cbranch_execnz .LBB62_3334
.LBB62_3318:
	s_or_b32 exec_lo, exec_lo, s8
	v_mov_b32_e32 v7, 0
	s_and_saveexec_b32 s8, s9
	s_cbranch_execz .LBB62_3320
.LBB62_3319:
	v_and_b32_e32 v3, 0xffff, v2
	s_delay_alu instid0(VALU_DEP_1) | instskip(SKIP_1) | instid1(VALU_DEP_2)
	v_dual_lshlrev_b32 v2, 24, v2 :: v_dual_bitop2_b32 v5, 7, v3 bitop3:0x40
	v_bfe_u32 v19, v3, 3, 4
	v_and_b32_e32 v2, 0x80000000, v2
	s_delay_alu instid0(VALU_DEP_3) | instskip(NEXT) | instid1(VALU_DEP_3)
	v_clz_i32_u32_e32 v7, v5
	v_cmp_eq_u32_e32 vcc_lo, 0, v19
	s_delay_alu instid0(VALU_DEP_2) | instskip(NEXT) | instid1(VALU_DEP_1)
	v_min_u32_e32 v7, 32, v7
	v_subrev_nc_u32_e32 v18, 28, v7
	v_sub_nc_u32_e32 v7, 29, v7
	s_delay_alu instid0(VALU_DEP_2) | instskip(NEXT) | instid1(VALU_DEP_2)
	v_lshlrev_b32_e32 v3, v18, v3
	v_cndmask_b32_e32 v7, v19, v7, vcc_lo
	s_delay_alu instid0(VALU_DEP_2) | instskip(NEXT) | instid1(VALU_DEP_1)
	v_and_b32_e32 v3, 7, v3
	v_cndmask_b32_e32 v3, v5, v3, vcc_lo
	s_delay_alu instid0(VALU_DEP_3) | instskip(NEXT) | instid1(VALU_DEP_2)
	v_lshl_add_u32 v5, v7, 23, 0x3b800000
	v_lshlrev_b32_e32 v3, 20, v3
	s_delay_alu instid0(VALU_DEP_1) | instskip(NEXT) | instid1(VALU_DEP_1)
	v_or3_b32 v2, v2, v5, v3
	v_cvt_i32_f32_e32 v7, v2
.LBB62_3320:
	s_or_b32 exec_lo, exec_lo, s8
.LBB62_3321:
	s_mov_b32 s8, -1
.LBB62_3322:
	s_mov_b32 s9, 0
.LBB62_3323:
	s_delay_alu instid0(SALU_CYCLE_1)
	s_and_b32 vcc_lo, exec_lo, s9
	s_cbranch_vccz .LBB62_3354
; %bb.3324:
	s_cmp_gt_i32 s1, 22
	s_cbranch_scc0 .LBB62_3332
; %bb.3325:
	s_cmp_lt_i32 s1, 24
	s_cbranch_scc1 .LBB62_3335
; %bb.3326:
	s_cmp_gt_i32 s1, 24
	s_cbranch_scc0 .LBB62_3336
; %bb.3327:
	global_load_u8 v2, v[0:1], off
	s_mov_b32 s8, 0
	s_mov_b32 s7, exec_lo
	s_wait_loadcnt 0x0
	v_cmpx_lt_i16_e32 0x7f, v2
	s_xor_b32 s7, exec_lo, s7
	s_cbranch_execz .LBB62_3348
; %bb.3328:
	v_cmp_ne_u16_e32 vcc_lo, 0x80, v2
	s_and_b32 s8, vcc_lo, exec_lo
	s_and_not1_saveexec_b32 s7, s7
	s_cbranch_execnz .LBB62_3349
.LBB62_3329:
	s_or_b32 exec_lo, exec_lo, s7
	v_mov_b32_e32 v7, 0
	s_and_saveexec_b32 s7, s8
	s_cbranch_execz .LBB62_3331
.LBB62_3330:
	v_and_b32_e32 v3, 0xffff, v2
	s_delay_alu instid0(VALU_DEP_1) | instskip(SKIP_1) | instid1(VALU_DEP_2)
	v_dual_lshlrev_b32 v2, 24, v2 :: v_dual_bitop2_b32 v5, 3, v3 bitop3:0x40
	v_bfe_u32 v19, v3, 2, 5
	v_and_b32_e32 v2, 0x80000000, v2
	s_delay_alu instid0(VALU_DEP_3) | instskip(NEXT) | instid1(VALU_DEP_3)
	v_clz_i32_u32_e32 v7, v5
	v_cmp_eq_u32_e32 vcc_lo, 0, v19
	s_delay_alu instid0(VALU_DEP_2) | instskip(NEXT) | instid1(VALU_DEP_1)
	v_min_u32_e32 v7, 32, v7
	v_subrev_nc_u32_e32 v18, 29, v7
	v_sub_nc_u32_e32 v7, 30, v7
	s_delay_alu instid0(VALU_DEP_2) | instskip(NEXT) | instid1(VALU_DEP_2)
	v_lshlrev_b32_e32 v3, v18, v3
	v_cndmask_b32_e32 v7, v19, v7, vcc_lo
	s_delay_alu instid0(VALU_DEP_2) | instskip(NEXT) | instid1(VALU_DEP_1)
	v_and_b32_e32 v3, 3, v3
	v_cndmask_b32_e32 v3, v5, v3, vcc_lo
	s_delay_alu instid0(VALU_DEP_3) | instskip(NEXT) | instid1(VALU_DEP_2)
	v_lshl_add_u32 v5, v7, 23, 0x37800000
	v_lshlrev_b32_e32 v3, 21, v3
	s_delay_alu instid0(VALU_DEP_1) | instskip(NEXT) | instid1(VALU_DEP_1)
	v_or3_b32 v2, v2, v5, v3
	v_cvt_i32_f32_e32 v7, v2
.LBB62_3331:
	s_or_b32 exec_lo, exec_lo, s7
	s_mov_b32 s7, 0
	s_branch .LBB62_3337
.LBB62_3332:
	s_mov_b32 s7, -1
                                        ; implicit-def: $vgpr7
	s_branch .LBB62_3343
.LBB62_3333:
	s_and_not1_saveexec_b32 s8, s8
	s_cbranch_execz .LBB62_3318
.LBB62_3334:
	v_cmp_ne_u16_e32 vcc_lo, 0, v2
	s_and_not1_b32 s9, s9, exec_lo
	s_and_b32 s13, vcc_lo, exec_lo
	s_delay_alu instid0(SALU_CYCLE_1)
	s_or_b32 s9, s9, s13
	s_or_b32 exec_lo, exec_lo, s8
	v_mov_b32_e32 v7, 0
	s_and_saveexec_b32 s8, s9
	s_cbranch_execnz .LBB62_3319
	s_branch .LBB62_3320
.LBB62_3335:
	s_mov_b32 s7, -1
                                        ; implicit-def: $vgpr7
	s_branch .LBB62_3340
.LBB62_3336:
	s_mov_b32 s7, -1
                                        ; implicit-def: $vgpr7
.LBB62_3337:
	s_delay_alu instid0(SALU_CYCLE_1)
	s_and_b32 vcc_lo, exec_lo, s7
	s_cbranch_vccz .LBB62_3339
; %bb.3338:
	global_load_u8 v2, v[0:1], off
	s_wait_loadcnt 0x0
	v_lshlrev_b32_e32 v2, 24, v2
	s_delay_alu instid0(VALU_DEP_1) | instskip(NEXT) | instid1(VALU_DEP_1)
	v_and_b32_e32 v3, 0x7f000000, v2
	v_clz_i32_u32_e32 v5, v3
	v_cmp_ne_u32_e32 vcc_lo, 0, v3
	v_add_nc_u32_e32 v18, 0x1000000, v3
	s_delay_alu instid0(VALU_DEP_3) | instskip(NEXT) | instid1(VALU_DEP_1)
	v_min_u32_e32 v5, 32, v5
	v_sub_nc_u32_e64 v5, v5, 4 clamp
	s_delay_alu instid0(VALU_DEP_1) | instskip(NEXT) | instid1(VALU_DEP_1)
	v_dual_lshlrev_b32 v7, v5, v3 :: v_dual_lshlrev_b32 v5, 23, v5
	v_lshrrev_b32_e32 v7, 4, v7
	s_delay_alu instid0(VALU_DEP_1) | instskip(NEXT) | instid1(VALU_DEP_1)
	v_dual_sub_nc_u32 v5, v7, v5 :: v_dual_ashrrev_i32 v7, 8, v18
	v_add_nc_u32_e32 v5, 0x3c000000, v5
	s_delay_alu instid0(VALU_DEP_1) | instskip(NEXT) | instid1(VALU_DEP_1)
	v_and_or_b32 v5, 0x7f800000, v7, v5
	v_cndmask_b32_e32 v3, 0, v5, vcc_lo
	s_delay_alu instid0(VALU_DEP_1) | instskip(NEXT) | instid1(VALU_DEP_1)
	v_and_or_b32 v2, 0x80000000, v2, v3
	v_cvt_i32_f32_e32 v7, v2
.LBB62_3339:
	s_mov_b32 s7, 0
.LBB62_3340:
	s_delay_alu instid0(SALU_CYCLE_1)
	s_and_not1_b32 vcc_lo, exec_lo, s7
	s_cbranch_vccnz .LBB62_3342
; %bb.3341:
	global_load_u8 v2, v[0:1], off
	s_wait_loadcnt 0x0
	v_lshlrev_b32_e32 v3, 25, v2
	v_lshlrev_b16 v2, 8, v2
	s_delay_alu instid0(VALU_DEP_1) | instskip(SKIP_1) | instid1(VALU_DEP_2)
	v_and_or_b32 v7, 0x7f00, v2, 0.5
	v_bfe_i32 v2, v2, 0, 16
	v_add_f32_e32 v7, -0.5, v7
	v_lshrrev_b32_e32 v5, 4, v3
	v_cmp_gt_u32_e32 vcc_lo, 0x8000000, v3
	s_delay_alu instid0(VALU_DEP_2) | instskip(NEXT) | instid1(VALU_DEP_1)
	v_or_b32_e32 v5, 0x70000000, v5
	v_mul_f32_e32 v5, 0x7800000, v5
	s_delay_alu instid0(VALU_DEP_1) | instskip(NEXT) | instid1(VALU_DEP_1)
	v_cndmask_b32_e32 v3, v5, v7, vcc_lo
	v_and_or_b32 v2, 0x80000000, v2, v3
	s_delay_alu instid0(VALU_DEP_1)
	v_cvt_i32_f32_e32 v7, v2
.LBB62_3342:
	s_mov_b32 s7, 0
	s_mov_b32 s8, -1
.LBB62_3343:
	s_and_not1_b32 vcc_lo, exec_lo, s7
	s_mov_b32 s7, 0
	s_cbranch_vccnz .LBB62_3354
; %bb.3344:
	s_cmp_gt_i32 s1, 14
	s_cbranch_scc0 .LBB62_3347
; %bb.3345:
	s_cmp_eq_u32 s1, 15
	s_cbranch_scc0 .LBB62_3350
; %bb.3346:
	global_load_u16 v2, v[0:1], off
	s_mov_b32 s6, 0
	s_mov_b32 s8, -1
	s_wait_loadcnt 0x0
	v_lshlrev_b32_e32 v2, 16, v2
	s_delay_alu instid0(VALU_DEP_1)
	v_cvt_i32_f32_e32 v7, v2
	s_branch .LBB62_3352
.LBB62_3347:
	s_mov_b32 s7, -1
	s_branch .LBB62_3351
.LBB62_3348:
	s_and_not1_saveexec_b32 s7, s7
	s_cbranch_execz .LBB62_3329
.LBB62_3349:
	v_cmp_ne_u16_e32 vcc_lo, 0, v2
	s_and_not1_b32 s8, s8, exec_lo
	s_and_b32 s9, vcc_lo, exec_lo
	s_delay_alu instid0(SALU_CYCLE_1)
	s_or_b32 s8, s8, s9
	s_or_b32 exec_lo, exec_lo, s7
	v_mov_b32_e32 v7, 0
	s_and_saveexec_b32 s7, s8
	s_cbranch_execnz .LBB62_3330
	s_branch .LBB62_3331
.LBB62_3350:
	s_mov_b32 s6, -1
.LBB62_3351:
                                        ; implicit-def: $vgpr7
.LBB62_3352:
	s_and_b32 vcc_lo, exec_lo, s7
	s_mov_b32 s7, 0
	s_cbranch_vccz .LBB62_3354
; %bb.3353:
	s_cmp_lg_u32 s1, 11
	s_mov_b32 s7, -1
	s_cselect_b32 s6, -1, 0
.LBB62_3354:
	s_delay_alu instid0(SALU_CYCLE_1)
	s_and_b32 vcc_lo, exec_lo, s6
	s_cbranch_vccnz .LBB62_3419
; %bb.3355:
	s_and_not1_b32 vcc_lo, exec_lo, s7
	s_cbranch_vccnz .LBB62_3357
.LBB62_3356:
	global_load_u8 v2, v[0:1], off
	s_mov_b32 s8, -1
	s_wait_loadcnt 0x0
	v_cmp_ne_u16_e32 vcc_lo, 0, v2
	v_cndmask_b32_e64 v7, 0, 1, vcc_lo
.LBB62_3357:
	s_mov_b32 s1, 0
.LBB62_3358:
	s_delay_alu instid0(SALU_CYCLE_1)
	s_and_b32 vcc_lo, exec_lo, s1
	s_cbranch_vccz .LBB62_3407
; %bb.3359:
	s_and_b32 s1, 0xffff, s2
	s_delay_alu instid0(SALU_CYCLE_1)
	s_cmp_lt_i32 s1, 5
	s_cbranch_scc1 .LBB62_3364
; %bb.3360:
	s_cmp_lt_i32 s1, 8
	s_cbranch_scc1 .LBB62_3365
; %bb.3361:
	s_cmp_lt_i32 s1, 9
	s_cbranch_scc1 .LBB62_3366
; %bb.3362:
	s_cmp_gt_i32 s1, 9
	s_cbranch_scc0 .LBB62_3367
; %bb.3363:
	global_load_b64 v[2:3], v[0:1], off
	s_mov_b32 s2, 0
	s_wait_loadcnt 0x0
	v_cvt_i32_f64_e32 v7, v[2:3]
	s_branch .LBB62_3368
.LBB62_3364:
	s_mov_b32 s2, -1
                                        ; implicit-def: $vgpr7
	s_branch .LBB62_3386
.LBB62_3365:
	s_mov_b32 s2, -1
                                        ; implicit-def: $vgpr7
	s_branch .LBB62_3374
.LBB62_3366:
	s_mov_b32 s2, -1
                                        ; implicit-def: $vgpr7
	s_branch .LBB62_3371
.LBB62_3367:
	s_mov_b32 s2, -1
                                        ; implicit-def: $vgpr7
.LBB62_3368:
	s_delay_alu instid0(SALU_CYCLE_1)
	s_and_not1_b32 vcc_lo, exec_lo, s2
	s_cbranch_vccnz .LBB62_3370
; %bb.3369:
	global_load_b32 v2, v[0:1], off
	s_wait_loadcnt 0x0
	v_cvt_i32_f32_e32 v7, v2
.LBB62_3370:
	s_mov_b32 s2, 0
.LBB62_3371:
	s_delay_alu instid0(SALU_CYCLE_1)
	s_and_not1_b32 vcc_lo, exec_lo, s2
	s_cbranch_vccnz .LBB62_3373
; %bb.3372:
	global_load_b32 v2, v[0:1], off
	s_wait_loadcnt 0x0
	v_cvt_f32_f16_e32 v2, v2
	s_delay_alu instid0(VALU_DEP_1)
	v_cvt_i32_f32_e32 v7, v2
.LBB62_3373:
	s_mov_b32 s2, 0
.LBB62_3374:
	s_delay_alu instid0(SALU_CYCLE_1)
	s_and_not1_b32 vcc_lo, exec_lo, s2
	s_cbranch_vccnz .LBB62_3385
; %bb.3375:
	s_cmp_lt_i32 s1, 6
	s_cbranch_scc1 .LBB62_3378
; %bb.3376:
	s_cmp_gt_i32 s1, 6
	s_cbranch_scc0 .LBB62_3379
; %bb.3377:
	global_load_b64 v[2:3], v[0:1], off
	s_mov_b32 s2, 0
	s_wait_loadcnt 0x0
	v_cvt_i32_f64_e32 v7, v[2:3]
	s_branch .LBB62_3380
.LBB62_3378:
	s_mov_b32 s2, -1
                                        ; implicit-def: $vgpr7
	s_branch .LBB62_3383
.LBB62_3379:
	s_mov_b32 s2, -1
                                        ; implicit-def: $vgpr7
.LBB62_3380:
	s_delay_alu instid0(SALU_CYCLE_1)
	s_and_not1_b32 vcc_lo, exec_lo, s2
	s_cbranch_vccnz .LBB62_3382
; %bb.3381:
	global_load_b32 v2, v[0:1], off
	s_wait_loadcnt 0x0
	v_cvt_i32_f32_e32 v7, v2
.LBB62_3382:
	s_mov_b32 s2, 0
.LBB62_3383:
	s_delay_alu instid0(SALU_CYCLE_1)
	s_and_not1_b32 vcc_lo, exec_lo, s2
	s_cbranch_vccnz .LBB62_3385
; %bb.3384:
	global_load_u16 v2, v[0:1], off
	s_wait_loadcnt 0x0
	v_cvt_f32_f16_e32 v2, v2
	s_delay_alu instid0(VALU_DEP_1)
	v_cvt_i32_f32_e32 v7, v2
.LBB62_3385:
	s_mov_b32 s2, 0
.LBB62_3386:
	s_delay_alu instid0(SALU_CYCLE_1)
	s_and_not1_b32 vcc_lo, exec_lo, s2
	s_cbranch_vccnz .LBB62_3406
; %bb.3387:
	s_cmp_lt_i32 s1, 2
	s_cbranch_scc1 .LBB62_3391
; %bb.3388:
	s_cmp_lt_i32 s1, 3
	s_cbranch_scc1 .LBB62_3392
; %bb.3389:
	s_cmp_gt_i32 s1, 3
	s_cbranch_scc0 .LBB62_3393
; %bb.3390:
	s_wait_loadcnt 0x0
	global_load_b32 v7, v[0:1], off
	s_mov_b32 s2, 0
	s_branch .LBB62_3394
.LBB62_3391:
	s_mov_b32 s2, -1
                                        ; implicit-def: $vgpr7
	s_branch .LBB62_3400
.LBB62_3392:
	s_mov_b32 s2, -1
                                        ; implicit-def: $vgpr7
	s_branch .LBB62_3397
.LBB62_3393:
	s_mov_b32 s2, -1
                                        ; implicit-def: $vgpr7
.LBB62_3394:
	s_delay_alu instid0(SALU_CYCLE_1)
	s_and_not1_b32 vcc_lo, exec_lo, s2
	s_cbranch_vccnz .LBB62_3396
; %bb.3395:
	s_wait_loadcnt 0x0
	global_load_b32 v7, v[0:1], off
.LBB62_3396:
	s_mov_b32 s2, 0
.LBB62_3397:
	s_delay_alu instid0(SALU_CYCLE_1)
	s_and_not1_b32 vcc_lo, exec_lo, s2
	s_cbranch_vccnz .LBB62_3399
; %bb.3398:
	s_wait_loadcnt 0x0
	global_load_i16 v7, v[0:1], off
.LBB62_3399:
	s_mov_b32 s2, 0
.LBB62_3400:
	s_delay_alu instid0(SALU_CYCLE_1)
	s_and_not1_b32 vcc_lo, exec_lo, s2
	s_cbranch_vccnz .LBB62_3406
; %bb.3401:
	s_cmp_gt_i32 s1, 0
	s_mov_b32 s1, 0
	s_cbranch_scc0 .LBB62_3403
; %bb.3402:
	s_wait_loadcnt 0x0
	global_load_i8 v7, v[0:1], off
	s_branch .LBB62_3404
.LBB62_3403:
	s_mov_b32 s1, -1
                                        ; implicit-def: $vgpr7
.LBB62_3404:
	s_delay_alu instid0(SALU_CYCLE_1)
	s_and_not1_b32 vcc_lo, exec_lo, s1
	s_cbranch_vccnz .LBB62_3406
; %bb.3405:
	s_wait_loadcnt 0x0
	global_load_u8 v7, v[0:1], off
.LBB62_3406:
	s_mov_b32 s8, -1
.LBB62_3407:
	s_delay_alu instid0(SALU_CYCLE_1)
	s_and_not1_b32 vcc_lo, exec_lo, s8
	s_cbranch_vccnz .LBB62_3968
; %bb.3408:
	s_wait_xcnt 0x0
	v_add_nc_u32_e32 v0, s14, v4
	s_cmp_lt_i32 s0, 11
	s_delay_alu instid0(VALU_DEP_1) | instskip(NEXT) | instid1(VALU_DEP_1)
	v_ashrrev_i32_e32 v1, 31, v0
	v_add_nc_u64_e32 v[0:1], s[10:11], v[0:1]
	s_cbranch_scc1 .LBB62_3415
; %bb.3409:
	s_cmp_gt_i32 s0, 25
	s_mov_b32 s2, 0
	s_cbranch_scc0 .LBB62_3416
; %bb.3410:
	s_cmp_gt_i32 s0, 28
	s_cbranch_scc0 .LBB62_3417
; %bb.3411:
	s_cmp_gt_i32 s0, 43
	;; [unrolled: 3-line block ×3, first 2 shown]
	s_cbranch_scc0 .LBB62_3420
; %bb.3413:
	s_cmp_eq_u32 s0, 46
	s_mov_b32 s7, 0
	s_cbranch_scc0 .LBB62_3421
; %bb.3414:
	global_load_b32 v2, v[0:1], off
	s_mov_b32 s1, 0
	s_mov_b32 s6, -1
	s_wait_loadcnt 0x0
	v_lshlrev_b32_e32 v2, 16, v2
	s_delay_alu instid0(VALU_DEP_1)
	v_cvt_i32_f32_e32 v18, v2
	s_branch .LBB62_3423
.LBB62_3415:
	s_mov_b32 s1, -1
	s_mov_b32 s6, 0
                                        ; implicit-def: $vgpr18
	s_branch .LBB62_3485
.LBB62_3416:
	s_mov_b32 s7, -1
	s_mov_b32 s6, 0
	s_mov_b32 s1, 0
                                        ; implicit-def: $vgpr18
	s_branch .LBB62_3450
.LBB62_3417:
	s_mov_b32 s7, -1
	s_mov_b32 s6, 0
	s_mov_b32 s1, 0
                                        ; implicit-def: $vgpr18
	s_branch .LBB62_3433
.LBB62_3418:
	s_mov_b32 s7, -1
	s_mov_b32 s6, 0
	s_mov_b32 s1, 0
                                        ; implicit-def: $vgpr18
	s_branch .LBB62_3428
.LBB62_3419:
	s_or_b32 s3, s3, exec_lo
	s_trap 2
	s_cbranch_execz .LBB62_3356
	s_branch .LBB62_3357
.LBB62_3420:
	s_mov_b32 s7, -1
	s_mov_b32 s6, 0
	s_mov_b32 s1, 0
	s_branch .LBB62_3422
.LBB62_3421:
	s_mov_b32 s1, -1
	s_mov_b32 s6, 0
.LBB62_3422:
                                        ; implicit-def: $vgpr18
.LBB62_3423:
	s_and_b32 vcc_lo, exec_lo, s7
	s_cbranch_vccz .LBB62_3427
; %bb.3424:
	s_cmp_eq_u32 s0, 44
	s_cbranch_scc0 .LBB62_3426
; %bb.3425:
	global_load_u8 v2, v[0:1], off
	s_mov_b32 s1, 0
	s_mov_b32 s6, -1
	s_wait_loadcnt 0x0
	v_lshlrev_b32_e32 v3, 23, v2
	v_cmp_ne_u32_e32 vcc_lo, 0, v2
	s_delay_alu instid0(VALU_DEP_2) | instskip(NEXT) | instid1(VALU_DEP_1)
	v_cvt_i32_f32_e32 v3, v3
	v_cndmask_b32_e32 v18, 0, v3, vcc_lo
	s_branch .LBB62_3427
.LBB62_3426:
	s_mov_b32 s1, -1
                                        ; implicit-def: $vgpr18
.LBB62_3427:
	s_mov_b32 s7, 0
.LBB62_3428:
	s_delay_alu instid0(SALU_CYCLE_1)
	s_and_b32 vcc_lo, exec_lo, s7
	s_cbranch_vccz .LBB62_3432
; %bb.3429:
	s_cmp_eq_u32 s0, 29
	s_cbranch_scc0 .LBB62_3431
; %bb.3430:
	global_load_b32 v18, v[0:1], off
	s_mov_b32 s1, 0
	s_mov_b32 s6, -1
	s_branch .LBB62_3432
.LBB62_3431:
	s_mov_b32 s1, -1
                                        ; implicit-def: $vgpr18
.LBB62_3432:
	s_mov_b32 s7, 0
.LBB62_3433:
	s_delay_alu instid0(SALU_CYCLE_1)
	s_and_b32 vcc_lo, exec_lo, s7
	s_cbranch_vccz .LBB62_3449
; %bb.3434:
	s_cmp_lt_i32 s0, 27
	s_cbranch_scc1 .LBB62_3437
; %bb.3435:
	s_cmp_gt_i32 s0, 27
	s_cbranch_scc0 .LBB62_3438
; %bb.3436:
	s_wait_loadcnt 0x0
	global_load_b32 v18, v[0:1], off
	s_mov_b32 s6, 0
	s_branch .LBB62_3439
.LBB62_3437:
	s_mov_b32 s6, -1
                                        ; implicit-def: $vgpr18
	s_branch .LBB62_3442
.LBB62_3438:
	s_mov_b32 s6, -1
                                        ; implicit-def: $vgpr18
.LBB62_3439:
	s_delay_alu instid0(SALU_CYCLE_1)
	s_and_not1_b32 vcc_lo, exec_lo, s6
	s_cbranch_vccnz .LBB62_3441
; %bb.3440:
	s_wait_loadcnt 0x0
	global_load_u16 v18, v[0:1], off
.LBB62_3441:
	s_mov_b32 s6, 0
.LBB62_3442:
	s_delay_alu instid0(SALU_CYCLE_1)
	s_and_not1_b32 vcc_lo, exec_lo, s6
	s_cbranch_vccnz .LBB62_3448
; %bb.3443:
	global_load_u8 v2, v[0:1], off
	s_mov_b32 s7, 0
	s_mov_b32 s6, exec_lo
	s_wait_loadcnt 0x0
	v_cmpx_lt_i16_e32 0x7f, v2
	s_xor_b32 s6, exec_lo, s6
	s_cbranch_execz .LBB62_3460
; %bb.3444:
	v_cmp_ne_u16_e32 vcc_lo, 0x80, v2
	s_and_b32 s7, vcc_lo, exec_lo
	s_and_not1_saveexec_b32 s6, s6
	s_cbranch_execnz .LBB62_3461
.LBB62_3445:
	s_or_b32 exec_lo, exec_lo, s6
	v_mov_b32_e32 v18, 0
	s_and_saveexec_b32 s6, s7
	s_cbranch_execz .LBB62_3447
.LBB62_3446:
	v_and_b32_e32 v3, 0xffff, v2
	s_delay_alu instid0(VALU_DEP_1) | instskip(SKIP_1) | instid1(VALU_DEP_2)
	v_and_b32_e32 v4, 7, v3
	v_bfe_u32 v19, v3, 3, 4
	v_clz_i32_u32_e32 v5, v4
	s_delay_alu instid0(VALU_DEP_2) | instskip(NEXT) | instid1(VALU_DEP_2)
	v_cmp_eq_u32_e32 vcc_lo, 0, v19
	v_min_u32_e32 v5, 32, v5
	s_delay_alu instid0(VALU_DEP_1) | instskip(NEXT) | instid1(VALU_DEP_1)
	v_subrev_nc_u32_e32 v18, 28, v5
	v_dual_lshlrev_b32 v3, v18, v3 :: v_dual_sub_nc_u32 v5, 29, v5
	s_delay_alu instid0(VALU_DEP_1) | instskip(NEXT) | instid1(VALU_DEP_1)
	v_dual_lshlrev_b32 v2, 24, v2 :: v_dual_bitop2_b32 v3, 7, v3 bitop3:0x40
	v_dual_cndmask_b32 v5, v19, v5, vcc_lo :: v_dual_cndmask_b32 v3, v4, v3, vcc_lo
	s_delay_alu instid0(VALU_DEP_2) | instskip(NEXT) | instid1(VALU_DEP_2)
	v_and_b32_e32 v2, 0x80000000, v2
	v_lshl_add_u32 v4, v5, 23, 0x3b800000
	s_delay_alu instid0(VALU_DEP_3) | instskip(NEXT) | instid1(VALU_DEP_1)
	v_lshlrev_b32_e32 v3, 20, v3
	v_or3_b32 v2, v2, v4, v3
	s_delay_alu instid0(VALU_DEP_1)
	v_cvt_i32_f32_e32 v18, v2
.LBB62_3447:
	s_or_b32 exec_lo, exec_lo, s6
.LBB62_3448:
	s_mov_b32 s6, -1
.LBB62_3449:
	s_mov_b32 s7, 0
.LBB62_3450:
	s_delay_alu instid0(SALU_CYCLE_1)
	s_and_b32 vcc_lo, exec_lo, s7
	s_cbranch_vccz .LBB62_3481
; %bb.3451:
	s_cmp_gt_i32 s0, 22
	s_cbranch_scc0 .LBB62_3459
; %bb.3452:
	s_cmp_lt_i32 s0, 24
	s_cbranch_scc1 .LBB62_3462
; %bb.3453:
	s_cmp_gt_i32 s0, 24
	s_cbranch_scc0 .LBB62_3463
; %bb.3454:
	global_load_u8 v2, v[0:1], off
	s_mov_b32 s6, 0
	s_mov_b32 s2, exec_lo
	s_wait_loadcnt 0x0
	v_cmpx_lt_i16_e32 0x7f, v2
	s_xor_b32 s2, exec_lo, s2
	s_cbranch_execz .LBB62_3475
; %bb.3455:
	v_cmp_ne_u16_e32 vcc_lo, 0x80, v2
	s_and_b32 s6, vcc_lo, exec_lo
	s_and_not1_saveexec_b32 s2, s2
	s_cbranch_execnz .LBB62_3476
.LBB62_3456:
	s_or_b32 exec_lo, exec_lo, s2
	v_mov_b32_e32 v18, 0
	s_and_saveexec_b32 s2, s6
	s_cbranch_execz .LBB62_3458
.LBB62_3457:
	v_and_b32_e32 v3, 0xffff, v2
	s_delay_alu instid0(VALU_DEP_1) | instskip(SKIP_1) | instid1(VALU_DEP_2)
	v_and_b32_e32 v4, 3, v3
	v_bfe_u32 v19, v3, 2, 5
	v_clz_i32_u32_e32 v5, v4
	s_delay_alu instid0(VALU_DEP_2) | instskip(NEXT) | instid1(VALU_DEP_2)
	v_cmp_eq_u32_e32 vcc_lo, 0, v19
	v_min_u32_e32 v5, 32, v5
	s_delay_alu instid0(VALU_DEP_1) | instskip(NEXT) | instid1(VALU_DEP_1)
	v_subrev_nc_u32_e32 v18, 29, v5
	v_dual_lshlrev_b32 v3, v18, v3 :: v_dual_sub_nc_u32 v5, 30, v5
	s_delay_alu instid0(VALU_DEP_1) | instskip(NEXT) | instid1(VALU_DEP_1)
	v_dual_lshlrev_b32 v2, 24, v2 :: v_dual_bitop2_b32 v3, 3, v3 bitop3:0x40
	v_dual_cndmask_b32 v5, v19, v5, vcc_lo :: v_dual_cndmask_b32 v3, v4, v3, vcc_lo
	s_delay_alu instid0(VALU_DEP_2) | instskip(NEXT) | instid1(VALU_DEP_2)
	v_and_b32_e32 v2, 0x80000000, v2
	v_lshl_add_u32 v4, v5, 23, 0x37800000
	s_delay_alu instid0(VALU_DEP_3) | instskip(NEXT) | instid1(VALU_DEP_1)
	v_lshlrev_b32_e32 v3, 21, v3
	v_or3_b32 v2, v2, v4, v3
	s_delay_alu instid0(VALU_DEP_1)
	v_cvt_i32_f32_e32 v18, v2
.LBB62_3458:
	s_or_b32 exec_lo, exec_lo, s2
	s_mov_b32 s2, 0
	s_branch .LBB62_3464
.LBB62_3459:
	s_mov_b32 s2, -1
                                        ; implicit-def: $vgpr18
	s_branch .LBB62_3470
.LBB62_3460:
	s_and_not1_saveexec_b32 s6, s6
	s_cbranch_execz .LBB62_3445
.LBB62_3461:
	v_cmp_ne_u16_e32 vcc_lo, 0, v2
	s_and_not1_b32 s7, s7, exec_lo
	s_and_b32 s8, vcc_lo, exec_lo
	s_delay_alu instid0(SALU_CYCLE_1)
	s_or_b32 s7, s7, s8
	s_or_b32 exec_lo, exec_lo, s6
	v_mov_b32_e32 v18, 0
	s_and_saveexec_b32 s6, s7
	s_cbranch_execnz .LBB62_3446
	s_branch .LBB62_3447
.LBB62_3462:
	s_mov_b32 s2, -1
                                        ; implicit-def: $vgpr18
	s_branch .LBB62_3467
.LBB62_3463:
	s_mov_b32 s2, -1
                                        ; implicit-def: $vgpr18
.LBB62_3464:
	s_delay_alu instid0(SALU_CYCLE_1)
	s_and_b32 vcc_lo, exec_lo, s2
	s_cbranch_vccz .LBB62_3466
; %bb.3465:
	global_load_u8 v2, v[0:1], off
	s_wait_loadcnt 0x0
	v_lshlrev_b32_e32 v2, 24, v2
	s_delay_alu instid0(VALU_DEP_1) | instskip(NEXT) | instid1(VALU_DEP_1)
	v_and_b32_e32 v3, 0x7f000000, v2
	v_clz_i32_u32_e32 v4, v3
	v_cmp_ne_u32_e32 vcc_lo, 0, v3
	v_add_nc_u32_e32 v18, 0x1000000, v3
	s_delay_alu instid0(VALU_DEP_3) | instskip(NEXT) | instid1(VALU_DEP_1)
	v_min_u32_e32 v4, 32, v4
	v_sub_nc_u32_e64 v4, v4, 4 clamp
	s_delay_alu instid0(VALU_DEP_1) | instskip(NEXT) | instid1(VALU_DEP_1)
	v_dual_lshlrev_b32 v5, v4, v3 :: v_dual_lshlrev_b32 v4, 23, v4
	v_lshrrev_b32_e32 v5, 4, v5
	s_delay_alu instid0(VALU_DEP_1) | instskip(NEXT) | instid1(VALU_DEP_1)
	v_dual_sub_nc_u32 v4, v5, v4 :: v_dual_ashrrev_i32 v5, 8, v18
	v_add_nc_u32_e32 v4, 0x3c000000, v4
	s_delay_alu instid0(VALU_DEP_1) | instskip(NEXT) | instid1(VALU_DEP_1)
	v_and_or_b32 v4, 0x7f800000, v5, v4
	v_cndmask_b32_e32 v3, 0, v4, vcc_lo
	s_delay_alu instid0(VALU_DEP_1) | instskip(NEXT) | instid1(VALU_DEP_1)
	v_and_or_b32 v2, 0x80000000, v2, v3
	v_cvt_i32_f32_e32 v18, v2
.LBB62_3466:
	s_mov_b32 s2, 0
.LBB62_3467:
	s_delay_alu instid0(SALU_CYCLE_1)
	s_and_not1_b32 vcc_lo, exec_lo, s2
	s_cbranch_vccnz .LBB62_3469
; %bb.3468:
	global_load_u8 v2, v[0:1], off
	s_wait_loadcnt 0x0
	v_lshlrev_b32_e32 v3, 25, v2
	v_lshlrev_b16 v2, 8, v2
	s_delay_alu instid0(VALU_DEP_1) | instskip(SKIP_1) | instid1(VALU_DEP_2)
	v_and_or_b32 v5, 0x7f00, v2, 0.5
	v_bfe_i32 v2, v2, 0, 16
	v_dual_add_f32 v5, -0.5, v5 :: v_dual_lshrrev_b32 v4, 4, v3
	v_cmp_gt_u32_e32 vcc_lo, 0x8000000, v3
	s_delay_alu instid0(VALU_DEP_2) | instskip(NEXT) | instid1(VALU_DEP_1)
	v_or_b32_e32 v4, 0x70000000, v4
	v_mul_f32_e32 v4, 0x7800000, v4
	s_delay_alu instid0(VALU_DEP_1) | instskip(NEXT) | instid1(VALU_DEP_1)
	v_cndmask_b32_e32 v3, v4, v5, vcc_lo
	v_and_or_b32 v2, 0x80000000, v2, v3
	s_delay_alu instid0(VALU_DEP_1)
	v_cvt_i32_f32_e32 v18, v2
.LBB62_3469:
	s_mov_b32 s2, 0
	s_mov_b32 s6, -1
.LBB62_3470:
	s_and_not1_b32 vcc_lo, exec_lo, s2
	s_mov_b32 s2, 0
	s_cbranch_vccnz .LBB62_3481
; %bb.3471:
	s_cmp_gt_i32 s0, 14
	s_cbranch_scc0 .LBB62_3474
; %bb.3472:
	s_cmp_eq_u32 s0, 15
	s_cbranch_scc0 .LBB62_3477
; %bb.3473:
	global_load_u16 v2, v[0:1], off
	s_mov_b32 s1, 0
	s_mov_b32 s6, -1
	s_wait_loadcnt 0x0
	v_lshlrev_b32_e32 v2, 16, v2
	s_delay_alu instid0(VALU_DEP_1)
	v_cvt_i32_f32_e32 v18, v2
	s_branch .LBB62_3479
.LBB62_3474:
	s_mov_b32 s2, -1
	s_branch .LBB62_3478
.LBB62_3475:
	s_and_not1_saveexec_b32 s2, s2
	s_cbranch_execz .LBB62_3456
.LBB62_3476:
	v_cmp_ne_u16_e32 vcc_lo, 0, v2
	s_and_not1_b32 s6, s6, exec_lo
	s_and_b32 s7, vcc_lo, exec_lo
	s_delay_alu instid0(SALU_CYCLE_1)
	s_or_b32 s6, s6, s7
	s_or_b32 exec_lo, exec_lo, s2
	v_mov_b32_e32 v18, 0
	s_and_saveexec_b32 s2, s6
	s_cbranch_execnz .LBB62_3457
	s_branch .LBB62_3458
.LBB62_3477:
	s_mov_b32 s1, -1
.LBB62_3478:
                                        ; implicit-def: $vgpr18
.LBB62_3479:
	s_and_b32 vcc_lo, exec_lo, s2
	s_mov_b32 s2, 0
	s_cbranch_vccz .LBB62_3481
; %bb.3480:
	s_cmp_lg_u32 s0, 11
	s_mov_b32 s2, -1
	s_cselect_b32 s1, -1, 0
.LBB62_3481:
	s_delay_alu instid0(SALU_CYCLE_1)
	s_and_b32 vcc_lo, exec_lo, s1
	s_cbranch_vccnz .LBB62_4014
; %bb.3482:
	s_and_not1_b32 vcc_lo, exec_lo, s2
	s_cbranch_vccnz .LBB62_3484
.LBB62_3483:
	global_load_u8 v2, v[0:1], off
	s_mov_b32 s6, -1
	s_wait_loadcnt 0x0
	v_cmp_ne_u16_e32 vcc_lo, 0, v2
	v_cndmask_b32_e64 v18, 0, 1, vcc_lo
.LBB62_3484:
	s_mov_b32 s1, 0
.LBB62_3485:
	s_delay_alu instid0(SALU_CYCLE_1)
	s_and_b32 vcc_lo, exec_lo, s1
	s_cbranch_vccz .LBB62_3534
; %bb.3486:
	s_cmp_lt_i32 s0, 5
	s_cbranch_scc1 .LBB62_3491
; %bb.3487:
	s_cmp_lt_i32 s0, 8
	s_cbranch_scc1 .LBB62_3492
	;; [unrolled: 3-line block ×3, first 2 shown]
; %bb.3489:
	s_cmp_gt_i32 s0, 9
	s_cbranch_scc0 .LBB62_3494
; %bb.3490:
	global_load_b64 v[2:3], v[0:1], off
	s_mov_b32 s1, 0
	s_wait_loadcnt 0x0
	v_cvt_i32_f64_e32 v18, v[2:3]
	s_branch .LBB62_3495
.LBB62_3491:
	s_mov_b32 s1, -1
                                        ; implicit-def: $vgpr18
	s_branch .LBB62_3513
.LBB62_3492:
	s_mov_b32 s1, -1
                                        ; implicit-def: $vgpr18
	s_branch .LBB62_3501
.LBB62_3493:
	s_mov_b32 s1, -1
                                        ; implicit-def: $vgpr18
	s_branch .LBB62_3498
.LBB62_3494:
	s_mov_b32 s1, -1
                                        ; implicit-def: $vgpr18
.LBB62_3495:
	s_delay_alu instid0(SALU_CYCLE_1)
	s_and_not1_b32 vcc_lo, exec_lo, s1
	s_cbranch_vccnz .LBB62_3497
; %bb.3496:
	global_load_b32 v2, v[0:1], off
	s_wait_loadcnt 0x0
	v_cvt_i32_f32_e32 v18, v2
.LBB62_3497:
	s_mov_b32 s1, 0
.LBB62_3498:
	s_delay_alu instid0(SALU_CYCLE_1)
	s_and_not1_b32 vcc_lo, exec_lo, s1
	s_cbranch_vccnz .LBB62_3500
; %bb.3499:
	global_load_b32 v2, v[0:1], off
	s_wait_loadcnt 0x0
	v_cvt_f32_f16_e32 v2, v2
	s_delay_alu instid0(VALU_DEP_1)
	v_cvt_i32_f32_e32 v18, v2
.LBB62_3500:
	s_mov_b32 s1, 0
.LBB62_3501:
	s_delay_alu instid0(SALU_CYCLE_1)
	s_and_not1_b32 vcc_lo, exec_lo, s1
	s_cbranch_vccnz .LBB62_3512
; %bb.3502:
	s_cmp_lt_i32 s0, 6
	s_cbranch_scc1 .LBB62_3505
; %bb.3503:
	s_cmp_gt_i32 s0, 6
	s_cbranch_scc0 .LBB62_3506
; %bb.3504:
	global_load_b64 v[2:3], v[0:1], off
	s_mov_b32 s1, 0
	s_wait_loadcnt 0x0
	v_cvt_i32_f64_e32 v18, v[2:3]
	s_branch .LBB62_3507
.LBB62_3505:
	s_mov_b32 s1, -1
                                        ; implicit-def: $vgpr18
	s_branch .LBB62_3510
.LBB62_3506:
	s_mov_b32 s1, -1
                                        ; implicit-def: $vgpr18
.LBB62_3507:
	s_delay_alu instid0(SALU_CYCLE_1)
	s_and_not1_b32 vcc_lo, exec_lo, s1
	s_cbranch_vccnz .LBB62_3509
; %bb.3508:
	global_load_b32 v2, v[0:1], off
	s_wait_loadcnt 0x0
	v_cvt_i32_f32_e32 v18, v2
.LBB62_3509:
	s_mov_b32 s1, 0
.LBB62_3510:
	s_delay_alu instid0(SALU_CYCLE_1)
	s_and_not1_b32 vcc_lo, exec_lo, s1
	s_cbranch_vccnz .LBB62_3512
; %bb.3511:
	global_load_u16 v2, v[0:1], off
	s_wait_loadcnt 0x0
	v_cvt_f32_f16_e32 v2, v2
	s_delay_alu instid0(VALU_DEP_1)
	v_cvt_i32_f32_e32 v18, v2
.LBB62_3512:
	s_mov_b32 s1, 0
.LBB62_3513:
	s_delay_alu instid0(SALU_CYCLE_1)
	s_and_not1_b32 vcc_lo, exec_lo, s1
	s_cbranch_vccnz .LBB62_3533
; %bb.3514:
	s_cmp_lt_i32 s0, 2
	s_cbranch_scc1 .LBB62_3518
; %bb.3515:
	s_cmp_lt_i32 s0, 3
	s_cbranch_scc1 .LBB62_3519
; %bb.3516:
	s_cmp_gt_i32 s0, 3
	s_cbranch_scc0 .LBB62_3520
; %bb.3517:
	s_wait_loadcnt 0x0
	global_load_b32 v18, v[0:1], off
	s_mov_b32 s1, 0
	s_branch .LBB62_3521
.LBB62_3518:
	s_mov_b32 s1, -1
                                        ; implicit-def: $vgpr18
	s_branch .LBB62_3527
.LBB62_3519:
	s_mov_b32 s1, -1
                                        ; implicit-def: $vgpr18
	s_branch .LBB62_3524
.LBB62_3520:
	s_mov_b32 s1, -1
                                        ; implicit-def: $vgpr18
.LBB62_3521:
	s_delay_alu instid0(SALU_CYCLE_1)
	s_and_not1_b32 vcc_lo, exec_lo, s1
	s_cbranch_vccnz .LBB62_3523
; %bb.3522:
	s_wait_loadcnt 0x0
	global_load_b32 v18, v[0:1], off
.LBB62_3523:
	s_mov_b32 s1, 0
.LBB62_3524:
	s_delay_alu instid0(SALU_CYCLE_1)
	s_and_not1_b32 vcc_lo, exec_lo, s1
	s_cbranch_vccnz .LBB62_3526
; %bb.3525:
	s_wait_loadcnt 0x0
	global_load_i16 v18, v[0:1], off
.LBB62_3526:
	s_mov_b32 s1, 0
.LBB62_3527:
	s_delay_alu instid0(SALU_CYCLE_1)
	s_and_not1_b32 vcc_lo, exec_lo, s1
	s_cbranch_vccnz .LBB62_3533
; %bb.3528:
	s_cmp_gt_i32 s0, 0
	s_mov_b32 s0, 0
	s_cbranch_scc0 .LBB62_3530
; %bb.3529:
	s_wait_loadcnt 0x0
	global_load_i8 v18, v[0:1], off
	s_branch .LBB62_3531
.LBB62_3530:
	s_mov_b32 s0, -1
                                        ; implicit-def: $vgpr18
.LBB62_3531:
	s_delay_alu instid0(SALU_CYCLE_1)
	s_and_not1_b32 vcc_lo, exec_lo, s0
	s_cbranch_vccnz .LBB62_3533
; %bb.3532:
	s_wait_loadcnt 0x0
	global_load_u8 v18, v[0:1], off
.LBB62_3533:
	s_mov_b32 s6, -1
.LBB62_3534:
	s_delay_alu instid0(SALU_CYCLE_1)
	s_and_not1_b32 vcc_lo, exec_lo, s6
	s_cbranch_vccnz .LBB62_3968
; %bb.3535:
	s_wait_xcnt 0x0
	v_mul_lo_u32 v0, s12, v8
	s_wait_loadcnt 0x0
	v_mul_lo_u32 v2, v9, s16
	v_mul_lo_u32 v3, v10, s17
	s_and_b32 s22, s18, 0xff
	s_delay_alu instid0(SALU_CYCLE_1) | instskip(NEXT) | instid1(VALU_DEP_3)
	s_cmp_lt_i32 s22, 11
	v_ashrrev_i32_e32 v1, 31, v0
	s_delay_alu instid0(VALU_DEP_2) | instskip(NEXT) | instid1(VALU_DEP_2)
	v_mad_u32 v2, v3, v12, v2
	v_add_nc_u64_e32 v[4:5], s[4:5], v[0:1]
	s_cbranch_scc1 .LBB62_3613
; %bb.3536:
	s_and_b32 s1, 0xffff, s22
	s_mov_b32 s7, -1
	s_mov_b32 s2, 0
	s_cmp_gt_i32 s1, 25
	s_mov_b32 s6, 0
	s_mov_b32 s0, 0
	s_cbranch_scc0 .LBB62_3569
; %bb.3537:
	s_cmp_gt_i32 s1, 28
	s_cbranch_scc0 .LBB62_3552
; %bb.3538:
	s_cmp_gt_i32 s1, 43
	;; [unrolled: 3-line block ×3, first 2 shown]
	s_cbranch_scc0 .LBB62_3542
; %bb.3540:
	s_mov_b32 s0, -1
	s_mov_b32 s7, 0
	s_cmp_eq_u32 s1, 46
	s_cbranch_scc0 .LBB62_3542
; %bb.3541:
	v_cvt_f32_i32_e32 v1, v2
	s_mov_b32 s0, 0
	s_mov_b32 s6, -1
	s_delay_alu instid0(VALU_DEP_1) | instskip(NEXT) | instid1(VALU_DEP_1)
	v_bfe_u32 v3, v1, 16, 1
	v_add3_u32 v1, v1, v3, 0x7fff
	s_delay_alu instid0(VALU_DEP_1)
	v_lshrrev_b32_e32 v1, 16, v1
	global_store_b32 v[4:5], v1, off
.LBB62_3542:
	s_and_b32 vcc_lo, exec_lo, s7
	s_cbranch_vccz .LBB62_3547
; %bb.3543:
	s_cmp_eq_u32 s1, 44
	s_mov_b32 s0, -1
	s_cbranch_scc0 .LBB62_3547
; %bb.3544:
	s_wait_xcnt 0x0
	v_cvt_f32_i32_e32 v1, v2
	v_mov_b32_e32 v3, 0xff
	s_mov_b32 s6, exec_lo
	s_delay_alu instid0(VALU_DEP_2) | instskip(NEXT) | instid1(VALU_DEP_1)
	v_bfe_u32 v8, v1, 23, 8
	v_cmpx_ne_u32_e32 0xff, v8
	s_cbranch_execz .LBB62_3546
; %bb.3545:
	v_and_b32_e32 v3, 0x400000, v1
	v_and_or_b32 v8, 0x3fffff, v1, v8
	v_lshrrev_b32_e32 v1, 23, v1
	s_delay_alu instid0(VALU_DEP_3) | instskip(NEXT) | instid1(VALU_DEP_3)
	v_cmp_ne_u32_e32 vcc_lo, 0, v3
	v_cmp_ne_u32_e64 s0, 0, v8
	s_and_b32 s0, vcc_lo, s0
	s_delay_alu instid0(SALU_CYCLE_1) | instskip(NEXT) | instid1(VALU_DEP_1)
	v_cndmask_b32_e64 v3, 0, 1, s0
	v_add_nc_u32_e32 v3, v1, v3
.LBB62_3546:
	s_or_b32 exec_lo, exec_lo, s6
	s_mov_b32 s0, 0
	s_mov_b32 s6, -1
	global_store_b8 v[4:5], v3, off
.LBB62_3547:
	s_mov_b32 s7, 0
.LBB62_3548:
	s_delay_alu instid0(SALU_CYCLE_1)
	s_and_b32 vcc_lo, exec_lo, s7
	s_cbranch_vccz .LBB62_3551
; %bb.3549:
	s_cmp_eq_u32 s1, 29
	s_mov_b32 s0, -1
	s_cbranch_scc0 .LBB62_3551
; %bb.3550:
	s_wait_xcnt 0x0
	v_ashrrev_i32_e32 v3, 31, v2
	s_mov_b32 s0, 0
	s_mov_b32 s6, -1
	global_store_b64 v[4:5], v[2:3], off
.LBB62_3551:
	s_mov_b32 s7, 0
.LBB62_3552:
	s_delay_alu instid0(SALU_CYCLE_1)
	s_and_b32 vcc_lo, exec_lo, s7
	s_cbranch_vccz .LBB62_3568
; %bb.3553:
	s_cmp_lt_i32 s1, 27
	s_mov_b32 s6, -1
	s_cbranch_scc1 .LBB62_3559
; %bb.3554:
	s_cmp_gt_i32 s1, 27
	s_cbranch_scc0 .LBB62_3556
; %bb.3555:
	s_mov_b32 s6, 0
	global_store_b32 v[4:5], v2, off
.LBB62_3556:
	s_and_not1_b32 vcc_lo, exec_lo, s6
	s_cbranch_vccnz .LBB62_3558
; %bb.3557:
	global_store_b16 v[4:5], v2, off
.LBB62_3558:
	s_mov_b32 s6, 0
.LBB62_3559:
	s_delay_alu instid0(SALU_CYCLE_1)
	s_and_not1_b32 vcc_lo, exec_lo, s6
	s_cbranch_vccnz .LBB62_3567
; %bb.3560:
	s_wait_xcnt 0x0
	v_cvt_f32_i32_e32 v1, v2
	v_mov_b32_e32 v8, 0x80
	s_mov_b32 s6, exec_lo
	s_delay_alu instid0(VALU_DEP_2) | instskip(NEXT) | instid1(VALU_DEP_1)
	v_and_b32_e32 v3, 0x7fffffff, v1
	v_cmpx_gt_u32_e32 0x43800000, v3
	s_cbranch_execz .LBB62_3566
; %bb.3561:
	v_cmp_lt_u32_e32 vcc_lo, 0x3bffffff, v3
	s_mov_b32 s7, 0
                                        ; implicit-def: $vgpr3
	s_and_saveexec_b32 s8, vcc_lo
	s_delay_alu instid0(SALU_CYCLE_1)
	s_xor_b32 s8, exec_lo, s8
	s_cbranch_execz .LBB62_4015
; %bb.3562:
	v_bfe_u32 v3, v1, 20, 1
	s_mov_b32 s7, exec_lo
	s_delay_alu instid0(VALU_DEP_1) | instskip(NEXT) | instid1(VALU_DEP_1)
	v_add3_u32 v3, v1, v3, 0x487ffff
	v_lshrrev_b32_e32 v3, 20, v3
	s_and_not1_saveexec_b32 s8, s8
	s_cbranch_execnz .LBB62_4016
.LBB62_3563:
	s_or_b32 exec_lo, exec_lo, s8
	v_mov_b32_e32 v8, 0
	s_and_saveexec_b32 s8, s7
.LBB62_3564:
	v_lshrrev_b32_e32 v1, 24, v1
	s_delay_alu instid0(VALU_DEP_1)
	v_and_or_b32 v8, 0x80, v1, v3
.LBB62_3565:
	s_or_b32 exec_lo, exec_lo, s8
.LBB62_3566:
	s_delay_alu instid0(SALU_CYCLE_1)
	s_or_b32 exec_lo, exec_lo, s6
	global_store_b8 v[4:5], v8, off
.LBB62_3567:
	s_mov_b32 s6, -1
.LBB62_3568:
	s_mov_b32 s7, 0
.LBB62_3569:
	s_delay_alu instid0(SALU_CYCLE_1)
	s_and_b32 vcc_lo, exec_lo, s7
	s_cbranch_vccz .LBB62_3609
; %bb.3570:
	s_cmp_gt_i32 s1, 22
	s_mov_b32 s2, -1
	s_cbranch_scc0 .LBB62_3602
; %bb.3571:
	s_cmp_lt_i32 s1, 24
	s_cbranch_scc1 .LBB62_3591
; %bb.3572:
	s_cmp_gt_i32 s1, 24
	s_cbranch_scc0 .LBB62_3580
; %bb.3573:
	s_wait_xcnt 0x0
	v_cvt_f32_i32_e32 v1, v2
	v_mov_b32_e32 v8, 0x80
	s_mov_b32 s2, exec_lo
	s_delay_alu instid0(VALU_DEP_2) | instskip(NEXT) | instid1(VALU_DEP_1)
	v_and_b32_e32 v3, 0x7fffffff, v1
	v_cmpx_gt_u32_e32 0x47800000, v3
	s_cbranch_execz .LBB62_3579
; %bb.3574:
	v_cmp_lt_u32_e32 vcc_lo, 0x37ffffff, v3
	s_mov_b32 s6, 0
                                        ; implicit-def: $vgpr3
	s_and_saveexec_b32 s7, vcc_lo
	s_delay_alu instid0(SALU_CYCLE_1)
	s_xor_b32 s7, exec_lo, s7
	s_cbranch_execz .LBB62_4018
; %bb.3575:
	v_bfe_u32 v3, v1, 21, 1
	s_mov_b32 s6, exec_lo
	s_delay_alu instid0(VALU_DEP_1) | instskip(NEXT) | instid1(VALU_DEP_1)
	v_add3_u32 v3, v1, v3, 0x88fffff
	v_lshrrev_b32_e32 v3, 21, v3
	s_and_not1_saveexec_b32 s7, s7
	s_cbranch_execnz .LBB62_4019
.LBB62_3576:
	s_or_b32 exec_lo, exec_lo, s7
	v_mov_b32_e32 v8, 0
	s_and_saveexec_b32 s7, s6
.LBB62_3577:
	v_lshrrev_b32_e32 v1, 24, v1
	s_delay_alu instid0(VALU_DEP_1)
	v_and_or_b32 v8, 0x80, v1, v3
.LBB62_3578:
	s_or_b32 exec_lo, exec_lo, s7
.LBB62_3579:
	s_delay_alu instid0(SALU_CYCLE_1)
	s_or_b32 exec_lo, exec_lo, s2
	s_mov_b32 s2, 0
	global_store_b8 v[4:5], v8, off
.LBB62_3580:
	s_and_b32 vcc_lo, exec_lo, s2
	s_cbranch_vccz .LBB62_3590
; %bb.3581:
	s_wait_xcnt 0x0
	v_cvt_f32_i32_e32 v1, v2
	s_mov_b32 s2, exec_lo
                                        ; implicit-def: $vgpr3
	s_delay_alu instid0(VALU_DEP_1) | instskip(NEXT) | instid1(VALU_DEP_1)
	v_and_b32_e32 v8, 0x7fffffff, v1
	v_cmpx_gt_u32_e32 0x43f00000, v8
	s_xor_b32 s2, exec_lo, s2
	s_cbranch_execz .LBB62_3587
; %bb.3582:
	s_mov_b32 s6, exec_lo
                                        ; implicit-def: $vgpr3
	v_cmpx_lt_u32_e32 0x3c7fffff, v8
	s_xor_b32 s6, exec_lo, s6
; %bb.3583:
	v_bfe_u32 v3, v1, 20, 1
	s_delay_alu instid0(VALU_DEP_1) | instskip(NEXT) | instid1(VALU_DEP_1)
	v_add3_u32 v3, v1, v3, 0x407ffff
	v_and_b32_e32 v8, 0xff00000, v3
	v_lshrrev_b32_e32 v3, 20, v3
	s_delay_alu instid0(VALU_DEP_2) | instskip(NEXT) | instid1(VALU_DEP_2)
	v_cmp_ne_u32_e32 vcc_lo, 0x7f00000, v8
	v_cndmask_b32_e32 v3, 0x7e, v3, vcc_lo
; %bb.3584:
	s_and_not1_saveexec_b32 s6, s6
; %bb.3585:
	v_add_f32_e64 v3, 0x46800000, |v1|
; %bb.3586:
	s_or_b32 exec_lo, exec_lo, s6
                                        ; implicit-def: $vgpr8
.LBB62_3587:
	s_and_not1_saveexec_b32 s2, s2
; %bb.3588:
	v_mov_b32_e32 v3, 0x7f
	v_cmp_lt_u32_e32 vcc_lo, 0x7f800000, v8
	s_delay_alu instid0(VALU_DEP_2)
	v_cndmask_b32_e32 v3, 0x7e, v3, vcc_lo
; %bb.3589:
	s_or_b32 exec_lo, exec_lo, s2
	v_lshrrev_b32_e32 v1, 24, v1
	s_delay_alu instid0(VALU_DEP_1)
	v_and_or_b32 v1, 0x80, v1, v3
	global_store_b8 v[4:5], v1, off
.LBB62_3590:
	s_mov_b32 s2, 0
.LBB62_3591:
	s_delay_alu instid0(SALU_CYCLE_1)
	s_and_not1_b32 vcc_lo, exec_lo, s2
	s_cbranch_vccnz .LBB62_3601
; %bb.3592:
	s_wait_xcnt 0x0
	v_cvt_f32_i32_e32 v1, v2
	s_mov_b32 s2, exec_lo
                                        ; implicit-def: $vgpr3
	s_delay_alu instid0(VALU_DEP_1) | instskip(NEXT) | instid1(VALU_DEP_1)
	v_and_b32_e32 v8, 0x7fffffff, v1
	v_cmpx_gt_u32_e32 0x47800000, v8
	s_xor_b32 s2, exec_lo, s2
	s_cbranch_execz .LBB62_3598
; %bb.3593:
	s_mov_b32 s6, exec_lo
                                        ; implicit-def: $vgpr3
	v_cmpx_lt_u32_e32 0x387fffff, v8
	s_xor_b32 s6, exec_lo, s6
; %bb.3594:
	v_bfe_u32 v3, v1, 21, 1
	s_delay_alu instid0(VALU_DEP_1) | instskip(NEXT) | instid1(VALU_DEP_1)
	v_add3_u32 v3, v1, v3, 0x80fffff
	v_lshrrev_b32_e32 v3, 21, v3
; %bb.3595:
	s_and_not1_saveexec_b32 s6, s6
; %bb.3596:
	v_add_f32_e64 v3, 0x43000000, |v1|
; %bb.3597:
	s_or_b32 exec_lo, exec_lo, s6
                                        ; implicit-def: $vgpr8
.LBB62_3598:
	s_and_not1_saveexec_b32 s2, s2
; %bb.3599:
	v_mov_b32_e32 v3, 0x7f
	v_cmp_lt_u32_e32 vcc_lo, 0x7f800000, v8
	s_delay_alu instid0(VALU_DEP_2)
	v_cndmask_b32_e32 v3, 0x7c, v3, vcc_lo
; %bb.3600:
	s_or_b32 exec_lo, exec_lo, s2
	v_lshrrev_b32_e32 v1, 24, v1
	s_delay_alu instid0(VALU_DEP_1)
	v_and_or_b32 v1, 0x80, v1, v3
	global_store_b8 v[4:5], v1, off
.LBB62_3601:
	s_mov_b32 s2, 0
	s_mov_b32 s6, -1
.LBB62_3602:
	s_and_not1_b32 vcc_lo, exec_lo, s2
	s_mov_b32 s2, 0
	s_cbranch_vccnz .LBB62_3609
; %bb.3603:
	s_cmp_gt_i32 s1, 14
	s_mov_b32 s2, -1
	s_cbranch_scc0 .LBB62_3607
; %bb.3604:
	s_cmp_eq_u32 s1, 15
	s_mov_b32 s0, -1
	s_cbranch_scc0 .LBB62_3606
; %bb.3605:
	s_wait_xcnt 0x0
	v_cvt_f32_i32_e32 v1, v2
	s_mov_b32 s0, 0
	s_mov_b32 s6, -1
	s_delay_alu instid0(VALU_DEP_1) | instskip(NEXT) | instid1(VALU_DEP_1)
	v_bfe_u32 v3, v1, 16, 1
	v_add3_u32 v1, v1, v3, 0x7fff
	global_store_d16_hi_b16 v[4:5], v1, off
.LBB62_3606:
	s_mov_b32 s2, 0
.LBB62_3607:
	s_delay_alu instid0(SALU_CYCLE_1)
	s_and_b32 vcc_lo, exec_lo, s2
	s_mov_b32 s2, 0
	s_cbranch_vccz .LBB62_3609
; %bb.3608:
	s_cmp_lg_u32 s1, 11
	s_mov_b32 s2, -1
	s_cselect_b32 s0, -1, 0
.LBB62_3609:
	s_delay_alu instid0(SALU_CYCLE_1)
	s_and_b32 vcc_lo, exec_lo, s0
	s_cbranch_vccnz .LBB62_4017
; %bb.3610:
	s_and_not1_b32 vcc_lo, exec_lo, s2
	s_cbranch_vccnz .LBB62_3612
.LBB62_3611:
	v_cmp_ne_u32_e32 vcc_lo, 0, v2
	s_mov_b32 s6, -1
	s_wait_xcnt 0x0
	v_cndmask_b32_e64 v1, 0, 1, vcc_lo
	global_store_b8 v[4:5], v1, off
.LBB62_3612:
	s_mov_b32 s0, 0
	s_branch .LBB62_3614
.LBB62_3613:
	s_mov_b32 s0, -1
	s_mov_b32 s6, 0
.LBB62_3614:
	s_and_b32 vcc_lo, exec_lo, s0
	s_cbranch_vccz .LBB62_3653
; %bb.3615:
	s_and_b32 s0, 0xffff, s22
	s_mov_b32 s1, -1
	s_cmp_lt_i32 s0, 5
	s_cbranch_scc1 .LBB62_3636
; %bb.3616:
	s_cmp_lt_i32 s0, 8
	s_cbranch_scc1 .LBB62_3626
; %bb.3617:
	;; [unrolled: 3-line block ×3, first 2 shown]
	s_cmp_gt_i32 s0, 9
	s_cbranch_scc0 .LBB62_3620
; %bb.3619:
	v_cvt_f64_i32_e32 v[20:21], v2
	v_mov_b32_e32 v22, 0
	s_mov_b32 s1, 0
	s_delay_alu instid0(VALU_DEP_1)
	v_mov_b32_e32 v23, v22
	global_store_b128 v[4:5], v[20:23], off
.LBB62_3620:
	s_and_not1_b32 vcc_lo, exec_lo, s1
	s_cbranch_vccnz .LBB62_3622
; %bb.3621:
	s_wait_xcnt 0x0
	v_cvt_f32_i32_e32 v8, v2
	v_mov_b32_e32 v9, 0
	global_store_b64 v[4:5], v[8:9], off
.LBB62_3622:
	s_mov_b32 s1, 0
.LBB62_3623:
	s_delay_alu instid0(SALU_CYCLE_1)
	s_and_not1_b32 vcc_lo, exec_lo, s1
	s_cbranch_vccnz .LBB62_3625
; %bb.3624:
	s_wait_xcnt 0x0
	v_cvt_f32_i32_e32 v1, v2
	s_delay_alu instid0(VALU_DEP_1) | instskip(NEXT) | instid1(VALU_DEP_1)
	v_cvt_f16_f32_e32 v1, v1
	v_and_b32_e32 v1, 0xffff, v1
	global_store_b32 v[4:5], v1, off
.LBB62_3625:
	s_mov_b32 s1, 0
.LBB62_3626:
	s_delay_alu instid0(SALU_CYCLE_1)
	s_and_not1_b32 vcc_lo, exec_lo, s1
	s_cbranch_vccnz .LBB62_3635
; %bb.3627:
	s_cmp_lt_i32 s0, 6
	s_mov_b32 s1, -1
	s_cbranch_scc1 .LBB62_3633
; %bb.3628:
	s_cmp_gt_i32 s0, 6
	s_cbranch_scc0 .LBB62_3630
; %bb.3629:
	s_wait_xcnt 0x0
	v_cvt_f64_i32_e32 v[8:9], v2
	s_mov_b32 s1, 0
	global_store_b64 v[4:5], v[8:9], off
.LBB62_3630:
	s_and_not1_b32 vcc_lo, exec_lo, s1
	s_cbranch_vccnz .LBB62_3632
; %bb.3631:
	s_wait_xcnt 0x0
	v_cvt_f32_i32_e32 v1, v2
	global_store_b32 v[4:5], v1, off
.LBB62_3632:
	s_mov_b32 s1, 0
.LBB62_3633:
	s_delay_alu instid0(SALU_CYCLE_1)
	s_and_not1_b32 vcc_lo, exec_lo, s1
	s_cbranch_vccnz .LBB62_3635
; %bb.3634:
	s_wait_xcnt 0x0
	v_cvt_f32_i32_e32 v1, v2
	s_delay_alu instid0(VALU_DEP_1)
	v_cvt_f16_f32_e32 v1, v1
	global_store_b16 v[4:5], v1, off
.LBB62_3635:
	s_mov_b32 s1, 0
.LBB62_3636:
	s_delay_alu instid0(SALU_CYCLE_1)
	s_and_not1_b32 vcc_lo, exec_lo, s1
	s_cbranch_vccnz .LBB62_3652
; %bb.3637:
	s_cmp_lt_i32 s0, 2
	s_mov_b32 s1, -1
	s_cbranch_scc1 .LBB62_3647
; %bb.3638:
	s_cmp_lt_i32 s0, 3
	s_cbranch_scc1 .LBB62_3644
; %bb.3639:
	s_cmp_gt_i32 s0, 3
	s_cbranch_scc0 .LBB62_3641
; %bb.3640:
	s_wait_xcnt 0x0
	v_ashrrev_i32_e32 v3, 31, v2
	s_mov_b32 s1, 0
	global_store_b64 v[4:5], v[2:3], off
.LBB62_3641:
	s_and_not1_b32 vcc_lo, exec_lo, s1
	s_cbranch_vccnz .LBB62_3643
; %bb.3642:
	global_store_b32 v[4:5], v2, off
.LBB62_3643:
	s_mov_b32 s1, 0
.LBB62_3644:
	s_delay_alu instid0(SALU_CYCLE_1)
	s_and_not1_b32 vcc_lo, exec_lo, s1
	s_cbranch_vccnz .LBB62_3646
; %bb.3645:
	global_store_b16 v[4:5], v2, off
.LBB62_3646:
	s_mov_b32 s1, 0
.LBB62_3647:
	s_delay_alu instid0(SALU_CYCLE_1)
	s_and_not1_b32 vcc_lo, exec_lo, s1
	s_cbranch_vccnz .LBB62_3652
; %bb.3648:
	s_cmp_gt_i32 s0, 0
	s_mov_b32 s0, -1
	s_cbranch_scc0 .LBB62_3650
; %bb.3649:
	s_mov_b32 s0, 0
	global_store_b8 v[4:5], v2, off
.LBB62_3650:
	s_and_not1_b32 vcc_lo, exec_lo, s0
	s_cbranch_vccnz .LBB62_3652
; %bb.3651:
	global_store_b8 v[4:5], v2, off
.LBB62_3652:
	s_mov_b32 s6, -1
.LBB62_3653:
	s_delay_alu instid0(SALU_CYCLE_1)
	s_and_not1_b32 vcc_lo, exec_lo, s6
	s_cbranch_vccnz .LBB62_3968
; %bb.3654:
	s_wait_xcnt 0x0
	v_mul_lo_u32 v2, v11, s16
	v_mul_lo_u32 v3, v13, s17
	s_lshl_b32 s1, s12, 7
	s_cmp_lt_i32 s22, 11
	v_add_nc_u32_e32 v0, s1, v0
	s_delay_alu instid0(VALU_DEP_1) | instskip(NEXT) | instid1(VALU_DEP_3)
	v_ashrrev_i32_e32 v1, 31, v0
	v_mad_u32 v2, v3, v15, v2
	s_delay_alu instid0(VALU_DEP_2)
	v_add_nc_u64_e32 v[4:5], s[4:5], v[0:1]
	s_cbranch_scc1 .LBB62_3732
; %bb.3655:
	s_and_b32 s2, 0xffff, s22
	s_mov_b32 s8, -1
	s_mov_b32 s6, 0
	s_cmp_gt_i32 s2, 25
	s_mov_b32 s7, 0
	s_mov_b32 s0, 0
	s_cbranch_scc0 .LBB62_3688
; %bb.3656:
	s_cmp_gt_i32 s2, 28
	s_cbranch_scc0 .LBB62_3671
; %bb.3657:
	s_cmp_gt_i32 s2, 43
	;; [unrolled: 3-line block ×3, first 2 shown]
	s_cbranch_scc0 .LBB62_3661
; %bb.3659:
	s_mov_b32 s0, -1
	s_mov_b32 s8, 0
	s_cmp_eq_u32 s2, 46
	s_cbranch_scc0 .LBB62_3661
; %bb.3660:
	v_cvt_f32_i32_e32 v1, v2
	s_mov_b32 s0, 0
	s_mov_b32 s7, -1
	s_delay_alu instid0(VALU_DEP_1) | instskip(NEXT) | instid1(VALU_DEP_1)
	v_bfe_u32 v3, v1, 16, 1
	v_add3_u32 v1, v1, v3, 0x7fff
	s_delay_alu instid0(VALU_DEP_1)
	v_lshrrev_b32_e32 v1, 16, v1
	global_store_b32 v[4:5], v1, off
.LBB62_3661:
	s_and_b32 vcc_lo, exec_lo, s8
	s_cbranch_vccz .LBB62_3666
; %bb.3662:
	s_cmp_eq_u32 s2, 44
	s_mov_b32 s0, -1
	s_cbranch_scc0 .LBB62_3666
; %bb.3663:
	s_wait_xcnt 0x0
	v_cvt_f32_i32_e32 v1, v2
	v_mov_b32_e32 v3, 0xff
	s_mov_b32 s7, exec_lo
	s_delay_alu instid0(VALU_DEP_2) | instskip(NEXT) | instid1(VALU_DEP_1)
	v_bfe_u32 v8, v1, 23, 8
	v_cmpx_ne_u32_e32 0xff, v8
	s_cbranch_execz .LBB62_3665
; %bb.3664:
	v_and_b32_e32 v3, 0x400000, v1
	v_and_or_b32 v8, 0x3fffff, v1, v8
	v_lshrrev_b32_e32 v1, 23, v1
	s_delay_alu instid0(VALU_DEP_3) | instskip(NEXT) | instid1(VALU_DEP_3)
	v_cmp_ne_u32_e32 vcc_lo, 0, v3
	v_cmp_ne_u32_e64 s0, 0, v8
	s_and_b32 s0, vcc_lo, s0
	s_delay_alu instid0(SALU_CYCLE_1) | instskip(NEXT) | instid1(VALU_DEP_1)
	v_cndmask_b32_e64 v3, 0, 1, s0
	v_add_nc_u32_e32 v3, v1, v3
.LBB62_3665:
	s_or_b32 exec_lo, exec_lo, s7
	s_mov_b32 s0, 0
	s_mov_b32 s7, -1
	global_store_b8 v[4:5], v3, off
.LBB62_3666:
	s_mov_b32 s8, 0
.LBB62_3667:
	s_delay_alu instid0(SALU_CYCLE_1)
	s_and_b32 vcc_lo, exec_lo, s8
	s_cbranch_vccz .LBB62_3670
; %bb.3668:
	s_cmp_eq_u32 s2, 29
	s_mov_b32 s0, -1
	s_cbranch_scc0 .LBB62_3670
; %bb.3669:
	s_wait_xcnt 0x0
	v_ashrrev_i32_e32 v3, 31, v2
	s_mov_b32 s0, 0
	s_mov_b32 s7, -1
	global_store_b64 v[4:5], v[2:3], off
.LBB62_3670:
	s_mov_b32 s8, 0
.LBB62_3671:
	s_delay_alu instid0(SALU_CYCLE_1)
	s_and_b32 vcc_lo, exec_lo, s8
	s_cbranch_vccz .LBB62_3687
; %bb.3672:
	s_cmp_lt_i32 s2, 27
	s_mov_b32 s7, -1
	s_cbranch_scc1 .LBB62_3678
; %bb.3673:
	s_cmp_gt_i32 s2, 27
	s_cbranch_scc0 .LBB62_3675
; %bb.3674:
	s_mov_b32 s7, 0
	global_store_b32 v[4:5], v2, off
.LBB62_3675:
	s_and_not1_b32 vcc_lo, exec_lo, s7
	s_cbranch_vccnz .LBB62_3677
; %bb.3676:
	global_store_b16 v[4:5], v2, off
.LBB62_3677:
	s_mov_b32 s7, 0
.LBB62_3678:
	s_delay_alu instid0(SALU_CYCLE_1)
	s_and_not1_b32 vcc_lo, exec_lo, s7
	s_cbranch_vccnz .LBB62_3686
; %bb.3679:
	s_wait_xcnt 0x0
	v_cvt_f32_i32_e32 v1, v2
	v_mov_b32_e32 v8, 0x80
	s_mov_b32 s7, exec_lo
	s_delay_alu instid0(VALU_DEP_2) | instskip(NEXT) | instid1(VALU_DEP_1)
	v_and_b32_e32 v3, 0x7fffffff, v1
	v_cmpx_gt_u32_e32 0x43800000, v3
	s_cbranch_execz .LBB62_3685
; %bb.3680:
	v_cmp_lt_u32_e32 vcc_lo, 0x3bffffff, v3
	s_mov_b32 s8, 0
                                        ; implicit-def: $vgpr3
	s_and_saveexec_b32 s9, vcc_lo
	s_delay_alu instid0(SALU_CYCLE_1)
	s_xor_b32 s9, exec_lo, s9
	s_cbranch_execz .LBB62_4020
; %bb.3681:
	v_bfe_u32 v3, v1, 20, 1
	s_mov_b32 s8, exec_lo
	s_delay_alu instid0(VALU_DEP_1) | instskip(NEXT) | instid1(VALU_DEP_1)
	v_add3_u32 v3, v1, v3, 0x487ffff
	v_lshrrev_b32_e32 v3, 20, v3
	s_and_not1_saveexec_b32 s9, s9
	s_cbranch_execnz .LBB62_4021
.LBB62_3682:
	s_or_b32 exec_lo, exec_lo, s9
	v_mov_b32_e32 v8, 0
	s_and_saveexec_b32 s9, s8
.LBB62_3683:
	v_lshrrev_b32_e32 v1, 24, v1
	s_delay_alu instid0(VALU_DEP_1)
	v_and_or_b32 v8, 0x80, v1, v3
.LBB62_3684:
	s_or_b32 exec_lo, exec_lo, s9
.LBB62_3685:
	s_delay_alu instid0(SALU_CYCLE_1)
	s_or_b32 exec_lo, exec_lo, s7
	global_store_b8 v[4:5], v8, off
.LBB62_3686:
	s_mov_b32 s7, -1
.LBB62_3687:
	s_mov_b32 s8, 0
.LBB62_3688:
	s_delay_alu instid0(SALU_CYCLE_1)
	s_and_b32 vcc_lo, exec_lo, s8
	s_cbranch_vccz .LBB62_3728
; %bb.3689:
	s_cmp_gt_i32 s2, 22
	s_mov_b32 s6, -1
	s_cbranch_scc0 .LBB62_3721
; %bb.3690:
	s_cmp_lt_i32 s2, 24
	s_cbranch_scc1 .LBB62_3710
; %bb.3691:
	s_cmp_gt_i32 s2, 24
	s_cbranch_scc0 .LBB62_3699
; %bb.3692:
	s_wait_xcnt 0x0
	v_cvt_f32_i32_e32 v1, v2
	v_mov_b32_e32 v8, 0x80
	s_mov_b32 s6, exec_lo
	s_delay_alu instid0(VALU_DEP_2) | instskip(NEXT) | instid1(VALU_DEP_1)
	v_and_b32_e32 v3, 0x7fffffff, v1
	v_cmpx_gt_u32_e32 0x47800000, v3
	s_cbranch_execz .LBB62_3698
; %bb.3693:
	v_cmp_lt_u32_e32 vcc_lo, 0x37ffffff, v3
	s_mov_b32 s7, 0
                                        ; implicit-def: $vgpr3
	s_and_saveexec_b32 s8, vcc_lo
	s_delay_alu instid0(SALU_CYCLE_1)
	s_xor_b32 s8, exec_lo, s8
	s_cbranch_execz .LBB62_4023
; %bb.3694:
	v_bfe_u32 v3, v1, 21, 1
	s_mov_b32 s7, exec_lo
	s_delay_alu instid0(VALU_DEP_1) | instskip(NEXT) | instid1(VALU_DEP_1)
	v_add3_u32 v3, v1, v3, 0x88fffff
	v_lshrrev_b32_e32 v3, 21, v3
	s_and_not1_saveexec_b32 s8, s8
	s_cbranch_execnz .LBB62_4024
.LBB62_3695:
	s_or_b32 exec_lo, exec_lo, s8
	v_mov_b32_e32 v8, 0
	s_and_saveexec_b32 s8, s7
.LBB62_3696:
	v_lshrrev_b32_e32 v1, 24, v1
	s_delay_alu instid0(VALU_DEP_1)
	v_and_or_b32 v8, 0x80, v1, v3
.LBB62_3697:
	s_or_b32 exec_lo, exec_lo, s8
.LBB62_3698:
	s_delay_alu instid0(SALU_CYCLE_1)
	s_or_b32 exec_lo, exec_lo, s6
	s_mov_b32 s6, 0
	global_store_b8 v[4:5], v8, off
.LBB62_3699:
	s_and_b32 vcc_lo, exec_lo, s6
	s_cbranch_vccz .LBB62_3709
; %bb.3700:
	s_wait_xcnt 0x0
	v_cvt_f32_i32_e32 v1, v2
	s_mov_b32 s6, exec_lo
                                        ; implicit-def: $vgpr3
	s_delay_alu instid0(VALU_DEP_1) | instskip(NEXT) | instid1(VALU_DEP_1)
	v_and_b32_e32 v8, 0x7fffffff, v1
	v_cmpx_gt_u32_e32 0x43f00000, v8
	s_xor_b32 s6, exec_lo, s6
	s_cbranch_execz .LBB62_3706
; %bb.3701:
	s_mov_b32 s7, exec_lo
                                        ; implicit-def: $vgpr3
	v_cmpx_lt_u32_e32 0x3c7fffff, v8
	s_xor_b32 s7, exec_lo, s7
; %bb.3702:
	v_bfe_u32 v3, v1, 20, 1
	s_delay_alu instid0(VALU_DEP_1) | instskip(NEXT) | instid1(VALU_DEP_1)
	v_add3_u32 v3, v1, v3, 0x407ffff
	v_and_b32_e32 v8, 0xff00000, v3
	v_lshrrev_b32_e32 v3, 20, v3
	s_delay_alu instid0(VALU_DEP_2) | instskip(NEXT) | instid1(VALU_DEP_2)
	v_cmp_ne_u32_e32 vcc_lo, 0x7f00000, v8
	v_cndmask_b32_e32 v3, 0x7e, v3, vcc_lo
; %bb.3703:
	s_and_not1_saveexec_b32 s7, s7
; %bb.3704:
	v_add_f32_e64 v3, 0x46800000, |v1|
; %bb.3705:
	s_or_b32 exec_lo, exec_lo, s7
                                        ; implicit-def: $vgpr8
.LBB62_3706:
	s_and_not1_saveexec_b32 s6, s6
; %bb.3707:
	v_mov_b32_e32 v3, 0x7f
	v_cmp_lt_u32_e32 vcc_lo, 0x7f800000, v8
	s_delay_alu instid0(VALU_DEP_2)
	v_cndmask_b32_e32 v3, 0x7e, v3, vcc_lo
; %bb.3708:
	s_or_b32 exec_lo, exec_lo, s6
	v_lshrrev_b32_e32 v1, 24, v1
	s_delay_alu instid0(VALU_DEP_1)
	v_and_or_b32 v1, 0x80, v1, v3
	global_store_b8 v[4:5], v1, off
.LBB62_3709:
	s_mov_b32 s6, 0
.LBB62_3710:
	s_delay_alu instid0(SALU_CYCLE_1)
	s_and_not1_b32 vcc_lo, exec_lo, s6
	s_cbranch_vccnz .LBB62_3720
; %bb.3711:
	s_wait_xcnt 0x0
	v_cvt_f32_i32_e32 v1, v2
	s_mov_b32 s6, exec_lo
                                        ; implicit-def: $vgpr3
	s_delay_alu instid0(VALU_DEP_1) | instskip(NEXT) | instid1(VALU_DEP_1)
	v_and_b32_e32 v8, 0x7fffffff, v1
	v_cmpx_gt_u32_e32 0x47800000, v8
	s_xor_b32 s6, exec_lo, s6
	s_cbranch_execz .LBB62_3717
; %bb.3712:
	s_mov_b32 s7, exec_lo
                                        ; implicit-def: $vgpr3
	v_cmpx_lt_u32_e32 0x387fffff, v8
	s_xor_b32 s7, exec_lo, s7
; %bb.3713:
	v_bfe_u32 v3, v1, 21, 1
	s_delay_alu instid0(VALU_DEP_1) | instskip(NEXT) | instid1(VALU_DEP_1)
	v_add3_u32 v3, v1, v3, 0x80fffff
	v_lshrrev_b32_e32 v3, 21, v3
; %bb.3714:
	s_and_not1_saveexec_b32 s7, s7
; %bb.3715:
	v_add_f32_e64 v3, 0x43000000, |v1|
; %bb.3716:
	s_or_b32 exec_lo, exec_lo, s7
                                        ; implicit-def: $vgpr8
.LBB62_3717:
	s_and_not1_saveexec_b32 s6, s6
; %bb.3718:
	v_mov_b32_e32 v3, 0x7f
	v_cmp_lt_u32_e32 vcc_lo, 0x7f800000, v8
	s_delay_alu instid0(VALU_DEP_2)
	v_cndmask_b32_e32 v3, 0x7c, v3, vcc_lo
; %bb.3719:
	s_or_b32 exec_lo, exec_lo, s6
	v_lshrrev_b32_e32 v1, 24, v1
	s_delay_alu instid0(VALU_DEP_1)
	v_and_or_b32 v1, 0x80, v1, v3
	global_store_b8 v[4:5], v1, off
.LBB62_3720:
	s_mov_b32 s6, 0
	s_mov_b32 s7, -1
.LBB62_3721:
	s_and_not1_b32 vcc_lo, exec_lo, s6
	s_mov_b32 s6, 0
	s_cbranch_vccnz .LBB62_3728
; %bb.3722:
	s_cmp_gt_i32 s2, 14
	s_mov_b32 s6, -1
	s_cbranch_scc0 .LBB62_3726
; %bb.3723:
	s_cmp_eq_u32 s2, 15
	s_mov_b32 s0, -1
	s_cbranch_scc0 .LBB62_3725
; %bb.3724:
	s_wait_xcnt 0x0
	v_cvt_f32_i32_e32 v1, v2
	s_mov_b32 s0, 0
	s_mov_b32 s7, -1
	s_delay_alu instid0(VALU_DEP_1) | instskip(NEXT) | instid1(VALU_DEP_1)
	v_bfe_u32 v3, v1, 16, 1
	v_add3_u32 v1, v1, v3, 0x7fff
	global_store_d16_hi_b16 v[4:5], v1, off
.LBB62_3725:
	s_mov_b32 s6, 0
.LBB62_3726:
	s_delay_alu instid0(SALU_CYCLE_1)
	s_and_b32 vcc_lo, exec_lo, s6
	s_mov_b32 s6, 0
	s_cbranch_vccz .LBB62_3728
; %bb.3727:
	s_cmp_lg_u32 s2, 11
	s_mov_b32 s6, -1
	s_cselect_b32 s0, -1, 0
.LBB62_3728:
	s_delay_alu instid0(SALU_CYCLE_1)
	s_and_b32 vcc_lo, exec_lo, s0
	s_cbranch_vccnz .LBB62_4022
; %bb.3729:
	s_and_not1_b32 vcc_lo, exec_lo, s6
	s_cbranch_vccnz .LBB62_3731
.LBB62_3730:
	v_cmp_ne_u32_e32 vcc_lo, 0, v2
	s_mov_b32 s7, -1
	s_wait_xcnt 0x0
	v_cndmask_b32_e64 v1, 0, 1, vcc_lo
	global_store_b8 v[4:5], v1, off
.LBB62_3731:
	s_mov_b32 s0, 0
	s_branch .LBB62_3733
.LBB62_3732:
	s_mov_b32 s0, -1
	s_mov_b32 s7, 0
.LBB62_3733:
	s_and_b32 vcc_lo, exec_lo, s0
	s_cbranch_vccz .LBB62_3772
; %bb.3734:
	s_and_b32 s0, 0xffff, s22
	s_mov_b32 s2, -1
	s_cmp_lt_i32 s0, 5
	s_cbranch_scc1 .LBB62_3755
; %bb.3735:
	s_cmp_lt_i32 s0, 8
	s_cbranch_scc1 .LBB62_3745
; %bb.3736:
	;; [unrolled: 3-line block ×3, first 2 shown]
	s_cmp_gt_i32 s0, 9
	s_cbranch_scc0 .LBB62_3739
; %bb.3738:
	s_wait_xcnt 0x0
	v_cvt_f64_i32_e32 v[8:9], v2
	v_mov_b32_e32 v10, 0
	s_mov_b32 s2, 0
	s_delay_alu instid0(VALU_DEP_1)
	v_mov_b32_e32 v11, v10
	global_store_b128 v[4:5], v[8:11], off
.LBB62_3739:
	s_and_not1_b32 vcc_lo, exec_lo, s2
	s_cbranch_vccnz .LBB62_3741
; %bb.3740:
	s_wait_xcnt 0x0
	v_cvt_f32_i32_e32 v8, v2
	v_mov_b32_e32 v9, 0
	global_store_b64 v[4:5], v[8:9], off
.LBB62_3741:
	s_mov_b32 s2, 0
.LBB62_3742:
	s_delay_alu instid0(SALU_CYCLE_1)
	s_and_not1_b32 vcc_lo, exec_lo, s2
	s_cbranch_vccnz .LBB62_3744
; %bb.3743:
	s_wait_xcnt 0x0
	v_cvt_f32_i32_e32 v1, v2
	s_delay_alu instid0(VALU_DEP_1) | instskip(NEXT) | instid1(VALU_DEP_1)
	v_cvt_f16_f32_e32 v1, v1
	v_and_b32_e32 v1, 0xffff, v1
	global_store_b32 v[4:5], v1, off
.LBB62_3744:
	s_mov_b32 s2, 0
.LBB62_3745:
	s_delay_alu instid0(SALU_CYCLE_1)
	s_and_not1_b32 vcc_lo, exec_lo, s2
	s_cbranch_vccnz .LBB62_3754
; %bb.3746:
	s_cmp_lt_i32 s0, 6
	s_mov_b32 s2, -1
	s_cbranch_scc1 .LBB62_3752
; %bb.3747:
	s_cmp_gt_i32 s0, 6
	s_cbranch_scc0 .LBB62_3749
; %bb.3748:
	s_wait_xcnt 0x0
	v_cvt_f64_i32_e32 v[8:9], v2
	s_mov_b32 s2, 0
	global_store_b64 v[4:5], v[8:9], off
.LBB62_3749:
	s_and_not1_b32 vcc_lo, exec_lo, s2
	s_cbranch_vccnz .LBB62_3751
; %bb.3750:
	s_wait_xcnt 0x0
	v_cvt_f32_i32_e32 v1, v2
	global_store_b32 v[4:5], v1, off
.LBB62_3751:
	s_mov_b32 s2, 0
.LBB62_3752:
	s_delay_alu instid0(SALU_CYCLE_1)
	s_and_not1_b32 vcc_lo, exec_lo, s2
	s_cbranch_vccnz .LBB62_3754
; %bb.3753:
	s_wait_xcnt 0x0
	v_cvt_f32_i32_e32 v1, v2
	s_delay_alu instid0(VALU_DEP_1)
	v_cvt_f16_f32_e32 v1, v1
	global_store_b16 v[4:5], v1, off
.LBB62_3754:
	s_mov_b32 s2, 0
.LBB62_3755:
	s_delay_alu instid0(SALU_CYCLE_1)
	s_and_not1_b32 vcc_lo, exec_lo, s2
	s_cbranch_vccnz .LBB62_3771
; %bb.3756:
	s_cmp_lt_i32 s0, 2
	s_mov_b32 s2, -1
	s_cbranch_scc1 .LBB62_3766
; %bb.3757:
	s_cmp_lt_i32 s0, 3
	s_cbranch_scc1 .LBB62_3763
; %bb.3758:
	s_cmp_gt_i32 s0, 3
	s_cbranch_scc0 .LBB62_3760
; %bb.3759:
	s_wait_xcnt 0x0
	v_ashrrev_i32_e32 v3, 31, v2
	s_mov_b32 s2, 0
	global_store_b64 v[4:5], v[2:3], off
.LBB62_3760:
	s_and_not1_b32 vcc_lo, exec_lo, s2
	s_cbranch_vccnz .LBB62_3762
; %bb.3761:
	global_store_b32 v[4:5], v2, off
.LBB62_3762:
	s_mov_b32 s2, 0
.LBB62_3763:
	s_delay_alu instid0(SALU_CYCLE_1)
	s_and_not1_b32 vcc_lo, exec_lo, s2
	s_cbranch_vccnz .LBB62_3765
; %bb.3764:
	global_store_b16 v[4:5], v2, off
.LBB62_3765:
	s_mov_b32 s2, 0
.LBB62_3766:
	s_delay_alu instid0(SALU_CYCLE_1)
	s_and_not1_b32 vcc_lo, exec_lo, s2
	s_cbranch_vccnz .LBB62_3771
; %bb.3767:
	s_cmp_gt_i32 s0, 0
	s_mov_b32 s0, -1
	s_cbranch_scc0 .LBB62_3769
; %bb.3768:
	s_mov_b32 s0, 0
	global_store_b8 v[4:5], v2, off
.LBB62_3769:
	s_and_not1_b32 vcc_lo, exec_lo, s0
	s_cbranch_vccnz .LBB62_3771
; %bb.3770:
	global_store_b8 v[4:5], v2, off
.LBB62_3771:
	s_mov_b32 s7, -1
.LBB62_3772:
	s_delay_alu instid0(SALU_CYCLE_1)
	s_and_not1_b32 vcc_lo, exec_lo, s7
	s_cbranch_vccnz .LBB62_3968
; %bb.3773:
	s_wait_xcnt 0x0
	v_mul_lo_u32 v2, v14, s16
	v_mul_lo_u32 v3, v16, s17
	v_add_nc_u32_e32 v0, s1, v0
	s_cmp_lt_i32 s22, 11
	s_delay_alu instid0(VALU_DEP_1) | instskip(NEXT) | instid1(VALU_DEP_1)
	v_ashrrev_i32_e32 v1, 31, v0
	v_add_nc_u64_e32 v[4:5], s[4:5], v[0:1]
	s_delay_alu instid0(VALU_DEP_4)
	v_mad_u32 v2, v3, v17, v2
	s_cbranch_scc1 .LBB62_3851
; %bb.3774:
	s_and_b32 s2, 0xffff, s22
	s_mov_b32 s8, -1
	s_mov_b32 s6, 0
	s_cmp_gt_i32 s2, 25
	s_mov_b32 s7, 0
	s_mov_b32 s0, 0
	s_cbranch_scc0 .LBB62_3807
; %bb.3775:
	s_cmp_gt_i32 s2, 28
	s_cbranch_scc0 .LBB62_3790
; %bb.3776:
	s_cmp_gt_i32 s2, 43
	;; [unrolled: 3-line block ×3, first 2 shown]
	s_cbranch_scc0 .LBB62_3780
; %bb.3778:
	s_mov_b32 s0, -1
	s_mov_b32 s8, 0
	s_cmp_eq_u32 s2, 46
	s_cbranch_scc0 .LBB62_3780
; %bb.3779:
	v_cvt_f32_i32_e32 v1, v2
	s_mov_b32 s0, 0
	s_mov_b32 s7, -1
	s_delay_alu instid0(VALU_DEP_1) | instskip(NEXT) | instid1(VALU_DEP_1)
	v_bfe_u32 v3, v1, 16, 1
	v_add3_u32 v1, v1, v3, 0x7fff
	s_delay_alu instid0(VALU_DEP_1)
	v_lshrrev_b32_e32 v1, 16, v1
	global_store_b32 v[4:5], v1, off
.LBB62_3780:
	s_and_b32 vcc_lo, exec_lo, s8
	s_cbranch_vccz .LBB62_3785
; %bb.3781:
	s_cmp_eq_u32 s2, 44
	s_mov_b32 s0, -1
	s_cbranch_scc0 .LBB62_3785
; %bb.3782:
	s_wait_xcnt 0x0
	v_cvt_f32_i32_e32 v1, v2
	v_mov_b32_e32 v3, 0xff
	s_mov_b32 s7, exec_lo
	s_delay_alu instid0(VALU_DEP_2) | instskip(NEXT) | instid1(VALU_DEP_1)
	v_bfe_u32 v8, v1, 23, 8
	v_cmpx_ne_u32_e32 0xff, v8
	s_cbranch_execz .LBB62_3784
; %bb.3783:
	v_and_b32_e32 v3, 0x400000, v1
	v_and_or_b32 v8, 0x3fffff, v1, v8
	v_lshrrev_b32_e32 v1, 23, v1
	s_delay_alu instid0(VALU_DEP_3) | instskip(NEXT) | instid1(VALU_DEP_3)
	v_cmp_ne_u32_e32 vcc_lo, 0, v3
	v_cmp_ne_u32_e64 s0, 0, v8
	s_and_b32 s0, vcc_lo, s0
	s_delay_alu instid0(SALU_CYCLE_1) | instskip(NEXT) | instid1(VALU_DEP_1)
	v_cndmask_b32_e64 v3, 0, 1, s0
	v_add_nc_u32_e32 v3, v1, v3
.LBB62_3784:
	s_or_b32 exec_lo, exec_lo, s7
	s_mov_b32 s0, 0
	s_mov_b32 s7, -1
	global_store_b8 v[4:5], v3, off
.LBB62_3785:
	s_mov_b32 s8, 0
.LBB62_3786:
	s_delay_alu instid0(SALU_CYCLE_1)
	s_and_b32 vcc_lo, exec_lo, s8
	s_cbranch_vccz .LBB62_3789
; %bb.3787:
	s_cmp_eq_u32 s2, 29
	s_mov_b32 s0, -1
	s_cbranch_scc0 .LBB62_3789
; %bb.3788:
	s_wait_xcnt 0x0
	v_ashrrev_i32_e32 v3, 31, v2
	s_mov_b32 s0, 0
	s_mov_b32 s7, -1
	global_store_b64 v[4:5], v[2:3], off
.LBB62_3789:
	s_mov_b32 s8, 0
.LBB62_3790:
	s_delay_alu instid0(SALU_CYCLE_1)
	s_and_b32 vcc_lo, exec_lo, s8
	s_cbranch_vccz .LBB62_3806
; %bb.3791:
	s_cmp_lt_i32 s2, 27
	s_mov_b32 s7, -1
	s_cbranch_scc1 .LBB62_3797
; %bb.3792:
	s_cmp_gt_i32 s2, 27
	s_cbranch_scc0 .LBB62_3794
; %bb.3793:
	s_mov_b32 s7, 0
	global_store_b32 v[4:5], v2, off
.LBB62_3794:
	s_and_not1_b32 vcc_lo, exec_lo, s7
	s_cbranch_vccnz .LBB62_3796
; %bb.3795:
	global_store_b16 v[4:5], v2, off
.LBB62_3796:
	s_mov_b32 s7, 0
.LBB62_3797:
	s_delay_alu instid0(SALU_CYCLE_1)
	s_and_not1_b32 vcc_lo, exec_lo, s7
	s_cbranch_vccnz .LBB62_3805
; %bb.3798:
	s_wait_xcnt 0x0
	v_cvt_f32_i32_e32 v1, v2
	v_mov_b32_e32 v8, 0x80
	s_mov_b32 s7, exec_lo
	s_delay_alu instid0(VALU_DEP_2) | instskip(NEXT) | instid1(VALU_DEP_1)
	v_and_b32_e32 v3, 0x7fffffff, v1
	v_cmpx_gt_u32_e32 0x43800000, v3
	s_cbranch_execz .LBB62_3804
; %bb.3799:
	v_cmp_lt_u32_e32 vcc_lo, 0x3bffffff, v3
	s_mov_b32 s8, 0
                                        ; implicit-def: $vgpr3
	s_and_saveexec_b32 s9, vcc_lo
	s_delay_alu instid0(SALU_CYCLE_1)
	s_xor_b32 s9, exec_lo, s9
	s_cbranch_execz .LBB62_4025
; %bb.3800:
	v_bfe_u32 v3, v1, 20, 1
	s_mov_b32 s8, exec_lo
	s_delay_alu instid0(VALU_DEP_1) | instskip(NEXT) | instid1(VALU_DEP_1)
	v_add3_u32 v3, v1, v3, 0x487ffff
	v_lshrrev_b32_e32 v3, 20, v3
	s_and_not1_saveexec_b32 s9, s9
	s_cbranch_execnz .LBB62_4026
.LBB62_3801:
	s_or_b32 exec_lo, exec_lo, s9
	v_mov_b32_e32 v8, 0
	s_and_saveexec_b32 s9, s8
.LBB62_3802:
	v_lshrrev_b32_e32 v1, 24, v1
	s_delay_alu instid0(VALU_DEP_1)
	v_and_or_b32 v8, 0x80, v1, v3
.LBB62_3803:
	s_or_b32 exec_lo, exec_lo, s9
.LBB62_3804:
	s_delay_alu instid0(SALU_CYCLE_1)
	s_or_b32 exec_lo, exec_lo, s7
	global_store_b8 v[4:5], v8, off
.LBB62_3805:
	s_mov_b32 s7, -1
.LBB62_3806:
	s_mov_b32 s8, 0
.LBB62_3807:
	s_delay_alu instid0(SALU_CYCLE_1)
	s_and_b32 vcc_lo, exec_lo, s8
	s_cbranch_vccz .LBB62_3847
; %bb.3808:
	s_cmp_gt_i32 s2, 22
	s_mov_b32 s6, -1
	s_cbranch_scc0 .LBB62_3840
; %bb.3809:
	s_cmp_lt_i32 s2, 24
	s_cbranch_scc1 .LBB62_3829
; %bb.3810:
	s_cmp_gt_i32 s2, 24
	s_cbranch_scc0 .LBB62_3818
; %bb.3811:
	s_wait_xcnt 0x0
	v_cvt_f32_i32_e32 v1, v2
	v_mov_b32_e32 v8, 0x80
	s_mov_b32 s6, exec_lo
	s_delay_alu instid0(VALU_DEP_2) | instskip(NEXT) | instid1(VALU_DEP_1)
	v_and_b32_e32 v3, 0x7fffffff, v1
	v_cmpx_gt_u32_e32 0x47800000, v3
	s_cbranch_execz .LBB62_3817
; %bb.3812:
	v_cmp_lt_u32_e32 vcc_lo, 0x37ffffff, v3
	s_mov_b32 s7, 0
                                        ; implicit-def: $vgpr3
	s_and_saveexec_b32 s8, vcc_lo
	s_delay_alu instid0(SALU_CYCLE_1)
	s_xor_b32 s8, exec_lo, s8
	s_cbranch_execz .LBB62_4028
; %bb.3813:
	v_bfe_u32 v3, v1, 21, 1
	s_mov_b32 s7, exec_lo
	s_delay_alu instid0(VALU_DEP_1) | instskip(NEXT) | instid1(VALU_DEP_1)
	v_add3_u32 v3, v1, v3, 0x88fffff
	v_lshrrev_b32_e32 v3, 21, v3
	s_and_not1_saveexec_b32 s8, s8
	s_cbranch_execnz .LBB62_4029
.LBB62_3814:
	s_or_b32 exec_lo, exec_lo, s8
	v_mov_b32_e32 v8, 0
	s_and_saveexec_b32 s8, s7
.LBB62_3815:
	v_lshrrev_b32_e32 v1, 24, v1
	s_delay_alu instid0(VALU_DEP_1)
	v_and_or_b32 v8, 0x80, v1, v3
.LBB62_3816:
	s_or_b32 exec_lo, exec_lo, s8
.LBB62_3817:
	s_delay_alu instid0(SALU_CYCLE_1)
	s_or_b32 exec_lo, exec_lo, s6
	s_mov_b32 s6, 0
	global_store_b8 v[4:5], v8, off
.LBB62_3818:
	s_and_b32 vcc_lo, exec_lo, s6
	s_cbranch_vccz .LBB62_3828
; %bb.3819:
	s_wait_xcnt 0x0
	v_cvt_f32_i32_e32 v1, v2
	s_mov_b32 s6, exec_lo
                                        ; implicit-def: $vgpr3
	s_delay_alu instid0(VALU_DEP_1) | instskip(NEXT) | instid1(VALU_DEP_1)
	v_and_b32_e32 v8, 0x7fffffff, v1
	v_cmpx_gt_u32_e32 0x43f00000, v8
	s_xor_b32 s6, exec_lo, s6
	s_cbranch_execz .LBB62_3825
; %bb.3820:
	s_mov_b32 s7, exec_lo
                                        ; implicit-def: $vgpr3
	v_cmpx_lt_u32_e32 0x3c7fffff, v8
	s_xor_b32 s7, exec_lo, s7
; %bb.3821:
	v_bfe_u32 v3, v1, 20, 1
	s_delay_alu instid0(VALU_DEP_1) | instskip(NEXT) | instid1(VALU_DEP_1)
	v_add3_u32 v3, v1, v3, 0x407ffff
	v_and_b32_e32 v8, 0xff00000, v3
	v_lshrrev_b32_e32 v3, 20, v3
	s_delay_alu instid0(VALU_DEP_2) | instskip(NEXT) | instid1(VALU_DEP_2)
	v_cmp_ne_u32_e32 vcc_lo, 0x7f00000, v8
	v_cndmask_b32_e32 v3, 0x7e, v3, vcc_lo
; %bb.3822:
	s_and_not1_saveexec_b32 s7, s7
; %bb.3823:
	v_add_f32_e64 v3, 0x46800000, |v1|
; %bb.3824:
	s_or_b32 exec_lo, exec_lo, s7
                                        ; implicit-def: $vgpr8
.LBB62_3825:
	s_and_not1_saveexec_b32 s6, s6
; %bb.3826:
	v_mov_b32_e32 v3, 0x7f
	v_cmp_lt_u32_e32 vcc_lo, 0x7f800000, v8
	s_delay_alu instid0(VALU_DEP_2)
	v_cndmask_b32_e32 v3, 0x7e, v3, vcc_lo
; %bb.3827:
	s_or_b32 exec_lo, exec_lo, s6
	v_lshrrev_b32_e32 v1, 24, v1
	s_delay_alu instid0(VALU_DEP_1)
	v_and_or_b32 v1, 0x80, v1, v3
	global_store_b8 v[4:5], v1, off
.LBB62_3828:
	s_mov_b32 s6, 0
.LBB62_3829:
	s_delay_alu instid0(SALU_CYCLE_1)
	s_and_not1_b32 vcc_lo, exec_lo, s6
	s_cbranch_vccnz .LBB62_3839
; %bb.3830:
	s_wait_xcnt 0x0
	v_cvt_f32_i32_e32 v1, v2
	s_mov_b32 s6, exec_lo
                                        ; implicit-def: $vgpr3
	s_delay_alu instid0(VALU_DEP_1) | instskip(NEXT) | instid1(VALU_DEP_1)
	v_and_b32_e32 v8, 0x7fffffff, v1
	v_cmpx_gt_u32_e32 0x47800000, v8
	s_xor_b32 s6, exec_lo, s6
	s_cbranch_execz .LBB62_3836
; %bb.3831:
	s_mov_b32 s7, exec_lo
                                        ; implicit-def: $vgpr3
	v_cmpx_lt_u32_e32 0x387fffff, v8
	s_xor_b32 s7, exec_lo, s7
; %bb.3832:
	v_bfe_u32 v3, v1, 21, 1
	s_delay_alu instid0(VALU_DEP_1) | instskip(NEXT) | instid1(VALU_DEP_1)
	v_add3_u32 v3, v1, v3, 0x80fffff
	v_lshrrev_b32_e32 v3, 21, v3
; %bb.3833:
	s_and_not1_saveexec_b32 s7, s7
; %bb.3834:
	v_add_f32_e64 v3, 0x43000000, |v1|
; %bb.3835:
	s_or_b32 exec_lo, exec_lo, s7
                                        ; implicit-def: $vgpr8
.LBB62_3836:
	s_and_not1_saveexec_b32 s6, s6
; %bb.3837:
	v_mov_b32_e32 v3, 0x7f
	v_cmp_lt_u32_e32 vcc_lo, 0x7f800000, v8
	s_delay_alu instid0(VALU_DEP_2)
	v_cndmask_b32_e32 v3, 0x7c, v3, vcc_lo
; %bb.3838:
	s_or_b32 exec_lo, exec_lo, s6
	v_lshrrev_b32_e32 v1, 24, v1
	s_delay_alu instid0(VALU_DEP_1)
	v_and_or_b32 v1, 0x80, v1, v3
	global_store_b8 v[4:5], v1, off
.LBB62_3839:
	s_mov_b32 s6, 0
	s_mov_b32 s7, -1
.LBB62_3840:
	s_and_not1_b32 vcc_lo, exec_lo, s6
	s_mov_b32 s6, 0
	s_cbranch_vccnz .LBB62_3847
; %bb.3841:
	s_cmp_gt_i32 s2, 14
	s_mov_b32 s6, -1
	s_cbranch_scc0 .LBB62_3845
; %bb.3842:
	s_cmp_eq_u32 s2, 15
	s_mov_b32 s0, -1
	s_cbranch_scc0 .LBB62_3844
; %bb.3843:
	s_wait_xcnt 0x0
	v_cvt_f32_i32_e32 v1, v2
	s_mov_b32 s0, 0
	s_mov_b32 s7, -1
	s_delay_alu instid0(VALU_DEP_1) | instskip(NEXT) | instid1(VALU_DEP_1)
	v_bfe_u32 v3, v1, 16, 1
	v_add3_u32 v1, v1, v3, 0x7fff
	global_store_d16_hi_b16 v[4:5], v1, off
.LBB62_3844:
	s_mov_b32 s6, 0
.LBB62_3845:
	s_delay_alu instid0(SALU_CYCLE_1)
	s_and_b32 vcc_lo, exec_lo, s6
	s_mov_b32 s6, 0
	s_cbranch_vccz .LBB62_3847
; %bb.3846:
	s_cmp_lg_u32 s2, 11
	s_mov_b32 s6, -1
	s_cselect_b32 s0, -1, 0
.LBB62_3847:
	s_delay_alu instid0(SALU_CYCLE_1)
	s_and_b32 vcc_lo, exec_lo, s0
	s_cbranch_vccnz .LBB62_4027
; %bb.3848:
	s_and_not1_b32 vcc_lo, exec_lo, s6
	s_cbranch_vccnz .LBB62_3850
.LBB62_3849:
	v_cmp_ne_u32_e32 vcc_lo, 0, v2
	s_mov_b32 s7, -1
	s_wait_xcnt 0x0
	v_cndmask_b32_e64 v1, 0, 1, vcc_lo
	global_store_b8 v[4:5], v1, off
.LBB62_3850:
	s_mov_b32 s0, 0
	s_branch .LBB62_3852
.LBB62_3851:
	s_mov_b32 s0, -1
	s_mov_b32 s7, 0
.LBB62_3852:
	s_and_b32 vcc_lo, exec_lo, s0
	s_cbranch_vccz .LBB62_3891
; %bb.3853:
	s_and_b32 s0, 0xffff, s22
	s_mov_b32 s2, -1
	s_cmp_lt_i32 s0, 5
	s_cbranch_scc1 .LBB62_3874
; %bb.3854:
	s_cmp_lt_i32 s0, 8
	s_cbranch_scc1 .LBB62_3864
; %bb.3855:
	;; [unrolled: 3-line block ×3, first 2 shown]
	s_cmp_gt_i32 s0, 9
	s_cbranch_scc0 .LBB62_3858
; %bb.3857:
	s_wait_xcnt 0x0
	v_cvt_f64_i32_e32 v[8:9], v2
	v_mov_b32_e32 v10, 0
	s_mov_b32 s2, 0
	s_delay_alu instid0(VALU_DEP_1)
	v_mov_b32_e32 v11, v10
	global_store_b128 v[4:5], v[8:11], off
.LBB62_3858:
	s_and_not1_b32 vcc_lo, exec_lo, s2
	s_cbranch_vccnz .LBB62_3860
; %bb.3859:
	s_wait_xcnt 0x0
	v_cvt_f32_i32_e32 v8, v2
	v_mov_b32_e32 v9, 0
	global_store_b64 v[4:5], v[8:9], off
.LBB62_3860:
	s_mov_b32 s2, 0
.LBB62_3861:
	s_delay_alu instid0(SALU_CYCLE_1)
	s_and_not1_b32 vcc_lo, exec_lo, s2
	s_cbranch_vccnz .LBB62_3863
; %bb.3862:
	s_wait_xcnt 0x0
	v_cvt_f32_i32_e32 v1, v2
	s_delay_alu instid0(VALU_DEP_1) | instskip(NEXT) | instid1(VALU_DEP_1)
	v_cvt_f16_f32_e32 v1, v1
	v_and_b32_e32 v1, 0xffff, v1
	global_store_b32 v[4:5], v1, off
.LBB62_3863:
	s_mov_b32 s2, 0
.LBB62_3864:
	s_delay_alu instid0(SALU_CYCLE_1)
	s_and_not1_b32 vcc_lo, exec_lo, s2
	s_cbranch_vccnz .LBB62_3873
; %bb.3865:
	s_cmp_lt_i32 s0, 6
	s_mov_b32 s2, -1
	s_cbranch_scc1 .LBB62_3871
; %bb.3866:
	s_cmp_gt_i32 s0, 6
	s_cbranch_scc0 .LBB62_3868
; %bb.3867:
	s_wait_xcnt 0x0
	v_cvt_f64_i32_e32 v[8:9], v2
	s_mov_b32 s2, 0
	global_store_b64 v[4:5], v[8:9], off
.LBB62_3868:
	s_and_not1_b32 vcc_lo, exec_lo, s2
	s_cbranch_vccnz .LBB62_3870
; %bb.3869:
	s_wait_xcnt 0x0
	v_cvt_f32_i32_e32 v1, v2
	global_store_b32 v[4:5], v1, off
.LBB62_3870:
	s_mov_b32 s2, 0
.LBB62_3871:
	s_delay_alu instid0(SALU_CYCLE_1)
	s_and_not1_b32 vcc_lo, exec_lo, s2
	s_cbranch_vccnz .LBB62_3873
; %bb.3872:
	s_wait_xcnt 0x0
	v_cvt_f32_i32_e32 v1, v2
	s_delay_alu instid0(VALU_DEP_1)
	v_cvt_f16_f32_e32 v1, v1
	global_store_b16 v[4:5], v1, off
.LBB62_3873:
	s_mov_b32 s2, 0
.LBB62_3874:
	s_delay_alu instid0(SALU_CYCLE_1)
	s_and_not1_b32 vcc_lo, exec_lo, s2
	s_cbranch_vccnz .LBB62_3890
; %bb.3875:
	s_cmp_lt_i32 s0, 2
	s_mov_b32 s2, -1
	s_cbranch_scc1 .LBB62_3885
; %bb.3876:
	s_cmp_lt_i32 s0, 3
	s_cbranch_scc1 .LBB62_3882
; %bb.3877:
	s_cmp_gt_i32 s0, 3
	s_cbranch_scc0 .LBB62_3879
; %bb.3878:
	s_wait_xcnt 0x0
	v_ashrrev_i32_e32 v3, 31, v2
	s_mov_b32 s2, 0
	global_store_b64 v[4:5], v[2:3], off
.LBB62_3879:
	s_and_not1_b32 vcc_lo, exec_lo, s2
	s_cbranch_vccnz .LBB62_3881
; %bb.3880:
	global_store_b32 v[4:5], v2, off
.LBB62_3881:
	s_mov_b32 s2, 0
.LBB62_3882:
	s_delay_alu instid0(SALU_CYCLE_1)
	s_and_not1_b32 vcc_lo, exec_lo, s2
	s_cbranch_vccnz .LBB62_3884
; %bb.3883:
	global_store_b16 v[4:5], v2, off
.LBB62_3884:
	s_mov_b32 s2, 0
.LBB62_3885:
	s_delay_alu instid0(SALU_CYCLE_1)
	s_and_not1_b32 vcc_lo, exec_lo, s2
	s_cbranch_vccnz .LBB62_3890
; %bb.3886:
	s_cmp_gt_i32 s0, 0
	s_mov_b32 s0, -1
	s_cbranch_scc0 .LBB62_3888
; %bb.3887:
	s_mov_b32 s0, 0
	global_store_b8 v[4:5], v2, off
.LBB62_3888:
	s_and_not1_b32 vcc_lo, exec_lo, s0
	s_cbranch_vccnz .LBB62_3890
; %bb.3889:
	global_store_b8 v[4:5], v2, off
.LBB62_3890:
	s_mov_b32 s7, -1
.LBB62_3891:
	s_delay_alu instid0(SALU_CYCLE_1)
	s_and_not1_b32 vcc_lo, exec_lo, s7
	s_cbranch_vccnz .LBB62_3968
; %bb.3892:
	s_wait_xcnt 0x0
	v_mul_lo_u32 v2, v6, s16
	v_mul_lo_u32 v3, v7, s17
	v_add_nc_u32_e32 v0, s1, v0
	s_cmp_lt_i32 s22, 11
	s_delay_alu instid0(VALU_DEP_1) | instskip(NEXT) | instid1(VALU_DEP_1)
	v_ashrrev_i32_e32 v1, 31, v0
	v_add_nc_u64_e32 v[0:1], s[4:5], v[0:1]
	s_delay_alu instid0(VALU_DEP_4)
	v_mad_u32 v2, v3, v18, v2
	s_cbranch_scc1 .LBB62_4013
; %bb.3893:
	s_and_b32 s2, 0xffff, s22
	s_mov_b32 s4, -1
	s_mov_b32 s1, 0
	s_cmp_gt_i32 s2, 25
	s_mov_b32 s0, 0
	s_cbranch_scc0 .LBB62_3926
; %bb.3894:
	s_cmp_gt_i32 s2, 28
	s_cbranch_scc0 .LBB62_3910
; %bb.3895:
	s_cmp_gt_i32 s2, 43
	;; [unrolled: 3-line block ×3, first 2 shown]
	s_cbranch_scc0 .LBB62_3900
; %bb.3897:
	s_cmp_eq_u32 s2, 46
	s_mov_b32 s0, -1
	s_cbranch_scc0 .LBB62_3899
; %bb.3898:
	v_cvt_f32_i32_e32 v3, v2
	s_mov_b32 s0, 0
	s_delay_alu instid0(VALU_DEP_1) | instskip(NEXT) | instid1(VALU_DEP_1)
	v_bfe_u32 v4, v3, 16, 1
	v_add3_u32 v3, v3, v4, 0x7fff
	s_delay_alu instid0(VALU_DEP_1)
	v_lshrrev_b32_e32 v3, 16, v3
	global_store_b32 v[0:1], v3, off
.LBB62_3899:
	s_mov_b32 s4, 0
.LBB62_3900:
	s_delay_alu instid0(SALU_CYCLE_1)
	s_and_b32 vcc_lo, exec_lo, s4
	s_cbranch_vccz .LBB62_3905
; %bb.3901:
	s_cmp_eq_u32 s2, 44
	s_mov_b32 s0, -1
	s_cbranch_scc0 .LBB62_3905
; %bb.3902:
	s_wait_xcnt 0x0
	v_cvt_f32_i32_e32 v3, v2
	v_mov_b32_e32 v4, 0xff
	s_mov_b32 s4, exec_lo
	s_delay_alu instid0(VALU_DEP_2) | instskip(NEXT) | instid1(VALU_DEP_1)
	v_bfe_u32 v5, v3, 23, 8
	v_cmpx_ne_u32_e32 0xff, v5
	s_cbranch_execz .LBB62_3904
; %bb.3903:
	v_and_b32_e32 v4, 0x400000, v3
	v_and_or_b32 v5, 0x3fffff, v3, v5
	v_lshrrev_b32_e32 v3, 23, v3
	s_delay_alu instid0(VALU_DEP_3) | instskip(NEXT) | instid1(VALU_DEP_3)
	v_cmp_ne_u32_e32 vcc_lo, 0, v4
	v_cmp_ne_u32_e64 s0, 0, v5
	s_and_b32 s0, vcc_lo, s0
	s_delay_alu instid0(SALU_CYCLE_1) | instskip(NEXT) | instid1(VALU_DEP_1)
	v_cndmask_b32_e64 v4, 0, 1, s0
	v_add_nc_u32_e32 v4, v3, v4
.LBB62_3904:
	s_or_b32 exec_lo, exec_lo, s4
	s_mov_b32 s0, 0
	global_store_b8 v[0:1], v4, off
.LBB62_3905:
	s_mov_b32 s4, 0
.LBB62_3906:
	s_delay_alu instid0(SALU_CYCLE_1)
	s_and_b32 vcc_lo, exec_lo, s4
	s_cbranch_vccz .LBB62_3909
; %bb.3907:
	s_cmp_eq_u32 s2, 29
	s_mov_b32 s0, -1
	s_cbranch_scc0 .LBB62_3909
; %bb.3908:
	s_wait_xcnt 0x0
	v_ashrrev_i32_e32 v3, 31, v2
	s_mov_b32 s0, 0
	global_store_b64 v[0:1], v[2:3], off
.LBB62_3909:
	s_mov_b32 s4, 0
.LBB62_3910:
	s_delay_alu instid0(SALU_CYCLE_1)
	s_and_b32 vcc_lo, exec_lo, s4
	s_cbranch_vccz .LBB62_3925
; %bb.3911:
	s_cmp_lt_i32 s2, 27
	s_mov_b32 s4, -1
	s_cbranch_scc1 .LBB62_3917
; %bb.3912:
	s_cmp_gt_i32 s2, 27
	s_cbranch_scc0 .LBB62_3914
; %bb.3913:
	s_mov_b32 s4, 0
	global_store_b32 v[0:1], v2, off
.LBB62_3914:
	s_and_not1_b32 vcc_lo, exec_lo, s4
	s_cbranch_vccnz .LBB62_3916
; %bb.3915:
	global_store_b16 v[0:1], v2, off
.LBB62_3916:
	s_mov_b32 s4, 0
.LBB62_3917:
	s_delay_alu instid0(SALU_CYCLE_1)
	s_and_not1_b32 vcc_lo, exec_lo, s4
	s_cbranch_vccnz .LBB62_3925
; %bb.3918:
	s_wait_xcnt 0x0
	v_cvt_f32_i32_e32 v3, v2
	v_mov_b32_e32 v5, 0x80
	s_mov_b32 s4, exec_lo
	s_delay_alu instid0(VALU_DEP_2) | instskip(NEXT) | instid1(VALU_DEP_1)
	v_and_b32_e32 v4, 0x7fffffff, v3
	v_cmpx_gt_u32_e32 0x43800000, v4
	s_cbranch_execz .LBB62_3924
; %bb.3919:
	v_cmp_lt_u32_e32 vcc_lo, 0x3bffffff, v4
	s_mov_b32 s5, 0
                                        ; implicit-def: $vgpr4
	s_and_saveexec_b32 s6, vcc_lo
	s_delay_alu instid0(SALU_CYCLE_1)
	s_xor_b32 s6, exec_lo, s6
	s_cbranch_execz .LBB62_4030
; %bb.3920:
	v_bfe_u32 v4, v3, 20, 1
	s_mov_b32 s5, exec_lo
	s_delay_alu instid0(VALU_DEP_1) | instskip(NEXT) | instid1(VALU_DEP_1)
	v_add3_u32 v4, v3, v4, 0x487ffff
	v_lshrrev_b32_e32 v4, 20, v4
	s_and_not1_saveexec_b32 s6, s6
	s_cbranch_execnz .LBB62_4031
.LBB62_3921:
	s_or_b32 exec_lo, exec_lo, s6
	v_mov_b32_e32 v5, 0
	s_and_saveexec_b32 s6, s5
.LBB62_3922:
	v_lshrrev_b32_e32 v3, 24, v3
	s_delay_alu instid0(VALU_DEP_1)
	v_and_or_b32 v5, 0x80, v3, v4
.LBB62_3923:
	s_or_b32 exec_lo, exec_lo, s6
.LBB62_3924:
	s_delay_alu instid0(SALU_CYCLE_1)
	s_or_b32 exec_lo, exec_lo, s4
	global_store_b8 v[0:1], v5, off
.LBB62_3925:
	s_mov_b32 s4, 0
.LBB62_3926:
	s_delay_alu instid0(SALU_CYCLE_1)
	s_and_b32 vcc_lo, exec_lo, s4
	s_cbranch_vccz .LBB62_3966
; %bb.3927:
	s_cmp_gt_i32 s2, 22
	s_mov_b32 s1, -1
	s_cbranch_scc0 .LBB62_3959
; %bb.3928:
	s_cmp_lt_i32 s2, 24
	s_cbranch_scc1 .LBB62_3948
; %bb.3929:
	s_cmp_gt_i32 s2, 24
	s_cbranch_scc0 .LBB62_3937
; %bb.3930:
	s_wait_xcnt 0x0
	v_cvt_f32_i32_e32 v3, v2
	v_mov_b32_e32 v5, 0x80
	s_mov_b32 s1, exec_lo
	s_delay_alu instid0(VALU_DEP_2) | instskip(NEXT) | instid1(VALU_DEP_1)
	v_and_b32_e32 v4, 0x7fffffff, v3
	v_cmpx_gt_u32_e32 0x47800000, v4
	s_cbranch_execz .LBB62_3936
; %bb.3931:
	v_cmp_lt_u32_e32 vcc_lo, 0x37ffffff, v4
	s_mov_b32 s4, 0
                                        ; implicit-def: $vgpr4
	s_and_saveexec_b32 s5, vcc_lo
	s_delay_alu instid0(SALU_CYCLE_1)
	s_xor_b32 s5, exec_lo, s5
	s_cbranch_execz .LBB62_4033
; %bb.3932:
	v_bfe_u32 v4, v3, 21, 1
	s_mov_b32 s4, exec_lo
	s_delay_alu instid0(VALU_DEP_1) | instskip(NEXT) | instid1(VALU_DEP_1)
	v_add3_u32 v4, v3, v4, 0x88fffff
	v_lshrrev_b32_e32 v4, 21, v4
	s_and_not1_saveexec_b32 s5, s5
	s_cbranch_execnz .LBB62_4034
.LBB62_3933:
	s_or_b32 exec_lo, exec_lo, s5
	v_mov_b32_e32 v5, 0
	s_and_saveexec_b32 s5, s4
.LBB62_3934:
	v_lshrrev_b32_e32 v3, 24, v3
	s_delay_alu instid0(VALU_DEP_1)
	v_and_or_b32 v5, 0x80, v3, v4
.LBB62_3935:
	s_or_b32 exec_lo, exec_lo, s5
.LBB62_3936:
	s_delay_alu instid0(SALU_CYCLE_1)
	s_or_b32 exec_lo, exec_lo, s1
	s_mov_b32 s1, 0
	global_store_b8 v[0:1], v5, off
.LBB62_3937:
	s_and_b32 vcc_lo, exec_lo, s1
	s_cbranch_vccz .LBB62_3947
; %bb.3938:
	s_wait_xcnt 0x0
	v_cvt_f32_i32_e32 v3, v2
	s_mov_b32 s1, exec_lo
                                        ; implicit-def: $vgpr4
	s_delay_alu instid0(VALU_DEP_1) | instskip(NEXT) | instid1(VALU_DEP_1)
	v_and_b32_e32 v5, 0x7fffffff, v3
	v_cmpx_gt_u32_e32 0x43f00000, v5
	s_xor_b32 s1, exec_lo, s1
	s_cbranch_execz .LBB62_3944
; %bb.3939:
	s_mov_b32 s4, exec_lo
                                        ; implicit-def: $vgpr4
	v_cmpx_lt_u32_e32 0x3c7fffff, v5
	s_xor_b32 s4, exec_lo, s4
; %bb.3940:
	v_bfe_u32 v4, v3, 20, 1
	s_delay_alu instid0(VALU_DEP_1) | instskip(NEXT) | instid1(VALU_DEP_1)
	v_add3_u32 v4, v3, v4, 0x407ffff
	v_and_b32_e32 v5, 0xff00000, v4
	v_lshrrev_b32_e32 v4, 20, v4
	s_delay_alu instid0(VALU_DEP_2) | instskip(NEXT) | instid1(VALU_DEP_2)
	v_cmp_ne_u32_e32 vcc_lo, 0x7f00000, v5
	v_cndmask_b32_e32 v4, 0x7e, v4, vcc_lo
; %bb.3941:
	s_and_not1_saveexec_b32 s4, s4
; %bb.3942:
	v_add_f32_e64 v4, 0x46800000, |v3|
; %bb.3943:
	s_or_b32 exec_lo, exec_lo, s4
                                        ; implicit-def: $vgpr5
.LBB62_3944:
	s_and_not1_saveexec_b32 s1, s1
; %bb.3945:
	v_mov_b32_e32 v4, 0x7f
	v_cmp_lt_u32_e32 vcc_lo, 0x7f800000, v5
	s_delay_alu instid0(VALU_DEP_2)
	v_cndmask_b32_e32 v4, 0x7e, v4, vcc_lo
; %bb.3946:
	s_or_b32 exec_lo, exec_lo, s1
	v_lshrrev_b32_e32 v3, 24, v3
	s_delay_alu instid0(VALU_DEP_1)
	v_and_or_b32 v3, 0x80, v3, v4
	global_store_b8 v[0:1], v3, off
.LBB62_3947:
	s_mov_b32 s1, 0
.LBB62_3948:
	s_delay_alu instid0(SALU_CYCLE_1)
	s_and_not1_b32 vcc_lo, exec_lo, s1
	s_cbranch_vccnz .LBB62_3958
; %bb.3949:
	s_wait_xcnt 0x0
	v_cvt_f32_i32_e32 v3, v2
	s_mov_b32 s1, exec_lo
                                        ; implicit-def: $vgpr4
	s_delay_alu instid0(VALU_DEP_1) | instskip(NEXT) | instid1(VALU_DEP_1)
	v_and_b32_e32 v5, 0x7fffffff, v3
	v_cmpx_gt_u32_e32 0x47800000, v5
	s_xor_b32 s1, exec_lo, s1
	s_cbranch_execz .LBB62_3955
; %bb.3950:
	s_mov_b32 s4, exec_lo
                                        ; implicit-def: $vgpr4
	v_cmpx_lt_u32_e32 0x387fffff, v5
	s_xor_b32 s4, exec_lo, s4
; %bb.3951:
	v_bfe_u32 v4, v3, 21, 1
	s_delay_alu instid0(VALU_DEP_1) | instskip(NEXT) | instid1(VALU_DEP_1)
	v_add3_u32 v4, v3, v4, 0x80fffff
	v_lshrrev_b32_e32 v4, 21, v4
; %bb.3952:
	s_and_not1_saveexec_b32 s4, s4
; %bb.3953:
	v_add_f32_e64 v4, 0x43000000, |v3|
; %bb.3954:
	s_or_b32 exec_lo, exec_lo, s4
                                        ; implicit-def: $vgpr5
.LBB62_3955:
	s_and_not1_saveexec_b32 s1, s1
; %bb.3956:
	v_mov_b32_e32 v4, 0x7f
	v_cmp_lt_u32_e32 vcc_lo, 0x7f800000, v5
	s_delay_alu instid0(VALU_DEP_2)
	v_cndmask_b32_e32 v4, 0x7c, v4, vcc_lo
; %bb.3957:
	s_or_b32 exec_lo, exec_lo, s1
	v_lshrrev_b32_e32 v3, 24, v3
	s_delay_alu instid0(VALU_DEP_1)
	v_and_or_b32 v3, 0x80, v3, v4
	global_store_b8 v[0:1], v3, off
.LBB62_3958:
	s_mov_b32 s1, 0
.LBB62_3959:
	s_delay_alu instid0(SALU_CYCLE_1)
	s_and_not1_b32 vcc_lo, exec_lo, s1
	s_mov_b32 s1, 0
	s_cbranch_vccnz .LBB62_3966
; %bb.3960:
	s_cmp_gt_i32 s2, 14
	s_mov_b32 s1, -1
	s_cbranch_scc0 .LBB62_3964
; %bb.3961:
	s_cmp_eq_u32 s2, 15
	s_mov_b32 s0, -1
	s_cbranch_scc0 .LBB62_3963
; %bb.3962:
	s_wait_xcnt 0x0
	v_cvt_f32_i32_e32 v3, v2
	s_mov_b32 s0, 0
	s_delay_alu instid0(VALU_DEP_1) | instskip(NEXT) | instid1(VALU_DEP_1)
	v_bfe_u32 v4, v3, 16, 1
	v_add3_u32 v3, v3, v4, 0x7fff
	global_store_d16_hi_b16 v[0:1], v3, off
.LBB62_3963:
	s_mov_b32 s1, 0
.LBB62_3964:
	s_delay_alu instid0(SALU_CYCLE_1)
	s_and_b32 vcc_lo, exec_lo, s1
	s_mov_b32 s1, 0
	s_cbranch_vccz .LBB62_3966
; %bb.3965:
	s_cmp_lg_u32 s2, 11
	s_mov_b32 s1, -1
	s_cselect_b32 s0, -1, 0
.LBB62_3966:
	s_delay_alu instid0(SALU_CYCLE_1)
	s_and_b32 vcc_lo, exec_lo, s0
	s_cbranch_vccnz .LBB62_4032
.LBB62_3967:
	s_mov_b32 s0, 0
	s_branch .LBB62_3969
.LBB62_3968:
	s_mov_b32 s0, 0
	s_mov_b32 s1, 0
                                        ; implicit-def: $sgpr22
                                        ; implicit-def: $vgpr0_vgpr1
                                        ; implicit-def: $vgpr2
.LBB62_3969:
	s_and_not1_b32 s2, s21, exec_lo
	s_and_b32 s4, s3, exec_lo
	s_and_b32 s0, s0, exec_lo
	;; [unrolled: 1-line block ×3, first 2 shown]
	s_or_b32 s21, s2, s4
.LBB62_3970:
	s_wait_xcnt 0x0
	s_or_b32 exec_lo, exec_lo, s20
	s_and_saveexec_b32 s1, s21
	s_cbranch_execz .LBB62_3973
; %bb.3971:
	; divergent unreachable
	s_or_b32 exec_lo, exec_lo, s1
	s_and_saveexec_b32 s1, s3
	s_delay_alu instid0(SALU_CYCLE_1)
	s_xor_b32 s1, exec_lo, s1
	s_cbranch_execnz .LBB62_3974
.LBB62_3972:
	s_or_b32 exec_lo, exec_lo, s1
	s_and_saveexec_b32 s1, s0
	s_cbranch_execnz .LBB62_3975
	s_branch .LBB62_4012
.LBB62_3973:
	s_or_b32 exec_lo, exec_lo, s1
	s_and_saveexec_b32 s1, s3
	s_delay_alu instid0(SALU_CYCLE_1)
	s_xor_b32 s1, exec_lo, s1
	s_cbranch_execz .LBB62_3972
.LBB62_3974:
	s_wait_loadcnt 0x0
	v_cmp_ne_u32_e32 vcc_lo, 0, v2
	v_cndmask_b32_e64 v3, 0, 1, vcc_lo
	global_store_b8 v[0:1], v3, off
	s_wait_xcnt 0x0
	s_or_b32 exec_lo, exec_lo, s1
	s_and_saveexec_b32 s1, s0
	s_cbranch_execz .LBB62_4012
.LBB62_3975:
	s_sext_i32_i16 s1, s22
	s_mov_b32 s0, -1
	s_cmp_lt_i32 s1, 5
	s_cbranch_scc1 .LBB62_3996
; %bb.3976:
	s_cmp_lt_i32 s1, 8
	s_cbranch_scc1 .LBB62_3986
; %bb.3977:
	;; [unrolled: 3-line block ×3, first 2 shown]
	s_cmp_gt_i32 s1, 9
	s_cbranch_scc0 .LBB62_3980
; %bb.3979:
	s_wait_loadcnt 0x0
	v_cvt_f64_i32_e32 v[4:5], v2
	v_mov_b32_e32 v6, 0
	s_mov_b32 s0, 0
	s_delay_alu instid0(VALU_DEP_1)
	v_mov_b32_e32 v7, v6
	global_store_b128 v[0:1], v[4:7], off
.LBB62_3980:
	s_and_not1_b32 vcc_lo, exec_lo, s0
	s_cbranch_vccnz .LBB62_3982
; %bb.3981:
	s_wait_loadcnt 0x0
	v_cvt_f32_i32_e32 v4, v2
	v_mov_b32_e32 v5, 0
	global_store_b64 v[0:1], v[4:5], off
.LBB62_3982:
	s_mov_b32 s0, 0
.LBB62_3983:
	s_delay_alu instid0(SALU_CYCLE_1)
	s_and_not1_b32 vcc_lo, exec_lo, s0
	s_cbranch_vccnz .LBB62_3985
; %bb.3984:
	s_wait_loadcnt 0x0
	v_cvt_f32_i32_e32 v3, v2
	s_delay_alu instid0(VALU_DEP_1) | instskip(NEXT) | instid1(VALU_DEP_1)
	v_cvt_f16_f32_e32 v3, v3
	v_and_b32_e32 v3, 0xffff, v3
	global_store_b32 v[0:1], v3, off
.LBB62_3985:
	s_mov_b32 s0, 0
.LBB62_3986:
	s_delay_alu instid0(SALU_CYCLE_1)
	s_and_not1_b32 vcc_lo, exec_lo, s0
	s_cbranch_vccnz .LBB62_3995
; %bb.3987:
	s_sext_i32_i16 s1, s22
	s_mov_b32 s0, -1
	s_cmp_lt_i32 s1, 6
	s_cbranch_scc1 .LBB62_3993
; %bb.3988:
	s_cmp_gt_i32 s1, 6
	s_cbranch_scc0 .LBB62_3990
; %bb.3989:
	s_wait_loadcnt 0x0
	v_cvt_f64_i32_e32 v[4:5], v2
	s_mov_b32 s0, 0
	global_store_b64 v[0:1], v[4:5], off
.LBB62_3990:
	s_and_not1_b32 vcc_lo, exec_lo, s0
	s_cbranch_vccnz .LBB62_3992
; %bb.3991:
	s_wait_loadcnt 0x0
	v_cvt_f32_i32_e32 v3, v2
	global_store_b32 v[0:1], v3, off
.LBB62_3992:
	s_mov_b32 s0, 0
.LBB62_3993:
	s_delay_alu instid0(SALU_CYCLE_1)
	s_and_not1_b32 vcc_lo, exec_lo, s0
	s_cbranch_vccnz .LBB62_3995
; %bb.3994:
	s_wait_loadcnt 0x0
	v_cvt_f32_i32_e32 v3, v2
	s_delay_alu instid0(VALU_DEP_1)
	v_cvt_f16_f32_e32 v3, v3
	global_store_b16 v[0:1], v3, off
.LBB62_3995:
	s_mov_b32 s0, 0
.LBB62_3996:
	s_delay_alu instid0(SALU_CYCLE_1)
	s_and_not1_b32 vcc_lo, exec_lo, s0
	s_cbranch_vccnz .LBB62_4012
; %bb.3997:
	s_sext_i32_i16 s1, s22
	s_mov_b32 s0, -1
	s_cmp_lt_i32 s1, 2
	s_cbranch_scc1 .LBB62_4007
; %bb.3998:
	s_cmp_lt_i32 s1, 3
	s_cbranch_scc1 .LBB62_4004
; %bb.3999:
	s_cmp_gt_i32 s1, 3
	s_cbranch_scc0 .LBB62_4001
; %bb.4000:
	s_wait_loadcnt 0x0
	v_ashrrev_i32_e32 v3, 31, v2
	s_mov_b32 s0, 0
	global_store_b64 v[0:1], v[2:3], off
.LBB62_4001:
	s_and_not1_b32 vcc_lo, exec_lo, s0
	s_cbranch_vccnz .LBB62_4003
; %bb.4002:
	s_wait_loadcnt 0x0
	global_store_b32 v[0:1], v2, off
.LBB62_4003:
	s_mov_b32 s0, 0
.LBB62_4004:
	s_delay_alu instid0(SALU_CYCLE_1)
	s_and_not1_b32 vcc_lo, exec_lo, s0
	s_cbranch_vccnz .LBB62_4006
; %bb.4005:
	s_wait_loadcnt 0x0
	global_store_b16 v[0:1], v2, off
.LBB62_4006:
	s_mov_b32 s0, 0
.LBB62_4007:
	s_delay_alu instid0(SALU_CYCLE_1)
	s_and_not1_b32 vcc_lo, exec_lo, s0
	s_cbranch_vccnz .LBB62_4012
; %bb.4008:
	s_sext_i32_i16 s0, s22
	s_delay_alu instid0(SALU_CYCLE_1)
	s_cmp_gt_i32 s0, 0
	s_mov_b32 s0, -1
	s_cbranch_scc0 .LBB62_4010
; %bb.4009:
	s_mov_b32 s0, 0
	s_wait_loadcnt 0x0
	global_store_b8 v[0:1], v2, off
.LBB62_4010:
	s_and_not1_b32 vcc_lo, exec_lo, s0
	s_cbranch_vccnz .LBB62_4012
; %bb.4011:
	s_wait_loadcnt 0x0
	global_store_b8 v[0:1], v2, off
	s_endpgm
.LBB62_4012:
	s_endpgm
.LBB62_4013:
	s_mov_b32 s1, 0
	s_mov_b32 s0, -1
	s_branch .LBB62_3969
.LBB62_4014:
	s_or_b32 s3, s3, exec_lo
	s_trap 2
	s_cbranch_execz .LBB62_3483
	s_branch .LBB62_3484
.LBB62_4015:
	s_and_not1_saveexec_b32 s8, s8
	s_cbranch_execz .LBB62_3563
.LBB62_4016:
	v_add_f32_e64 v3, 0x46000000, |v1|
	s_and_not1_b32 s7, s7, exec_lo
	s_delay_alu instid0(VALU_DEP_1) | instskip(NEXT) | instid1(VALU_DEP_1)
	v_and_b32_e32 v3, 0xff, v3
	v_cmp_ne_u32_e32 vcc_lo, 0, v3
	s_and_b32 s9, vcc_lo, exec_lo
	s_delay_alu instid0(SALU_CYCLE_1)
	s_or_b32 s7, s7, s9
	s_or_b32 exec_lo, exec_lo, s8
	v_mov_b32_e32 v8, 0
	s_and_saveexec_b32 s8, s7
	s_cbranch_execnz .LBB62_3564
	s_branch .LBB62_3565
.LBB62_4017:
	s_or_b32 s3, s3, exec_lo
	s_trap 2
	s_cbranch_execz .LBB62_3611
	s_branch .LBB62_3612
.LBB62_4018:
	s_and_not1_saveexec_b32 s7, s7
	s_cbranch_execz .LBB62_3576
.LBB62_4019:
	v_add_f32_e64 v3, 0x42800000, |v1|
	s_and_not1_b32 s6, s6, exec_lo
	s_delay_alu instid0(VALU_DEP_1) | instskip(NEXT) | instid1(VALU_DEP_1)
	v_and_b32_e32 v3, 0xff, v3
	v_cmp_ne_u32_e32 vcc_lo, 0, v3
	s_and_b32 s8, vcc_lo, exec_lo
	s_delay_alu instid0(SALU_CYCLE_1)
	s_or_b32 s6, s6, s8
	s_or_b32 exec_lo, exec_lo, s7
	v_mov_b32_e32 v8, 0
	s_and_saveexec_b32 s7, s6
	s_cbranch_execnz .LBB62_3577
	s_branch .LBB62_3578
.LBB62_4020:
	s_and_not1_saveexec_b32 s9, s9
	s_cbranch_execz .LBB62_3682
.LBB62_4021:
	v_add_f32_e64 v3, 0x46000000, |v1|
	s_and_not1_b32 s8, s8, exec_lo
	s_delay_alu instid0(VALU_DEP_1) | instskip(NEXT) | instid1(VALU_DEP_1)
	v_and_b32_e32 v3, 0xff, v3
	v_cmp_ne_u32_e32 vcc_lo, 0, v3
	s_and_b32 s10, vcc_lo, exec_lo
	s_delay_alu instid0(SALU_CYCLE_1)
	s_or_b32 s8, s8, s10
	s_or_b32 exec_lo, exec_lo, s9
	v_mov_b32_e32 v8, 0
	s_and_saveexec_b32 s9, s8
	s_cbranch_execnz .LBB62_3683
	s_branch .LBB62_3684
.LBB62_4022:
	s_or_b32 s3, s3, exec_lo
	s_trap 2
	s_cbranch_execz .LBB62_3730
	s_branch .LBB62_3731
.LBB62_4023:
	s_and_not1_saveexec_b32 s8, s8
	s_cbranch_execz .LBB62_3695
.LBB62_4024:
	v_add_f32_e64 v3, 0x42800000, |v1|
	s_and_not1_b32 s7, s7, exec_lo
	s_delay_alu instid0(VALU_DEP_1) | instskip(NEXT) | instid1(VALU_DEP_1)
	v_and_b32_e32 v3, 0xff, v3
	v_cmp_ne_u32_e32 vcc_lo, 0, v3
	s_and_b32 s9, vcc_lo, exec_lo
	s_delay_alu instid0(SALU_CYCLE_1)
	s_or_b32 s7, s7, s9
	s_or_b32 exec_lo, exec_lo, s8
	v_mov_b32_e32 v8, 0
	s_and_saveexec_b32 s8, s7
	s_cbranch_execnz .LBB62_3696
	s_branch .LBB62_3697
.LBB62_4025:
	s_and_not1_saveexec_b32 s9, s9
	s_cbranch_execz .LBB62_3801
.LBB62_4026:
	v_add_f32_e64 v3, 0x46000000, |v1|
	s_and_not1_b32 s8, s8, exec_lo
	s_delay_alu instid0(VALU_DEP_1) | instskip(NEXT) | instid1(VALU_DEP_1)
	v_and_b32_e32 v3, 0xff, v3
	v_cmp_ne_u32_e32 vcc_lo, 0, v3
	s_and_b32 s10, vcc_lo, exec_lo
	s_delay_alu instid0(SALU_CYCLE_1)
	s_or_b32 s8, s8, s10
	s_or_b32 exec_lo, exec_lo, s9
	v_mov_b32_e32 v8, 0
	s_and_saveexec_b32 s9, s8
	s_cbranch_execnz .LBB62_3802
	s_branch .LBB62_3803
.LBB62_4027:
	s_or_b32 s3, s3, exec_lo
	s_trap 2
	s_cbranch_execz .LBB62_3849
	s_branch .LBB62_3850
.LBB62_4028:
	s_and_not1_saveexec_b32 s8, s8
	s_cbranch_execz .LBB62_3814
.LBB62_4029:
	v_add_f32_e64 v3, 0x42800000, |v1|
	s_and_not1_b32 s7, s7, exec_lo
	s_delay_alu instid0(VALU_DEP_1) | instskip(NEXT) | instid1(VALU_DEP_1)
	v_and_b32_e32 v3, 0xff, v3
	v_cmp_ne_u32_e32 vcc_lo, 0, v3
	s_and_b32 s9, vcc_lo, exec_lo
	s_delay_alu instid0(SALU_CYCLE_1)
	s_or_b32 s7, s7, s9
	s_or_b32 exec_lo, exec_lo, s8
	v_mov_b32_e32 v8, 0
	s_and_saveexec_b32 s8, s7
	s_cbranch_execnz .LBB62_3815
	s_branch .LBB62_3816
.LBB62_4030:
	s_and_not1_saveexec_b32 s6, s6
	s_cbranch_execz .LBB62_3921
.LBB62_4031:
	v_add_f32_e64 v4, 0x46000000, |v3|
	s_and_not1_b32 s5, s5, exec_lo
	s_delay_alu instid0(VALU_DEP_1) | instskip(NEXT) | instid1(VALU_DEP_1)
	v_and_b32_e32 v4, 0xff, v4
	v_cmp_ne_u32_e32 vcc_lo, 0, v4
	s_and_b32 s7, vcc_lo, exec_lo
	s_delay_alu instid0(SALU_CYCLE_1)
	s_or_b32 s5, s5, s7
	s_or_b32 exec_lo, exec_lo, s6
	v_mov_b32_e32 v5, 0
	s_and_saveexec_b32 s6, s5
	s_cbranch_execnz .LBB62_3922
	s_branch .LBB62_3923
.LBB62_4032:
	s_mov_b32 s1, 0
	s_or_b32 s3, s3, exec_lo
	s_trap 2
	s_branch .LBB62_3967
.LBB62_4033:
	s_and_not1_saveexec_b32 s5, s5
	s_cbranch_execz .LBB62_3933
.LBB62_4034:
	v_add_f32_e64 v4, 0x42800000, |v3|
	s_and_not1_b32 s4, s4, exec_lo
	s_delay_alu instid0(VALU_DEP_1) | instskip(NEXT) | instid1(VALU_DEP_1)
	v_and_b32_e32 v4, 0xff, v4
	v_cmp_ne_u32_e32 vcc_lo, 0, v4
	s_and_b32 s6, vcc_lo, exec_lo
	s_delay_alu instid0(SALU_CYCLE_1)
	s_or_b32 s4, s4, s6
	s_or_b32 exec_lo, exec_lo, s5
	v_mov_b32_e32 v5, 0
	s_and_saveexec_b32 s5, s4
	s_cbranch_execnz .LBB62_3934
	s_branch .LBB62_3935
	.section	.rodata,"a",@progbits
	.p2align	6, 0x0
	.amdhsa_kernel _ZN2at6native32elementwise_kernel_manual_unrollILi128ELi4EZNS0_15gpu_kernel_implIZZZNS0_12_GLOBAL__N_116addr_kernel_cudaERNS_14TensorIteratorERKN3c106ScalarES9_ENKUlvE_clEvENKUlvE1_clEvEUliiiE0_EEvRNS_18TensorIteratorBaseERKT_EUlibE_EEviT1_
		.amdhsa_group_segment_fixed_size 0
		.amdhsa_private_segment_fixed_size 0
		.amdhsa_kernarg_size 72
		.amdhsa_user_sgpr_count 2
		.amdhsa_user_sgpr_dispatch_ptr 0
		.amdhsa_user_sgpr_queue_ptr 0
		.amdhsa_user_sgpr_kernarg_segment_ptr 1
		.amdhsa_user_sgpr_dispatch_id 0
		.amdhsa_user_sgpr_kernarg_preload_length 0
		.amdhsa_user_sgpr_kernarg_preload_offset 0
		.amdhsa_user_sgpr_private_segment_size 0
		.amdhsa_wavefront_size32 1
		.amdhsa_uses_dynamic_stack 0
		.amdhsa_enable_private_segment 0
		.amdhsa_system_sgpr_workgroup_id_x 1
		.amdhsa_system_sgpr_workgroup_id_y 0
		.amdhsa_system_sgpr_workgroup_id_z 0
		.amdhsa_system_sgpr_workgroup_info 0
		.amdhsa_system_vgpr_workitem_id 0
		.amdhsa_next_free_vgpr 24
		.amdhsa_next_free_sgpr 44
		.amdhsa_named_barrier_count 0
		.amdhsa_reserve_vcc 1
		.amdhsa_float_round_mode_32 0
		.amdhsa_float_round_mode_16_64 0
		.amdhsa_float_denorm_mode_32 3
		.amdhsa_float_denorm_mode_16_64 3
		.amdhsa_fp16_overflow 0
		.amdhsa_memory_ordered 1
		.amdhsa_forward_progress 1
		.amdhsa_inst_pref_size 255
		.amdhsa_round_robin_scheduling 0
		.amdhsa_exception_fp_ieee_invalid_op 0
		.amdhsa_exception_fp_denorm_src 0
		.amdhsa_exception_fp_ieee_div_zero 0
		.amdhsa_exception_fp_ieee_overflow 0
		.amdhsa_exception_fp_ieee_underflow 0
		.amdhsa_exception_fp_ieee_inexact 0
		.amdhsa_exception_int_div_zero 0
	.end_amdhsa_kernel
	.section	.text._ZN2at6native32elementwise_kernel_manual_unrollILi128ELi4EZNS0_15gpu_kernel_implIZZZNS0_12_GLOBAL__N_116addr_kernel_cudaERNS_14TensorIteratorERKN3c106ScalarES9_ENKUlvE_clEvENKUlvE1_clEvEUliiiE0_EEvRNS_18TensorIteratorBaseERKT_EUlibE_EEviT1_,"axG",@progbits,_ZN2at6native32elementwise_kernel_manual_unrollILi128ELi4EZNS0_15gpu_kernel_implIZZZNS0_12_GLOBAL__N_116addr_kernel_cudaERNS_14TensorIteratorERKN3c106ScalarES9_ENKUlvE_clEvENKUlvE1_clEvEUliiiE0_EEvRNS_18TensorIteratorBaseERKT_EUlibE_EEviT1_,comdat
.Lfunc_end62:
	.size	_ZN2at6native32elementwise_kernel_manual_unrollILi128ELi4EZNS0_15gpu_kernel_implIZZZNS0_12_GLOBAL__N_116addr_kernel_cudaERNS_14TensorIteratorERKN3c106ScalarES9_ENKUlvE_clEvENKUlvE1_clEvEUliiiE0_EEvRNS_18TensorIteratorBaseERKT_EUlibE_EEviT1_, .Lfunc_end62-_ZN2at6native32elementwise_kernel_manual_unrollILi128ELi4EZNS0_15gpu_kernel_implIZZZNS0_12_GLOBAL__N_116addr_kernel_cudaERNS_14TensorIteratorERKN3c106ScalarES9_ENKUlvE_clEvENKUlvE1_clEvEUliiiE0_EEvRNS_18TensorIteratorBaseERKT_EUlibE_EEviT1_
                                        ; -- End function
	.set _ZN2at6native32elementwise_kernel_manual_unrollILi128ELi4EZNS0_15gpu_kernel_implIZZZNS0_12_GLOBAL__N_116addr_kernel_cudaERNS_14TensorIteratorERKN3c106ScalarES9_ENKUlvE_clEvENKUlvE1_clEvEUliiiE0_EEvRNS_18TensorIteratorBaseERKT_EUlibE_EEviT1_.num_vgpr, 24
	.set _ZN2at6native32elementwise_kernel_manual_unrollILi128ELi4EZNS0_15gpu_kernel_implIZZZNS0_12_GLOBAL__N_116addr_kernel_cudaERNS_14TensorIteratorERKN3c106ScalarES9_ENKUlvE_clEvENKUlvE1_clEvEUliiiE0_EEvRNS_18TensorIteratorBaseERKT_EUlibE_EEviT1_.num_agpr, 0
	.set _ZN2at6native32elementwise_kernel_manual_unrollILi128ELi4EZNS0_15gpu_kernel_implIZZZNS0_12_GLOBAL__N_116addr_kernel_cudaERNS_14TensorIteratorERKN3c106ScalarES9_ENKUlvE_clEvENKUlvE1_clEvEUliiiE0_EEvRNS_18TensorIteratorBaseERKT_EUlibE_EEviT1_.numbered_sgpr, 44
	.set _ZN2at6native32elementwise_kernel_manual_unrollILi128ELi4EZNS0_15gpu_kernel_implIZZZNS0_12_GLOBAL__N_116addr_kernel_cudaERNS_14TensorIteratorERKN3c106ScalarES9_ENKUlvE_clEvENKUlvE1_clEvEUliiiE0_EEvRNS_18TensorIteratorBaseERKT_EUlibE_EEviT1_.num_named_barrier, 0
	.set _ZN2at6native32elementwise_kernel_manual_unrollILi128ELi4EZNS0_15gpu_kernel_implIZZZNS0_12_GLOBAL__N_116addr_kernel_cudaERNS_14TensorIteratorERKN3c106ScalarES9_ENKUlvE_clEvENKUlvE1_clEvEUliiiE0_EEvRNS_18TensorIteratorBaseERKT_EUlibE_EEviT1_.private_seg_size, 0
	.set _ZN2at6native32elementwise_kernel_manual_unrollILi128ELi4EZNS0_15gpu_kernel_implIZZZNS0_12_GLOBAL__N_116addr_kernel_cudaERNS_14TensorIteratorERKN3c106ScalarES9_ENKUlvE_clEvENKUlvE1_clEvEUliiiE0_EEvRNS_18TensorIteratorBaseERKT_EUlibE_EEviT1_.uses_vcc, 1
	.set _ZN2at6native32elementwise_kernel_manual_unrollILi128ELi4EZNS0_15gpu_kernel_implIZZZNS0_12_GLOBAL__N_116addr_kernel_cudaERNS_14TensorIteratorERKN3c106ScalarES9_ENKUlvE_clEvENKUlvE1_clEvEUliiiE0_EEvRNS_18TensorIteratorBaseERKT_EUlibE_EEviT1_.uses_flat_scratch, 0
	.set _ZN2at6native32elementwise_kernel_manual_unrollILi128ELi4EZNS0_15gpu_kernel_implIZZZNS0_12_GLOBAL__N_116addr_kernel_cudaERNS_14TensorIteratorERKN3c106ScalarES9_ENKUlvE_clEvENKUlvE1_clEvEUliiiE0_EEvRNS_18TensorIteratorBaseERKT_EUlibE_EEviT1_.has_dyn_sized_stack, 0
	.set _ZN2at6native32elementwise_kernel_manual_unrollILi128ELi4EZNS0_15gpu_kernel_implIZZZNS0_12_GLOBAL__N_116addr_kernel_cudaERNS_14TensorIteratorERKN3c106ScalarES9_ENKUlvE_clEvENKUlvE1_clEvEUliiiE0_EEvRNS_18TensorIteratorBaseERKT_EUlibE_EEviT1_.has_recursion, 0
	.set _ZN2at6native32elementwise_kernel_manual_unrollILi128ELi4EZNS0_15gpu_kernel_implIZZZNS0_12_GLOBAL__N_116addr_kernel_cudaERNS_14TensorIteratorERKN3c106ScalarES9_ENKUlvE_clEvENKUlvE1_clEvEUliiiE0_EEvRNS_18TensorIteratorBaseERKT_EUlibE_EEviT1_.has_indirect_call, 0
	.section	.AMDGPU.csdata,"",@progbits
; Kernel info:
; codeLenInByte = 68620
; TotalNumSgprs: 46
; NumVgprs: 24
; ScratchSize: 0
; MemoryBound: 1
; FloatMode: 240
; IeeeMode: 1
; LDSByteSize: 0 bytes/workgroup (compile time only)
; SGPRBlocks: 0
; VGPRBlocks: 1
; NumSGPRsForWavesPerEU: 46
; NumVGPRsForWavesPerEU: 24
; NamedBarCnt: 0
; Occupancy: 16
; WaveLimiterHint : 0
; COMPUTE_PGM_RSRC2:SCRATCH_EN: 0
; COMPUTE_PGM_RSRC2:USER_SGPR: 2
; COMPUTE_PGM_RSRC2:TRAP_HANDLER: 0
; COMPUTE_PGM_RSRC2:TGID_X_EN: 1
; COMPUTE_PGM_RSRC2:TGID_Y_EN: 0
; COMPUTE_PGM_RSRC2:TGID_Z_EN: 0
; COMPUTE_PGM_RSRC2:TIDIG_COMP_CNT: 0
	.section	.text._ZN2at6native32elementwise_kernel_manual_unrollILi128ELi4EZNS0_15gpu_kernel_implIZZZNS0_12_GLOBAL__N_116addr_kernel_cudaERNS_14TensorIteratorERKN3c106ScalarES9_ENKUlvE_clEvENKUlvE1_clEvEUliiiE0_EEvRNS_18TensorIteratorBaseERKT_EUlibE0_EEviT1_,"axG",@progbits,_ZN2at6native32elementwise_kernel_manual_unrollILi128ELi4EZNS0_15gpu_kernel_implIZZZNS0_12_GLOBAL__N_116addr_kernel_cudaERNS_14TensorIteratorERKN3c106ScalarES9_ENKUlvE_clEvENKUlvE1_clEvEUliiiE0_EEvRNS_18TensorIteratorBaseERKT_EUlibE0_EEviT1_,comdat
	.globl	_ZN2at6native32elementwise_kernel_manual_unrollILi128ELi4EZNS0_15gpu_kernel_implIZZZNS0_12_GLOBAL__N_116addr_kernel_cudaERNS_14TensorIteratorERKN3c106ScalarES9_ENKUlvE_clEvENKUlvE1_clEvEUliiiE0_EEvRNS_18TensorIteratorBaseERKT_EUlibE0_EEviT1_ ; -- Begin function _ZN2at6native32elementwise_kernel_manual_unrollILi128ELi4EZNS0_15gpu_kernel_implIZZZNS0_12_GLOBAL__N_116addr_kernel_cudaERNS_14TensorIteratorERKN3c106ScalarES9_ENKUlvE_clEvENKUlvE1_clEvEUliiiE0_EEvRNS_18TensorIteratorBaseERKT_EUlibE0_EEviT1_
	.p2align	8
	.type	_ZN2at6native32elementwise_kernel_manual_unrollILi128ELi4EZNS0_15gpu_kernel_implIZZZNS0_12_GLOBAL__N_116addr_kernel_cudaERNS_14TensorIteratorERKN3c106ScalarES9_ENKUlvE_clEvENKUlvE1_clEvEUliiiE0_EEvRNS_18TensorIteratorBaseERKT_EUlibE0_EEviT1_,@function
_ZN2at6native32elementwise_kernel_manual_unrollILi128ELi4EZNS0_15gpu_kernel_implIZZZNS0_12_GLOBAL__N_116addr_kernel_cudaERNS_14TensorIteratorERKN3c106ScalarES9_ENKUlvE_clEvENKUlvE1_clEvEUliiiE0_EEvRNS_18TensorIteratorBaseERKT_EUlibE0_EEviT1_: ; @_ZN2at6native32elementwise_kernel_manual_unrollILi128ELi4EZNS0_15gpu_kernel_implIZZZNS0_12_GLOBAL__N_116addr_kernel_cudaERNS_14TensorIteratorERKN3c106ScalarES9_ENKUlvE_clEvENKUlvE1_clEvEUliiiE0_EEvRNS_18TensorIteratorBaseERKT_EUlibE0_EEviT1_
; %bb.0:
	s_clause 0x1
	s_load_b32 s27, s[0:1], 0x8
	s_load_b32 s46, s[0:1], 0x0
	s_bfe_u32 s2, ttmp6, 0x4000c
	s_and_b32 s3, ttmp6, 15
	s_add_co_i32 s2, s2, 1
	s_getreg_b32 s4, hwreg(HW_REG_IB_STS2, 6, 4)
	s_mul_i32 s2, ttmp9, s2
	s_mov_b32 s38, 0
	s_add_co_i32 s3, s3, s2
	s_cmp_eq_u32 s4, 0
	s_mov_b32 s35, -1
	s_cselect_b32 s2, ttmp9, s3
	s_mov_b32 s11, 0
	v_lshl_or_b32 v0, s2, 9, v0
	s_add_nc_u64 s[2:3], s[0:1], 8
	s_wait_xcnt 0x0
	s_mov_b32 s0, exec_lo
	s_delay_alu instid0(VALU_DEP_1) | instskip(SKIP_2) | instid1(SALU_CYCLE_1)
	v_or_b32_e32 v1, 0x180, v0
	s_wait_kmcnt 0x0
	s_add_co_i32 s33, s27, -1
	s_cmp_gt_u32 s33, 1
	s_cselect_b32 s39, -1, 0
	v_cmpx_le_i32_e64 s46, v1
	s_xor_b32 s40, exec_lo, s0
	s_cbranch_execz .LBB63_2061
; %bb.1:
	s_clause 0x4
	s_load_b128 s[20:23], s[2:3], 0x4
	s_load_b64 s[0:1], s[2:3], 0x14
	s_load_b96 s[24:26], s[2:3], 0x1e8
	s_load_b256 s[12:19], s[2:3], 0xc4
	s_load_b256 s[4:11], s[2:3], 0x1c8
	s_cmp_lg_u32 s27, 0
	s_mov_b32 s29, 0
	s_cselect_b32 s47, -1, 0
	s_min_u32 s45, s33, 15
	s_cmp_gt_u32 s27, 1
	s_mov_b32 s31, s29
	s_mov_b32 s50, s29
	;; [unrolled: 1-line block ×4, first 2 shown]
	s_cselect_b32 s43, -1, 0
	s_mov_b32 s44, s29
	s_mov_b32 s51, exec_lo
	s_wait_kmcnt 0x0
	s_mov_b32 s28, s21
	s_mov_b32 s30, s0
	s_lshr_b32 s41, s26, 16
	s_lshr_b32 s42, s26, 8
	;; [unrolled: 1-line block ×3, first 2 shown]
	v_cmpx_gt_i32_e64 s46, v0
	s_cbranch_execz .LBB63_511
; %bb.2:
	s_and_not1_b32 vcc_lo, exec_lo, s39
	s_cbranch_vccnz .LBB63_8
; %bb.3:
	s_and_not1_b32 vcc_lo, exec_lo, s47
	s_cbranch_vccnz .LBB63_9
; %bb.4:
	v_dual_mov_b32 v6, 0 :: v_dual_mov_b32 v1, v0
	v_dual_mov_b32 v4, 0 :: v_dual_mov_b32 v2, 0
	v_mov_b32_e32 v8, 0
	s_add_co_i32 s0, s45, 1
	s_mov_b64 s[34:35], 0xffffffffffffffe0
	s_and_b32 s0, s0, 30
	s_add_nc_u64 s[34:35], s[2:3], s[34:35]
	s_mov_b64 s[36:37], s[2:3]
.LBB63_5:                               ; =>This Inner Loop Header: Depth=1
	s_clause 0x1
	s_load_b128 s[60:63], s[36:37], 0x4
	s_load_b64 s[48:49], s[36:37], 0x14
	s_load_b256 s[52:59], s[34:35], 0xe4
	s_add_co_i32 s0, s0, -2
	s_wait_xcnt 0x0
	s_add_nc_u64 s[36:37], s[36:37], 24
	s_cmp_lg_u32 s0, 0
	s_add_nc_u64 s[34:35], s[34:35], 32
	s_wait_kmcnt 0x0
	v_mul_hi_u32 v3, s61, v1
	s_delay_alu instid0(VALU_DEP_1) | instskip(NEXT) | instid1(VALU_DEP_1)
	v_add_nc_u32_e32 v3, v1, v3
	v_lshrrev_b32_e32 v3, s62, v3
	s_delay_alu instid0(VALU_DEP_1) | instskip(SKIP_1) | instid1(VALU_DEP_1)
	v_mul_hi_u32 v5, s48, v3
	v_mul_lo_u32 v7, v3, s60
	v_dual_add_nc_u32 v5, v3, v5 :: v_dual_sub_nc_u32 v7, v1, v7
	s_delay_alu instid0(VALU_DEP_1) | instskip(NEXT) | instid1(VALU_DEP_2)
	v_lshrrev_b32_e32 v1, s49, v5
	v_mad_u32 v8, v7, s53, v8
	v_mad_u32 v2, v7, s52, v2
	;; [unrolled: 1-line block ×4, first 2 shown]
	v_mul_lo_u32 v5, v1, s63
	s_delay_alu instid0(VALU_DEP_1) | instskip(NEXT) | instid1(VALU_DEP_1)
	v_sub_nc_u32_e32 v3, v3, v5
	v_mad_u32 v8, v3, s57, v8
	v_mad_u32 v2, v3, s56, v2
	;; [unrolled: 1-line block ×4, first 2 shown]
	s_cbranch_scc1 .LBB63_5
; %bb.6:
	s_bitcmp1_b32 s45, 0
	s_cselect_b32 s0, -1, 0
	s_delay_alu instid0(SALU_CYCLE_1)
	s_and_b32 vcc_lo, exec_lo, s0
	s_cbranch_vccnz .LBB63_10
; %bb.7:
	s_load_b96 s[48:50], s[36:37], 0x4
	s_load_b128 s[52:55], s[34:35], 0xe4
	s_wait_kmcnt 0x0
	v_mul_hi_u32 v3, s49, v1
	s_delay_alu instid0(VALU_DEP_1) | instskip(NEXT) | instid1(VALU_DEP_1)
	v_add_nc_u32_e32 v3, v1, v3
	v_lshrrev_b32_e32 v3, s50, v3
	s_delay_alu instid0(VALU_DEP_1) | instskip(NEXT) | instid1(VALU_DEP_1)
	v_mul_lo_u32 v3, v3, s48
	v_sub_nc_u32_e32 v1, v1, v3
	s_delay_alu instid0(VALU_DEP_1)
	v_mad_u32 v2, v1, s52, v2
	v_mad_u32 v8, v1, s53, v8
	;; [unrolled: 1-line block ×4, first 2 shown]
	s_cbranch_execz .LBB63_11
	s_branch .LBB63_13
.LBB63_8:
                                        ; implicit-def: $vgpr8
                                        ; implicit-def: $vgpr2
                                        ; implicit-def: $vgpr4
                                        ; implicit-def: $vgpr6
	s_branch .LBB63_11
.LBB63_9:
	v_dual_mov_b32 v8, 0 :: v_dual_mov_b32 v2, 0
	v_dual_mov_b32 v4, 0 :: v_dual_mov_b32 v6, 0
.LBB63_10:
	s_cbranch_execnz .LBB63_13
.LBB63_11:
	v_mov_b32_e32 v1, 0
	s_and_not1_b32 vcc_lo, exec_lo, s43
	s_delay_alu instid0(VALU_DEP_1) | instskip(NEXT) | instid1(VALU_DEP_1)
	v_mul_u64_e32 v[2:3], s[28:29], v[0:1]
	v_add_nc_u32_e32 v2, v0, v3
	s_delay_alu instid0(VALU_DEP_1) | instskip(NEXT) | instid1(VALU_DEP_1)
	v_lshrrev_b32_e32 v10, s22, v2
	v_mul_lo_u32 v2, v10, s20
	s_delay_alu instid0(VALU_DEP_1) | instskip(NEXT) | instid1(VALU_DEP_1)
	v_sub_nc_u32_e32 v3, v0, v2
	v_mul_lo_u32 v8, v3, s13
	v_mul_lo_u32 v2, v3, s12
	;; [unrolled: 1-line block ×4, first 2 shown]
	s_cbranch_vccnz .LBB63_13
; %bb.12:
	v_mov_b32_e32 v11, v1
	s_delay_alu instid0(VALU_DEP_1) | instskip(NEXT) | instid1(VALU_DEP_1)
	v_mul_u64_e32 v[12:13], s[30:31], v[10:11]
	v_add_nc_u32_e32 v1, v10, v13
	s_delay_alu instid0(VALU_DEP_1) | instskip(NEXT) | instid1(VALU_DEP_1)
	v_lshrrev_b32_e32 v1, s1, v1
	v_mul_lo_u32 v1, v1, s23
	s_delay_alu instid0(VALU_DEP_1) | instskip(NEXT) | instid1(VALU_DEP_1)
	v_sub_nc_u32_e32 v1, v10, v1
	v_mad_u32 v2, v1, s16, v2
	v_mad_u32 v8, v1, s17, v8
	;; [unrolled: 1-line block ×4, first 2 shown]
.LBB63_13:
	v_mov_b32_e32 v9, 0
	s_and_b32 s0, s42, 0xff
	s_delay_alu instid0(SALU_CYCLE_1) | instskip(NEXT) | instid1(VALU_DEP_1)
	s_cmp_lt_i32 s0, 11
	v_add_nc_u64_e32 v[8:9], s[6:7], v[8:9]
	s_cbranch_scc1 .LBB63_20
; %bb.14:
	s_and_b32 s35, 0xffff, s0
	s_delay_alu instid0(SALU_CYCLE_1)
	s_cmp_gt_i32 s35, 25
	s_cbranch_scc0 .LBB63_29
; %bb.15:
	s_cmp_gt_i32 s35, 28
	s_cbranch_scc0 .LBB63_39
; %bb.16:
	;; [unrolled: 3-line block ×4, first 2 shown]
	s_cmp_eq_u32 s35, 46
	s_mov_b32 s37, 0
	s_cbranch_scc0 .LBB63_48
; %bb.19:
	global_load_b32 v1, v[8:9], off
	s_mov_b32 s36, -1
	s_mov_b32 s34, 0
	s_wait_loadcnt 0x0
	v_lshlrev_b32_e32 v1, 16, v1
	s_delay_alu instid0(VALU_DEP_1)
	v_cvt_i32_f32_e32 v1, v1
	s_branch .LBB63_50
.LBB63_20:
	s_mov_b32 s34, 0
	s_mov_b32 s36, 0
                                        ; implicit-def: $vgpr1
	s_cbranch_execnz .LBB63_112
.LBB63_21:
	s_and_not1_b32 vcc_lo, exec_lo, s36
	s_cbranch_vccnz .LBB63_159
.LBB63_22:
	v_mov_b32_e32 v7, 0
	s_and_b32 s0, s41, 0xff
	s_delay_alu instid0(SALU_CYCLE_1) | instskip(NEXT) | instid1(VALU_DEP_1)
	s_cmp_lt_i32 s0, 11
	v_add_nc_u64_e32 v[6:7], s[8:9], v[6:7]
	s_cbranch_scc1 .LBB63_30
; %bb.23:
	s_and_b32 s36, 0xffff, s0
	s_delay_alu instid0(SALU_CYCLE_1)
	s_cmp_gt_i32 s36, 25
	s_cbranch_scc0 .LBB63_40
; %bb.24:
	s_cmp_gt_i32 s36, 28
	s_cbranch_scc0 .LBB63_43
; %bb.25:
	;; [unrolled: 3-line block ×4, first 2 shown]
	s_cmp_eq_u32 s36, 46
	s_mov_b32 s44, 0
	s_cbranch_scc0 .LBB63_160
; %bb.28:
	global_load_b32 v3, v[6:7], off
	s_mov_b32 s37, -1
	s_mov_b32 s35, 0
	s_wait_loadcnt 0x0
	v_lshlrev_b32_e32 v3, 16, v3
	s_delay_alu instid0(VALU_DEP_1)
	v_cvt_i32_f32_e32 v3, v3
	s_branch .LBB63_162
.LBB63_29:
	s_mov_b32 s34, 0
	s_mov_b32 s36, 0
                                        ; implicit-def: $vgpr1
	s_cbranch_execnz .LBB63_79
	s_branch .LBB63_111
.LBB63_30:
	s_mov_b32 s35, 0
	s_mov_b32 s37, 0
                                        ; implicit-def: $vgpr3
	s_cbranch_execnz .LBB63_224
.LBB63_31:
	s_and_not1_b32 vcc_lo, exec_lo, s37
	s_cbranch_vccnz .LBB63_272
.LBB63_32:
	v_mov_b32_e32 v5, 0
	s_and_b32 s0, 0xffff, s21
	s_delay_alu instid0(SALU_CYCLE_1) | instskip(NEXT) | instid1(VALU_DEP_1)
	s_cmp_lt_i32 s0, 11
	v_add_nc_u64_e32 v[4:5], s[10:11], v[4:5]
	s_cbranch_scc1 .LBB63_41
; %bb.33:
	s_cmp_gt_i32 s0, 25
	s_cbranch_scc0 .LBB63_44
; %bb.34:
	s_cmp_gt_i32 s0, 28
	s_cbranch_scc0 .LBB63_47
	;; [unrolled: 3-line block ×4, first 2 shown]
; %bb.37:
	s_cmp_eq_u32 s0, 46
	s_mov_b32 s44, 0
	s_cbranch_scc0 .LBB63_273
; %bb.38:
	global_load_b32 v6, v[4:5], off
	s_mov_b32 s37, -1
	s_mov_b32 s36, 0
	s_wait_loadcnt 0x0
	v_lshlrev_b32_e32 v6, 16, v6
	s_delay_alu instid0(VALU_DEP_1)
	v_cvt_i32_f32_e32 v6, v6
	s_branch .LBB63_275
.LBB63_39:
	s_mov_b32 s37, -1
	s_mov_b32 s34, 0
	s_mov_b32 s36, 0
                                        ; implicit-def: $vgpr1
	s_branch .LBB63_62
.LBB63_40:
	s_mov_b32 s44, -1
	s_mov_b32 s35, 0
	s_mov_b32 s37, 0
                                        ; implicit-def: $vgpr3
	s_branch .LBB63_190
.LBB63_41:
	s_mov_b32 s44, -1
	s_mov_b32 s36, 0
	s_mov_b32 s37, 0
                                        ; implicit-def: $vgpr6
	s_branch .LBB63_336
.LBB63_42:
	s_mov_b32 s37, -1
	s_mov_b32 s34, 0
	s_mov_b32 s36, 0
                                        ; implicit-def: $vgpr1
	s_branch .LBB63_57
.LBB63_43:
	s_mov_b32 s44, -1
	s_mov_b32 s35, 0
	s_mov_b32 s37, 0
                                        ; implicit-def: $vgpr3
	s_branch .LBB63_173
.LBB63_44:
	s_mov_b32 s44, -1
	s_mov_b32 s36, 0
	s_mov_b32 s37, 0
                                        ; implicit-def: $vgpr6
	s_branch .LBB63_302
.LBB63_45:
	s_mov_b32 s37, -1
	s_mov_b32 s34, 0
	s_branch .LBB63_49
.LBB63_46:
	s_mov_b32 s44, -1
	s_mov_b32 s35, 0
	s_mov_b32 s37, 0
                                        ; implicit-def: $vgpr3
	s_branch .LBB63_168
.LBB63_47:
	s_mov_b32 s44, -1
	s_mov_b32 s36, 0
	s_mov_b32 s37, 0
                                        ; implicit-def: $vgpr6
	s_branch .LBB63_285
.LBB63_48:
	s_mov_b32 s34, -1
.LBB63_49:
	s_mov_b32 s36, 0
                                        ; implicit-def: $vgpr1
.LBB63_50:
	s_and_b32 vcc_lo, exec_lo, s37
	s_cbranch_vccz .LBB63_56
; %bb.51:
	s_cmp_eq_u32 s35, 44
	s_cbranch_scc0 .LBB63_55
; %bb.52:
	global_load_u8 v1, v[8:9], off
	s_mov_b32 s34, 0
	s_mov_b32 s36, -1
	s_wait_loadcnt 0x0
	v_lshlrev_b32_e32 v3, 23, v1
	v_cmp_ne_u32_e32 vcc_lo, 0, v1
	s_delay_alu instid0(VALU_DEP_2) | instskip(NEXT) | instid1(VALU_DEP_1)
	v_cvt_i32_f32_e32 v3, v3
	v_cndmask_b32_e32 v1, 0, v3, vcc_lo
	s_branch .LBB63_56
.LBB63_53:
	s_mov_b32 s44, -1
	s_mov_b32 s35, 0
	s_branch .LBB63_161
.LBB63_54:
	s_mov_b32 s44, -1
	s_mov_b32 s36, 0
	s_mov_b32 s37, 0
                                        ; implicit-def: $vgpr6
	s_branch .LBB63_280
.LBB63_55:
	s_mov_b32 s34, -1
                                        ; implicit-def: $vgpr1
.LBB63_56:
	s_mov_b32 s37, 0
.LBB63_57:
	s_delay_alu instid0(SALU_CYCLE_1)
	s_and_b32 vcc_lo, exec_lo, s37
	s_cbranch_vccz .LBB63_61
; %bb.58:
	s_cmp_eq_u32 s35, 29
	s_cbranch_scc0 .LBB63_60
; %bb.59:
	global_load_b32 v1, v[8:9], off
	s_mov_b32 s36, -1
	s_mov_b32 s34, 0
	s_branch .LBB63_61
.LBB63_60:
	s_mov_b32 s34, -1
                                        ; implicit-def: $vgpr1
.LBB63_61:
	s_mov_b32 s37, 0
.LBB63_62:
	s_delay_alu instid0(SALU_CYCLE_1)
	s_and_b32 vcc_lo, exec_lo, s37
	s_cbranch_vccz .LBB63_78
; %bb.63:
	s_cmp_lt_i32 s35, 27
	s_cbranch_scc1 .LBB63_66
; %bb.64:
	s_cmp_gt_i32 s35, 27
	s_cbranch_scc0 .LBB63_67
; %bb.65:
	s_wait_loadcnt 0x0
	global_load_b32 v1, v[8:9], off
	s_mov_b32 s36, 0
	s_branch .LBB63_68
.LBB63_66:
	s_mov_b32 s36, -1
                                        ; implicit-def: $vgpr1
	s_branch .LBB63_71
.LBB63_67:
	s_mov_b32 s36, -1
                                        ; implicit-def: $vgpr1
.LBB63_68:
	s_delay_alu instid0(SALU_CYCLE_1)
	s_and_not1_b32 vcc_lo, exec_lo, s36
	s_cbranch_vccnz .LBB63_70
; %bb.69:
	s_wait_loadcnt 0x0
	global_load_u16 v1, v[8:9], off
.LBB63_70:
	s_mov_b32 s36, 0
.LBB63_71:
	s_delay_alu instid0(SALU_CYCLE_1)
	s_and_not1_b32 vcc_lo, exec_lo, s36
	s_cbranch_vccnz .LBB63_77
; %bb.72:
	global_load_u8 v3, v[8:9], off
	s_mov_b32 s37, 0
	s_mov_b32 s36, exec_lo
	s_wait_loadcnt 0x0
	v_cmpx_lt_i16_e32 0x7f, v3
	s_xor_b32 s36, exec_lo, s36
	s_cbranch_execz .LBB63_88
; %bb.73:
	v_cmp_ne_u16_e32 vcc_lo, 0x80, v3
	s_and_b32 s37, vcc_lo, exec_lo
	s_and_not1_saveexec_b32 s36, s36
	s_cbranch_execnz .LBB63_89
.LBB63_74:
	s_or_b32 exec_lo, exec_lo, s36
	v_mov_b32_e32 v1, 0
	s_and_saveexec_b32 s36, s37
	s_cbranch_execz .LBB63_76
.LBB63_75:
	v_and_b32_e32 v1, 0xffff, v3
	s_delay_alu instid0(VALU_DEP_1) | instskip(SKIP_1) | instid1(VALU_DEP_2)
	v_and_b32_e32 v5, 7, v1
	v_bfe_u32 v11, v1, 3, 4
	v_clz_i32_u32_e32 v7, v5
	s_delay_alu instid0(VALU_DEP_2) | instskip(NEXT) | instid1(VALU_DEP_2)
	v_cmp_eq_u32_e32 vcc_lo, 0, v11
	v_min_u32_e32 v7, 32, v7
	s_delay_alu instid0(VALU_DEP_1) | instskip(NEXT) | instid1(VALU_DEP_1)
	v_subrev_nc_u32_e32 v10, 28, v7
	v_dual_lshlrev_b32 v1, v10, v1 :: v_dual_sub_nc_u32 v7, 29, v7
	s_delay_alu instid0(VALU_DEP_1) | instskip(NEXT) | instid1(VALU_DEP_1)
	v_dual_lshlrev_b32 v3, 24, v3 :: v_dual_bitop2_b32 v1, 7, v1 bitop3:0x40
	v_dual_cndmask_b32 v1, v5, v1, vcc_lo :: v_dual_cndmask_b32 v7, v11, v7, vcc_lo
	s_delay_alu instid0(VALU_DEP_2) | instskip(NEXT) | instid1(VALU_DEP_2)
	v_and_b32_e32 v3, 0x80000000, v3
	v_lshlrev_b32_e32 v1, 20, v1
	s_delay_alu instid0(VALU_DEP_3) | instskip(NEXT) | instid1(VALU_DEP_1)
	v_lshl_add_u32 v5, v7, 23, 0x3b800000
	v_or3_b32 v1, v3, v5, v1
	s_delay_alu instid0(VALU_DEP_1)
	v_cvt_i32_f32_e32 v1, v1
.LBB63_76:
	s_or_b32 exec_lo, exec_lo, s36
.LBB63_77:
	s_mov_b32 s36, -1
.LBB63_78:
	s_branch .LBB63_111
.LBB63_79:
	s_cmp_gt_i32 s35, 22
	s_cbranch_scc0 .LBB63_87
; %bb.80:
	s_cmp_lt_i32 s35, 24
	s_cbranch_scc1 .LBB63_90
; %bb.81:
	s_cmp_gt_i32 s35, 24
	s_cbranch_scc0 .LBB63_91
; %bb.82:
	global_load_u8 v3, v[8:9], off
	s_mov_b32 s37, 0
	s_mov_b32 s36, exec_lo
	s_wait_loadcnt 0x0
	v_cmpx_lt_i16_e32 0x7f, v3
	s_xor_b32 s36, exec_lo, s36
	s_cbranch_execz .LBB63_103
; %bb.83:
	v_cmp_ne_u16_e32 vcc_lo, 0x80, v3
	s_and_b32 s37, vcc_lo, exec_lo
	s_and_not1_saveexec_b32 s36, s36
	s_cbranch_execnz .LBB63_104
.LBB63_84:
	s_or_b32 exec_lo, exec_lo, s36
	v_mov_b32_e32 v1, 0
	s_and_saveexec_b32 s36, s37
	s_cbranch_execz .LBB63_86
.LBB63_85:
	v_and_b32_e32 v1, 0xffff, v3
	s_delay_alu instid0(VALU_DEP_1) | instskip(SKIP_1) | instid1(VALU_DEP_2)
	v_and_b32_e32 v5, 3, v1
	v_bfe_u32 v11, v1, 2, 5
	v_clz_i32_u32_e32 v7, v5
	s_delay_alu instid0(VALU_DEP_2) | instskip(NEXT) | instid1(VALU_DEP_2)
	v_cmp_eq_u32_e32 vcc_lo, 0, v11
	v_min_u32_e32 v7, 32, v7
	s_delay_alu instid0(VALU_DEP_1) | instskip(NEXT) | instid1(VALU_DEP_1)
	v_subrev_nc_u32_e32 v10, 29, v7
	v_dual_lshlrev_b32 v1, v10, v1 :: v_dual_sub_nc_u32 v7, 30, v7
	s_delay_alu instid0(VALU_DEP_1) | instskip(NEXT) | instid1(VALU_DEP_1)
	v_dual_lshlrev_b32 v3, 24, v3 :: v_dual_bitop2_b32 v1, 3, v1 bitop3:0x40
	v_dual_cndmask_b32 v1, v5, v1, vcc_lo :: v_dual_cndmask_b32 v7, v11, v7, vcc_lo
	s_delay_alu instid0(VALU_DEP_2) | instskip(NEXT) | instid1(VALU_DEP_2)
	v_and_b32_e32 v3, 0x80000000, v3
	v_lshlrev_b32_e32 v1, 21, v1
	s_delay_alu instid0(VALU_DEP_3) | instskip(NEXT) | instid1(VALU_DEP_1)
	v_lshl_add_u32 v5, v7, 23, 0x37800000
	v_or3_b32 v1, v3, v5, v1
	s_delay_alu instid0(VALU_DEP_1)
	v_cvt_i32_f32_e32 v1, v1
.LBB63_86:
	s_or_b32 exec_lo, exec_lo, s36
	s_mov_b32 s36, 0
	s_branch .LBB63_92
.LBB63_87:
	s_mov_b32 s37, -1
                                        ; implicit-def: $vgpr1
	s_branch .LBB63_98
.LBB63_88:
	s_and_not1_saveexec_b32 s36, s36
	s_cbranch_execz .LBB63_74
.LBB63_89:
	v_cmp_ne_u16_e32 vcc_lo, 0, v3
	s_and_not1_b32 s37, s37, exec_lo
	s_and_b32 s44, vcc_lo, exec_lo
	s_delay_alu instid0(SALU_CYCLE_1)
	s_or_b32 s37, s37, s44
	s_or_b32 exec_lo, exec_lo, s36
	v_mov_b32_e32 v1, 0
	s_and_saveexec_b32 s36, s37
	s_cbranch_execnz .LBB63_75
	s_branch .LBB63_76
.LBB63_90:
	s_mov_b32 s36, -1
                                        ; implicit-def: $vgpr1
	s_branch .LBB63_95
.LBB63_91:
	s_mov_b32 s36, -1
                                        ; implicit-def: $vgpr1
.LBB63_92:
	s_delay_alu instid0(SALU_CYCLE_1)
	s_and_b32 vcc_lo, exec_lo, s36
	s_cbranch_vccz .LBB63_94
; %bb.93:
	s_wait_loadcnt 0x0
	global_load_u8 v1, v[8:9], off
	s_wait_loadcnt 0x0
	v_lshlrev_b32_e32 v1, 24, v1
	s_delay_alu instid0(VALU_DEP_1) | instskip(NEXT) | instid1(VALU_DEP_1)
	v_and_b32_e32 v3, 0x7f000000, v1
	v_clz_i32_u32_e32 v5, v3
	v_cmp_ne_u32_e32 vcc_lo, 0, v3
	v_add_nc_u32_e32 v10, 0x1000000, v3
	s_delay_alu instid0(VALU_DEP_3) | instskip(NEXT) | instid1(VALU_DEP_1)
	v_min_u32_e32 v5, 32, v5
	v_sub_nc_u32_e64 v5, v5, 4 clamp
	s_delay_alu instid0(VALU_DEP_1) | instskip(NEXT) | instid1(VALU_DEP_1)
	v_dual_lshlrev_b32 v7, v5, v3 :: v_dual_lshlrev_b32 v5, 23, v5
	v_lshrrev_b32_e32 v7, 4, v7
	s_delay_alu instid0(VALU_DEP_1) | instskip(NEXT) | instid1(VALU_DEP_1)
	v_dual_sub_nc_u32 v5, v7, v5 :: v_dual_ashrrev_i32 v7, 8, v10
	v_add_nc_u32_e32 v5, 0x3c000000, v5
	s_delay_alu instid0(VALU_DEP_1) | instskip(NEXT) | instid1(VALU_DEP_1)
	v_and_or_b32 v5, 0x7f800000, v7, v5
	v_cndmask_b32_e32 v3, 0, v5, vcc_lo
	s_delay_alu instid0(VALU_DEP_1) | instskip(NEXT) | instid1(VALU_DEP_1)
	v_and_or_b32 v1, 0x80000000, v1, v3
	v_cvt_i32_f32_e32 v1, v1
.LBB63_94:
	s_mov_b32 s36, 0
.LBB63_95:
	s_delay_alu instid0(SALU_CYCLE_1)
	s_and_not1_b32 vcc_lo, exec_lo, s36
	s_cbranch_vccnz .LBB63_97
; %bb.96:
	s_wait_loadcnt 0x0
	global_load_u8 v1, v[8:9], off
	s_wait_loadcnt 0x0
	v_lshlrev_b32_e32 v3, 25, v1
	v_lshlrev_b16 v1, 8, v1
	s_delay_alu instid0(VALU_DEP_1) | instskip(SKIP_1) | instid1(VALU_DEP_2)
	v_and_or_b32 v7, 0x7f00, v1, 0.5
	v_bfe_i32 v1, v1, 0, 16
	v_add_f32_e32 v7, -0.5, v7
	v_lshrrev_b32_e32 v5, 4, v3
	v_cmp_gt_u32_e32 vcc_lo, 0x8000000, v3
	s_delay_alu instid0(VALU_DEP_2) | instskip(NEXT) | instid1(VALU_DEP_1)
	v_or_b32_e32 v5, 0x70000000, v5
	v_mul_f32_e32 v5, 0x7800000, v5
	s_delay_alu instid0(VALU_DEP_1) | instskip(NEXT) | instid1(VALU_DEP_1)
	v_cndmask_b32_e32 v3, v5, v7, vcc_lo
	v_and_or_b32 v1, 0x80000000, v1, v3
	s_delay_alu instid0(VALU_DEP_1)
	v_cvt_i32_f32_e32 v1, v1
.LBB63_97:
	s_mov_b32 s37, 0
	s_mov_b32 s36, -1
.LBB63_98:
	s_and_not1_b32 vcc_lo, exec_lo, s37
	s_cbranch_vccnz .LBB63_111
; %bb.99:
	s_cmp_gt_i32 s35, 14
	s_cbranch_scc0 .LBB63_102
; %bb.100:
	s_cmp_eq_u32 s35, 15
	s_cbranch_scc0 .LBB63_105
; %bb.101:
	s_wait_loadcnt 0x0
	global_load_u16 v1, v[8:9], off
	s_mov_b32 s36, -1
	s_mov_b32 s34, 0
	s_wait_loadcnt 0x0
	v_lshlrev_b32_e32 v1, 16, v1
	s_delay_alu instid0(VALU_DEP_1)
	v_cvt_i32_f32_e32 v1, v1
	s_branch .LBB63_106
.LBB63_102:
	s_mov_b32 s37, -1
                                        ; implicit-def: $vgpr1
	s_branch .LBB63_107
.LBB63_103:
	s_and_not1_saveexec_b32 s36, s36
	s_cbranch_execz .LBB63_84
.LBB63_104:
	v_cmp_ne_u16_e32 vcc_lo, 0, v3
	s_and_not1_b32 s37, s37, exec_lo
	s_and_b32 s44, vcc_lo, exec_lo
	s_delay_alu instid0(SALU_CYCLE_1)
	s_or_b32 s37, s37, s44
	s_or_b32 exec_lo, exec_lo, s36
	v_mov_b32_e32 v1, 0
	s_and_saveexec_b32 s36, s37
	s_cbranch_execnz .LBB63_85
	s_branch .LBB63_86
.LBB63_105:
	s_mov_b32 s34, -1
                                        ; implicit-def: $vgpr1
.LBB63_106:
	s_mov_b32 s37, 0
.LBB63_107:
	s_delay_alu instid0(SALU_CYCLE_1)
	s_and_b32 vcc_lo, exec_lo, s37
	s_cbranch_vccz .LBB63_111
; %bb.108:
	s_cmp_eq_u32 s35, 11
	s_cbranch_scc0 .LBB63_110
; %bb.109:
	s_wait_loadcnt 0x0
	global_load_u8 v1, v[8:9], off
	s_mov_b32 s34, 0
	s_mov_b32 s36, -1
	s_wait_loadcnt 0x0
	v_cmp_ne_u16_e32 vcc_lo, 0, v1
	v_cndmask_b32_e64 v1, 0, 1, vcc_lo
	s_branch .LBB63_111
.LBB63_110:
	s_mov_b32 s34, -1
                                        ; implicit-def: $vgpr1
.LBB63_111:
	s_branch .LBB63_21
.LBB63_112:
	s_and_b32 s0, 0xffff, s0
	s_delay_alu instid0(SALU_CYCLE_1)
	s_cmp_lt_i32 s0, 5
	s_cbranch_scc1 .LBB63_117
; %bb.113:
	s_cmp_lt_i32 s0, 8
	s_cbranch_scc1 .LBB63_118
; %bb.114:
	s_cmp_lt_i32 s0, 9
	s_cbranch_scc1 .LBB63_119
; %bb.115:
	s_cmp_gt_i32 s0, 9
	s_cbranch_scc0 .LBB63_120
; %bb.116:
	global_load_b64 v[10:11], v[8:9], off
	s_mov_b32 s35, 0
	s_wait_loadcnt 0x0
	v_cvt_i32_f64_e32 v1, v[10:11]
	s_branch .LBB63_121
.LBB63_117:
                                        ; implicit-def: $vgpr1
	s_branch .LBB63_139
.LBB63_118:
	s_mov_b32 s35, -1
                                        ; implicit-def: $vgpr1
	s_branch .LBB63_127
.LBB63_119:
	s_mov_b32 s35, -1
                                        ; implicit-def: $vgpr1
	s_branch .LBB63_124
.LBB63_120:
	s_mov_b32 s35, -1
                                        ; implicit-def: $vgpr1
.LBB63_121:
	s_delay_alu instid0(SALU_CYCLE_1)
	s_and_not1_b32 vcc_lo, exec_lo, s35
	s_cbranch_vccnz .LBB63_123
; %bb.122:
	s_wait_loadcnt 0x0
	global_load_b32 v1, v[8:9], off
	s_wait_loadcnt 0x0
	v_cvt_i32_f32_e32 v1, v1
.LBB63_123:
	s_mov_b32 s35, 0
.LBB63_124:
	s_delay_alu instid0(SALU_CYCLE_1)
	s_and_not1_b32 vcc_lo, exec_lo, s35
	s_cbranch_vccnz .LBB63_126
; %bb.125:
	s_wait_loadcnt 0x0
	global_load_b32 v1, v[8:9], off
	s_wait_loadcnt 0x0
	v_cvt_f32_f16_e32 v1, v1
	s_delay_alu instid0(VALU_DEP_1)
	v_cvt_i32_f32_e32 v1, v1
.LBB63_126:
	s_mov_b32 s35, 0
.LBB63_127:
	s_delay_alu instid0(SALU_CYCLE_1)
	s_and_not1_b32 vcc_lo, exec_lo, s35
	s_cbranch_vccnz .LBB63_138
; %bb.128:
	s_cmp_lt_i32 s0, 6
	s_cbranch_scc1 .LBB63_131
; %bb.129:
	s_cmp_gt_i32 s0, 6
	s_cbranch_scc0 .LBB63_132
; %bb.130:
	global_load_b64 v[10:11], v[8:9], off
	s_mov_b32 s35, 0
	s_wait_loadcnt 0x0
	v_cvt_i32_f64_e32 v1, v[10:11]
	s_branch .LBB63_133
.LBB63_131:
	s_mov_b32 s35, -1
                                        ; implicit-def: $vgpr1
	s_branch .LBB63_136
.LBB63_132:
	s_mov_b32 s35, -1
                                        ; implicit-def: $vgpr1
.LBB63_133:
	s_delay_alu instid0(SALU_CYCLE_1)
	s_and_not1_b32 vcc_lo, exec_lo, s35
	s_cbranch_vccnz .LBB63_135
; %bb.134:
	s_wait_loadcnt 0x0
	global_load_b32 v1, v[8:9], off
	s_wait_loadcnt 0x0
	v_cvt_i32_f32_e32 v1, v1
.LBB63_135:
	s_mov_b32 s35, 0
.LBB63_136:
	s_delay_alu instid0(SALU_CYCLE_1)
	s_and_not1_b32 vcc_lo, exec_lo, s35
	s_cbranch_vccnz .LBB63_138
; %bb.137:
	s_wait_loadcnt 0x0
	global_load_u16 v1, v[8:9], off
	s_wait_loadcnt 0x0
	v_cvt_f32_f16_e32 v1, v1
	s_delay_alu instid0(VALU_DEP_1)
	v_cvt_i32_f32_e32 v1, v1
.LBB63_138:
	s_cbranch_execnz .LBB63_158
.LBB63_139:
	s_cmp_lt_i32 s0, 2
	s_cbranch_scc1 .LBB63_143
; %bb.140:
	s_cmp_lt_i32 s0, 3
	s_cbranch_scc1 .LBB63_144
; %bb.141:
	s_cmp_gt_i32 s0, 3
	s_cbranch_scc0 .LBB63_145
; %bb.142:
	s_wait_loadcnt 0x0
	global_load_b32 v1, v[8:9], off
	s_mov_b32 s35, 0
	s_branch .LBB63_146
.LBB63_143:
	s_mov_b32 s35, -1
                                        ; implicit-def: $vgpr1
	s_branch .LBB63_152
.LBB63_144:
	s_mov_b32 s35, -1
                                        ; implicit-def: $vgpr1
	s_branch .LBB63_149
.LBB63_145:
	s_mov_b32 s35, -1
                                        ; implicit-def: $vgpr1
.LBB63_146:
	s_delay_alu instid0(SALU_CYCLE_1)
	s_and_not1_b32 vcc_lo, exec_lo, s35
	s_cbranch_vccnz .LBB63_148
; %bb.147:
	s_wait_loadcnt 0x0
	global_load_b32 v1, v[8:9], off
.LBB63_148:
	s_mov_b32 s35, 0
.LBB63_149:
	s_delay_alu instid0(SALU_CYCLE_1)
	s_and_not1_b32 vcc_lo, exec_lo, s35
	s_cbranch_vccnz .LBB63_151
; %bb.150:
	s_wait_loadcnt 0x0
	global_load_i16 v1, v[8:9], off
.LBB63_151:
	s_mov_b32 s35, 0
.LBB63_152:
	s_delay_alu instid0(SALU_CYCLE_1)
	s_and_not1_b32 vcc_lo, exec_lo, s35
	s_cbranch_vccnz .LBB63_158
; %bb.153:
	s_cmp_gt_i32 s0, 0
	s_mov_b32 s0, 0
	s_cbranch_scc0 .LBB63_155
; %bb.154:
	s_wait_loadcnt 0x0
	global_load_i8 v1, v[8:9], off
	s_branch .LBB63_156
.LBB63_155:
	s_mov_b32 s0, -1
                                        ; implicit-def: $vgpr1
.LBB63_156:
	s_delay_alu instid0(SALU_CYCLE_1)
	s_and_not1_b32 vcc_lo, exec_lo, s0
	s_cbranch_vccnz .LBB63_158
; %bb.157:
	s_wait_loadcnt 0x0
	global_load_u8 v1, v[8:9], off
.LBB63_158:
	s_branch .LBB63_22
.LBB63_159:
	s_mov_b32 s0, 0
	s_mov_b32 s36, 0
	;; [unrolled: 1-line block ×3, first 2 shown]
	s_branch .LBB63_509
.LBB63_160:
	s_mov_b32 s35, -1
.LBB63_161:
	s_mov_b32 s37, 0
                                        ; implicit-def: $vgpr3
.LBB63_162:
	s_and_b32 vcc_lo, exec_lo, s44
	s_cbranch_vccz .LBB63_167
; %bb.163:
	s_cmp_eq_u32 s36, 44
	s_cbranch_scc0 .LBB63_166
; %bb.164:
	global_load_u8 v3, v[6:7], off
	s_mov_b32 s35, 0
	s_mov_b32 s37, -1
	s_wait_loadcnt 0x0
	v_lshlrev_b32_e32 v5, 23, v3
	v_cmp_ne_u32_e32 vcc_lo, 0, v3
	s_delay_alu instid0(VALU_DEP_2) | instskip(NEXT) | instid1(VALU_DEP_1)
	v_cvt_i32_f32_e32 v5, v5
	v_cndmask_b32_e32 v3, 0, v5, vcc_lo
	s_branch .LBB63_167
.LBB63_165:
	s_mov_b32 s44, -1
	s_mov_b32 s36, 0
	s_branch .LBB63_274
.LBB63_166:
	s_mov_b32 s35, -1
                                        ; implicit-def: $vgpr3
.LBB63_167:
	s_mov_b32 s44, 0
.LBB63_168:
	s_delay_alu instid0(SALU_CYCLE_1)
	s_and_b32 vcc_lo, exec_lo, s44
	s_cbranch_vccz .LBB63_172
; %bb.169:
	s_cmp_eq_u32 s36, 29
	s_cbranch_scc0 .LBB63_171
; %bb.170:
	global_load_b32 v3, v[6:7], off
	s_mov_b32 s37, -1
	s_mov_b32 s35, 0
	s_branch .LBB63_172
.LBB63_171:
	s_mov_b32 s35, -1
                                        ; implicit-def: $vgpr3
.LBB63_172:
	s_mov_b32 s44, 0
.LBB63_173:
	s_delay_alu instid0(SALU_CYCLE_1)
	s_and_b32 vcc_lo, exec_lo, s44
	s_cbranch_vccz .LBB63_189
; %bb.174:
	s_cmp_lt_i32 s36, 27
	s_cbranch_scc1 .LBB63_177
; %bb.175:
	s_cmp_gt_i32 s36, 27
	s_cbranch_scc0 .LBB63_178
; %bb.176:
	s_wait_loadcnt 0x0
	global_load_b32 v3, v[6:7], off
	s_mov_b32 s37, 0
	s_branch .LBB63_179
.LBB63_177:
	s_mov_b32 s37, -1
                                        ; implicit-def: $vgpr3
	s_branch .LBB63_182
.LBB63_178:
	s_mov_b32 s37, -1
                                        ; implicit-def: $vgpr3
.LBB63_179:
	s_delay_alu instid0(SALU_CYCLE_1)
	s_and_not1_b32 vcc_lo, exec_lo, s37
	s_cbranch_vccnz .LBB63_181
; %bb.180:
	s_wait_loadcnt 0x0
	global_load_u16 v3, v[6:7], off
.LBB63_181:
	s_mov_b32 s37, 0
.LBB63_182:
	s_delay_alu instid0(SALU_CYCLE_1)
	s_and_not1_b32 vcc_lo, exec_lo, s37
	s_cbranch_vccnz .LBB63_188
; %bb.183:
	global_load_u8 v5, v[6:7], off
	s_mov_b32 s44, 0
	s_mov_b32 s37, exec_lo
	s_wait_loadcnt 0x0
	v_cmpx_lt_i16_e32 0x7f, v5
	s_xor_b32 s37, exec_lo, s37
	s_cbranch_execz .LBB63_200
; %bb.184:
	v_cmp_ne_u16_e32 vcc_lo, 0x80, v5
	s_and_b32 s44, vcc_lo, exec_lo
	s_and_not1_saveexec_b32 s37, s37
	s_cbranch_execnz .LBB63_201
.LBB63_185:
	s_or_b32 exec_lo, exec_lo, s37
	v_mov_b32_e32 v3, 0
	s_and_saveexec_b32 s37, s44
	s_cbranch_execz .LBB63_187
.LBB63_186:
	v_and_b32_e32 v3, 0xffff, v5
	s_delay_alu instid0(VALU_DEP_1) | instskip(SKIP_1) | instid1(VALU_DEP_2)
	v_and_b32_e32 v8, 7, v3
	v_bfe_u32 v11, v3, 3, 4
	v_clz_i32_u32_e32 v9, v8
	s_delay_alu instid0(VALU_DEP_2) | instskip(NEXT) | instid1(VALU_DEP_2)
	v_cmp_eq_u32_e32 vcc_lo, 0, v11
	v_min_u32_e32 v9, 32, v9
	s_delay_alu instid0(VALU_DEP_1) | instskip(NEXT) | instid1(VALU_DEP_1)
	v_subrev_nc_u32_e32 v10, 28, v9
	v_dual_lshlrev_b32 v3, v10, v3 :: v_dual_sub_nc_u32 v9, 29, v9
	s_delay_alu instid0(VALU_DEP_1) | instskip(NEXT) | instid1(VALU_DEP_1)
	v_dual_lshlrev_b32 v5, 24, v5 :: v_dual_bitop2_b32 v3, 7, v3 bitop3:0x40
	v_dual_cndmask_b32 v3, v8, v3, vcc_lo :: v_dual_cndmask_b32 v9, v11, v9, vcc_lo
	s_delay_alu instid0(VALU_DEP_2) | instskip(NEXT) | instid1(VALU_DEP_2)
	v_and_b32_e32 v5, 0x80000000, v5
	v_lshlrev_b32_e32 v3, 20, v3
	s_delay_alu instid0(VALU_DEP_3) | instskip(NEXT) | instid1(VALU_DEP_1)
	v_lshl_add_u32 v8, v9, 23, 0x3b800000
	v_or3_b32 v3, v5, v8, v3
	s_delay_alu instid0(VALU_DEP_1)
	v_cvt_i32_f32_e32 v3, v3
.LBB63_187:
	s_or_b32 exec_lo, exec_lo, s37
.LBB63_188:
	s_mov_b32 s37, -1
.LBB63_189:
	s_mov_b32 s44, 0
.LBB63_190:
	s_delay_alu instid0(SALU_CYCLE_1)
	s_and_b32 vcc_lo, exec_lo, s44
	s_cbranch_vccz .LBB63_223
; %bb.191:
	s_cmp_gt_i32 s36, 22
	s_cbranch_scc0 .LBB63_199
; %bb.192:
	s_cmp_lt_i32 s36, 24
	s_cbranch_scc1 .LBB63_202
; %bb.193:
	s_cmp_gt_i32 s36, 24
	s_cbranch_scc0 .LBB63_203
; %bb.194:
	global_load_u8 v5, v[6:7], off
	s_mov_b32 s44, 0
	s_mov_b32 s37, exec_lo
	s_wait_loadcnt 0x0
	v_cmpx_lt_i16_e32 0x7f, v5
	s_xor_b32 s37, exec_lo, s37
	s_cbranch_execz .LBB63_215
; %bb.195:
	v_cmp_ne_u16_e32 vcc_lo, 0x80, v5
	s_and_b32 s44, vcc_lo, exec_lo
	s_and_not1_saveexec_b32 s37, s37
	s_cbranch_execnz .LBB63_216
.LBB63_196:
	s_or_b32 exec_lo, exec_lo, s37
	v_mov_b32_e32 v3, 0
	s_and_saveexec_b32 s37, s44
	s_cbranch_execz .LBB63_198
.LBB63_197:
	v_and_b32_e32 v3, 0xffff, v5
	s_delay_alu instid0(VALU_DEP_1) | instskip(SKIP_1) | instid1(VALU_DEP_2)
	v_and_b32_e32 v8, 3, v3
	v_bfe_u32 v11, v3, 2, 5
	v_clz_i32_u32_e32 v9, v8
	s_delay_alu instid0(VALU_DEP_2) | instskip(NEXT) | instid1(VALU_DEP_2)
	v_cmp_eq_u32_e32 vcc_lo, 0, v11
	v_min_u32_e32 v9, 32, v9
	s_delay_alu instid0(VALU_DEP_1) | instskip(NEXT) | instid1(VALU_DEP_1)
	v_subrev_nc_u32_e32 v10, 29, v9
	v_dual_lshlrev_b32 v3, v10, v3 :: v_dual_sub_nc_u32 v9, 30, v9
	s_delay_alu instid0(VALU_DEP_1) | instskip(NEXT) | instid1(VALU_DEP_1)
	v_dual_lshlrev_b32 v5, 24, v5 :: v_dual_bitop2_b32 v3, 3, v3 bitop3:0x40
	v_dual_cndmask_b32 v3, v8, v3, vcc_lo :: v_dual_cndmask_b32 v9, v11, v9, vcc_lo
	s_delay_alu instid0(VALU_DEP_2) | instskip(NEXT) | instid1(VALU_DEP_2)
	v_and_b32_e32 v5, 0x80000000, v5
	v_lshlrev_b32_e32 v3, 21, v3
	s_delay_alu instid0(VALU_DEP_3) | instskip(NEXT) | instid1(VALU_DEP_1)
	v_lshl_add_u32 v8, v9, 23, 0x37800000
	v_or3_b32 v3, v5, v8, v3
	s_delay_alu instid0(VALU_DEP_1)
	v_cvt_i32_f32_e32 v3, v3
.LBB63_198:
	s_or_b32 exec_lo, exec_lo, s37
	s_mov_b32 s37, 0
	s_branch .LBB63_204
.LBB63_199:
	s_mov_b32 s44, -1
                                        ; implicit-def: $vgpr3
	s_branch .LBB63_210
.LBB63_200:
	s_and_not1_saveexec_b32 s37, s37
	s_cbranch_execz .LBB63_185
.LBB63_201:
	v_cmp_ne_u16_e32 vcc_lo, 0, v5
	s_and_not1_b32 s44, s44, exec_lo
	s_and_b32 s48, vcc_lo, exec_lo
	s_delay_alu instid0(SALU_CYCLE_1)
	s_or_b32 s44, s44, s48
	s_or_b32 exec_lo, exec_lo, s37
	v_mov_b32_e32 v3, 0
	s_and_saveexec_b32 s37, s44
	s_cbranch_execnz .LBB63_186
	s_branch .LBB63_187
.LBB63_202:
	s_mov_b32 s37, -1
                                        ; implicit-def: $vgpr3
	s_branch .LBB63_207
.LBB63_203:
	s_mov_b32 s37, -1
                                        ; implicit-def: $vgpr3
.LBB63_204:
	s_delay_alu instid0(SALU_CYCLE_1)
	s_and_b32 vcc_lo, exec_lo, s37
	s_cbranch_vccz .LBB63_206
; %bb.205:
	s_wait_loadcnt 0x0
	global_load_u8 v3, v[6:7], off
	s_wait_loadcnt 0x0
	v_lshlrev_b32_e32 v3, 24, v3
	s_delay_alu instid0(VALU_DEP_1) | instskip(NEXT) | instid1(VALU_DEP_1)
	v_and_b32_e32 v5, 0x7f000000, v3
	v_clz_i32_u32_e32 v8, v5
	v_cmp_ne_u32_e32 vcc_lo, 0, v5
	v_add_nc_u32_e32 v10, 0x1000000, v5
	s_delay_alu instid0(VALU_DEP_3) | instskip(NEXT) | instid1(VALU_DEP_1)
	v_min_u32_e32 v8, 32, v8
	v_sub_nc_u32_e64 v8, v8, 4 clamp
	s_delay_alu instid0(VALU_DEP_1) | instskip(NEXT) | instid1(VALU_DEP_1)
	v_dual_lshlrev_b32 v9, v8, v5 :: v_dual_lshlrev_b32 v8, 23, v8
	v_lshrrev_b32_e32 v9, 4, v9
	s_delay_alu instid0(VALU_DEP_1) | instskip(NEXT) | instid1(VALU_DEP_1)
	v_dual_sub_nc_u32 v8, v9, v8 :: v_dual_ashrrev_i32 v9, 8, v10
	v_add_nc_u32_e32 v8, 0x3c000000, v8
	s_delay_alu instid0(VALU_DEP_1) | instskip(NEXT) | instid1(VALU_DEP_1)
	v_and_or_b32 v8, 0x7f800000, v9, v8
	v_cndmask_b32_e32 v5, 0, v8, vcc_lo
	s_delay_alu instid0(VALU_DEP_1) | instskip(NEXT) | instid1(VALU_DEP_1)
	v_and_or_b32 v3, 0x80000000, v3, v5
	v_cvt_i32_f32_e32 v3, v3
.LBB63_206:
	s_mov_b32 s37, 0
.LBB63_207:
	s_delay_alu instid0(SALU_CYCLE_1)
	s_and_not1_b32 vcc_lo, exec_lo, s37
	s_cbranch_vccnz .LBB63_209
; %bb.208:
	s_wait_loadcnt 0x0
	global_load_u8 v3, v[6:7], off
	s_wait_loadcnt 0x0
	v_lshlrev_b32_e32 v5, 25, v3
	v_lshlrev_b16 v3, 8, v3
	s_delay_alu instid0(VALU_DEP_1) | instskip(SKIP_1) | instid1(VALU_DEP_2)
	v_and_or_b32 v9, 0x7f00, v3, 0.5
	v_bfe_i32 v3, v3, 0, 16
	v_add_f32_e32 v9, -0.5, v9
	v_lshrrev_b32_e32 v8, 4, v5
	v_cmp_gt_u32_e32 vcc_lo, 0x8000000, v5
	s_delay_alu instid0(VALU_DEP_2) | instskip(NEXT) | instid1(VALU_DEP_1)
	v_or_b32_e32 v8, 0x70000000, v8
	v_mul_f32_e32 v8, 0x7800000, v8
	s_delay_alu instid0(VALU_DEP_1) | instskip(NEXT) | instid1(VALU_DEP_1)
	v_cndmask_b32_e32 v5, v8, v9, vcc_lo
	v_and_or_b32 v3, 0x80000000, v3, v5
	s_delay_alu instid0(VALU_DEP_1)
	v_cvt_i32_f32_e32 v3, v3
.LBB63_209:
	s_mov_b32 s44, 0
	s_mov_b32 s37, -1
.LBB63_210:
	s_and_not1_b32 vcc_lo, exec_lo, s44
	s_cbranch_vccnz .LBB63_223
; %bb.211:
	s_cmp_gt_i32 s36, 14
	s_cbranch_scc0 .LBB63_214
; %bb.212:
	s_cmp_eq_u32 s36, 15
	s_cbranch_scc0 .LBB63_217
; %bb.213:
	s_wait_loadcnt 0x0
	global_load_u16 v3, v[6:7], off
	s_mov_b32 s37, -1
	s_mov_b32 s35, 0
	s_wait_loadcnt 0x0
	v_lshlrev_b32_e32 v3, 16, v3
	s_delay_alu instid0(VALU_DEP_1)
	v_cvt_i32_f32_e32 v3, v3
	s_branch .LBB63_218
.LBB63_214:
	s_mov_b32 s44, -1
                                        ; implicit-def: $vgpr3
	s_branch .LBB63_219
.LBB63_215:
	s_and_not1_saveexec_b32 s37, s37
	s_cbranch_execz .LBB63_196
.LBB63_216:
	v_cmp_ne_u16_e32 vcc_lo, 0, v5
	s_and_not1_b32 s44, s44, exec_lo
	s_and_b32 s48, vcc_lo, exec_lo
	s_delay_alu instid0(SALU_CYCLE_1)
	s_or_b32 s44, s44, s48
	s_or_b32 exec_lo, exec_lo, s37
	v_mov_b32_e32 v3, 0
	s_and_saveexec_b32 s37, s44
	s_cbranch_execnz .LBB63_197
	s_branch .LBB63_198
.LBB63_217:
	s_mov_b32 s35, -1
                                        ; implicit-def: $vgpr3
.LBB63_218:
	s_mov_b32 s44, 0
.LBB63_219:
	s_delay_alu instid0(SALU_CYCLE_1)
	s_and_b32 vcc_lo, exec_lo, s44
	s_cbranch_vccz .LBB63_223
; %bb.220:
	s_cmp_eq_u32 s36, 11
	s_cbranch_scc0 .LBB63_222
; %bb.221:
	s_wait_loadcnt 0x0
	global_load_u8 v3, v[6:7], off
	s_mov_b32 s35, 0
	s_mov_b32 s37, -1
	s_wait_loadcnt 0x0
	v_cmp_ne_u16_e32 vcc_lo, 0, v3
	v_cndmask_b32_e64 v3, 0, 1, vcc_lo
	s_branch .LBB63_223
.LBB63_222:
	s_mov_b32 s35, -1
                                        ; implicit-def: $vgpr3
.LBB63_223:
	s_branch .LBB63_31
.LBB63_224:
	s_and_b32 s0, 0xffff, s0
	s_delay_alu instid0(SALU_CYCLE_1)
	s_cmp_lt_i32 s0, 5
	s_cbranch_scc1 .LBB63_229
; %bb.225:
	s_cmp_lt_i32 s0, 8
	s_cbranch_scc1 .LBB63_230
; %bb.226:
	;; [unrolled: 3-line block ×3, first 2 shown]
	s_cmp_gt_i32 s0, 9
	s_cbranch_scc0 .LBB63_232
; %bb.228:
	global_load_b64 v[8:9], v[6:7], off
	s_mov_b32 s36, 0
	s_wait_loadcnt 0x0
	v_cvt_i32_f64_e32 v3, v[8:9]
	s_branch .LBB63_233
.LBB63_229:
	s_mov_b32 s36, -1
                                        ; implicit-def: $vgpr3
	s_branch .LBB63_251
.LBB63_230:
	s_mov_b32 s36, -1
                                        ; implicit-def: $vgpr3
	s_branch .LBB63_239
.LBB63_231:
	s_mov_b32 s36, -1
                                        ; implicit-def: $vgpr3
	s_branch .LBB63_236
.LBB63_232:
	s_mov_b32 s36, -1
                                        ; implicit-def: $vgpr3
.LBB63_233:
	s_delay_alu instid0(SALU_CYCLE_1)
	s_and_not1_b32 vcc_lo, exec_lo, s36
	s_cbranch_vccnz .LBB63_235
; %bb.234:
	s_wait_loadcnt 0x0
	global_load_b32 v3, v[6:7], off
	s_wait_loadcnt 0x0
	v_cvt_i32_f32_e32 v3, v3
.LBB63_235:
	s_mov_b32 s36, 0
.LBB63_236:
	s_delay_alu instid0(SALU_CYCLE_1)
	s_and_not1_b32 vcc_lo, exec_lo, s36
	s_cbranch_vccnz .LBB63_238
; %bb.237:
	s_wait_loadcnt 0x0
	global_load_b32 v3, v[6:7], off
	s_wait_loadcnt 0x0
	v_cvt_f32_f16_e32 v3, v3
	s_delay_alu instid0(VALU_DEP_1)
	v_cvt_i32_f32_e32 v3, v3
.LBB63_238:
	s_mov_b32 s36, 0
.LBB63_239:
	s_delay_alu instid0(SALU_CYCLE_1)
	s_and_not1_b32 vcc_lo, exec_lo, s36
	s_cbranch_vccnz .LBB63_250
; %bb.240:
	s_cmp_lt_i32 s0, 6
	s_cbranch_scc1 .LBB63_243
; %bb.241:
	s_cmp_gt_i32 s0, 6
	s_cbranch_scc0 .LBB63_244
; %bb.242:
	global_load_b64 v[8:9], v[6:7], off
	s_mov_b32 s36, 0
	s_wait_loadcnt 0x0
	v_cvt_i32_f64_e32 v3, v[8:9]
	s_branch .LBB63_245
.LBB63_243:
	s_mov_b32 s36, -1
                                        ; implicit-def: $vgpr3
	s_branch .LBB63_248
.LBB63_244:
	s_mov_b32 s36, -1
                                        ; implicit-def: $vgpr3
.LBB63_245:
	s_delay_alu instid0(SALU_CYCLE_1)
	s_and_not1_b32 vcc_lo, exec_lo, s36
	s_cbranch_vccnz .LBB63_247
; %bb.246:
	s_wait_loadcnt 0x0
	global_load_b32 v3, v[6:7], off
	s_wait_loadcnt 0x0
	v_cvt_i32_f32_e32 v3, v3
.LBB63_247:
	s_mov_b32 s36, 0
.LBB63_248:
	s_delay_alu instid0(SALU_CYCLE_1)
	s_and_not1_b32 vcc_lo, exec_lo, s36
	s_cbranch_vccnz .LBB63_250
; %bb.249:
	s_wait_loadcnt 0x0
	global_load_u16 v3, v[6:7], off
	s_wait_loadcnt 0x0
	v_cvt_f32_f16_e32 v3, v3
	s_delay_alu instid0(VALU_DEP_1)
	v_cvt_i32_f32_e32 v3, v3
.LBB63_250:
	s_mov_b32 s36, 0
.LBB63_251:
	s_delay_alu instid0(SALU_CYCLE_1)
	s_and_not1_b32 vcc_lo, exec_lo, s36
	s_cbranch_vccnz .LBB63_271
; %bb.252:
	s_cmp_lt_i32 s0, 2
	s_cbranch_scc1 .LBB63_256
; %bb.253:
	s_cmp_lt_i32 s0, 3
	s_cbranch_scc1 .LBB63_257
; %bb.254:
	s_cmp_gt_i32 s0, 3
	s_cbranch_scc0 .LBB63_258
; %bb.255:
	s_wait_loadcnt 0x0
	global_load_b32 v3, v[6:7], off
	s_mov_b32 s36, 0
	s_branch .LBB63_259
.LBB63_256:
	s_mov_b32 s36, -1
                                        ; implicit-def: $vgpr3
	s_branch .LBB63_265
.LBB63_257:
	s_mov_b32 s36, -1
                                        ; implicit-def: $vgpr3
	s_branch .LBB63_262
.LBB63_258:
	s_mov_b32 s36, -1
                                        ; implicit-def: $vgpr3
.LBB63_259:
	s_delay_alu instid0(SALU_CYCLE_1)
	s_and_not1_b32 vcc_lo, exec_lo, s36
	s_cbranch_vccnz .LBB63_261
; %bb.260:
	s_wait_loadcnt 0x0
	global_load_b32 v3, v[6:7], off
.LBB63_261:
	s_mov_b32 s36, 0
.LBB63_262:
	s_delay_alu instid0(SALU_CYCLE_1)
	s_and_not1_b32 vcc_lo, exec_lo, s36
	s_cbranch_vccnz .LBB63_264
; %bb.263:
	s_wait_loadcnt 0x0
	global_load_i16 v3, v[6:7], off
.LBB63_264:
	s_mov_b32 s36, 0
.LBB63_265:
	s_delay_alu instid0(SALU_CYCLE_1)
	s_and_not1_b32 vcc_lo, exec_lo, s36
	s_cbranch_vccnz .LBB63_271
; %bb.266:
	s_cmp_gt_i32 s0, 0
	s_mov_b32 s0, 0
	s_cbranch_scc0 .LBB63_268
; %bb.267:
	s_wait_loadcnt 0x0
	global_load_i8 v3, v[6:7], off
	s_branch .LBB63_269
.LBB63_268:
	s_mov_b32 s0, -1
                                        ; implicit-def: $vgpr3
.LBB63_269:
	s_delay_alu instid0(SALU_CYCLE_1)
	s_and_not1_b32 vcc_lo, exec_lo, s0
	s_cbranch_vccnz .LBB63_271
; %bb.270:
	s_wait_loadcnt 0x0
	global_load_u8 v3, v[6:7], off
.LBB63_271:
	s_branch .LBB63_32
.LBB63_272:
	s_mov_b32 s0, 0
	s_mov_b32 s36, 0
	s_branch .LBB63_509
.LBB63_273:
	s_mov_b32 s36, -1
.LBB63_274:
	s_mov_b32 s37, 0
                                        ; implicit-def: $vgpr6
.LBB63_275:
	s_and_b32 vcc_lo, exec_lo, s44
	s_cbranch_vccz .LBB63_279
; %bb.276:
	s_cmp_eq_u32 s0, 44
	s_cbranch_scc0 .LBB63_278
; %bb.277:
	global_load_u8 v6, v[4:5], off
	s_mov_b32 s36, 0
	s_mov_b32 s37, -1
	s_wait_loadcnt 0x0
	v_lshlrev_b32_e32 v7, 23, v6
	v_cmp_ne_u32_e32 vcc_lo, 0, v6
	s_delay_alu instid0(VALU_DEP_2) | instskip(NEXT) | instid1(VALU_DEP_1)
	v_cvt_i32_f32_e32 v7, v7
	v_cndmask_b32_e32 v6, 0, v7, vcc_lo
	s_branch .LBB63_279
.LBB63_278:
	s_mov_b32 s36, -1
                                        ; implicit-def: $vgpr6
.LBB63_279:
	s_mov_b32 s44, 0
.LBB63_280:
	s_delay_alu instid0(SALU_CYCLE_1)
	s_and_b32 vcc_lo, exec_lo, s44
	s_cbranch_vccz .LBB63_284
; %bb.281:
	s_cmp_eq_u32 s0, 29
	s_cbranch_scc0 .LBB63_283
; %bb.282:
	global_load_b32 v6, v[4:5], off
	s_mov_b32 s37, -1
	s_mov_b32 s36, 0
	s_branch .LBB63_284
.LBB63_283:
	s_mov_b32 s36, -1
                                        ; implicit-def: $vgpr6
.LBB63_284:
	s_mov_b32 s44, 0
.LBB63_285:
	s_delay_alu instid0(SALU_CYCLE_1)
	s_and_b32 vcc_lo, exec_lo, s44
	s_cbranch_vccz .LBB63_301
; %bb.286:
	s_cmp_lt_i32 s0, 27
	s_cbranch_scc1 .LBB63_289
; %bb.287:
	s_cmp_gt_i32 s0, 27
	s_cbranch_scc0 .LBB63_290
; %bb.288:
	s_wait_loadcnt 0x0
	global_load_b32 v6, v[4:5], off
	s_mov_b32 s37, 0
	s_branch .LBB63_291
.LBB63_289:
	s_mov_b32 s37, -1
                                        ; implicit-def: $vgpr6
	s_branch .LBB63_294
.LBB63_290:
	s_mov_b32 s37, -1
                                        ; implicit-def: $vgpr6
.LBB63_291:
	s_delay_alu instid0(SALU_CYCLE_1)
	s_and_not1_b32 vcc_lo, exec_lo, s37
	s_cbranch_vccnz .LBB63_293
; %bb.292:
	s_wait_loadcnt 0x0
	global_load_u16 v6, v[4:5], off
.LBB63_293:
	s_mov_b32 s37, 0
.LBB63_294:
	s_delay_alu instid0(SALU_CYCLE_1)
	s_and_not1_b32 vcc_lo, exec_lo, s37
	s_cbranch_vccnz .LBB63_300
; %bb.295:
	global_load_u8 v7, v[4:5], off
	s_mov_b32 s44, 0
	s_mov_b32 s37, exec_lo
	s_wait_loadcnt 0x0
	v_cmpx_lt_i16_e32 0x7f, v7
	s_xor_b32 s37, exec_lo, s37
	s_cbranch_execz .LBB63_312
; %bb.296:
	v_cmp_ne_u16_e32 vcc_lo, 0x80, v7
	s_and_b32 s44, vcc_lo, exec_lo
	s_and_not1_saveexec_b32 s37, s37
	s_cbranch_execnz .LBB63_313
.LBB63_297:
	s_or_b32 exec_lo, exec_lo, s37
	v_mov_b32_e32 v6, 0
	s_and_saveexec_b32 s37, s44
	s_cbranch_execz .LBB63_299
.LBB63_298:
	v_and_b32_e32 v6, 0xffff, v7
	s_delay_alu instid0(VALU_DEP_1) | instskip(SKIP_1) | instid1(VALU_DEP_2)
	v_and_b32_e32 v8, 7, v6
	v_bfe_u32 v11, v6, 3, 4
	v_clz_i32_u32_e32 v9, v8
	s_delay_alu instid0(VALU_DEP_2) | instskip(NEXT) | instid1(VALU_DEP_2)
	v_cmp_eq_u32_e32 vcc_lo, 0, v11
	v_min_u32_e32 v9, 32, v9
	s_delay_alu instid0(VALU_DEP_1) | instskip(NEXT) | instid1(VALU_DEP_1)
	v_subrev_nc_u32_e32 v10, 28, v9
	v_dual_lshlrev_b32 v6, v10, v6 :: v_dual_sub_nc_u32 v9, 29, v9
	s_delay_alu instid0(VALU_DEP_1) | instskip(NEXT) | instid1(VALU_DEP_1)
	v_dual_lshlrev_b32 v7, 24, v7 :: v_dual_bitop2_b32 v6, 7, v6 bitop3:0x40
	v_dual_cndmask_b32 v9, v11, v9 :: v_dual_cndmask_b32 v6, v8, v6
	s_delay_alu instid0(VALU_DEP_2) | instskip(NEXT) | instid1(VALU_DEP_2)
	v_and_b32_e32 v7, 0x80000000, v7
	v_lshl_add_u32 v8, v9, 23, 0x3b800000
	s_delay_alu instid0(VALU_DEP_3) | instskip(NEXT) | instid1(VALU_DEP_1)
	v_lshlrev_b32_e32 v6, 20, v6
	v_or3_b32 v6, v7, v8, v6
	s_delay_alu instid0(VALU_DEP_1)
	v_cvt_i32_f32_e32 v6, v6
.LBB63_299:
	s_or_b32 exec_lo, exec_lo, s37
.LBB63_300:
	s_mov_b32 s37, -1
.LBB63_301:
	s_mov_b32 s44, 0
.LBB63_302:
	s_delay_alu instid0(SALU_CYCLE_1)
	s_and_b32 vcc_lo, exec_lo, s44
	s_cbranch_vccz .LBB63_335
; %bb.303:
	s_cmp_gt_i32 s0, 22
	s_cbranch_scc0 .LBB63_311
; %bb.304:
	s_cmp_lt_i32 s0, 24
	s_cbranch_scc1 .LBB63_314
; %bb.305:
	s_cmp_gt_i32 s0, 24
	s_cbranch_scc0 .LBB63_315
; %bb.306:
	global_load_u8 v7, v[4:5], off
	s_mov_b32 s44, 0
	s_mov_b32 s37, exec_lo
	s_wait_loadcnt 0x0
	v_cmpx_lt_i16_e32 0x7f, v7
	s_xor_b32 s37, exec_lo, s37
	s_cbranch_execz .LBB63_327
; %bb.307:
	v_cmp_ne_u16_e32 vcc_lo, 0x80, v7
	s_and_b32 s44, vcc_lo, exec_lo
	s_and_not1_saveexec_b32 s37, s37
	s_cbranch_execnz .LBB63_328
.LBB63_308:
	s_or_b32 exec_lo, exec_lo, s37
	v_mov_b32_e32 v6, 0
	s_and_saveexec_b32 s37, s44
	s_cbranch_execz .LBB63_310
.LBB63_309:
	v_and_b32_e32 v6, 0xffff, v7
	s_delay_alu instid0(VALU_DEP_1) | instskip(SKIP_1) | instid1(VALU_DEP_2)
	v_and_b32_e32 v8, 3, v6
	v_bfe_u32 v11, v6, 2, 5
	v_clz_i32_u32_e32 v9, v8
	s_delay_alu instid0(VALU_DEP_2) | instskip(NEXT) | instid1(VALU_DEP_2)
	v_cmp_eq_u32_e32 vcc_lo, 0, v11
	v_min_u32_e32 v9, 32, v9
	s_delay_alu instid0(VALU_DEP_1) | instskip(NEXT) | instid1(VALU_DEP_1)
	v_subrev_nc_u32_e32 v10, 29, v9
	v_dual_lshlrev_b32 v6, v10, v6 :: v_dual_sub_nc_u32 v9, 30, v9
	s_delay_alu instid0(VALU_DEP_1) | instskip(NEXT) | instid1(VALU_DEP_1)
	v_dual_lshlrev_b32 v7, 24, v7 :: v_dual_bitop2_b32 v6, 3, v6 bitop3:0x40
	v_dual_cndmask_b32 v9, v11, v9 :: v_dual_cndmask_b32 v6, v8, v6
	s_delay_alu instid0(VALU_DEP_2) | instskip(NEXT) | instid1(VALU_DEP_2)
	v_and_b32_e32 v7, 0x80000000, v7
	v_lshl_add_u32 v8, v9, 23, 0x37800000
	s_delay_alu instid0(VALU_DEP_3) | instskip(NEXT) | instid1(VALU_DEP_1)
	v_lshlrev_b32_e32 v6, 21, v6
	v_or3_b32 v6, v7, v8, v6
	s_delay_alu instid0(VALU_DEP_1)
	v_cvt_i32_f32_e32 v6, v6
.LBB63_310:
	s_or_b32 exec_lo, exec_lo, s37
	s_mov_b32 s37, 0
	s_branch .LBB63_316
.LBB63_311:
	s_mov_b32 s44, -1
                                        ; implicit-def: $vgpr6
	s_branch .LBB63_322
.LBB63_312:
	s_and_not1_saveexec_b32 s37, s37
	s_cbranch_execz .LBB63_297
.LBB63_313:
	v_cmp_ne_u16_e32 vcc_lo, 0, v7
	s_and_not1_b32 s44, s44, exec_lo
	s_and_b32 s48, vcc_lo, exec_lo
	s_delay_alu instid0(SALU_CYCLE_1)
	s_or_b32 s44, s44, s48
	s_or_b32 exec_lo, exec_lo, s37
	v_mov_b32_e32 v6, 0
	s_and_saveexec_b32 s37, s44
	s_cbranch_execnz .LBB63_298
	s_branch .LBB63_299
.LBB63_314:
	s_mov_b32 s37, -1
                                        ; implicit-def: $vgpr6
	s_branch .LBB63_319
.LBB63_315:
	s_mov_b32 s37, -1
                                        ; implicit-def: $vgpr6
.LBB63_316:
	s_delay_alu instid0(SALU_CYCLE_1)
	s_and_b32 vcc_lo, exec_lo, s37
	s_cbranch_vccz .LBB63_318
; %bb.317:
	s_wait_loadcnt 0x0
	global_load_u8 v6, v[4:5], off
	s_wait_loadcnt 0x0
	v_lshlrev_b32_e32 v6, 24, v6
	s_delay_alu instid0(VALU_DEP_1) | instskip(NEXT) | instid1(VALU_DEP_1)
	v_and_b32_e32 v7, 0x7f000000, v6
	v_clz_i32_u32_e32 v8, v7
	v_cmp_ne_u32_e32 vcc_lo, 0, v7
	v_add_nc_u32_e32 v10, 0x1000000, v7
	s_delay_alu instid0(VALU_DEP_3) | instskip(NEXT) | instid1(VALU_DEP_1)
	v_min_u32_e32 v8, 32, v8
	v_sub_nc_u32_e64 v8, v8, 4 clamp
	s_delay_alu instid0(VALU_DEP_1) | instskip(NEXT) | instid1(VALU_DEP_1)
	v_dual_lshlrev_b32 v9, v8, v7 :: v_dual_lshlrev_b32 v8, 23, v8
	v_lshrrev_b32_e32 v9, 4, v9
	s_delay_alu instid0(VALU_DEP_1) | instskip(NEXT) | instid1(VALU_DEP_1)
	v_dual_sub_nc_u32 v8, v9, v8 :: v_dual_ashrrev_i32 v9, 8, v10
	v_add_nc_u32_e32 v8, 0x3c000000, v8
	s_delay_alu instid0(VALU_DEP_1) | instskip(NEXT) | instid1(VALU_DEP_1)
	v_and_or_b32 v8, 0x7f800000, v9, v8
	v_cndmask_b32_e32 v7, 0, v8, vcc_lo
	s_delay_alu instid0(VALU_DEP_1) | instskip(NEXT) | instid1(VALU_DEP_1)
	v_and_or_b32 v6, 0x80000000, v6, v7
	v_cvt_i32_f32_e32 v6, v6
.LBB63_318:
	s_mov_b32 s37, 0
.LBB63_319:
	s_delay_alu instid0(SALU_CYCLE_1)
	s_and_not1_b32 vcc_lo, exec_lo, s37
	s_cbranch_vccnz .LBB63_321
; %bb.320:
	s_wait_loadcnt 0x0
	global_load_u8 v6, v[4:5], off
	s_wait_loadcnt 0x0
	v_lshlrev_b32_e32 v7, 25, v6
	v_lshlrev_b16 v6, 8, v6
	s_delay_alu instid0(VALU_DEP_1) | instskip(SKIP_1) | instid1(VALU_DEP_2)
	v_and_or_b32 v9, 0x7f00, v6, 0.5
	v_bfe_i32 v6, v6, 0, 16
	v_dual_add_f32 v9, -0.5, v9 :: v_dual_lshrrev_b32 v8, 4, v7
	v_cmp_gt_u32_e32 vcc_lo, 0x8000000, v7
	s_delay_alu instid0(VALU_DEP_2) | instskip(NEXT) | instid1(VALU_DEP_1)
	v_or_b32_e32 v8, 0x70000000, v8
	v_mul_f32_e32 v8, 0x7800000, v8
	s_delay_alu instid0(VALU_DEP_1) | instskip(NEXT) | instid1(VALU_DEP_1)
	v_cndmask_b32_e32 v7, v8, v9, vcc_lo
	v_and_or_b32 v6, 0x80000000, v6, v7
	s_delay_alu instid0(VALU_DEP_1)
	v_cvt_i32_f32_e32 v6, v6
.LBB63_321:
	s_mov_b32 s44, 0
	s_mov_b32 s37, -1
.LBB63_322:
	s_and_not1_b32 vcc_lo, exec_lo, s44
	s_cbranch_vccnz .LBB63_335
; %bb.323:
	s_cmp_gt_i32 s0, 14
	s_cbranch_scc0 .LBB63_326
; %bb.324:
	s_cmp_eq_u32 s0, 15
	s_cbranch_scc0 .LBB63_329
; %bb.325:
	s_wait_loadcnt 0x0
	global_load_u16 v6, v[4:5], off
	s_mov_b32 s37, -1
	s_mov_b32 s36, 0
	s_wait_loadcnt 0x0
	v_lshlrev_b32_e32 v6, 16, v6
	s_delay_alu instid0(VALU_DEP_1)
	v_cvt_i32_f32_e32 v6, v6
	s_branch .LBB63_330
.LBB63_326:
	s_mov_b32 s44, -1
                                        ; implicit-def: $vgpr6
	s_branch .LBB63_331
.LBB63_327:
	s_and_not1_saveexec_b32 s37, s37
	s_cbranch_execz .LBB63_308
.LBB63_328:
	v_cmp_ne_u16_e32 vcc_lo, 0, v7
	s_and_not1_b32 s44, s44, exec_lo
	s_and_b32 s48, vcc_lo, exec_lo
	s_delay_alu instid0(SALU_CYCLE_1)
	s_or_b32 s44, s44, s48
	s_or_b32 exec_lo, exec_lo, s37
	v_mov_b32_e32 v6, 0
	s_and_saveexec_b32 s37, s44
	s_cbranch_execnz .LBB63_309
	s_branch .LBB63_310
.LBB63_329:
	s_mov_b32 s36, -1
                                        ; implicit-def: $vgpr6
.LBB63_330:
	s_mov_b32 s44, 0
.LBB63_331:
	s_delay_alu instid0(SALU_CYCLE_1)
	s_and_b32 vcc_lo, exec_lo, s44
	s_cbranch_vccz .LBB63_335
; %bb.332:
	s_cmp_eq_u32 s0, 11
	s_cbranch_scc0 .LBB63_334
; %bb.333:
	s_wait_loadcnt 0x0
	global_load_u8 v6, v[4:5], off
	s_mov_b32 s36, 0
	s_mov_b32 s37, -1
	s_wait_loadcnt 0x0
	v_cmp_ne_u16_e32 vcc_lo, 0, v6
	v_cndmask_b32_e64 v6, 0, 1, vcc_lo
	s_branch .LBB63_335
.LBB63_334:
	s_mov_b32 s36, -1
                                        ; implicit-def: $vgpr6
.LBB63_335:
	s_mov_b32 s44, 0
.LBB63_336:
	s_delay_alu instid0(SALU_CYCLE_1)
	s_and_b32 vcc_lo, exec_lo, s44
	s_cbranch_vccz .LBB63_385
; %bb.337:
	s_cmp_lt_i32 s0, 5
	s_cbranch_scc1 .LBB63_342
; %bb.338:
	s_cmp_lt_i32 s0, 8
	s_cbranch_scc1 .LBB63_343
	;; [unrolled: 3-line block ×3, first 2 shown]
; %bb.340:
	s_cmp_gt_i32 s0, 9
	s_cbranch_scc0 .LBB63_345
; %bb.341:
	s_wait_loadcnt 0x0
	global_load_b64 v[6:7], v[4:5], off
	s_mov_b32 s37, 0
	s_wait_loadcnt 0x0
	v_cvt_i32_f64_e32 v6, v[6:7]
	s_branch .LBB63_346
.LBB63_342:
	s_mov_b32 s37, -1
                                        ; implicit-def: $vgpr6
	s_branch .LBB63_364
.LBB63_343:
	s_mov_b32 s37, -1
                                        ; implicit-def: $vgpr6
	s_branch .LBB63_352
.LBB63_344:
	s_mov_b32 s37, -1
                                        ; implicit-def: $vgpr6
	s_branch .LBB63_349
.LBB63_345:
	s_mov_b32 s37, -1
                                        ; implicit-def: $vgpr6
.LBB63_346:
	s_delay_alu instid0(SALU_CYCLE_1)
	s_and_not1_b32 vcc_lo, exec_lo, s37
	s_cbranch_vccnz .LBB63_348
; %bb.347:
	s_wait_loadcnt 0x0
	global_load_b32 v6, v[4:5], off
	s_wait_loadcnt 0x0
	v_cvt_i32_f32_e32 v6, v6
.LBB63_348:
	s_mov_b32 s37, 0
.LBB63_349:
	s_delay_alu instid0(SALU_CYCLE_1)
	s_and_not1_b32 vcc_lo, exec_lo, s37
	s_cbranch_vccnz .LBB63_351
; %bb.350:
	s_wait_loadcnt 0x0
	global_load_b32 v6, v[4:5], off
	s_wait_loadcnt 0x0
	v_cvt_f32_f16_e32 v6, v6
	s_delay_alu instid0(VALU_DEP_1)
	v_cvt_i32_f32_e32 v6, v6
.LBB63_351:
	s_mov_b32 s37, 0
.LBB63_352:
	s_delay_alu instid0(SALU_CYCLE_1)
	s_and_not1_b32 vcc_lo, exec_lo, s37
	s_cbranch_vccnz .LBB63_363
; %bb.353:
	s_cmp_lt_i32 s0, 6
	s_cbranch_scc1 .LBB63_356
; %bb.354:
	s_cmp_gt_i32 s0, 6
	s_cbranch_scc0 .LBB63_357
; %bb.355:
	s_wait_loadcnt 0x0
	global_load_b64 v[6:7], v[4:5], off
	s_mov_b32 s37, 0
	s_wait_loadcnt 0x0
	v_cvt_i32_f64_e32 v6, v[6:7]
	s_branch .LBB63_358
.LBB63_356:
	s_mov_b32 s37, -1
                                        ; implicit-def: $vgpr6
	s_branch .LBB63_361
.LBB63_357:
	s_mov_b32 s37, -1
                                        ; implicit-def: $vgpr6
.LBB63_358:
	s_delay_alu instid0(SALU_CYCLE_1)
	s_and_not1_b32 vcc_lo, exec_lo, s37
	s_cbranch_vccnz .LBB63_360
; %bb.359:
	s_wait_loadcnt 0x0
	global_load_b32 v6, v[4:5], off
	s_wait_loadcnt 0x0
	v_cvt_i32_f32_e32 v6, v6
.LBB63_360:
	s_mov_b32 s37, 0
.LBB63_361:
	s_delay_alu instid0(SALU_CYCLE_1)
	s_and_not1_b32 vcc_lo, exec_lo, s37
	s_cbranch_vccnz .LBB63_363
; %bb.362:
	s_wait_loadcnt 0x0
	global_load_u16 v6, v[4:5], off
	s_wait_loadcnt 0x0
	v_cvt_f32_f16_e32 v6, v6
	s_delay_alu instid0(VALU_DEP_1)
	v_cvt_i32_f32_e32 v6, v6
.LBB63_363:
	s_mov_b32 s37, 0
.LBB63_364:
	s_delay_alu instid0(SALU_CYCLE_1)
	s_and_not1_b32 vcc_lo, exec_lo, s37
	s_cbranch_vccnz .LBB63_384
; %bb.365:
	s_cmp_lt_i32 s0, 2
	s_cbranch_scc1 .LBB63_369
; %bb.366:
	s_cmp_lt_i32 s0, 3
	s_cbranch_scc1 .LBB63_370
; %bb.367:
	s_cmp_gt_i32 s0, 3
	s_cbranch_scc0 .LBB63_371
; %bb.368:
	s_wait_loadcnt 0x0
	global_load_b32 v6, v[4:5], off
	s_mov_b32 s37, 0
	s_branch .LBB63_372
.LBB63_369:
	s_mov_b32 s37, -1
                                        ; implicit-def: $vgpr6
	s_branch .LBB63_378
.LBB63_370:
	s_mov_b32 s37, -1
                                        ; implicit-def: $vgpr6
	s_branch .LBB63_375
.LBB63_371:
	s_mov_b32 s37, -1
                                        ; implicit-def: $vgpr6
.LBB63_372:
	s_delay_alu instid0(SALU_CYCLE_1)
	s_and_not1_b32 vcc_lo, exec_lo, s37
	s_cbranch_vccnz .LBB63_374
; %bb.373:
	s_wait_loadcnt 0x0
	global_load_b32 v6, v[4:5], off
.LBB63_374:
	s_mov_b32 s37, 0
.LBB63_375:
	s_delay_alu instid0(SALU_CYCLE_1)
	s_and_not1_b32 vcc_lo, exec_lo, s37
	s_cbranch_vccnz .LBB63_377
; %bb.376:
	s_wait_loadcnt 0x0
	global_load_i16 v6, v[4:5], off
.LBB63_377:
	s_mov_b32 s37, 0
.LBB63_378:
	s_delay_alu instid0(SALU_CYCLE_1)
	s_and_not1_b32 vcc_lo, exec_lo, s37
	s_cbranch_vccnz .LBB63_384
; %bb.379:
	s_cmp_gt_i32 s0, 0
	s_mov_b32 s0, 0
	s_cbranch_scc0 .LBB63_381
; %bb.380:
	s_wait_loadcnt 0x0
	global_load_i8 v6, v[4:5], off
	s_branch .LBB63_382
.LBB63_381:
	s_mov_b32 s0, -1
                                        ; implicit-def: $vgpr6
.LBB63_382:
	s_delay_alu instid0(SALU_CYCLE_1)
	s_and_not1_b32 vcc_lo, exec_lo, s0
	s_cbranch_vccnz .LBB63_384
; %bb.383:
	s_wait_loadcnt 0x0
	global_load_u8 v6, v[4:5], off
.LBB63_384:
	s_mov_b32 s37, -1
.LBB63_385:
	s_delay_alu instid0(SALU_CYCLE_1)
	s_and_not1_b32 vcc_lo, exec_lo, s37
	s_cbranch_vccnz .LBB63_393
; %bb.386:
	s_wait_loadcnt 0x0
	v_mul_lo_u32 v1, v1, s24
	s_delay_alu instid0(VALU_DEP_4) | instskip(SKIP_2) | instid1(SALU_CYCLE_1)
	v_mul_lo_u32 v4, v3, s25
	v_mov_b32_e32 v3, 0
	s_and_b32 s37, s26, 0xff
	s_cmp_lt_i32 s37, 11
	s_delay_alu instid0(VALU_DEP_1) | instskip(NEXT) | instid1(VALU_DEP_3)
	v_add_nc_u64_e32 v[2:3], s[4:5], v[2:3]
	v_mad_u32 v4, v4, v6, v1
	s_cbranch_scc1 .LBB63_394
; %bb.387:
	s_and_b32 s44, 0xffff, s37
	s_delay_alu instid0(SALU_CYCLE_1)
	s_cmp_gt_i32 s44, 25
	s_cbranch_scc0 .LBB63_395
; %bb.388:
	s_cmp_gt_i32 s44, 28
	s_cbranch_scc0 .LBB63_396
; %bb.389:
	;; [unrolled: 3-line block ×4, first 2 shown]
	s_mov_b32 s49, 0
	s_mov_b32 s0, -1
	s_cmp_eq_u32 s44, 46
	s_mov_b32 s48, 0
	s_cbranch_scc0 .LBB63_399
; %bb.392:
	v_cvt_f32_i32_e32 v1, v4
	s_mov_b32 s48, -1
	s_mov_b32 s0, 0
	s_delay_alu instid0(VALU_DEP_1) | instskip(NEXT) | instid1(VALU_DEP_1)
	v_bfe_u32 v5, v1, 16, 1
	v_add3_u32 v1, v1, v5, 0x7fff
	s_delay_alu instid0(VALU_DEP_1)
	v_lshrrev_b32_e32 v1, 16, v1
	global_store_b32 v[2:3], v1, off
	s_branch .LBB63_399
.LBB63_393:
	s_mov_b32 s0, 0
	s_branch .LBB63_509
.LBB63_394:
	s_mov_b32 s44, -1
	s_mov_b32 s0, 0
	s_mov_b32 s48, 0
	s_branch .LBB63_468
.LBB63_395:
	s_mov_b32 s49, -1
	s_mov_b32 s0, 0
	s_mov_b32 s48, 0
	s_branch .LBB63_426
.LBB63_396:
	s_mov_b32 s49, -1
	s_mov_b32 s0, 0
	s_mov_b32 s48, 0
	s_branch .LBB63_409
.LBB63_397:
	s_mov_b32 s49, -1
	s_mov_b32 s0, 0
	s_mov_b32 s48, 0
	s_branch .LBB63_405
.LBB63_398:
	s_mov_b32 s49, -1
	s_mov_b32 s0, 0
	s_mov_b32 s48, 0
.LBB63_399:
	s_and_b32 vcc_lo, exec_lo, s49
	s_cbranch_vccz .LBB63_404
; %bb.400:
	s_cmp_eq_u32 s44, 44
	s_mov_b32 s0, -1
	s_cbranch_scc0 .LBB63_404
; %bb.401:
	s_wait_xcnt 0x0
	v_cvt_f32_i32_e32 v1, v4
	v_mov_b32_e32 v5, 0xff
	s_mov_b32 s48, exec_lo
	s_delay_alu instid0(VALU_DEP_2) | instskip(NEXT) | instid1(VALU_DEP_1)
	v_bfe_u32 v6, v1, 23, 8
	v_cmpx_ne_u32_e32 0xff, v6
	s_cbranch_execz .LBB63_403
; %bb.402:
	v_and_b32_e32 v5, 0x400000, v1
	v_and_or_b32 v6, 0x3fffff, v1, v6
	v_lshrrev_b32_e32 v1, 23, v1
	s_delay_alu instid0(VALU_DEP_3) | instskip(NEXT) | instid1(VALU_DEP_3)
	v_cmp_ne_u32_e32 vcc_lo, 0, v5
	v_cmp_ne_u32_e64 s0, 0, v6
	s_and_b32 s0, vcc_lo, s0
	s_delay_alu instid0(SALU_CYCLE_1) | instskip(NEXT) | instid1(VALU_DEP_1)
	v_cndmask_b32_e64 v5, 0, 1, s0
	v_add_nc_u32_e32 v5, v1, v5
.LBB63_403:
	s_or_b32 exec_lo, exec_lo, s48
	s_mov_b32 s48, -1
	s_mov_b32 s0, 0
	global_store_b8 v[2:3], v5, off
.LBB63_404:
	s_mov_b32 s49, 0
.LBB63_405:
	s_delay_alu instid0(SALU_CYCLE_1)
	s_and_b32 vcc_lo, exec_lo, s49
	s_cbranch_vccz .LBB63_408
; %bb.406:
	s_cmp_eq_u32 s44, 29
	s_mov_b32 s0, -1
	s_cbranch_scc0 .LBB63_408
; %bb.407:
	s_wait_xcnt 0x0
	v_ashrrev_i32_e32 v5, 31, v4
	s_mov_b32 s48, -1
	s_mov_b32 s0, 0
	s_mov_b32 s49, 0
	global_store_b64 v[2:3], v[4:5], off
	s_branch .LBB63_409
.LBB63_408:
	s_mov_b32 s49, 0
.LBB63_409:
	s_delay_alu instid0(SALU_CYCLE_1)
	s_and_b32 vcc_lo, exec_lo, s49
	s_cbranch_vccz .LBB63_425
; %bb.410:
	s_cmp_lt_i32 s44, 27
	s_mov_b32 s48, -1
	s_cbranch_scc1 .LBB63_416
; %bb.411:
	s_cmp_gt_i32 s44, 27
	s_cbranch_scc0 .LBB63_413
; %bb.412:
	s_mov_b32 s48, 0
	global_store_b32 v[2:3], v4, off
.LBB63_413:
	s_and_not1_b32 vcc_lo, exec_lo, s48
	s_cbranch_vccnz .LBB63_415
; %bb.414:
	global_store_b16 v[2:3], v4, off
.LBB63_415:
	s_mov_b32 s48, 0
.LBB63_416:
	s_delay_alu instid0(SALU_CYCLE_1)
	s_and_not1_b32 vcc_lo, exec_lo, s48
	s_cbranch_vccnz .LBB63_424
; %bb.417:
	s_wait_xcnt 0x0
	v_cvt_f32_i32_e32 v1, v4
	v_mov_b32_e32 v6, 0x80
	s_mov_b32 s48, exec_lo
	s_delay_alu instid0(VALU_DEP_2) | instskip(NEXT) | instid1(VALU_DEP_1)
	v_and_b32_e32 v5, 0x7fffffff, v1
	v_cmpx_gt_u32_e32 0x43800000, v5
	s_cbranch_execz .LBB63_423
; %bb.418:
	v_cmp_lt_u32_e32 vcc_lo, 0x3bffffff, v5
	s_mov_b32 s49, 0
                                        ; implicit-def: $vgpr5
	s_and_saveexec_b32 s50, vcc_lo
	s_delay_alu instid0(SALU_CYCLE_1)
	s_xor_b32 s50, exec_lo, s50
	s_cbranch_execz .LBB63_664
; %bb.419:
	v_bfe_u32 v5, v1, 20, 1
	s_mov_b32 s49, exec_lo
	s_delay_alu instid0(VALU_DEP_1) | instskip(NEXT) | instid1(VALU_DEP_1)
	v_add3_u32 v5, v1, v5, 0x487ffff
	v_lshrrev_b32_e32 v5, 20, v5
	s_and_not1_saveexec_b32 s50, s50
	s_cbranch_execnz .LBB63_665
.LBB63_420:
	s_or_b32 exec_lo, exec_lo, s50
	v_mov_b32_e32 v6, 0
	s_and_saveexec_b32 s50, s49
.LBB63_421:
	v_lshrrev_b32_e32 v1, 24, v1
	s_delay_alu instid0(VALU_DEP_1)
	v_and_or_b32 v6, 0x80, v1, v5
.LBB63_422:
	s_or_b32 exec_lo, exec_lo, s50
.LBB63_423:
	s_delay_alu instid0(SALU_CYCLE_1)
	s_or_b32 exec_lo, exec_lo, s48
	global_store_b8 v[2:3], v6, off
.LBB63_424:
	s_mov_b32 s48, -1
.LBB63_425:
	s_mov_b32 s49, 0
.LBB63_426:
	s_delay_alu instid0(SALU_CYCLE_1)
	s_and_b32 vcc_lo, exec_lo, s49
	s_cbranch_vccz .LBB63_467
; %bb.427:
	s_cmp_gt_i32 s44, 22
	s_mov_b32 s49, -1
	s_cbranch_scc0 .LBB63_459
; %bb.428:
	s_cmp_lt_i32 s44, 24
	s_mov_b32 s48, -1
	s_cbranch_scc1 .LBB63_448
; %bb.429:
	s_cmp_gt_i32 s44, 24
	s_cbranch_scc0 .LBB63_437
; %bb.430:
	s_wait_xcnt 0x0
	v_cvt_f32_i32_e32 v1, v4
	v_mov_b32_e32 v6, 0x80
	s_mov_b32 s48, exec_lo
	s_delay_alu instid0(VALU_DEP_2) | instskip(NEXT) | instid1(VALU_DEP_1)
	v_and_b32_e32 v5, 0x7fffffff, v1
	v_cmpx_gt_u32_e32 0x47800000, v5
	s_cbranch_execz .LBB63_436
; %bb.431:
	v_cmp_lt_u32_e32 vcc_lo, 0x37ffffff, v5
	s_mov_b32 s49, 0
                                        ; implicit-def: $vgpr5
	s_and_saveexec_b32 s50, vcc_lo
	s_delay_alu instid0(SALU_CYCLE_1)
	s_xor_b32 s50, exec_lo, s50
	s_cbranch_execz .LBB63_792
; %bb.432:
	v_bfe_u32 v5, v1, 21, 1
	s_mov_b32 s49, exec_lo
	s_delay_alu instid0(VALU_DEP_1) | instskip(NEXT) | instid1(VALU_DEP_1)
	v_add3_u32 v5, v1, v5, 0x88fffff
	v_lshrrev_b32_e32 v5, 21, v5
	s_and_not1_saveexec_b32 s50, s50
	s_cbranch_execnz .LBB63_793
.LBB63_433:
	s_or_b32 exec_lo, exec_lo, s50
	v_mov_b32_e32 v6, 0
	s_and_saveexec_b32 s50, s49
.LBB63_434:
	v_lshrrev_b32_e32 v1, 24, v1
	s_delay_alu instid0(VALU_DEP_1)
	v_and_or_b32 v6, 0x80, v1, v5
.LBB63_435:
	s_or_b32 exec_lo, exec_lo, s50
.LBB63_436:
	s_delay_alu instid0(SALU_CYCLE_1)
	s_or_b32 exec_lo, exec_lo, s48
	s_mov_b32 s48, 0
	global_store_b8 v[2:3], v6, off
.LBB63_437:
	s_and_b32 vcc_lo, exec_lo, s48
	s_cbranch_vccz .LBB63_447
; %bb.438:
	s_wait_xcnt 0x0
	v_cvt_f32_i32_e32 v1, v4
	s_mov_b32 s48, exec_lo
                                        ; implicit-def: $vgpr5
	s_delay_alu instid0(VALU_DEP_1) | instskip(NEXT) | instid1(VALU_DEP_1)
	v_and_b32_e32 v6, 0x7fffffff, v1
	v_cmpx_gt_u32_e32 0x43f00000, v6
	s_xor_b32 s48, exec_lo, s48
	s_cbranch_execz .LBB63_444
; %bb.439:
	s_mov_b32 s49, exec_lo
                                        ; implicit-def: $vgpr5
	v_cmpx_lt_u32_e32 0x3c7fffff, v6
	s_xor_b32 s49, exec_lo, s49
; %bb.440:
	v_bfe_u32 v5, v1, 20, 1
	s_delay_alu instid0(VALU_DEP_1) | instskip(NEXT) | instid1(VALU_DEP_1)
	v_add3_u32 v5, v1, v5, 0x407ffff
	v_and_b32_e32 v6, 0xff00000, v5
	v_lshrrev_b32_e32 v5, 20, v5
	s_delay_alu instid0(VALU_DEP_2) | instskip(NEXT) | instid1(VALU_DEP_2)
	v_cmp_ne_u32_e32 vcc_lo, 0x7f00000, v6
	v_cndmask_b32_e32 v5, 0x7e, v5, vcc_lo
; %bb.441:
	s_and_not1_saveexec_b32 s49, s49
; %bb.442:
	v_add_f32_e64 v5, 0x46800000, |v1|
; %bb.443:
	s_or_b32 exec_lo, exec_lo, s49
                                        ; implicit-def: $vgpr6
.LBB63_444:
	s_and_not1_saveexec_b32 s48, s48
; %bb.445:
	v_mov_b32_e32 v5, 0x7f
	v_cmp_lt_u32_e32 vcc_lo, 0x7f800000, v6
	s_delay_alu instid0(VALU_DEP_2)
	v_cndmask_b32_e32 v5, 0x7e, v5, vcc_lo
; %bb.446:
	s_or_b32 exec_lo, exec_lo, s48
	v_lshrrev_b32_e32 v1, 24, v1
	s_delay_alu instid0(VALU_DEP_1)
	v_and_or_b32 v1, 0x80, v1, v5
	global_store_b8 v[2:3], v1, off
.LBB63_447:
	s_mov_b32 s48, 0
.LBB63_448:
	s_delay_alu instid0(SALU_CYCLE_1)
	s_and_not1_b32 vcc_lo, exec_lo, s48
	s_cbranch_vccnz .LBB63_458
; %bb.449:
	s_wait_xcnt 0x0
	v_cvt_f32_i32_e32 v1, v4
	s_mov_b32 s48, exec_lo
                                        ; implicit-def: $vgpr5
	s_delay_alu instid0(VALU_DEP_1) | instskip(NEXT) | instid1(VALU_DEP_1)
	v_and_b32_e32 v6, 0x7fffffff, v1
	v_cmpx_gt_u32_e32 0x47800000, v6
	s_xor_b32 s48, exec_lo, s48
	s_cbranch_execz .LBB63_455
; %bb.450:
	s_mov_b32 s49, exec_lo
                                        ; implicit-def: $vgpr5
	v_cmpx_lt_u32_e32 0x387fffff, v6
	s_xor_b32 s49, exec_lo, s49
; %bb.451:
	v_bfe_u32 v5, v1, 21, 1
	s_delay_alu instid0(VALU_DEP_1) | instskip(NEXT) | instid1(VALU_DEP_1)
	v_add3_u32 v5, v1, v5, 0x80fffff
	v_lshrrev_b32_e32 v5, 21, v5
; %bb.452:
	s_and_not1_saveexec_b32 s49, s49
; %bb.453:
	v_add_f32_e64 v5, 0x43000000, |v1|
; %bb.454:
	s_or_b32 exec_lo, exec_lo, s49
                                        ; implicit-def: $vgpr6
.LBB63_455:
	s_and_not1_saveexec_b32 s48, s48
; %bb.456:
	v_mov_b32_e32 v5, 0x7f
	v_cmp_lt_u32_e32 vcc_lo, 0x7f800000, v6
	s_delay_alu instid0(VALU_DEP_2)
	v_cndmask_b32_e32 v5, 0x7c, v5, vcc_lo
; %bb.457:
	s_or_b32 exec_lo, exec_lo, s48
	v_lshrrev_b32_e32 v1, 24, v1
	s_delay_alu instid0(VALU_DEP_1)
	v_and_or_b32 v1, 0x80, v1, v5
	global_store_b8 v[2:3], v1, off
.LBB63_458:
	s_mov_b32 s49, 0
	s_mov_b32 s48, -1
.LBB63_459:
	s_and_not1_b32 vcc_lo, exec_lo, s49
	s_cbranch_vccnz .LBB63_467
; %bb.460:
	s_cmp_gt_i32 s44, 14
	s_mov_b32 s49, -1
	s_cbranch_scc0 .LBB63_464
; %bb.461:
	s_cmp_eq_u32 s44, 15
	s_mov_b32 s0, -1
	s_cbranch_scc0 .LBB63_463
; %bb.462:
	s_wait_xcnt 0x0
	v_cvt_f32_i32_e32 v1, v4
	s_mov_b32 s48, -1
	s_mov_b32 s0, 0
	s_delay_alu instid0(VALU_DEP_1) | instskip(NEXT) | instid1(VALU_DEP_1)
	v_bfe_u32 v5, v1, 16, 1
	v_add3_u32 v1, v1, v5, 0x7fff
	global_store_d16_hi_b16 v[2:3], v1, off
.LBB63_463:
	s_mov_b32 s49, 0
.LBB63_464:
	s_delay_alu instid0(SALU_CYCLE_1)
	s_and_b32 vcc_lo, exec_lo, s49
	s_cbranch_vccz .LBB63_467
; %bb.465:
	s_cmp_eq_u32 s44, 11
	s_mov_b32 s0, -1
	s_cbranch_scc0 .LBB63_467
; %bb.466:
	v_cmp_ne_u32_e32 vcc_lo, 0, v4
	s_mov_b32 s0, 0
	s_mov_b32 s48, -1
	s_wait_xcnt 0x0
	v_cndmask_b32_e64 v1, 0, 1, vcc_lo
	global_store_b8 v[2:3], v1, off
.LBB63_467:
	s_mov_b32 s44, 0
.LBB63_468:
	s_delay_alu instid0(SALU_CYCLE_1)
	s_and_b32 vcc_lo, exec_lo, s44
	s_cbranch_vccz .LBB63_507
; %bb.469:
	s_and_b32 s37, 0xffff, s37
	s_mov_b32 s44, -1
	s_cmp_lt_i32 s37, 5
	s_cbranch_scc1 .LBB63_490
; %bb.470:
	s_cmp_lt_i32 s37, 8
	s_cbranch_scc1 .LBB63_480
; %bb.471:
	s_cmp_lt_i32 s37, 9
	s_cbranch_scc1 .LBB63_477
; %bb.472:
	s_cmp_gt_i32 s37, 9
	s_cbranch_scc0 .LBB63_474
; %bb.473:
	s_wait_xcnt 0x0
	v_cvt_f64_i32_e32 v[6:7], v4
	v_mov_b32_e32 v8, 0
	s_mov_b32 s44, 0
	s_delay_alu instid0(VALU_DEP_1)
	v_mov_b32_e32 v9, v8
	global_store_b128 v[2:3], v[6:9], off
.LBB63_474:
	s_and_not1_b32 vcc_lo, exec_lo, s44
	s_cbranch_vccnz .LBB63_476
; %bb.475:
	s_wait_xcnt 0x0
	v_cvt_f32_i32_e32 v6, v4
	v_mov_b32_e32 v7, 0
	global_store_b64 v[2:3], v[6:7], off
.LBB63_476:
	s_mov_b32 s44, 0
.LBB63_477:
	s_delay_alu instid0(SALU_CYCLE_1)
	s_and_not1_b32 vcc_lo, exec_lo, s44
	s_cbranch_vccnz .LBB63_479
; %bb.478:
	s_wait_xcnt 0x0
	v_cvt_f32_i32_e32 v1, v4
	s_delay_alu instid0(VALU_DEP_1) | instskip(NEXT) | instid1(VALU_DEP_1)
	v_cvt_f16_f32_e32 v1, v1
	v_and_b32_e32 v1, 0xffff, v1
	global_store_b32 v[2:3], v1, off
.LBB63_479:
	s_mov_b32 s44, 0
.LBB63_480:
	s_delay_alu instid0(SALU_CYCLE_1)
	s_and_not1_b32 vcc_lo, exec_lo, s44
	s_cbranch_vccnz .LBB63_489
; %bb.481:
	s_cmp_lt_i32 s37, 6
	s_mov_b32 s44, -1
	s_cbranch_scc1 .LBB63_487
; %bb.482:
	s_cmp_gt_i32 s37, 6
	s_cbranch_scc0 .LBB63_484
; %bb.483:
	s_wait_xcnt 0x0
	v_cvt_f64_i32_e32 v[6:7], v4
	s_mov_b32 s44, 0
	global_store_b64 v[2:3], v[6:7], off
.LBB63_484:
	s_and_not1_b32 vcc_lo, exec_lo, s44
	s_cbranch_vccnz .LBB63_486
; %bb.485:
	s_wait_xcnt 0x0
	v_cvt_f32_i32_e32 v1, v4
	global_store_b32 v[2:3], v1, off
.LBB63_486:
	s_mov_b32 s44, 0
.LBB63_487:
	s_delay_alu instid0(SALU_CYCLE_1)
	s_and_not1_b32 vcc_lo, exec_lo, s44
	s_cbranch_vccnz .LBB63_489
; %bb.488:
	s_wait_xcnt 0x0
	v_cvt_f32_i32_e32 v1, v4
	s_delay_alu instid0(VALU_DEP_1)
	v_cvt_f16_f32_e32 v1, v1
	global_store_b16 v[2:3], v1, off
.LBB63_489:
	s_mov_b32 s44, 0
.LBB63_490:
	s_delay_alu instid0(SALU_CYCLE_1)
	s_and_not1_b32 vcc_lo, exec_lo, s44
	s_cbranch_vccnz .LBB63_506
; %bb.491:
	s_cmp_lt_i32 s37, 2
	s_mov_b32 s44, -1
	s_cbranch_scc1 .LBB63_501
; %bb.492:
	s_cmp_lt_i32 s37, 3
	s_cbranch_scc1 .LBB63_498
; %bb.493:
	s_cmp_gt_i32 s37, 3
	s_cbranch_scc0 .LBB63_495
; %bb.494:
	s_wait_xcnt 0x0
	v_ashrrev_i32_e32 v5, 31, v4
	s_mov_b32 s44, 0
	global_store_b64 v[2:3], v[4:5], off
.LBB63_495:
	s_and_not1_b32 vcc_lo, exec_lo, s44
	s_cbranch_vccnz .LBB63_497
; %bb.496:
	global_store_b32 v[2:3], v4, off
.LBB63_497:
	s_mov_b32 s44, 0
.LBB63_498:
	s_delay_alu instid0(SALU_CYCLE_1)
	s_and_not1_b32 vcc_lo, exec_lo, s44
	s_cbranch_vccnz .LBB63_500
; %bb.499:
	global_store_b16 v[2:3], v4, off
.LBB63_500:
	s_mov_b32 s44, 0
.LBB63_501:
	s_delay_alu instid0(SALU_CYCLE_1)
	s_and_not1_b32 vcc_lo, exec_lo, s44
	s_cbranch_vccnz .LBB63_506
; %bb.502:
	s_cmp_gt_i32 s37, 0
	s_mov_b32 s37, -1
	s_cbranch_scc0 .LBB63_504
; %bb.503:
	s_mov_b32 s37, 0
	global_store_b8 v[2:3], v4, off
.LBB63_504:
	s_and_not1_b32 vcc_lo, exec_lo, s37
	s_cbranch_vccnz .LBB63_506
; %bb.505:
	global_store_b8 v[2:3], v4, off
.LBB63_506:
	s_mov_b32 s48, -1
.LBB63_507:
	s_delay_alu instid0(SALU_CYCLE_1)
	s_and_not1_b32 vcc_lo, exec_lo, s48
	s_cbranch_vccnz .LBB63_509
; %bb.508:
	v_add_nc_u32_e32 v0, 0x80, v0
	s_mov_b32 s37, -1
	s_branch .LBB63_510
.LBB63_509:
	s_mov_b32 s37, 0
                                        ; implicit-def: $vgpr0
.LBB63_510:
	s_and_b32 s44, s0, exec_lo
	s_and_b32 s48, s36, exec_lo
	;; [unrolled: 1-line block ×4, first 2 shown]
	s_or_not1_b32 s35, s37, exec_lo
.LBB63_511:
	s_wait_xcnt 0x0
	s_or_b32 exec_lo, exec_lo, s51
	s_mov_b32 s36, 0
	s_mov_b32 s34, 0
                                        ; implicit-def: $sgpr0
                                        ; implicit-def: $vgpr8_vgpr9
                                        ; implicit-def: $vgpr2
                                        ; implicit-def: $vgpr4
                                        ; implicit-def: $vgpr6
                                        ; implicit-def: $vgpr3
	s_and_saveexec_b32 s51, s35
	s_cbranch_execz .LBB63_519
; %bb.512:
	s_mov_b32 s37, -1
	s_mov_b32 s52, s50
	s_mov_b32 s55, s49
	;; [unrolled: 1-line block ×4, first 2 shown]
	s_mov_b32 s56, exec_lo
	v_cmpx_gt_i32_e64 s46, v0
	s_cbranch_execz .LBB63_1033
; %bb.513:
	s_and_not1_b32 vcc_lo, exec_lo, s39
	s_cbranch_vccnz .LBB63_522
; %bb.514:
	s_and_not1_b32 vcc_lo, exec_lo, s47
	s_cbranch_vccnz .LBB63_523
; %bb.515:
	s_wait_loadcnt 0x0
	v_dual_mov_b32 v6, 0 :: v_dual_mov_b32 v1, v0
	v_dual_mov_b32 v4, 0 :: v_dual_mov_b32 v2, 0
	v_mov_b32_e32 v8, 0
	s_add_co_i32 s0, s45, 1
	s_mov_b64 s[34:35], 0xffffffffffffffe0
	s_and_b32 s0, s0, 30
	s_add_nc_u64 s[34:35], s[2:3], s[34:35]
	s_mov_b64 s[36:37], s[2:3]
.LBB63_516:                             ; =>This Inner Loop Header: Depth=1
	s_clause 0x1
	s_load_b128 s[52:55], s[36:37], 0x4
	s_load_b64 s[58:59], s[36:37], 0x14
	s_load_b256 s[60:67], s[34:35], 0xe4
	s_add_co_i32 s0, s0, -2
	s_wait_xcnt 0x0
	s_add_nc_u64 s[36:37], s[36:37], 24
	s_cmp_eq_u32 s0, 0
	s_add_nc_u64 s[34:35], s[34:35], 32
	s_wait_kmcnt 0x0
	v_mul_hi_u32 v3, s53, v1
	s_delay_alu instid0(VALU_DEP_1) | instskip(NEXT) | instid1(VALU_DEP_1)
	v_add_nc_u32_e32 v3, v1, v3
	v_lshrrev_b32_e32 v3, s54, v3
	s_delay_alu instid0(VALU_DEP_1) | instskip(SKIP_1) | instid1(VALU_DEP_1)
	v_mul_hi_u32 v5, s58, v3
	v_mul_lo_u32 v7, v3, s52
	v_dual_add_nc_u32 v5, v3, v5 :: v_dual_sub_nc_u32 v7, v1, v7
	s_delay_alu instid0(VALU_DEP_1) | instskip(NEXT) | instid1(VALU_DEP_2)
	v_lshrrev_b32_e32 v1, s59, v5
	v_mad_u32 v8, v7, s61, v8
	v_mad_u32 v2, v7, s60, v2
	v_mad_u32 v4, v7, s63, v4
	v_mad_u32 v6, v7, s62, v6
	v_mul_lo_u32 v5, v1, s55
	s_delay_alu instid0(VALU_DEP_1) | instskip(NEXT) | instid1(VALU_DEP_1)
	v_sub_nc_u32_e32 v3, v3, v5
	v_mad_u32 v8, v3, s65, v8
	v_mad_u32 v2, v3, s64, v2
	;; [unrolled: 1-line block ×4, first 2 shown]
	s_cbranch_scc0 .LBB63_516
; %bb.517:
	s_bitcmp1_b32 s45, 0
	s_cselect_b32 s0, -1, 0
	s_delay_alu instid0(SALU_CYCLE_1)
	s_and_b32 vcc_lo, exec_lo, s0
	s_cbranch_vccnz .LBB63_524
; %bb.518:
	s_load_b96 s[60:62], s[36:37], 0x4
	s_load_b128 s[52:55], s[34:35], 0xe4
	s_wait_kmcnt 0x0
	v_mul_hi_u32 v3, s61, v1
	s_delay_alu instid0(VALU_DEP_1) | instskip(NEXT) | instid1(VALU_DEP_1)
	v_add_nc_u32_e32 v3, v1, v3
	v_lshrrev_b32_e32 v3, s62, v3
	s_delay_alu instid0(VALU_DEP_1) | instskip(NEXT) | instid1(VALU_DEP_1)
	v_mul_lo_u32 v3, v3, s60
	v_sub_nc_u32_e32 v1, v1, v3
	s_delay_alu instid0(VALU_DEP_1)
	v_mad_u32 v2, v1, s52, v2
	v_mad_u32 v8, v1, s53, v8
	;; [unrolled: 1-line block ×4, first 2 shown]
	s_branch .LBB63_524
.LBB63_519:
	s_or_b32 exec_lo, exec_lo, s51
	s_mov_b32 s1, 0
	s_and_saveexec_b32 s6, s50
	s_cbranch_execnz .LBB63_1645
.LBB63_520:
	s_or_b32 exec_lo, exec_lo, s6
	s_and_saveexec_b32 s6, s29
	s_delay_alu instid0(SALU_CYCLE_1)
	s_xor_b32 s6, exec_lo, s6
	s_cbranch_execz .LBB63_1646
.LBB63_521:
	global_load_u8 v0, v[8:9], off
	s_or_b32 s34, s34, exec_lo
	s_wait_loadcnt 0x0
	v_cmp_ne_u16_e32 vcc_lo, 0, v0
	v_cndmask_b32_e64 v3, 0, 1, vcc_lo
	s_wait_xcnt 0x0
	s_or_b32 exec_lo, exec_lo, s6
	s_and_saveexec_b32 s6, s36
	s_cbranch_execz .LBB63_1692
	s_branch .LBB63_1647
.LBB63_522:
                                        ; implicit-def: $vgpr8
                                        ; implicit-def: $vgpr2
                                        ; implicit-def: $vgpr4
                                        ; implicit-def: $vgpr6
	s_branch .LBB63_525
.LBB63_523:
	v_dual_mov_b32 v8, 0 :: v_dual_mov_b32 v2, 0
	s_wait_loadcnt 0x0
	v_dual_mov_b32 v4, 0 :: v_dual_mov_b32 v6, 0
.LBB63_524:
	s_cbranch_execnz .LBB63_527
.LBB63_525:
	s_wait_loadcnt 0x0
	v_mov_b32_e32 v1, 0
	s_and_not1_b32 vcc_lo, exec_lo, s43
	s_delay_alu instid0(VALU_DEP_1) | instskip(NEXT) | instid1(VALU_DEP_1)
	v_mul_u64_e32 v[2:3], s[28:29], v[0:1]
	v_add_nc_u32_e32 v2, v0, v3
	s_delay_alu instid0(VALU_DEP_1) | instskip(NEXT) | instid1(VALU_DEP_1)
	v_lshrrev_b32_e32 v10, s22, v2
	v_mul_lo_u32 v2, v10, s20
	s_delay_alu instid0(VALU_DEP_1) | instskip(NEXT) | instid1(VALU_DEP_1)
	v_sub_nc_u32_e32 v3, v0, v2
	v_mul_lo_u32 v8, v3, s13
	v_mul_lo_u32 v2, v3, s12
	;; [unrolled: 1-line block ×4, first 2 shown]
	s_cbranch_vccnz .LBB63_527
; %bb.526:
	v_mov_b32_e32 v11, v1
	s_delay_alu instid0(VALU_DEP_1) | instskip(NEXT) | instid1(VALU_DEP_1)
	v_mul_u64_e32 v[12:13], s[30:31], v[10:11]
	v_add_nc_u32_e32 v1, v10, v13
	s_delay_alu instid0(VALU_DEP_1) | instskip(NEXT) | instid1(VALU_DEP_1)
	v_lshrrev_b32_e32 v1, s1, v1
	v_mul_lo_u32 v1, v1, s23
	s_delay_alu instid0(VALU_DEP_1) | instskip(NEXT) | instid1(VALU_DEP_1)
	v_sub_nc_u32_e32 v1, v10, v1
	v_mad_u32 v2, v1, s16, v2
	v_mad_u32 v8, v1, s17, v8
	;; [unrolled: 1-line block ×4, first 2 shown]
.LBB63_527:
	v_mov_b32_e32 v9, 0
	s_and_b32 s0, s42, 0xff
	s_delay_alu instid0(SALU_CYCLE_1) | instskip(NEXT) | instid1(VALU_DEP_1)
	s_cmp_lt_i32 s0, 11
	v_add_nc_u64_e32 v[8:9], s[6:7], v[8:9]
	s_cbranch_scc1 .LBB63_534
; %bb.528:
	s_and_b32 s35, 0xffff, s0
	s_delay_alu instid0(SALU_CYCLE_1)
	s_cmp_gt_i32 s35, 25
	s_cbranch_scc0 .LBB63_543
; %bb.529:
	s_cmp_gt_i32 s35, 28
	s_cbranch_scc0 .LBB63_545
; %bb.530:
	;; [unrolled: 3-line block ×4, first 2 shown]
	s_cmp_eq_u32 s35, 46
	s_mov_b32 s37, 0
	s_cbranch_scc0 .LBB63_551
; %bb.533:
	s_wait_loadcnt 0x0
	global_load_b32 v1, v[8:9], off
	s_mov_b32 s36, -1
	s_mov_b32 s34, 0
	s_wait_loadcnt 0x0
	v_lshlrev_b32_e32 v1, 16, v1
	s_delay_alu instid0(VALU_DEP_1)
	v_cvt_i32_f32_e32 v1, v1
	s_branch .LBB63_553
.LBB63_534:
	s_mov_b32 s36, 0
	s_mov_b32 s34, s50
                                        ; implicit-def: $vgpr1
	s_cbranch_execnz .LBB63_615
.LBB63_535:
	s_and_not1_b32 vcc_lo, exec_lo, s36
	s_cbranch_vccnz .LBB63_663
.LBB63_536:
	v_mov_b32_e32 v7, 0
	s_and_b32 s0, s41, 0xff
	s_delay_alu instid0(SALU_CYCLE_1) | instskip(SKIP_1) | instid1(VALU_DEP_1)
	s_cmp_lt_i32 s0, 11
	s_wait_loadcnt 0x0
	v_add_nc_u64_e32 v[6:7], s[8:9], v[6:7]
	s_cbranch_scc1 .LBB63_544
; %bb.537:
	s_and_b32 s36, 0xffff, s0
	s_delay_alu instid0(SALU_CYCLE_1)
	s_cmp_gt_i32 s36, 25
	s_cbranch_scc0 .LBB63_546
; %bb.538:
	s_cmp_gt_i32 s36, 28
	s_cbranch_scc0 .LBB63_548
; %bb.539:
	;; [unrolled: 3-line block ×4, first 2 shown]
	s_cmp_eq_u32 s36, 46
	s_mov_b32 s52, 0
	s_cbranch_scc0 .LBB63_666
; %bb.542:
	global_load_b32 v3, v[6:7], off
	s_mov_b32 s37, -1
	s_mov_b32 s35, 0
	s_wait_loadcnt 0x0
	v_lshlrev_b32_e32 v3, 16, v3
	s_delay_alu instid0(VALU_DEP_1)
	v_cvt_i32_f32_e32 v3, v3
	s_branch .LBB63_668
.LBB63_543:
	s_mov_b32 s37, -1
	s_mov_b32 s36, 0
	s_mov_b32 s34, s50
                                        ; implicit-def: $vgpr1
	s_branch .LBB63_581
.LBB63_544:
	s_mov_b32 s36, -1
	s_mov_b32 s37, 0
	s_mov_b32 s35, s49
                                        ; implicit-def: $vgpr3
	s_branch .LBB63_729
.LBB63_545:
	s_mov_b32 s37, -1
	s_mov_b32 s36, 0
	s_mov_b32 s34, s50
                                        ; implicit-def: $vgpr1
	s_branch .LBB63_564
.LBB63_546:
	s_mov_b32 s52, -1
	s_mov_b32 s37, 0
	s_mov_b32 s35, s49
                                        ; implicit-def: $vgpr3
	s_branch .LBB63_695
.LBB63_547:
	s_mov_b32 s37, -1
	s_mov_b32 s36, 0
	s_mov_b32 s34, s50
                                        ; implicit-def: $vgpr1
	s_branch .LBB63_559
.LBB63_548:
	s_mov_b32 s52, -1
	s_mov_b32 s37, 0
	s_mov_b32 s35, s49
                                        ; implicit-def: $vgpr3
	s_branch .LBB63_678
.LBB63_549:
	s_mov_b32 s37, -1
	s_mov_b32 s36, 0
	s_mov_b32 s34, s50
	s_branch .LBB63_552
.LBB63_550:
	s_mov_b32 s52, -1
	s_mov_b32 s37, 0
	s_mov_b32 s35, s49
                                        ; implicit-def: $vgpr3
	s_branch .LBB63_673
.LBB63_551:
	s_mov_b32 s34, -1
	s_mov_b32 s36, 0
.LBB63_552:
                                        ; implicit-def: $vgpr1
.LBB63_553:
	s_and_b32 vcc_lo, exec_lo, s37
	s_cbranch_vccz .LBB63_558
; %bb.554:
	s_cmp_eq_u32 s35, 44
	s_cbranch_scc0 .LBB63_557
; %bb.555:
	s_wait_loadcnt 0x0
	global_load_u8 v1, v[8:9], off
	s_mov_b32 s34, 0
	s_mov_b32 s36, -1
	s_wait_loadcnt 0x0
	v_lshlrev_b32_e32 v3, 23, v1
	v_cmp_ne_u32_e32 vcc_lo, 0, v1
	s_delay_alu instid0(VALU_DEP_2) | instskip(NEXT) | instid1(VALU_DEP_1)
	v_cvt_i32_f32_e32 v3, v3
	v_cndmask_b32_e32 v1, 0, v3, vcc_lo
	s_branch .LBB63_558
.LBB63_556:
	s_mov_b32 s52, -1
	s_mov_b32 s37, 0
	s_mov_b32 s35, s49
	s_branch .LBB63_667
.LBB63_557:
	s_mov_b32 s34, -1
                                        ; implicit-def: $vgpr1
.LBB63_558:
	s_mov_b32 s37, 0
.LBB63_559:
	s_delay_alu instid0(SALU_CYCLE_1)
	s_and_b32 vcc_lo, exec_lo, s37
	s_cbranch_vccz .LBB63_563
; %bb.560:
	s_cmp_eq_u32 s35, 29
	s_cbranch_scc0 .LBB63_562
; %bb.561:
	s_wait_loadcnt 0x0
	global_load_b32 v1, v[8:9], off
	s_mov_b32 s36, -1
	s_mov_b32 s34, 0
	s_branch .LBB63_563
.LBB63_562:
	s_mov_b32 s34, -1
                                        ; implicit-def: $vgpr1
.LBB63_563:
	s_mov_b32 s37, 0
.LBB63_564:
	s_delay_alu instid0(SALU_CYCLE_1)
	s_and_b32 vcc_lo, exec_lo, s37
	s_cbranch_vccz .LBB63_580
; %bb.565:
	s_cmp_lt_i32 s35, 27
	s_cbranch_scc1 .LBB63_568
; %bb.566:
	s_cmp_gt_i32 s35, 27
	s_cbranch_scc0 .LBB63_569
; %bb.567:
	s_wait_loadcnt 0x0
	global_load_b32 v1, v[8:9], off
	s_mov_b32 s36, 0
	s_branch .LBB63_570
.LBB63_568:
	s_mov_b32 s36, -1
                                        ; implicit-def: $vgpr1
	s_branch .LBB63_573
.LBB63_569:
	s_mov_b32 s36, -1
                                        ; implicit-def: $vgpr1
.LBB63_570:
	s_delay_alu instid0(SALU_CYCLE_1)
	s_and_not1_b32 vcc_lo, exec_lo, s36
	s_cbranch_vccnz .LBB63_572
; %bb.571:
	s_wait_loadcnt 0x0
	global_load_u16 v1, v[8:9], off
.LBB63_572:
	s_mov_b32 s36, 0
.LBB63_573:
	s_delay_alu instid0(SALU_CYCLE_1)
	s_and_not1_b32 vcc_lo, exec_lo, s36
	s_cbranch_vccnz .LBB63_579
; %bb.574:
	s_wait_loadcnt 0x0
	global_load_u8 v3, v[8:9], off
	s_mov_b32 s37, 0
	s_mov_b32 s36, exec_lo
	s_wait_loadcnt 0x0
	v_cmpx_lt_i16_e32 0x7f, v3
	s_xor_b32 s36, exec_lo, s36
	s_cbranch_execz .LBB63_591
; %bb.575:
	v_cmp_ne_u16_e32 vcc_lo, 0x80, v3
	s_and_b32 s37, vcc_lo, exec_lo
	s_and_not1_saveexec_b32 s36, s36
	s_cbranch_execnz .LBB63_592
.LBB63_576:
	s_or_b32 exec_lo, exec_lo, s36
	v_mov_b32_e32 v1, 0
	s_and_saveexec_b32 s36, s37
	s_cbranch_execz .LBB63_578
.LBB63_577:
	v_and_b32_e32 v1, 0xffff, v3
	s_delay_alu instid0(VALU_DEP_1) | instskip(SKIP_1) | instid1(VALU_DEP_2)
	v_and_b32_e32 v5, 7, v1
	v_bfe_u32 v11, v1, 3, 4
	v_clz_i32_u32_e32 v7, v5
	s_delay_alu instid0(VALU_DEP_2) | instskip(NEXT) | instid1(VALU_DEP_2)
	v_cmp_eq_u32_e32 vcc_lo, 0, v11
	v_min_u32_e32 v7, 32, v7
	s_delay_alu instid0(VALU_DEP_1) | instskip(NEXT) | instid1(VALU_DEP_1)
	v_subrev_nc_u32_e32 v10, 28, v7
	v_dual_lshlrev_b32 v1, v10, v1 :: v_dual_sub_nc_u32 v7, 29, v7
	s_delay_alu instid0(VALU_DEP_1) | instskip(NEXT) | instid1(VALU_DEP_1)
	v_dual_lshlrev_b32 v3, 24, v3 :: v_dual_bitop2_b32 v1, 7, v1 bitop3:0x40
	v_dual_cndmask_b32 v1, v5, v1, vcc_lo :: v_dual_cndmask_b32 v7, v11, v7, vcc_lo
	s_delay_alu instid0(VALU_DEP_2) | instskip(NEXT) | instid1(VALU_DEP_2)
	v_and_b32_e32 v3, 0x80000000, v3
	v_lshlrev_b32_e32 v1, 20, v1
	s_delay_alu instid0(VALU_DEP_3) | instskip(NEXT) | instid1(VALU_DEP_1)
	v_lshl_add_u32 v5, v7, 23, 0x3b800000
	v_or3_b32 v1, v3, v5, v1
	s_delay_alu instid0(VALU_DEP_1)
	v_cvt_i32_f32_e32 v1, v1
.LBB63_578:
	s_or_b32 exec_lo, exec_lo, s36
.LBB63_579:
	s_mov_b32 s36, -1
.LBB63_580:
	s_mov_b32 s37, 0
.LBB63_581:
	s_delay_alu instid0(SALU_CYCLE_1)
	s_and_b32 vcc_lo, exec_lo, s37
	s_cbranch_vccz .LBB63_614
; %bb.582:
	s_cmp_gt_i32 s35, 22
	s_cbranch_scc0 .LBB63_590
; %bb.583:
	s_cmp_lt_i32 s35, 24
	s_cbranch_scc1 .LBB63_593
; %bb.584:
	s_cmp_gt_i32 s35, 24
	s_cbranch_scc0 .LBB63_594
; %bb.585:
	s_wait_loadcnt 0x0
	global_load_u8 v3, v[8:9], off
	s_mov_b32 s37, 0
	s_mov_b32 s36, exec_lo
	s_wait_loadcnt 0x0
	v_cmpx_lt_i16_e32 0x7f, v3
	s_xor_b32 s36, exec_lo, s36
	s_cbranch_execz .LBB63_606
; %bb.586:
	v_cmp_ne_u16_e32 vcc_lo, 0x80, v3
	s_and_b32 s37, vcc_lo, exec_lo
	s_and_not1_saveexec_b32 s36, s36
	s_cbranch_execnz .LBB63_607
.LBB63_587:
	s_or_b32 exec_lo, exec_lo, s36
	v_mov_b32_e32 v1, 0
	s_and_saveexec_b32 s36, s37
	s_cbranch_execz .LBB63_589
.LBB63_588:
	v_and_b32_e32 v1, 0xffff, v3
	s_delay_alu instid0(VALU_DEP_1) | instskip(SKIP_1) | instid1(VALU_DEP_2)
	v_and_b32_e32 v5, 3, v1
	v_bfe_u32 v11, v1, 2, 5
	v_clz_i32_u32_e32 v7, v5
	s_delay_alu instid0(VALU_DEP_2) | instskip(NEXT) | instid1(VALU_DEP_2)
	v_cmp_eq_u32_e32 vcc_lo, 0, v11
	v_min_u32_e32 v7, 32, v7
	s_delay_alu instid0(VALU_DEP_1) | instskip(NEXT) | instid1(VALU_DEP_1)
	v_subrev_nc_u32_e32 v10, 29, v7
	v_dual_lshlrev_b32 v1, v10, v1 :: v_dual_sub_nc_u32 v7, 30, v7
	s_delay_alu instid0(VALU_DEP_1) | instskip(NEXT) | instid1(VALU_DEP_1)
	v_dual_lshlrev_b32 v3, 24, v3 :: v_dual_bitop2_b32 v1, 3, v1 bitop3:0x40
	v_dual_cndmask_b32 v1, v5, v1, vcc_lo :: v_dual_cndmask_b32 v7, v11, v7, vcc_lo
	s_delay_alu instid0(VALU_DEP_2) | instskip(NEXT) | instid1(VALU_DEP_2)
	v_and_b32_e32 v3, 0x80000000, v3
	v_lshlrev_b32_e32 v1, 21, v1
	s_delay_alu instid0(VALU_DEP_3) | instskip(NEXT) | instid1(VALU_DEP_1)
	v_lshl_add_u32 v5, v7, 23, 0x37800000
	v_or3_b32 v1, v3, v5, v1
	s_delay_alu instid0(VALU_DEP_1)
	v_cvt_i32_f32_e32 v1, v1
.LBB63_589:
	s_or_b32 exec_lo, exec_lo, s36
	s_mov_b32 s36, 0
	s_branch .LBB63_595
.LBB63_590:
	s_mov_b32 s37, -1
                                        ; implicit-def: $vgpr1
	s_branch .LBB63_601
.LBB63_591:
	s_and_not1_saveexec_b32 s36, s36
	s_cbranch_execz .LBB63_576
.LBB63_592:
	v_cmp_ne_u16_e32 vcc_lo, 0, v3
	s_and_not1_b32 s37, s37, exec_lo
	s_and_b32 s52, vcc_lo, exec_lo
	s_delay_alu instid0(SALU_CYCLE_1)
	s_or_b32 s37, s37, s52
	s_or_b32 exec_lo, exec_lo, s36
	v_mov_b32_e32 v1, 0
	s_and_saveexec_b32 s36, s37
	s_cbranch_execnz .LBB63_577
	s_branch .LBB63_578
.LBB63_593:
	s_mov_b32 s36, -1
                                        ; implicit-def: $vgpr1
	s_branch .LBB63_598
.LBB63_594:
	s_mov_b32 s36, -1
                                        ; implicit-def: $vgpr1
.LBB63_595:
	s_delay_alu instid0(SALU_CYCLE_1)
	s_and_b32 vcc_lo, exec_lo, s36
	s_cbranch_vccz .LBB63_597
; %bb.596:
	s_wait_loadcnt 0x0
	global_load_u8 v1, v[8:9], off
	s_wait_loadcnt 0x0
	v_lshlrev_b32_e32 v1, 24, v1
	s_delay_alu instid0(VALU_DEP_1) | instskip(NEXT) | instid1(VALU_DEP_1)
	v_and_b32_e32 v3, 0x7f000000, v1
	v_clz_i32_u32_e32 v5, v3
	v_cmp_ne_u32_e32 vcc_lo, 0, v3
	v_add_nc_u32_e32 v10, 0x1000000, v3
	s_delay_alu instid0(VALU_DEP_3) | instskip(NEXT) | instid1(VALU_DEP_1)
	v_min_u32_e32 v5, 32, v5
	v_sub_nc_u32_e64 v5, v5, 4 clamp
	s_delay_alu instid0(VALU_DEP_1) | instskip(NEXT) | instid1(VALU_DEP_1)
	v_dual_lshlrev_b32 v7, v5, v3 :: v_dual_lshlrev_b32 v5, 23, v5
	v_lshrrev_b32_e32 v7, 4, v7
	s_delay_alu instid0(VALU_DEP_1) | instskip(NEXT) | instid1(VALU_DEP_1)
	v_dual_sub_nc_u32 v5, v7, v5 :: v_dual_ashrrev_i32 v7, 8, v10
	v_add_nc_u32_e32 v5, 0x3c000000, v5
	s_delay_alu instid0(VALU_DEP_1) | instskip(NEXT) | instid1(VALU_DEP_1)
	v_and_or_b32 v5, 0x7f800000, v7, v5
	v_cndmask_b32_e32 v3, 0, v5, vcc_lo
	s_delay_alu instid0(VALU_DEP_1) | instskip(NEXT) | instid1(VALU_DEP_1)
	v_and_or_b32 v1, 0x80000000, v1, v3
	v_cvt_i32_f32_e32 v1, v1
.LBB63_597:
	s_mov_b32 s36, 0
.LBB63_598:
	s_delay_alu instid0(SALU_CYCLE_1)
	s_and_not1_b32 vcc_lo, exec_lo, s36
	s_cbranch_vccnz .LBB63_600
; %bb.599:
	s_wait_loadcnt 0x0
	global_load_u8 v1, v[8:9], off
	s_wait_loadcnt 0x0
	v_lshlrev_b32_e32 v3, 25, v1
	v_lshlrev_b16 v1, 8, v1
	s_delay_alu instid0(VALU_DEP_1) | instskip(SKIP_1) | instid1(VALU_DEP_2)
	v_and_or_b32 v7, 0x7f00, v1, 0.5
	v_bfe_i32 v1, v1, 0, 16
	v_add_f32_e32 v7, -0.5, v7
	v_lshrrev_b32_e32 v5, 4, v3
	v_cmp_gt_u32_e32 vcc_lo, 0x8000000, v3
	s_delay_alu instid0(VALU_DEP_2) | instskip(NEXT) | instid1(VALU_DEP_1)
	v_or_b32_e32 v5, 0x70000000, v5
	v_mul_f32_e32 v5, 0x7800000, v5
	s_delay_alu instid0(VALU_DEP_1) | instskip(NEXT) | instid1(VALU_DEP_1)
	v_cndmask_b32_e32 v3, v5, v7, vcc_lo
	v_and_or_b32 v1, 0x80000000, v1, v3
	s_delay_alu instid0(VALU_DEP_1)
	v_cvt_i32_f32_e32 v1, v1
.LBB63_600:
	s_mov_b32 s37, 0
	s_mov_b32 s36, -1
.LBB63_601:
	s_and_not1_b32 vcc_lo, exec_lo, s37
	s_cbranch_vccnz .LBB63_614
; %bb.602:
	s_cmp_gt_i32 s35, 14
	s_cbranch_scc0 .LBB63_605
; %bb.603:
	s_cmp_eq_u32 s35, 15
	s_cbranch_scc0 .LBB63_608
; %bb.604:
	s_wait_loadcnt 0x0
	global_load_u16 v1, v[8:9], off
	s_mov_b32 s36, -1
	s_mov_b32 s34, 0
	s_wait_loadcnt 0x0
	v_lshlrev_b32_e32 v1, 16, v1
	s_delay_alu instid0(VALU_DEP_1)
	v_cvt_i32_f32_e32 v1, v1
	s_branch .LBB63_609
.LBB63_605:
	s_mov_b32 s37, -1
                                        ; implicit-def: $vgpr1
	s_branch .LBB63_610
.LBB63_606:
	s_and_not1_saveexec_b32 s36, s36
	s_cbranch_execz .LBB63_587
.LBB63_607:
	v_cmp_ne_u16_e32 vcc_lo, 0, v3
	s_and_not1_b32 s37, s37, exec_lo
	s_and_b32 s52, vcc_lo, exec_lo
	s_delay_alu instid0(SALU_CYCLE_1)
	s_or_b32 s37, s37, s52
	s_or_b32 exec_lo, exec_lo, s36
	v_mov_b32_e32 v1, 0
	s_and_saveexec_b32 s36, s37
	s_cbranch_execnz .LBB63_588
	s_branch .LBB63_589
.LBB63_608:
	s_mov_b32 s34, -1
                                        ; implicit-def: $vgpr1
.LBB63_609:
	s_mov_b32 s37, 0
.LBB63_610:
	s_delay_alu instid0(SALU_CYCLE_1)
	s_and_b32 vcc_lo, exec_lo, s37
	s_cbranch_vccz .LBB63_614
; %bb.611:
	s_cmp_eq_u32 s35, 11
	s_cbranch_scc0 .LBB63_613
; %bb.612:
	s_wait_loadcnt 0x0
	global_load_u8 v1, v[8:9], off
	s_mov_b32 s34, 0
	s_mov_b32 s36, -1
	s_wait_loadcnt 0x0
	v_cmp_ne_u16_e32 vcc_lo, 0, v1
	v_cndmask_b32_e64 v1, 0, 1, vcc_lo
	s_branch .LBB63_614
.LBB63_613:
	s_mov_b32 s34, -1
                                        ; implicit-def: $vgpr1
.LBB63_614:
	s_branch .LBB63_535
.LBB63_615:
	s_and_b32 s0, 0xffff, s0
	s_delay_alu instid0(SALU_CYCLE_1)
	s_cmp_lt_i32 s0, 5
	s_cbranch_scc1 .LBB63_620
; %bb.616:
	s_cmp_lt_i32 s0, 8
	s_cbranch_scc1 .LBB63_621
; %bb.617:
	s_cmp_lt_i32 s0, 9
	s_cbranch_scc1 .LBB63_622
; %bb.618:
	s_cmp_gt_i32 s0, 9
	s_cbranch_scc0 .LBB63_623
; %bb.619:
	global_load_b64 v[10:11], v[8:9], off
	s_mov_b32 s35, 0
	s_wait_loadcnt 0x0
	v_cvt_i32_f64_e32 v1, v[10:11]
	s_branch .LBB63_624
.LBB63_620:
	s_mov_b32 s35, -1
                                        ; implicit-def: $vgpr1
	s_branch .LBB63_642
.LBB63_621:
	s_mov_b32 s35, -1
                                        ; implicit-def: $vgpr1
	s_branch .LBB63_630
.LBB63_622:
	s_mov_b32 s35, -1
                                        ; implicit-def: $vgpr1
	s_branch .LBB63_627
.LBB63_623:
	s_mov_b32 s35, -1
                                        ; implicit-def: $vgpr1
.LBB63_624:
	s_delay_alu instid0(SALU_CYCLE_1)
	s_and_not1_b32 vcc_lo, exec_lo, s35
	s_cbranch_vccnz .LBB63_626
; %bb.625:
	s_wait_loadcnt 0x0
	global_load_b32 v1, v[8:9], off
	s_wait_loadcnt 0x0
	v_cvt_i32_f32_e32 v1, v1
.LBB63_626:
	s_mov_b32 s35, 0
.LBB63_627:
	s_delay_alu instid0(SALU_CYCLE_1)
	s_and_not1_b32 vcc_lo, exec_lo, s35
	s_cbranch_vccnz .LBB63_629
; %bb.628:
	s_wait_loadcnt 0x0
	global_load_b32 v1, v[8:9], off
	s_wait_loadcnt 0x0
	v_cvt_f32_f16_e32 v1, v1
	s_delay_alu instid0(VALU_DEP_1)
	v_cvt_i32_f32_e32 v1, v1
.LBB63_629:
	s_mov_b32 s35, 0
.LBB63_630:
	s_delay_alu instid0(SALU_CYCLE_1)
	s_and_not1_b32 vcc_lo, exec_lo, s35
	s_cbranch_vccnz .LBB63_641
; %bb.631:
	s_cmp_lt_i32 s0, 6
	s_cbranch_scc1 .LBB63_634
; %bb.632:
	s_cmp_gt_i32 s0, 6
	s_cbranch_scc0 .LBB63_635
; %bb.633:
	global_load_b64 v[10:11], v[8:9], off
	s_mov_b32 s35, 0
	s_wait_loadcnt 0x0
	v_cvt_i32_f64_e32 v1, v[10:11]
	s_branch .LBB63_636
.LBB63_634:
	s_mov_b32 s35, -1
                                        ; implicit-def: $vgpr1
	s_branch .LBB63_639
.LBB63_635:
	s_mov_b32 s35, -1
                                        ; implicit-def: $vgpr1
.LBB63_636:
	s_delay_alu instid0(SALU_CYCLE_1)
	s_and_not1_b32 vcc_lo, exec_lo, s35
	s_cbranch_vccnz .LBB63_638
; %bb.637:
	s_wait_loadcnt 0x0
	global_load_b32 v1, v[8:9], off
	s_wait_loadcnt 0x0
	v_cvt_i32_f32_e32 v1, v1
.LBB63_638:
	s_mov_b32 s35, 0
.LBB63_639:
	s_delay_alu instid0(SALU_CYCLE_1)
	s_and_not1_b32 vcc_lo, exec_lo, s35
	s_cbranch_vccnz .LBB63_641
; %bb.640:
	s_wait_loadcnt 0x0
	global_load_u16 v1, v[8:9], off
	s_wait_loadcnt 0x0
	v_cvt_f32_f16_e32 v1, v1
	s_delay_alu instid0(VALU_DEP_1)
	v_cvt_i32_f32_e32 v1, v1
.LBB63_641:
	s_mov_b32 s35, 0
.LBB63_642:
	s_delay_alu instid0(SALU_CYCLE_1)
	s_and_not1_b32 vcc_lo, exec_lo, s35
	s_cbranch_vccnz .LBB63_662
; %bb.643:
	s_cmp_lt_i32 s0, 2
	s_cbranch_scc1 .LBB63_647
; %bb.644:
	s_cmp_lt_i32 s0, 3
	s_cbranch_scc1 .LBB63_648
; %bb.645:
	s_cmp_gt_i32 s0, 3
	s_cbranch_scc0 .LBB63_649
; %bb.646:
	s_wait_loadcnt 0x0
	global_load_b32 v1, v[8:9], off
	s_mov_b32 s35, 0
	s_branch .LBB63_650
.LBB63_647:
	s_mov_b32 s35, -1
                                        ; implicit-def: $vgpr1
	s_branch .LBB63_656
.LBB63_648:
	s_mov_b32 s35, -1
                                        ; implicit-def: $vgpr1
	s_branch .LBB63_653
.LBB63_649:
	s_mov_b32 s35, -1
                                        ; implicit-def: $vgpr1
.LBB63_650:
	s_delay_alu instid0(SALU_CYCLE_1)
	s_and_not1_b32 vcc_lo, exec_lo, s35
	s_cbranch_vccnz .LBB63_652
; %bb.651:
	s_wait_loadcnt 0x0
	global_load_b32 v1, v[8:9], off
.LBB63_652:
	s_mov_b32 s35, 0
.LBB63_653:
	s_delay_alu instid0(SALU_CYCLE_1)
	s_and_not1_b32 vcc_lo, exec_lo, s35
	s_cbranch_vccnz .LBB63_655
; %bb.654:
	s_wait_loadcnt 0x0
	global_load_i16 v1, v[8:9], off
.LBB63_655:
	s_mov_b32 s35, 0
.LBB63_656:
	s_delay_alu instid0(SALU_CYCLE_1)
	s_and_not1_b32 vcc_lo, exec_lo, s35
	s_cbranch_vccnz .LBB63_662
; %bb.657:
	s_cmp_gt_i32 s0, 0
	s_mov_b32 s0, 0
	s_cbranch_scc0 .LBB63_659
; %bb.658:
	s_wait_loadcnt 0x0
	global_load_i8 v1, v[8:9], off
	s_branch .LBB63_660
.LBB63_659:
	s_mov_b32 s0, -1
                                        ; implicit-def: $vgpr1
.LBB63_660:
	s_delay_alu instid0(SALU_CYCLE_1)
	s_and_not1_b32 vcc_lo, exec_lo, s0
	s_cbranch_vccnz .LBB63_662
; %bb.661:
	s_wait_loadcnt 0x0
	global_load_u8 v1, v[8:9], off
.LBB63_662:
	s_branch .LBB63_536
.LBB63_663:
	s_mov_b32 s37, 0
	s_mov_b32 s0, s44
	;; [unrolled: 1-line block ×4, first 2 shown]
	s_branch .LBB63_1031
.LBB63_664:
	s_and_not1_saveexec_b32 s50, s50
	s_cbranch_execz .LBB63_420
.LBB63_665:
	v_add_f32_e64 v5, 0x46000000, |v1|
	s_and_not1_b32 s49, s49, exec_lo
	s_delay_alu instid0(VALU_DEP_1) | instskip(NEXT) | instid1(VALU_DEP_1)
	v_and_b32_e32 v5, 0xff, v5
	v_cmp_ne_u32_e32 vcc_lo, 0, v5
	s_and_b32 s52, vcc_lo, exec_lo
	s_delay_alu instid0(SALU_CYCLE_1)
	s_or_b32 s49, s49, s52
	s_or_b32 exec_lo, exec_lo, s50
	v_mov_b32_e32 v6, 0
	s_and_saveexec_b32 s50, s49
	s_cbranch_execnz .LBB63_421
	s_branch .LBB63_422
.LBB63_666:
	s_mov_b32 s35, -1
	s_mov_b32 s37, 0
.LBB63_667:
                                        ; implicit-def: $vgpr3
.LBB63_668:
	s_and_b32 vcc_lo, exec_lo, s52
	s_cbranch_vccz .LBB63_672
; %bb.669:
	s_cmp_eq_u32 s36, 44
	s_cbranch_scc0 .LBB63_671
; %bb.670:
	global_load_u8 v3, v[6:7], off
	s_mov_b32 s35, 0
	s_mov_b32 s37, -1
	s_wait_loadcnt 0x0
	v_lshlrev_b32_e32 v5, 23, v3
	v_cmp_ne_u32_e32 vcc_lo, 0, v3
	s_delay_alu instid0(VALU_DEP_2) | instskip(NEXT) | instid1(VALU_DEP_1)
	v_cvt_i32_f32_e32 v5, v5
	v_cndmask_b32_e32 v3, 0, v5, vcc_lo
	s_branch .LBB63_672
.LBB63_671:
	s_mov_b32 s35, -1
                                        ; implicit-def: $vgpr3
.LBB63_672:
	s_mov_b32 s52, 0
.LBB63_673:
	s_delay_alu instid0(SALU_CYCLE_1)
	s_and_b32 vcc_lo, exec_lo, s52
	s_cbranch_vccz .LBB63_677
; %bb.674:
	s_cmp_eq_u32 s36, 29
	s_cbranch_scc0 .LBB63_676
; %bb.675:
	global_load_b32 v3, v[6:7], off
	s_mov_b32 s37, -1
	s_mov_b32 s35, 0
	s_branch .LBB63_677
.LBB63_676:
	s_mov_b32 s35, -1
                                        ; implicit-def: $vgpr3
.LBB63_677:
	s_mov_b32 s52, 0
.LBB63_678:
	s_delay_alu instid0(SALU_CYCLE_1)
	s_and_b32 vcc_lo, exec_lo, s52
	s_cbranch_vccz .LBB63_694
; %bb.679:
	s_cmp_lt_i32 s36, 27
	s_cbranch_scc1 .LBB63_682
; %bb.680:
	s_cmp_gt_i32 s36, 27
	s_cbranch_scc0 .LBB63_683
; %bb.681:
	s_wait_loadcnt 0x0
	global_load_b32 v3, v[6:7], off
	s_mov_b32 s37, 0
	s_branch .LBB63_684
.LBB63_682:
	s_mov_b32 s37, -1
                                        ; implicit-def: $vgpr3
	s_branch .LBB63_687
.LBB63_683:
	s_mov_b32 s37, -1
                                        ; implicit-def: $vgpr3
.LBB63_684:
	s_delay_alu instid0(SALU_CYCLE_1)
	s_and_not1_b32 vcc_lo, exec_lo, s37
	s_cbranch_vccnz .LBB63_686
; %bb.685:
	s_wait_loadcnt 0x0
	global_load_u16 v3, v[6:7], off
.LBB63_686:
	s_mov_b32 s37, 0
.LBB63_687:
	s_delay_alu instid0(SALU_CYCLE_1)
	s_and_not1_b32 vcc_lo, exec_lo, s37
	s_cbranch_vccnz .LBB63_693
; %bb.688:
	global_load_u8 v5, v[6:7], off
	s_mov_b32 s52, 0
	s_mov_b32 s37, exec_lo
	s_wait_loadcnt 0x0
	v_cmpx_lt_i16_e32 0x7f, v5
	s_xor_b32 s37, exec_lo, s37
	s_cbranch_execz .LBB63_705
; %bb.689:
	v_cmp_ne_u16_e32 vcc_lo, 0x80, v5
	s_and_b32 s52, vcc_lo, exec_lo
	s_and_not1_saveexec_b32 s37, s37
	s_cbranch_execnz .LBB63_706
.LBB63_690:
	s_or_b32 exec_lo, exec_lo, s37
	v_mov_b32_e32 v3, 0
	s_and_saveexec_b32 s37, s52
	s_cbranch_execz .LBB63_692
.LBB63_691:
	v_and_b32_e32 v3, 0xffff, v5
	s_delay_alu instid0(VALU_DEP_1) | instskip(SKIP_1) | instid1(VALU_DEP_2)
	v_and_b32_e32 v8, 7, v3
	v_bfe_u32 v11, v3, 3, 4
	v_clz_i32_u32_e32 v9, v8
	s_delay_alu instid0(VALU_DEP_2) | instskip(NEXT) | instid1(VALU_DEP_2)
	v_cmp_eq_u32_e32 vcc_lo, 0, v11
	v_min_u32_e32 v9, 32, v9
	s_delay_alu instid0(VALU_DEP_1) | instskip(NEXT) | instid1(VALU_DEP_1)
	v_subrev_nc_u32_e32 v10, 28, v9
	v_dual_lshlrev_b32 v3, v10, v3 :: v_dual_sub_nc_u32 v9, 29, v9
	s_delay_alu instid0(VALU_DEP_1) | instskip(NEXT) | instid1(VALU_DEP_1)
	v_dual_lshlrev_b32 v5, 24, v5 :: v_dual_bitop2_b32 v3, 7, v3 bitop3:0x40
	v_dual_cndmask_b32 v3, v8, v3, vcc_lo :: v_dual_cndmask_b32 v9, v11, v9, vcc_lo
	s_delay_alu instid0(VALU_DEP_2) | instskip(NEXT) | instid1(VALU_DEP_2)
	v_and_b32_e32 v5, 0x80000000, v5
	v_lshlrev_b32_e32 v3, 20, v3
	s_delay_alu instid0(VALU_DEP_3) | instskip(NEXT) | instid1(VALU_DEP_1)
	v_lshl_add_u32 v8, v9, 23, 0x3b800000
	v_or3_b32 v3, v5, v8, v3
	s_delay_alu instid0(VALU_DEP_1)
	v_cvt_i32_f32_e32 v3, v3
.LBB63_692:
	s_or_b32 exec_lo, exec_lo, s37
.LBB63_693:
	s_mov_b32 s37, -1
.LBB63_694:
	s_mov_b32 s52, 0
.LBB63_695:
	s_delay_alu instid0(SALU_CYCLE_1)
	s_and_b32 vcc_lo, exec_lo, s52
	s_cbranch_vccz .LBB63_728
; %bb.696:
	s_cmp_gt_i32 s36, 22
	s_cbranch_scc0 .LBB63_704
; %bb.697:
	s_cmp_lt_i32 s36, 24
	s_cbranch_scc1 .LBB63_707
; %bb.698:
	s_cmp_gt_i32 s36, 24
	s_cbranch_scc0 .LBB63_708
; %bb.699:
	global_load_u8 v5, v[6:7], off
	s_mov_b32 s52, 0
	s_mov_b32 s37, exec_lo
	s_wait_loadcnt 0x0
	v_cmpx_lt_i16_e32 0x7f, v5
	s_xor_b32 s37, exec_lo, s37
	s_cbranch_execz .LBB63_720
; %bb.700:
	v_cmp_ne_u16_e32 vcc_lo, 0x80, v5
	s_and_b32 s52, vcc_lo, exec_lo
	s_and_not1_saveexec_b32 s37, s37
	s_cbranch_execnz .LBB63_721
.LBB63_701:
	s_or_b32 exec_lo, exec_lo, s37
	v_mov_b32_e32 v3, 0
	s_and_saveexec_b32 s37, s52
	s_cbranch_execz .LBB63_703
.LBB63_702:
	v_and_b32_e32 v3, 0xffff, v5
	s_delay_alu instid0(VALU_DEP_1) | instskip(SKIP_1) | instid1(VALU_DEP_2)
	v_and_b32_e32 v8, 3, v3
	v_bfe_u32 v11, v3, 2, 5
	v_clz_i32_u32_e32 v9, v8
	s_delay_alu instid0(VALU_DEP_2) | instskip(NEXT) | instid1(VALU_DEP_2)
	v_cmp_eq_u32_e32 vcc_lo, 0, v11
	v_min_u32_e32 v9, 32, v9
	s_delay_alu instid0(VALU_DEP_1) | instskip(NEXT) | instid1(VALU_DEP_1)
	v_subrev_nc_u32_e32 v10, 29, v9
	v_dual_lshlrev_b32 v3, v10, v3 :: v_dual_sub_nc_u32 v9, 30, v9
	s_delay_alu instid0(VALU_DEP_1) | instskip(NEXT) | instid1(VALU_DEP_1)
	v_dual_lshlrev_b32 v5, 24, v5 :: v_dual_bitop2_b32 v3, 3, v3 bitop3:0x40
	v_dual_cndmask_b32 v3, v8, v3, vcc_lo :: v_dual_cndmask_b32 v9, v11, v9, vcc_lo
	s_delay_alu instid0(VALU_DEP_2) | instskip(NEXT) | instid1(VALU_DEP_2)
	v_and_b32_e32 v5, 0x80000000, v5
	v_lshlrev_b32_e32 v3, 21, v3
	s_delay_alu instid0(VALU_DEP_3) | instskip(NEXT) | instid1(VALU_DEP_1)
	v_lshl_add_u32 v8, v9, 23, 0x37800000
	v_or3_b32 v3, v5, v8, v3
	s_delay_alu instid0(VALU_DEP_1)
	v_cvt_i32_f32_e32 v3, v3
.LBB63_703:
	s_or_b32 exec_lo, exec_lo, s37
	s_mov_b32 s37, 0
	s_branch .LBB63_709
.LBB63_704:
	s_mov_b32 s52, -1
                                        ; implicit-def: $vgpr3
	s_branch .LBB63_715
.LBB63_705:
	s_and_not1_saveexec_b32 s37, s37
	s_cbranch_execz .LBB63_690
.LBB63_706:
	v_cmp_ne_u16_e32 vcc_lo, 0, v5
	s_and_not1_b32 s52, s52, exec_lo
	s_and_b32 s53, vcc_lo, exec_lo
	s_delay_alu instid0(SALU_CYCLE_1)
	s_or_b32 s52, s52, s53
	s_or_b32 exec_lo, exec_lo, s37
	v_mov_b32_e32 v3, 0
	s_and_saveexec_b32 s37, s52
	s_cbranch_execnz .LBB63_691
	s_branch .LBB63_692
.LBB63_707:
	s_mov_b32 s37, -1
                                        ; implicit-def: $vgpr3
	s_branch .LBB63_712
.LBB63_708:
	s_mov_b32 s37, -1
                                        ; implicit-def: $vgpr3
.LBB63_709:
	s_delay_alu instid0(SALU_CYCLE_1)
	s_and_b32 vcc_lo, exec_lo, s37
	s_cbranch_vccz .LBB63_711
; %bb.710:
	s_wait_loadcnt 0x0
	global_load_u8 v3, v[6:7], off
	s_wait_loadcnt 0x0
	v_lshlrev_b32_e32 v3, 24, v3
	s_delay_alu instid0(VALU_DEP_1) | instskip(SKIP_1) | instid1(VALU_DEP_1)
	v_and_b32_e32 v5, 0x7f000000, v3
	s_wait_xcnt 0x1
	v_clz_i32_u32_e32 v8, v5
	v_cmp_ne_u32_e32 vcc_lo, 0, v5
	v_add_nc_u32_e32 v10, 0x1000000, v5
	s_delay_alu instid0(VALU_DEP_3) | instskip(NEXT) | instid1(VALU_DEP_1)
	v_min_u32_e32 v8, 32, v8
	v_sub_nc_u32_e64 v8, v8, 4 clamp
	s_delay_alu instid0(VALU_DEP_1) | instskip(NEXT) | instid1(VALU_DEP_1)
	v_dual_lshlrev_b32 v9, v8, v5 :: v_dual_lshlrev_b32 v8, 23, v8
	v_lshrrev_b32_e32 v9, 4, v9
	s_delay_alu instid0(VALU_DEP_1) | instskip(NEXT) | instid1(VALU_DEP_1)
	v_dual_sub_nc_u32 v8, v9, v8 :: v_dual_ashrrev_i32 v9, 8, v10
	v_add_nc_u32_e32 v8, 0x3c000000, v8
	s_delay_alu instid0(VALU_DEP_1) | instskip(NEXT) | instid1(VALU_DEP_1)
	v_and_or_b32 v8, 0x7f800000, v9, v8
	v_cndmask_b32_e32 v5, 0, v8, vcc_lo
	s_delay_alu instid0(VALU_DEP_1) | instskip(NEXT) | instid1(VALU_DEP_1)
	v_and_or_b32 v3, 0x80000000, v3, v5
	v_cvt_i32_f32_e32 v3, v3
.LBB63_711:
	s_mov_b32 s37, 0
.LBB63_712:
	s_delay_alu instid0(SALU_CYCLE_1)
	s_and_not1_b32 vcc_lo, exec_lo, s37
	s_cbranch_vccnz .LBB63_714
; %bb.713:
	s_wait_loadcnt 0x0
	global_load_u8 v3, v[6:7], off
	s_wait_loadcnt 0x0
	v_lshlrev_b32_e32 v5, 25, v3
	v_lshlrev_b16 v3, 8, v3
	s_wait_xcnt 0x1
	s_delay_alu instid0(VALU_DEP_1) | instskip(SKIP_1) | instid1(VALU_DEP_2)
	v_and_or_b32 v9, 0x7f00, v3, 0.5
	v_bfe_i32 v3, v3, 0, 16
	v_add_f32_e32 v9, -0.5, v9
	v_lshrrev_b32_e32 v8, 4, v5
	v_cmp_gt_u32_e32 vcc_lo, 0x8000000, v5
	s_delay_alu instid0(VALU_DEP_2) | instskip(NEXT) | instid1(VALU_DEP_1)
	v_or_b32_e32 v8, 0x70000000, v8
	v_mul_f32_e32 v8, 0x7800000, v8
	s_delay_alu instid0(VALU_DEP_1) | instskip(NEXT) | instid1(VALU_DEP_1)
	v_cndmask_b32_e32 v5, v8, v9, vcc_lo
	v_and_or_b32 v3, 0x80000000, v3, v5
	s_delay_alu instid0(VALU_DEP_1)
	v_cvt_i32_f32_e32 v3, v3
.LBB63_714:
	s_mov_b32 s52, 0
	s_mov_b32 s37, -1
.LBB63_715:
	s_and_not1_b32 vcc_lo, exec_lo, s52
	s_cbranch_vccnz .LBB63_728
; %bb.716:
	s_cmp_gt_i32 s36, 14
	s_cbranch_scc0 .LBB63_719
; %bb.717:
	s_cmp_eq_u32 s36, 15
	s_cbranch_scc0 .LBB63_722
; %bb.718:
	s_wait_loadcnt 0x0
	global_load_u16 v3, v[6:7], off
	s_mov_b32 s37, -1
	s_mov_b32 s35, 0
	s_wait_loadcnt 0x0
	v_lshlrev_b32_e32 v3, 16, v3
	s_delay_alu instid0(VALU_DEP_1)
	v_cvt_i32_f32_e32 v3, v3
	s_branch .LBB63_723
.LBB63_719:
	s_mov_b32 s52, -1
                                        ; implicit-def: $vgpr3
	s_branch .LBB63_724
.LBB63_720:
	s_and_not1_saveexec_b32 s37, s37
	s_cbranch_execz .LBB63_701
.LBB63_721:
	v_cmp_ne_u16_e32 vcc_lo, 0, v5
	s_and_not1_b32 s52, s52, exec_lo
	s_and_b32 s53, vcc_lo, exec_lo
	s_delay_alu instid0(SALU_CYCLE_1)
	s_or_b32 s52, s52, s53
	s_or_b32 exec_lo, exec_lo, s37
	v_mov_b32_e32 v3, 0
	s_and_saveexec_b32 s37, s52
	s_cbranch_execnz .LBB63_702
	s_branch .LBB63_703
.LBB63_722:
	s_mov_b32 s35, -1
                                        ; implicit-def: $vgpr3
.LBB63_723:
	s_mov_b32 s52, 0
.LBB63_724:
	s_delay_alu instid0(SALU_CYCLE_1)
	s_and_b32 vcc_lo, exec_lo, s52
	s_cbranch_vccz .LBB63_728
; %bb.725:
	s_cmp_eq_u32 s36, 11
	s_cbranch_scc0 .LBB63_727
; %bb.726:
	s_wait_loadcnt 0x0
	global_load_u8 v3, v[6:7], off
	s_mov_b32 s35, 0
	s_mov_b32 s37, -1
	s_wait_loadcnt 0x0
	v_cmp_ne_u16_e32 vcc_lo, 0, v3
	v_cndmask_b32_e64 v3, 0, 1, vcc_lo
	s_branch .LBB63_728
.LBB63_727:
	s_mov_b32 s35, -1
                                        ; implicit-def: $vgpr3
.LBB63_728:
	s_mov_b32 s36, 0
.LBB63_729:
	s_delay_alu instid0(SALU_CYCLE_1)
	s_and_b32 vcc_lo, exec_lo, s36
	s_cbranch_vccz .LBB63_778
; %bb.730:
	s_and_b32 s0, 0xffff, s0
	s_delay_alu instid0(SALU_CYCLE_1)
	s_cmp_lt_i32 s0, 5
	s_cbranch_scc1 .LBB63_735
; %bb.731:
	s_cmp_lt_i32 s0, 8
	s_cbranch_scc1 .LBB63_736
; %bb.732:
	;; [unrolled: 3-line block ×3, first 2 shown]
	s_cmp_gt_i32 s0, 9
	s_cbranch_scc0 .LBB63_738
; %bb.734:
	global_load_b64 v[8:9], v[6:7], off
	s_mov_b32 s36, 0
	s_wait_loadcnt 0x0
	v_cvt_i32_f64_e32 v3, v[8:9]
	s_branch .LBB63_739
.LBB63_735:
	s_mov_b32 s36, -1
                                        ; implicit-def: $vgpr3
	s_branch .LBB63_757
.LBB63_736:
	s_mov_b32 s36, -1
                                        ; implicit-def: $vgpr3
	s_branch .LBB63_745
.LBB63_737:
	s_mov_b32 s36, -1
                                        ; implicit-def: $vgpr3
	s_branch .LBB63_742
.LBB63_738:
	s_mov_b32 s36, -1
                                        ; implicit-def: $vgpr3
.LBB63_739:
	s_delay_alu instid0(SALU_CYCLE_1)
	s_and_not1_b32 vcc_lo, exec_lo, s36
	s_cbranch_vccnz .LBB63_741
; %bb.740:
	s_wait_loadcnt 0x0
	global_load_b32 v3, v[6:7], off
	s_wait_loadcnt 0x0
	v_cvt_i32_f32_e32 v3, v3
.LBB63_741:
	s_mov_b32 s36, 0
.LBB63_742:
	s_delay_alu instid0(SALU_CYCLE_1)
	s_and_not1_b32 vcc_lo, exec_lo, s36
	s_cbranch_vccnz .LBB63_744
; %bb.743:
	s_wait_loadcnt 0x0
	global_load_b32 v3, v[6:7], off
	s_wait_loadcnt 0x0
	v_cvt_f32_f16_e32 v3, v3
	s_delay_alu instid0(VALU_DEP_1)
	v_cvt_i32_f32_e32 v3, v3
.LBB63_744:
	s_mov_b32 s36, 0
.LBB63_745:
	s_delay_alu instid0(SALU_CYCLE_1)
	s_and_not1_b32 vcc_lo, exec_lo, s36
	s_cbranch_vccnz .LBB63_756
; %bb.746:
	s_cmp_lt_i32 s0, 6
	s_cbranch_scc1 .LBB63_749
; %bb.747:
	s_cmp_gt_i32 s0, 6
	s_cbranch_scc0 .LBB63_750
; %bb.748:
	global_load_b64 v[8:9], v[6:7], off
	s_mov_b32 s36, 0
	s_wait_loadcnt 0x0
	v_cvt_i32_f64_e32 v3, v[8:9]
	s_branch .LBB63_751
.LBB63_749:
	s_mov_b32 s36, -1
                                        ; implicit-def: $vgpr3
	s_branch .LBB63_754
.LBB63_750:
	s_mov_b32 s36, -1
                                        ; implicit-def: $vgpr3
.LBB63_751:
	s_delay_alu instid0(SALU_CYCLE_1)
	s_and_not1_b32 vcc_lo, exec_lo, s36
	s_cbranch_vccnz .LBB63_753
; %bb.752:
	s_wait_loadcnt 0x0
	global_load_b32 v3, v[6:7], off
	s_wait_loadcnt 0x0
	v_cvt_i32_f32_e32 v3, v3
.LBB63_753:
	s_mov_b32 s36, 0
.LBB63_754:
	s_delay_alu instid0(SALU_CYCLE_1)
	s_and_not1_b32 vcc_lo, exec_lo, s36
	s_cbranch_vccnz .LBB63_756
; %bb.755:
	s_wait_loadcnt 0x0
	global_load_u16 v3, v[6:7], off
	s_wait_loadcnt 0x0
	v_cvt_f32_f16_e32 v3, v3
	s_delay_alu instid0(VALU_DEP_1)
	v_cvt_i32_f32_e32 v3, v3
.LBB63_756:
	s_mov_b32 s36, 0
.LBB63_757:
	s_delay_alu instid0(SALU_CYCLE_1)
	s_and_not1_b32 vcc_lo, exec_lo, s36
	s_cbranch_vccnz .LBB63_777
; %bb.758:
	s_cmp_lt_i32 s0, 2
	s_cbranch_scc1 .LBB63_762
; %bb.759:
	s_cmp_lt_i32 s0, 3
	s_cbranch_scc1 .LBB63_763
; %bb.760:
	s_cmp_gt_i32 s0, 3
	s_cbranch_scc0 .LBB63_764
; %bb.761:
	s_wait_loadcnt 0x0
	global_load_b32 v3, v[6:7], off
	s_mov_b32 s36, 0
	s_branch .LBB63_765
.LBB63_762:
	s_mov_b32 s36, -1
                                        ; implicit-def: $vgpr3
	s_branch .LBB63_771
.LBB63_763:
	s_mov_b32 s36, -1
                                        ; implicit-def: $vgpr3
	s_branch .LBB63_768
.LBB63_764:
	s_mov_b32 s36, -1
                                        ; implicit-def: $vgpr3
.LBB63_765:
	s_delay_alu instid0(SALU_CYCLE_1)
	s_and_not1_b32 vcc_lo, exec_lo, s36
	s_cbranch_vccnz .LBB63_767
; %bb.766:
	s_wait_loadcnt 0x0
	global_load_b32 v3, v[6:7], off
.LBB63_767:
	s_mov_b32 s36, 0
.LBB63_768:
	s_delay_alu instid0(SALU_CYCLE_1)
	s_and_not1_b32 vcc_lo, exec_lo, s36
	s_cbranch_vccnz .LBB63_770
; %bb.769:
	s_wait_loadcnt 0x0
	global_load_i16 v3, v[6:7], off
.LBB63_770:
	s_mov_b32 s36, 0
.LBB63_771:
	s_delay_alu instid0(SALU_CYCLE_1)
	s_and_not1_b32 vcc_lo, exec_lo, s36
	s_cbranch_vccnz .LBB63_777
; %bb.772:
	s_cmp_gt_i32 s0, 0
	s_mov_b32 s0, 0
	s_cbranch_scc0 .LBB63_774
; %bb.773:
	s_wait_loadcnt 0x0
	global_load_i8 v3, v[6:7], off
	s_branch .LBB63_775
.LBB63_774:
	s_mov_b32 s0, -1
                                        ; implicit-def: $vgpr3
.LBB63_775:
	s_delay_alu instid0(SALU_CYCLE_1)
	s_and_not1_b32 vcc_lo, exec_lo, s0
	s_cbranch_vccnz .LBB63_777
; %bb.776:
	s_wait_loadcnt 0x0
	global_load_u8 v3, v[6:7], off
.LBB63_777:
	s_mov_b32 s37, -1
.LBB63_778:
	s_delay_alu instid0(SALU_CYCLE_1)
	s_and_not1_b32 vcc_lo, exec_lo, s37
	s_cbranch_vccnz .LBB63_786
; %bb.779:
	v_mov_b32_e32 v5, 0
	s_and_b32 s0, 0xffff, s21
	s_delay_alu instid0(SALU_CYCLE_1) | instskip(NEXT) | instid1(VALU_DEP_1)
	s_cmp_lt_i32 s0, 11
	v_add_nc_u64_e32 v[4:5], s[10:11], v[4:5]
	s_cbranch_scc1 .LBB63_787
; %bb.780:
	s_cmp_gt_i32 s0, 25
	s_cbranch_scc0 .LBB63_788
; %bb.781:
	s_cmp_gt_i32 s0, 28
	s_cbranch_scc0 .LBB63_789
	;; [unrolled: 3-line block ×4, first 2 shown]
; %bb.784:
	s_cmp_eq_u32 s0, 46
	s_mov_b32 s52, 0
	s_cbranch_scc0 .LBB63_794
; %bb.785:
	global_load_b32 v6, v[4:5], off
	s_mov_b32 s37, -1
	s_mov_b32 s36, 0
	s_wait_loadcnt 0x0
	v_lshlrev_b32_e32 v6, 16, v6
	s_delay_alu instid0(VALU_DEP_1)
	v_cvt_i32_f32_e32 v6, v6
	s_branch .LBB63_796
.LBB63_786:
	s_mov_b32 s37, 0
	s_mov_b32 s0, s44
	;; [unrolled: 1-line block ×3, first 2 shown]
	s_branch .LBB63_1031
.LBB63_787:
	s_mov_b32 s52, -1
	s_mov_b32 s37, 0
	s_mov_b32 s36, s48
                                        ; implicit-def: $vgpr6
	s_branch .LBB63_857
.LBB63_788:
	s_mov_b32 s52, -1
	s_mov_b32 s37, 0
	s_mov_b32 s36, s48
                                        ; implicit-def: $vgpr6
	s_branch .LBB63_823
.LBB63_789:
	s_mov_b32 s52, -1
	s_mov_b32 s37, 0
	s_mov_b32 s36, s48
                                        ; implicit-def: $vgpr6
	s_branch .LBB63_806
.LBB63_790:
	s_mov_b32 s52, -1
	s_mov_b32 s37, 0
	s_mov_b32 s36, s48
                                        ; implicit-def: $vgpr6
	s_branch .LBB63_801
.LBB63_791:
	s_mov_b32 s52, -1
	s_mov_b32 s37, 0
	s_mov_b32 s36, s48
	s_branch .LBB63_795
.LBB63_792:
	s_and_not1_saveexec_b32 s50, s50
	s_cbranch_execz .LBB63_433
.LBB63_793:
	v_add_f32_e64 v5, 0x42800000, |v1|
	s_and_not1_b32 s49, s49, exec_lo
	s_delay_alu instid0(VALU_DEP_1) | instskip(NEXT) | instid1(VALU_DEP_1)
	v_and_b32_e32 v5, 0xff, v5
	v_cmp_ne_u32_e32 vcc_lo, 0, v5
	s_and_b32 s52, vcc_lo, exec_lo
	s_delay_alu instid0(SALU_CYCLE_1)
	s_or_b32 s49, s49, s52
	s_or_b32 exec_lo, exec_lo, s50
	v_mov_b32_e32 v6, 0
	s_and_saveexec_b32 s50, s49
	s_cbranch_execnz .LBB63_434
	s_branch .LBB63_435
.LBB63_794:
	s_mov_b32 s36, -1
	s_mov_b32 s37, 0
.LBB63_795:
                                        ; implicit-def: $vgpr6
.LBB63_796:
	s_and_b32 vcc_lo, exec_lo, s52
	s_cbranch_vccz .LBB63_800
; %bb.797:
	s_cmp_eq_u32 s0, 44
	s_cbranch_scc0 .LBB63_799
; %bb.798:
	global_load_u8 v6, v[4:5], off
	s_mov_b32 s36, 0
	s_mov_b32 s37, -1
	s_wait_loadcnt 0x0
	v_lshlrev_b32_e32 v7, 23, v6
	v_cmp_ne_u32_e32 vcc_lo, 0, v6
	s_delay_alu instid0(VALU_DEP_2) | instskip(NEXT) | instid1(VALU_DEP_1)
	v_cvt_i32_f32_e32 v7, v7
	v_cndmask_b32_e32 v6, 0, v7, vcc_lo
	s_branch .LBB63_800
.LBB63_799:
	s_mov_b32 s36, -1
                                        ; implicit-def: $vgpr6
.LBB63_800:
	s_mov_b32 s52, 0
.LBB63_801:
	s_delay_alu instid0(SALU_CYCLE_1)
	s_and_b32 vcc_lo, exec_lo, s52
	s_cbranch_vccz .LBB63_805
; %bb.802:
	s_cmp_eq_u32 s0, 29
	s_cbranch_scc0 .LBB63_804
; %bb.803:
	global_load_b32 v6, v[4:5], off
	s_mov_b32 s37, -1
	s_mov_b32 s36, 0
	s_branch .LBB63_805
.LBB63_804:
	s_mov_b32 s36, -1
                                        ; implicit-def: $vgpr6
.LBB63_805:
	s_mov_b32 s52, 0
.LBB63_806:
	s_delay_alu instid0(SALU_CYCLE_1)
	s_and_b32 vcc_lo, exec_lo, s52
	s_cbranch_vccz .LBB63_822
; %bb.807:
	s_cmp_lt_i32 s0, 27
	s_cbranch_scc1 .LBB63_810
; %bb.808:
	s_cmp_gt_i32 s0, 27
	s_cbranch_scc0 .LBB63_811
; %bb.809:
	s_wait_loadcnt 0x0
	global_load_b32 v6, v[4:5], off
	s_mov_b32 s37, 0
	s_branch .LBB63_812
.LBB63_810:
	s_mov_b32 s37, -1
                                        ; implicit-def: $vgpr6
	s_branch .LBB63_815
.LBB63_811:
	s_mov_b32 s37, -1
                                        ; implicit-def: $vgpr6
.LBB63_812:
	s_delay_alu instid0(SALU_CYCLE_1)
	s_and_not1_b32 vcc_lo, exec_lo, s37
	s_cbranch_vccnz .LBB63_814
; %bb.813:
	s_wait_loadcnt 0x0
	global_load_u16 v6, v[4:5], off
.LBB63_814:
	s_mov_b32 s37, 0
.LBB63_815:
	s_delay_alu instid0(SALU_CYCLE_1)
	s_and_not1_b32 vcc_lo, exec_lo, s37
	s_cbranch_vccnz .LBB63_821
; %bb.816:
	global_load_u8 v7, v[4:5], off
	s_mov_b32 s52, 0
	s_mov_b32 s37, exec_lo
	s_wait_loadcnt 0x0
	v_cmpx_lt_i16_e32 0x7f, v7
	s_xor_b32 s37, exec_lo, s37
	s_cbranch_execz .LBB63_833
; %bb.817:
	v_cmp_ne_u16_e32 vcc_lo, 0x80, v7
	s_and_b32 s52, vcc_lo, exec_lo
	s_and_not1_saveexec_b32 s37, s37
	s_cbranch_execnz .LBB63_834
.LBB63_818:
	s_or_b32 exec_lo, exec_lo, s37
	v_mov_b32_e32 v6, 0
	s_and_saveexec_b32 s37, s52
	s_cbranch_execz .LBB63_820
.LBB63_819:
	v_and_b32_e32 v6, 0xffff, v7
	s_delay_alu instid0(VALU_DEP_1) | instskip(SKIP_1) | instid1(VALU_DEP_2)
	v_and_b32_e32 v8, 7, v6
	v_bfe_u32 v11, v6, 3, 4
	v_clz_i32_u32_e32 v9, v8
	s_delay_alu instid0(VALU_DEP_2) | instskip(NEXT) | instid1(VALU_DEP_2)
	v_cmp_eq_u32_e32 vcc_lo, 0, v11
	v_min_u32_e32 v9, 32, v9
	s_delay_alu instid0(VALU_DEP_1) | instskip(NEXT) | instid1(VALU_DEP_1)
	v_subrev_nc_u32_e32 v10, 28, v9
	v_dual_lshlrev_b32 v6, v10, v6 :: v_dual_sub_nc_u32 v9, 29, v9
	s_delay_alu instid0(VALU_DEP_1) | instskip(NEXT) | instid1(VALU_DEP_1)
	v_dual_lshlrev_b32 v7, 24, v7 :: v_dual_bitop2_b32 v6, 7, v6 bitop3:0x40
	v_dual_cndmask_b32 v9, v11, v9 :: v_dual_cndmask_b32 v6, v8, v6
	s_delay_alu instid0(VALU_DEP_2) | instskip(NEXT) | instid1(VALU_DEP_2)
	v_and_b32_e32 v7, 0x80000000, v7
	v_lshl_add_u32 v8, v9, 23, 0x3b800000
	s_delay_alu instid0(VALU_DEP_3) | instskip(NEXT) | instid1(VALU_DEP_1)
	v_lshlrev_b32_e32 v6, 20, v6
	v_or3_b32 v6, v7, v8, v6
	s_delay_alu instid0(VALU_DEP_1)
	v_cvt_i32_f32_e32 v6, v6
.LBB63_820:
	s_or_b32 exec_lo, exec_lo, s37
.LBB63_821:
	s_mov_b32 s37, -1
.LBB63_822:
	s_mov_b32 s52, 0
.LBB63_823:
	s_delay_alu instid0(SALU_CYCLE_1)
	s_and_b32 vcc_lo, exec_lo, s52
	s_cbranch_vccz .LBB63_856
; %bb.824:
	s_cmp_gt_i32 s0, 22
	s_cbranch_scc0 .LBB63_832
; %bb.825:
	s_cmp_lt_i32 s0, 24
	s_cbranch_scc1 .LBB63_835
; %bb.826:
	s_cmp_gt_i32 s0, 24
	s_cbranch_scc0 .LBB63_836
; %bb.827:
	global_load_u8 v7, v[4:5], off
	s_mov_b32 s52, 0
	s_mov_b32 s37, exec_lo
	s_wait_loadcnt 0x0
	v_cmpx_lt_i16_e32 0x7f, v7
	s_xor_b32 s37, exec_lo, s37
	s_cbranch_execz .LBB63_848
; %bb.828:
	v_cmp_ne_u16_e32 vcc_lo, 0x80, v7
	s_and_b32 s52, vcc_lo, exec_lo
	s_and_not1_saveexec_b32 s37, s37
	s_cbranch_execnz .LBB63_849
.LBB63_829:
	s_or_b32 exec_lo, exec_lo, s37
	v_mov_b32_e32 v6, 0
	s_and_saveexec_b32 s37, s52
	s_cbranch_execz .LBB63_831
.LBB63_830:
	v_and_b32_e32 v6, 0xffff, v7
	s_delay_alu instid0(VALU_DEP_1) | instskip(SKIP_1) | instid1(VALU_DEP_2)
	v_and_b32_e32 v8, 3, v6
	v_bfe_u32 v11, v6, 2, 5
	v_clz_i32_u32_e32 v9, v8
	s_delay_alu instid0(VALU_DEP_2) | instskip(NEXT) | instid1(VALU_DEP_2)
	v_cmp_eq_u32_e32 vcc_lo, 0, v11
	v_min_u32_e32 v9, 32, v9
	s_delay_alu instid0(VALU_DEP_1) | instskip(NEXT) | instid1(VALU_DEP_1)
	v_subrev_nc_u32_e32 v10, 29, v9
	v_dual_lshlrev_b32 v6, v10, v6 :: v_dual_sub_nc_u32 v9, 30, v9
	s_delay_alu instid0(VALU_DEP_1) | instskip(NEXT) | instid1(VALU_DEP_1)
	v_dual_lshlrev_b32 v7, 24, v7 :: v_dual_bitop2_b32 v6, 3, v6 bitop3:0x40
	v_dual_cndmask_b32 v9, v11, v9 :: v_dual_cndmask_b32 v6, v8, v6
	s_delay_alu instid0(VALU_DEP_2) | instskip(NEXT) | instid1(VALU_DEP_2)
	v_and_b32_e32 v7, 0x80000000, v7
	v_lshl_add_u32 v8, v9, 23, 0x37800000
	s_delay_alu instid0(VALU_DEP_3) | instskip(NEXT) | instid1(VALU_DEP_1)
	v_lshlrev_b32_e32 v6, 21, v6
	v_or3_b32 v6, v7, v8, v6
	s_delay_alu instid0(VALU_DEP_1)
	v_cvt_i32_f32_e32 v6, v6
.LBB63_831:
	s_or_b32 exec_lo, exec_lo, s37
	s_mov_b32 s37, 0
	s_branch .LBB63_837
.LBB63_832:
	s_mov_b32 s52, -1
                                        ; implicit-def: $vgpr6
	s_branch .LBB63_843
.LBB63_833:
	s_and_not1_saveexec_b32 s37, s37
	s_cbranch_execz .LBB63_818
.LBB63_834:
	v_cmp_ne_u16_e32 vcc_lo, 0, v7
	s_and_not1_b32 s52, s52, exec_lo
	s_and_b32 s53, vcc_lo, exec_lo
	s_delay_alu instid0(SALU_CYCLE_1)
	s_or_b32 s52, s52, s53
	s_or_b32 exec_lo, exec_lo, s37
	v_mov_b32_e32 v6, 0
	s_and_saveexec_b32 s37, s52
	s_cbranch_execnz .LBB63_819
	s_branch .LBB63_820
.LBB63_835:
	s_mov_b32 s37, -1
                                        ; implicit-def: $vgpr6
	s_branch .LBB63_840
.LBB63_836:
	s_mov_b32 s37, -1
                                        ; implicit-def: $vgpr6
.LBB63_837:
	s_delay_alu instid0(SALU_CYCLE_1)
	s_and_b32 vcc_lo, exec_lo, s37
	s_cbranch_vccz .LBB63_839
; %bb.838:
	s_wait_loadcnt 0x0
	global_load_u8 v6, v[4:5], off
	s_wait_loadcnt 0x0
	v_lshlrev_b32_e32 v6, 24, v6
	s_delay_alu instid0(VALU_DEP_1) | instskip(NEXT) | instid1(VALU_DEP_1)
	v_and_b32_e32 v7, 0x7f000000, v6
	v_clz_i32_u32_e32 v8, v7
	v_cmp_ne_u32_e32 vcc_lo, 0, v7
	v_add_nc_u32_e32 v10, 0x1000000, v7
	s_delay_alu instid0(VALU_DEP_3) | instskip(NEXT) | instid1(VALU_DEP_1)
	v_min_u32_e32 v8, 32, v8
	v_sub_nc_u32_e64 v8, v8, 4 clamp
	s_delay_alu instid0(VALU_DEP_1) | instskip(NEXT) | instid1(VALU_DEP_1)
	v_dual_lshlrev_b32 v9, v8, v7 :: v_dual_lshlrev_b32 v8, 23, v8
	v_lshrrev_b32_e32 v9, 4, v9
	s_delay_alu instid0(VALU_DEP_1) | instskip(NEXT) | instid1(VALU_DEP_1)
	v_dual_sub_nc_u32 v8, v9, v8 :: v_dual_ashrrev_i32 v9, 8, v10
	v_add_nc_u32_e32 v8, 0x3c000000, v8
	s_delay_alu instid0(VALU_DEP_1) | instskip(NEXT) | instid1(VALU_DEP_1)
	v_and_or_b32 v8, 0x7f800000, v9, v8
	v_cndmask_b32_e32 v7, 0, v8, vcc_lo
	s_delay_alu instid0(VALU_DEP_1) | instskip(NEXT) | instid1(VALU_DEP_1)
	v_and_or_b32 v6, 0x80000000, v6, v7
	v_cvt_i32_f32_e32 v6, v6
.LBB63_839:
	s_mov_b32 s37, 0
.LBB63_840:
	s_delay_alu instid0(SALU_CYCLE_1)
	s_and_not1_b32 vcc_lo, exec_lo, s37
	s_cbranch_vccnz .LBB63_842
; %bb.841:
	s_wait_loadcnt 0x0
	global_load_u8 v6, v[4:5], off
	s_wait_loadcnt 0x0
	v_lshlrev_b32_e32 v7, 25, v6
	v_lshlrev_b16 v6, 8, v6
	s_delay_alu instid0(VALU_DEP_1) | instskip(SKIP_1) | instid1(VALU_DEP_2)
	v_and_or_b32 v9, 0x7f00, v6, 0.5
	v_bfe_i32 v6, v6, 0, 16
	v_dual_add_f32 v9, -0.5, v9 :: v_dual_lshrrev_b32 v8, 4, v7
	v_cmp_gt_u32_e32 vcc_lo, 0x8000000, v7
	s_delay_alu instid0(VALU_DEP_2) | instskip(NEXT) | instid1(VALU_DEP_1)
	v_or_b32_e32 v8, 0x70000000, v8
	v_mul_f32_e32 v8, 0x7800000, v8
	s_delay_alu instid0(VALU_DEP_1) | instskip(NEXT) | instid1(VALU_DEP_1)
	v_cndmask_b32_e32 v7, v8, v9, vcc_lo
	v_and_or_b32 v6, 0x80000000, v6, v7
	s_delay_alu instid0(VALU_DEP_1)
	v_cvt_i32_f32_e32 v6, v6
.LBB63_842:
	s_mov_b32 s52, 0
	s_mov_b32 s37, -1
.LBB63_843:
	s_and_not1_b32 vcc_lo, exec_lo, s52
	s_cbranch_vccnz .LBB63_856
; %bb.844:
	s_cmp_gt_i32 s0, 14
	s_cbranch_scc0 .LBB63_847
; %bb.845:
	s_cmp_eq_u32 s0, 15
	s_cbranch_scc0 .LBB63_850
; %bb.846:
	s_wait_loadcnt 0x0
	global_load_u16 v6, v[4:5], off
	s_mov_b32 s37, -1
	s_mov_b32 s36, 0
	s_wait_loadcnt 0x0
	v_lshlrev_b32_e32 v6, 16, v6
	s_delay_alu instid0(VALU_DEP_1)
	v_cvt_i32_f32_e32 v6, v6
	s_branch .LBB63_851
.LBB63_847:
	s_mov_b32 s52, -1
                                        ; implicit-def: $vgpr6
	s_branch .LBB63_852
.LBB63_848:
	s_and_not1_saveexec_b32 s37, s37
	s_cbranch_execz .LBB63_829
.LBB63_849:
	v_cmp_ne_u16_e32 vcc_lo, 0, v7
	s_and_not1_b32 s52, s52, exec_lo
	s_and_b32 s53, vcc_lo, exec_lo
	s_delay_alu instid0(SALU_CYCLE_1)
	s_or_b32 s52, s52, s53
	s_or_b32 exec_lo, exec_lo, s37
	v_mov_b32_e32 v6, 0
	s_and_saveexec_b32 s37, s52
	s_cbranch_execnz .LBB63_830
	s_branch .LBB63_831
.LBB63_850:
	s_mov_b32 s36, -1
                                        ; implicit-def: $vgpr6
.LBB63_851:
	s_mov_b32 s52, 0
.LBB63_852:
	s_delay_alu instid0(SALU_CYCLE_1)
	s_and_b32 vcc_lo, exec_lo, s52
	s_cbranch_vccz .LBB63_856
; %bb.853:
	s_cmp_eq_u32 s0, 11
	s_cbranch_scc0 .LBB63_855
; %bb.854:
	s_wait_loadcnt 0x0
	global_load_u8 v6, v[4:5], off
	s_mov_b32 s36, 0
	s_mov_b32 s37, -1
	s_wait_loadcnt 0x0
	v_cmp_ne_u16_e32 vcc_lo, 0, v6
	v_cndmask_b32_e64 v6, 0, 1, vcc_lo
	s_branch .LBB63_856
.LBB63_855:
	s_mov_b32 s36, -1
                                        ; implicit-def: $vgpr6
.LBB63_856:
	s_mov_b32 s52, 0
.LBB63_857:
	s_delay_alu instid0(SALU_CYCLE_1)
	s_and_b32 vcc_lo, exec_lo, s52
	s_cbranch_vccz .LBB63_906
; %bb.858:
	s_cmp_lt_i32 s0, 5
	s_cbranch_scc1 .LBB63_863
; %bb.859:
	s_cmp_lt_i32 s0, 8
	s_cbranch_scc1 .LBB63_864
	;; [unrolled: 3-line block ×3, first 2 shown]
; %bb.861:
	s_cmp_gt_i32 s0, 9
	s_cbranch_scc0 .LBB63_866
; %bb.862:
	s_wait_loadcnt 0x0
	global_load_b64 v[6:7], v[4:5], off
	s_mov_b32 s37, 0
	s_wait_loadcnt 0x0
	v_cvt_i32_f64_e32 v6, v[6:7]
	s_branch .LBB63_867
.LBB63_863:
	s_mov_b32 s37, -1
                                        ; implicit-def: $vgpr6
	s_branch .LBB63_885
.LBB63_864:
	s_mov_b32 s37, -1
                                        ; implicit-def: $vgpr6
	s_branch .LBB63_873
.LBB63_865:
	s_mov_b32 s37, -1
                                        ; implicit-def: $vgpr6
	s_branch .LBB63_870
.LBB63_866:
	s_mov_b32 s37, -1
                                        ; implicit-def: $vgpr6
.LBB63_867:
	s_delay_alu instid0(SALU_CYCLE_1)
	s_and_not1_b32 vcc_lo, exec_lo, s37
	s_cbranch_vccnz .LBB63_869
; %bb.868:
	s_wait_loadcnt 0x0
	global_load_b32 v6, v[4:5], off
	s_wait_loadcnt 0x0
	v_cvt_i32_f32_e32 v6, v6
.LBB63_869:
	s_mov_b32 s37, 0
.LBB63_870:
	s_delay_alu instid0(SALU_CYCLE_1)
	s_and_not1_b32 vcc_lo, exec_lo, s37
	s_cbranch_vccnz .LBB63_872
; %bb.871:
	s_wait_loadcnt 0x0
	global_load_b32 v6, v[4:5], off
	s_wait_loadcnt 0x0
	v_cvt_f32_f16_e32 v6, v6
	s_delay_alu instid0(VALU_DEP_1)
	v_cvt_i32_f32_e32 v6, v6
.LBB63_872:
	s_mov_b32 s37, 0
.LBB63_873:
	s_delay_alu instid0(SALU_CYCLE_1)
	s_and_not1_b32 vcc_lo, exec_lo, s37
	s_cbranch_vccnz .LBB63_884
; %bb.874:
	s_cmp_lt_i32 s0, 6
	s_cbranch_scc1 .LBB63_877
; %bb.875:
	s_cmp_gt_i32 s0, 6
	s_cbranch_scc0 .LBB63_878
; %bb.876:
	s_wait_loadcnt 0x0
	global_load_b64 v[6:7], v[4:5], off
	s_mov_b32 s37, 0
	s_wait_loadcnt 0x0
	v_cvt_i32_f64_e32 v6, v[6:7]
	s_branch .LBB63_879
.LBB63_877:
	s_mov_b32 s37, -1
                                        ; implicit-def: $vgpr6
	s_branch .LBB63_882
.LBB63_878:
	s_mov_b32 s37, -1
                                        ; implicit-def: $vgpr6
.LBB63_879:
	s_delay_alu instid0(SALU_CYCLE_1)
	s_and_not1_b32 vcc_lo, exec_lo, s37
	s_cbranch_vccnz .LBB63_881
; %bb.880:
	s_wait_loadcnt 0x0
	global_load_b32 v6, v[4:5], off
	s_wait_loadcnt 0x0
	v_cvt_i32_f32_e32 v6, v6
.LBB63_881:
	s_mov_b32 s37, 0
.LBB63_882:
	s_delay_alu instid0(SALU_CYCLE_1)
	s_and_not1_b32 vcc_lo, exec_lo, s37
	s_cbranch_vccnz .LBB63_884
; %bb.883:
	s_wait_loadcnt 0x0
	global_load_u16 v6, v[4:5], off
	s_wait_loadcnt 0x0
	v_cvt_f32_f16_e32 v6, v6
	s_delay_alu instid0(VALU_DEP_1)
	v_cvt_i32_f32_e32 v6, v6
.LBB63_884:
	s_mov_b32 s37, 0
.LBB63_885:
	s_delay_alu instid0(SALU_CYCLE_1)
	s_and_not1_b32 vcc_lo, exec_lo, s37
	s_cbranch_vccnz .LBB63_905
; %bb.886:
	s_cmp_lt_i32 s0, 2
	s_cbranch_scc1 .LBB63_890
; %bb.887:
	s_cmp_lt_i32 s0, 3
	s_cbranch_scc1 .LBB63_891
; %bb.888:
	s_cmp_gt_i32 s0, 3
	s_cbranch_scc0 .LBB63_892
; %bb.889:
	s_wait_loadcnt 0x0
	global_load_b32 v6, v[4:5], off
	s_mov_b32 s37, 0
	s_branch .LBB63_893
.LBB63_890:
	s_mov_b32 s37, -1
                                        ; implicit-def: $vgpr6
	s_branch .LBB63_899
.LBB63_891:
	s_mov_b32 s37, -1
                                        ; implicit-def: $vgpr6
	s_branch .LBB63_896
.LBB63_892:
	s_mov_b32 s37, -1
                                        ; implicit-def: $vgpr6
.LBB63_893:
	s_delay_alu instid0(SALU_CYCLE_1)
	s_and_not1_b32 vcc_lo, exec_lo, s37
	s_cbranch_vccnz .LBB63_895
; %bb.894:
	s_wait_loadcnt 0x0
	global_load_b32 v6, v[4:5], off
.LBB63_895:
	s_mov_b32 s37, 0
.LBB63_896:
	s_delay_alu instid0(SALU_CYCLE_1)
	s_and_not1_b32 vcc_lo, exec_lo, s37
	s_cbranch_vccnz .LBB63_898
; %bb.897:
	s_wait_loadcnt 0x0
	global_load_i16 v6, v[4:5], off
.LBB63_898:
	s_mov_b32 s37, 0
.LBB63_899:
	s_delay_alu instid0(SALU_CYCLE_1)
	s_and_not1_b32 vcc_lo, exec_lo, s37
	s_cbranch_vccnz .LBB63_905
; %bb.900:
	s_cmp_gt_i32 s0, 0
	s_mov_b32 s0, 0
	s_cbranch_scc0 .LBB63_902
; %bb.901:
	s_wait_loadcnt 0x0
	global_load_i8 v6, v[4:5], off
	s_branch .LBB63_903
.LBB63_902:
	s_mov_b32 s0, -1
                                        ; implicit-def: $vgpr6
.LBB63_903:
	s_delay_alu instid0(SALU_CYCLE_1)
	s_and_not1_b32 vcc_lo, exec_lo, s0
	s_cbranch_vccnz .LBB63_905
; %bb.904:
	s_wait_loadcnt 0x0
	global_load_u8 v6, v[4:5], off
.LBB63_905:
	s_mov_b32 s37, -1
.LBB63_906:
	s_delay_alu instid0(SALU_CYCLE_1)
	s_and_not1_b32 vcc_lo, exec_lo, s37
	s_cbranch_vccnz .LBB63_914
; %bb.907:
	v_mul_lo_u32 v1, v1, s24
	s_wait_loadcnt 0x0
	s_delay_alu instid0(VALU_DEP_4) | instskip(SKIP_2) | instid1(SALU_CYCLE_1)
	v_mul_lo_u32 v4, v3, s25
	v_mov_b32_e32 v3, 0
	s_and_b32 s37, s26, 0xff
	s_cmp_lt_i32 s37, 11
	s_delay_alu instid0(VALU_DEP_1) | instskip(NEXT) | instid1(VALU_DEP_3)
	v_add_nc_u64_e32 v[2:3], s[4:5], v[2:3]
	v_mad_u32 v4, v4, v6, v1
	s_cbranch_scc1 .LBB63_915
; %bb.908:
	s_and_b32 s52, 0xffff, s37
	s_delay_alu instid0(SALU_CYCLE_1)
	s_cmp_gt_i32 s52, 25
	s_cbranch_scc0 .LBB63_916
; %bb.909:
	s_cmp_gt_i32 s52, 28
	s_cbranch_scc0 .LBB63_917
; %bb.910:
	;; [unrolled: 3-line block ×4, first 2 shown]
	s_mov_b32 s54, 0
	s_mov_b32 s0, -1
	s_cmp_eq_u32 s52, 46
	s_mov_b32 s53, 0
	s_cbranch_scc0 .LBB63_920
; %bb.913:
	v_cvt_f32_i32_e32 v1, v4
	s_mov_b32 s53, -1
	s_mov_b32 s0, 0
	s_delay_alu instid0(VALU_DEP_1) | instskip(NEXT) | instid1(VALU_DEP_1)
	v_bfe_u32 v5, v1, 16, 1
	v_add3_u32 v1, v1, v5, 0x7fff
	s_delay_alu instid0(VALU_DEP_1)
	v_lshrrev_b32_e32 v1, 16, v1
	global_store_b32 v[2:3], v1, off
	s_branch .LBB63_920
.LBB63_914:
	s_mov_b32 s37, 0
	s_mov_b32 s0, s44
	s_branch .LBB63_1031
.LBB63_915:
	s_mov_b32 s52, -1
	s_mov_b32 s53, 0
	s_mov_b32 s0, s44
	s_branch .LBB63_989
.LBB63_916:
	s_mov_b32 s54, -1
	s_mov_b32 s53, 0
	s_mov_b32 s0, s44
	s_branch .LBB63_947
.LBB63_917:
	s_mov_b32 s54, -1
	s_mov_b32 s53, 0
	s_mov_b32 s0, s44
	s_branch .LBB63_930
.LBB63_918:
	s_mov_b32 s54, -1
	s_mov_b32 s53, 0
	s_mov_b32 s0, s44
	s_branch .LBB63_926
.LBB63_919:
	s_mov_b32 s54, -1
	s_mov_b32 s53, 0
	s_mov_b32 s0, s44
.LBB63_920:
	s_and_b32 vcc_lo, exec_lo, s54
	s_cbranch_vccz .LBB63_925
; %bb.921:
	s_cmp_eq_u32 s52, 44
	s_mov_b32 s0, -1
	s_cbranch_scc0 .LBB63_925
; %bb.922:
	s_wait_xcnt 0x0
	v_cvt_f32_i32_e32 v1, v4
	v_mov_b32_e32 v5, 0xff
	s_mov_b32 s53, exec_lo
	s_delay_alu instid0(VALU_DEP_2) | instskip(NEXT) | instid1(VALU_DEP_1)
	v_bfe_u32 v6, v1, 23, 8
	v_cmpx_ne_u32_e32 0xff, v6
	s_cbranch_execz .LBB63_924
; %bb.923:
	v_and_b32_e32 v5, 0x400000, v1
	v_and_or_b32 v6, 0x3fffff, v1, v6
	v_lshrrev_b32_e32 v1, 23, v1
	s_delay_alu instid0(VALU_DEP_3) | instskip(NEXT) | instid1(VALU_DEP_3)
	v_cmp_ne_u32_e32 vcc_lo, 0, v5
	v_cmp_ne_u32_e64 s0, 0, v6
	s_and_b32 s0, vcc_lo, s0
	s_delay_alu instid0(SALU_CYCLE_1) | instskip(NEXT) | instid1(VALU_DEP_1)
	v_cndmask_b32_e64 v5, 0, 1, s0
	v_add_nc_u32_e32 v5, v1, v5
.LBB63_924:
	s_or_b32 exec_lo, exec_lo, s53
	s_mov_b32 s53, -1
	s_mov_b32 s0, 0
	global_store_b8 v[2:3], v5, off
.LBB63_925:
	s_mov_b32 s54, 0
.LBB63_926:
	s_delay_alu instid0(SALU_CYCLE_1)
	s_and_b32 vcc_lo, exec_lo, s54
	s_cbranch_vccz .LBB63_929
; %bb.927:
	s_cmp_eq_u32 s52, 29
	s_mov_b32 s0, -1
	s_cbranch_scc0 .LBB63_929
; %bb.928:
	s_wait_xcnt 0x0
	v_ashrrev_i32_e32 v5, 31, v4
	s_mov_b32 s53, -1
	s_mov_b32 s0, 0
	s_mov_b32 s54, 0
	global_store_b64 v[2:3], v[4:5], off
	s_branch .LBB63_930
.LBB63_929:
	s_mov_b32 s54, 0
.LBB63_930:
	s_delay_alu instid0(SALU_CYCLE_1)
	s_and_b32 vcc_lo, exec_lo, s54
	s_cbranch_vccz .LBB63_946
; %bb.931:
	s_cmp_lt_i32 s52, 27
	s_mov_b32 s53, -1
	s_cbranch_scc1 .LBB63_937
; %bb.932:
	s_cmp_gt_i32 s52, 27
	s_cbranch_scc0 .LBB63_934
; %bb.933:
	s_mov_b32 s53, 0
	global_store_b32 v[2:3], v4, off
.LBB63_934:
	s_and_not1_b32 vcc_lo, exec_lo, s53
	s_cbranch_vccnz .LBB63_936
; %bb.935:
	global_store_b16 v[2:3], v4, off
.LBB63_936:
	s_mov_b32 s53, 0
.LBB63_937:
	s_delay_alu instid0(SALU_CYCLE_1)
	s_and_not1_b32 vcc_lo, exec_lo, s53
	s_cbranch_vccnz .LBB63_945
; %bb.938:
	s_wait_xcnt 0x0
	v_cvt_f32_i32_e32 v1, v4
	v_mov_b32_e32 v6, 0x80
	s_mov_b32 s53, exec_lo
	s_delay_alu instid0(VALU_DEP_2) | instskip(NEXT) | instid1(VALU_DEP_1)
	v_and_b32_e32 v5, 0x7fffffff, v1
	v_cmpx_gt_u32_e32 0x43800000, v5
	s_cbranch_execz .LBB63_944
; %bb.939:
	v_cmp_lt_u32_e32 vcc_lo, 0x3bffffff, v5
	s_mov_b32 s54, 0
                                        ; implicit-def: $vgpr5
	s_and_saveexec_b32 s55, vcc_lo
	s_delay_alu instid0(SALU_CYCLE_1)
	s_xor_b32 s55, exec_lo, s55
	s_cbranch_execz .LBB63_1185
; %bb.940:
	v_bfe_u32 v5, v1, 20, 1
	s_mov_b32 s54, exec_lo
	s_delay_alu instid0(VALU_DEP_1) | instskip(NEXT) | instid1(VALU_DEP_1)
	v_add3_u32 v5, v1, v5, 0x487ffff
	v_lshrrev_b32_e32 v5, 20, v5
	s_and_not1_saveexec_b32 s55, s55
	s_cbranch_execnz .LBB63_1186
.LBB63_941:
	s_or_b32 exec_lo, exec_lo, s55
	v_mov_b32_e32 v6, 0
	s_and_saveexec_b32 s55, s54
.LBB63_942:
	v_lshrrev_b32_e32 v1, 24, v1
	s_delay_alu instid0(VALU_DEP_1)
	v_and_or_b32 v6, 0x80, v1, v5
.LBB63_943:
	s_or_b32 exec_lo, exec_lo, s55
.LBB63_944:
	s_delay_alu instid0(SALU_CYCLE_1)
	s_or_b32 exec_lo, exec_lo, s53
	global_store_b8 v[2:3], v6, off
.LBB63_945:
	s_mov_b32 s53, -1
.LBB63_946:
	s_mov_b32 s54, 0
.LBB63_947:
	s_delay_alu instid0(SALU_CYCLE_1)
	s_and_b32 vcc_lo, exec_lo, s54
	s_cbranch_vccz .LBB63_988
; %bb.948:
	s_cmp_gt_i32 s52, 22
	s_mov_b32 s54, -1
	s_cbranch_scc0 .LBB63_980
; %bb.949:
	s_cmp_lt_i32 s52, 24
	s_mov_b32 s53, -1
	s_cbranch_scc1 .LBB63_969
; %bb.950:
	s_cmp_gt_i32 s52, 24
	s_cbranch_scc0 .LBB63_958
; %bb.951:
	s_wait_xcnt 0x0
	v_cvt_f32_i32_e32 v1, v4
	v_mov_b32_e32 v6, 0x80
	s_mov_b32 s53, exec_lo
	s_delay_alu instid0(VALU_DEP_2) | instskip(NEXT) | instid1(VALU_DEP_1)
	v_and_b32_e32 v5, 0x7fffffff, v1
	v_cmpx_gt_u32_e32 0x47800000, v5
	s_cbranch_execz .LBB63_957
; %bb.952:
	v_cmp_lt_u32_e32 vcc_lo, 0x37ffffff, v5
	s_mov_b32 s54, 0
                                        ; implicit-def: $vgpr5
	s_and_saveexec_b32 s55, vcc_lo
	s_delay_alu instid0(SALU_CYCLE_1)
	s_xor_b32 s55, exec_lo, s55
	s_cbranch_execz .LBB63_1313
; %bb.953:
	v_bfe_u32 v5, v1, 21, 1
	s_mov_b32 s54, exec_lo
	s_delay_alu instid0(VALU_DEP_1) | instskip(NEXT) | instid1(VALU_DEP_1)
	v_add3_u32 v5, v1, v5, 0x88fffff
	v_lshrrev_b32_e32 v5, 21, v5
	s_and_not1_saveexec_b32 s55, s55
	s_cbranch_execnz .LBB63_1314
.LBB63_954:
	s_or_b32 exec_lo, exec_lo, s55
	v_mov_b32_e32 v6, 0
	s_and_saveexec_b32 s55, s54
.LBB63_955:
	v_lshrrev_b32_e32 v1, 24, v1
	s_delay_alu instid0(VALU_DEP_1)
	v_and_or_b32 v6, 0x80, v1, v5
.LBB63_956:
	s_or_b32 exec_lo, exec_lo, s55
.LBB63_957:
	s_delay_alu instid0(SALU_CYCLE_1)
	s_or_b32 exec_lo, exec_lo, s53
	s_mov_b32 s53, 0
	global_store_b8 v[2:3], v6, off
.LBB63_958:
	s_and_b32 vcc_lo, exec_lo, s53
	s_cbranch_vccz .LBB63_968
; %bb.959:
	s_wait_xcnt 0x0
	v_cvt_f32_i32_e32 v1, v4
	s_mov_b32 s53, exec_lo
                                        ; implicit-def: $vgpr5
	s_delay_alu instid0(VALU_DEP_1) | instskip(NEXT) | instid1(VALU_DEP_1)
	v_and_b32_e32 v6, 0x7fffffff, v1
	v_cmpx_gt_u32_e32 0x43f00000, v6
	s_xor_b32 s53, exec_lo, s53
	s_cbranch_execz .LBB63_965
; %bb.960:
	s_mov_b32 s54, exec_lo
                                        ; implicit-def: $vgpr5
	v_cmpx_lt_u32_e32 0x3c7fffff, v6
	s_xor_b32 s54, exec_lo, s54
; %bb.961:
	v_bfe_u32 v5, v1, 20, 1
	s_delay_alu instid0(VALU_DEP_1) | instskip(NEXT) | instid1(VALU_DEP_1)
	v_add3_u32 v5, v1, v5, 0x407ffff
	v_and_b32_e32 v6, 0xff00000, v5
	v_lshrrev_b32_e32 v5, 20, v5
	s_delay_alu instid0(VALU_DEP_2) | instskip(NEXT) | instid1(VALU_DEP_2)
	v_cmp_ne_u32_e32 vcc_lo, 0x7f00000, v6
	v_cndmask_b32_e32 v5, 0x7e, v5, vcc_lo
; %bb.962:
	s_and_not1_saveexec_b32 s54, s54
; %bb.963:
	v_add_f32_e64 v5, 0x46800000, |v1|
; %bb.964:
	s_or_b32 exec_lo, exec_lo, s54
                                        ; implicit-def: $vgpr6
.LBB63_965:
	s_and_not1_saveexec_b32 s53, s53
; %bb.966:
	v_mov_b32_e32 v5, 0x7f
	v_cmp_lt_u32_e32 vcc_lo, 0x7f800000, v6
	s_delay_alu instid0(VALU_DEP_2)
	v_cndmask_b32_e32 v5, 0x7e, v5, vcc_lo
; %bb.967:
	s_or_b32 exec_lo, exec_lo, s53
	v_lshrrev_b32_e32 v1, 24, v1
	s_delay_alu instid0(VALU_DEP_1)
	v_and_or_b32 v1, 0x80, v1, v5
	global_store_b8 v[2:3], v1, off
.LBB63_968:
	s_mov_b32 s53, 0
.LBB63_969:
	s_delay_alu instid0(SALU_CYCLE_1)
	s_and_not1_b32 vcc_lo, exec_lo, s53
	s_cbranch_vccnz .LBB63_979
; %bb.970:
	s_wait_xcnt 0x0
	v_cvt_f32_i32_e32 v1, v4
	s_mov_b32 s53, exec_lo
                                        ; implicit-def: $vgpr5
	s_delay_alu instid0(VALU_DEP_1) | instskip(NEXT) | instid1(VALU_DEP_1)
	v_and_b32_e32 v6, 0x7fffffff, v1
	v_cmpx_gt_u32_e32 0x47800000, v6
	s_xor_b32 s53, exec_lo, s53
	s_cbranch_execz .LBB63_976
; %bb.971:
	s_mov_b32 s54, exec_lo
                                        ; implicit-def: $vgpr5
	v_cmpx_lt_u32_e32 0x387fffff, v6
	s_xor_b32 s54, exec_lo, s54
; %bb.972:
	v_bfe_u32 v5, v1, 21, 1
	s_delay_alu instid0(VALU_DEP_1) | instskip(NEXT) | instid1(VALU_DEP_1)
	v_add3_u32 v5, v1, v5, 0x80fffff
	v_lshrrev_b32_e32 v5, 21, v5
; %bb.973:
	s_and_not1_saveexec_b32 s54, s54
; %bb.974:
	v_add_f32_e64 v5, 0x43000000, |v1|
; %bb.975:
	s_or_b32 exec_lo, exec_lo, s54
                                        ; implicit-def: $vgpr6
.LBB63_976:
	s_and_not1_saveexec_b32 s53, s53
; %bb.977:
	v_mov_b32_e32 v5, 0x7f
	v_cmp_lt_u32_e32 vcc_lo, 0x7f800000, v6
	s_delay_alu instid0(VALU_DEP_2)
	v_cndmask_b32_e32 v5, 0x7c, v5, vcc_lo
; %bb.978:
	s_or_b32 exec_lo, exec_lo, s53
	v_lshrrev_b32_e32 v1, 24, v1
	s_delay_alu instid0(VALU_DEP_1)
	v_and_or_b32 v1, 0x80, v1, v5
	global_store_b8 v[2:3], v1, off
.LBB63_979:
	s_mov_b32 s54, 0
	s_mov_b32 s53, -1
.LBB63_980:
	s_and_not1_b32 vcc_lo, exec_lo, s54
	s_cbranch_vccnz .LBB63_988
; %bb.981:
	s_cmp_gt_i32 s52, 14
	s_mov_b32 s54, -1
	s_cbranch_scc0 .LBB63_985
; %bb.982:
	s_cmp_eq_u32 s52, 15
	s_mov_b32 s0, -1
	s_cbranch_scc0 .LBB63_984
; %bb.983:
	s_wait_xcnt 0x0
	v_cvt_f32_i32_e32 v1, v4
	s_mov_b32 s53, -1
	s_mov_b32 s0, 0
	s_delay_alu instid0(VALU_DEP_1) | instskip(NEXT) | instid1(VALU_DEP_1)
	v_bfe_u32 v5, v1, 16, 1
	v_add3_u32 v1, v1, v5, 0x7fff
	global_store_d16_hi_b16 v[2:3], v1, off
.LBB63_984:
	s_mov_b32 s54, 0
.LBB63_985:
	s_delay_alu instid0(SALU_CYCLE_1)
	s_and_b32 vcc_lo, exec_lo, s54
	s_cbranch_vccz .LBB63_988
; %bb.986:
	s_cmp_eq_u32 s52, 11
	s_mov_b32 s0, -1
	s_cbranch_scc0 .LBB63_988
; %bb.987:
	v_cmp_ne_u32_e32 vcc_lo, 0, v4
	s_mov_b32 s0, 0
	s_mov_b32 s53, -1
	s_wait_xcnt 0x0
	v_cndmask_b32_e64 v1, 0, 1, vcc_lo
	global_store_b8 v[2:3], v1, off
.LBB63_988:
	s_mov_b32 s52, 0
.LBB63_989:
	s_delay_alu instid0(SALU_CYCLE_1)
	s_and_b32 vcc_lo, exec_lo, s52
	s_cbranch_vccz .LBB63_1028
; %bb.990:
	s_and_b32 s37, 0xffff, s37
	s_mov_b32 s52, -1
	s_cmp_lt_i32 s37, 5
	s_cbranch_scc1 .LBB63_1011
; %bb.991:
	s_cmp_lt_i32 s37, 8
	s_cbranch_scc1 .LBB63_1001
; %bb.992:
	;; [unrolled: 3-line block ×3, first 2 shown]
	s_cmp_gt_i32 s37, 9
	s_cbranch_scc0 .LBB63_995
; %bb.994:
	s_wait_xcnt 0x0
	v_cvt_f64_i32_e32 v[6:7], v4
	v_mov_b32_e32 v8, 0
	s_mov_b32 s52, 0
	s_delay_alu instid0(VALU_DEP_1)
	v_mov_b32_e32 v9, v8
	global_store_b128 v[2:3], v[6:9], off
.LBB63_995:
	s_and_not1_b32 vcc_lo, exec_lo, s52
	s_cbranch_vccnz .LBB63_997
; %bb.996:
	s_wait_xcnt 0x0
	v_cvt_f32_i32_e32 v6, v4
	v_mov_b32_e32 v7, 0
	global_store_b64 v[2:3], v[6:7], off
.LBB63_997:
	s_mov_b32 s52, 0
.LBB63_998:
	s_delay_alu instid0(SALU_CYCLE_1)
	s_and_not1_b32 vcc_lo, exec_lo, s52
	s_cbranch_vccnz .LBB63_1000
; %bb.999:
	s_wait_xcnt 0x0
	v_cvt_f32_i32_e32 v1, v4
	s_delay_alu instid0(VALU_DEP_1) | instskip(NEXT) | instid1(VALU_DEP_1)
	v_cvt_f16_f32_e32 v1, v1
	v_and_b32_e32 v1, 0xffff, v1
	global_store_b32 v[2:3], v1, off
.LBB63_1000:
	s_mov_b32 s52, 0
.LBB63_1001:
	s_delay_alu instid0(SALU_CYCLE_1)
	s_and_not1_b32 vcc_lo, exec_lo, s52
	s_cbranch_vccnz .LBB63_1010
; %bb.1002:
	s_cmp_lt_i32 s37, 6
	s_mov_b32 s52, -1
	s_cbranch_scc1 .LBB63_1008
; %bb.1003:
	s_cmp_gt_i32 s37, 6
	s_cbranch_scc0 .LBB63_1005
; %bb.1004:
	s_wait_xcnt 0x0
	v_cvt_f64_i32_e32 v[6:7], v4
	s_mov_b32 s52, 0
	global_store_b64 v[2:3], v[6:7], off
.LBB63_1005:
	s_and_not1_b32 vcc_lo, exec_lo, s52
	s_cbranch_vccnz .LBB63_1007
; %bb.1006:
	s_wait_xcnt 0x0
	v_cvt_f32_i32_e32 v1, v4
	global_store_b32 v[2:3], v1, off
.LBB63_1007:
	s_mov_b32 s52, 0
.LBB63_1008:
	s_delay_alu instid0(SALU_CYCLE_1)
	s_and_not1_b32 vcc_lo, exec_lo, s52
	s_cbranch_vccnz .LBB63_1010
; %bb.1009:
	s_wait_xcnt 0x0
	v_cvt_f32_i32_e32 v1, v4
	s_delay_alu instid0(VALU_DEP_1)
	v_cvt_f16_f32_e32 v1, v1
	global_store_b16 v[2:3], v1, off
.LBB63_1010:
	s_mov_b32 s52, 0
.LBB63_1011:
	s_delay_alu instid0(SALU_CYCLE_1)
	s_and_not1_b32 vcc_lo, exec_lo, s52
	s_cbranch_vccnz .LBB63_1027
; %bb.1012:
	s_cmp_lt_i32 s37, 2
	s_mov_b32 s52, -1
	s_cbranch_scc1 .LBB63_1022
; %bb.1013:
	s_cmp_lt_i32 s37, 3
	s_cbranch_scc1 .LBB63_1019
; %bb.1014:
	s_cmp_gt_i32 s37, 3
	s_cbranch_scc0 .LBB63_1016
; %bb.1015:
	s_wait_xcnt 0x0
	v_ashrrev_i32_e32 v5, 31, v4
	s_mov_b32 s52, 0
	global_store_b64 v[2:3], v[4:5], off
.LBB63_1016:
	s_and_not1_b32 vcc_lo, exec_lo, s52
	s_cbranch_vccnz .LBB63_1018
; %bb.1017:
	global_store_b32 v[2:3], v4, off
.LBB63_1018:
	s_mov_b32 s52, 0
.LBB63_1019:
	s_delay_alu instid0(SALU_CYCLE_1)
	s_and_not1_b32 vcc_lo, exec_lo, s52
	s_cbranch_vccnz .LBB63_1021
; %bb.1020:
	global_store_b16 v[2:3], v4, off
.LBB63_1021:
	s_mov_b32 s52, 0
.LBB63_1022:
	s_delay_alu instid0(SALU_CYCLE_1)
	s_and_not1_b32 vcc_lo, exec_lo, s52
	s_cbranch_vccnz .LBB63_1027
; %bb.1023:
	s_cmp_gt_i32 s37, 0
	s_mov_b32 s37, -1
	s_cbranch_scc0 .LBB63_1025
; %bb.1024:
	s_mov_b32 s37, 0
	global_store_b8 v[2:3], v4, off
.LBB63_1025:
	s_and_not1_b32 vcc_lo, exec_lo, s37
	s_cbranch_vccnz .LBB63_1027
; %bb.1026:
	global_store_b8 v[2:3], v4, off
.LBB63_1027:
	s_mov_b32 s53, -1
.LBB63_1028:
	s_delay_alu instid0(SALU_CYCLE_1)
	s_and_not1_b32 vcc_lo, exec_lo, s53
	s_cbranch_vccnz .LBB63_1030
; %bb.1029:
	v_add_nc_u32_e32 v0, 0x80, v0
	s_mov_b32 s37, -1
	s_branch .LBB63_1032
.LBB63_1030:
	s_mov_b32 s37, 0
.LBB63_1031:
                                        ; implicit-def: $vgpr0
.LBB63_1032:
	s_and_not1_b32 s52, s44, exec_lo
	s_and_b32 s0, s0, exec_lo
	s_and_not1_b32 s54, s48, exec_lo
	s_and_b32 s36, s36, exec_lo
	s_or_b32 s53, s52, s0
	s_or_b32 s54, s54, s36
	s_and_not1_b32 s0, s49, exec_lo
	s_and_b32 s35, s35, exec_lo
	s_and_not1_b32 s36, s50, exec_lo
	s_and_b32 s34, s34, exec_lo
	s_or_b32 s55, s0, s35
	s_or_b32 s52, s36, s34
	s_or_not1_b32 s37, s37, exec_lo
.LBB63_1033:
	s_wait_xcnt 0x0
	s_or_b32 exec_lo, exec_lo, s56
	s_mov_b32 s35, 0
	s_mov_b32 s36, 0
	;; [unrolled: 1-line block ×3, first 2 shown]
                                        ; implicit-def: $sgpr0
                                        ; implicit-def: $vgpr8_vgpr9
                                        ; implicit-def: $vgpr2
                                        ; implicit-def: $vgpr4
                                        ; implicit-def: $vgpr6
                                        ; implicit-def: $vgpr3
	s_and_saveexec_b32 s56, s37
	s_cbranch_execz .LBB63_1644
; %bb.1034:
	s_mov_b32 s37, -1
	s_mov_b32 s58, s52
	s_mov_b32 s60, s55
	;; [unrolled: 1-line block ×4, first 2 shown]
	s_mov_b32 s57, exec_lo
	v_cmpx_gt_i32_e64 s46, v0
	s_cbranch_execz .LBB63_1554
; %bb.1035:
	s_and_not1_b32 vcc_lo, exec_lo, s39
	s_cbranch_vccnz .LBB63_1041
; %bb.1036:
	s_and_not1_b32 vcc_lo, exec_lo, s47
	s_cbranch_vccnz .LBB63_1042
; %bb.1037:
	s_wait_loadcnt 0x0
	v_dual_mov_b32 v6, 0 :: v_dual_mov_b32 v1, v0
	v_dual_mov_b32 v4, 0 :: v_dual_mov_b32 v2, 0
	v_mov_b32_e32 v8, 0
	s_add_co_i32 s0, s45, 1
	s_mov_b64 s[34:35], 0xffffffffffffffe0
	s_and_b32 s0, s0, 30
	s_add_nc_u64 s[34:35], s[2:3], s[34:35]
	s_mov_b64 s[36:37], s[2:3]
.LBB63_1038:                            ; =>This Inner Loop Header: Depth=1
	s_clause 0x1
	s_load_b128 s[68:71], s[36:37], 0x4
	s_load_b64 s[58:59], s[36:37], 0x14
	s_load_b256 s[60:67], s[34:35], 0xe4
	s_add_co_i32 s0, s0, -2
	s_wait_xcnt 0x0
	s_add_nc_u64 s[36:37], s[36:37], 24
	s_cmp_eq_u32 s0, 0
	s_add_nc_u64 s[34:35], s[34:35], 32
	s_wait_kmcnt 0x0
	v_mul_hi_u32 v3, s69, v1
	s_delay_alu instid0(VALU_DEP_1) | instskip(NEXT) | instid1(VALU_DEP_1)
	v_add_nc_u32_e32 v3, v1, v3
	v_lshrrev_b32_e32 v3, s70, v3
	s_delay_alu instid0(VALU_DEP_1) | instskip(SKIP_1) | instid1(VALU_DEP_1)
	v_mul_hi_u32 v5, s58, v3
	v_mul_lo_u32 v7, v3, s68
	v_dual_add_nc_u32 v5, v3, v5 :: v_dual_sub_nc_u32 v7, v1, v7
	s_delay_alu instid0(VALU_DEP_1) | instskip(NEXT) | instid1(VALU_DEP_2)
	v_lshrrev_b32_e32 v1, s59, v5
	v_mad_u32 v8, v7, s61, v8
	v_mad_u32 v2, v7, s60, v2
	;; [unrolled: 1-line block ×4, first 2 shown]
	v_mul_lo_u32 v5, v1, s71
	s_delay_alu instid0(VALU_DEP_1) | instskip(NEXT) | instid1(VALU_DEP_1)
	v_sub_nc_u32_e32 v3, v3, v5
	v_mad_u32 v8, v3, s65, v8
	v_mad_u32 v2, v3, s64, v2
	;; [unrolled: 1-line block ×4, first 2 shown]
	s_cbranch_scc0 .LBB63_1038
; %bb.1039:
	s_bitcmp1_b32 s45, 0
	s_cselect_b32 s0, -1, 0
	s_delay_alu instid0(SALU_CYCLE_1)
	s_and_b32 vcc_lo, exec_lo, s0
	s_cbranch_vccnz .LBB63_1043
; %bb.1040:
	s_load_b96 s[64:66], s[36:37], 0x4
	s_load_b128 s[60:63], s[34:35], 0xe4
	s_wait_kmcnt 0x0
	v_mul_hi_u32 v3, s65, v1
	s_delay_alu instid0(VALU_DEP_1) | instskip(NEXT) | instid1(VALU_DEP_1)
	v_add_nc_u32_e32 v3, v1, v3
	v_lshrrev_b32_e32 v3, s66, v3
	s_delay_alu instid0(VALU_DEP_1) | instskip(NEXT) | instid1(VALU_DEP_1)
	v_mul_lo_u32 v3, v3, s64
	v_sub_nc_u32_e32 v1, v1, v3
	s_delay_alu instid0(VALU_DEP_1)
	v_mad_u32 v2, v1, s60, v2
	v_mad_u32 v8, v1, s61, v8
	;; [unrolled: 1-line block ×4, first 2 shown]
	s_branch .LBB63_1043
.LBB63_1041:
	s_mov_b32 s0, -1
                                        ; implicit-def: $vgpr8
                                        ; implicit-def: $vgpr2
                                        ; implicit-def: $vgpr4
                                        ; implicit-def: $vgpr6
	s_branch .LBB63_1044
.LBB63_1042:
	v_dual_mov_b32 v8, 0 :: v_dual_mov_b32 v2, 0
	s_wait_loadcnt 0x0
	v_dual_mov_b32 v4, 0 :: v_dual_mov_b32 v6, 0
.LBB63_1043:
	s_mov_b32 s0, 0
.LBB63_1044:
	s_delay_alu instid0(SALU_CYCLE_1)
	s_and_not1_b32 vcc_lo, exec_lo, s0
	s_cbranch_vccnz .LBB63_1047
; %bb.1045:
	s_wait_loadcnt 0x0
	v_mov_b32_e32 v1, 0
	s_and_not1_b32 vcc_lo, exec_lo, s43
	s_delay_alu instid0(VALU_DEP_1) | instskip(NEXT) | instid1(VALU_DEP_1)
	v_mul_u64_e32 v[2:3], s[28:29], v[0:1]
	v_add_nc_u32_e32 v2, v0, v3
	s_delay_alu instid0(VALU_DEP_1) | instskip(NEXT) | instid1(VALU_DEP_1)
	v_lshrrev_b32_e32 v10, s22, v2
	v_mul_lo_u32 v2, v10, s20
	s_delay_alu instid0(VALU_DEP_1) | instskip(NEXT) | instid1(VALU_DEP_1)
	v_sub_nc_u32_e32 v3, v0, v2
	v_mul_lo_u32 v8, v3, s13
	v_mul_lo_u32 v2, v3, s12
	;; [unrolled: 1-line block ×4, first 2 shown]
	s_cbranch_vccnz .LBB63_1047
; %bb.1046:
	v_mov_b32_e32 v11, v1
	s_delay_alu instid0(VALU_DEP_1) | instskip(NEXT) | instid1(VALU_DEP_1)
	v_mul_u64_e32 v[12:13], s[30:31], v[10:11]
	v_add_nc_u32_e32 v1, v10, v13
	s_delay_alu instid0(VALU_DEP_1) | instskip(NEXT) | instid1(VALU_DEP_1)
	v_lshrrev_b32_e32 v1, s1, v1
	v_mul_lo_u32 v1, v1, s23
	s_delay_alu instid0(VALU_DEP_1) | instskip(NEXT) | instid1(VALU_DEP_1)
	v_sub_nc_u32_e32 v1, v10, v1
	v_mad_u32 v2, v1, s16, v2
	v_mad_u32 v8, v1, s17, v8
	;; [unrolled: 1-line block ×4, first 2 shown]
.LBB63_1047:
	v_mov_b32_e32 v9, 0
	s_and_b32 s0, s42, 0xff
	s_delay_alu instid0(SALU_CYCLE_1) | instskip(NEXT) | instid1(VALU_DEP_1)
	s_cmp_lt_i32 s0, 11
	v_add_nc_u64_e32 v[8:9], s[6:7], v[8:9]
	s_cbranch_scc1 .LBB63_1054
; %bb.1048:
	s_and_b32 s35, 0xffff, s0
	s_delay_alu instid0(SALU_CYCLE_1)
	s_cmp_gt_i32 s35, 25
	s_cbranch_scc0 .LBB63_1055
; %bb.1049:
	s_cmp_gt_i32 s35, 28
	s_cbranch_scc0 .LBB63_1056
; %bb.1050:
	;; [unrolled: 3-line block ×4, first 2 shown]
	s_cmp_eq_u32 s35, 46
	s_mov_b32 s37, 0
	s_cbranch_scc0 .LBB63_1059
; %bb.1053:
	s_wait_loadcnt 0x0
	global_load_b32 v1, v[8:9], off
	s_mov_b32 s36, -1
	s_mov_b32 s34, 0
	s_wait_loadcnt 0x0
	v_lshlrev_b32_e32 v1, 16, v1
	s_delay_alu instid0(VALU_DEP_1)
	v_cvt_i32_f32_e32 v1, v1
	s_branch .LBB63_1061
.LBB63_1054:
	s_mov_b32 s35, -1
	s_mov_b32 s36, 0
	s_mov_b32 s34, s52
                                        ; implicit-def: $vgpr1
	s_branch .LBB63_1122
.LBB63_1055:
	s_mov_b32 s37, -1
	s_mov_b32 s36, 0
	s_mov_b32 s34, s52
                                        ; implicit-def: $vgpr1
	s_branch .LBB63_1088
.LBB63_1056:
	s_mov_b32 s37, -1
	s_mov_b32 s36, 0
	s_mov_b32 s34, s52
                                        ; implicit-def: $vgpr1
	s_branch .LBB63_1071
.LBB63_1057:
	s_mov_b32 s37, -1
	s_mov_b32 s36, 0
	s_mov_b32 s34, s52
                                        ; implicit-def: $vgpr1
	s_branch .LBB63_1066
.LBB63_1058:
	s_mov_b32 s37, -1
	s_mov_b32 s36, 0
	s_mov_b32 s34, s52
	s_branch .LBB63_1060
.LBB63_1059:
	s_mov_b32 s34, -1
	s_mov_b32 s36, 0
.LBB63_1060:
                                        ; implicit-def: $vgpr1
.LBB63_1061:
	s_and_b32 vcc_lo, exec_lo, s37
	s_cbranch_vccz .LBB63_1065
; %bb.1062:
	s_cmp_eq_u32 s35, 44
	s_cbranch_scc0 .LBB63_1064
; %bb.1063:
	s_wait_loadcnt 0x0
	global_load_u8 v1, v[8:9], off
	s_mov_b32 s34, 0
	s_mov_b32 s36, -1
	s_wait_loadcnt 0x0
	v_lshlrev_b32_e32 v3, 23, v1
	v_cmp_ne_u32_e32 vcc_lo, 0, v1
	s_delay_alu instid0(VALU_DEP_2) | instskip(NEXT) | instid1(VALU_DEP_1)
	v_cvt_i32_f32_e32 v3, v3
	v_cndmask_b32_e32 v1, 0, v3, vcc_lo
	s_branch .LBB63_1065
.LBB63_1064:
	s_mov_b32 s34, -1
                                        ; implicit-def: $vgpr1
.LBB63_1065:
	s_mov_b32 s37, 0
.LBB63_1066:
	s_delay_alu instid0(SALU_CYCLE_1)
	s_and_b32 vcc_lo, exec_lo, s37
	s_cbranch_vccz .LBB63_1070
; %bb.1067:
	s_cmp_eq_u32 s35, 29
	s_cbranch_scc0 .LBB63_1069
; %bb.1068:
	s_wait_loadcnt 0x0
	global_load_b32 v1, v[8:9], off
	s_mov_b32 s36, -1
	s_mov_b32 s34, 0
	s_branch .LBB63_1070
.LBB63_1069:
	s_mov_b32 s34, -1
                                        ; implicit-def: $vgpr1
.LBB63_1070:
	s_mov_b32 s37, 0
.LBB63_1071:
	s_delay_alu instid0(SALU_CYCLE_1)
	s_and_b32 vcc_lo, exec_lo, s37
	s_cbranch_vccz .LBB63_1087
; %bb.1072:
	s_cmp_lt_i32 s35, 27
	s_cbranch_scc1 .LBB63_1075
; %bb.1073:
	s_cmp_gt_i32 s35, 27
	s_cbranch_scc0 .LBB63_1076
; %bb.1074:
	s_wait_loadcnt 0x0
	global_load_b32 v1, v[8:9], off
	s_mov_b32 s36, 0
	s_branch .LBB63_1077
.LBB63_1075:
	s_mov_b32 s36, -1
                                        ; implicit-def: $vgpr1
	s_branch .LBB63_1080
.LBB63_1076:
	s_mov_b32 s36, -1
                                        ; implicit-def: $vgpr1
.LBB63_1077:
	s_delay_alu instid0(SALU_CYCLE_1)
	s_and_not1_b32 vcc_lo, exec_lo, s36
	s_cbranch_vccnz .LBB63_1079
; %bb.1078:
	s_wait_loadcnt 0x0
	global_load_u16 v1, v[8:9], off
.LBB63_1079:
	s_mov_b32 s36, 0
.LBB63_1080:
	s_delay_alu instid0(SALU_CYCLE_1)
	s_and_not1_b32 vcc_lo, exec_lo, s36
	s_cbranch_vccnz .LBB63_1086
; %bb.1081:
	s_wait_loadcnt 0x0
	global_load_u8 v3, v[8:9], off
	s_mov_b32 s37, 0
	s_mov_b32 s36, exec_lo
	s_wait_loadcnt 0x0
	v_cmpx_lt_i16_e32 0x7f, v3
	s_xor_b32 s36, exec_lo, s36
	s_cbranch_execz .LBB63_1098
; %bb.1082:
	v_cmp_ne_u16_e32 vcc_lo, 0x80, v3
	s_and_b32 s37, vcc_lo, exec_lo
	s_and_not1_saveexec_b32 s36, s36
	s_cbranch_execnz .LBB63_1099
.LBB63_1083:
	s_or_b32 exec_lo, exec_lo, s36
	v_mov_b32_e32 v1, 0
	s_and_saveexec_b32 s36, s37
	s_cbranch_execz .LBB63_1085
.LBB63_1084:
	v_and_b32_e32 v1, 0xffff, v3
	s_delay_alu instid0(VALU_DEP_1) | instskip(SKIP_1) | instid1(VALU_DEP_2)
	v_and_b32_e32 v5, 7, v1
	v_bfe_u32 v11, v1, 3, 4
	v_clz_i32_u32_e32 v7, v5
	s_delay_alu instid0(VALU_DEP_2) | instskip(NEXT) | instid1(VALU_DEP_2)
	v_cmp_eq_u32_e32 vcc_lo, 0, v11
	v_min_u32_e32 v7, 32, v7
	s_delay_alu instid0(VALU_DEP_1) | instskip(NEXT) | instid1(VALU_DEP_1)
	v_subrev_nc_u32_e32 v10, 28, v7
	v_dual_lshlrev_b32 v1, v10, v1 :: v_dual_sub_nc_u32 v7, 29, v7
	s_delay_alu instid0(VALU_DEP_1) | instskip(NEXT) | instid1(VALU_DEP_1)
	v_dual_lshlrev_b32 v3, 24, v3 :: v_dual_bitop2_b32 v1, 7, v1 bitop3:0x40
	v_dual_cndmask_b32 v1, v5, v1, vcc_lo :: v_dual_cndmask_b32 v7, v11, v7, vcc_lo
	s_delay_alu instid0(VALU_DEP_2) | instskip(NEXT) | instid1(VALU_DEP_2)
	v_and_b32_e32 v3, 0x80000000, v3
	v_lshlrev_b32_e32 v1, 20, v1
	s_delay_alu instid0(VALU_DEP_3) | instskip(NEXT) | instid1(VALU_DEP_1)
	v_lshl_add_u32 v5, v7, 23, 0x3b800000
	v_or3_b32 v1, v3, v5, v1
	s_delay_alu instid0(VALU_DEP_1)
	v_cvt_i32_f32_e32 v1, v1
.LBB63_1085:
	s_or_b32 exec_lo, exec_lo, s36
.LBB63_1086:
	s_mov_b32 s36, -1
.LBB63_1087:
	s_mov_b32 s37, 0
.LBB63_1088:
	s_delay_alu instid0(SALU_CYCLE_1)
	s_and_b32 vcc_lo, exec_lo, s37
	s_cbranch_vccz .LBB63_1121
; %bb.1089:
	s_cmp_gt_i32 s35, 22
	s_cbranch_scc0 .LBB63_1097
; %bb.1090:
	s_cmp_lt_i32 s35, 24
	s_cbranch_scc1 .LBB63_1100
; %bb.1091:
	s_cmp_gt_i32 s35, 24
	s_cbranch_scc0 .LBB63_1101
; %bb.1092:
	s_wait_loadcnt 0x0
	global_load_u8 v3, v[8:9], off
	s_mov_b32 s37, 0
	s_mov_b32 s36, exec_lo
	s_wait_loadcnt 0x0
	v_cmpx_lt_i16_e32 0x7f, v3
	s_xor_b32 s36, exec_lo, s36
	s_cbranch_execz .LBB63_1113
; %bb.1093:
	v_cmp_ne_u16_e32 vcc_lo, 0x80, v3
	s_and_b32 s37, vcc_lo, exec_lo
	s_and_not1_saveexec_b32 s36, s36
	s_cbranch_execnz .LBB63_1114
.LBB63_1094:
	s_or_b32 exec_lo, exec_lo, s36
	v_mov_b32_e32 v1, 0
	s_and_saveexec_b32 s36, s37
	s_cbranch_execz .LBB63_1096
.LBB63_1095:
	v_and_b32_e32 v1, 0xffff, v3
	s_delay_alu instid0(VALU_DEP_1) | instskip(SKIP_1) | instid1(VALU_DEP_2)
	v_and_b32_e32 v5, 3, v1
	v_bfe_u32 v11, v1, 2, 5
	v_clz_i32_u32_e32 v7, v5
	s_delay_alu instid0(VALU_DEP_2) | instskip(NEXT) | instid1(VALU_DEP_2)
	v_cmp_eq_u32_e32 vcc_lo, 0, v11
	v_min_u32_e32 v7, 32, v7
	s_delay_alu instid0(VALU_DEP_1) | instskip(NEXT) | instid1(VALU_DEP_1)
	v_subrev_nc_u32_e32 v10, 29, v7
	v_dual_lshlrev_b32 v1, v10, v1 :: v_dual_sub_nc_u32 v7, 30, v7
	s_delay_alu instid0(VALU_DEP_1) | instskip(NEXT) | instid1(VALU_DEP_1)
	v_dual_lshlrev_b32 v3, 24, v3 :: v_dual_bitop2_b32 v1, 3, v1 bitop3:0x40
	v_dual_cndmask_b32 v1, v5, v1, vcc_lo :: v_dual_cndmask_b32 v7, v11, v7, vcc_lo
	s_delay_alu instid0(VALU_DEP_2) | instskip(NEXT) | instid1(VALU_DEP_2)
	v_and_b32_e32 v3, 0x80000000, v3
	v_lshlrev_b32_e32 v1, 21, v1
	s_delay_alu instid0(VALU_DEP_3) | instskip(NEXT) | instid1(VALU_DEP_1)
	v_lshl_add_u32 v5, v7, 23, 0x37800000
	v_or3_b32 v1, v3, v5, v1
	s_delay_alu instid0(VALU_DEP_1)
	v_cvt_i32_f32_e32 v1, v1
.LBB63_1096:
	s_or_b32 exec_lo, exec_lo, s36
	s_mov_b32 s36, 0
	s_branch .LBB63_1102
.LBB63_1097:
	s_mov_b32 s37, -1
                                        ; implicit-def: $vgpr1
	s_branch .LBB63_1108
.LBB63_1098:
	s_and_not1_saveexec_b32 s36, s36
	s_cbranch_execz .LBB63_1083
.LBB63_1099:
	v_cmp_ne_u16_e32 vcc_lo, 0, v3
	s_and_not1_b32 s37, s37, exec_lo
	s_and_b32 s58, vcc_lo, exec_lo
	s_delay_alu instid0(SALU_CYCLE_1)
	s_or_b32 s37, s37, s58
	s_or_b32 exec_lo, exec_lo, s36
	v_mov_b32_e32 v1, 0
	s_and_saveexec_b32 s36, s37
	s_cbranch_execnz .LBB63_1084
	s_branch .LBB63_1085
.LBB63_1100:
	s_mov_b32 s36, -1
                                        ; implicit-def: $vgpr1
	s_branch .LBB63_1105
.LBB63_1101:
	s_mov_b32 s36, -1
                                        ; implicit-def: $vgpr1
.LBB63_1102:
	s_delay_alu instid0(SALU_CYCLE_1)
	s_and_b32 vcc_lo, exec_lo, s36
	s_cbranch_vccz .LBB63_1104
; %bb.1103:
	s_wait_loadcnt 0x0
	global_load_u8 v1, v[8:9], off
	s_wait_loadcnt 0x0
	v_lshlrev_b32_e32 v1, 24, v1
	s_delay_alu instid0(VALU_DEP_1) | instskip(NEXT) | instid1(VALU_DEP_1)
	v_and_b32_e32 v3, 0x7f000000, v1
	v_clz_i32_u32_e32 v5, v3
	v_cmp_ne_u32_e32 vcc_lo, 0, v3
	v_add_nc_u32_e32 v10, 0x1000000, v3
	s_delay_alu instid0(VALU_DEP_3) | instskip(NEXT) | instid1(VALU_DEP_1)
	v_min_u32_e32 v5, 32, v5
	v_sub_nc_u32_e64 v5, v5, 4 clamp
	s_delay_alu instid0(VALU_DEP_1) | instskip(NEXT) | instid1(VALU_DEP_1)
	v_dual_lshlrev_b32 v7, v5, v3 :: v_dual_lshlrev_b32 v5, 23, v5
	v_lshrrev_b32_e32 v7, 4, v7
	s_delay_alu instid0(VALU_DEP_1) | instskip(NEXT) | instid1(VALU_DEP_1)
	v_dual_sub_nc_u32 v5, v7, v5 :: v_dual_ashrrev_i32 v7, 8, v10
	v_add_nc_u32_e32 v5, 0x3c000000, v5
	s_delay_alu instid0(VALU_DEP_1) | instskip(NEXT) | instid1(VALU_DEP_1)
	v_and_or_b32 v5, 0x7f800000, v7, v5
	v_cndmask_b32_e32 v3, 0, v5, vcc_lo
	s_delay_alu instid0(VALU_DEP_1) | instskip(NEXT) | instid1(VALU_DEP_1)
	v_and_or_b32 v1, 0x80000000, v1, v3
	v_cvt_i32_f32_e32 v1, v1
.LBB63_1104:
	s_mov_b32 s36, 0
.LBB63_1105:
	s_delay_alu instid0(SALU_CYCLE_1)
	s_and_not1_b32 vcc_lo, exec_lo, s36
	s_cbranch_vccnz .LBB63_1107
; %bb.1106:
	s_wait_loadcnt 0x0
	global_load_u8 v1, v[8:9], off
	s_wait_loadcnt 0x0
	v_lshlrev_b32_e32 v3, 25, v1
	v_lshlrev_b16 v1, 8, v1
	s_delay_alu instid0(VALU_DEP_1) | instskip(SKIP_1) | instid1(VALU_DEP_2)
	v_and_or_b32 v7, 0x7f00, v1, 0.5
	v_bfe_i32 v1, v1, 0, 16
	v_add_f32_e32 v7, -0.5, v7
	v_lshrrev_b32_e32 v5, 4, v3
	v_cmp_gt_u32_e32 vcc_lo, 0x8000000, v3
	s_delay_alu instid0(VALU_DEP_2) | instskip(NEXT) | instid1(VALU_DEP_1)
	v_or_b32_e32 v5, 0x70000000, v5
	v_mul_f32_e32 v5, 0x7800000, v5
	s_delay_alu instid0(VALU_DEP_1) | instskip(NEXT) | instid1(VALU_DEP_1)
	v_cndmask_b32_e32 v3, v5, v7, vcc_lo
	v_and_or_b32 v1, 0x80000000, v1, v3
	s_delay_alu instid0(VALU_DEP_1)
	v_cvt_i32_f32_e32 v1, v1
.LBB63_1107:
	s_mov_b32 s37, 0
	s_mov_b32 s36, -1
.LBB63_1108:
	s_and_not1_b32 vcc_lo, exec_lo, s37
	s_cbranch_vccnz .LBB63_1121
; %bb.1109:
	s_cmp_gt_i32 s35, 14
	s_cbranch_scc0 .LBB63_1112
; %bb.1110:
	s_cmp_eq_u32 s35, 15
	s_cbranch_scc0 .LBB63_1115
; %bb.1111:
	s_wait_loadcnt 0x0
	global_load_u16 v1, v[8:9], off
	s_mov_b32 s36, -1
	s_mov_b32 s34, 0
	s_wait_loadcnt 0x0
	v_lshlrev_b32_e32 v1, 16, v1
	s_delay_alu instid0(VALU_DEP_1)
	v_cvt_i32_f32_e32 v1, v1
	s_branch .LBB63_1116
.LBB63_1112:
	s_mov_b32 s37, -1
                                        ; implicit-def: $vgpr1
	s_branch .LBB63_1117
.LBB63_1113:
	s_and_not1_saveexec_b32 s36, s36
	s_cbranch_execz .LBB63_1094
.LBB63_1114:
	v_cmp_ne_u16_e32 vcc_lo, 0, v3
	s_and_not1_b32 s37, s37, exec_lo
	s_and_b32 s58, vcc_lo, exec_lo
	s_delay_alu instid0(SALU_CYCLE_1)
	s_or_b32 s37, s37, s58
	s_or_b32 exec_lo, exec_lo, s36
	v_mov_b32_e32 v1, 0
	s_and_saveexec_b32 s36, s37
	s_cbranch_execnz .LBB63_1095
	s_branch .LBB63_1096
.LBB63_1115:
	s_mov_b32 s34, -1
                                        ; implicit-def: $vgpr1
.LBB63_1116:
	s_mov_b32 s37, 0
.LBB63_1117:
	s_delay_alu instid0(SALU_CYCLE_1)
	s_and_b32 vcc_lo, exec_lo, s37
	s_cbranch_vccz .LBB63_1121
; %bb.1118:
	s_cmp_eq_u32 s35, 11
	s_cbranch_scc0 .LBB63_1120
; %bb.1119:
	s_wait_loadcnt 0x0
	global_load_u8 v1, v[8:9], off
	s_mov_b32 s34, 0
	s_mov_b32 s36, -1
	s_wait_loadcnt 0x0
	v_cmp_ne_u16_e32 vcc_lo, 0, v1
	v_cndmask_b32_e64 v1, 0, 1, vcc_lo
	s_branch .LBB63_1121
.LBB63_1120:
	s_mov_b32 s34, -1
                                        ; implicit-def: $vgpr1
.LBB63_1121:
	s_mov_b32 s35, 0
.LBB63_1122:
	s_delay_alu instid0(SALU_CYCLE_1)
	s_and_b32 vcc_lo, exec_lo, s35
	s_cbranch_vccz .LBB63_1171
; %bb.1123:
	s_and_b32 s0, 0xffff, s0
	s_delay_alu instid0(SALU_CYCLE_1)
	s_cmp_lt_i32 s0, 5
	s_cbranch_scc1 .LBB63_1128
; %bb.1124:
	s_cmp_lt_i32 s0, 8
	s_cbranch_scc1 .LBB63_1129
; %bb.1125:
	;; [unrolled: 3-line block ×3, first 2 shown]
	s_cmp_gt_i32 s0, 9
	s_cbranch_scc0 .LBB63_1131
; %bb.1127:
	global_load_b64 v[10:11], v[8:9], off
	s_mov_b32 s35, 0
	s_wait_loadcnt 0x0
	v_cvt_i32_f64_e32 v1, v[10:11]
	s_branch .LBB63_1132
.LBB63_1128:
	s_mov_b32 s35, -1
                                        ; implicit-def: $vgpr1
	s_branch .LBB63_1150
.LBB63_1129:
	s_mov_b32 s35, -1
                                        ; implicit-def: $vgpr1
	s_branch .LBB63_1138
.LBB63_1130:
	s_mov_b32 s35, -1
                                        ; implicit-def: $vgpr1
	s_branch .LBB63_1135
.LBB63_1131:
	s_mov_b32 s35, -1
                                        ; implicit-def: $vgpr1
.LBB63_1132:
	s_delay_alu instid0(SALU_CYCLE_1)
	s_and_not1_b32 vcc_lo, exec_lo, s35
	s_cbranch_vccnz .LBB63_1134
; %bb.1133:
	s_wait_loadcnt 0x0
	global_load_b32 v1, v[8:9], off
	s_wait_loadcnt 0x0
	v_cvt_i32_f32_e32 v1, v1
.LBB63_1134:
	s_mov_b32 s35, 0
.LBB63_1135:
	s_delay_alu instid0(SALU_CYCLE_1)
	s_and_not1_b32 vcc_lo, exec_lo, s35
	s_cbranch_vccnz .LBB63_1137
; %bb.1136:
	s_wait_loadcnt 0x0
	global_load_b32 v1, v[8:9], off
	s_wait_loadcnt 0x0
	v_cvt_f32_f16_e32 v1, v1
	s_delay_alu instid0(VALU_DEP_1)
	v_cvt_i32_f32_e32 v1, v1
.LBB63_1137:
	s_mov_b32 s35, 0
.LBB63_1138:
	s_delay_alu instid0(SALU_CYCLE_1)
	s_and_not1_b32 vcc_lo, exec_lo, s35
	s_cbranch_vccnz .LBB63_1149
; %bb.1139:
	s_cmp_lt_i32 s0, 6
	s_cbranch_scc1 .LBB63_1142
; %bb.1140:
	s_cmp_gt_i32 s0, 6
	s_cbranch_scc0 .LBB63_1143
; %bb.1141:
	global_load_b64 v[10:11], v[8:9], off
	s_mov_b32 s35, 0
	s_wait_loadcnt 0x0
	v_cvt_i32_f64_e32 v1, v[10:11]
	s_branch .LBB63_1144
.LBB63_1142:
	s_mov_b32 s35, -1
                                        ; implicit-def: $vgpr1
	s_branch .LBB63_1147
.LBB63_1143:
	s_mov_b32 s35, -1
                                        ; implicit-def: $vgpr1
.LBB63_1144:
	s_delay_alu instid0(SALU_CYCLE_1)
	s_and_not1_b32 vcc_lo, exec_lo, s35
	s_cbranch_vccnz .LBB63_1146
; %bb.1145:
	s_wait_loadcnt 0x0
	global_load_b32 v1, v[8:9], off
	s_wait_loadcnt 0x0
	v_cvt_i32_f32_e32 v1, v1
.LBB63_1146:
	s_mov_b32 s35, 0
.LBB63_1147:
	s_delay_alu instid0(SALU_CYCLE_1)
	s_and_not1_b32 vcc_lo, exec_lo, s35
	s_cbranch_vccnz .LBB63_1149
; %bb.1148:
	s_wait_loadcnt 0x0
	global_load_u16 v1, v[8:9], off
	s_wait_loadcnt 0x0
	v_cvt_f32_f16_e32 v1, v1
	s_delay_alu instid0(VALU_DEP_1)
	v_cvt_i32_f32_e32 v1, v1
.LBB63_1149:
	s_mov_b32 s35, 0
.LBB63_1150:
	s_delay_alu instid0(SALU_CYCLE_1)
	s_and_not1_b32 vcc_lo, exec_lo, s35
	s_cbranch_vccnz .LBB63_1170
; %bb.1151:
	s_cmp_lt_i32 s0, 2
	s_cbranch_scc1 .LBB63_1155
; %bb.1152:
	s_cmp_lt_i32 s0, 3
	s_cbranch_scc1 .LBB63_1156
; %bb.1153:
	s_cmp_gt_i32 s0, 3
	s_cbranch_scc0 .LBB63_1157
; %bb.1154:
	s_wait_loadcnt 0x0
	global_load_b32 v1, v[8:9], off
	s_mov_b32 s35, 0
	s_branch .LBB63_1158
.LBB63_1155:
	s_mov_b32 s35, -1
                                        ; implicit-def: $vgpr1
	s_branch .LBB63_1164
.LBB63_1156:
	s_mov_b32 s35, -1
                                        ; implicit-def: $vgpr1
	s_branch .LBB63_1161
.LBB63_1157:
	s_mov_b32 s35, -1
                                        ; implicit-def: $vgpr1
.LBB63_1158:
	s_delay_alu instid0(SALU_CYCLE_1)
	s_and_not1_b32 vcc_lo, exec_lo, s35
	s_cbranch_vccnz .LBB63_1160
; %bb.1159:
	s_wait_loadcnt 0x0
	global_load_b32 v1, v[8:9], off
.LBB63_1160:
	s_mov_b32 s35, 0
.LBB63_1161:
	s_delay_alu instid0(SALU_CYCLE_1)
	s_and_not1_b32 vcc_lo, exec_lo, s35
	s_cbranch_vccnz .LBB63_1163
; %bb.1162:
	s_wait_loadcnt 0x0
	global_load_i16 v1, v[8:9], off
.LBB63_1163:
	s_mov_b32 s35, 0
.LBB63_1164:
	s_delay_alu instid0(SALU_CYCLE_1)
	s_and_not1_b32 vcc_lo, exec_lo, s35
	s_cbranch_vccnz .LBB63_1170
; %bb.1165:
	s_cmp_gt_i32 s0, 0
	s_mov_b32 s0, 0
	s_cbranch_scc0 .LBB63_1167
; %bb.1166:
	s_wait_loadcnt 0x0
	global_load_i8 v1, v[8:9], off
	s_branch .LBB63_1168
.LBB63_1167:
	s_mov_b32 s0, -1
                                        ; implicit-def: $vgpr1
.LBB63_1168:
	s_delay_alu instid0(SALU_CYCLE_1)
	s_and_not1_b32 vcc_lo, exec_lo, s0
	s_cbranch_vccnz .LBB63_1170
; %bb.1169:
	s_wait_loadcnt 0x0
	global_load_u8 v1, v[8:9], off
.LBB63_1170:
	s_mov_b32 s36, -1
.LBB63_1171:
	s_delay_alu instid0(SALU_CYCLE_1)
	s_and_not1_b32 vcc_lo, exec_lo, s36
	s_cbranch_vccnz .LBB63_1179
; %bb.1172:
	v_mov_b32_e32 v7, 0
	s_and_b32 s0, s41, 0xff
	s_delay_alu instid0(SALU_CYCLE_1) | instskip(SKIP_1) | instid1(VALU_DEP_1)
	s_cmp_lt_i32 s0, 11
	s_wait_loadcnt 0x0
	v_add_nc_u64_e32 v[6:7], s[8:9], v[6:7]
	s_cbranch_scc1 .LBB63_1180
; %bb.1173:
	s_and_b32 s36, 0xffff, s0
	s_delay_alu instid0(SALU_CYCLE_1)
	s_cmp_gt_i32 s36, 25
	s_cbranch_scc0 .LBB63_1181
; %bb.1174:
	s_cmp_gt_i32 s36, 28
	s_cbranch_scc0 .LBB63_1182
; %bb.1175:
	;; [unrolled: 3-line block ×4, first 2 shown]
	s_cmp_eq_u32 s36, 46
	s_mov_b32 s58, 0
	s_cbranch_scc0 .LBB63_1187
; %bb.1178:
	global_load_b32 v3, v[6:7], off
	s_mov_b32 s37, -1
	s_mov_b32 s35, 0
	s_wait_loadcnt 0x0
	v_lshlrev_b32_e32 v3, 16, v3
	s_delay_alu instid0(VALU_DEP_1)
	v_cvt_i32_f32_e32 v3, v3
	s_branch .LBB63_1189
.LBB63_1179:
	s_mov_b32 s37, 0
	s_mov_b32 s0, s53
	s_mov_b32 s36, s54
	s_mov_b32 s35, s55
	s_branch .LBB63_1552
.LBB63_1180:
	s_mov_b32 s36, -1
	s_mov_b32 s37, 0
	s_mov_b32 s35, s55
                                        ; implicit-def: $vgpr3
	s_branch .LBB63_1250
.LBB63_1181:
	s_mov_b32 s58, -1
	s_mov_b32 s37, 0
	s_mov_b32 s35, s55
                                        ; implicit-def: $vgpr3
	s_branch .LBB63_1216
.LBB63_1182:
	s_mov_b32 s58, -1
	s_mov_b32 s37, 0
	s_mov_b32 s35, s55
                                        ; implicit-def: $vgpr3
	s_branch .LBB63_1199
.LBB63_1183:
	s_mov_b32 s58, -1
	s_mov_b32 s37, 0
	s_mov_b32 s35, s55
                                        ; implicit-def: $vgpr3
	s_branch .LBB63_1194
.LBB63_1184:
	s_mov_b32 s58, -1
	s_mov_b32 s37, 0
	s_mov_b32 s35, s55
	s_branch .LBB63_1188
.LBB63_1185:
	s_and_not1_saveexec_b32 s55, s55
	s_cbranch_execz .LBB63_941
.LBB63_1186:
	v_add_f32_e64 v5, 0x46000000, |v1|
	s_and_not1_b32 s54, s54, exec_lo
	s_delay_alu instid0(VALU_DEP_1) | instskip(NEXT) | instid1(VALU_DEP_1)
	v_and_b32_e32 v5, 0xff, v5
	v_cmp_ne_u32_e32 vcc_lo, 0, v5
	s_and_b32 s57, vcc_lo, exec_lo
	s_delay_alu instid0(SALU_CYCLE_1)
	s_or_b32 s54, s54, s57
	s_or_b32 exec_lo, exec_lo, s55
	v_mov_b32_e32 v6, 0
	s_and_saveexec_b32 s55, s54
	s_cbranch_execnz .LBB63_942
	s_branch .LBB63_943
.LBB63_1187:
	s_mov_b32 s35, -1
	s_mov_b32 s37, 0
.LBB63_1188:
                                        ; implicit-def: $vgpr3
.LBB63_1189:
	s_and_b32 vcc_lo, exec_lo, s58
	s_cbranch_vccz .LBB63_1193
; %bb.1190:
	s_cmp_eq_u32 s36, 44
	s_cbranch_scc0 .LBB63_1192
; %bb.1191:
	global_load_u8 v3, v[6:7], off
	s_mov_b32 s35, 0
	s_mov_b32 s37, -1
	s_wait_loadcnt 0x0
	v_lshlrev_b32_e32 v5, 23, v3
	v_cmp_ne_u32_e32 vcc_lo, 0, v3
	s_delay_alu instid0(VALU_DEP_2) | instskip(NEXT) | instid1(VALU_DEP_1)
	v_cvt_i32_f32_e32 v5, v5
	v_cndmask_b32_e32 v3, 0, v5, vcc_lo
	s_branch .LBB63_1193
.LBB63_1192:
	s_mov_b32 s35, -1
                                        ; implicit-def: $vgpr3
.LBB63_1193:
	s_mov_b32 s58, 0
.LBB63_1194:
	s_delay_alu instid0(SALU_CYCLE_1)
	s_and_b32 vcc_lo, exec_lo, s58
	s_cbranch_vccz .LBB63_1198
; %bb.1195:
	s_cmp_eq_u32 s36, 29
	s_cbranch_scc0 .LBB63_1197
; %bb.1196:
	global_load_b32 v3, v[6:7], off
	s_mov_b32 s37, -1
	s_mov_b32 s35, 0
	s_branch .LBB63_1198
.LBB63_1197:
	s_mov_b32 s35, -1
                                        ; implicit-def: $vgpr3
.LBB63_1198:
	s_mov_b32 s58, 0
.LBB63_1199:
	s_delay_alu instid0(SALU_CYCLE_1)
	s_and_b32 vcc_lo, exec_lo, s58
	s_cbranch_vccz .LBB63_1215
; %bb.1200:
	s_cmp_lt_i32 s36, 27
	s_cbranch_scc1 .LBB63_1203
; %bb.1201:
	s_cmp_gt_i32 s36, 27
	s_cbranch_scc0 .LBB63_1204
; %bb.1202:
	s_wait_loadcnt 0x0
	global_load_b32 v3, v[6:7], off
	s_mov_b32 s37, 0
	s_branch .LBB63_1205
.LBB63_1203:
	s_mov_b32 s37, -1
                                        ; implicit-def: $vgpr3
	s_branch .LBB63_1208
.LBB63_1204:
	s_mov_b32 s37, -1
                                        ; implicit-def: $vgpr3
.LBB63_1205:
	s_delay_alu instid0(SALU_CYCLE_1)
	s_and_not1_b32 vcc_lo, exec_lo, s37
	s_cbranch_vccnz .LBB63_1207
; %bb.1206:
	s_wait_loadcnt 0x0
	global_load_u16 v3, v[6:7], off
.LBB63_1207:
	s_mov_b32 s37, 0
.LBB63_1208:
	s_delay_alu instid0(SALU_CYCLE_1)
	s_and_not1_b32 vcc_lo, exec_lo, s37
	s_cbranch_vccnz .LBB63_1214
; %bb.1209:
	global_load_u8 v5, v[6:7], off
	s_mov_b32 s58, 0
	s_mov_b32 s37, exec_lo
	s_wait_loadcnt 0x0
	v_cmpx_lt_i16_e32 0x7f, v5
	s_xor_b32 s37, exec_lo, s37
	s_cbranch_execz .LBB63_1226
; %bb.1210:
	v_cmp_ne_u16_e32 vcc_lo, 0x80, v5
	s_and_b32 s58, vcc_lo, exec_lo
	s_and_not1_saveexec_b32 s37, s37
	s_cbranch_execnz .LBB63_1227
.LBB63_1211:
	s_or_b32 exec_lo, exec_lo, s37
	v_mov_b32_e32 v3, 0
	s_and_saveexec_b32 s37, s58
	s_cbranch_execz .LBB63_1213
.LBB63_1212:
	v_and_b32_e32 v3, 0xffff, v5
	s_delay_alu instid0(VALU_DEP_1) | instskip(SKIP_1) | instid1(VALU_DEP_2)
	v_and_b32_e32 v8, 7, v3
	v_bfe_u32 v11, v3, 3, 4
	v_clz_i32_u32_e32 v9, v8
	s_delay_alu instid0(VALU_DEP_2) | instskip(NEXT) | instid1(VALU_DEP_2)
	v_cmp_eq_u32_e32 vcc_lo, 0, v11
	v_min_u32_e32 v9, 32, v9
	s_delay_alu instid0(VALU_DEP_1) | instskip(NEXT) | instid1(VALU_DEP_1)
	v_subrev_nc_u32_e32 v10, 28, v9
	v_dual_lshlrev_b32 v3, v10, v3 :: v_dual_sub_nc_u32 v9, 29, v9
	s_delay_alu instid0(VALU_DEP_1) | instskip(NEXT) | instid1(VALU_DEP_1)
	v_dual_lshlrev_b32 v5, 24, v5 :: v_dual_bitop2_b32 v3, 7, v3 bitop3:0x40
	v_dual_cndmask_b32 v3, v8, v3, vcc_lo :: v_dual_cndmask_b32 v9, v11, v9, vcc_lo
	s_delay_alu instid0(VALU_DEP_2) | instskip(NEXT) | instid1(VALU_DEP_2)
	v_and_b32_e32 v5, 0x80000000, v5
	v_lshlrev_b32_e32 v3, 20, v3
	s_delay_alu instid0(VALU_DEP_3) | instskip(NEXT) | instid1(VALU_DEP_1)
	v_lshl_add_u32 v8, v9, 23, 0x3b800000
	v_or3_b32 v3, v5, v8, v3
	s_delay_alu instid0(VALU_DEP_1)
	v_cvt_i32_f32_e32 v3, v3
.LBB63_1213:
	s_or_b32 exec_lo, exec_lo, s37
.LBB63_1214:
	s_mov_b32 s37, -1
.LBB63_1215:
	s_mov_b32 s58, 0
.LBB63_1216:
	s_delay_alu instid0(SALU_CYCLE_1)
	s_and_b32 vcc_lo, exec_lo, s58
	s_cbranch_vccz .LBB63_1249
; %bb.1217:
	s_cmp_gt_i32 s36, 22
	s_cbranch_scc0 .LBB63_1225
; %bb.1218:
	s_cmp_lt_i32 s36, 24
	s_cbranch_scc1 .LBB63_1228
; %bb.1219:
	s_cmp_gt_i32 s36, 24
	s_cbranch_scc0 .LBB63_1229
; %bb.1220:
	global_load_u8 v5, v[6:7], off
	s_mov_b32 s58, 0
	s_mov_b32 s37, exec_lo
	s_wait_loadcnt 0x0
	v_cmpx_lt_i16_e32 0x7f, v5
	s_xor_b32 s37, exec_lo, s37
	s_cbranch_execz .LBB63_1241
; %bb.1221:
	v_cmp_ne_u16_e32 vcc_lo, 0x80, v5
	s_and_b32 s58, vcc_lo, exec_lo
	s_and_not1_saveexec_b32 s37, s37
	s_cbranch_execnz .LBB63_1242
.LBB63_1222:
	s_or_b32 exec_lo, exec_lo, s37
	v_mov_b32_e32 v3, 0
	s_and_saveexec_b32 s37, s58
	s_cbranch_execz .LBB63_1224
.LBB63_1223:
	v_and_b32_e32 v3, 0xffff, v5
	s_delay_alu instid0(VALU_DEP_1) | instskip(SKIP_1) | instid1(VALU_DEP_2)
	v_and_b32_e32 v8, 3, v3
	v_bfe_u32 v11, v3, 2, 5
	v_clz_i32_u32_e32 v9, v8
	s_delay_alu instid0(VALU_DEP_2) | instskip(NEXT) | instid1(VALU_DEP_2)
	v_cmp_eq_u32_e32 vcc_lo, 0, v11
	v_min_u32_e32 v9, 32, v9
	s_delay_alu instid0(VALU_DEP_1) | instskip(NEXT) | instid1(VALU_DEP_1)
	v_subrev_nc_u32_e32 v10, 29, v9
	v_dual_lshlrev_b32 v3, v10, v3 :: v_dual_sub_nc_u32 v9, 30, v9
	s_delay_alu instid0(VALU_DEP_1) | instskip(NEXT) | instid1(VALU_DEP_1)
	v_dual_lshlrev_b32 v5, 24, v5 :: v_dual_bitop2_b32 v3, 3, v3 bitop3:0x40
	v_dual_cndmask_b32 v3, v8, v3, vcc_lo :: v_dual_cndmask_b32 v9, v11, v9, vcc_lo
	s_delay_alu instid0(VALU_DEP_2) | instskip(NEXT) | instid1(VALU_DEP_2)
	v_and_b32_e32 v5, 0x80000000, v5
	v_lshlrev_b32_e32 v3, 21, v3
	s_delay_alu instid0(VALU_DEP_3) | instskip(NEXT) | instid1(VALU_DEP_1)
	v_lshl_add_u32 v8, v9, 23, 0x37800000
	v_or3_b32 v3, v5, v8, v3
	s_delay_alu instid0(VALU_DEP_1)
	v_cvt_i32_f32_e32 v3, v3
.LBB63_1224:
	s_or_b32 exec_lo, exec_lo, s37
	s_mov_b32 s37, 0
	s_branch .LBB63_1230
.LBB63_1225:
	s_mov_b32 s58, -1
                                        ; implicit-def: $vgpr3
	s_branch .LBB63_1236
.LBB63_1226:
	s_and_not1_saveexec_b32 s37, s37
	s_cbranch_execz .LBB63_1211
.LBB63_1227:
	v_cmp_ne_u16_e32 vcc_lo, 0, v5
	s_and_not1_b32 s58, s58, exec_lo
	s_and_b32 s59, vcc_lo, exec_lo
	s_delay_alu instid0(SALU_CYCLE_1)
	s_or_b32 s58, s58, s59
	s_or_b32 exec_lo, exec_lo, s37
	v_mov_b32_e32 v3, 0
	s_and_saveexec_b32 s37, s58
	s_cbranch_execnz .LBB63_1212
	s_branch .LBB63_1213
.LBB63_1228:
	s_mov_b32 s37, -1
                                        ; implicit-def: $vgpr3
	s_branch .LBB63_1233
.LBB63_1229:
	s_mov_b32 s37, -1
                                        ; implicit-def: $vgpr3
.LBB63_1230:
	s_delay_alu instid0(SALU_CYCLE_1)
	s_and_b32 vcc_lo, exec_lo, s37
	s_cbranch_vccz .LBB63_1232
; %bb.1231:
	s_wait_loadcnt 0x0
	global_load_u8 v3, v[6:7], off
	s_wait_loadcnt 0x0
	v_lshlrev_b32_e32 v3, 24, v3
	s_delay_alu instid0(VALU_DEP_1) | instskip(SKIP_1) | instid1(VALU_DEP_1)
	v_and_b32_e32 v5, 0x7f000000, v3
	s_wait_xcnt 0x1
	v_clz_i32_u32_e32 v8, v5
	v_cmp_ne_u32_e32 vcc_lo, 0, v5
	v_add_nc_u32_e32 v10, 0x1000000, v5
	s_delay_alu instid0(VALU_DEP_3) | instskip(NEXT) | instid1(VALU_DEP_1)
	v_min_u32_e32 v8, 32, v8
	v_sub_nc_u32_e64 v8, v8, 4 clamp
	s_delay_alu instid0(VALU_DEP_1) | instskip(NEXT) | instid1(VALU_DEP_1)
	v_dual_lshlrev_b32 v9, v8, v5 :: v_dual_lshlrev_b32 v8, 23, v8
	v_lshrrev_b32_e32 v9, 4, v9
	s_delay_alu instid0(VALU_DEP_1) | instskip(NEXT) | instid1(VALU_DEP_1)
	v_dual_sub_nc_u32 v8, v9, v8 :: v_dual_ashrrev_i32 v9, 8, v10
	v_add_nc_u32_e32 v8, 0x3c000000, v8
	s_delay_alu instid0(VALU_DEP_1) | instskip(NEXT) | instid1(VALU_DEP_1)
	v_and_or_b32 v8, 0x7f800000, v9, v8
	v_cndmask_b32_e32 v5, 0, v8, vcc_lo
	s_delay_alu instid0(VALU_DEP_1) | instskip(NEXT) | instid1(VALU_DEP_1)
	v_and_or_b32 v3, 0x80000000, v3, v5
	v_cvt_i32_f32_e32 v3, v3
.LBB63_1232:
	s_mov_b32 s37, 0
.LBB63_1233:
	s_delay_alu instid0(SALU_CYCLE_1)
	s_and_not1_b32 vcc_lo, exec_lo, s37
	s_cbranch_vccnz .LBB63_1235
; %bb.1234:
	s_wait_loadcnt 0x0
	global_load_u8 v3, v[6:7], off
	s_wait_loadcnt 0x0
	v_lshlrev_b32_e32 v5, 25, v3
	v_lshlrev_b16 v3, 8, v3
	s_wait_xcnt 0x1
	s_delay_alu instid0(VALU_DEP_1) | instskip(SKIP_1) | instid1(VALU_DEP_2)
	v_and_or_b32 v9, 0x7f00, v3, 0.5
	v_bfe_i32 v3, v3, 0, 16
	v_add_f32_e32 v9, -0.5, v9
	v_lshrrev_b32_e32 v8, 4, v5
	v_cmp_gt_u32_e32 vcc_lo, 0x8000000, v5
	s_delay_alu instid0(VALU_DEP_2) | instskip(NEXT) | instid1(VALU_DEP_1)
	v_or_b32_e32 v8, 0x70000000, v8
	v_mul_f32_e32 v8, 0x7800000, v8
	s_delay_alu instid0(VALU_DEP_1) | instskip(NEXT) | instid1(VALU_DEP_1)
	v_cndmask_b32_e32 v5, v8, v9, vcc_lo
	v_and_or_b32 v3, 0x80000000, v3, v5
	s_delay_alu instid0(VALU_DEP_1)
	v_cvt_i32_f32_e32 v3, v3
.LBB63_1235:
	s_mov_b32 s58, 0
	s_mov_b32 s37, -1
.LBB63_1236:
	s_and_not1_b32 vcc_lo, exec_lo, s58
	s_cbranch_vccnz .LBB63_1249
; %bb.1237:
	s_cmp_gt_i32 s36, 14
	s_cbranch_scc0 .LBB63_1240
; %bb.1238:
	s_cmp_eq_u32 s36, 15
	s_cbranch_scc0 .LBB63_1243
; %bb.1239:
	s_wait_loadcnt 0x0
	global_load_u16 v3, v[6:7], off
	s_mov_b32 s37, -1
	s_mov_b32 s35, 0
	s_wait_loadcnt 0x0
	v_lshlrev_b32_e32 v3, 16, v3
	s_delay_alu instid0(VALU_DEP_1)
	v_cvt_i32_f32_e32 v3, v3
	s_branch .LBB63_1244
.LBB63_1240:
	s_mov_b32 s58, -1
                                        ; implicit-def: $vgpr3
	s_branch .LBB63_1245
.LBB63_1241:
	s_and_not1_saveexec_b32 s37, s37
	s_cbranch_execz .LBB63_1222
.LBB63_1242:
	v_cmp_ne_u16_e32 vcc_lo, 0, v5
	s_and_not1_b32 s58, s58, exec_lo
	s_and_b32 s59, vcc_lo, exec_lo
	s_delay_alu instid0(SALU_CYCLE_1)
	s_or_b32 s58, s58, s59
	s_or_b32 exec_lo, exec_lo, s37
	v_mov_b32_e32 v3, 0
	s_and_saveexec_b32 s37, s58
	s_cbranch_execnz .LBB63_1223
	s_branch .LBB63_1224
.LBB63_1243:
	s_mov_b32 s35, -1
                                        ; implicit-def: $vgpr3
.LBB63_1244:
	s_mov_b32 s58, 0
.LBB63_1245:
	s_delay_alu instid0(SALU_CYCLE_1)
	s_and_b32 vcc_lo, exec_lo, s58
	s_cbranch_vccz .LBB63_1249
; %bb.1246:
	s_cmp_eq_u32 s36, 11
	s_cbranch_scc0 .LBB63_1248
; %bb.1247:
	s_wait_loadcnt 0x0
	global_load_u8 v3, v[6:7], off
	s_mov_b32 s35, 0
	s_mov_b32 s37, -1
	s_wait_loadcnt 0x0
	v_cmp_ne_u16_e32 vcc_lo, 0, v3
	v_cndmask_b32_e64 v3, 0, 1, vcc_lo
	s_branch .LBB63_1249
.LBB63_1248:
	s_mov_b32 s35, -1
                                        ; implicit-def: $vgpr3
.LBB63_1249:
	s_mov_b32 s36, 0
.LBB63_1250:
	s_delay_alu instid0(SALU_CYCLE_1)
	s_and_b32 vcc_lo, exec_lo, s36
	s_cbranch_vccz .LBB63_1299
; %bb.1251:
	s_and_b32 s0, 0xffff, s0
	s_delay_alu instid0(SALU_CYCLE_1)
	s_cmp_lt_i32 s0, 5
	s_cbranch_scc1 .LBB63_1256
; %bb.1252:
	s_cmp_lt_i32 s0, 8
	s_cbranch_scc1 .LBB63_1257
; %bb.1253:
	;; [unrolled: 3-line block ×3, first 2 shown]
	s_cmp_gt_i32 s0, 9
	s_cbranch_scc0 .LBB63_1259
; %bb.1255:
	global_load_b64 v[8:9], v[6:7], off
	s_mov_b32 s36, 0
	s_wait_loadcnt 0x0
	v_cvt_i32_f64_e32 v3, v[8:9]
	s_branch .LBB63_1260
.LBB63_1256:
	s_mov_b32 s36, -1
                                        ; implicit-def: $vgpr3
	s_branch .LBB63_1278
.LBB63_1257:
	s_mov_b32 s36, -1
                                        ; implicit-def: $vgpr3
	s_branch .LBB63_1266
.LBB63_1258:
	s_mov_b32 s36, -1
                                        ; implicit-def: $vgpr3
	s_branch .LBB63_1263
.LBB63_1259:
	s_mov_b32 s36, -1
                                        ; implicit-def: $vgpr3
.LBB63_1260:
	s_delay_alu instid0(SALU_CYCLE_1)
	s_and_not1_b32 vcc_lo, exec_lo, s36
	s_cbranch_vccnz .LBB63_1262
; %bb.1261:
	s_wait_loadcnt 0x0
	global_load_b32 v3, v[6:7], off
	s_wait_loadcnt 0x0
	v_cvt_i32_f32_e32 v3, v3
.LBB63_1262:
	s_mov_b32 s36, 0
.LBB63_1263:
	s_delay_alu instid0(SALU_CYCLE_1)
	s_and_not1_b32 vcc_lo, exec_lo, s36
	s_cbranch_vccnz .LBB63_1265
; %bb.1264:
	s_wait_loadcnt 0x0
	global_load_b32 v3, v[6:7], off
	s_wait_loadcnt 0x0
	v_cvt_f32_f16_e32 v3, v3
	s_delay_alu instid0(VALU_DEP_1)
	v_cvt_i32_f32_e32 v3, v3
.LBB63_1265:
	s_mov_b32 s36, 0
.LBB63_1266:
	s_delay_alu instid0(SALU_CYCLE_1)
	s_and_not1_b32 vcc_lo, exec_lo, s36
	s_cbranch_vccnz .LBB63_1277
; %bb.1267:
	s_cmp_lt_i32 s0, 6
	s_cbranch_scc1 .LBB63_1270
; %bb.1268:
	s_cmp_gt_i32 s0, 6
	s_cbranch_scc0 .LBB63_1271
; %bb.1269:
	global_load_b64 v[8:9], v[6:7], off
	s_mov_b32 s36, 0
	s_wait_loadcnt 0x0
	v_cvt_i32_f64_e32 v3, v[8:9]
	s_branch .LBB63_1272
.LBB63_1270:
	s_mov_b32 s36, -1
                                        ; implicit-def: $vgpr3
	s_branch .LBB63_1275
.LBB63_1271:
	s_mov_b32 s36, -1
                                        ; implicit-def: $vgpr3
.LBB63_1272:
	s_delay_alu instid0(SALU_CYCLE_1)
	s_and_not1_b32 vcc_lo, exec_lo, s36
	s_cbranch_vccnz .LBB63_1274
; %bb.1273:
	s_wait_loadcnt 0x0
	global_load_b32 v3, v[6:7], off
	s_wait_loadcnt 0x0
	v_cvt_i32_f32_e32 v3, v3
.LBB63_1274:
	s_mov_b32 s36, 0
.LBB63_1275:
	s_delay_alu instid0(SALU_CYCLE_1)
	s_and_not1_b32 vcc_lo, exec_lo, s36
	s_cbranch_vccnz .LBB63_1277
; %bb.1276:
	s_wait_loadcnt 0x0
	global_load_u16 v3, v[6:7], off
	s_wait_loadcnt 0x0
	v_cvt_f32_f16_e32 v3, v3
	s_delay_alu instid0(VALU_DEP_1)
	v_cvt_i32_f32_e32 v3, v3
.LBB63_1277:
	s_mov_b32 s36, 0
.LBB63_1278:
	s_delay_alu instid0(SALU_CYCLE_1)
	s_and_not1_b32 vcc_lo, exec_lo, s36
	s_cbranch_vccnz .LBB63_1298
; %bb.1279:
	s_cmp_lt_i32 s0, 2
	s_cbranch_scc1 .LBB63_1283
; %bb.1280:
	s_cmp_lt_i32 s0, 3
	s_cbranch_scc1 .LBB63_1284
; %bb.1281:
	s_cmp_gt_i32 s0, 3
	s_cbranch_scc0 .LBB63_1285
; %bb.1282:
	s_wait_loadcnt 0x0
	global_load_b32 v3, v[6:7], off
	s_mov_b32 s36, 0
	s_branch .LBB63_1286
.LBB63_1283:
	s_mov_b32 s36, -1
                                        ; implicit-def: $vgpr3
	s_branch .LBB63_1292
.LBB63_1284:
	s_mov_b32 s36, -1
                                        ; implicit-def: $vgpr3
	s_branch .LBB63_1289
.LBB63_1285:
	s_mov_b32 s36, -1
                                        ; implicit-def: $vgpr3
.LBB63_1286:
	s_delay_alu instid0(SALU_CYCLE_1)
	s_and_not1_b32 vcc_lo, exec_lo, s36
	s_cbranch_vccnz .LBB63_1288
; %bb.1287:
	s_wait_loadcnt 0x0
	global_load_b32 v3, v[6:7], off
.LBB63_1288:
	s_mov_b32 s36, 0
.LBB63_1289:
	s_delay_alu instid0(SALU_CYCLE_1)
	s_and_not1_b32 vcc_lo, exec_lo, s36
	s_cbranch_vccnz .LBB63_1291
; %bb.1290:
	s_wait_loadcnt 0x0
	global_load_i16 v3, v[6:7], off
.LBB63_1291:
	s_mov_b32 s36, 0
.LBB63_1292:
	s_delay_alu instid0(SALU_CYCLE_1)
	s_and_not1_b32 vcc_lo, exec_lo, s36
	s_cbranch_vccnz .LBB63_1298
; %bb.1293:
	s_cmp_gt_i32 s0, 0
	s_mov_b32 s0, 0
	s_cbranch_scc0 .LBB63_1295
; %bb.1294:
	s_wait_loadcnt 0x0
	global_load_i8 v3, v[6:7], off
	s_branch .LBB63_1296
.LBB63_1295:
	s_mov_b32 s0, -1
                                        ; implicit-def: $vgpr3
.LBB63_1296:
	s_delay_alu instid0(SALU_CYCLE_1)
	s_and_not1_b32 vcc_lo, exec_lo, s0
	s_cbranch_vccnz .LBB63_1298
; %bb.1297:
	s_wait_loadcnt 0x0
	global_load_u8 v3, v[6:7], off
.LBB63_1298:
	s_mov_b32 s37, -1
.LBB63_1299:
	s_delay_alu instid0(SALU_CYCLE_1)
	s_and_not1_b32 vcc_lo, exec_lo, s37
	s_cbranch_vccnz .LBB63_1307
; %bb.1300:
	v_mov_b32_e32 v5, 0
	s_and_b32 s0, 0xffff, s21
	s_delay_alu instid0(SALU_CYCLE_1) | instskip(NEXT) | instid1(VALU_DEP_1)
	s_cmp_lt_i32 s0, 11
	v_add_nc_u64_e32 v[4:5], s[10:11], v[4:5]
	s_cbranch_scc1 .LBB63_1308
; %bb.1301:
	s_cmp_gt_i32 s0, 25
	s_cbranch_scc0 .LBB63_1309
; %bb.1302:
	s_cmp_gt_i32 s0, 28
	s_cbranch_scc0 .LBB63_1310
	;; [unrolled: 3-line block ×4, first 2 shown]
; %bb.1305:
	s_cmp_eq_u32 s0, 46
	s_mov_b32 s58, 0
	s_cbranch_scc0 .LBB63_1315
; %bb.1306:
	global_load_b32 v6, v[4:5], off
	s_mov_b32 s37, -1
	s_mov_b32 s36, 0
	s_wait_loadcnt 0x0
	v_lshlrev_b32_e32 v6, 16, v6
	s_delay_alu instid0(VALU_DEP_1)
	v_cvt_i32_f32_e32 v6, v6
	s_branch .LBB63_1317
.LBB63_1307:
	s_mov_b32 s37, 0
	s_mov_b32 s0, s53
	;; [unrolled: 1-line block ×3, first 2 shown]
	s_branch .LBB63_1552
.LBB63_1308:
	s_mov_b32 s58, -1
	s_mov_b32 s37, 0
	s_mov_b32 s36, s54
                                        ; implicit-def: $vgpr6
	s_branch .LBB63_1378
.LBB63_1309:
	s_mov_b32 s58, -1
	s_mov_b32 s37, 0
	s_mov_b32 s36, s54
                                        ; implicit-def: $vgpr6
	s_branch .LBB63_1344
.LBB63_1310:
	s_mov_b32 s58, -1
	s_mov_b32 s37, 0
	s_mov_b32 s36, s54
                                        ; implicit-def: $vgpr6
	s_branch .LBB63_1327
.LBB63_1311:
	s_mov_b32 s58, -1
	s_mov_b32 s37, 0
	s_mov_b32 s36, s54
                                        ; implicit-def: $vgpr6
	s_branch .LBB63_1322
.LBB63_1312:
	s_mov_b32 s58, -1
	s_mov_b32 s37, 0
	s_mov_b32 s36, s54
	s_branch .LBB63_1316
.LBB63_1313:
	s_and_not1_saveexec_b32 s55, s55
	s_cbranch_execz .LBB63_954
.LBB63_1314:
	v_add_f32_e64 v5, 0x42800000, |v1|
	s_and_not1_b32 s54, s54, exec_lo
	s_delay_alu instid0(VALU_DEP_1) | instskip(NEXT) | instid1(VALU_DEP_1)
	v_and_b32_e32 v5, 0xff, v5
	v_cmp_ne_u32_e32 vcc_lo, 0, v5
	s_and_b32 s57, vcc_lo, exec_lo
	s_delay_alu instid0(SALU_CYCLE_1)
	s_or_b32 s54, s54, s57
	s_or_b32 exec_lo, exec_lo, s55
	v_mov_b32_e32 v6, 0
	s_and_saveexec_b32 s55, s54
	s_cbranch_execnz .LBB63_955
	s_branch .LBB63_956
.LBB63_1315:
	s_mov_b32 s36, -1
	s_mov_b32 s37, 0
.LBB63_1316:
                                        ; implicit-def: $vgpr6
.LBB63_1317:
	s_and_b32 vcc_lo, exec_lo, s58
	s_cbranch_vccz .LBB63_1321
; %bb.1318:
	s_cmp_eq_u32 s0, 44
	s_cbranch_scc0 .LBB63_1320
; %bb.1319:
	global_load_u8 v6, v[4:5], off
	s_mov_b32 s36, 0
	s_mov_b32 s37, -1
	s_wait_loadcnt 0x0
	v_lshlrev_b32_e32 v7, 23, v6
	v_cmp_ne_u32_e32 vcc_lo, 0, v6
	s_delay_alu instid0(VALU_DEP_2) | instskip(NEXT) | instid1(VALU_DEP_1)
	v_cvt_i32_f32_e32 v7, v7
	v_cndmask_b32_e32 v6, 0, v7, vcc_lo
	s_branch .LBB63_1321
.LBB63_1320:
	s_mov_b32 s36, -1
                                        ; implicit-def: $vgpr6
.LBB63_1321:
	s_mov_b32 s58, 0
.LBB63_1322:
	s_delay_alu instid0(SALU_CYCLE_1)
	s_and_b32 vcc_lo, exec_lo, s58
	s_cbranch_vccz .LBB63_1326
; %bb.1323:
	s_cmp_eq_u32 s0, 29
	s_cbranch_scc0 .LBB63_1325
; %bb.1324:
	global_load_b32 v6, v[4:5], off
	s_mov_b32 s37, -1
	s_mov_b32 s36, 0
	s_branch .LBB63_1326
.LBB63_1325:
	s_mov_b32 s36, -1
                                        ; implicit-def: $vgpr6
.LBB63_1326:
	s_mov_b32 s58, 0
.LBB63_1327:
	s_delay_alu instid0(SALU_CYCLE_1)
	s_and_b32 vcc_lo, exec_lo, s58
	s_cbranch_vccz .LBB63_1343
; %bb.1328:
	s_cmp_lt_i32 s0, 27
	s_cbranch_scc1 .LBB63_1331
; %bb.1329:
	s_cmp_gt_i32 s0, 27
	s_cbranch_scc0 .LBB63_1332
; %bb.1330:
	s_wait_loadcnt 0x0
	global_load_b32 v6, v[4:5], off
	s_mov_b32 s37, 0
	s_branch .LBB63_1333
.LBB63_1331:
	s_mov_b32 s37, -1
                                        ; implicit-def: $vgpr6
	s_branch .LBB63_1336
.LBB63_1332:
	s_mov_b32 s37, -1
                                        ; implicit-def: $vgpr6
.LBB63_1333:
	s_delay_alu instid0(SALU_CYCLE_1)
	s_and_not1_b32 vcc_lo, exec_lo, s37
	s_cbranch_vccnz .LBB63_1335
; %bb.1334:
	s_wait_loadcnt 0x0
	global_load_u16 v6, v[4:5], off
.LBB63_1335:
	s_mov_b32 s37, 0
.LBB63_1336:
	s_delay_alu instid0(SALU_CYCLE_1)
	s_and_not1_b32 vcc_lo, exec_lo, s37
	s_cbranch_vccnz .LBB63_1342
; %bb.1337:
	global_load_u8 v7, v[4:5], off
	s_mov_b32 s58, 0
	s_mov_b32 s37, exec_lo
	s_wait_loadcnt 0x0
	v_cmpx_lt_i16_e32 0x7f, v7
	s_xor_b32 s37, exec_lo, s37
	s_cbranch_execz .LBB63_1354
; %bb.1338:
	v_cmp_ne_u16_e32 vcc_lo, 0x80, v7
	s_and_b32 s58, vcc_lo, exec_lo
	s_and_not1_saveexec_b32 s37, s37
	s_cbranch_execnz .LBB63_1355
.LBB63_1339:
	s_or_b32 exec_lo, exec_lo, s37
	v_mov_b32_e32 v6, 0
	s_and_saveexec_b32 s37, s58
	s_cbranch_execz .LBB63_1341
.LBB63_1340:
	v_and_b32_e32 v6, 0xffff, v7
	s_delay_alu instid0(VALU_DEP_1) | instskip(SKIP_1) | instid1(VALU_DEP_2)
	v_and_b32_e32 v8, 7, v6
	v_bfe_u32 v11, v6, 3, 4
	v_clz_i32_u32_e32 v9, v8
	s_delay_alu instid0(VALU_DEP_2) | instskip(NEXT) | instid1(VALU_DEP_2)
	v_cmp_eq_u32_e32 vcc_lo, 0, v11
	v_min_u32_e32 v9, 32, v9
	s_delay_alu instid0(VALU_DEP_1) | instskip(NEXT) | instid1(VALU_DEP_1)
	v_subrev_nc_u32_e32 v10, 28, v9
	v_dual_lshlrev_b32 v6, v10, v6 :: v_dual_sub_nc_u32 v9, 29, v9
	s_delay_alu instid0(VALU_DEP_1) | instskip(NEXT) | instid1(VALU_DEP_1)
	v_dual_lshlrev_b32 v7, 24, v7 :: v_dual_bitop2_b32 v6, 7, v6 bitop3:0x40
	v_dual_cndmask_b32 v9, v11, v9 :: v_dual_cndmask_b32 v6, v8, v6
	s_delay_alu instid0(VALU_DEP_2) | instskip(NEXT) | instid1(VALU_DEP_2)
	v_and_b32_e32 v7, 0x80000000, v7
	v_lshl_add_u32 v8, v9, 23, 0x3b800000
	s_delay_alu instid0(VALU_DEP_3) | instskip(NEXT) | instid1(VALU_DEP_1)
	v_lshlrev_b32_e32 v6, 20, v6
	v_or3_b32 v6, v7, v8, v6
	s_delay_alu instid0(VALU_DEP_1)
	v_cvt_i32_f32_e32 v6, v6
.LBB63_1341:
	s_or_b32 exec_lo, exec_lo, s37
.LBB63_1342:
	s_mov_b32 s37, -1
.LBB63_1343:
	s_mov_b32 s58, 0
.LBB63_1344:
	s_delay_alu instid0(SALU_CYCLE_1)
	s_and_b32 vcc_lo, exec_lo, s58
	s_cbranch_vccz .LBB63_1377
; %bb.1345:
	s_cmp_gt_i32 s0, 22
	s_cbranch_scc0 .LBB63_1353
; %bb.1346:
	s_cmp_lt_i32 s0, 24
	s_cbranch_scc1 .LBB63_1356
; %bb.1347:
	s_cmp_gt_i32 s0, 24
	s_cbranch_scc0 .LBB63_1357
; %bb.1348:
	global_load_u8 v7, v[4:5], off
	s_mov_b32 s58, 0
	s_mov_b32 s37, exec_lo
	s_wait_loadcnt 0x0
	v_cmpx_lt_i16_e32 0x7f, v7
	s_xor_b32 s37, exec_lo, s37
	s_cbranch_execz .LBB63_1369
; %bb.1349:
	v_cmp_ne_u16_e32 vcc_lo, 0x80, v7
	s_and_b32 s58, vcc_lo, exec_lo
	s_and_not1_saveexec_b32 s37, s37
	s_cbranch_execnz .LBB63_1370
.LBB63_1350:
	s_or_b32 exec_lo, exec_lo, s37
	v_mov_b32_e32 v6, 0
	s_and_saveexec_b32 s37, s58
	s_cbranch_execz .LBB63_1352
.LBB63_1351:
	v_and_b32_e32 v6, 0xffff, v7
	s_delay_alu instid0(VALU_DEP_1) | instskip(SKIP_1) | instid1(VALU_DEP_2)
	v_and_b32_e32 v8, 3, v6
	v_bfe_u32 v11, v6, 2, 5
	v_clz_i32_u32_e32 v9, v8
	s_delay_alu instid0(VALU_DEP_2) | instskip(NEXT) | instid1(VALU_DEP_2)
	v_cmp_eq_u32_e32 vcc_lo, 0, v11
	v_min_u32_e32 v9, 32, v9
	s_delay_alu instid0(VALU_DEP_1) | instskip(NEXT) | instid1(VALU_DEP_1)
	v_subrev_nc_u32_e32 v10, 29, v9
	v_dual_lshlrev_b32 v6, v10, v6 :: v_dual_sub_nc_u32 v9, 30, v9
	s_delay_alu instid0(VALU_DEP_1) | instskip(NEXT) | instid1(VALU_DEP_1)
	v_dual_lshlrev_b32 v7, 24, v7 :: v_dual_bitop2_b32 v6, 3, v6 bitop3:0x40
	v_dual_cndmask_b32 v9, v11, v9 :: v_dual_cndmask_b32 v6, v8, v6
	s_delay_alu instid0(VALU_DEP_2) | instskip(NEXT) | instid1(VALU_DEP_2)
	v_and_b32_e32 v7, 0x80000000, v7
	v_lshl_add_u32 v8, v9, 23, 0x37800000
	s_delay_alu instid0(VALU_DEP_3) | instskip(NEXT) | instid1(VALU_DEP_1)
	v_lshlrev_b32_e32 v6, 21, v6
	v_or3_b32 v6, v7, v8, v6
	s_delay_alu instid0(VALU_DEP_1)
	v_cvt_i32_f32_e32 v6, v6
.LBB63_1352:
	s_or_b32 exec_lo, exec_lo, s37
	s_mov_b32 s37, 0
	s_branch .LBB63_1358
.LBB63_1353:
	s_mov_b32 s58, -1
                                        ; implicit-def: $vgpr6
	s_branch .LBB63_1364
.LBB63_1354:
	s_and_not1_saveexec_b32 s37, s37
	s_cbranch_execz .LBB63_1339
.LBB63_1355:
	v_cmp_ne_u16_e32 vcc_lo, 0, v7
	s_and_not1_b32 s58, s58, exec_lo
	s_and_b32 s59, vcc_lo, exec_lo
	s_delay_alu instid0(SALU_CYCLE_1)
	s_or_b32 s58, s58, s59
	s_or_b32 exec_lo, exec_lo, s37
	v_mov_b32_e32 v6, 0
	s_and_saveexec_b32 s37, s58
	s_cbranch_execnz .LBB63_1340
	s_branch .LBB63_1341
.LBB63_1356:
	s_mov_b32 s37, -1
                                        ; implicit-def: $vgpr6
	s_branch .LBB63_1361
.LBB63_1357:
	s_mov_b32 s37, -1
                                        ; implicit-def: $vgpr6
.LBB63_1358:
	s_delay_alu instid0(SALU_CYCLE_1)
	s_and_b32 vcc_lo, exec_lo, s37
	s_cbranch_vccz .LBB63_1360
; %bb.1359:
	s_wait_loadcnt 0x0
	global_load_u8 v6, v[4:5], off
	s_wait_loadcnt 0x0
	v_lshlrev_b32_e32 v6, 24, v6
	s_delay_alu instid0(VALU_DEP_1) | instskip(NEXT) | instid1(VALU_DEP_1)
	v_and_b32_e32 v7, 0x7f000000, v6
	v_clz_i32_u32_e32 v8, v7
	v_cmp_ne_u32_e32 vcc_lo, 0, v7
	v_add_nc_u32_e32 v10, 0x1000000, v7
	s_delay_alu instid0(VALU_DEP_3) | instskip(NEXT) | instid1(VALU_DEP_1)
	v_min_u32_e32 v8, 32, v8
	v_sub_nc_u32_e64 v8, v8, 4 clamp
	s_delay_alu instid0(VALU_DEP_1) | instskip(NEXT) | instid1(VALU_DEP_1)
	v_dual_lshlrev_b32 v9, v8, v7 :: v_dual_lshlrev_b32 v8, 23, v8
	v_lshrrev_b32_e32 v9, 4, v9
	s_delay_alu instid0(VALU_DEP_1) | instskip(NEXT) | instid1(VALU_DEP_1)
	v_dual_sub_nc_u32 v8, v9, v8 :: v_dual_ashrrev_i32 v9, 8, v10
	v_add_nc_u32_e32 v8, 0x3c000000, v8
	s_delay_alu instid0(VALU_DEP_1) | instskip(NEXT) | instid1(VALU_DEP_1)
	v_and_or_b32 v8, 0x7f800000, v9, v8
	v_cndmask_b32_e32 v7, 0, v8, vcc_lo
	s_delay_alu instid0(VALU_DEP_1) | instskip(NEXT) | instid1(VALU_DEP_1)
	v_and_or_b32 v6, 0x80000000, v6, v7
	v_cvt_i32_f32_e32 v6, v6
.LBB63_1360:
	s_mov_b32 s37, 0
.LBB63_1361:
	s_delay_alu instid0(SALU_CYCLE_1)
	s_and_not1_b32 vcc_lo, exec_lo, s37
	s_cbranch_vccnz .LBB63_1363
; %bb.1362:
	s_wait_loadcnt 0x0
	global_load_u8 v6, v[4:5], off
	s_wait_loadcnt 0x0
	v_lshlrev_b32_e32 v7, 25, v6
	v_lshlrev_b16 v6, 8, v6
	s_delay_alu instid0(VALU_DEP_1) | instskip(SKIP_1) | instid1(VALU_DEP_2)
	v_and_or_b32 v9, 0x7f00, v6, 0.5
	v_bfe_i32 v6, v6, 0, 16
	v_dual_add_f32 v9, -0.5, v9 :: v_dual_lshrrev_b32 v8, 4, v7
	v_cmp_gt_u32_e32 vcc_lo, 0x8000000, v7
	s_delay_alu instid0(VALU_DEP_2) | instskip(NEXT) | instid1(VALU_DEP_1)
	v_or_b32_e32 v8, 0x70000000, v8
	v_mul_f32_e32 v8, 0x7800000, v8
	s_delay_alu instid0(VALU_DEP_1) | instskip(NEXT) | instid1(VALU_DEP_1)
	v_cndmask_b32_e32 v7, v8, v9, vcc_lo
	v_and_or_b32 v6, 0x80000000, v6, v7
	s_delay_alu instid0(VALU_DEP_1)
	v_cvt_i32_f32_e32 v6, v6
.LBB63_1363:
	s_mov_b32 s58, 0
	s_mov_b32 s37, -1
.LBB63_1364:
	s_and_not1_b32 vcc_lo, exec_lo, s58
	s_cbranch_vccnz .LBB63_1377
; %bb.1365:
	s_cmp_gt_i32 s0, 14
	s_cbranch_scc0 .LBB63_1368
; %bb.1366:
	s_cmp_eq_u32 s0, 15
	s_cbranch_scc0 .LBB63_1371
; %bb.1367:
	s_wait_loadcnt 0x0
	global_load_u16 v6, v[4:5], off
	s_mov_b32 s37, -1
	s_mov_b32 s36, 0
	s_wait_loadcnt 0x0
	v_lshlrev_b32_e32 v6, 16, v6
	s_delay_alu instid0(VALU_DEP_1)
	v_cvt_i32_f32_e32 v6, v6
	s_branch .LBB63_1372
.LBB63_1368:
	s_mov_b32 s58, -1
                                        ; implicit-def: $vgpr6
	s_branch .LBB63_1373
.LBB63_1369:
	s_and_not1_saveexec_b32 s37, s37
	s_cbranch_execz .LBB63_1350
.LBB63_1370:
	v_cmp_ne_u16_e32 vcc_lo, 0, v7
	s_and_not1_b32 s58, s58, exec_lo
	s_and_b32 s59, vcc_lo, exec_lo
	s_delay_alu instid0(SALU_CYCLE_1)
	s_or_b32 s58, s58, s59
	s_or_b32 exec_lo, exec_lo, s37
	v_mov_b32_e32 v6, 0
	s_and_saveexec_b32 s37, s58
	s_cbranch_execnz .LBB63_1351
	s_branch .LBB63_1352
.LBB63_1371:
	s_mov_b32 s36, -1
                                        ; implicit-def: $vgpr6
.LBB63_1372:
	s_mov_b32 s58, 0
.LBB63_1373:
	s_delay_alu instid0(SALU_CYCLE_1)
	s_and_b32 vcc_lo, exec_lo, s58
	s_cbranch_vccz .LBB63_1377
; %bb.1374:
	s_cmp_eq_u32 s0, 11
	s_cbranch_scc0 .LBB63_1376
; %bb.1375:
	s_wait_loadcnt 0x0
	global_load_u8 v6, v[4:5], off
	s_mov_b32 s36, 0
	s_mov_b32 s37, -1
	s_wait_loadcnt 0x0
	v_cmp_ne_u16_e32 vcc_lo, 0, v6
	v_cndmask_b32_e64 v6, 0, 1, vcc_lo
	s_branch .LBB63_1377
.LBB63_1376:
	s_mov_b32 s36, -1
                                        ; implicit-def: $vgpr6
.LBB63_1377:
	s_mov_b32 s58, 0
.LBB63_1378:
	s_delay_alu instid0(SALU_CYCLE_1)
	s_and_b32 vcc_lo, exec_lo, s58
	s_cbranch_vccz .LBB63_1427
; %bb.1379:
	s_cmp_lt_i32 s0, 5
	s_cbranch_scc1 .LBB63_1384
; %bb.1380:
	s_cmp_lt_i32 s0, 8
	s_cbranch_scc1 .LBB63_1385
	;; [unrolled: 3-line block ×3, first 2 shown]
; %bb.1382:
	s_cmp_gt_i32 s0, 9
	s_cbranch_scc0 .LBB63_1387
; %bb.1383:
	s_wait_loadcnt 0x0
	global_load_b64 v[6:7], v[4:5], off
	s_mov_b32 s37, 0
	s_wait_loadcnt 0x0
	v_cvt_i32_f64_e32 v6, v[6:7]
	s_branch .LBB63_1388
.LBB63_1384:
	s_mov_b32 s37, -1
                                        ; implicit-def: $vgpr6
	s_branch .LBB63_1406
.LBB63_1385:
	s_mov_b32 s37, -1
                                        ; implicit-def: $vgpr6
	s_branch .LBB63_1394
.LBB63_1386:
	s_mov_b32 s37, -1
                                        ; implicit-def: $vgpr6
	s_branch .LBB63_1391
.LBB63_1387:
	s_mov_b32 s37, -1
                                        ; implicit-def: $vgpr6
.LBB63_1388:
	s_delay_alu instid0(SALU_CYCLE_1)
	s_and_not1_b32 vcc_lo, exec_lo, s37
	s_cbranch_vccnz .LBB63_1390
; %bb.1389:
	s_wait_loadcnt 0x0
	global_load_b32 v6, v[4:5], off
	s_wait_loadcnt 0x0
	v_cvt_i32_f32_e32 v6, v6
.LBB63_1390:
	s_mov_b32 s37, 0
.LBB63_1391:
	s_delay_alu instid0(SALU_CYCLE_1)
	s_and_not1_b32 vcc_lo, exec_lo, s37
	s_cbranch_vccnz .LBB63_1393
; %bb.1392:
	s_wait_loadcnt 0x0
	global_load_b32 v6, v[4:5], off
	s_wait_loadcnt 0x0
	v_cvt_f32_f16_e32 v6, v6
	s_delay_alu instid0(VALU_DEP_1)
	v_cvt_i32_f32_e32 v6, v6
.LBB63_1393:
	s_mov_b32 s37, 0
.LBB63_1394:
	s_delay_alu instid0(SALU_CYCLE_1)
	s_and_not1_b32 vcc_lo, exec_lo, s37
	s_cbranch_vccnz .LBB63_1405
; %bb.1395:
	s_cmp_lt_i32 s0, 6
	s_cbranch_scc1 .LBB63_1398
; %bb.1396:
	s_cmp_gt_i32 s0, 6
	s_cbranch_scc0 .LBB63_1399
; %bb.1397:
	s_wait_loadcnt 0x0
	global_load_b64 v[6:7], v[4:5], off
	s_mov_b32 s37, 0
	s_wait_loadcnt 0x0
	v_cvt_i32_f64_e32 v6, v[6:7]
	s_branch .LBB63_1400
.LBB63_1398:
	s_mov_b32 s37, -1
                                        ; implicit-def: $vgpr6
	s_branch .LBB63_1403
.LBB63_1399:
	s_mov_b32 s37, -1
                                        ; implicit-def: $vgpr6
.LBB63_1400:
	s_delay_alu instid0(SALU_CYCLE_1)
	s_and_not1_b32 vcc_lo, exec_lo, s37
	s_cbranch_vccnz .LBB63_1402
; %bb.1401:
	s_wait_loadcnt 0x0
	global_load_b32 v6, v[4:5], off
	s_wait_loadcnt 0x0
	v_cvt_i32_f32_e32 v6, v6
.LBB63_1402:
	s_mov_b32 s37, 0
.LBB63_1403:
	s_delay_alu instid0(SALU_CYCLE_1)
	s_and_not1_b32 vcc_lo, exec_lo, s37
	s_cbranch_vccnz .LBB63_1405
; %bb.1404:
	s_wait_loadcnt 0x0
	global_load_u16 v6, v[4:5], off
	s_wait_loadcnt 0x0
	v_cvt_f32_f16_e32 v6, v6
	s_delay_alu instid0(VALU_DEP_1)
	v_cvt_i32_f32_e32 v6, v6
.LBB63_1405:
	s_mov_b32 s37, 0
.LBB63_1406:
	s_delay_alu instid0(SALU_CYCLE_1)
	s_and_not1_b32 vcc_lo, exec_lo, s37
	s_cbranch_vccnz .LBB63_1426
; %bb.1407:
	s_cmp_lt_i32 s0, 2
	s_cbranch_scc1 .LBB63_1411
; %bb.1408:
	s_cmp_lt_i32 s0, 3
	s_cbranch_scc1 .LBB63_1412
; %bb.1409:
	s_cmp_gt_i32 s0, 3
	s_cbranch_scc0 .LBB63_1413
; %bb.1410:
	s_wait_loadcnt 0x0
	global_load_b32 v6, v[4:5], off
	s_mov_b32 s37, 0
	s_branch .LBB63_1414
.LBB63_1411:
	s_mov_b32 s37, -1
                                        ; implicit-def: $vgpr6
	s_branch .LBB63_1420
.LBB63_1412:
	s_mov_b32 s37, -1
                                        ; implicit-def: $vgpr6
	s_branch .LBB63_1417
.LBB63_1413:
	s_mov_b32 s37, -1
                                        ; implicit-def: $vgpr6
.LBB63_1414:
	s_delay_alu instid0(SALU_CYCLE_1)
	s_and_not1_b32 vcc_lo, exec_lo, s37
	s_cbranch_vccnz .LBB63_1416
; %bb.1415:
	s_wait_loadcnt 0x0
	global_load_b32 v6, v[4:5], off
.LBB63_1416:
	s_mov_b32 s37, 0
.LBB63_1417:
	s_delay_alu instid0(SALU_CYCLE_1)
	s_and_not1_b32 vcc_lo, exec_lo, s37
	s_cbranch_vccnz .LBB63_1419
; %bb.1418:
	s_wait_loadcnt 0x0
	global_load_i16 v6, v[4:5], off
.LBB63_1419:
	s_mov_b32 s37, 0
.LBB63_1420:
	s_delay_alu instid0(SALU_CYCLE_1)
	s_and_not1_b32 vcc_lo, exec_lo, s37
	s_cbranch_vccnz .LBB63_1426
; %bb.1421:
	s_cmp_gt_i32 s0, 0
	s_mov_b32 s0, 0
	s_cbranch_scc0 .LBB63_1423
; %bb.1422:
	s_wait_loadcnt 0x0
	global_load_i8 v6, v[4:5], off
	s_branch .LBB63_1424
.LBB63_1423:
	s_mov_b32 s0, -1
                                        ; implicit-def: $vgpr6
.LBB63_1424:
	s_delay_alu instid0(SALU_CYCLE_1)
	s_and_not1_b32 vcc_lo, exec_lo, s0
	s_cbranch_vccnz .LBB63_1426
; %bb.1425:
	s_wait_loadcnt 0x0
	global_load_u8 v6, v[4:5], off
.LBB63_1426:
	s_mov_b32 s37, -1
.LBB63_1427:
	s_delay_alu instid0(SALU_CYCLE_1)
	s_and_not1_b32 vcc_lo, exec_lo, s37
	s_cbranch_vccnz .LBB63_1435
; %bb.1428:
	v_mul_lo_u32 v1, v1, s24
	s_wait_loadcnt 0x0
	s_delay_alu instid0(VALU_DEP_4) | instskip(SKIP_2) | instid1(SALU_CYCLE_1)
	v_mul_lo_u32 v4, v3, s25
	v_mov_b32_e32 v3, 0
	s_and_b32 s37, s26, 0xff
	s_cmp_lt_i32 s37, 11
	s_delay_alu instid0(VALU_DEP_1) | instskip(NEXT) | instid1(VALU_DEP_3)
	v_add_nc_u64_e32 v[2:3], s[4:5], v[2:3]
	v_mad_u32 v4, v4, v6, v1
	s_cbranch_scc1 .LBB63_1436
; %bb.1429:
	s_and_b32 s58, 0xffff, s37
	s_delay_alu instid0(SALU_CYCLE_1)
	s_cmp_gt_i32 s58, 25
	s_cbranch_scc0 .LBB63_1437
; %bb.1430:
	s_cmp_gt_i32 s58, 28
	s_cbranch_scc0 .LBB63_1438
; %bb.1431:
	;; [unrolled: 3-line block ×4, first 2 shown]
	s_mov_b32 s60, 0
	s_mov_b32 s0, -1
	s_cmp_eq_u32 s58, 46
	s_mov_b32 s59, 0
	s_cbranch_scc0 .LBB63_1441
; %bb.1434:
	v_cvt_f32_i32_e32 v1, v4
	s_mov_b32 s59, -1
	s_mov_b32 s0, 0
	s_delay_alu instid0(VALU_DEP_1) | instskip(NEXT) | instid1(VALU_DEP_1)
	v_bfe_u32 v5, v1, 16, 1
	v_add3_u32 v1, v1, v5, 0x7fff
	s_delay_alu instid0(VALU_DEP_1)
	v_lshrrev_b32_e32 v1, 16, v1
	global_store_b32 v[2:3], v1, off
	s_branch .LBB63_1441
.LBB63_1435:
	s_mov_b32 s37, 0
	s_mov_b32 s0, s53
	s_branch .LBB63_1552
.LBB63_1436:
	s_mov_b32 s58, -1
	s_mov_b32 s59, 0
	s_mov_b32 s0, s53
	s_branch .LBB63_1510
.LBB63_1437:
	s_mov_b32 s60, -1
	s_mov_b32 s59, 0
	s_mov_b32 s0, s53
	s_branch .LBB63_1468
.LBB63_1438:
	s_mov_b32 s60, -1
	s_mov_b32 s59, 0
	s_mov_b32 s0, s53
	s_branch .LBB63_1451
.LBB63_1439:
	s_mov_b32 s60, -1
	s_mov_b32 s59, 0
	s_mov_b32 s0, s53
	s_branch .LBB63_1447
.LBB63_1440:
	s_mov_b32 s60, -1
	s_mov_b32 s59, 0
	s_mov_b32 s0, s53
.LBB63_1441:
	s_and_b32 vcc_lo, exec_lo, s60
	s_cbranch_vccz .LBB63_1446
; %bb.1442:
	s_cmp_eq_u32 s58, 44
	s_mov_b32 s0, -1
	s_cbranch_scc0 .LBB63_1446
; %bb.1443:
	s_wait_xcnt 0x0
	v_cvt_f32_i32_e32 v1, v4
	v_mov_b32_e32 v5, 0xff
	s_mov_b32 s59, exec_lo
	s_delay_alu instid0(VALU_DEP_2) | instskip(NEXT) | instid1(VALU_DEP_1)
	v_bfe_u32 v6, v1, 23, 8
	v_cmpx_ne_u32_e32 0xff, v6
	s_cbranch_execz .LBB63_1445
; %bb.1444:
	v_and_b32_e32 v5, 0x400000, v1
	v_and_or_b32 v6, 0x3fffff, v1, v6
	v_lshrrev_b32_e32 v1, 23, v1
	s_delay_alu instid0(VALU_DEP_3) | instskip(NEXT) | instid1(VALU_DEP_3)
	v_cmp_ne_u32_e32 vcc_lo, 0, v5
	v_cmp_ne_u32_e64 s0, 0, v6
	s_and_b32 s0, vcc_lo, s0
	s_delay_alu instid0(SALU_CYCLE_1) | instskip(NEXT) | instid1(VALU_DEP_1)
	v_cndmask_b32_e64 v5, 0, 1, s0
	v_add_nc_u32_e32 v5, v1, v5
.LBB63_1445:
	s_or_b32 exec_lo, exec_lo, s59
	s_mov_b32 s59, -1
	s_mov_b32 s0, 0
	global_store_b8 v[2:3], v5, off
.LBB63_1446:
	s_mov_b32 s60, 0
.LBB63_1447:
	s_delay_alu instid0(SALU_CYCLE_1)
	s_and_b32 vcc_lo, exec_lo, s60
	s_cbranch_vccz .LBB63_1450
; %bb.1448:
	s_cmp_eq_u32 s58, 29
	s_mov_b32 s0, -1
	s_cbranch_scc0 .LBB63_1450
; %bb.1449:
	s_wait_xcnt 0x0
	v_ashrrev_i32_e32 v5, 31, v4
	s_mov_b32 s59, -1
	s_mov_b32 s0, 0
	s_mov_b32 s60, 0
	global_store_b64 v[2:3], v[4:5], off
	s_branch .LBB63_1451
.LBB63_1450:
	s_mov_b32 s60, 0
.LBB63_1451:
	s_delay_alu instid0(SALU_CYCLE_1)
	s_and_b32 vcc_lo, exec_lo, s60
	s_cbranch_vccz .LBB63_1467
; %bb.1452:
	s_cmp_lt_i32 s58, 27
	s_mov_b32 s59, -1
	s_cbranch_scc1 .LBB63_1458
; %bb.1453:
	s_cmp_gt_i32 s58, 27
	s_cbranch_scc0 .LBB63_1455
; %bb.1454:
	s_mov_b32 s59, 0
	global_store_b32 v[2:3], v4, off
.LBB63_1455:
	s_and_not1_b32 vcc_lo, exec_lo, s59
	s_cbranch_vccnz .LBB63_1457
; %bb.1456:
	global_store_b16 v[2:3], v4, off
.LBB63_1457:
	s_mov_b32 s59, 0
.LBB63_1458:
	s_delay_alu instid0(SALU_CYCLE_1)
	s_and_not1_b32 vcc_lo, exec_lo, s59
	s_cbranch_vccnz .LBB63_1466
; %bb.1459:
	s_wait_xcnt 0x0
	v_cvt_f32_i32_e32 v1, v4
	v_mov_b32_e32 v6, 0x80
	s_mov_b32 s59, exec_lo
	s_delay_alu instid0(VALU_DEP_2) | instskip(NEXT) | instid1(VALU_DEP_1)
	v_and_b32_e32 v5, 0x7fffffff, v1
	v_cmpx_gt_u32_e32 0x43800000, v5
	s_cbranch_execz .LBB63_1465
; %bb.1460:
	v_cmp_lt_u32_e32 vcc_lo, 0x3bffffff, v5
	s_mov_b32 s60, 0
                                        ; implicit-def: $vgpr5
	s_and_saveexec_b32 s61, vcc_lo
	s_delay_alu instid0(SALU_CYCLE_1)
	s_xor_b32 s61, exec_lo, s61
	s_cbranch_execz .LBB63_2745
; %bb.1461:
	v_bfe_u32 v5, v1, 20, 1
	s_mov_b32 s60, exec_lo
	s_delay_alu instid0(VALU_DEP_1) | instskip(NEXT) | instid1(VALU_DEP_1)
	v_add3_u32 v5, v1, v5, 0x487ffff
	v_lshrrev_b32_e32 v5, 20, v5
	s_and_not1_saveexec_b32 s61, s61
	s_cbranch_execnz .LBB63_2746
.LBB63_1462:
	s_or_b32 exec_lo, exec_lo, s61
	v_mov_b32_e32 v6, 0
	s_and_saveexec_b32 s61, s60
.LBB63_1463:
	v_lshrrev_b32_e32 v1, 24, v1
	s_delay_alu instid0(VALU_DEP_1)
	v_and_or_b32 v6, 0x80, v1, v5
.LBB63_1464:
	s_or_b32 exec_lo, exec_lo, s61
.LBB63_1465:
	s_delay_alu instid0(SALU_CYCLE_1)
	s_or_b32 exec_lo, exec_lo, s59
	global_store_b8 v[2:3], v6, off
.LBB63_1466:
	s_mov_b32 s59, -1
.LBB63_1467:
	s_mov_b32 s60, 0
.LBB63_1468:
	s_delay_alu instid0(SALU_CYCLE_1)
	s_and_b32 vcc_lo, exec_lo, s60
	s_cbranch_vccz .LBB63_1509
; %bb.1469:
	s_cmp_gt_i32 s58, 22
	s_mov_b32 s60, -1
	s_cbranch_scc0 .LBB63_1501
; %bb.1470:
	s_cmp_lt_i32 s58, 24
	s_mov_b32 s59, -1
	s_cbranch_scc1 .LBB63_1490
; %bb.1471:
	s_cmp_gt_i32 s58, 24
	s_cbranch_scc0 .LBB63_1479
; %bb.1472:
	s_wait_xcnt 0x0
	v_cvt_f32_i32_e32 v1, v4
	v_mov_b32_e32 v6, 0x80
	s_mov_b32 s59, exec_lo
	s_delay_alu instid0(VALU_DEP_2) | instskip(NEXT) | instid1(VALU_DEP_1)
	v_and_b32_e32 v5, 0x7fffffff, v1
	v_cmpx_gt_u32_e32 0x47800000, v5
	s_cbranch_execz .LBB63_1478
; %bb.1473:
	v_cmp_lt_u32_e32 vcc_lo, 0x37ffffff, v5
	s_mov_b32 s60, 0
                                        ; implicit-def: $vgpr5
	s_and_saveexec_b32 s61, vcc_lo
	s_delay_alu instid0(SALU_CYCLE_1)
	s_xor_b32 s61, exec_lo, s61
	s_cbranch_execz .LBB63_2874
; %bb.1474:
	v_bfe_u32 v5, v1, 21, 1
	s_mov_b32 s60, exec_lo
	s_delay_alu instid0(VALU_DEP_1) | instskip(NEXT) | instid1(VALU_DEP_1)
	v_add3_u32 v5, v1, v5, 0x88fffff
	v_lshrrev_b32_e32 v5, 21, v5
	s_and_not1_saveexec_b32 s61, s61
	s_cbranch_execnz .LBB63_2875
.LBB63_1475:
	s_or_b32 exec_lo, exec_lo, s61
	v_mov_b32_e32 v6, 0
	s_and_saveexec_b32 s61, s60
.LBB63_1476:
	v_lshrrev_b32_e32 v1, 24, v1
	s_delay_alu instid0(VALU_DEP_1)
	v_and_or_b32 v6, 0x80, v1, v5
.LBB63_1477:
	s_or_b32 exec_lo, exec_lo, s61
.LBB63_1478:
	s_delay_alu instid0(SALU_CYCLE_1)
	s_or_b32 exec_lo, exec_lo, s59
	s_mov_b32 s59, 0
	global_store_b8 v[2:3], v6, off
.LBB63_1479:
	s_and_b32 vcc_lo, exec_lo, s59
	s_cbranch_vccz .LBB63_1489
; %bb.1480:
	s_wait_xcnt 0x0
	v_cvt_f32_i32_e32 v1, v4
	s_mov_b32 s59, exec_lo
                                        ; implicit-def: $vgpr5
	s_delay_alu instid0(VALU_DEP_1) | instskip(NEXT) | instid1(VALU_DEP_1)
	v_and_b32_e32 v6, 0x7fffffff, v1
	v_cmpx_gt_u32_e32 0x43f00000, v6
	s_xor_b32 s59, exec_lo, s59
	s_cbranch_execz .LBB63_1486
; %bb.1481:
	s_mov_b32 s60, exec_lo
                                        ; implicit-def: $vgpr5
	v_cmpx_lt_u32_e32 0x3c7fffff, v6
	s_xor_b32 s60, exec_lo, s60
; %bb.1482:
	v_bfe_u32 v5, v1, 20, 1
	s_delay_alu instid0(VALU_DEP_1) | instskip(NEXT) | instid1(VALU_DEP_1)
	v_add3_u32 v5, v1, v5, 0x407ffff
	v_and_b32_e32 v6, 0xff00000, v5
	v_lshrrev_b32_e32 v5, 20, v5
	s_delay_alu instid0(VALU_DEP_2) | instskip(NEXT) | instid1(VALU_DEP_2)
	v_cmp_ne_u32_e32 vcc_lo, 0x7f00000, v6
	v_cndmask_b32_e32 v5, 0x7e, v5, vcc_lo
; %bb.1483:
	s_and_not1_saveexec_b32 s60, s60
; %bb.1484:
	v_add_f32_e64 v5, 0x46800000, |v1|
; %bb.1485:
	s_or_b32 exec_lo, exec_lo, s60
                                        ; implicit-def: $vgpr6
.LBB63_1486:
	s_and_not1_saveexec_b32 s59, s59
; %bb.1487:
	v_mov_b32_e32 v5, 0x7f
	v_cmp_lt_u32_e32 vcc_lo, 0x7f800000, v6
	s_delay_alu instid0(VALU_DEP_2)
	v_cndmask_b32_e32 v5, 0x7e, v5, vcc_lo
; %bb.1488:
	s_or_b32 exec_lo, exec_lo, s59
	v_lshrrev_b32_e32 v1, 24, v1
	s_delay_alu instid0(VALU_DEP_1)
	v_and_or_b32 v1, 0x80, v1, v5
	global_store_b8 v[2:3], v1, off
.LBB63_1489:
	s_mov_b32 s59, 0
.LBB63_1490:
	s_delay_alu instid0(SALU_CYCLE_1)
	s_and_not1_b32 vcc_lo, exec_lo, s59
	s_cbranch_vccnz .LBB63_1500
; %bb.1491:
	s_wait_xcnt 0x0
	v_cvt_f32_i32_e32 v1, v4
	s_mov_b32 s59, exec_lo
                                        ; implicit-def: $vgpr5
	s_delay_alu instid0(VALU_DEP_1) | instskip(NEXT) | instid1(VALU_DEP_1)
	v_and_b32_e32 v6, 0x7fffffff, v1
	v_cmpx_gt_u32_e32 0x47800000, v6
	s_xor_b32 s59, exec_lo, s59
	s_cbranch_execz .LBB63_1497
; %bb.1492:
	s_mov_b32 s60, exec_lo
                                        ; implicit-def: $vgpr5
	v_cmpx_lt_u32_e32 0x387fffff, v6
	s_xor_b32 s60, exec_lo, s60
; %bb.1493:
	v_bfe_u32 v5, v1, 21, 1
	s_delay_alu instid0(VALU_DEP_1) | instskip(NEXT) | instid1(VALU_DEP_1)
	v_add3_u32 v5, v1, v5, 0x80fffff
	v_lshrrev_b32_e32 v5, 21, v5
; %bb.1494:
	s_and_not1_saveexec_b32 s60, s60
; %bb.1495:
	v_add_f32_e64 v5, 0x43000000, |v1|
; %bb.1496:
	s_or_b32 exec_lo, exec_lo, s60
                                        ; implicit-def: $vgpr6
.LBB63_1497:
	s_and_not1_saveexec_b32 s59, s59
; %bb.1498:
	v_mov_b32_e32 v5, 0x7f
	v_cmp_lt_u32_e32 vcc_lo, 0x7f800000, v6
	s_delay_alu instid0(VALU_DEP_2)
	v_cndmask_b32_e32 v5, 0x7c, v5, vcc_lo
; %bb.1499:
	s_or_b32 exec_lo, exec_lo, s59
	v_lshrrev_b32_e32 v1, 24, v1
	s_delay_alu instid0(VALU_DEP_1)
	v_and_or_b32 v1, 0x80, v1, v5
	global_store_b8 v[2:3], v1, off
.LBB63_1500:
	s_mov_b32 s60, 0
	s_mov_b32 s59, -1
.LBB63_1501:
	s_and_not1_b32 vcc_lo, exec_lo, s60
	s_cbranch_vccnz .LBB63_1509
; %bb.1502:
	s_cmp_gt_i32 s58, 14
	s_mov_b32 s60, -1
	s_cbranch_scc0 .LBB63_1506
; %bb.1503:
	s_cmp_eq_u32 s58, 15
	s_mov_b32 s0, -1
	s_cbranch_scc0 .LBB63_1505
; %bb.1504:
	s_wait_xcnt 0x0
	v_cvt_f32_i32_e32 v1, v4
	s_mov_b32 s59, -1
	s_mov_b32 s0, 0
	s_delay_alu instid0(VALU_DEP_1) | instskip(NEXT) | instid1(VALU_DEP_1)
	v_bfe_u32 v5, v1, 16, 1
	v_add3_u32 v1, v1, v5, 0x7fff
	global_store_d16_hi_b16 v[2:3], v1, off
.LBB63_1505:
	s_mov_b32 s60, 0
.LBB63_1506:
	s_delay_alu instid0(SALU_CYCLE_1)
	s_and_b32 vcc_lo, exec_lo, s60
	s_cbranch_vccz .LBB63_1509
; %bb.1507:
	s_cmp_eq_u32 s58, 11
	s_mov_b32 s0, -1
	s_cbranch_scc0 .LBB63_1509
; %bb.1508:
	v_cmp_ne_u32_e32 vcc_lo, 0, v4
	s_mov_b32 s0, 0
	s_mov_b32 s59, -1
	s_wait_xcnt 0x0
	v_cndmask_b32_e64 v1, 0, 1, vcc_lo
	global_store_b8 v[2:3], v1, off
.LBB63_1509:
	s_mov_b32 s58, 0
.LBB63_1510:
	s_delay_alu instid0(SALU_CYCLE_1)
	s_and_b32 vcc_lo, exec_lo, s58
	s_cbranch_vccz .LBB63_1549
; %bb.1511:
	s_and_b32 s37, 0xffff, s37
	s_mov_b32 s58, -1
	s_cmp_lt_i32 s37, 5
	s_cbranch_scc1 .LBB63_1532
; %bb.1512:
	s_cmp_lt_i32 s37, 8
	s_cbranch_scc1 .LBB63_1522
; %bb.1513:
	s_cmp_lt_i32 s37, 9
	s_cbranch_scc1 .LBB63_1519
; %bb.1514:
	s_cmp_gt_i32 s37, 9
	s_cbranch_scc0 .LBB63_1516
; %bb.1515:
	s_wait_xcnt 0x0
	v_cvt_f64_i32_e32 v[6:7], v4
	v_mov_b32_e32 v8, 0
	s_mov_b32 s58, 0
	s_delay_alu instid0(VALU_DEP_1)
	v_mov_b32_e32 v9, v8
	global_store_b128 v[2:3], v[6:9], off
.LBB63_1516:
	s_and_not1_b32 vcc_lo, exec_lo, s58
	s_cbranch_vccnz .LBB63_1518
; %bb.1517:
	s_wait_xcnt 0x0
	v_cvt_f32_i32_e32 v6, v4
	v_mov_b32_e32 v7, 0
	global_store_b64 v[2:3], v[6:7], off
.LBB63_1518:
	s_mov_b32 s58, 0
.LBB63_1519:
	s_delay_alu instid0(SALU_CYCLE_1)
	s_and_not1_b32 vcc_lo, exec_lo, s58
	s_cbranch_vccnz .LBB63_1521
; %bb.1520:
	s_wait_xcnt 0x0
	v_cvt_f32_i32_e32 v1, v4
	s_delay_alu instid0(VALU_DEP_1) | instskip(NEXT) | instid1(VALU_DEP_1)
	v_cvt_f16_f32_e32 v1, v1
	v_and_b32_e32 v1, 0xffff, v1
	global_store_b32 v[2:3], v1, off
.LBB63_1521:
	s_mov_b32 s58, 0
.LBB63_1522:
	s_delay_alu instid0(SALU_CYCLE_1)
	s_and_not1_b32 vcc_lo, exec_lo, s58
	s_cbranch_vccnz .LBB63_1531
; %bb.1523:
	s_cmp_lt_i32 s37, 6
	s_mov_b32 s58, -1
	s_cbranch_scc1 .LBB63_1529
; %bb.1524:
	s_cmp_gt_i32 s37, 6
	s_cbranch_scc0 .LBB63_1526
; %bb.1525:
	s_wait_xcnt 0x0
	v_cvt_f64_i32_e32 v[6:7], v4
	s_mov_b32 s58, 0
	global_store_b64 v[2:3], v[6:7], off
.LBB63_1526:
	s_and_not1_b32 vcc_lo, exec_lo, s58
	s_cbranch_vccnz .LBB63_1528
; %bb.1527:
	s_wait_xcnt 0x0
	v_cvt_f32_i32_e32 v1, v4
	global_store_b32 v[2:3], v1, off
.LBB63_1528:
	s_mov_b32 s58, 0
.LBB63_1529:
	s_delay_alu instid0(SALU_CYCLE_1)
	s_and_not1_b32 vcc_lo, exec_lo, s58
	s_cbranch_vccnz .LBB63_1531
; %bb.1530:
	s_wait_xcnt 0x0
	v_cvt_f32_i32_e32 v1, v4
	s_delay_alu instid0(VALU_DEP_1)
	v_cvt_f16_f32_e32 v1, v1
	global_store_b16 v[2:3], v1, off
.LBB63_1531:
	s_mov_b32 s58, 0
.LBB63_1532:
	s_delay_alu instid0(SALU_CYCLE_1)
	s_and_not1_b32 vcc_lo, exec_lo, s58
	s_cbranch_vccnz .LBB63_1548
; %bb.1533:
	s_cmp_lt_i32 s37, 2
	s_mov_b32 s58, -1
	s_cbranch_scc1 .LBB63_1543
; %bb.1534:
	s_cmp_lt_i32 s37, 3
	s_cbranch_scc1 .LBB63_1540
; %bb.1535:
	s_cmp_gt_i32 s37, 3
	s_cbranch_scc0 .LBB63_1537
; %bb.1536:
	s_wait_xcnt 0x0
	v_ashrrev_i32_e32 v5, 31, v4
	s_mov_b32 s58, 0
	global_store_b64 v[2:3], v[4:5], off
.LBB63_1537:
	s_and_not1_b32 vcc_lo, exec_lo, s58
	s_cbranch_vccnz .LBB63_1539
; %bb.1538:
	global_store_b32 v[2:3], v4, off
.LBB63_1539:
	s_mov_b32 s58, 0
.LBB63_1540:
	s_delay_alu instid0(SALU_CYCLE_1)
	s_and_not1_b32 vcc_lo, exec_lo, s58
	s_cbranch_vccnz .LBB63_1542
; %bb.1541:
	global_store_b16 v[2:3], v4, off
.LBB63_1542:
	s_mov_b32 s58, 0
.LBB63_1543:
	s_delay_alu instid0(SALU_CYCLE_1)
	s_and_not1_b32 vcc_lo, exec_lo, s58
	s_cbranch_vccnz .LBB63_1548
; %bb.1544:
	s_cmp_gt_i32 s37, 0
	s_mov_b32 s37, -1
	s_cbranch_scc0 .LBB63_1546
; %bb.1545:
	s_mov_b32 s37, 0
	global_store_b8 v[2:3], v4, off
.LBB63_1546:
	s_and_not1_b32 vcc_lo, exec_lo, s37
	s_cbranch_vccnz .LBB63_1548
; %bb.1547:
	global_store_b8 v[2:3], v4, off
.LBB63_1548:
	s_mov_b32 s59, -1
.LBB63_1549:
	s_delay_alu instid0(SALU_CYCLE_1)
	s_and_not1_b32 vcc_lo, exec_lo, s59
	s_cbranch_vccnz .LBB63_1551
; %bb.1550:
	v_add_nc_u32_e32 v0, 0x80, v0
	s_mov_b32 s37, -1
	s_branch .LBB63_1553
.LBB63_1551:
	s_mov_b32 s37, 0
.LBB63_1552:
                                        ; implicit-def: $vgpr0
.LBB63_1553:
	s_and_not1_b32 s58, s53, exec_lo
	s_and_b32 s0, s0, exec_lo
	s_and_not1_b32 s59, s54, exec_lo
	s_and_b32 s36, s36, exec_lo
	s_or_b32 s61, s58, s0
	s_or_b32 s59, s59, s36
	s_and_not1_b32 s0, s55, exec_lo
	s_and_b32 s35, s35, exec_lo
	s_and_not1_b32 s36, s52, exec_lo
	s_and_b32 s34, s34, exec_lo
	s_or_b32 s60, s0, s35
	s_or_b32 s58, s36, s34
	s_or_not1_b32 s37, s37, exec_lo
.LBB63_1554:
	s_wait_xcnt 0x0
	s_or_b32 exec_lo, exec_lo, s57
	s_mov_b32 s35, 0
	s_mov_b32 s36, 0
	;; [unrolled: 1-line block ×3, first 2 shown]
                                        ; implicit-def: $sgpr0
                                        ; implicit-def: $vgpr8_vgpr9
                                        ; implicit-def: $vgpr2
                                        ; implicit-def: $vgpr4
                                        ; implicit-def: $vgpr6
                                        ; implicit-def: $vgpr3
	s_and_saveexec_b32 s57, s37
	s_cbranch_execz .LBB63_1643
; %bb.1555:
	v_cmp_gt_i32_e32 vcc_lo, s46, v0
	s_mov_b32 s37, s58
                                        ; implicit-def: $sgpr0
                                        ; implicit-def: $vgpr8_vgpr9
                                        ; implicit-def: $vgpr2
                                        ; implicit-def: $vgpr4
                                        ; implicit-def: $vgpr6
                                        ; implicit-def: $vgpr3
	s_and_saveexec_b32 s46, vcc_lo
	s_cbranch_execz .LBB63_1642
; %bb.1556:
	s_and_not1_b32 vcc_lo, exec_lo, s39
	s_cbranch_vccnz .LBB63_1562
; %bb.1557:
	s_and_not1_b32 vcc_lo, exec_lo, s47
	s_cbranch_vccnz .LBB63_1563
; %bb.1558:
	s_wait_loadcnt 0x0
	v_dual_mov_b32 v6, 0 :: v_dual_mov_b32 v1, v0
	v_dual_mov_b32 v4, 0 :: v_dual_mov_b32 v2, 0
	v_mov_b32_e32 v8, 0
	s_add_co_i32 s0, s45, 1
	s_mov_b64 s[34:35], 0xffffffffffffffe0
	s_and_b32 s0, s0, 30
	s_add_nc_u64 s[34:35], s[2:3], s[34:35]
	s_mov_b64 s[36:37], s[2:3]
.LBB63_1559:                            ; =>This Inner Loop Header: Depth=1
	s_clause 0x1
	s_load_b128 s[72:75], s[36:37], 0x4
	s_load_b64 s[62:63], s[36:37], 0x14
	s_load_b256 s[64:71], s[34:35], 0xe4
	s_add_co_i32 s0, s0, -2
	s_wait_xcnt 0x0
	s_add_nc_u64 s[36:37], s[36:37], 24
	s_cmp_eq_u32 s0, 0
	s_add_nc_u64 s[34:35], s[34:35], 32
	s_wait_kmcnt 0x0
	v_mul_hi_u32 v3, s73, v1
	s_delay_alu instid0(VALU_DEP_1) | instskip(NEXT) | instid1(VALU_DEP_1)
	v_add_nc_u32_e32 v3, v1, v3
	v_lshrrev_b32_e32 v3, s74, v3
	s_delay_alu instid0(VALU_DEP_1) | instskip(SKIP_1) | instid1(VALU_DEP_1)
	v_mul_hi_u32 v5, s62, v3
	v_mul_lo_u32 v7, v3, s72
	v_dual_add_nc_u32 v5, v3, v5 :: v_dual_sub_nc_u32 v7, v1, v7
	s_delay_alu instid0(VALU_DEP_1) | instskip(NEXT) | instid1(VALU_DEP_2)
	v_lshrrev_b32_e32 v1, s63, v5
	v_mad_u32 v8, v7, s65, v8
	v_mad_u32 v2, v7, s64, v2
	;; [unrolled: 1-line block ×4, first 2 shown]
	v_mul_lo_u32 v5, v1, s75
	s_delay_alu instid0(VALU_DEP_1) | instskip(NEXT) | instid1(VALU_DEP_1)
	v_sub_nc_u32_e32 v3, v3, v5
	v_mad_u32 v8, v3, s69, v8
	v_mad_u32 v2, v3, s68, v2
	;; [unrolled: 1-line block ×4, first 2 shown]
	s_cbranch_scc0 .LBB63_1559
; %bb.1560:
	s_bitcmp1_b32 s45, 0
	s_cselect_b32 s0, -1, 0
	s_delay_alu instid0(SALU_CYCLE_1)
	s_and_b32 vcc_lo, exec_lo, s0
	s_cbranch_vccnz .LBB63_1564
; %bb.1561:
	s_load_b96 s[68:70], s[36:37], 0x4
	s_load_b128 s[64:67], s[34:35], 0xe4
	s_wait_kmcnt 0x0
	v_mul_hi_u32 v3, s69, v1
	s_delay_alu instid0(VALU_DEP_1) | instskip(NEXT) | instid1(VALU_DEP_1)
	v_add_nc_u32_e32 v3, v1, v3
	v_lshrrev_b32_e32 v3, s70, v3
	s_delay_alu instid0(VALU_DEP_1) | instskip(NEXT) | instid1(VALU_DEP_1)
	v_mul_lo_u32 v3, v3, s68
	v_sub_nc_u32_e32 v1, v1, v3
	s_delay_alu instid0(VALU_DEP_1)
	v_mad_u32 v2, v1, s64, v2
	v_mad_u32 v8, v1, s65, v8
	;; [unrolled: 1-line block ×4, first 2 shown]
	s_branch .LBB63_1564
.LBB63_1562:
	s_mov_b32 s0, -1
                                        ; implicit-def: $vgpr8
                                        ; implicit-def: $vgpr2
                                        ; implicit-def: $vgpr4
                                        ; implicit-def: $vgpr6
	s_branch .LBB63_1565
.LBB63_1563:
	v_dual_mov_b32 v8, 0 :: v_dual_mov_b32 v2, 0
	s_wait_loadcnt 0x0
	v_dual_mov_b32 v4, 0 :: v_dual_mov_b32 v6, 0
.LBB63_1564:
	s_mov_b32 s0, 0
.LBB63_1565:
	s_delay_alu instid0(SALU_CYCLE_1)
	s_and_not1_b32 vcc_lo, exec_lo, s0
	s_cbranch_vccnz .LBB63_1568
; %bb.1566:
	s_wait_loadcnt 0x0
	v_mov_b32_e32 v1, 0
	s_and_not1_b32 vcc_lo, exec_lo, s43
	s_delay_alu instid0(VALU_DEP_1) | instskip(NEXT) | instid1(VALU_DEP_1)
	v_mul_u64_e32 v[2:3], s[28:29], v[0:1]
	v_add_nc_u32_e32 v2, v0, v3
	s_delay_alu instid0(VALU_DEP_1) | instskip(NEXT) | instid1(VALU_DEP_1)
	v_lshrrev_b32_e32 v10, s22, v2
	v_mul_lo_u32 v2, v10, s20
	s_delay_alu instid0(VALU_DEP_1) | instskip(NEXT) | instid1(VALU_DEP_1)
	v_sub_nc_u32_e32 v0, v0, v2
	v_mul_lo_u32 v8, v0, s13
	v_mul_lo_u32 v2, v0, s12
	;; [unrolled: 1-line block ×4, first 2 shown]
	s_cbranch_vccnz .LBB63_1568
; %bb.1567:
	v_mov_b32_e32 v11, v1
	s_delay_alu instid0(VALU_DEP_1) | instskip(NEXT) | instid1(VALU_DEP_1)
	v_mul_u64_e32 v[0:1], s[30:31], v[10:11]
	v_add_nc_u32_e32 v0, v10, v1
	s_delay_alu instid0(VALU_DEP_1) | instskip(NEXT) | instid1(VALU_DEP_1)
	v_lshrrev_b32_e32 v0, s1, v0
	v_mul_lo_u32 v0, v0, s23
	s_delay_alu instid0(VALU_DEP_1) | instskip(NEXT) | instid1(VALU_DEP_1)
	v_sub_nc_u32_e32 v0, v10, v0
	v_mad_u32 v2, v0, s16, v2
	v_mad_u32 v8, v0, s17, v8
	;; [unrolled: 1-line block ×4, first 2 shown]
.LBB63_1568:
	v_mov_b32_e32 v9, 0
	s_and_b32 s0, s42, 0xff
	s_delay_alu instid0(SALU_CYCLE_1) | instskip(NEXT) | instid1(VALU_DEP_1)
	s_cmp_lt_i32 s0, 11
	v_add_nc_u64_e32 v[8:9], s[6:7], v[8:9]
	s_cbranch_scc1 .LBB63_1575
; %bb.1569:
	s_and_b32 s6, 0xffff, s0
	s_mov_b32 s7, 0
	s_cmp_gt_i32 s6, 25
	s_cbranch_scc0 .LBB63_1576
; %bb.1570:
	s_cmp_gt_i32 s6, 28
	s_cbranch_scc0 .LBB63_1577
; %bb.1571:
	;; [unrolled: 3-line block ×4, first 2 shown]
	s_cmp_eq_u32 s6, 46
	s_mov_b32 s13, 0
	s_cbranch_scc0 .LBB63_1580
; %bb.1574:
	global_load_b32 v0, v[8:9], off
	s_mov_b32 s1, 0
	s_mov_b32 s12, -1
	s_wait_loadcnt 0x0
	v_lshlrev_b32_e32 v0, 16, v0
	s_delay_alu instid0(VALU_DEP_1)
	v_cvt_i32_f32_e32 v3, v0
	s_branch .LBB63_1582
.LBB63_1575:
	s_mov_b32 s6, -1
	s_mov_b32 s12, 0
	s_mov_b32 s7, 0
	;; [unrolled: 1-line block ×3, first 2 shown]
                                        ; implicit-def: $vgpr3
	s_branch .LBB63_1641
.LBB63_1576:
	s_mov_b32 s13, -1
	s_mov_b32 s12, 0
	s_mov_b32 s1, s58
                                        ; implicit-def: $vgpr3
	s_branch .LBB63_1609
.LBB63_1577:
	s_mov_b32 s13, -1
	s_mov_b32 s12, 0
	s_mov_b32 s1, s58
                                        ; implicit-def: $vgpr3
	s_branch .LBB63_1592
.LBB63_1578:
	s_mov_b32 s13, -1
	s_mov_b32 s12, 0
	s_mov_b32 s1, s58
                                        ; implicit-def: $vgpr3
	s_branch .LBB63_1587
.LBB63_1579:
	s_mov_b32 s13, -1
	s_mov_b32 s12, 0
	s_mov_b32 s1, s58
	s_branch .LBB63_1581
.LBB63_1580:
	s_mov_b32 s1, -1
	s_mov_b32 s12, 0
.LBB63_1581:
                                        ; implicit-def: $vgpr3
.LBB63_1582:
	s_and_b32 vcc_lo, exec_lo, s13
	s_cbranch_vccz .LBB63_1586
; %bb.1583:
	s_cmp_eq_u32 s6, 44
	s_cbranch_scc0 .LBB63_1585
; %bb.1584:
	global_load_u8 v0, v[8:9], off
	s_mov_b32 s1, 0
	s_mov_b32 s12, -1
	s_wait_loadcnt 0x0
	v_lshlrev_b32_e32 v1, 23, v0
	v_cmp_ne_u32_e32 vcc_lo, 0, v0
	s_delay_alu instid0(VALU_DEP_2) | instskip(NEXT) | instid1(VALU_DEP_1)
	v_cvt_i32_f32_e32 v1, v1
	v_cndmask_b32_e32 v3, 0, v1, vcc_lo
	s_branch .LBB63_1586
.LBB63_1585:
	s_mov_b32 s1, -1
                                        ; implicit-def: $vgpr3
.LBB63_1586:
	s_mov_b32 s13, 0
.LBB63_1587:
	s_delay_alu instid0(SALU_CYCLE_1)
	s_and_b32 vcc_lo, exec_lo, s13
	s_cbranch_vccz .LBB63_1591
; %bb.1588:
	s_cmp_eq_u32 s6, 29
	s_cbranch_scc0 .LBB63_1590
; %bb.1589:
	s_wait_loadcnt 0x0
	global_load_b32 v3, v[8:9], off
	s_mov_b32 s1, 0
	s_mov_b32 s12, -1
	s_branch .LBB63_1591
.LBB63_1590:
	s_mov_b32 s1, -1
                                        ; implicit-def: $vgpr3
.LBB63_1591:
	s_mov_b32 s13, 0
.LBB63_1592:
	s_delay_alu instid0(SALU_CYCLE_1)
	s_and_b32 vcc_lo, exec_lo, s13
	s_cbranch_vccz .LBB63_1608
; %bb.1593:
	s_cmp_lt_i32 s6, 27
	s_cbranch_scc1 .LBB63_1596
; %bb.1594:
	s_cmp_gt_i32 s6, 27
	s_cbranch_scc0 .LBB63_1597
; %bb.1595:
	s_wait_loadcnt 0x0
	global_load_b32 v3, v[8:9], off
	s_mov_b32 s12, 0
	s_branch .LBB63_1598
.LBB63_1596:
	s_mov_b32 s12, -1
                                        ; implicit-def: $vgpr3
	s_branch .LBB63_1601
.LBB63_1597:
	s_mov_b32 s12, -1
                                        ; implicit-def: $vgpr3
.LBB63_1598:
	s_delay_alu instid0(SALU_CYCLE_1)
	s_and_not1_b32 vcc_lo, exec_lo, s12
	s_cbranch_vccnz .LBB63_1600
; %bb.1599:
	s_wait_loadcnt 0x0
	global_load_u16 v3, v[8:9], off
.LBB63_1600:
	s_mov_b32 s12, 0
.LBB63_1601:
	s_delay_alu instid0(SALU_CYCLE_1)
	s_and_not1_b32 vcc_lo, exec_lo, s12
	s_cbranch_vccnz .LBB63_1607
; %bb.1602:
	global_load_u8 v0, v[8:9], off
	s_mov_b32 s13, 0
	s_mov_b32 s12, exec_lo
	s_wait_loadcnt 0x0
	v_cmpx_lt_i16_e32 0x7f, v0
	s_xor_b32 s12, exec_lo, s12
	s_cbranch_execz .LBB63_1619
; %bb.1603:
	v_cmp_ne_u16_e32 vcc_lo, 0x80, v0
	s_and_b32 s13, vcc_lo, exec_lo
	s_and_not1_saveexec_b32 s12, s12
	s_cbranch_execnz .LBB63_1620
.LBB63_1604:
	s_or_b32 exec_lo, exec_lo, s12
	v_mov_b32_e32 v3, 0
	s_and_saveexec_b32 s12, s13
	s_cbranch_execz .LBB63_1606
.LBB63_1605:
	v_and_b32_e32 v1, 0xffff, v0
	s_delay_alu instid0(VALU_DEP_1) | instskip(SKIP_1) | instid1(VALU_DEP_2)
	v_dual_lshlrev_b32 v0, 24, v0 :: v_dual_bitop2_b32 v3, 7, v1 bitop3:0x40
	v_bfe_u32 v10, v1, 3, 4
	v_and_b32_e32 v0, 0x80000000, v0
	s_delay_alu instid0(VALU_DEP_3) | instskip(NEXT) | instid1(VALU_DEP_3)
	v_clz_i32_u32_e32 v5, v3
	v_cmp_eq_u32_e32 vcc_lo, 0, v10
	s_delay_alu instid0(VALU_DEP_2) | instskip(NEXT) | instid1(VALU_DEP_1)
	v_min_u32_e32 v5, 32, v5
	v_subrev_nc_u32_e32 v7, 28, v5
	v_sub_nc_u32_e32 v5, 29, v5
	s_delay_alu instid0(VALU_DEP_2) | instskip(NEXT) | instid1(VALU_DEP_2)
	v_lshlrev_b32_e32 v1, v7, v1
	v_cndmask_b32_e32 v5, v10, v5, vcc_lo
	s_delay_alu instid0(VALU_DEP_2) | instskip(NEXT) | instid1(VALU_DEP_1)
	v_and_b32_e32 v1, 7, v1
	v_cndmask_b32_e32 v1, v3, v1, vcc_lo
	s_delay_alu instid0(VALU_DEP_3) | instskip(NEXT) | instid1(VALU_DEP_2)
	v_lshl_add_u32 v3, v5, 23, 0x3b800000
	v_lshlrev_b32_e32 v1, 20, v1
	s_delay_alu instid0(VALU_DEP_1) | instskip(NEXT) | instid1(VALU_DEP_1)
	v_or3_b32 v0, v0, v3, v1
	v_cvt_i32_f32_e32 v3, v0
.LBB63_1606:
	s_or_b32 exec_lo, exec_lo, s12
.LBB63_1607:
	s_mov_b32 s12, -1
.LBB63_1608:
	s_mov_b32 s13, 0
.LBB63_1609:
	s_delay_alu instid0(SALU_CYCLE_1)
	s_and_b32 vcc_lo, exec_lo, s13
	s_cbranch_vccz .LBB63_1640
; %bb.1610:
	s_cmp_gt_i32 s6, 22
	s_cbranch_scc0 .LBB63_1618
; %bb.1611:
	s_cmp_lt_i32 s6, 24
	s_cbranch_scc1 .LBB63_1621
; %bb.1612:
	s_cmp_gt_i32 s6, 24
	s_cbranch_scc0 .LBB63_1622
; %bb.1613:
	global_load_u8 v0, v[8:9], off
	s_mov_b32 s12, 0
	s_mov_b32 s7, exec_lo
	s_wait_loadcnt 0x0
	v_cmpx_lt_i16_e32 0x7f, v0
	s_xor_b32 s7, exec_lo, s7
	s_cbranch_execz .LBB63_1634
; %bb.1614:
	v_cmp_ne_u16_e32 vcc_lo, 0x80, v0
	s_and_b32 s12, vcc_lo, exec_lo
	s_and_not1_saveexec_b32 s7, s7
	s_cbranch_execnz .LBB63_1635
.LBB63_1615:
	s_or_b32 exec_lo, exec_lo, s7
	v_mov_b32_e32 v3, 0
	s_and_saveexec_b32 s7, s12
	s_cbranch_execz .LBB63_1617
.LBB63_1616:
	v_and_b32_e32 v1, 0xffff, v0
	s_delay_alu instid0(VALU_DEP_1) | instskip(SKIP_1) | instid1(VALU_DEP_2)
	v_dual_lshlrev_b32 v0, 24, v0 :: v_dual_bitop2_b32 v3, 3, v1 bitop3:0x40
	v_bfe_u32 v10, v1, 2, 5
	v_and_b32_e32 v0, 0x80000000, v0
	s_delay_alu instid0(VALU_DEP_3) | instskip(NEXT) | instid1(VALU_DEP_3)
	v_clz_i32_u32_e32 v5, v3
	v_cmp_eq_u32_e32 vcc_lo, 0, v10
	s_delay_alu instid0(VALU_DEP_2) | instskip(NEXT) | instid1(VALU_DEP_1)
	v_min_u32_e32 v5, 32, v5
	v_subrev_nc_u32_e32 v7, 29, v5
	v_sub_nc_u32_e32 v5, 30, v5
	s_delay_alu instid0(VALU_DEP_2) | instskip(NEXT) | instid1(VALU_DEP_2)
	v_lshlrev_b32_e32 v1, v7, v1
	v_cndmask_b32_e32 v5, v10, v5, vcc_lo
	s_delay_alu instid0(VALU_DEP_2) | instskip(NEXT) | instid1(VALU_DEP_1)
	v_and_b32_e32 v1, 3, v1
	v_cndmask_b32_e32 v1, v3, v1, vcc_lo
	s_delay_alu instid0(VALU_DEP_3) | instskip(NEXT) | instid1(VALU_DEP_2)
	v_lshl_add_u32 v3, v5, 23, 0x37800000
	v_lshlrev_b32_e32 v1, 21, v1
	s_delay_alu instid0(VALU_DEP_1) | instskip(NEXT) | instid1(VALU_DEP_1)
	v_or3_b32 v0, v0, v3, v1
	v_cvt_i32_f32_e32 v3, v0
.LBB63_1617:
	s_or_b32 exec_lo, exec_lo, s7
	s_mov_b32 s7, 0
	s_branch .LBB63_1623
.LBB63_1618:
	s_mov_b32 s7, -1
                                        ; implicit-def: $vgpr3
	s_branch .LBB63_1629
.LBB63_1619:
	s_and_not1_saveexec_b32 s12, s12
	s_cbranch_execz .LBB63_1604
.LBB63_1620:
	v_cmp_ne_u16_e32 vcc_lo, 0, v0
	s_and_not1_b32 s13, s13, exec_lo
	s_and_b32 s14, vcc_lo, exec_lo
	s_delay_alu instid0(SALU_CYCLE_1)
	s_or_b32 s13, s13, s14
	s_or_b32 exec_lo, exec_lo, s12
	v_mov_b32_e32 v3, 0
	s_and_saveexec_b32 s12, s13
	s_cbranch_execnz .LBB63_1605
	s_branch .LBB63_1606
.LBB63_1621:
	s_mov_b32 s7, -1
                                        ; implicit-def: $vgpr3
	s_branch .LBB63_1626
.LBB63_1622:
	s_mov_b32 s7, -1
                                        ; implicit-def: $vgpr3
.LBB63_1623:
	s_delay_alu instid0(SALU_CYCLE_1)
	s_and_b32 vcc_lo, exec_lo, s7
	s_cbranch_vccz .LBB63_1625
; %bb.1624:
	global_load_u8 v0, v[8:9], off
	s_wait_loadcnt 0x0
	v_lshlrev_b32_e32 v0, 24, v0
	s_delay_alu instid0(VALU_DEP_1) | instskip(NEXT) | instid1(VALU_DEP_1)
	v_and_b32_e32 v1, 0x7f000000, v0
	v_clz_i32_u32_e32 v3, v1
	v_add_nc_u32_e32 v7, 0x1000000, v1
	v_cmp_ne_u32_e32 vcc_lo, 0, v1
	s_delay_alu instid0(VALU_DEP_3) | instskip(NEXT) | instid1(VALU_DEP_1)
	v_min_u32_e32 v3, 32, v3
	v_sub_nc_u32_e64 v3, v3, 4 clamp
	s_delay_alu instid0(VALU_DEP_1) | instskip(NEXT) | instid1(VALU_DEP_1)
	v_dual_lshlrev_b32 v5, v3, v1 :: v_dual_lshlrev_b32 v3, 23, v3
	v_lshrrev_b32_e32 v5, 4, v5
	s_delay_alu instid0(VALU_DEP_1) | instskip(SKIP_1) | instid1(VALU_DEP_2)
	v_sub_nc_u32_e32 v3, v5, v3
	v_ashrrev_i32_e32 v5, 8, v7
	v_add_nc_u32_e32 v3, 0x3c000000, v3
	s_delay_alu instid0(VALU_DEP_1) | instskip(NEXT) | instid1(VALU_DEP_1)
	v_and_or_b32 v3, 0x7f800000, v5, v3
	v_cndmask_b32_e32 v1, 0, v3, vcc_lo
	s_delay_alu instid0(VALU_DEP_1) | instskip(NEXT) | instid1(VALU_DEP_1)
	v_and_or_b32 v0, 0x80000000, v0, v1
	v_cvt_i32_f32_e32 v3, v0
.LBB63_1625:
	s_mov_b32 s7, 0
.LBB63_1626:
	s_delay_alu instid0(SALU_CYCLE_1)
	s_and_not1_b32 vcc_lo, exec_lo, s7
	s_cbranch_vccnz .LBB63_1628
; %bb.1627:
	global_load_u8 v0, v[8:9], off
	s_wait_loadcnt 0x0
	v_lshlrev_b32_e32 v1, 25, v0
	v_lshlrev_b16 v0, 8, v0
	s_delay_alu instid0(VALU_DEP_1) | instskip(SKIP_1) | instid1(VALU_DEP_2)
	v_and_or_b32 v5, 0x7f00, v0, 0.5
	v_bfe_i32 v0, v0, 0, 16
	v_add_f32_e32 v5, -0.5, v5
	v_lshrrev_b32_e32 v3, 4, v1
	v_cmp_gt_u32_e32 vcc_lo, 0x8000000, v1
	s_delay_alu instid0(VALU_DEP_2) | instskip(NEXT) | instid1(VALU_DEP_1)
	v_or_b32_e32 v3, 0x70000000, v3
	v_mul_f32_e32 v3, 0x7800000, v3
	s_delay_alu instid0(VALU_DEP_1) | instskip(NEXT) | instid1(VALU_DEP_1)
	v_cndmask_b32_e32 v1, v3, v5, vcc_lo
	v_and_or_b32 v0, 0x80000000, v0, v1
	s_delay_alu instid0(VALU_DEP_1)
	v_cvt_i32_f32_e32 v3, v0
.LBB63_1628:
	s_mov_b32 s7, 0
	s_mov_b32 s12, -1
.LBB63_1629:
	s_and_not1_b32 vcc_lo, exec_lo, s7
	s_mov_b32 s7, 0
	s_cbranch_vccnz .LBB63_1640
; %bb.1630:
	s_cmp_gt_i32 s6, 14
	s_cbranch_scc0 .LBB63_1633
; %bb.1631:
	s_cmp_eq_u32 s6, 15
	s_cbranch_scc0 .LBB63_1636
; %bb.1632:
	global_load_u16 v0, v[8:9], off
	s_mov_b32 s1, 0
	s_mov_b32 s12, -1
	s_wait_loadcnt 0x0
	v_lshlrev_b32_e32 v0, 16, v0
	s_delay_alu instid0(VALU_DEP_1)
	v_cvt_i32_f32_e32 v3, v0
	s_branch .LBB63_1638
.LBB63_1633:
	s_mov_b32 s7, -1
	s_branch .LBB63_1637
.LBB63_1634:
	s_and_not1_saveexec_b32 s7, s7
	s_cbranch_execz .LBB63_1615
.LBB63_1635:
	v_cmp_ne_u16_e32 vcc_lo, 0, v0
	s_and_not1_b32 s12, s12, exec_lo
	s_and_b32 s13, vcc_lo, exec_lo
	s_delay_alu instid0(SALU_CYCLE_1)
	s_or_b32 s12, s12, s13
	s_or_b32 exec_lo, exec_lo, s7
	v_mov_b32_e32 v3, 0
	s_and_saveexec_b32 s7, s12
	s_cbranch_execnz .LBB63_1616
	s_branch .LBB63_1617
.LBB63_1636:
	s_mov_b32 s1, -1
.LBB63_1637:
                                        ; implicit-def: $vgpr3
.LBB63_1638:
	s_and_b32 vcc_lo, exec_lo, s7
	s_mov_b32 s7, 0
	s_cbranch_vccz .LBB63_1640
; %bb.1639:
	s_cmp_lg_u32 s6, 11
	s_mov_b32 s7, -1
	s_cselect_b32 s6, -1, 0
	s_and_not1_b32 s1, s1, exec_lo
	s_and_b32 s6, s6, exec_lo
	s_delay_alu instid0(SALU_CYCLE_1)
	s_or_b32 s1, s1, s6
.LBB63_1640:
	s_mov_b32 s6, 0
.LBB63_1641:
	s_delay_alu instid0(SALU_CYCLE_1)
	s_and_b32 s36, s6, exec_lo
	s_and_not1_b32 s6, s58, exec_lo
	s_and_b32 s1, s1, exec_lo
	s_and_b32 s34, s12, exec_lo
	;; [unrolled: 1-line block ×3, first 2 shown]
	s_or_b32 s37, s6, s1
.LBB63_1642:
	s_wait_xcnt 0x0
	s_or_b32 exec_lo, exec_lo, s46
	s_delay_alu instid0(SALU_CYCLE_1)
	s_and_not1_b32 s1, s58, exec_lo
	s_and_b32 s6, s37, exec_lo
	s_and_b32 s34, s34, exec_lo
	;; [unrolled: 1-line block ×4, first 2 shown]
	s_or_b32 s58, s1, s6
.LBB63_1643:
	s_or_b32 exec_lo, exec_lo, s57
	s_delay_alu instid0(SALU_CYCLE_1)
	s_and_not1_b32 s1, s53, exec_lo
	s_and_b32 s6, s61, exec_lo
	s_and_not1_b32 s7, s55, exec_lo
	s_or_b32 s53, s1, s6
	s_and_not1_b32 s1, s54, exec_lo
	s_and_b32 s6, s59, exec_lo
	s_and_b32 s12, s60, exec_lo
	s_or_b32 s54, s1, s6
	s_and_not1_b32 s1, s52, exec_lo
	s_and_b32 s6, s58, exec_lo
	s_or_b32 s55, s7, s12
	s_and_b32 s34, s34, exec_lo
	s_and_b32 s36, s36, exec_lo
	;; [unrolled: 1-line block ×3, first 2 shown]
	s_or_b32 s52, s1, s6
.LBB63_1644:
	s_or_b32 exec_lo, exec_lo, s56
	s_delay_alu instid0(SALU_CYCLE_1)
	s_and_not1_b32 s1, s44, exec_lo
	s_and_b32 s6, s53, exec_lo
	s_and_not1_b32 s7, s49, exec_lo
	s_or_b32 s44, s1, s6
	s_and_not1_b32 s1, s48, exec_lo
	s_and_b32 s6, s54, exec_lo
	s_and_b32 s12, s55, exec_lo
	s_or_b32 s48, s1, s6
	s_and_not1_b32 s1, s50, exec_lo
	s_and_b32 s6, s52, exec_lo
	s_or_b32 s49, s7, s12
	s_and_b32 s34, s34, exec_lo
	s_and_b32 s36, s36, exec_lo
	;; [unrolled: 1-line block ×3, first 2 shown]
	s_or_b32 s50, s1, s6
	s_or_b32 exec_lo, exec_lo, s51
	s_mov_b32 s1, 0
	s_and_saveexec_b32 s6, s50
	s_cbranch_execz .LBB63_520
.LBB63_1645:
	s_mov_b32 s1, exec_lo
	s_and_not1_b32 s29, s29, exec_lo
	s_trap 2
	s_or_b32 exec_lo, exec_lo, s6
	s_and_saveexec_b32 s6, s29
	s_delay_alu instid0(SALU_CYCLE_1)
	s_xor_b32 s6, exec_lo, s6
	s_cbranch_execnz .LBB63_521
.LBB63_1646:
	s_or_b32 exec_lo, exec_lo, s6
	s_and_saveexec_b32 s6, s36
	s_cbranch_execz .LBB63_1692
.LBB63_1647:
	s_sext_i32_i16 s7, s0
	s_delay_alu instid0(SALU_CYCLE_1)
	s_cmp_lt_i32 s7, 5
	s_cbranch_scc1 .LBB63_1652
; %bb.1648:
	s_cmp_lt_i32 s7, 8
	s_cbranch_scc1 .LBB63_1653
; %bb.1649:
	;; [unrolled: 3-line block ×3, first 2 shown]
	s_cmp_gt_i32 s7, 9
	s_cbranch_scc0 .LBB63_1655
; %bb.1651:
	s_wait_loadcnt 0x0
	global_load_b64 v[0:1], v[8:9], off
	s_mov_b32 s7, 0
	s_wait_loadcnt 0x0
	v_cvt_i32_f64_e32 v3, v[0:1]
	s_branch .LBB63_1656
.LBB63_1652:
                                        ; implicit-def: $vgpr3
	s_branch .LBB63_1673
.LBB63_1653:
                                        ; implicit-def: $vgpr3
	s_branch .LBB63_1662
.LBB63_1654:
	s_mov_b32 s7, -1
                                        ; implicit-def: $vgpr3
	s_branch .LBB63_1659
.LBB63_1655:
	s_mov_b32 s7, -1
                                        ; implicit-def: $vgpr3
.LBB63_1656:
	s_delay_alu instid0(SALU_CYCLE_1)
	s_and_not1_b32 vcc_lo, exec_lo, s7
	s_cbranch_vccnz .LBB63_1658
; %bb.1657:
	global_load_b32 v0, v[8:9], off
	s_wait_loadcnt 0x0
	v_cvt_i32_f32_e32 v3, v0
.LBB63_1658:
	s_mov_b32 s7, 0
.LBB63_1659:
	s_delay_alu instid0(SALU_CYCLE_1)
	s_and_not1_b32 vcc_lo, exec_lo, s7
	s_cbranch_vccnz .LBB63_1661
; %bb.1660:
	global_load_b32 v0, v[8:9], off
	s_wait_loadcnt 0x0
	v_cvt_f32_f16_e32 v0, v0
	s_delay_alu instid0(VALU_DEP_1)
	v_cvt_i32_f32_e32 v3, v0
.LBB63_1661:
	s_cbranch_execnz .LBB63_1672
.LBB63_1662:
	s_sext_i32_i16 s7, s0
	s_delay_alu instid0(SALU_CYCLE_1)
	s_cmp_lt_i32 s7, 6
	s_cbranch_scc1 .LBB63_1665
; %bb.1663:
	s_cmp_gt_i32 s7, 6
	s_cbranch_scc0 .LBB63_1666
; %bb.1664:
	s_wait_loadcnt 0x0
	global_load_b64 v[0:1], v[8:9], off
	s_mov_b32 s7, 0
	s_wait_loadcnt 0x0
	v_cvt_i32_f64_e32 v3, v[0:1]
	s_branch .LBB63_1667
.LBB63_1665:
	s_mov_b32 s7, -1
                                        ; implicit-def: $vgpr3
	s_branch .LBB63_1670
.LBB63_1666:
	s_mov_b32 s7, -1
                                        ; implicit-def: $vgpr3
.LBB63_1667:
	s_delay_alu instid0(SALU_CYCLE_1)
	s_and_not1_b32 vcc_lo, exec_lo, s7
	s_cbranch_vccnz .LBB63_1669
; %bb.1668:
	global_load_b32 v0, v[8:9], off
	s_wait_loadcnt 0x0
	v_cvt_i32_f32_e32 v3, v0
.LBB63_1669:
	s_mov_b32 s7, 0
.LBB63_1670:
	s_delay_alu instid0(SALU_CYCLE_1)
	s_and_not1_b32 vcc_lo, exec_lo, s7
	s_cbranch_vccnz .LBB63_1672
; %bb.1671:
	global_load_u16 v0, v[8:9], off
	s_wait_loadcnt 0x0
	v_cvt_f32_f16_e32 v0, v0
	s_delay_alu instid0(VALU_DEP_1)
	v_cvt_i32_f32_e32 v3, v0
.LBB63_1672:
	s_cbranch_execnz .LBB63_1691
.LBB63_1673:
	s_sext_i32_i16 s7, s0
	s_delay_alu instid0(SALU_CYCLE_1)
	s_cmp_lt_i32 s7, 2
	s_cbranch_scc1 .LBB63_1677
; %bb.1674:
	s_cmp_lt_i32 s7, 3
	s_cbranch_scc1 .LBB63_1678
; %bb.1675:
	s_cmp_gt_i32 s7, 3
	s_cbranch_scc0 .LBB63_1679
; %bb.1676:
	s_wait_loadcnt 0x0
	global_load_b32 v3, v[8:9], off
	s_mov_b32 s7, 0
	s_branch .LBB63_1680
.LBB63_1677:
                                        ; implicit-def: $vgpr3
	s_branch .LBB63_1686
.LBB63_1678:
	s_mov_b32 s7, -1
                                        ; implicit-def: $vgpr3
	s_branch .LBB63_1683
.LBB63_1679:
	s_mov_b32 s7, -1
                                        ; implicit-def: $vgpr3
.LBB63_1680:
	s_delay_alu instid0(SALU_CYCLE_1)
	s_and_not1_b32 vcc_lo, exec_lo, s7
	s_cbranch_vccnz .LBB63_1682
; %bb.1681:
	s_wait_loadcnt 0x0
	global_load_b32 v3, v[8:9], off
.LBB63_1682:
	s_mov_b32 s7, 0
.LBB63_1683:
	s_delay_alu instid0(SALU_CYCLE_1)
	s_and_not1_b32 vcc_lo, exec_lo, s7
	s_cbranch_vccnz .LBB63_1685
; %bb.1684:
	s_wait_loadcnt 0x0
	global_load_i16 v3, v[8:9], off
.LBB63_1685:
	s_cbranch_execnz .LBB63_1691
.LBB63_1686:
	s_sext_i32_i16 s0, s0
	s_delay_alu instid0(SALU_CYCLE_1)
	s_cmp_gt_i32 s0, 0
	s_mov_b32 s0, 0
	s_cbranch_scc0 .LBB63_1688
; %bb.1687:
	s_wait_loadcnt 0x0
	global_load_i8 v3, v[8:9], off
	s_branch .LBB63_1689
.LBB63_1688:
	s_mov_b32 s0, -1
                                        ; implicit-def: $vgpr3
.LBB63_1689:
	s_delay_alu instid0(SALU_CYCLE_1)
	s_and_not1_b32 vcc_lo, exec_lo, s0
	s_cbranch_vccnz .LBB63_1691
; %bb.1690:
	s_wait_loadcnt 0x0
	global_load_u8 v3, v[8:9], off
.LBB63_1691:
	s_or_b32 s34, s34, exec_lo
.LBB63_1692:
	s_wait_xcnt 0x0
	s_or_b32 exec_lo, exec_lo, s6
	s_mov_b32 s7, 0
	s_mov_b32 s13, 0
	;; [unrolled: 1-line block ×3, first 2 shown]
                                        ; implicit-def: $sgpr0
                                        ; implicit-def: $vgpr0_vgpr1
                                        ; implicit-def: $vgpr7
	s_and_saveexec_b32 s6, s34
	s_cbranch_execz .LBB63_1700
; %bb.1693:
	v_mov_b32_e32 v7, 0
	s_and_b32 s0, s41, 0xff
	s_delay_alu instid0(SALU_CYCLE_1) | instskip(SKIP_1) | instid1(VALU_DEP_1)
	s_cmp_lt_i32 s0, 11
	s_wait_loadcnt 0x0
	v_add_nc_u64_e32 v[0:1], s[8:9], v[6:7]
	s_cbranch_scc1 .LBB63_1703
; %bb.1694:
	s_and_b32 s8, 0xffff, s0
	s_mov_b32 s9, 0
	s_cmp_gt_i32 s8, 25
	s_cbranch_scc0 .LBB63_1704
; %bb.1695:
	s_cmp_gt_i32 s8, 28
	s_cbranch_scc0 .LBB63_1705
; %bb.1696:
	;; [unrolled: 3-line block ×4, first 2 shown]
	s_cmp_eq_u32 s8, 46
	s_cbranch_scc0 .LBB63_1708
; %bb.1699:
	global_load_b32 v5, v[0:1], off
	s_mov_b32 s12, -1
	s_wait_loadcnt 0x0
	v_lshlrev_b32_e32 v5, 16, v5
	s_delay_alu instid0(VALU_DEP_1)
	v_cvt_i32_f32_e32 v7, v5
	s_branch .LBB63_1710
.LBB63_1700:
	s_or_b32 exec_lo, exec_lo, s6
	s_and_saveexec_b32 s6, s49
	s_cbranch_execnz .LBB63_1769
.LBB63_1701:
	s_or_b32 exec_lo, exec_lo, s6
	s_and_saveexec_b32 s6, s7
	s_delay_alu instid0(SALU_CYCLE_1)
	s_xor_b32 s6, exec_lo, s6
	s_cbranch_execz .LBB63_1770
.LBB63_1702:
	s_wait_loadcnt 0x0
	global_load_u8 v5, v[0:1], off
	s_or_b32 s12, s12, exec_lo
	s_wait_loadcnt 0x0
	v_cmp_ne_u16_e32 vcc_lo, 0, v5
	v_cndmask_b32_e64 v7, 0, 1, vcc_lo
	s_wait_xcnt 0x0
	s_or_b32 exec_lo, exec_lo, s6
	s_and_saveexec_b32 s6, s13
	s_cbranch_execz .LBB63_1816
	s_branch .LBB63_1771
.LBB63_1703:
	s_mov_b32 s8, -1
	s_mov_b32 s9, 0
	s_mov_b32 s7, s49
                                        ; implicit-def: $vgpr7
	s_branch .LBB63_1768
.LBB63_1704:
	s_mov_b32 s7, s49
                                        ; implicit-def: $vgpr7
	s_cbranch_execnz .LBB63_1737
	s_branch .LBB63_1767
.LBB63_1705:
	s_mov_b32 s13, -1
	s_mov_b32 s7, s49
                                        ; implicit-def: $vgpr7
	s_branch .LBB63_1720
.LBB63_1706:
	s_mov_b32 s13, -1
	s_mov_b32 s7, s49
                                        ; implicit-def: $vgpr7
	s_branch .LBB63_1715
.LBB63_1707:
	s_mov_b32 s13, -1
	s_mov_b32 s7, s49
	s_branch .LBB63_1709
.LBB63_1708:
	s_mov_b32 s7, -1
.LBB63_1709:
                                        ; implicit-def: $vgpr7
.LBB63_1710:
	s_and_b32 vcc_lo, exec_lo, s13
	s_cbranch_vccz .LBB63_1714
; %bb.1711:
	s_cmp_eq_u32 s8, 44
	s_cbranch_scc0 .LBB63_1713
; %bb.1712:
	global_load_u8 v5, v[0:1], off
	s_mov_b32 s7, 0
	s_mov_b32 s12, -1
	s_wait_loadcnt 0x0
	v_lshlrev_b32_e32 v6, 23, v5
	v_cmp_ne_u32_e32 vcc_lo, 0, v5
	s_delay_alu instid0(VALU_DEP_2) | instskip(NEXT) | instid1(VALU_DEP_1)
	v_cvt_i32_f32_e32 v6, v6
	v_cndmask_b32_e32 v7, 0, v6, vcc_lo
	s_branch .LBB63_1714
.LBB63_1713:
	s_mov_b32 s7, -1
                                        ; implicit-def: $vgpr7
.LBB63_1714:
	s_mov_b32 s13, 0
.LBB63_1715:
	s_delay_alu instid0(SALU_CYCLE_1)
	s_and_b32 vcc_lo, exec_lo, s13
	s_cbranch_vccz .LBB63_1719
; %bb.1716:
	s_cmp_eq_u32 s8, 29
	s_cbranch_scc0 .LBB63_1718
; %bb.1717:
	global_load_b32 v7, v[0:1], off
	s_mov_b32 s7, 0
	s_mov_b32 s12, -1
	s_branch .LBB63_1719
.LBB63_1718:
	s_mov_b32 s7, -1
                                        ; implicit-def: $vgpr7
.LBB63_1719:
	s_mov_b32 s13, 0
.LBB63_1720:
	s_delay_alu instid0(SALU_CYCLE_1)
	s_and_b32 vcc_lo, exec_lo, s13
	s_cbranch_vccz .LBB63_1736
; %bb.1721:
	s_cmp_lt_i32 s8, 27
	s_cbranch_scc1 .LBB63_1724
; %bb.1722:
	s_cmp_gt_i32 s8, 27
	s_cbranch_scc0 .LBB63_1725
; %bb.1723:
	s_wait_loadcnt 0x0
	global_load_b32 v7, v[0:1], off
	s_mov_b32 s12, 0
	s_branch .LBB63_1726
.LBB63_1724:
	s_mov_b32 s12, -1
                                        ; implicit-def: $vgpr7
	s_branch .LBB63_1729
.LBB63_1725:
	s_mov_b32 s12, -1
                                        ; implicit-def: $vgpr7
.LBB63_1726:
	s_delay_alu instid0(SALU_CYCLE_1)
	s_and_not1_b32 vcc_lo, exec_lo, s12
	s_cbranch_vccnz .LBB63_1728
; %bb.1727:
	s_wait_loadcnt 0x0
	global_load_u16 v7, v[0:1], off
.LBB63_1728:
	s_mov_b32 s12, 0
.LBB63_1729:
	s_delay_alu instid0(SALU_CYCLE_1)
	s_and_not1_b32 vcc_lo, exec_lo, s12
	s_cbranch_vccnz .LBB63_1735
; %bb.1730:
	global_load_u8 v5, v[0:1], off
	s_mov_b32 s13, 0
	s_mov_b32 s12, exec_lo
	s_wait_loadcnt 0x0
	v_cmpx_lt_i16_e32 0x7f, v5
	s_xor_b32 s12, exec_lo, s12
	s_cbranch_execz .LBB63_1746
; %bb.1731:
	v_cmp_ne_u16_e32 vcc_lo, 0x80, v5
	s_and_b32 s13, vcc_lo, exec_lo
	s_and_not1_saveexec_b32 s12, s12
	s_cbranch_execnz .LBB63_1747
.LBB63_1732:
	s_or_b32 exec_lo, exec_lo, s12
	v_mov_b32_e32 v7, 0
	s_and_saveexec_b32 s12, s13
	s_cbranch_execz .LBB63_1734
.LBB63_1733:
	v_and_b32_e32 v6, 0xffff, v5
	s_delay_alu instid0(VALU_DEP_1) | instskip(SKIP_1) | instid1(VALU_DEP_2)
	v_and_b32_e32 v7, 7, v6
	v_bfe_u32 v10, v6, 3, 4
	v_clz_i32_u32_e32 v8, v7
	s_delay_alu instid0(VALU_DEP_2) | instskip(NEXT) | instid1(VALU_DEP_2)
	v_cmp_eq_u32_e32 vcc_lo, 0, v10
	v_min_u32_e32 v8, 32, v8
	s_delay_alu instid0(VALU_DEP_1) | instskip(NEXT) | instid1(VALU_DEP_1)
	v_subrev_nc_u32_e32 v9, 28, v8
	v_dual_lshlrev_b32 v6, v9, v6 :: v_dual_sub_nc_u32 v8, 29, v8
	s_delay_alu instid0(VALU_DEP_1) | instskip(NEXT) | instid1(VALU_DEP_1)
	v_dual_lshlrev_b32 v5, 24, v5 :: v_dual_bitop2_b32 v6, 7, v6 bitop3:0x40
	v_dual_cndmask_b32 v8, v10, v8, vcc_lo :: v_dual_cndmask_b32 v6, v7, v6, vcc_lo
	s_delay_alu instid0(VALU_DEP_2) | instskip(NEXT) | instid1(VALU_DEP_2)
	v_and_b32_e32 v5, 0x80000000, v5
	v_lshl_add_u32 v7, v8, 23, 0x3b800000
	s_delay_alu instid0(VALU_DEP_3) | instskip(NEXT) | instid1(VALU_DEP_1)
	v_lshlrev_b32_e32 v6, 20, v6
	v_or3_b32 v5, v5, v7, v6
	s_delay_alu instid0(VALU_DEP_1)
	v_cvt_i32_f32_e32 v7, v5
.LBB63_1734:
	s_or_b32 exec_lo, exec_lo, s12
.LBB63_1735:
	s_mov_b32 s12, -1
.LBB63_1736:
	s_branch .LBB63_1767
.LBB63_1737:
	s_cmp_gt_i32 s8, 22
	s_cbranch_scc0 .LBB63_1745
; %bb.1738:
	s_cmp_lt_i32 s8, 24
	s_cbranch_scc1 .LBB63_1748
; %bb.1739:
	s_cmp_gt_i32 s8, 24
	s_cbranch_scc0 .LBB63_1749
; %bb.1740:
	global_load_u8 v5, v[0:1], off
	s_mov_b32 s12, 0
	s_mov_b32 s9, exec_lo
	s_wait_loadcnt 0x0
	v_cmpx_lt_i16_e32 0x7f, v5
	s_xor_b32 s9, exec_lo, s9
	s_cbranch_execz .LBB63_1761
; %bb.1741:
	v_cmp_ne_u16_e32 vcc_lo, 0x80, v5
	s_and_b32 s12, vcc_lo, exec_lo
	s_and_not1_saveexec_b32 s9, s9
	s_cbranch_execnz .LBB63_1762
.LBB63_1742:
	s_or_b32 exec_lo, exec_lo, s9
	v_mov_b32_e32 v7, 0
	s_and_saveexec_b32 s9, s12
	s_cbranch_execz .LBB63_1744
.LBB63_1743:
	v_and_b32_e32 v6, 0xffff, v5
	s_delay_alu instid0(VALU_DEP_1) | instskip(SKIP_1) | instid1(VALU_DEP_2)
	v_and_b32_e32 v7, 3, v6
	v_bfe_u32 v10, v6, 2, 5
	v_clz_i32_u32_e32 v8, v7
	s_delay_alu instid0(VALU_DEP_2) | instskip(NEXT) | instid1(VALU_DEP_2)
	v_cmp_eq_u32_e32 vcc_lo, 0, v10
	v_min_u32_e32 v8, 32, v8
	s_delay_alu instid0(VALU_DEP_1) | instskip(NEXT) | instid1(VALU_DEP_1)
	v_subrev_nc_u32_e32 v9, 29, v8
	v_dual_lshlrev_b32 v6, v9, v6 :: v_dual_sub_nc_u32 v8, 30, v8
	s_delay_alu instid0(VALU_DEP_1) | instskip(NEXT) | instid1(VALU_DEP_1)
	v_dual_lshlrev_b32 v5, 24, v5 :: v_dual_bitop2_b32 v6, 3, v6 bitop3:0x40
	v_dual_cndmask_b32 v8, v10, v8, vcc_lo :: v_dual_cndmask_b32 v6, v7, v6, vcc_lo
	s_delay_alu instid0(VALU_DEP_2) | instskip(NEXT) | instid1(VALU_DEP_2)
	v_and_b32_e32 v5, 0x80000000, v5
	v_lshl_add_u32 v7, v8, 23, 0x37800000
	s_delay_alu instid0(VALU_DEP_3) | instskip(NEXT) | instid1(VALU_DEP_1)
	v_lshlrev_b32_e32 v6, 21, v6
	v_or3_b32 v5, v5, v7, v6
	s_delay_alu instid0(VALU_DEP_1)
	v_cvt_i32_f32_e32 v7, v5
.LBB63_1744:
	s_or_b32 exec_lo, exec_lo, s9
	s_mov_b32 s9, 0
	s_branch .LBB63_1750
.LBB63_1745:
	s_mov_b32 s9, -1
                                        ; implicit-def: $vgpr7
	s_branch .LBB63_1756
.LBB63_1746:
	s_and_not1_saveexec_b32 s12, s12
	s_cbranch_execz .LBB63_1732
.LBB63_1747:
	v_cmp_ne_u16_e32 vcc_lo, 0, v5
	s_and_not1_b32 s13, s13, exec_lo
	s_and_b32 s14, vcc_lo, exec_lo
	s_delay_alu instid0(SALU_CYCLE_1)
	s_or_b32 s13, s13, s14
	s_or_b32 exec_lo, exec_lo, s12
	v_mov_b32_e32 v7, 0
	s_and_saveexec_b32 s12, s13
	s_cbranch_execnz .LBB63_1733
	s_branch .LBB63_1734
.LBB63_1748:
	s_mov_b32 s9, -1
                                        ; implicit-def: $vgpr7
	s_branch .LBB63_1753
.LBB63_1749:
	s_mov_b32 s9, -1
                                        ; implicit-def: $vgpr7
.LBB63_1750:
	s_delay_alu instid0(SALU_CYCLE_1)
	s_and_b32 vcc_lo, exec_lo, s9
	s_cbranch_vccz .LBB63_1752
; %bb.1751:
	global_load_u8 v5, v[0:1], off
	s_wait_loadcnt 0x0
	v_lshlrev_b32_e32 v5, 24, v5
	s_delay_alu instid0(VALU_DEP_1) | instskip(NEXT) | instid1(VALU_DEP_1)
	v_and_b32_e32 v6, 0x7f000000, v5
	v_clz_i32_u32_e32 v7, v6
	v_cmp_ne_u32_e32 vcc_lo, 0, v6
	v_add_nc_u32_e32 v9, 0x1000000, v6
	s_delay_alu instid0(VALU_DEP_3) | instskip(NEXT) | instid1(VALU_DEP_1)
	v_min_u32_e32 v7, 32, v7
	v_sub_nc_u32_e64 v7, v7, 4 clamp
	s_delay_alu instid0(VALU_DEP_1) | instskip(NEXT) | instid1(VALU_DEP_1)
	v_dual_lshlrev_b32 v8, v7, v6 :: v_dual_lshlrev_b32 v7, 23, v7
	v_lshrrev_b32_e32 v8, 4, v8
	s_delay_alu instid0(VALU_DEP_1) | instskip(NEXT) | instid1(VALU_DEP_1)
	v_dual_sub_nc_u32 v7, v8, v7 :: v_dual_ashrrev_i32 v8, 8, v9
	v_add_nc_u32_e32 v7, 0x3c000000, v7
	s_delay_alu instid0(VALU_DEP_1) | instskip(NEXT) | instid1(VALU_DEP_1)
	v_and_or_b32 v7, 0x7f800000, v8, v7
	v_cndmask_b32_e32 v6, 0, v7, vcc_lo
	s_delay_alu instid0(VALU_DEP_1) | instskip(NEXT) | instid1(VALU_DEP_1)
	v_and_or_b32 v5, 0x80000000, v5, v6
	v_cvt_i32_f32_e32 v7, v5
.LBB63_1752:
	s_mov_b32 s9, 0
.LBB63_1753:
	s_delay_alu instid0(SALU_CYCLE_1)
	s_and_not1_b32 vcc_lo, exec_lo, s9
	s_cbranch_vccnz .LBB63_1755
; %bb.1754:
	global_load_u8 v5, v[0:1], off
	s_wait_loadcnt 0x0
	v_lshlrev_b32_e32 v6, 25, v5
	v_lshlrev_b16 v5, 8, v5
	s_delay_alu instid0(VALU_DEP_1) | instskip(SKIP_1) | instid1(VALU_DEP_2)
	v_and_or_b32 v8, 0x7f00, v5, 0.5
	v_bfe_i32 v5, v5, 0, 16
	v_dual_add_f32 v8, -0.5, v8 :: v_dual_lshrrev_b32 v7, 4, v6
	v_cmp_gt_u32_e32 vcc_lo, 0x8000000, v6
	s_delay_alu instid0(VALU_DEP_2) | instskip(NEXT) | instid1(VALU_DEP_1)
	v_or_b32_e32 v7, 0x70000000, v7
	v_mul_f32_e32 v7, 0x7800000, v7
	s_delay_alu instid0(VALU_DEP_1) | instskip(NEXT) | instid1(VALU_DEP_1)
	v_cndmask_b32_e32 v6, v7, v8, vcc_lo
	v_and_or_b32 v5, 0x80000000, v5, v6
	s_delay_alu instid0(VALU_DEP_1)
	v_cvt_i32_f32_e32 v7, v5
.LBB63_1755:
	s_mov_b32 s9, 0
	s_mov_b32 s12, -1
.LBB63_1756:
	s_and_not1_b32 vcc_lo, exec_lo, s9
	s_mov_b32 s9, 0
	s_cbranch_vccnz .LBB63_1767
; %bb.1757:
	s_cmp_gt_i32 s8, 14
	s_cbranch_scc0 .LBB63_1760
; %bb.1758:
	s_cmp_eq_u32 s8, 15
	s_cbranch_scc0 .LBB63_1763
; %bb.1759:
	global_load_u16 v5, v[0:1], off
	s_mov_b32 s7, 0
	s_mov_b32 s12, -1
	s_wait_loadcnt 0x0
	v_lshlrev_b32_e32 v5, 16, v5
	s_delay_alu instid0(VALU_DEP_1)
	v_cvt_i32_f32_e32 v7, v5
	s_branch .LBB63_1765
.LBB63_1760:
	s_mov_b32 s9, -1
	s_branch .LBB63_1764
.LBB63_1761:
	s_and_not1_saveexec_b32 s9, s9
	s_cbranch_execz .LBB63_1742
.LBB63_1762:
	v_cmp_ne_u16_e32 vcc_lo, 0, v5
	s_and_not1_b32 s12, s12, exec_lo
	s_and_b32 s13, vcc_lo, exec_lo
	s_delay_alu instid0(SALU_CYCLE_1)
	s_or_b32 s12, s12, s13
	s_or_b32 exec_lo, exec_lo, s9
	v_mov_b32_e32 v7, 0
	s_and_saveexec_b32 s9, s12
	s_cbranch_execnz .LBB63_1743
	s_branch .LBB63_1744
.LBB63_1763:
	s_mov_b32 s7, -1
.LBB63_1764:
                                        ; implicit-def: $vgpr7
.LBB63_1765:
	s_and_b32 vcc_lo, exec_lo, s9
	s_mov_b32 s9, 0
	s_cbranch_vccz .LBB63_1767
; %bb.1766:
	s_cmp_lg_u32 s8, 11
	s_mov_b32 s9, -1
	s_cselect_b32 s8, -1, 0
	s_and_not1_b32 s7, s7, exec_lo
	s_and_b32 s8, s8, exec_lo
	s_delay_alu instid0(SALU_CYCLE_1)
	s_or_b32 s7, s7, s8
.LBB63_1767:
	s_mov_b32 s8, 0
.LBB63_1768:
	s_delay_alu instid0(SALU_CYCLE_1)
	s_and_b32 s13, s8, exec_lo
	s_and_not1_b32 s8, s49, exec_lo
	s_and_b32 s14, s7, exec_lo
	s_and_b32 s12, s12, exec_lo
	;; [unrolled: 1-line block ×3, first 2 shown]
	s_or_b32 s49, s8, s14
	s_wait_xcnt 0x0
	s_or_b32 exec_lo, exec_lo, s6
	s_and_saveexec_b32 s6, s49
	s_cbranch_execz .LBB63_1701
.LBB63_1769:
	s_or_b32 s1, s1, exec_lo
	s_and_not1_b32 s7, s7, exec_lo
	s_trap 2
	s_or_b32 exec_lo, exec_lo, s6
	s_and_saveexec_b32 s6, s7
	s_delay_alu instid0(SALU_CYCLE_1)
	s_xor_b32 s6, exec_lo, s6
	s_cbranch_execnz .LBB63_1702
.LBB63_1770:
	s_or_b32 exec_lo, exec_lo, s6
	s_and_saveexec_b32 s6, s13
	s_cbranch_execz .LBB63_1816
.LBB63_1771:
	s_sext_i32_i16 s7, s0
	s_delay_alu instid0(SALU_CYCLE_1)
	s_cmp_lt_i32 s7, 5
	s_cbranch_scc1 .LBB63_1776
; %bb.1772:
	s_cmp_lt_i32 s7, 8
	s_cbranch_scc1 .LBB63_1777
; %bb.1773:
	;; [unrolled: 3-line block ×3, first 2 shown]
	s_cmp_gt_i32 s7, 9
	s_cbranch_scc0 .LBB63_1779
; %bb.1775:
	s_wait_loadcnt 0x0
	global_load_b64 v[6:7], v[0:1], off
	s_mov_b32 s7, 0
	s_wait_loadcnt 0x0
	v_cvt_i32_f64_e32 v7, v[6:7]
	s_branch .LBB63_1780
.LBB63_1776:
                                        ; implicit-def: $vgpr7
	s_branch .LBB63_1797
.LBB63_1777:
                                        ; implicit-def: $vgpr7
	s_branch .LBB63_1786
.LBB63_1778:
	s_mov_b32 s7, -1
                                        ; implicit-def: $vgpr7
	s_branch .LBB63_1783
.LBB63_1779:
	s_mov_b32 s7, -1
                                        ; implicit-def: $vgpr7
.LBB63_1780:
	s_delay_alu instid0(SALU_CYCLE_1)
	s_and_not1_b32 vcc_lo, exec_lo, s7
	s_cbranch_vccnz .LBB63_1782
; %bb.1781:
	s_wait_loadcnt 0x0
	global_load_b32 v5, v[0:1], off
	s_wait_loadcnt 0x0
	v_cvt_i32_f32_e32 v7, v5
.LBB63_1782:
	s_mov_b32 s7, 0
.LBB63_1783:
	s_delay_alu instid0(SALU_CYCLE_1)
	s_and_not1_b32 vcc_lo, exec_lo, s7
	s_cbranch_vccnz .LBB63_1785
; %bb.1784:
	s_wait_loadcnt 0x0
	global_load_b32 v5, v[0:1], off
	s_wait_loadcnt 0x0
	v_cvt_f32_f16_e32 v5, v5
	s_delay_alu instid0(VALU_DEP_1)
	v_cvt_i32_f32_e32 v7, v5
.LBB63_1785:
	s_cbranch_execnz .LBB63_1796
.LBB63_1786:
	s_sext_i32_i16 s7, s0
	s_delay_alu instid0(SALU_CYCLE_1)
	s_cmp_lt_i32 s7, 6
	s_cbranch_scc1 .LBB63_1789
; %bb.1787:
	s_cmp_gt_i32 s7, 6
	s_cbranch_scc0 .LBB63_1790
; %bb.1788:
	s_wait_loadcnt 0x0
	global_load_b64 v[6:7], v[0:1], off
	s_mov_b32 s7, 0
	s_wait_loadcnt 0x0
	v_cvt_i32_f64_e32 v7, v[6:7]
	s_branch .LBB63_1791
.LBB63_1789:
	s_mov_b32 s7, -1
                                        ; implicit-def: $vgpr7
	s_branch .LBB63_1794
.LBB63_1790:
	s_mov_b32 s7, -1
                                        ; implicit-def: $vgpr7
.LBB63_1791:
	s_delay_alu instid0(SALU_CYCLE_1)
	s_and_not1_b32 vcc_lo, exec_lo, s7
	s_cbranch_vccnz .LBB63_1793
; %bb.1792:
	s_wait_loadcnt 0x0
	global_load_b32 v5, v[0:1], off
	s_wait_loadcnt 0x0
	v_cvt_i32_f32_e32 v7, v5
.LBB63_1793:
	s_mov_b32 s7, 0
.LBB63_1794:
	s_delay_alu instid0(SALU_CYCLE_1)
	s_and_not1_b32 vcc_lo, exec_lo, s7
	s_cbranch_vccnz .LBB63_1796
; %bb.1795:
	s_wait_loadcnt 0x0
	global_load_u16 v5, v[0:1], off
	s_wait_loadcnt 0x0
	v_cvt_f32_f16_e32 v5, v5
	s_delay_alu instid0(VALU_DEP_1)
	v_cvt_i32_f32_e32 v7, v5
.LBB63_1796:
	s_cbranch_execnz .LBB63_1815
.LBB63_1797:
	s_sext_i32_i16 s7, s0
	s_delay_alu instid0(SALU_CYCLE_1)
	s_cmp_lt_i32 s7, 2
	s_cbranch_scc1 .LBB63_1801
; %bb.1798:
	s_cmp_lt_i32 s7, 3
	s_cbranch_scc1 .LBB63_1802
; %bb.1799:
	s_cmp_gt_i32 s7, 3
	s_cbranch_scc0 .LBB63_1803
; %bb.1800:
	s_wait_loadcnt 0x0
	global_load_b32 v7, v[0:1], off
	s_mov_b32 s7, 0
	s_branch .LBB63_1804
.LBB63_1801:
                                        ; implicit-def: $vgpr7
	s_branch .LBB63_1810
.LBB63_1802:
	s_mov_b32 s7, -1
                                        ; implicit-def: $vgpr7
	s_branch .LBB63_1807
.LBB63_1803:
	s_mov_b32 s7, -1
                                        ; implicit-def: $vgpr7
.LBB63_1804:
	s_delay_alu instid0(SALU_CYCLE_1)
	s_and_not1_b32 vcc_lo, exec_lo, s7
	s_cbranch_vccnz .LBB63_1806
; %bb.1805:
	s_wait_loadcnt 0x0
	global_load_b32 v7, v[0:1], off
.LBB63_1806:
	s_mov_b32 s7, 0
.LBB63_1807:
	s_delay_alu instid0(SALU_CYCLE_1)
	s_and_not1_b32 vcc_lo, exec_lo, s7
	s_cbranch_vccnz .LBB63_1809
; %bb.1808:
	s_wait_loadcnt 0x0
	global_load_i16 v7, v[0:1], off
.LBB63_1809:
	s_cbranch_execnz .LBB63_1815
.LBB63_1810:
	s_sext_i32_i16 s0, s0
	s_delay_alu instid0(SALU_CYCLE_1)
	s_cmp_gt_i32 s0, 0
	s_mov_b32 s0, 0
	s_cbranch_scc0 .LBB63_1812
; %bb.1811:
	s_wait_loadcnt 0x0
	global_load_i8 v7, v[0:1], off
	s_branch .LBB63_1813
.LBB63_1812:
	s_mov_b32 s0, -1
                                        ; implicit-def: $vgpr7
.LBB63_1813:
	s_delay_alu instid0(SALU_CYCLE_1)
	s_and_not1_b32 vcc_lo, exec_lo, s0
	s_cbranch_vccnz .LBB63_1815
; %bb.1814:
	s_wait_loadcnt 0x0
	global_load_u8 v7, v[0:1], off
.LBB63_1815:
	s_or_b32 s12, s12, exec_lo
.LBB63_1816:
	s_wait_xcnt 0x0
	s_or_b32 exec_lo, exec_lo, s6
	s_mov_b32 s7, 0
	s_mov_b32 s6, 0
	;; [unrolled: 1-line block ×3, first 2 shown]
                                        ; implicit-def: $vgpr0_vgpr1
                                        ; implicit-def: $vgpr6
	s_and_saveexec_b32 s0, s12
	s_cbranch_execz .LBB63_1824
; %bb.1817:
	v_mov_b32_e32 v5, 0
	s_and_b32 s6, 0xffff, s21
	s_delay_alu instid0(SALU_CYCLE_1) | instskip(SKIP_1) | instid1(VALU_DEP_1)
	s_cmp_lt_i32 s6, 11
	s_wait_loadcnt 0x0
	v_add_nc_u64_e32 v[0:1], s[10:11], v[4:5]
	s_cbranch_scc1 .LBB63_1827
; %bb.1818:
	s_cmp_gt_i32 s6, 25
	s_mov_b32 s9, 0
	s_cbranch_scc0 .LBB63_1828
; %bb.1819:
	s_cmp_gt_i32 s6, 28
	s_cbranch_scc0 .LBB63_1829
; %bb.1820:
	s_cmp_gt_i32 s6, 43
	;; [unrolled: 3-line block ×3, first 2 shown]
	s_cbranch_scc0 .LBB63_1831
; %bb.1822:
	s_cmp_eq_u32 s6, 46
	s_mov_b32 s10, 0
	s_cbranch_scc0 .LBB63_1832
; %bb.1823:
	global_load_b32 v4, v[0:1], off
	s_mov_b32 s8, -1
	s_wait_loadcnt 0x0
	v_lshlrev_b32_e32 v4, 16, v4
	s_delay_alu instid0(VALU_DEP_1)
	v_cvt_i32_f32_e32 v6, v4
	s_branch .LBB63_1834
.LBB63_1824:
	s_or_b32 exec_lo, exec_lo, s0
	s_and_saveexec_b32 s0, s48
	s_cbranch_execnz .LBB63_1893
.LBB63_1825:
	s_or_b32 exec_lo, exec_lo, s0
	s_and_saveexec_b32 s0, s7
	s_delay_alu instid0(SALU_CYCLE_1)
	s_xor_b32 s0, exec_lo, s0
	s_cbranch_execz .LBB63_1894
.LBB63_1826:
	s_wait_loadcnt 0x0
	global_load_u8 v4, v[0:1], off
	s_or_b32 s8, s8, exec_lo
	s_wait_loadcnt 0x0
	v_cmp_ne_u16_e32 vcc_lo, 0, v4
	v_cndmask_b32_e64 v6, 0, 1, vcc_lo
	s_wait_xcnt 0x0
	s_or_b32 exec_lo, exec_lo, s0
	s_and_saveexec_b32 s0, s6
	s_cbranch_execz .LBB63_1940
	s_branch .LBB63_1895
.LBB63_1827:
	s_mov_b32 s6, -1
	s_mov_b32 s9, 0
	s_mov_b32 s7, s48
                                        ; implicit-def: $vgpr6
	s_branch .LBB63_1892
.LBB63_1828:
	s_mov_b32 s7, s48
                                        ; implicit-def: $vgpr6
	s_cbranch_execnz .LBB63_1861
	s_branch .LBB63_1891
.LBB63_1829:
	s_mov_b32 s10, -1
	s_mov_b32 s7, s48
                                        ; implicit-def: $vgpr6
	s_branch .LBB63_1844
.LBB63_1830:
	s_mov_b32 s10, -1
	s_mov_b32 s7, s48
                                        ; implicit-def: $vgpr6
	s_branch .LBB63_1839
.LBB63_1831:
	s_mov_b32 s10, -1
	s_mov_b32 s7, s48
	s_branch .LBB63_1833
.LBB63_1832:
	s_mov_b32 s7, -1
.LBB63_1833:
                                        ; implicit-def: $vgpr6
.LBB63_1834:
	s_and_b32 vcc_lo, exec_lo, s10
	s_cbranch_vccz .LBB63_1838
; %bb.1835:
	s_cmp_eq_u32 s6, 44
	s_cbranch_scc0 .LBB63_1837
; %bb.1836:
	global_load_u8 v4, v[0:1], off
	s_mov_b32 s7, 0
	s_mov_b32 s8, -1
	s_wait_loadcnt 0x0
	v_lshlrev_b32_e32 v5, 23, v4
	v_cmp_ne_u32_e32 vcc_lo, 0, v4
	s_delay_alu instid0(VALU_DEP_2) | instskip(NEXT) | instid1(VALU_DEP_1)
	v_cvt_i32_f32_e32 v5, v5
	v_cndmask_b32_e32 v6, 0, v5, vcc_lo
	s_branch .LBB63_1838
.LBB63_1837:
	s_mov_b32 s7, -1
                                        ; implicit-def: $vgpr6
.LBB63_1838:
	s_mov_b32 s10, 0
.LBB63_1839:
	s_delay_alu instid0(SALU_CYCLE_1)
	s_and_b32 vcc_lo, exec_lo, s10
	s_cbranch_vccz .LBB63_1843
; %bb.1840:
	s_cmp_eq_u32 s6, 29
	s_cbranch_scc0 .LBB63_1842
; %bb.1841:
	global_load_b32 v6, v[0:1], off
	s_mov_b32 s7, 0
	s_mov_b32 s8, -1
	s_branch .LBB63_1843
.LBB63_1842:
	s_mov_b32 s7, -1
                                        ; implicit-def: $vgpr6
.LBB63_1843:
	s_mov_b32 s10, 0
.LBB63_1844:
	s_delay_alu instid0(SALU_CYCLE_1)
	s_and_b32 vcc_lo, exec_lo, s10
	s_cbranch_vccz .LBB63_1860
; %bb.1845:
	s_cmp_lt_i32 s6, 27
	s_cbranch_scc1 .LBB63_1848
; %bb.1846:
	s_cmp_gt_i32 s6, 27
	s_cbranch_scc0 .LBB63_1849
; %bb.1847:
	s_wait_loadcnt 0x0
	global_load_b32 v6, v[0:1], off
	s_mov_b32 s8, 0
	s_branch .LBB63_1850
.LBB63_1848:
	s_mov_b32 s8, -1
                                        ; implicit-def: $vgpr6
	s_branch .LBB63_1853
.LBB63_1849:
	s_mov_b32 s8, -1
                                        ; implicit-def: $vgpr6
.LBB63_1850:
	s_delay_alu instid0(SALU_CYCLE_1)
	s_and_not1_b32 vcc_lo, exec_lo, s8
	s_cbranch_vccnz .LBB63_1852
; %bb.1851:
	s_wait_loadcnt 0x0
	global_load_u16 v6, v[0:1], off
.LBB63_1852:
	s_mov_b32 s8, 0
.LBB63_1853:
	s_delay_alu instid0(SALU_CYCLE_1)
	s_and_not1_b32 vcc_lo, exec_lo, s8
	s_cbranch_vccnz .LBB63_1859
; %bb.1854:
	global_load_u8 v4, v[0:1], off
	s_mov_b32 s10, 0
	s_mov_b32 s8, exec_lo
	s_wait_loadcnt 0x0
	v_cmpx_lt_i16_e32 0x7f, v4
	s_xor_b32 s8, exec_lo, s8
	s_cbranch_execz .LBB63_1870
; %bb.1855:
	v_cmp_ne_u16_e32 vcc_lo, 0x80, v4
	s_and_b32 s10, vcc_lo, exec_lo
	s_and_not1_saveexec_b32 s8, s8
	s_cbranch_execnz .LBB63_1871
.LBB63_1856:
	s_or_b32 exec_lo, exec_lo, s8
	v_mov_b32_e32 v6, 0
	s_and_saveexec_b32 s8, s10
	s_cbranch_execz .LBB63_1858
.LBB63_1857:
	v_and_b32_e32 v5, 0xffff, v4
	s_delay_alu instid0(VALU_DEP_1) | instskip(SKIP_1) | instid1(VALU_DEP_2)
	v_and_b32_e32 v6, 7, v5
	v_bfe_u32 v10, v5, 3, 4
	v_clz_i32_u32_e32 v8, v6
	s_delay_alu instid0(VALU_DEP_2) | instskip(NEXT) | instid1(VALU_DEP_2)
	v_cmp_eq_u32_e32 vcc_lo, 0, v10
	v_min_u32_e32 v8, 32, v8
	s_delay_alu instid0(VALU_DEP_1) | instskip(NEXT) | instid1(VALU_DEP_1)
	v_subrev_nc_u32_e32 v9, 28, v8
	v_dual_lshlrev_b32 v5, v9, v5 :: v_dual_sub_nc_u32 v8, 29, v8
	s_delay_alu instid0(VALU_DEP_1) | instskip(NEXT) | instid1(VALU_DEP_1)
	v_dual_lshlrev_b32 v4, 24, v4 :: v_dual_bitop2_b32 v5, 7, v5 bitop3:0x40
	v_cndmask_b32_e32 v5, v6, v5, vcc_lo
	s_delay_alu instid0(VALU_DEP_3) | instskip(NEXT) | instid1(VALU_DEP_3)
	v_cndmask_b32_e32 v8, v10, v8, vcc_lo
	v_and_b32_e32 v4, 0x80000000, v4
	s_delay_alu instid0(VALU_DEP_3) | instskip(NEXT) | instid1(VALU_DEP_3)
	v_lshlrev_b32_e32 v5, 20, v5
	v_lshl_add_u32 v6, v8, 23, 0x3b800000
	s_delay_alu instid0(VALU_DEP_1) | instskip(NEXT) | instid1(VALU_DEP_1)
	v_or3_b32 v4, v4, v6, v5
	v_cvt_i32_f32_e32 v6, v4
.LBB63_1858:
	s_or_b32 exec_lo, exec_lo, s8
.LBB63_1859:
	s_mov_b32 s8, -1
.LBB63_1860:
	s_branch .LBB63_1891
.LBB63_1861:
	s_cmp_gt_i32 s6, 22
	s_cbranch_scc0 .LBB63_1869
; %bb.1862:
	s_cmp_lt_i32 s6, 24
	s_cbranch_scc1 .LBB63_1872
; %bb.1863:
	s_cmp_gt_i32 s6, 24
	s_cbranch_scc0 .LBB63_1873
; %bb.1864:
	global_load_u8 v4, v[0:1], off
	s_mov_b32 s8, exec_lo
	s_wait_loadcnt 0x0
	v_cmpx_lt_i16_e32 0x7f, v4
	s_xor_b32 s8, exec_lo, s8
	s_cbranch_execz .LBB63_1885
; %bb.1865:
	v_cmp_ne_u16_e32 vcc_lo, 0x80, v4
	s_and_b32 s9, vcc_lo, exec_lo
	s_and_not1_saveexec_b32 s8, s8
	s_cbranch_execnz .LBB63_1886
.LBB63_1866:
	s_or_b32 exec_lo, exec_lo, s8
	v_mov_b32_e32 v6, 0
	s_and_saveexec_b32 s8, s9
	s_cbranch_execz .LBB63_1868
.LBB63_1867:
	v_and_b32_e32 v5, 0xffff, v4
	s_delay_alu instid0(VALU_DEP_1) | instskip(SKIP_1) | instid1(VALU_DEP_2)
	v_and_b32_e32 v6, 3, v5
	v_bfe_u32 v10, v5, 2, 5
	v_clz_i32_u32_e32 v8, v6
	s_delay_alu instid0(VALU_DEP_2) | instskip(NEXT) | instid1(VALU_DEP_2)
	v_cmp_eq_u32_e32 vcc_lo, 0, v10
	v_min_u32_e32 v8, 32, v8
	s_delay_alu instid0(VALU_DEP_1) | instskip(NEXT) | instid1(VALU_DEP_1)
	v_subrev_nc_u32_e32 v9, 29, v8
	v_dual_lshlrev_b32 v5, v9, v5 :: v_dual_sub_nc_u32 v8, 30, v8
	s_delay_alu instid0(VALU_DEP_1) | instskip(NEXT) | instid1(VALU_DEP_1)
	v_dual_lshlrev_b32 v4, 24, v4 :: v_dual_bitop2_b32 v5, 3, v5 bitop3:0x40
	v_cndmask_b32_e32 v5, v6, v5, vcc_lo
	s_delay_alu instid0(VALU_DEP_3) | instskip(NEXT) | instid1(VALU_DEP_3)
	v_cndmask_b32_e32 v8, v10, v8, vcc_lo
	v_and_b32_e32 v4, 0x80000000, v4
	s_delay_alu instid0(VALU_DEP_3) | instskip(NEXT) | instid1(VALU_DEP_3)
	v_lshlrev_b32_e32 v5, 21, v5
	v_lshl_add_u32 v6, v8, 23, 0x37800000
	s_delay_alu instid0(VALU_DEP_1) | instskip(NEXT) | instid1(VALU_DEP_1)
	v_or3_b32 v4, v4, v6, v5
	v_cvt_i32_f32_e32 v6, v4
.LBB63_1868:
	s_or_b32 exec_lo, exec_lo, s8
	s_mov_b32 s8, 0
	s_branch .LBB63_1874
.LBB63_1869:
	s_mov_b32 s9, -1
                                        ; implicit-def: $vgpr6
	s_branch .LBB63_1880
.LBB63_1870:
	s_and_not1_saveexec_b32 s8, s8
	s_cbranch_execz .LBB63_1856
.LBB63_1871:
	v_cmp_ne_u16_e32 vcc_lo, 0, v4
	s_and_not1_b32 s10, s10, exec_lo
	s_and_b32 s11, vcc_lo, exec_lo
	s_delay_alu instid0(SALU_CYCLE_1)
	s_or_b32 s10, s10, s11
	s_or_b32 exec_lo, exec_lo, s8
	v_mov_b32_e32 v6, 0
	s_and_saveexec_b32 s8, s10
	s_cbranch_execnz .LBB63_1857
	s_branch .LBB63_1858
.LBB63_1872:
	s_mov_b32 s8, -1
                                        ; implicit-def: $vgpr6
	s_branch .LBB63_1877
.LBB63_1873:
	s_mov_b32 s8, -1
                                        ; implicit-def: $vgpr6
.LBB63_1874:
	s_delay_alu instid0(SALU_CYCLE_1)
	s_and_b32 vcc_lo, exec_lo, s8
	s_cbranch_vccz .LBB63_1876
; %bb.1875:
	global_load_u8 v4, v[0:1], off
	s_wait_loadcnt 0x0
	v_lshlrev_b32_e32 v4, 24, v4
	s_delay_alu instid0(VALU_DEP_1) | instskip(NEXT) | instid1(VALU_DEP_1)
	v_and_b32_e32 v5, 0x7f000000, v4
	v_clz_i32_u32_e32 v6, v5
	v_add_nc_u32_e32 v9, 0x1000000, v5
	v_cmp_ne_u32_e32 vcc_lo, 0, v5
	s_delay_alu instid0(VALU_DEP_3) | instskip(NEXT) | instid1(VALU_DEP_1)
	v_min_u32_e32 v6, 32, v6
	v_sub_nc_u32_e64 v6, v6, 4 clamp
	s_delay_alu instid0(VALU_DEP_1) | instskip(NEXT) | instid1(VALU_DEP_1)
	v_dual_lshlrev_b32 v8, v6, v5 :: v_dual_lshlrev_b32 v6, 23, v6
	v_lshrrev_b32_e32 v8, 4, v8
	s_delay_alu instid0(VALU_DEP_1) | instskip(NEXT) | instid1(VALU_DEP_1)
	v_dual_sub_nc_u32 v6, v8, v6 :: v_dual_ashrrev_i32 v8, 8, v9
	v_add_nc_u32_e32 v6, 0x3c000000, v6
	s_delay_alu instid0(VALU_DEP_1) | instskip(NEXT) | instid1(VALU_DEP_1)
	v_and_or_b32 v6, 0x7f800000, v8, v6
	v_cndmask_b32_e32 v5, 0, v6, vcc_lo
	s_delay_alu instid0(VALU_DEP_1) | instskip(NEXT) | instid1(VALU_DEP_1)
	v_and_or_b32 v4, 0x80000000, v4, v5
	v_cvt_i32_f32_e32 v6, v4
.LBB63_1876:
	s_mov_b32 s8, 0
.LBB63_1877:
	s_delay_alu instid0(SALU_CYCLE_1)
	s_and_not1_b32 vcc_lo, exec_lo, s8
	s_cbranch_vccnz .LBB63_1879
; %bb.1878:
	global_load_u8 v4, v[0:1], off
	s_wait_loadcnt 0x0
	v_lshlrev_b32_e32 v5, 25, v4
	v_lshlrev_b16 v4, 8, v4
	s_delay_alu instid0(VALU_DEP_1) | instskip(NEXT) | instid1(VALU_DEP_3)
	v_and_or_b32 v8, 0x7f00, v4, 0.5
	v_lshrrev_b32_e32 v6, 4, v5
	v_bfe_i32 v4, v4, 0, 16
	s_delay_alu instid0(VALU_DEP_3) | instskip(NEXT) | instid1(VALU_DEP_3)
	v_add_f32_e32 v8, -0.5, v8
	v_or_b32_e32 v6, 0x70000000, v6
	s_delay_alu instid0(VALU_DEP_1) | instskip(SKIP_1) | instid1(VALU_DEP_2)
	v_mul_f32_e32 v6, 0x7800000, v6
	v_cmp_gt_u32_e32 vcc_lo, 0x8000000, v5
	v_cndmask_b32_e32 v5, v6, v8, vcc_lo
	s_delay_alu instid0(VALU_DEP_1) | instskip(NEXT) | instid1(VALU_DEP_1)
	v_and_or_b32 v4, 0x80000000, v4, v5
	v_cvt_i32_f32_e32 v6, v4
.LBB63_1879:
	s_mov_b32 s9, 0
	s_mov_b32 s8, -1
.LBB63_1880:
	s_and_not1_b32 vcc_lo, exec_lo, s9
	s_mov_b32 s9, 0
	s_cbranch_vccnz .LBB63_1891
; %bb.1881:
	s_cmp_gt_i32 s6, 14
	s_cbranch_scc0 .LBB63_1884
; %bb.1882:
	s_cmp_eq_u32 s6, 15
	s_cbranch_scc0 .LBB63_1887
; %bb.1883:
	global_load_u16 v4, v[0:1], off
	s_mov_b32 s7, 0
	s_mov_b32 s8, -1
	s_wait_loadcnt 0x0
	v_lshlrev_b32_e32 v4, 16, v4
	s_delay_alu instid0(VALU_DEP_1)
	v_cvt_i32_f32_e32 v6, v4
	s_branch .LBB63_1889
.LBB63_1884:
	s_mov_b32 s9, -1
	s_branch .LBB63_1888
.LBB63_1885:
	s_and_not1_saveexec_b32 s8, s8
	s_cbranch_execz .LBB63_1866
.LBB63_1886:
	v_cmp_ne_u16_e32 vcc_lo, 0, v4
	s_and_not1_b32 s9, s9, exec_lo
	s_and_b32 s10, vcc_lo, exec_lo
	s_delay_alu instid0(SALU_CYCLE_1)
	s_or_b32 s9, s9, s10
	s_or_b32 exec_lo, exec_lo, s8
	v_mov_b32_e32 v6, 0
	s_and_saveexec_b32 s8, s9
	s_cbranch_execnz .LBB63_1867
	s_branch .LBB63_1868
.LBB63_1887:
	s_mov_b32 s7, -1
.LBB63_1888:
                                        ; implicit-def: $vgpr6
.LBB63_1889:
	s_and_b32 vcc_lo, exec_lo, s9
	s_mov_b32 s9, 0
	s_cbranch_vccz .LBB63_1891
; %bb.1890:
	s_cmp_lg_u32 s6, 11
	s_mov_b32 s9, -1
	s_cselect_b32 s6, -1, 0
	s_and_not1_b32 s7, s7, exec_lo
	s_and_b32 s6, s6, exec_lo
	s_delay_alu instid0(SALU_CYCLE_1)
	s_or_b32 s7, s7, s6
.LBB63_1891:
	s_mov_b32 s6, 0
.LBB63_1892:
	s_and_not1_b32 s10, s48, exec_lo
	s_and_b32 s11, s7, exec_lo
	s_and_b32 s8, s8, exec_lo
	;; [unrolled: 1-line block ×4, first 2 shown]
	s_or_b32 s48, s10, s11
	s_wait_xcnt 0x0
	s_or_b32 exec_lo, exec_lo, s0
	s_and_saveexec_b32 s0, s48
	s_cbranch_execz .LBB63_1825
.LBB63_1893:
	s_or_b32 s1, s1, exec_lo
	s_and_not1_b32 s7, s7, exec_lo
	s_trap 2
	s_or_b32 exec_lo, exec_lo, s0
	s_and_saveexec_b32 s0, s7
	s_delay_alu instid0(SALU_CYCLE_1)
	s_xor_b32 s0, exec_lo, s0
	s_cbranch_execnz .LBB63_1826
.LBB63_1894:
	s_or_b32 exec_lo, exec_lo, s0
	s_and_saveexec_b32 s0, s6
	s_cbranch_execz .LBB63_1940
.LBB63_1895:
	s_sext_i32_i16 s6, s21
	s_delay_alu instid0(SALU_CYCLE_1)
	s_cmp_lt_i32 s6, 5
	s_cbranch_scc1 .LBB63_1900
; %bb.1896:
	s_cmp_lt_i32 s6, 8
	s_cbranch_scc1 .LBB63_1901
; %bb.1897:
	;; [unrolled: 3-line block ×3, first 2 shown]
	s_cmp_gt_i32 s6, 9
	s_cbranch_scc0 .LBB63_1903
; %bb.1899:
	s_wait_loadcnt 0x0
	global_load_b64 v[4:5], v[0:1], off
	s_mov_b32 s6, 0
	s_wait_loadcnt 0x0
	v_cvt_i32_f64_e32 v6, v[4:5]
	s_branch .LBB63_1904
.LBB63_1900:
                                        ; implicit-def: $vgpr6
	s_branch .LBB63_1921
.LBB63_1901:
                                        ; implicit-def: $vgpr6
	s_branch .LBB63_1910
.LBB63_1902:
	s_mov_b32 s6, -1
                                        ; implicit-def: $vgpr6
	s_branch .LBB63_1907
.LBB63_1903:
	s_mov_b32 s6, -1
                                        ; implicit-def: $vgpr6
.LBB63_1904:
	s_delay_alu instid0(SALU_CYCLE_1)
	s_and_not1_b32 vcc_lo, exec_lo, s6
	s_cbranch_vccnz .LBB63_1906
; %bb.1905:
	s_wait_loadcnt 0x0
	global_load_b32 v4, v[0:1], off
	s_wait_loadcnt 0x0
	v_cvt_i32_f32_e32 v6, v4
.LBB63_1906:
	s_mov_b32 s6, 0
.LBB63_1907:
	s_delay_alu instid0(SALU_CYCLE_1)
	s_and_not1_b32 vcc_lo, exec_lo, s6
	s_cbranch_vccnz .LBB63_1909
; %bb.1908:
	s_wait_loadcnt 0x0
	global_load_b32 v4, v[0:1], off
	s_wait_loadcnt 0x0
	v_cvt_f32_f16_e32 v4, v4
	s_delay_alu instid0(VALU_DEP_1)
	v_cvt_i32_f32_e32 v6, v4
.LBB63_1909:
	s_cbranch_execnz .LBB63_1920
.LBB63_1910:
	s_sext_i32_i16 s6, s21
	s_delay_alu instid0(SALU_CYCLE_1)
	s_cmp_lt_i32 s6, 6
	s_cbranch_scc1 .LBB63_1913
; %bb.1911:
	s_cmp_gt_i32 s6, 6
	s_cbranch_scc0 .LBB63_1914
; %bb.1912:
	s_wait_loadcnt 0x0
	global_load_b64 v[4:5], v[0:1], off
	s_mov_b32 s6, 0
	s_wait_loadcnt 0x0
	v_cvt_i32_f64_e32 v6, v[4:5]
	s_branch .LBB63_1915
.LBB63_1913:
	s_mov_b32 s6, -1
                                        ; implicit-def: $vgpr6
	s_branch .LBB63_1918
.LBB63_1914:
	s_mov_b32 s6, -1
                                        ; implicit-def: $vgpr6
.LBB63_1915:
	s_delay_alu instid0(SALU_CYCLE_1)
	s_and_not1_b32 vcc_lo, exec_lo, s6
	s_cbranch_vccnz .LBB63_1917
; %bb.1916:
	s_wait_loadcnt 0x0
	global_load_b32 v4, v[0:1], off
	s_wait_loadcnt 0x0
	v_cvt_i32_f32_e32 v6, v4
.LBB63_1917:
	s_mov_b32 s6, 0
.LBB63_1918:
	s_delay_alu instid0(SALU_CYCLE_1)
	s_and_not1_b32 vcc_lo, exec_lo, s6
	s_cbranch_vccnz .LBB63_1920
; %bb.1919:
	s_wait_loadcnt 0x0
	global_load_u16 v4, v[0:1], off
	s_wait_loadcnt 0x0
	v_cvt_f32_f16_e32 v4, v4
	s_delay_alu instid0(VALU_DEP_1)
	v_cvt_i32_f32_e32 v6, v4
.LBB63_1920:
	s_cbranch_execnz .LBB63_1939
.LBB63_1921:
	s_sext_i32_i16 s6, s21
	s_delay_alu instid0(SALU_CYCLE_1)
	s_cmp_lt_i32 s6, 2
	s_cbranch_scc1 .LBB63_1925
; %bb.1922:
	s_cmp_lt_i32 s6, 3
	s_cbranch_scc1 .LBB63_1926
; %bb.1923:
	s_cmp_gt_i32 s6, 3
	s_cbranch_scc0 .LBB63_1927
; %bb.1924:
	s_wait_loadcnt 0x0
	global_load_b32 v6, v[0:1], off
	s_mov_b32 s6, 0
	s_branch .LBB63_1928
.LBB63_1925:
                                        ; implicit-def: $vgpr6
	s_branch .LBB63_1934
.LBB63_1926:
	s_mov_b32 s6, -1
                                        ; implicit-def: $vgpr6
	s_branch .LBB63_1931
.LBB63_1927:
	s_mov_b32 s6, -1
                                        ; implicit-def: $vgpr6
.LBB63_1928:
	s_delay_alu instid0(SALU_CYCLE_1)
	s_and_not1_b32 vcc_lo, exec_lo, s6
	s_cbranch_vccnz .LBB63_1930
; %bb.1929:
	s_wait_loadcnt 0x0
	global_load_b32 v6, v[0:1], off
.LBB63_1930:
	s_mov_b32 s6, 0
.LBB63_1931:
	s_delay_alu instid0(SALU_CYCLE_1)
	s_and_not1_b32 vcc_lo, exec_lo, s6
	s_cbranch_vccnz .LBB63_1933
; %bb.1932:
	s_wait_loadcnt 0x0
	global_load_i16 v6, v[0:1], off
.LBB63_1933:
	s_cbranch_execnz .LBB63_1939
.LBB63_1934:
	s_sext_i32_i16 s6, s21
	s_delay_alu instid0(SALU_CYCLE_1)
	s_cmp_gt_i32 s6, 0
	s_mov_b32 s6, 0
	s_cbranch_scc0 .LBB63_1936
; %bb.1935:
	s_wait_loadcnt 0x0
	global_load_i8 v6, v[0:1], off
	s_branch .LBB63_1937
.LBB63_1936:
	s_mov_b32 s6, -1
                                        ; implicit-def: $vgpr6
.LBB63_1937:
	s_delay_alu instid0(SALU_CYCLE_1)
	s_and_not1_b32 vcc_lo, exec_lo, s6
	s_cbranch_vccnz .LBB63_1939
; %bb.1938:
	s_wait_loadcnt 0x0
	global_load_u8 v6, v[0:1], off
.LBB63_1939:
	s_or_b32 s8, s8, exec_lo
.LBB63_1940:
	s_wait_xcnt 0x0
	s_or_b32 exec_lo, exec_lo, s0
	s_mov_b32 s0, 0
	s_mov_b32 s9, 0
                                        ; implicit-def: $sgpr6
                                        ; implicit-def: $vgpr4_vgpr5
                                        ; implicit-def: $vgpr0
	s_and_saveexec_b32 s7, s8
	s_cbranch_execz .LBB63_1948
; %bb.1941:
	s_wait_loadcnt 0x0
	v_mul_lo_u32 v0, v3, s24
	v_mul_lo_u32 v1, v7, s25
	v_mov_b32_e32 v3, 0
	s_and_b32 s6, s26, 0xff
	s_delay_alu instid0(SALU_CYCLE_1) | instskip(NEXT) | instid1(VALU_DEP_1)
	s_cmp_lt_i32 s6, 11
	v_add_nc_u64_e32 v[4:5], s[4:5], v[2:3]
	s_delay_alu instid0(VALU_DEP_3)
	v_mad_u32 v0, v1, v6, v0
	s_cbranch_scc1 .LBB63_1951
; %bb.1942:
	s_and_b32 s4, 0xffff, s6
	s_mov_b32 s5, -1
	s_cmp_gt_i32 s4, 25
	s_mov_b32 s0, s44
	s_cbranch_scc0 .LBB63_1979
; %bb.1943:
	s_cmp_gt_i32 s4, 28
	s_mov_b32 s0, s44
	s_cbranch_scc0 .LBB63_1963
; %bb.1944:
	;; [unrolled: 4-line block ×4, first 2 shown]
	s_cmp_eq_u32 s4, 46
	s_mov_b32 s0, -1
	s_cbranch_scc0 .LBB63_1952
; %bb.1947:
	v_cvt_f32_i32_e32 v1, v0
	s_mov_b32 s0, 0
	s_mov_b32 s5, 0
	s_delay_alu instid0(VALU_DEP_1) | instskip(NEXT) | instid1(VALU_DEP_1)
	v_bfe_u32 v2, v1, 16, 1
	v_add3_u32 v1, v1, v2, 0x7fff
	s_delay_alu instid0(VALU_DEP_1)
	v_lshrrev_b32_e32 v1, 16, v1
	global_store_b32 v[4:5], v1, off
	s_branch .LBB63_1953
.LBB63_1948:
	s_or_b32 exec_lo, exec_lo, s7
	s_and_saveexec_b32 s4, s44
	s_cbranch_execnz .LBB63_2021
.LBB63_1949:
	s_or_b32 exec_lo, exec_lo, s4
	s_and_saveexec_b32 s4, s0
	s_delay_alu instid0(SALU_CYCLE_1)
	s_xor_b32 s0, exec_lo, s4
	s_cbranch_execz .LBB63_2022
.LBB63_1950:
	v_cmp_ne_u32_e32 vcc_lo, 0, v0
	s_wait_loadcnt 0x0
	v_cndmask_b32_e64 v1, 0, 1, vcc_lo
	global_store_b8 v[4:5], v1, off
	s_wait_xcnt 0x0
	s_or_b32 exec_lo, exec_lo, s0
	s_and_saveexec_b32 s0, s9
	s_delay_alu instid0(SALU_CYCLE_1)
	s_xor_b32 s0, exec_lo, s0
	s_cbranch_execz .LBB63_2060
	s_branch .LBB63_2023
.LBB63_1951:
	s_mov_b32 s8, 0
	s_mov_b32 s5, -1
	s_mov_b32 s0, s44
	s_branch .LBB63_2020
.LBB63_1952:
	s_mov_b32 s5, 0
.LBB63_1953:
	s_delay_alu instid0(SALU_CYCLE_1)
	s_and_b32 vcc_lo, exec_lo, s5
	s_cbranch_vccz .LBB63_1958
; %bb.1954:
	s_cmp_eq_u32 s4, 44
	s_mov_b32 s0, -1
	s_cbranch_scc0 .LBB63_1958
; %bb.1955:
	s_wait_xcnt 0x0
	v_cvt_f32_i32_e32 v1, v0
	v_mov_b32_e32 v2, 0xff
	s_mov_b32 s5, exec_lo
	s_delay_alu instid0(VALU_DEP_2) | instskip(NEXT) | instid1(VALU_DEP_1)
	v_bfe_u32 v3, v1, 23, 8
	v_cmpx_ne_u32_e32 0xff, v3
	s_cbranch_execz .LBB63_1957
; %bb.1956:
	v_and_b32_e32 v2, 0x400000, v1
	v_and_or_b32 v3, 0x3fffff, v1, v3
	v_lshrrev_b32_e32 v1, 23, v1
	s_delay_alu instid0(VALU_DEP_3) | instskip(NEXT) | instid1(VALU_DEP_3)
	v_cmp_ne_u32_e32 vcc_lo, 0, v2
	v_cmp_ne_u32_e64 s0, 0, v3
	s_and_b32 s0, vcc_lo, s0
	s_delay_alu instid0(SALU_CYCLE_1) | instskip(NEXT) | instid1(VALU_DEP_1)
	v_cndmask_b32_e64 v2, 0, 1, s0
	v_add_nc_u32_e32 v2, v1, v2
.LBB63_1957:
	s_or_b32 exec_lo, exec_lo, s5
	s_mov_b32 s0, 0
	global_store_b8 v[4:5], v2, off
.LBB63_1958:
	s_mov_b32 s5, 0
.LBB63_1959:
	s_delay_alu instid0(SALU_CYCLE_1)
	s_and_b32 vcc_lo, exec_lo, s5
	s_cbranch_vccz .LBB63_1962
; %bb.1960:
	s_cmp_eq_u32 s4, 29
	s_mov_b32 s0, -1
	s_cbranch_scc0 .LBB63_1962
; %bb.1961:
	s_wait_xcnt 0x0
	v_ashrrev_i32_e32 v1, 31, v0
	s_mov_b32 s0, 0
	s_mov_b32 s5, 0
	global_store_b64 v[4:5], v[0:1], off
	s_branch .LBB63_1963
.LBB63_1962:
	s_mov_b32 s5, 0
.LBB63_1963:
	s_delay_alu instid0(SALU_CYCLE_1)
	s_and_b32 vcc_lo, exec_lo, s5
	s_cbranch_vccz .LBB63_1978
; %bb.1964:
	s_cmp_lt_i32 s4, 27
	s_mov_b32 s5, -1
	s_cbranch_scc1 .LBB63_1970
; %bb.1965:
	s_cmp_gt_i32 s4, 27
	s_cbranch_scc0 .LBB63_1967
; %bb.1966:
	s_mov_b32 s5, 0
	global_store_b32 v[4:5], v0, off
.LBB63_1967:
	s_and_not1_b32 vcc_lo, exec_lo, s5
	s_cbranch_vccnz .LBB63_1969
; %bb.1968:
	global_store_b16 v[4:5], v0, off
.LBB63_1969:
	s_mov_b32 s5, 0
.LBB63_1970:
	s_delay_alu instid0(SALU_CYCLE_1)
	s_and_not1_b32 vcc_lo, exec_lo, s5
	s_cbranch_vccnz .LBB63_1978
; %bb.1971:
	s_wait_xcnt 0x0
	v_cvt_f32_i32_e32 v1, v0
	v_mov_b32_e32 v3, 0x80
	s_mov_b32 s5, exec_lo
	s_delay_alu instid0(VALU_DEP_2) | instskip(NEXT) | instid1(VALU_DEP_1)
	v_and_b32_e32 v2, 0x7fffffff, v1
	v_cmpx_gt_u32_e32 0x43800000, v2
	s_cbranch_execz .LBB63_1977
; %bb.1972:
	v_cmp_lt_u32_e32 vcc_lo, 0x3bffffff, v2
	s_mov_b32 s8, 0
                                        ; implicit-def: $vgpr2
	s_and_saveexec_b32 s9, vcc_lo
	s_delay_alu instid0(SALU_CYCLE_1)
	s_xor_b32 s9, exec_lo, s9
	s_cbranch_execz .LBB63_2119
; %bb.1973:
	v_bfe_u32 v2, v1, 20, 1
	s_mov_b32 s8, exec_lo
	s_delay_alu instid0(VALU_DEP_1) | instskip(NEXT) | instid1(VALU_DEP_1)
	v_add3_u32 v2, v1, v2, 0x487ffff
	v_lshrrev_b32_e32 v2, 20, v2
	s_and_not1_saveexec_b32 s9, s9
	s_cbranch_execnz .LBB63_2120
.LBB63_1974:
	s_or_b32 exec_lo, exec_lo, s9
	v_mov_b32_e32 v3, 0
	s_and_saveexec_b32 s9, s8
.LBB63_1975:
	v_lshrrev_b32_e32 v1, 24, v1
	s_delay_alu instid0(VALU_DEP_1)
	v_and_or_b32 v3, 0x80, v1, v2
.LBB63_1976:
	s_or_b32 exec_lo, exec_lo, s9
.LBB63_1977:
	s_delay_alu instid0(SALU_CYCLE_1)
	s_or_b32 exec_lo, exec_lo, s5
	global_store_b8 v[4:5], v3, off
.LBB63_1978:
	s_mov_b32 s5, 0
.LBB63_1979:
	s_delay_alu instid0(SALU_CYCLE_1)
	s_and_b32 vcc_lo, exec_lo, s5
	s_mov_b32 s5, 0
	s_cbranch_vccz .LBB63_2019
; %bb.1980:
	s_cmp_gt_i32 s4, 22
	s_mov_b32 s8, -1
	s_cbranch_scc0 .LBB63_2012
; %bb.1981:
	s_cmp_lt_i32 s4, 24
	s_cbranch_scc1 .LBB63_2001
; %bb.1982:
	s_cmp_gt_i32 s4, 24
	s_cbranch_scc0 .LBB63_1990
; %bb.1983:
	s_wait_xcnt 0x0
	v_cvt_f32_i32_e32 v1, v0
	v_mov_b32_e32 v3, 0x80
	s_mov_b32 s8, exec_lo
	s_delay_alu instid0(VALU_DEP_2) | instskip(NEXT) | instid1(VALU_DEP_1)
	v_and_b32_e32 v2, 0x7fffffff, v1
	v_cmpx_gt_u32_e32 0x47800000, v2
	s_cbranch_execz .LBB63_1989
; %bb.1984:
	v_cmp_lt_u32_e32 vcc_lo, 0x37ffffff, v2
	s_mov_b32 s9, 0
                                        ; implicit-def: $vgpr2
	s_and_saveexec_b32 s10, vcc_lo
	s_delay_alu instid0(SALU_CYCLE_1)
	s_xor_b32 s10, exec_lo, s10
	s_cbranch_execz .LBB63_2240
; %bb.1985:
	v_bfe_u32 v2, v1, 21, 1
	s_mov_b32 s9, exec_lo
	s_delay_alu instid0(VALU_DEP_1) | instskip(NEXT) | instid1(VALU_DEP_1)
	v_add3_u32 v2, v1, v2, 0x88fffff
	v_lshrrev_b32_e32 v2, 21, v2
	s_and_not1_saveexec_b32 s10, s10
	s_cbranch_execnz .LBB63_2241
.LBB63_1986:
	s_or_b32 exec_lo, exec_lo, s10
	v_mov_b32_e32 v3, 0
	s_and_saveexec_b32 s10, s9
.LBB63_1987:
	v_lshrrev_b32_e32 v1, 24, v1
	s_delay_alu instid0(VALU_DEP_1)
	v_and_or_b32 v3, 0x80, v1, v2
.LBB63_1988:
	s_or_b32 exec_lo, exec_lo, s10
.LBB63_1989:
	s_delay_alu instid0(SALU_CYCLE_1)
	s_or_b32 exec_lo, exec_lo, s8
	s_mov_b32 s8, 0
	global_store_b8 v[4:5], v3, off
.LBB63_1990:
	s_and_b32 vcc_lo, exec_lo, s8
	s_cbranch_vccz .LBB63_2000
; %bb.1991:
	s_wait_xcnt 0x0
	v_cvt_f32_i32_e32 v1, v0
	s_mov_b32 s8, exec_lo
                                        ; implicit-def: $vgpr2
	s_delay_alu instid0(VALU_DEP_1) | instskip(NEXT) | instid1(VALU_DEP_1)
	v_and_b32_e32 v3, 0x7fffffff, v1
	v_cmpx_gt_u32_e32 0x43f00000, v3
	s_xor_b32 s8, exec_lo, s8
	s_cbranch_execz .LBB63_1997
; %bb.1992:
	s_mov_b32 s9, exec_lo
                                        ; implicit-def: $vgpr2
	v_cmpx_lt_u32_e32 0x3c7fffff, v3
	s_xor_b32 s9, exec_lo, s9
; %bb.1993:
	v_bfe_u32 v2, v1, 20, 1
	s_delay_alu instid0(VALU_DEP_1) | instskip(NEXT) | instid1(VALU_DEP_1)
	v_add3_u32 v2, v1, v2, 0x407ffff
	v_and_b32_e32 v3, 0xff00000, v2
	v_lshrrev_b32_e32 v2, 20, v2
	s_delay_alu instid0(VALU_DEP_2) | instskip(NEXT) | instid1(VALU_DEP_2)
	v_cmp_ne_u32_e32 vcc_lo, 0x7f00000, v3
	v_cndmask_b32_e32 v2, 0x7e, v2, vcc_lo
; %bb.1994:
	s_and_not1_saveexec_b32 s9, s9
; %bb.1995:
	v_add_f32_e64 v2, 0x46800000, |v1|
; %bb.1996:
	s_or_b32 exec_lo, exec_lo, s9
                                        ; implicit-def: $vgpr3
.LBB63_1997:
	s_and_not1_saveexec_b32 s8, s8
; %bb.1998:
	v_mov_b32_e32 v2, 0x7f
	v_cmp_lt_u32_e32 vcc_lo, 0x7f800000, v3
	s_delay_alu instid0(VALU_DEP_2)
	v_cndmask_b32_e32 v2, 0x7e, v2, vcc_lo
; %bb.1999:
	s_or_b32 exec_lo, exec_lo, s8
	v_lshrrev_b32_e32 v1, 24, v1
	s_delay_alu instid0(VALU_DEP_1)
	v_and_or_b32 v1, 0x80, v1, v2
	global_store_b8 v[4:5], v1, off
.LBB63_2000:
	s_mov_b32 s8, 0
.LBB63_2001:
	s_delay_alu instid0(SALU_CYCLE_1)
	s_and_not1_b32 vcc_lo, exec_lo, s8
	s_cbranch_vccnz .LBB63_2011
; %bb.2002:
	s_wait_xcnt 0x0
	v_cvt_f32_i32_e32 v1, v0
	s_mov_b32 s8, exec_lo
                                        ; implicit-def: $vgpr2
	s_delay_alu instid0(VALU_DEP_1) | instskip(NEXT) | instid1(VALU_DEP_1)
	v_and_b32_e32 v3, 0x7fffffff, v1
	v_cmpx_gt_u32_e32 0x47800000, v3
	s_xor_b32 s8, exec_lo, s8
	s_cbranch_execz .LBB63_2008
; %bb.2003:
	s_mov_b32 s9, exec_lo
                                        ; implicit-def: $vgpr2
	v_cmpx_lt_u32_e32 0x387fffff, v3
	s_xor_b32 s9, exec_lo, s9
; %bb.2004:
	v_bfe_u32 v2, v1, 21, 1
	s_delay_alu instid0(VALU_DEP_1) | instskip(NEXT) | instid1(VALU_DEP_1)
	v_add3_u32 v2, v1, v2, 0x80fffff
	v_lshrrev_b32_e32 v2, 21, v2
; %bb.2005:
	s_and_not1_saveexec_b32 s9, s9
; %bb.2006:
	v_add_f32_e64 v2, 0x43000000, |v1|
; %bb.2007:
	s_or_b32 exec_lo, exec_lo, s9
                                        ; implicit-def: $vgpr3
.LBB63_2008:
	s_and_not1_saveexec_b32 s8, s8
; %bb.2009:
	v_mov_b32_e32 v2, 0x7f
	v_cmp_lt_u32_e32 vcc_lo, 0x7f800000, v3
	s_delay_alu instid0(VALU_DEP_2)
	v_cndmask_b32_e32 v2, 0x7c, v2, vcc_lo
; %bb.2010:
	s_or_b32 exec_lo, exec_lo, s8
	v_lshrrev_b32_e32 v1, 24, v1
	s_delay_alu instid0(VALU_DEP_1)
	v_and_or_b32 v1, 0x80, v1, v2
	global_store_b8 v[4:5], v1, off
.LBB63_2011:
	s_mov_b32 s8, 0
.LBB63_2012:
	s_delay_alu instid0(SALU_CYCLE_1)
	s_and_not1_b32 vcc_lo, exec_lo, s8
	s_mov_b32 s8, 0
	s_cbranch_vccnz .LBB63_2020
; %bb.2013:
	s_cmp_gt_i32 s4, 14
	s_mov_b32 s8, -1
	s_cbranch_scc0 .LBB63_2017
; %bb.2014:
	s_cmp_eq_u32 s4, 15
	s_mov_b32 s0, -1
	s_cbranch_scc0 .LBB63_2016
; %bb.2015:
	s_wait_xcnt 0x0
	v_cvt_f32_i32_e32 v1, v0
	s_mov_b32 s0, 0
	s_delay_alu instid0(VALU_DEP_1) | instskip(NEXT) | instid1(VALU_DEP_1)
	v_bfe_u32 v2, v1, 16, 1
	v_add3_u32 v1, v1, v2, 0x7fff
	global_store_d16_hi_b16 v[4:5], v1, off
.LBB63_2016:
	s_mov_b32 s8, 0
.LBB63_2017:
	s_delay_alu instid0(SALU_CYCLE_1)
	s_and_b32 vcc_lo, exec_lo, s8
	s_mov_b32 s8, 0
	s_cbranch_vccz .LBB63_2020
; %bb.2018:
	s_cmp_lg_u32 s4, 11
	s_mov_b32 s8, -1
	s_cselect_b32 s4, -1, 0
	s_and_not1_b32 s0, s0, exec_lo
	s_and_b32 s4, s4, exec_lo
	s_delay_alu instid0(SALU_CYCLE_1)
	s_or_b32 s0, s0, s4
	s_branch .LBB63_2020
.LBB63_2019:
	s_mov_b32 s8, 0
.LBB63_2020:
	s_and_b32 s9, s5, exec_lo
	s_and_not1_b32 s4, s44, exec_lo
	s_and_b32 s5, s0, exec_lo
	s_and_b32 s0, s8, exec_lo
	s_or_b32 s44, s4, s5
	s_wait_xcnt 0x0
	s_or_b32 exec_lo, exec_lo, s7
	s_and_saveexec_b32 s4, s44
	s_cbranch_execz .LBB63_1949
.LBB63_2021:
	s_or_b32 s1, s1, exec_lo
	s_and_not1_b32 s0, s0, exec_lo
	s_trap 2
	s_or_b32 exec_lo, exec_lo, s4
	s_and_saveexec_b32 s4, s0
	s_delay_alu instid0(SALU_CYCLE_1)
	s_xor_b32 s0, exec_lo, s4
	s_cbranch_execnz .LBB63_1950
.LBB63_2022:
	s_or_b32 exec_lo, exec_lo, s0
	s_and_saveexec_b32 s0, s9
	s_delay_alu instid0(SALU_CYCLE_1)
	s_xor_b32 s0, exec_lo, s0
	s_cbranch_execz .LBB63_2060
.LBB63_2023:
	s_sext_i32_i16 s5, s6
	s_mov_b32 s4, -1
	s_cmp_lt_i32 s5, 5
	s_cbranch_scc1 .LBB63_2044
; %bb.2024:
	s_cmp_lt_i32 s5, 8
	s_cbranch_scc1 .LBB63_2034
; %bb.2025:
	;; [unrolled: 3-line block ×3, first 2 shown]
	s_cmp_gt_i32 s5, 9
	s_cbranch_scc0 .LBB63_2028
; %bb.2027:
	s_wait_loadcnt 0x0
	v_cvt_f64_i32_e32 v[6:7], v0
	v_mov_b32_e32 v8, 0
	s_mov_b32 s4, 0
	s_delay_alu instid0(VALU_DEP_1)
	v_mov_b32_e32 v9, v8
	global_store_b128 v[4:5], v[6:9], off
.LBB63_2028:
	s_and_not1_b32 vcc_lo, exec_lo, s4
	s_cbranch_vccnz .LBB63_2030
; %bb.2029:
	v_cvt_f32_i32_e32 v2, v0
	s_wait_loadcnt 0x0
	v_mov_b32_e32 v3, 0
	global_store_b64 v[4:5], v[2:3], off
.LBB63_2030:
	s_mov_b32 s4, 0
.LBB63_2031:
	s_delay_alu instid0(SALU_CYCLE_1)
	s_and_not1_b32 vcc_lo, exec_lo, s4
	s_cbranch_vccnz .LBB63_2033
; %bb.2032:
	s_wait_loadcnt 0x0
	v_cvt_f32_i32_e32 v1, v0
	s_delay_alu instid0(VALU_DEP_1) | instskip(NEXT) | instid1(VALU_DEP_1)
	v_cvt_f16_f32_e32 v1, v1
	v_and_b32_e32 v1, 0xffff, v1
	global_store_b32 v[4:5], v1, off
.LBB63_2033:
	s_mov_b32 s4, 0
.LBB63_2034:
	s_delay_alu instid0(SALU_CYCLE_1)
	s_and_not1_b32 vcc_lo, exec_lo, s4
	s_cbranch_vccnz .LBB63_2043
; %bb.2035:
	s_sext_i32_i16 s5, s6
	s_mov_b32 s4, -1
	s_cmp_lt_i32 s5, 6
	s_cbranch_scc1 .LBB63_2041
; %bb.2036:
	s_cmp_gt_i32 s5, 6
	s_cbranch_scc0 .LBB63_2038
; %bb.2037:
	s_wait_loadcnt 0x0
	v_cvt_f64_i32_e32 v[2:3], v0
	s_mov_b32 s4, 0
	global_store_b64 v[4:5], v[2:3], off
.LBB63_2038:
	s_and_not1_b32 vcc_lo, exec_lo, s4
	s_cbranch_vccnz .LBB63_2040
; %bb.2039:
	s_wait_loadcnt 0x0
	v_cvt_f32_i32_e32 v1, v0
	global_store_b32 v[4:5], v1, off
.LBB63_2040:
	s_mov_b32 s4, 0
.LBB63_2041:
	s_delay_alu instid0(SALU_CYCLE_1)
	s_and_not1_b32 vcc_lo, exec_lo, s4
	s_cbranch_vccnz .LBB63_2043
; %bb.2042:
	s_wait_loadcnt 0x0
	v_cvt_f32_i32_e32 v1, v0
	s_delay_alu instid0(VALU_DEP_1)
	v_cvt_f16_f32_e32 v1, v1
	global_store_b16 v[4:5], v1, off
.LBB63_2043:
	s_mov_b32 s4, 0
.LBB63_2044:
	s_delay_alu instid0(SALU_CYCLE_1)
	s_and_not1_b32 vcc_lo, exec_lo, s4
	s_cbranch_vccnz .LBB63_2060
; %bb.2045:
	s_sext_i32_i16 s5, s6
	s_mov_b32 s4, -1
	s_cmp_lt_i32 s5, 2
	s_cbranch_scc1 .LBB63_2055
; %bb.2046:
	s_cmp_lt_i32 s5, 3
	s_cbranch_scc1 .LBB63_2052
; %bb.2047:
	s_cmp_gt_i32 s5, 3
	s_cbranch_scc0 .LBB63_2049
; %bb.2048:
	s_wait_loadcnt 0x0
	v_ashrrev_i32_e32 v1, 31, v0
	s_mov_b32 s4, 0
	global_store_b64 v[4:5], v[0:1], off
.LBB63_2049:
	s_and_not1_b32 vcc_lo, exec_lo, s4
	s_cbranch_vccnz .LBB63_2051
; %bb.2050:
	global_store_b32 v[4:5], v0, off
.LBB63_2051:
	s_mov_b32 s4, 0
.LBB63_2052:
	s_delay_alu instid0(SALU_CYCLE_1)
	s_and_not1_b32 vcc_lo, exec_lo, s4
	s_cbranch_vccnz .LBB63_2054
; %bb.2053:
	global_store_b16 v[4:5], v0, off
.LBB63_2054:
	s_mov_b32 s4, 0
.LBB63_2055:
	s_delay_alu instid0(SALU_CYCLE_1)
	s_and_not1_b32 vcc_lo, exec_lo, s4
	s_cbranch_vccnz .LBB63_2060
; %bb.2056:
	s_sext_i32_i16 s4, s6
	s_delay_alu instid0(SALU_CYCLE_1)
	s_cmp_gt_i32 s4, 0
	s_mov_b32 s4, -1
	s_cbranch_scc0 .LBB63_2058
; %bb.2057:
	s_mov_b32 s4, 0
	global_store_b8 v[4:5], v0, off
.LBB63_2058:
	s_and_not1_b32 vcc_lo, exec_lo, s4
	s_cbranch_vccnz .LBB63_2060
; %bb.2059:
	global_store_b8 v[4:5], v0, off
.LBB63_2060:
	s_wait_xcnt 0x0
	s_or_b32 exec_lo, exec_lo, s0
	s_delay_alu instid0(SALU_CYCLE_1)
	s_and_b32 s11, s1, exec_lo
                                        ; implicit-def: $vgpr1
                                        ; implicit-def: $vgpr0
.LBB63_2061:
	s_or_saveexec_b32 s12, s40
	s_mov_b32 s0, 0
                                        ; implicit-def: $vgpr2_vgpr3
                                        ; implicit-def: $sgpr1
                                        ; implicit-def: $vgpr4
	s_xor_b32 exec_lo, exec_lo, s12
	s_cbranch_execz .LBB63_4060
; %bb.2062:
	s_wait_loadcnt 0x0
	v_cndmask_b32_e64 v3, 0, 1, s39
	s_and_not1_b32 vcc_lo, exec_lo, s39
	s_cbranch_vccnz .LBB63_2068
; %bb.2063:
	s_cmp_lg_u32 s27, 0
	s_mov_b32 s6, 0
	s_cbranch_scc0 .LBB63_2072
; %bb.2064:
	s_min_u32 s7, s33, 15
	v_dual_mov_b32 v28, 0 :: v_dual_mov_b32 v2, v0
	v_dual_mov_b32 v26, 0 :: v_dual_mov_b32 v6, 0
	v_mov_b32_e32 v30, 0
	s_add_co_i32 s4, s7, 1
	s_mov_b64 s[0:1], 0xffffffffffffffe0
	s_and_b32 s8, s4, 30
	s_add_nc_u64 s[0:1], s[2:3], s[0:1]
	s_mov_b64 s[4:5], s[2:3]
.LBB63_2065:                            ; =>This Inner Loop Header: Depth=1
	s_clause 0x1
	s_load_b128 s[28:31], s[4:5], 0x4
	s_load_b64 s[14:15], s[4:5], 0x14
	s_load_b256 s[16:23], s[0:1], 0xe4
	s_add_co_i32 s8, s8, -2
	s_wait_xcnt 0x0
	s_add_nc_u64 s[4:5], s[4:5], 24
	s_cmp_lg_u32 s8, 0
	s_add_nc_u64 s[0:1], s[0:1], 32
	s_wait_kmcnt 0x0
	v_mul_hi_u32 v4, s29, v2
	s_delay_alu instid0(VALU_DEP_1) | instskip(NEXT) | instid1(VALU_DEP_1)
	v_add_nc_u32_e32 v4, v2, v4
	v_lshrrev_b32_e32 v4, s30, v4
	s_delay_alu instid0(VALU_DEP_1) | instskip(SKIP_1) | instid1(VALU_DEP_1)
	v_mul_hi_u32 v5, s14, v4
	v_mul_lo_u32 v7, v4, s28
	v_dual_add_nc_u32 v5, v4, v5 :: v_dual_sub_nc_u32 v7, v2, v7
	s_delay_alu instid0(VALU_DEP_1) | instskip(NEXT) | instid1(VALU_DEP_2)
	v_lshrrev_b32_e32 v2, s15, v5
	v_mad_u32 v8, v7, s17, v30
	v_mad_u32 v6, v7, s16, v6
	;; [unrolled: 1-line block ×4, first 2 shown]
	v_mul_lo_u32 v5, v2, s31
	s_delay_alu instid0(VALU_DEP_1) | instskip(NEXT) | instid1(VALU_DEP_1)
	v_sub_nc_u32_e32 v4, v4, v5
	v_mad_u32 v30, v4, s21, v8
	v_mad_u32 v6, v4, s20, v6
	;; [unrolled: 1-line block ×4, first 2 shown]
	s_cbranch_scc1 .LBB63_2065
; %bb.2066:
	s_bitcmp1_b32 s7, 0
	s_cselect_b32 s7, -1, 0
	s_delay_alu instid0(SALU_CYCLE_1)
	s_and_b32 vcc_lo, exec_lo, s7
	s_cbranch_vccnz .LBB63_2069
; %bb.2067:
	s_load_b96 s[8:10], s[4:5], 0x4
	s_load_b128 s[16:19], s[0:1], 0xe4
	s_wait_kmcnt 0x0
	v_mul_hi_u32 v4, s9, v2
	s_delay_alu instid0(VALU_DEP_1) | instskip(NEXT) | instid1(VALU_DEP_1)
	v_add_nc_u32_e32 v4, v2, v4
	v_lshrrev_b32_e32 v4, s10, v4
	s_delay_alu instid0(VALU_DEP_1) | instskip(NEXT) | instid1(VALU_DEP_1)
	v_mul_lo_u32 v4, v4, s8
	v_sub_nc_u32_e32 v2, v2, v4
	s_delay_alu instid0(VALU_DEP_1)
	v_mad_u32 v6, v2, s16, v6
	v_mad_u32 v30, v2, s17, v30
	v_mad_u32 v28, v2, s18, v28
	v_mad_u32 v26, v2, s19, v26
	s_and_not1_b32 vcc_lo, exec_lo, s6
	s_cbranch_vccz .LBB63_2070
	s_branch .LBB63_2073
.LBB63_2068:
	s_mov_b32 s6, -1
                                        ; implicit-def: $vgpr30
                                        ; implicit-def: $vgpr6
                                        ; implicit-def: $vgpr26
                                        ; implicit-def: $vgpr28
.LBB63_2069:
	s_delay_alu instid0(SALU_CYCLE_1)
	s_and_not1_b32 vcc_lo, exec_lo, s6
	s_cbranch_vccnz .LBB63_2073
.LBB63_2070:
	s_clause 0x1
	s_load_b96 s[8:10], s[2:3], 0x4
	s_load_b128 s[4:7], s[2:3], 0xc4
	s_cmp_lt_u32 s27, 2
	s_wait_kmcnt 0x0
	v_mul_hi_u32 v2, s9, v0
	s_delay_alu instid0(VALU_DEP_1) | instskip(NEXT) | instid1(VALU_DEP_1)
	v_add_nc_u32_e32 v2, v0, v2
	v_lshrrev_b32_e32 v2, s10, v2
	s_delay_alu instid0(VALU_DEP_1) | instskip(NEXT) | instid1(VALU_DEP_1)
	v_mul_lo_u32 v4, v2, s8
	v_sub_nc_u32_e32 v4, v0, v4
	s_delay_alu instid0(VALU_DEP_1)
	v_mul_lo_u32 v30, v4, s5
	v_mul_lo_u32 v6, v4, s4
	;; [unrolled: 1-line block ×4, first 2 shown]
	s_cbranch_scc1 .LBB63_2073
; %bb.2071:
	s_clause 0x1
	s_load_b96 s[8:10], s[2:3], 0x10
	s_load_b128 s[4:7], s[2:3], 0xd4
	s_wait_kmcnt 0x0
	v_mul_hi_u32 v4, s9, v2
	s_delay_alu instid0(VALU_DEP_1) | instskip(NEXT) | instid1(VALU_DEP_1)
	v_add_nc_u32_e32 v4, v2, v4
	v_lshrrev_b32_e32 v4, s10, v4
	s_delay_alu instid0(VALU_DEP_1) | instskip(NEXT) | instid1(VALU_DEP_1)
	v_mul_lo_u32 v4, v4, s8
	v_sub_nc_u32_e32 v2, v2, v4
	s_delay_alu instid0(VALU_DEP_1)
	v_mad_u32 v6, v2, s4, v6
	v_mad_u32 v30, v2, s5, v30
	v_mad_u32 v28, v2, s6, v28
	v_mad_u32 v26, v2, s7, v26
	s_branch .LBB63_2073
.LBB63_2072:
	v_dual_mov_b32 v30, 0 :: v_dual_mov_b32 v6, 0
	v_dual_mov_b32 v26, 0 :: v_dual_mov_b32 v28, 0
	s_and_not1_b32 vcc_lo, exec_lo, s6
	s_cbranch_vccz .LBB63_2070
.LBB63_2073:
	v_cmp_ne_u32_e32 vcc_lo, 1, v3
	v_add_nc_u32_e32 v2, 0x80, v0
	s_cbranch_vccnz .LBB63_2079
; %bb.2074:
	s_cmp_lg_u32 s27, 0
	s_mov_b32 s6, 0
	s_cbranch_scc0 .LBB63_2083
; %bb.2075:
	s_min_u32 s7, s33, 15
	v_dual_mov_b32 v22, 0 :: v_dual_mov_b32 v5, v2
	v_dual_mov_b32 v20, 0 :: v_dual_mov_b32 v4, 0
	v_mov_b32_e32 v24, 0
	s_add_co_i32 s4, s7, 1
	s_mov_b64 s[0:1], 0xffffffffffffffe0
	s_and_b32 s8, s4, 30
	s_add_nc_u64 s[0:1], s[2:3], s[0:1]
	s_mov_b64 s[4:5], s[2:3]
.LBB63_2076:                            ; =>This Inner Loop Header: Depth=1
	s_clause 0x1
	s_load_b128 s[28:31], s[4:5], 0x4
	s_load_b64 s[14:15], s[4:5], 0x14
	s_load_b256 s[16:23], s[0:1], 0xe4
	s_add_co_i32 s8, s8, -2
	s_wait_xcnt 0x0
	s_add_nc_u64 s[4:5], s[4:5], 24
	s_cmp_lg_u32 s8, 0
	s_add_nc_u64 s[0:1], s[0:1], 32
	s_wait_kmcnt 0x0
	v_mul_hi_u32 v7, s29, v5
	s_delay_alu instid0(VALU_DEP_1) | instskip(NEXT) | instid1(VALU_DEP_1)
	v_add_nc_u32_e32 v7, v5, v7
	v_lshrrev_b32_e32 v7, s30, v7
	s_delay_alu instid0(VALU_DEP_1) | instskip(SKIP_1) | instid1(VALU_DEP_1)
	v_mul_hi_u32 v8, s14, v7
	v_mul_lo_u32 v9, v7, s28
	v_dual_add_nc_u32 v8, v7, v8 :: v_dual_sub_nc_u32 v9, v5, v9
	s_delay_alu instid0(VALU_DEP_1) | instskip(NEXT) | instid1(VALU_DEP_2)
	v_lshrrev_b32_e32 v5, s15, v8
	v_mad_u32 v10, v9, s17, v24
	v_mad_u32 v4, v9, s16, v4
	;; [unrolled: 1-line block ×4, first 2 shown]
	v_mul_lo_u32 v8, v5, s31
	s_delay_alu instid0(VALU_DEP_1) | instskip(NEXT) | instid1(VALU_DEP_1)
	v_sub_nc_u32_e32 v7, v7, v8
	v_mad_u32 v24, v7, s21, v10
	v_mad_u32 v4, v7, s20, v4
	;; [unrolled: 1-line block ×4, first 2 shown]
	s_cbranch_scc1 .LBB63_2076
; %bb.2077:
	s_bitcmp1_b32 s7, 0
	s_cselect_b32 s7, -1, 0
	s_delay_alu instid0(SALU_CYCLE_1)
	s_and_b32 vcc_lo, exec_lo, s7
	s_cbranch_vccnz .LBB63_2080
; %bb.2078:
	s_load_b96 s[8:10], s[4:5], 0x4
	s_load_b128 s[16:19], s[0:1], 0xe4
	s_wait_kmcnt 0x0
	v_mul_hi_u32 v7, s9, v5
	s_delay_alu instid0(VALU_DEP_1) | instskip(NEXT) | instid1(VALU_DEP_1)
	v_add_nc_u32_e32 v7, v5, v7
	v_lshrrev_b32_e32 v7, s10, v7
	s_delay_alu instid0(VALU_DEP_1) | instskip(NEXT) | instid1(VALU_DEP_1)
	v_mul_lo_u32 v7, v7, s8
	v_sub_nc_u32_e32 v5, v5, v7
	s_delay_alu instid0(VALU_DEP_1)
	v_mad_u32 v4, v5, s16, v4
	v_mad_u32 v24, v5, s17, v24
	;; [unrolled: 1-line block ×4, first 2 shown]
	s_and_not1_b32 vcc_lo, exec_lo, s6
	s_cbranch_vccz .LBB63_2081
	s_branch .LBB63_2084
.LBB63_2079:
	s_mov_b32 s6, -1
                                        ; implicit-def: $vgpr24
                                        ; implicit-def: $vgpr4
                                        ; implicit-def: $vgpr20
                                        ; implicit-def: $vgpr22
.LBB63_2080:
	s_delay_alu instid0(SALU_CYCLE_1)
	s_and_not1_b32 vcc_lo, exec_lo, s6
	s_cbranch_vccnz .LBB63_2084
.LBB63_2081:
	s_clause 0x1
	s_load_b96 s[8:10], s[2:3], 0x4
	s_load_b128 s[4:7], s[2:3], 0xc4
	s_cmp_lt_u32 s27, 2
	s_wait_kmcnt 0x0
	v_mul_hi_u32 v4, s9, v2
	s_delay_alu instid0(VALU_DEP_1) | instskip(NEXT) | instid1(VALU_DEP_1)
	v_add_nc_u32_e32 v4, v2, v4
	v_lshrrev_b32_e32 v5, s10, v4
	s_delay_alu instid0(VALU_DEP_1) | instskip(NEXT) | instid1(VALU_DEP_1)
	v_mul_lo_u32 v4, v5, s8
	v_sub_nc_u32_e32 v2, v2, v4
	s_delay_alu instid0(VALU_DEP_1)
	v_mul_lo_u32 v24, v2, s5
	v_mul_lo_u32 v4, v2, s4
	;; [unrolled: 1-line block ×4, first 2 shown]
	s_cbranch_scc1 .LBB63_2084
; %bb.2082:
	s_clause 0x1
	s_load_b96 s[8:10], s[2:3], 0x10
	s_load_b128 s[4:7], s[2:3], 0xd4
	s_wait_kmcnt 0x0
	v_mul_hi_u32 v2, s9, v5
	s_delay_alu instid0(VALU_DEP_1) | instskip(NEXT) | instid1(VALU_DEP_1)
	v_add_nc_u32_e32 v2, v5, v2
	v_lshrrev_b32_e32 v2, s10, v2
	s_delay_alu instid0(VALU_DEP_1) | instskip(NEXT) | instid1(VALU_DEP_1)
	v_mul_lo_u32 v2, v2, s8
	v_sub_nc_u32_e32 v2, v5, v2
	s_delay_alu instid0(VALU_DEP_1)
	v_mad_u32 v4, v2, s4, v4
	v_mad_u32 v24, v2, s5, v24
	;; [unrolled: 1-line block ×4, first 2 shown]
	s_branch .LBB63_2084
.LBB63_2083:
	v_dual_mov_b32 v24, 0 :: v_dual_mov_b32 v4, 0
	v_dual_mov_b32 v20, 0 :: v_dual_mov_b32 v22, 0
	s_and_not1_b32 vcc_lo, exec_lo, s6
	s_cbranch_vccz .LBB63_2081
.LBB63_2084:
	v_cmp_ne_u32_e32 vcc_lo, 1, v3
	v_add_nc_u32_e32 v0, 0x100, v0
	s_cbranch_vccnz .LBB63_2090
; %bb.2085:
	s_cmp_lg_u32 s27, 0
	s_mov_b32 s6, 0
	s_cbranch_scc0 .LBB63_2094
; %bb.2086:
	s_min_u32 s7, s33, 15
	v_dual_mov_b32 v16, 0 :: v_dual_mov_b32 v5, v0
	v_dual_mov_b32 v14, 0 :: v_dual_mov_b32 v2, 0
	v_mov_b32_e32 v18, 0
	s_add_co_i32 s4, s7, 1
	s_mov_b64 s[0:1], 0xffffffffffffffe0
	s_and_b32 s8, s4, 30
	s_add_nc_u64 s[0:1], s[2:3], s[0:1]
	s_mov_b64 s[4:5], s[2:3]
.LBB63_2087:                            ; =>This Inner Loop Header: Depth=1
	s_clause 0x1
	s_load_b128 s[28:31], s[4:5], 0x4
	s_load_b64 s[14:15], s[4:5], 0x14
	s_load_b256 s[16:23], s[0:1], 0xe4
	s_add_co_i32 s8, s8, -2
	s_wait_xcnt 0x0
	s_add_nc_u64 s[4:5], s[4:5], 24
	s_cmp_lg_u32 s8, 0
	s_add_nc_u64 s[0:1], s[0:1], 32
	s_wait_kmcnt 0x0
	v_mul_hi_u32 v7, s29, v5
	s_delay_alu instid0(VALU_DEP_1) | instskip(NEXT) | instid1(VALU_DEP_1)
	v_add_nc_u32_e32 v7, v5, v7
	v_lshrrev_b32_e32 v7, s30, v7
	s_delay_alu instid0(VALU_DEP_1) | instskip(SKIP_1) | instid1(VALU_DEP_1)
	v_mul_hi_u32 v8, s14, v7
	v_mul_lo_u32 v9, v7, s28
	v_dual_add_nc_u32 v8, v7, v8 :: v_dual_sub_nc_u32 v9, v5, v9
	s_delay_alu instid0(VALU_DEP_1) | instskip(NEXT) | instid1(VALU_DEP_2)
	v_lshrrev_b32_e32 v5, s15, v8
	v_mad_u32 v10, v9, s17, v18
	v_mad_u32 v2, v9, s16, v2
	;; [unrolled: 1-line block ×4, first 2 shown]
	v_mul_lo_u32 v8, v5, s31
	s_delay_alu instid0(VALU_DEP_1) | instskip(NEXT) | instid1(VALU_DEP_1)
	v_sub_nc_u32_e32 v7, v7, v8
	v_mad_u32 v18, v7, s21, v10
	v_mad_u32 v2, v7, s20, v2
	;; [unrolled: 1-line block ×4, first 2 shown]
	s_cbranch_scc1 .LBB63_2087
; %bb.2088:
	s_bitcmp1_b32 s7, 0
	s_cselect_b32 s7, -1, 0
	s_delay_alu instid0(SALU_CYCLE_1)
	s_and_b32 vcc_lo, exec_lo, s7
	s_cbranch_vccnz .LBB63_2091
; %bb.2089:
	s_load_b96 s[8:10], s[4:5], 0x4
	s_load_b128 s[16:19], s[0:1], 0xe4
	s_wait_kmcnt 0x0
	v_mul_hi_u32 v7, s9, v5
	s_delay_alu instid0(VALU_DEP_1) | instskip(NEXT) | instid1(VALU_DEP_1)
	v_add_nc_u32_e32 v7, v5, v7
	v_lshrrev_b32_e32 v7, s10, v7
	s_delay_alu instid0(VALU_DEP_1) | instskip(NEXT) | instid1(VALU_DEP_1)
	v_mul_lo_u32 v7, v7, s8
	v_sub_nc_u32_e32 v5, v5, v7
	s_delay_alu instid0(VALU_DEP_1)
	v_mad_u32 v2, v5, s16, v2
	v_mad_u32 v18, v5, s17, v18
	;; [unrolled: 1-line block ×4, first 2 shown]
	s_and_not1_b32 vcc_lo, exec_lo, s6
	s_cbranch_vccz .LBB63_2092
	s_branch .LBB63_2095
.LBB63_2090:
	s_mov_b32 s6, -1
                                        ; implicit-def: $vgpr18
                                        ; implicit-def: $vgpr2
                                        ; implicit-def: $vgpr14
                                        ; implicit-def: $vgpr16
.LBB63_2091:
	s_delay_alu instid0(SALU_CYCLE_1)
	s_and_not1_b32 vcc_lo, exec_lo, s6
	s_cbranch_vccnz .LBB63_2095
.LBB63_2092:
	s_clause 0x1
	s_load_b96 s[8:10], s[2:3], 0x4
	s_load_b128 s[4:7], s[2:3], 0xc4
	s_cmp_lt_u32 s27, 2
	s_wait_kmcnt 0x0
	v_mul_hi_u32 v2, s9, v0
	s_delay_alu instid0(VALU_DEP_1) | instskip(NEXT) | instid1(VALU_DEP_1)
	v_add_nc_u32_e32 v2, v0, v2
	v_lshrrev_b32_e32 v5, s10, v2
	s_delay_alu instid0(VALU_DEP_1) | instskip(NEXT) | instid1(VALU_DEP_1)
	v_mul_lo_u32 v2, v5, s8
	v_sub_nc_u32_e32 v0, v0, v2
	s_delay_alu instid0(VALU_DEP_1)
	v_mul_lo_u32 v18, v0, s5
	v_mul_lo_u32 v2, v0, s4
	;; [unrolled: 1-line block ×4, first 2 shown]
	s_cbranch_scc1 .LBB63_2095
; %bb.2093:
	s_clause 0x1
	s_load_b96 s[8:10], s[2:3], 0x10
	s_load_b128 s[4:7], s[2:3], 0xd4
	s_wait_kmcnt 0x0
	v_mul_hi_u32 v0, s9, v5
	s_delay_alu instid0(VALU_DEP_1) | instskip(NEXT) | instid1(VALU_DEP_1)
	v_add_nc_u32_e32 v0, v5, v0
	v_lshrrev_b32_e32 v0, s10, v0
	s_delay_alu instid0(VALU_DEP_1) | instskip(NEXT) | instid1(VALU_DEP_1)
	v_mul_lo_u32 v0, v0, s8
	v_sub_nc_u32_e32 v0, v5, v0
	s_delay_alu instid0(VALU_DEP_1)
	v_mad_u32 v2, v0, s4, v2
	v_mad_u32 v18, v0, s5, v18
	;; [unrolled: 1-line block ×4, first 2 shown]
	s_branch .LBB63_2095
.LBB63_2094:
	v_dual_mov_b32 v18, 0 :: v_dual_mov_b32 v2, 0
	v_dual_mov_b32 v14, 0 :: v_dual_mov_b32 v16, 0
	s_and_not1_b32 vcc_lo, exec_lo, s6
	s_cbranch_vccz .LBB63_2092
.LBB63_2095:
	v_cmp_ne_u32_e32 vcc_lo, 1, v3
	s_cbranch_vccnz .LBB63_2101
; %bb.2096:
	s_cmp_lg_u32 s27, 0
	s_mov_b32 s6, 0
	s_cbranch_scc0 .LBB63_2105
; %bb.2097:
	s_min_u32 s7, s33, 15
	v_dual_mov_b32 v10, 0 :: v_dual_mov_b32 v3, v1
	v_dual_mov_b32 v8, 0 :: v_dual_mov_b32 v0, 0
	v_mov_b32_e32 v12, 0
	s_add_co_i32 s4, s7, 1
	s_mov_b64 s[0:1], 0xffffffffffffffe0
	s_and_b32 s8, s4, 30
	s_add_nc_u64 s[0:1], s[2:3], s[0:1]
	s_mov_b64 s[4:5], s[2:3]
.LBB63_2098:                            ; =>This Inner Loop Header: Depth=1
	s_clause 0x1
	s_load_b128 s[28:31], s[4:5], 0x4
	s_load_b64 s[14:15], s[4:5], 0x14
	s_load_b256 s[16:23], s[0:1], 0xe4
	s_add_co_i32 s8, s8, -2
	s_wait_xcnt 0x0
	s_add_nc_u64 s[4:5], s[4:5], 24
	s_cmp_lg_u32 s8, 0
	s_add_nc_u64 s[0:1], s[0:1], 32
	s_wait_kmcnt 0x0
	v_mul_hi_u32 v5, s29, v3
	s_delay_alu instid0(VALU_DEP_1) | instskip(NEXT) | instid1(VALU_DEP_1)
	v_add_nc_u32_e32 v5, v3, v5
	v_lshrrev_b32_e32 v5, s30, v5
	s_delay_alu instid0(VALU_DEP_1) | instskip(SKIP_1) | instid1(VALU_DEP_1)
	v_mul_hi_u32 v7, s14, v5
	v_mul_lo_u32 v9, v5, s28
	v_dual_add_nc_u32 v7, v5, v7 :: v_dual_sub_nc_u32 v9, v3, v9
	s_delay_alu instid0(VALU_DEP_1) | instskip(NEXT) | instid1(VALU_DEP_2)
	v_lshrrev_b32_e32 v3, s15, v7
	v_mad_u32 v11, v9, s17, v12
	v_mad_u32 v0, v9, s16, v0
	;; [unrolled: 1-line block ×4, first 2 shown]
	v_mul_lo_u32 v7, v3, s31
	s_delay_alu instid0(VALU_DEP_1) | instskip(NEXT) | instid1(VALU_DEP_1)
	v_sub_nc_u32_e32 v5, v5, v7
	v_mad_u32 v12, v5, s21, v11
	v_mad_u32 v0, v5, s20, v0
	;; [unrolled: 1-line block ×4, first 2 shown]
	s_cbranch_scc1 .LBB63_2098
; %bb.2099:
	s_bitcmp1_b32 s7, 0
	s_cselect_b32 s7, -1, 0
	s_delay_alu instid0(SALU_CYCLE_1)
	s_and_b32 vcc_lo, exec_lo, s7
	s_cbranch_vccnz .LBB63_2102
; %bb.2100:
	s_load_b96 s[8:10], s[4:5], 0x4
	s_load_b128 s[16:19], s[0:1], 0xe4
	s_wait_kmcnt 0x0
	v_mul_hi_u32 v5, s9, v3
	s_delay_alu instid0(VALU_DEP_1) | instskip(NEXT) | instid1(VALU_DEP_1)
	v_add_nc_u32_e32 v5, v3, v5
	v_lshrrev_b32_e32 v5, s10, v5
	s_delay_alu instid0(VALU_DEP_1) | instskip(NEXT) | instid1(VALU_DEP_1)
	v_mul_lo_u32 v5, v5, s8
	v_sub_nc_u32_e32 v3, v3, v5
	s_delay_alu instid0(VALU_DEP_1)
	v_mad_u32 v0, v3, s16, v0
	v_mad_u32 v12, v3, s17, v12
	;; [unrolled: 1-line block ×4, first 2 shown]
	s_and_not1_b32 vcc_lo, exec_lo, s6
	s_cbranch_vccz .LBB63_2103
	s_branch .LBB63_2106
.LBB63_2101:
	s_mov_b32 s6, -1
                                        ; implicit-def: $vgpr12
                                        ; implicit-def: $vgpr0
                                        ; implicit-def: $vgpr8
                                        ; implicit-def: $vgpr10
.LBB63_2102:
	s_delay_alu instid0(SALU_CYCLE_1)
	s_and_not1_b32 vcc_lo, exec_lo, s6
	s_cbranch_vccnz .LBB63_2106
.LBB63_2103:
	s_clause 0x1
	s_load_b96 s[8:10], s[2:3], 0x4
	s_load_b128 s[4:7], s[2:3], 0xc4
	s_cmp_lt_u32 s27, 2
	s_wait_kmcnt 0x0
	v_mul_hi_u32 v0, s9, v1
	s_delay_alu instid0(VALU_DEP_1) | instskip(NEXT) | instid1(VALU_DEP_1)
	v_add_nc_u32_e32 v0, v1, v0
	v_lshrrev_b32_e32 v3, s10, v0
	s_delay_alu instid0(VALU_DEP_1) | instskip(NEXT) | instid1(VALU_DEP_1)
	v_mul_lo_u32 v0, v3, s8
	v_sub_nc_u32_e32 v1, v1, v0
	s_delay_alu instid0(VALU_DEP_1)
	v_mul_lo_u32 v12, v1, s5
	v_mul_lo_u32 v0, v1, s4
	;; [unrolled: 1-line block ×4, first 2 shown]
	s_cbranch_scc1 .LBB63_2106
; %bb.2104:
	s_clause 0x1
	s_load_b96 s[8:10], s[2:3], 0x10
	s_load_b128 s[4:7], s[2:3], 0xd4
	s_wait_kmcnt 0x0
	v_mul_hi_u32 v1, s9, v3
	s_delay_alu instid0(VALU_DEP_1) | instskip(NEXT) | instid1(VALU_DEP_1)
	v_add_nc_u32_e32 v1, v3, v1
	v_lshrrev_b32_e32 v1, s10, v1
	s_delay_alu instid0(VALU_DEP_1) | instskip(NEXT) | instid1(VALU_DEP_1)
	v_mul_lo_u32 v1, v1, s8
	v_sub_nc_u32_e32 v1, v3, v1
	s_delay_alu instid0(VALU_DEP_1)
	v_mad_u32 v0, v1, s4, v0
	v_mad_u32 v12, v1, s5, v12
	;; [unrolled: 1-line block ×4, first 2 shown]
	s_branch .LBB63_2106
.LBB63_2105:
	v_dual_mov_b32 v12, 0 :: v_dual_mov_b32 v0, 0
	v_dual_mov_b32 v8, 0 :: v_dual_mov_b32 v10, 0
	s_and_not1_b32 vcc_lo, exec_lo, s6
	s_cbranch_vccz .LBB63_2103
.LBB63_2106:
	v_mov_b32_e32 v31, 0
	s_load_b128 s[4:7], s[2:3], 0x1c8
	global_load_u8 v1, v31, s[2:3] offset:497
	s_wait_kmcnt 0x0
	v_add_nc_u64_e32 v[30:31], s[6:7], v[30:31]
	s_wait_loadcnt 0x0
	v_and_b32_e32 v3, 0xffff, v1
	v_readfirstlane_b32 s10, v1
	s_delay_alu instid0(VALU_DEP_2)
	v_cmp_gt_i32_e32 vcc_lo, 11, v3
	s_cbranch_vccnz .LBB63_2113
; %bb.2107:
	s_and_b32 s0, 0xffff, s10
	s_mov_b32 s8, 0
	s_cmp_gt_i32 s0, 25
	s_cbranch_scc0 .LBB63_2115
; %bb.2108:
	s_cmp_gt_i32 s0, 28
	s_cbranch_scc0 .LBB63_2116
; %bb.2109:
	;; [unrolled: 3-line block ×4, first 2 shown]
	s_cmp_eq_u32 s0, 46
	s_mov_b32 s13, 0
	s_cbranch_scc0 .LBB63_2121
; %bb.2112:
	global_load_b32 v1, v[30:31], off
	s_mov_b32 s1, 0
	s_mov_b32 s9, -1
	s_wait_loadcnt 0x0
	v_lshlrev_b32_e32 v1, 16, v1
	s_delay_alu instid0(VALU_DEP_1)
	v_cvt_i32_f32_e32 v1, v1
	s_branch .LBB63_2123
.LBB63_2113:
	s_mov_b32 s9, 0
	s_mov_b32 s13, s11
                                        ; implicit-def: $vgpr1
	s_cbranch_execnz .LBB63_2181
.LBB63_2114:
	s_and_not1_b32 vcc_lo, exec_lo, s9
	s_cbranch_vccz .LBB63_2226
	s_branch .LBB63_4058
.LBB63_2115:
	s_mov_b32 s9, 0
	s_mov_b32 s1, 0
                                        ; implicit-def: $vgpr1
	s_cbranch_execnz .LBB63_2148
	s_branch .LBB63_2177
.LBB63_2116:
	s_mov_b32 s9, 0
	s_mov_b32 s1, 0
                                        ; implicit-def: $vgpr1
	s_cbranch_execz .LBB63_2147
	s_branch .LBB63_2132
.LBB63_2117:
	s_mov_b32 s9, 0
	s_mov_b32 s1, 0
                                        ; implicit-def: $vgpr1
	s_cbranch_execnz .LBB63_2128
	s_branch .LBB63_2131
.LBB63_2118:
	s_mov_b32 s13, -1
	s_mov_b32 s9, 0
	s_mov_b32 s1, 0
	s_branch .LBB63_2122
.LBB63_2119:
	s_and_not1_saveexec_b32 s9, s9
	s_cbranch_execz .LBB63_1974
.LBB63_2120:
	v_add_f32_e64 v2, 0x46000000, |v1|
	s_and_not1_b32 s8, s8, exec_lo
	s_delay_alu instid0(VALU_DEP_1) | instskip(NEXT) | instid1(VALU_DEP_1)
	v_and_b32_e32 v2, 0xff, v2
	v_cmp_ne_u32_e32 vcc_lo, 0, v2
	s_and_b32 s10, vcc_lo, exec_lo
	s_delay_alu instid0(SALU_CYCLE_1)
	s_or_b32 s8, s8, s10
	s_or_b32 exec_lo, exec_lo, s9
	v_mov_b32_e32 v3, 0
	s_and_saveexec_b32 s9, s8
	s_cbranch_execnz .LBB63_1975
	s_branch .LBB63_1976
.LBB63_2121:
	s_mov_b32 s1, -1
	s_mov_b32 s9, 0
.LBB63_2122:
                                        ; implicit-def: $vgpr1
.LBB63_2123:
	s_and_b32 vcc_lo, exec_lo, s13
	s_cbranch_vccz .LBB63_2126
; %bb.2124:
	s_cmp_eq_u32 s0, 44
	s_cbranch_scc0 .LBB63_2127
; %bb.2125:
	global_load_u8 v1, v[30:31], off
	s_mov_b32 s1, 0
	s_mov_b32 s9, -1
	s_wait_loadcnt 0x0
	v_lshlrev_b32_e32 v3, 23, v1
	v_cmp_ne_u32_e32 vcc_lo, 0, v1
	s_delay_alu instid0(VALU_DEP_2) | instskip(NEXT) | instid1(VALU_DEP_1)
	v_cvt_i32_f32_e32 v3, v3
	v_cndmask_b32_e32 v1, 0, v3, vcc_lo
.LBB63_2126:
	s_branch .LBB63_2131
.LBB63_2127:
	s_mov_b32 s1, -1
                                        ; implicit-def: $vgpr1
	s_branch .LBB63_2131
.LBB63_2128:
	s_cmp_eq_u32 s0, 29
	s_cbranch_scc0 .LBB63_2130
; %bb.2129:
	global_load_b32 v1, v[30:31], off
	s_mov_b32 s1, 0
	s_mov_b32 s9, -1
	s_branch .LBB63_2131
.LBB63_2130:
	s_mov_b32 s1, -1
                                        ; implicit-def: $vgpr1
.LBB63_2131:
	s_branch .LBB63_2147
.LBB63_2132:
	s_cmp_lt_i32 s0, 27
	s_cbranch_scc1 .LBB63_2135
; %bb.2133:
	s_cmp_gt_i32 s0, 27
	s_cbranch_scc0 .LBB63_2136
; %bb.2134:
	s_wait_loadcnt 0x0
	global_load_b32 v1, v[30:31], off
	s_mov_b32 s9, 0
	s_branch .LBB63_2137
.LBB63_2135:
	s_mov_b32 s9, -1
                                        ; implicit-def: $vgpr1
	s_branch .LBB63_2140
.LBB63_2136:
	s_mov_b32 s9, -1
                                        ; implicit-def: $vgpr1
.LBB63_2137:
	s_delay_alu instid0(SALU_CYCLE_1)
	s_and_not1_b32 vcc_lo, exec_lo, s9
	s_cbranch_vccnz .LBB63_2139
; %bb.2138:
	s_wait_loadcnt 0x0
	global_load_u16 v1, v[30:31], off
.LBB63_2139:
	s_mov_b32 s9, 0
.LBB63_2140:
	s_delay_alu instid0(SALU_CYCLE_1)
	s_and_not1_b32 vcc_lo, exec_lo, s9
	s_cbranch_vccnz .LBB63_2146
; %bb.2141:
	global_load_u8 v3, v[30:31], off
	s_mov_b32 s13, 0
	s_mov_b32 s9, exec_lo
	s_wait_loadcnt 0x0
	v_cmpx_lt_i16_e32 0x7f, v3
	s_xor_b32 s9, exec_lo, s9
	s_cbranch_execz .LBB63_2157
; %bb.2142:
	v_cmp_ne_u16_e32 vcc_lo, 0x80, v3
	s_and_b32 s13, vcc_lo, exec_lo
	s_and_not1_saveexec_b32 s9, s9
	s_cbranch_execnz .LBB63_2158
.LBB63_2143:
	s_or_b32 exec_lo, exec_lo, s9
	v_mov_b32_e32 v1, 0
	s_and_saveexec_b32 s9, s13
	s_cbranch_execz .LBB63_2145
.LBB63_2144:
	v_and_b32_e32 v1, 0xffff, v3
	s_delay_alu instid0(VALU_DEP_1) | instskip(SKIP_1) | instid1(VALU_DEP_2)
	v_and_b32_e32 v5, 7, v1
	v_bfe_u32 v11, v1, 3, 4
	v_clz_i32_u32_e32 v7, v5
	s_delay_alu instid0(VALU_DEP_2) | instskip(NEXT) | instid1(VALU_DEP_2)
	v_cmp_eq_u32_e32 vcc_lo, 0, v11
	v_min_u32_e32 v7, 32, v7
	s_delay_alu instid0(VALU_DEP_1) | instskip(NEXT) | instid1(VALU_DEP_1)
	v_subrev_nc_u32_e32 v9, 28, v7
	v_dual_lshlrev_b32 v1, v9, v1 :: v_dual_sub_nc_u32 v7, 29, v7
	s_delay_alu instid0(VALU_DEP_1) | instskip(NEXT) | instid1(VALU_DEP_1)
	v_dual_lshlrev_b32 v3, 24, v3 :: v_dual_bitop2_b32 v1, 7, v1 bitop3:0x40
	v_dual_cndmask_b32 v1, v5, v1, vcc_lo :: v_dual_cndmask_b32 v7, v11, v7, vcc_lo
	s_delay_alu instid0(VALU_DEP_2) | instskip(NEXT) | instid1(VALU_DEP_2)
	v_and_b32_e32 v3, 0x80000000, v3
	v_lshlrev_b32_e32 v1, 20, v1
	s_delay_alu instid0(VALU_DEP_3) | instskip(NEXT) | instid1(VALU_DEP_1)
	v_lshl_add_u32 v5, v7, 23, 0x3b800000
	v_or3_b32 v1, v3, v5, v1
	s_delay_alu instid0(VALU_DEP_1)
	v_cvt_i32_f32_e32 v1, v1
.LBB63_2145:
	s_or_b32 exec_lo, exec_lo, s9
.LBB63_2146:
	s_mov_b32 s9, -1
.LBB63_2147:
	s_branch .LBB63_2177
.LBB63_2148:
	s_cmp_gt_i32 s0, 22
	s_cbranch_scc0 .LBB63_2156
; %bb.2149:
	s_cmp_lt_i32 s0, 24
	s_cbranch_scc1 .LBB63_2159
; %bb.2150:
	s_cmp_gt_i32 s0, 24
	s_cbranch_scc0 .LBB63_2160
; %bb.2151:
	global_load_u8 v3, v[30:31], off
	s_mov_b32 s9, 0
	s_mov_b32 s8, exec_lo
	s_wait_loadcnt 0x0
	v_cmpx_lt_i16_e32 0x7f, v3
	s_xor_b32 s8, exec_lo, s8
	s_cbranch_execz .LBB63_2171
; %bb.2152:
	v_cmp_ne_u16_e32 vcc_lo, 0x80, v3
	s_and_b32 s9, vcc_lo, exec_lo
	s_and_not1_saveexec_b32 s8, s8
	s_cbranch_execnz .LBB63_2172
.LBB63_2153:
	s_or_b32 exec_lo, exec_lo, s8
	v_mov_b32_e32 v1, 0
	s_and_saveexec_b32 s8, s9
	s_cbranch_execz .LBB63_2155
.LBB63_2154:
	v_and_b32_e32 v1, 0xffff, v3
	s_delay_alu instid0(VALU_DEP_1) | instskip(SKIP_1) | instid1(VALU_DEP_2)
	v_and_b32_e32 v5, 3, v1
	v_bfe_u32 v11, v1, 2, 5
	v_clz_i32_u32_e32 v7, v5
	s_delay_alu instid0(VALU_DEP_2) | instskip(NEXT) | instid1(VALU_DEP_2)
	v_cmp_eq_u32_e32 vcc_lo, 0, v11
	v_min_u32_e32 v7, 32, v7
	s_delay_alu instid0(VALU_DEP_1) | instskip(NEXT) | instid1(VALU_DEP_1)
	v_subrev_nc_u32_e32 v9, 29, v7
	v_dual_lshlrev_b32 v1, v9, v1 :: v_dual_sub_nc_u32 v7, 30, v7
	s_delay_alu instid0(VALU_DEP_1) | instskip(NEXT) | instid1(VALU_DEP_1)
	v_dual_lshlrev_b32 v3, 24, v3 :: v_dual_bitop2_b32 v1, 3, v1 bitop3:0x40
	v_dual_cndmask_b32 v1, v5, v1, vcc_lo :: v_dual_cndmask_b32 v7, v11, v7, vcc_lo
	s_delay_alu instid0(VALU_DEP_2) | instskip(NEXT) | instid1(VALU_DEP_2)
	v_and_b32_e32 v3, 0x80000000, v3
	v_lshlrev_b32_e32 v1, 21, v1
	s_delay_alu instid0(VALU_DEP_3) | instskip(NEXT) | instid1(VALU_DEP_1)
	v_lshl_add_u32 v5, v7, 23, 0x37800000
	v_or3_b32 v1, v3, v5, v1
	s_delay_alu instid0(VALU_DEP_1)
	v_cvt_i32_f32_e32 v1, v1
.LBB63_2155:
	s_or_b32 exec_lo, exec_lo, s8
	s_mov_b32 s8, 0
	s_branch .LBB63_2161
.LBB63_2156:
                                        ; implicit-def: $vgpr1
	s_mov_b32 s8, 0
	s_branch .LBB63_2167
.LBB63_2157:
	s_and_not1_saveexec_b32 s9, s9
	s_cbranch_execz .LBB63_2143
.LBB63_2158:
	v_cmp_ne_u16_e32 vcc_lo, 0, v3
	s_and_not1_b32 s13, s13, exec_lo
	s_and_b32 s14, vcc_lo, exec_lo
	s_delay_alu instid0(SALU_CYCLE_1)
	s_or_b32 s13, s13, s14
	s_or_b32 exec_lo, exec_lo, s9
	v_mov_b32_e32 v1, 0
	s_and_saveexec_b32 s9, s13
	s_cbranch_execnz .LBB63_2144
	s_branch .LBB63_2145
.LBB63_2159:
	s_mov_b32 s8, -1
                                        ; implicit-def: $vgpr1
	s_branch .LBB63_2164
.LBB63_2160:
	s_mov_b32 s8, -1
                                        ; implicit-def: $vgpr1
.LBB63_2161:
	s_delay_alu instid0(SALU_CYCLE_1)
	s_and_b32 vcc_lo, exec_lo, s8
	s_cbranch_vccz .LBB63_2163
; %bb.2162:
	s_wait_loadcnt 0x0
	global_load_u8 v1, v[30:31], off
	s_wait_loadcnt 0x0
	v_lshlrev_b32_e32 v1, 24, v1
	s_delay_alu instid0(VALU_DEP_1) | instskip(NEXT) | instid1(VALU_DEP_1)
	v_and_b32_e32 v3, 0x7f000000, v1
	v_clz_i32_u32_e32 v5, v3
	v_add_nc_u32_e32 v9, 0x1000000, v3
	v_cmp_ne_u32_e32 vcc_lo, 0, v3
	s_delay_alu instid0(VALU_DEP_3) | instskip(NEXT) | instid1(VALU_DEP_1)
	v_min_u32_e32 v5, 32, v5
	v_sub_nc_u32_e64 v5, v5, 4 clamp
	s_delay_alu instid0(VALU_DEP_1) | instskip(NEXT) | instid1(VALU_DEP_1)
	v_dual_lshlrev_b32 v7, v5, v3 :: v_dual_lshlrev_b32 v5, 23, v5
	v_lshrrev_b32_e32 v7, 4, v7
	s_delay_alu instid0(VALU_DEP_1) | instskip(SKIP_1) | instid1(VALU_DEP_2)
	v_sub_nc_u32_e32 v5, v7, v5
	v_ashrrev_i32_e32 v7, 8, v9
	v_add_nc_u32_e32 v5, 0x3c000000, v5
	s_delay_alu instid0(VALU_DEP_1) | instskip(NEXT) | instid1(VALU_DEP_1)
	v_and_or_b32 v5, 0x7f800000, v7, v5
	v_cndmask_b32_e32 v3, 0, v5, vcc_lo
	s_delay_alu instid0(VALU_DEP_1) | instskip(NEXT) | instid1(VALU_DEP_1)
	v_and_or_b32 v1, 0x80000000, v1, v3
	v_cvt_i32_f32_e32 v1, v1
.LBB63_2163:
	s_mov_b32 s8, 0
.LBB63_2164:
	s_delay_alu instid0(SALU_CYCLE_1)
	s_and_not1_b32 vcc_lo, exec_lo, s8
	s_cbranch_vccnz .LBB63_2166
; %bb.2165:
	s_wait_loadcnt 0x0
	global_load_u8 v1, v[30:31], off
	s_wait_loadcnt 0x0
	v_lshlrev_b32_e32 v3, 25, v1
	v_lshlrev_b16 v1, 8, v1
	s_delay_alu instid0(VALU_DEP_1) | instskip(SKIP_1) | instid1(VALU_DEP_2)
	v_and_or_b32 v7, 0x7f00, v1, 0.5
	v_bfe_i32 v1, v1, 0, 16
	v_add_f32_e32 v7, -0.5, v7
	v_lshrrev_b32_e32 v5, 4, v3
	v_cmp_gt_u32_e32 vcc_lo, 0x8000000, v3
	s_delay_alu instid0(VALU_DEP_2) | instskip(NEXT) | instid1(VALU_DEP_1)
	v_or_b32_e32 v5, 0x70000000, v5
	v_mul_f32_e32 v5, 0x7800000, v5
	s_delay_alu instid0(VALU_DEP_1) | instskip(NEXT) | instid1(VALU_DEP_1)
	v_cndmask_b32_e32 v3, v5, v7, vcc_lo
	v_and_or_b32 v1, 0x80000000, v1, v3
	s_delay_alu instid0(VALU_DEP_1)
	v_cvt_i32_f32_e32 v1, v1
.LBB63_2166:
	s_mov_b32 s9, -1
	s_mov_b32 s8, 0
	s_cbranch_execnz .LBB63_2177
.LBB63_2167:
	s_cmp_gt_i32 s0, 14
	s_cbranch_scc0 .LBB63_2170
; %bb.2168:
	s_cmp_eq_u32 s0, 15
	s_cbranch_scc0 .LBB63_2173
; %bb.2169:
	s_wait_loadcnt 0x0
	global_load_u16 v1, v[30:31], off
	s_mov_b32 s1, 0
	s_mov_b32 s9, -1
	s_wait_loadcnt 0x0
	v_lshlrev_b32_e32 v1, 16, v1
	s_delay_alu instid0(VALU_DEP_1)
	v_cvt_i32_f32_e32 v1, v1
	s_branch .LBB63_2175
.LBB63_2170:
	s_mov_b32 s8, -1
	s_branch .LBB63_2174
.LBB63_2171:
	s_and_not1_saveexec_b32 s8, s8
	s_cbranch_execz .LBB63_2153
.LBB63_2172:
	v_cmp_ne_u16_e32 vcc_lo, 0, v3
	s_and_not1_b32 s9, s9, exec_lo
	s_and_b32 s13, vcc_lo, exec_lo
	s_delay_alu instid0(SALU_CYCLE_1)
	s_or_b32 s9, s9, s13
	s_or_b32 exec_lo, exec_lo, s8
	v_mov_b32_e32 v1, 0
	s_and_saveexec_b32 s8, s9
	s_cbranch_execnz .LBB63_2154
	s_branch .LBB63_2155
.LBB63_2173:
	s_mov_b32 s1, -1
.LBB63_2174:
                                        ; implicit-def: $vgpr1
.LBB63_2175:
	s_and_b32 vcc_lo, exec_lo, s8
	s_mov_b32 s8, 0
	s_cbranch_vccz .LBB63_2177
; %bb.2176:
	s_cmp_lg_u32 s0, 11
	s_mov_b32 s8, -1
	s_cselect_b32 s1, -1, 0
.LBB63_2177:
	s_delay_alu instid0(SALU_CYCLE_1)
	s_and_b32 vcc_lo, exec_lo, s1
	s_mov_b32 s13, s11
	s_cbranch_vccnz .LBB63_2238
; %bb.2178:
	s_and_not1_b32 vcc_lo, exec_lo, s8
	s_cbranch_vccnz .LBB63_2180
.LBB63_2179:
	s_wait_loadcnt 0x0
	global_load_u8 v1, v[30:31], off
	s_mov_b32 s9, -1
	s_wait_loadcnt 0x0
	v_cmp_ne_u16_e32 vcc_lo, 0, v1
	v_cndmask_b32_e64 v1, 0, 1, vcc_lo
.LBB63_2180:
	s_branch .LBB63_2114
.LBB63_2181:
	s_and_b32 s0, 0xffff, s10
	s_delay_alu instid0(SALU_CYCLE_1)
	s_cmp_lt_i32 s0, 5
	s_cbranch_scc1 .LBB63_2186
; %bb.2182:
	s_cmp_lt_i32 s0, 8
	s_cbranch_scc1 .LBB63_2187
; %bb.2183:
	;; [unrolled: 3-line block ×3, first 2 shown]
	s_cmp_gt_i32 s0, 9
	s_cbranch_scc0 .LBB63_2189
; %bb.2185:
	global_load_b64 v[32:33], v[30:31], off
	s_mov_b32 s1, 0
	s_wait_loadcnt 0x0
	v_cvt_i32_f64_e32 v1, v[32:33]
	s_branch .LBB63_2190
.LBB63_2186:
                                        ; implicit-def: $vgpr1
	s_branch .LBB63_2207
.LBB63_2187:
                                        ; implicit-def: $vgpr1
	s_branch .LBB63_2196
.LBB63_2188:
	s_mov_b32 s1, -1
                                        ; implicit-def: $vgpr1
	s_branch .LBB63_2193
.LBB63_2189:
	s_mov_b32 s1, -1
                                        ; implicit-def: $vgpr1
.LBB63_2190:
	s_delay_alu instid0(SALU_CYCLE_1)
	s_and_not1_b32 vcc_lo, exec_lo, s1
	s_cbranch_vccnz .LBB63_2192
; %bb.2191:
	s_wait_loadcnt 0x0
	global_load_b32 v1, v[30:31], off
	s_wait_loadcnt 0x0
	v_cvt_i32_f32_e32 v1, v1
.LBB63_2192:
	s_mov_b32 s1, 0
.LBB63_2193:
	s_delay_alu instid0(SALU_CYCLE_1)
	s_and_not1_b32 vcc_lo, exec_lo, s1
	s_cbranch_vccnz .LBB63_2195
; %bb.2194:
	s_wait_loadcnt 0x0
	global_load_b32 v1, v[30:31], off
	s_wait_loadcnt 0x0
	v_cvt_f32_f16_e32 v1, v1
	s_delay_alu instid0(VALU_DEP_1)
	v_cvt_i32_f32_e32 v1, v1
.LBB63_2195:
	s_cbranch_execnz .LBB63_2206
.LBB63_2196:
	s_cmp_lt_i32 s0, 6
	s_cbranch_scc1 .LBB63_2199
; %bb.2197:
	s_cmp_gt_i32 s0, 6
	s_cbranch_scc0 .LBB63_2200
; %bb.2198:
	global_load_b64 v[32:33], v[30:31], off
	s_mov_b32 s1, 0
	s_wait_loadcnt 0x0
	v_cvt_i32_f64_e32 v1, v[32:33]
	s_branch .LBB63_2201
.LBB63_2199:
	s_mov_b32 s1, -1
                                        ; implicit-def: $vgpr1
	s_branch .LBB63_2204
.LBB63_2200:
	s_mov_b32 s1, -1
                                        ; implicit-def: $vgpr1
.LBB63_2201:
	s_delay_alu instid0(SALU_CYCLE_1)
	s_and_not1_b32 vcc_lo, exec_lo, s1
	s_cbranch_vccnz .LBB63_2203
; %bb.2202:
	s_wait_loadcnt 0x0
	global_load_b32 v1, v[30:31], off
	s_wait_loadcnt 0x0
	v_cvt_i32_f32_e32 v1, v1
.LBB63_2203:
	s_mov_b32 s1, 0
.LBB63_2204:
	s_delay_alu instid0(SALU_CYCLE_1)
	s_and_not1_b32 vcc_lo, exec_lo, s1
	s_cbranch_vccnz .LBB63_2206
; %bb.2205:
	s_wait_loadcnt 0x0
	global_load_u16 v1, v[30:31], off
	s_wait_loadcnt 0x0
	v_cvt_f32_f16_e32 v1, v1
	s_delay_alu instid0(VALU_DEP_1)
	v_cvt_i32_f32_e32 v1, v1
.LBB63_2206:
	s_cbranch_execnz .LBB63_2225
.LBB63_2207:
	s_cmp_lt_i32 s0, 2
	s_cbranch_scc1 .LBB63_2211
; %bb.2208:
	s_cmp_lt_i32 s0, 3
	s_cbranch_scc1 .LBB63_2212
; %bb.2209:
	s_cmp_gt_i32 s0, 3
	s_cbranch_scc0 .LBB63_2213
; %bb.2210:
	s_wait_loadcnt 0x0
	global_load_b32 v1, v[30:31], off
	s_mov_b32 s1, 0
	s_branch .LBB63_2214
.LBB63_2211:
                                        ; implicit-def: $vgpr1
	s_branch .LBB63_2220
.LBB63_2212:
	s_mov_b32 s1, -1
                                        ; implicit-def: $vgpr1
	s_branch .LBB63_2217
.LBB63_2213:
	s_mov_b32 s1, -1
                                        ; implicit-def: $vgpr1
.LBB63_2214:
	s_delay_alu instid0(SALU_CYCLE_1)
	s_and_not1_b32 vcc_lo, exec_lo, s1
	s_cbranch_vccnz .LBB63_2216
; %bb.2215:
	s_wait_loadcnt 0x0
	global_load_b32 v1, v[30:31], off
.LBB63_2216:
	s_mov_b32 s1, 0
.LBB63_2217:
	s_delay_alu instid0(SALU_CYCLE_1)
	s_and_not1_b32 vcc_lo, exec_lo, s1
	s_cbranch_vccnz .LBB63_2219
; %bb.2218:
	s_wait_loadcnt 0x0
	global_load_i16 v1, v[30:31], off
.LBB63_2219:
	s_cbranch_execnz .LBB63_2225
.LBB63_2220:
	s_cmp_gt_i32 s0, 0
	s_mov_b32 s0, 0
	s_cbranch_scc0 .LBB63_2222
; %bb.2221:
	s_wait_loadcnt 0x0
	global_load_i8 v1, v[30:31], off
	s_branch .LBB63_2223
.LBB63_2222:
	s_mov_b32 s0, -1
                                        ; implicit-def: $vgpr1
.LBB63_2223:
	s_delay_alu instid0(SALU_CYCLE_1)
	s_and_not1_b32 vcc_lo, exec_lo, s0
	s_cbranch_vccnz .LBB63_2225
; %bb.2224:
	s_wait_loadcnt 0x0
	global_load_u8 v1, v[30:31], off
.LBB63_2225:
.LBB63_2226:
	v_mov_b32_e32 v29, 0
	s_load_b64 s[0:1], s[2:3], 0x1d8
	global_load_u8 v3, v29, s[2:3] offset:498
	s_wait_kmcnt 0x0
	v_add_nc_u64_e32 v[28:29], s[0:1], v[28:29]
	s_wait_loadcnt 0x0
	v_and_b32_e32 v5, 0xffff, v3
	v_readfirstlane_b32 s14, v3
	s_delay_alu instid0(VALU_DEP_2)
	v_cmp_gt_i32_e32 vcc_lo, 11, v5
	s_cbranch_vccnz .LBB63_2233
; %bb.2227:
	s_and_b32 s8, 0xffff, s14
	s_mov_b32 s15, 0
	s_cmp_gt_i32 s8, 25
	s_cbranch_scc0 .LBB63_2235
; %bb.2228:
	s_cmp_gt_i32 s8, 28
	s_cbranch_scc0 .LBB63_2236
; %bb.2229:
	;; [unrolled: 3-line block ×4, first 2 shown]
	s_cmp_eq_u32 s8, 46
	s_mov_b32 s17, 0
	s_cbranch_scc0 .LBB63_2242
; %bb.2232:
	global_load_b32 v3, v[28:29], off
	s_mov_b32 s9, 0
	s_mov_b32 s16, -1
	s_wait_loadcnt 0x0
	v_lshlrev_b32_e32 v3, 16, v3
	s_delay_alu instid0(VALU_DEP_1)
	v_cvt_i32_f32_e32 v3, v3
	s_branch .LBB63_2244
.LBB63_2233:
	s_mov_b32 s16, 0
                                        ; implicit-def: $vgpr3
	s_cbranch_execnz .LBB63_2305
.LBB63_2234:
	s_and_not1_b32 vcc_lo, exec_lo, s16
	s_cbranch_vccnz .LBB63_4058
	s_branch .LBB63_2352
.LBB63_2235:
	s_mov_b32 s16, 0
	s_mov_b32 s9, 0
                                        ; implicit-def: $vgpr3
	s_cbranch_execnz .LBB63_2271
	s_branch .LBB63_2301
.LBB63_2236:
	s_mov_b32 s17, -1
	s_mov_b32 s16, 0
	s_mov_b32 s9, 0
                                        ; implicit-def: $vgpr3
	s_branch .LBB63_2254
.LBB63_2237:
	s_mov_b32 s17, -1
	s_mov_b32 s16, 0
	s_mov_b32 s9, 0
                                        ; implicit-def: $vgpr3
	s_branch .LBB63_2249
.LBB63_2238:
	s_or_b32 s13, s11, exec_lo
	s_trap 2
	s_cbranch_execz .LBB63_2179
	s_branch .LBB63_2180
.LBB63_2239:
	s_mov_b32 s17, -1
	s_mov_b32 s16, 0
	s_mov_b32 s9, 0
	s_branch .LBB63_2243
.LBB63_2240:
	s_and_not1_saveexec_b32 s10, s10
	s_cbranch_execz .LBB63_1986
.LBB63_2241:
	v_add_f32_e64 v2, 0x42800000, |v1|
	s_and_not1_b32 s9, s9, exec_lo
	s_delay_alu instid0(VALU_DEP_1) | instskip(NEXT) | instid1(VALU_DEP_1)
	v_and_b32_e32 v2, 0xff, v2
	v_cmp_ne_u32_e32 vcc_lo, 0, v2
	s_and_b32 s11, vcc_lo, exec_lo
	s_delay_alu instid0(SALU_CYCLE_1)
	s_or_b32 s9, s9, s11
	s_or_b32 exec_lo, exec_lo, s10
	v_mov_b32_e32 v3, 0
	s_and_saveexec_b32 s10, s9
	s_cbranch_execnz .LBB63_1987
	s_branch .LBB63_1988
.LBB63_2242:
	s_mov_b32 s9, -1
	s_mov_b32 s16, 0
.LBB63_2243:
                                        ; implicit-def: $vgpr3
.LBB63_2244:
	s_and_b32 vcc_lo, exec_lo, s17
	s_cbranch_vccz .LBB63_2248
; %bb.2245:
	s_cmp_eq_u32 s8, 44
	s_cbranch_scc0 .LBB63_2247
; %bb.2246:
	global_load_u8 v3, v[28:29], off
	s_mov_b32 s9, 0
	s_mov_b32 s16, -1
	s_wait_loadcnt 0x0
	v_lshlrev_b32_e32 v5, 23, v3
	v_cmp_ne_u32_e32 vcc_lo, 0, v3
	s_delay_alu instid0(VALU_DEP_2) | instskip(NEXT) | instid1(VALU_DEP_1)
	v_cvt_i32_f32_e32 v5, v5
	v_cndmask_b32_e32 v3, 0, v5, vcc_lo
	s_branch .LBB63_2248
.LBB63_2247:
	s_mov_b32 s9, -1
                                        ; implicit-def: $vgpr3
.LBB63_2248:
	s_mov_b32 s17, 0
.LBB63_2249:
	s_delay_alu instid0(SALU_CYCLE_1)
	s_and_b32 vcc_lo, exec_lo, s17
	s_cbranch_vccz .LBB63_2253
; %bb.2250:
	s_cmp_eq_u32 s8, 29
	s_cbranch_scc0 .LBB63_2252
; %bb.2251:
	global_load_b32 v3, v[28:29], off
	s_mov_b32 s9, 0
	s_mov_b32 s16, -1
	s_branch .LBB63_2253
.LBB63_2252:
	s_mov_b32 s9, -1
                                        ; implicit-def: $vgpr3
.LBB63_2253:
	s_mov_b32 s17, 0
.LBB63_2254:
	s_delay_alu instid0(SALU_CYCLE_1)
	s_and_b32 vcc_lo, exec_lo, s17
	s_cbranch_vccz .LBB63_2270
; %bb.2255:
	s_cmp_lt_i32 s8, 27
	s_cbranch_scc1 .LBB63_2258
; %bb.2256:
	s_cmp_gt_i32 s8, 27
	s_cbranch_scc0 .LBB63_2259
; %bb.2257:
	s_wait_loadcnt 0x0
	global_load_b32 v3, v[28:29], off
	s_mov_b32 s16, 0
	s_branch .LBB63_2260
.LBB63_2258:
	s_mov_b32 s16, -1
                                        ; implicit-def: $vgpr3
	s_branch .LBB63_2263
.LBB63_2259:
	s_mov_b32 s16, -1
                                        ; implicit-def: $vgpr3
.LBB63_2260:
	s_delay_alu instid0(SALU_CYCLE_1)
	s_and_not1_b32 vcc_lo, exec_lo, s16
	s_cbranch_vccnz .LBB63_2262
; %bb.2261:
	s_wait_loadcnt 0x0
	global_load_u16 v3, v[28:29], off
.LBB63_2262:
	s_mov_b32 s16, 0
.LBB63_2263:
	s_delay_alu instid0(SALU_CYCLE_1)
	s_and_not1_b32 vcc_lo, exec_lo, s16
	s_cbranch_vccnz .LBB63_2269
; %bb.2264:
	global_load_u8 v5, v[28:29], off
	s_mov_b32 s17, 0
	s_mov_b32 s16, exec_lo
	s_wait_loadcnt 0x0
	v_cmpx_lt_i16_e32 0x7f, v5
	s_xor_b32 s16, exec_lo, s16
	s_cbranch_execz .LBB63_2280
; %bb.2265:
	v_cmp_ne_u16_e32 vcc_lo, 0x80, v5
	s_and_b32 s17, vcc_lo, exec_lo
	s_and_not1_saveexec_b32 s16, s16
	s_cbranch_execnz .LBB63_2281
.LBB63_2266:
	s_or_b32 exec_lo, exec_lo, s16
	v_mov_b32_e32 v3, 0
	s_and_saveexec_b32 s16, s17
	s_cbranch_execz .LBB63_2268
.LBB63_2267:
	v_and_b32_e32 v3, 0xffff, v5
	s_delay_alu instid0(VALU_DEP_1) | instskip(SKIP_1) | instid1(VALU_DEP_2)
	v_and_b32_e32 v7, 7, v3
	v_bfe_u32 v13, v3, 3, 4
	v_clz_i32_u32_e32 v9, v7
	s_delay_alu instid0(VALU_DEP_2) | instskip(NEXT) | instid1(VALU_DEP_2)
	v_cmp_eq_u32_e32 vcc_lo, 0, v13
	v_min_u32_e32 v9, 32, v9
	s_delay_alu instid0(VALU_DEP_1) | instskip(NEXT) | instid1(VALU_DEP_1)
	v_subrev_nc_u32_e32 v11, 28, v9
	v_dual_lshlrev_b32 v3, v11, v3 :: v_dual_sub_nc_u32 v9, 29, v9
	s_delay_alu instid0(VALU_DEP_1) | instskip(NEXT) | instid1(VALU_DEP_1)
	v_dual_lshlrev_b32 v5, 24, v5 :: v_dual_bitop2_b32 v3, 7, v3 bitop3:0x40
	v_dual_cndmask_b32 v3, v7, v3, vcc_lo :: v_dual_cndmask_b32 v9, v13, v9, vcc_lo
	s_delay_alu instid0(VALU_DEP_2) | instskip(NEXT) | instid1(VALU_DEP_2)
	v_and_b32_e32 v5, 0x80000000, v5
	v_lshlrev_b32_e32 v3, 20, v3
	s_delay_alu instid0(VALU_DEP_3) | instskip(NEXT) | instid1(VALU_DEP_1)
	v_lshl_add_u32 v7, v9, 23, 0x3b800000
	v_or3_b32 v3, v5, v7, v3
	s_delay_alu instid0(VALU_DEP_1)
	v_cvt_i32_f32_e32 v3, v3
.LBB63_2268:
	s_or_b32 exec_lo, exec_lo, s16
.LBB63_2269:
	s_mov_b32 s16, -1
.LBB63_2270:
	s_branch .LBB63_2301
.LBB63_2271:
	s_cmp_gt_i32 s8, 22
	s_cbranch_scc0 .LBB63_2279
; %bb.2272:
	s_cmp_lt_i32 s8, 24
	s_cbranch_scc1 .LBB63_2282
; %bb.2273:
	s_cmp_gt_i32 s8, 24
	s_cbranch_scc0 .LBB63_2283
; %bb.2274:
	global_load_u8 v5, v[28:29], off
	s_mov_b32 s16, 0
	s_mov_b32 s15, exec_lo
	s_wait_loadcnt 0x0
	v_cmpx_lt_i16_e32 0x7f, v5
	s_xor_b32 s15, exec_lo, s15
	s_cbranch_execz .LBB63_2295
; %bb.2275:
	v_cmp_ne_u16_e32 vcc_lo, 0x80, v5
	s_and_b32 s16, vcc_lo, exec_lo
	s_and_not1_saveexec_b32 s15, s15
	s_cbranch_execnz .LBB63_2296
.LBB63_2276:
	s_or_b32 exec_lo, exec_lo, s15
	v_mov_b32_e32 v3, 0
	s_and_saveexec_b32 s15, s16
	s_cbranch_execz .LBB63_2278
.LBB63_2277:
	v_and_b32_e32 v3, 0xffff, v5
	s_delay_alu instid0(VALU_DEP_1) | instskip(SKIP_1) | instid1(VALU_DEP_2)
	v_and_b32_e32 v7, 3, v3
	v_bfe_u32 v13, v3, 2, 5
	v_clz_i32_u32_e32 v9, v7
	s_delay_alu instid0(VALU_DEP_2) | instskip(NEXT) | instid1(VALU_DEP_2)
	v_cmp_eq_u32_e32 vcc_lo, 0, v13
	v_min_u32_e32 v9, 32, v9
	s_delay_alu instid0(VALU_DEP_1) | instskip(NEXT) | instid1(VALU_DEP_1)
	v_subrev_nc_u32_e32 v11, 29, v9
	v_dual_lshlrev_b32 v3, v11, v3 :: v_dual_sub_nc_u32 v9, 30, v9
	s_delay_alu instid0(VALU_DEP_1) | instskip(NEXT) | instid1(VALU_DEP_1)
	v_dual_lshlrev_b32 v5, 24, v5 :: v_dual_bitop2_b32 v3, 3, v3 bitop3:0x40
	v_dual_cndmask_b32 v3, v7, v3, vcc_lo :: v_dual_cndmask_b32 v9, v13, v9, vcc_lo
	s_delay_alu instid0(VALU_DEP_2) | instskip(NEXT) | instid1(VALU_DEP_2)
	v_and_b32_e32 v5, 0x80000000, v5
	v_lshlrev_b32_e32 v3, 21, v3
	s_delay_alu instid0(VALU_DEP_3) | instskip(NEXT) | instid1(VALU_DEP_1)
	v_lshl_add_u32 v7, v9, 23, 0x37800000
	v_or3_b32 v3, v5, v7, v3
	s_delay_alu instid0(VALU_DEP_1)
	v_cvt_i32_f32_e32 v3, v3
.LBB63_2278:
	s_or_b32 exec_lo, exec_lo, s15
	s_mov_b32 s15, 0
	s_branch .LBB63_2284
.LBB63_2279:
	s_mov_b32 s15, -1
                                        ; implicit-def: $vgpr3
	s_branch .LBB63_2290
.LBB63_2280:
	s_and_not1_saveexec_b32 s16, s16
	s_cbranch_execz .LBB63_2266
.LBB63_2281:
	v_cmp_ne_u16_e32 vcc_lo, 0, v5
	s_and_not1_b32 s17, s17, exec_lo
	s_and_b32 s18, vcc_lo, exec_lo
	s_delay_alu instid0(SALU_CYCLE_1)
	s_or_b32 s17, s17, s18
	s_or_b32 exec_lo, exec_lo, s16
	v_mov_b32_e32 v3, 0
	s_and_saveexec_b32 s16, s17
	s_cbranch_execnz .LBB63_2267
	s_branch .LBB63_2268
.LBB63_2282:
	s_mov_b32 s15, -1
                                        ; implicit-def: $vgpr3
	s_branch .LBB63_2287
.LBB63_2283:
	s_mov_b32 s15, -1
                                        ; implicit-def: $vgpr3
.LBB63_2284:
	s_delay_alu instid0(SALU_CYCLE_1)
	s_and_b32 vcc_lo, exec_lo, s15
	s_cbranch_vccz .LBB63_2286
; %bb.2285:
	s_wait_loadcnt 0x0
	global_load_u8 v3, v[28:29], off
	s_wait_loadcnt 0x0
	v_lshlrev_b32_e32 v3, 24, v3
	s_delay_alu instid0(VALU_DEP_1) | instskip(NEXT) | instid1(VALU_DEP_1)
	v_and_b32_e32 v5, 0x7f000000, v3
	v_clz_i32_u32_e32 v7, v5
	v_add_nc_u32_e32 v11, 0x1000000, v5
	v_cmp_ne_u32_e32 vcc_lo, 0, v5
	s_delay_alu instid0(VALU_DEP_3) | instskip(NEXT) | instid1(VALU_DEP_1)
	v_min_u32_e32 v7, 32, v7
	v_sub_nc_u32_e64 v7, v7, 4 clamp
	s_delay_alu instid0(VALU_DEP_1) | instskip(NEXT) | instid1(VALU_DEP_1)
	v_dual_lshlrev_b32 v9, v7, v5 :: v_dual_lshlrev_b32 v7, 23, v7
	v_lshrrev_b32_e32 v9, 4, v9
	s_delay_alu instid0(VALU_DEP_1) | instskip(SKIP_1) | instid1(VALU_DEP_2)
	v_sub_nc_u32_e32 v7, v9, v7
	v_ashrrev_i32_e32 v9, 8, v11
	v_add_nc_u32_e32 v7, 0x3c000000, v7
	s_delay_alu instid0(VALU_DEP_1) | instskip(NEXT) | instid1(VALU_DEP_1)
	v_and_or_b32 v7, 0x7f800000, v9, v7
	v_cndmask_b32_e32 v5, 0, v7, vcc_lo
	s_delay_alu instid0(VALU_DEP_1) | instskip(NEXT) | instid1(VALU_DEP_1)
	v_and_or_b32 v3, 0x80000000, v3, v5
	v_cvt_i32_f32_e32 v3, v3
.LBB63_2286:
	s_mov_b32 s15, 0
.LBB63_2287:
	s_delay_alu instid0(SALU_CYCLE_1)
	s_and_not1_b32 vcc_lo, exec_lo, s15
	s_cbranch_vccnz .LBB63_2289
; %bb.2288:
	s_wait_loadcnt 0x0
	global_load_u8 v3, v[28:29], off
	s_wait_loadcnt 0x0
	v_lshlrev_b32_e32 v5, 25, v3
	v_lshlrev_b16 v3, 8, v3
	s_delay_alu instid0(VALU_DEP_1) | instskip(SKIP_1) | instid1(VALU_DEP_2)
	v_and_or_b32 v9, 0x7f00, v3, 0.5
	v_bfe_i32 v3, v3, 0, 16
	v_add_f32_e32 v9, -0.5, v9
	v_lshrrev_b32_e32 v7, 4, v5
	v_cmp_gt_u32_e32 vcc_lo, 0x8000000, v5
	s_delay_alu instid0(VALU_DEP_2) | instskip(NEXT) | instid1(VALU_DEP_1)
	v_or_b32_e32 v7, 0x70000000, v7
	v_mul_f32_e32 v7, 0x7800000, v7
	s_delay_alu instid0(VALU_DEP_1) | instskip(NEXT) | instid1(VALU_DEP_1)
	v_cndmask_b32_e32 v5, v7, v9, vcc_lo
	v_and_or_b32 v3, 0x80000000, v3, v5
	s_delay_alu instid0(VALU_DEP_1)
	v_cvt_i32_f32_e32 v3, v3
.LBB63_2289:
	s_mov_b32 s15, 0
	s_mov_b32 s16, -1
.LBB63_2290:
	s_and_not1_b32 vcc_lo, exec_lo, s15
	s_mov_b32 s15, 0
	s_cbranch_vccnz .LBB63_2301
; %bb.2291:
	s_cmp_gt_i32 s8, 14
	s_cbranch_scc0 .LBB63_2294
; %bb.2292:
	s_cmp_eq_u32 s8, 15
	s_cbranch_scc0 .LBB63_2297
; %bb.2293:
	s_wait_loadcnt 0x0
	global_load_u16 v3, v[28:29], off
	s_mov_b32 s9, 0
	s_mov_b32 s16, -1
	s_wait_loadcnt 0x0
	v_lshlrev_b32_e32 v3, 16, v3
	s_delay_alu instid0(VALU_DEP_1)
	v_cvt_i32_f32_e32 v3, v3
	s_branch .LBB63_2299
.LBB63_2294:
	s_mov_b32 s15, -1
	s_branch .LBB63_2298
.LBB63_2295:
	s_and_not1_saveexec_b32 s15, s15
	s_cbranch_execz .LBB63_2276
.LBB63_2296:
	v_cmp_ne_u16_e32 vcc_lo, 0, v5
	s_and_not1_b32 s16, s16, exec_lo
	s_and_b32 s17, vcc_lo, exec_lo
	s_delay_alu instid0(SALU_CYCLE_1)
	s_or_b32 s16, s16, s17
	s_or_b32 exec_lo, exec_lo, s15
	v_mov_b32_e32 v3, 0
	s_and_saveexec_b32 s15, s16
	s_cbranch_execnz .LBB63_2277
	s_branch .LBB63_2278
.LBB63_2297:
	s_mov_b32 s9, -1
.LBB63_2298:
                                        ; implicit-def: $vgpr3
.LBB63_2299:
	s_and_b32 vcc_lo, exec_lo, s15
	s_mov_b32 s15, 0
	s_cbranch_vccz .LBB63_2301
; %bb.2300:
	s_cmp_lg_u32 s8, 11
	s_mov_b32 s15, -1
	s_cselect_b32 s9, -1, 0
.LBB63_2301:
	s_delay_alu instid0(SALU_CYCLE_1)
	s_and_b32 vcc_lo, exec_lo, s9
	s_cbranch_vccnz .LBB63_2364
; %bb.2302:
	s_and_not1_b32 vcc_lo, exec_lo, s15
	s_cbranch_vccnz .LBB63_2304
.LBB63_2303:
	s_wait_loadcnt 0x0
	global_load_u8 v3, v[28:29], off
	s_mov_b32 s16, -1
	s_wait_loadcnt 0x0
	v_cmp_ne_u16_e32 vcc_lo, 0, v3
	v_cndmask_b32_e64 v3, 0, 1, vcc_lo
.LBB63_2304:
	s_branch .LBB63_2234
.LBB63_2305:
	s_and_b32 s8, 0xffff, s14
	s_delay_alu instid0(SALU_CYCLE_1)
	s_cmp_lt_i32 s8, 5
	s_cbranch_scc1 .LBB63_2310
; %bb.2306:
	s_cmp_lt_i32 s8, 8
	s_cbranch_scc1 .LBB63_2311
; %bb.2307:
	s_cmp_lt_i32 s8, 9
	s_cbranch_scc1 .LBB63_2312
; %bb.2308:
	s_cmp_gt_i32 s8, 9
	s_cbranch_scc0 .LBB63_2313
; %bb.2309:
	global_load_b64 v[30:31], v[28:29], off
	s_mov_b32 s9, 0
	s_wait_loadcnt 0x0
	v_cvt_i32_f64_e32 v3, v[30:31]
	s_branch .LBB63_2314
.LBB63_2310:
                                        ; implicit-def: $vgpr3
	s_branch .LBB63_2332
.LBB63_2311:
	s_mov_b32 s9, -1
                                        ; implicit-def: $vgpr3
	s_branch .LBB63_2320
.LBB63_2312:
	s_mov_b32 s9, -1
                                        ; implicit-def: $vgpr3
	s_branch .LBB63_2317
.LBB63_2313:
	s_mov_b32 s9, -1
                                        ; implicit-def: $vgpr3
.LBB63_2314:
	s_delay_alu instid0(SALU_CYCLE_1)
	s_and_not1_b32 vcc_lo, exec_lo, s9
	s_cbranch_vccnz .LBB63_2316
; %bb.2315:
	s_wait_loadcnt 0x0
	global_load_b32 v3, v[28:29], off
	s_wait_loadcnt 0x0
	v_cvt_i32_f32_e32 v3, v3
.LBB63_2316:
	s_mov_b32 s9, 0
.LBB63_2317:
	s_delay_alu instid0(SALU_CYCLE_1)
	s_and_not1_b32 vcc_lo, exec_lo, s9
	s_cbranch_vccnz .LBB63_2319
; %bb.2318:
	s_wait_loadcnt 0x0
	global_load_b32 v3, v[28:29], off
	s_wait_loadcnt 0x0
	v_cvt_f32_f16_e32 v3, v3
	s_delay_alu instid0(VALU_DEP_1)
	v_cvt_i32_f32_e32 v3, v3
.LBB63_2319:
	s_mov_b32 s9, 0
.LBB63_2320:
	s_delay_alu instid0(SALU_CYCLE_1)
	s_and_not1_b32 vcc_lo, exec_lo, s9
	s_cbranch_vccnz .LBB63_2331
; %bb.2321:
	s_cmp_lt_i32 s8, 6
	s_cbranch_scc1 .LBB63_2324
; %bb.2322:
	s_cmp_gt_i32 s8, 6
	s_cbranch_scc0 .LBB63_2325
; %bb.2323:
	global_load_b64 v[30:31], v[28:29], off
	s_mov_b32 s9, 0
	s_wait_loadcnt 0x0
	v_cvt_i32_f64_e32 v3, v[30:31]
	s_branch .LBB63_2326
.LBB63_2324:
	s_mov_b32 s9, -1
                                        ; implicit-def: $vgpr3
	s_branch .LBB63_2329
.LBB63_2325:
	s_mov_b32 s9, -1
                                        ; implicit-def: $vgpr3
.LBB63_2326:
	s_delay_alu instid0(SALU_CYCLE_1)
	s_and_not1_b32 vcc_lo, exec_lo, s9
	s_cbranch_vccnz .LBB63_2328
; %bb.2327:
	s_wait_loadcnt 0x0
	global_load_b32 v3, v[28:29], off
	s_wait_loadcnt 0x0
	v_cvt_i32_f32_e32 v3, v3
.LBB63_2328:
	s_mov_b32 s9, 0
.LBB63_2329:
	s_delay_alu instid0(SALU_CYCLE_1)
	s_and_not1_b32 vcc_lo, exec_lo, s9
	s_cbranch_vccnz .LBB63_2331
; %bb.2330:
	s_wait_loadcnt 0x0
	global_load_u16 v3, v[28:29], off
	s_wait_loadcnt 0x0
	v_cvt_f32_f16_e32 v3, v3
	s_delay_alu instid0(VALU_DEP_1)
	v_cvt_i32_f32_e32 v3, v3
.LBB63_2331:
	s_cbranch_execnz .LBB63_2351
.LBB63_2332:
	s_cmp_lt_i32 s8, 2
	s_cbranch_scc1 .LBB63_2336
; %bb.2333:
	s_cmp_lt_i32 s8, 3
	s_cbranch_scc1 .LBB63_2337
; %bb.2334:
	s_cmp_gt_i32 s8, 3
	s_cbranch_scc0 .LBB63_2338
; %bb.2335:
	s_wait_loadcnt 0x0
	global_load_b32 v3, v[28:29], off
	s_mov_b32 s9, 0
	s_branch .LBB63_2339
.LBB63_2336:
	s_mov_b32 s9, -1
                                        ; implicit-def: $vgpr3
	s_branch .LBB63_2345
.LBB63_2337:
	s_mov_b32 s9, -1
                                        ; implicit-def: $vgpr3
	s_branch .LBB63_2342
.LBB63_2338:
	s_mov_b32 s9, -1
                                        ; implicit-def: $vgpr3
.LBB63_2339:
	s_delay_alu instid0(SALU_CYCLE_1)
	s_and_not1_b32 vcc_lo, exec_lo, s9
	s_cbranch_vccnz .LBB63_2341
; %bb.2340:
	s_wait_loadcnt 0x0
	global_load_b32 v3, v[28:29], off
.LBB63_2341:
	s_mov_b32 s9, 0
.LBB63_2342:
	s_delay_alu instid0(SALU_CYCLE_1)
	s_and_not1_b32 vcc_lo, exec_lo, s9
	s_cbranch_vccnz .LBB63_2344
; %bb.2343:
	s_wait_loadcnt 0x0
	global_load_i16 v3, v[28:29], off
.LBB63_2344:
	s_mov_b32 s9, 0
.LBB63_2345:
	s_delay_alu instid0(SALU_CYCLE_1)
	s_and_not1_b32 vcc_lo, exec_lo, s9
	s_cbranch_vccnz .LBB63_2351
; %bb.2346:
	s_cmp_gt_i32 s8, 0
	s_mov_b32 s8, 0
	s_cbranch_scc0 .LBB63_2348
; %bb.2347:
	s_wait_loadcnt 0x0
	global_load_i8 v3, v[28:29], off
	s_branch .LBB63_2349
.LBB63_2348:
	s_mov_b32 s8, -1
                                        ; implicit-def: $vgpr3
.LBB63_2349:
	s_delay_alu instid0(SALU_CYCLE_1)
	s_and_not1_b32 vcc_lo, exec_lo, s8
	s_cbranch_vccnz .LBB63_2351
; %bb.2350:
	s_wait_loadcnt 0x0
	global_load_u8 v3, v[28:29], off
.LBB63_2351:
.LBB63_2352:
	v_mov_b32_e32 v27, 0
	s_load_b64 s[8:9], s[2:3], 0x1e0
	global_load_u8 v5, v27, s[2:3] offset:499
	s_wait_kmcnt 0x0
	v_add_nc_u64_e32 v[26:27], s[8:9], v[26:27]
	s_wait_loadcnt 0x0
	v_and_b32_e32 v7, 0xffff, v5
	v_readfirstlane_b32 s15, v5
	s_delay_alu instid0(VALU_DEP_2)
	v_cmp_gt_i32_e32 vcc_lo, 11, v7
	s_cbranch_vccnz .LBB63_2359
; %bb.2353:
	s_and_b32 s16, 0xffff, s15
	s_mov_b32 s18, 0
	s_cmp_gt_i32 s16, 25
	s_cbranch_scc0 .LBB63_2361
; %bb.2354:
	s_cmp_gt_i32 s16, 28
	s_cbranch_scc0 .LBB63_2362
; %bb.2355:
	;; [unrolled: 3-line block ×4, first 2 shown]
	s_cmp_eq_u32 s16, 46
	s_mov_b32 s20, 0
	s_cbranch_scc0 .LBB63_2366
; %bb.2358:
	global_load_b32 v5, v[26:27], off
	s_mov_b32 s17, 0
	s_mov_b32 s19, -1
	s_wait_loadcnt 0x0
	v_lshlrev_b32_e32 v5, 16, v5
	s_delay_alu instid0(VALU_DEP_1)
	v_cvt_i32_f32_e32 v28, v5
	s_branch .LBB63_2368
.LBB63_2359:
	s_mov_b32 s19, 0
                                        ; implicit-def: $vgpr28
	s_cbranch_execnz .LBB63_2430
.LBB63_2360:
	s_and_not1_b32 vcc_lo, exec_lo, s19
	s_cbranch_vccnz .LBB63_4058
	s_branch .LBB63_2478
.LBB63_2361:
	s_mov_b32 s20, -1
	s_mov_b32 s19, 0
	s_mov_b32 s17, 0
                                        ; implicit-def: $vgpr28
	s_branch .LBB63_2395
.LBB63_2362:
	s_mov_b32 s20, -1
	s_mov_b32 s19, 0
	s_mov_b32 s17, 0
                                        ; implicit-def: $vgpr28
	s_branch .LBB63_2378
.LBB63_2363:
	s_mov_b32 s20, -1
	s_mov_b32 s19, 0
	s_mov_b32 s17, 0
                                        ; implicit-def: $vgpr28
	s_branch .LBB63_2373
.LBB63_2364:
	s_or_b32 s13, s13, exec_lo
	s_trap 2
	s_cbranch_execz .LBB63_2303
	s_branch .LBB63_2304
.LBB63_2365:
	s_mov_b32 s20, -1
	s_mov_b32 s19, 0
	s_mov_b32 s17, 0
	s_branch .LBB63_2367
.LBB63_2366:
	s_mov_b32 s17, -1
	s_mov_b32 s19, 0
.LBB63_2367:
                                        ; implicit-def: $vgpr28
.LBB63_2368:
	s_and_b32 vcc_lo, exec_lo, s20
	s_cbranch_vccz .LBB63_2372
; %bb.2369:
	s_cmp_eq_u32 s16, 44
	s_cbranch_scc0 .LBB63_2371
; %bb.2370:
	global_load_u8 v5, v[26:27], off
	s_mov_b32 s17, 0
	s_mov_b32 s19, -1
	s_wait_loadcnt 0x0
	v_lshlrev_b32_e32 v7, 23, v5
	v_cmp_ne_u32_e32 vcc_lo, 0, v5
	s_delay_alu instid0(VALU_DEP_2) | instskip(NEXT) | instid1(VALU_DEP_1)
	v_cvt_i32_f32_e32 v7, v7
	v_cndmask_b32_e32 v28, 0, v7, vcc_lo
	s_branch .LBB63_2372
.LBB63_2371:
	s_mov_b32 s17, -1
                                        ; implicit-def: $vgpr28
.LBB63_2372:
	s_mov_b32 s20, 0
.LBB63_2373:
	s_delay_alu instid0(SALU_CYCLE_1)
	s_and_b32 vcc_lo, exec_lo, s20
	s_cbranch_vccz .LBB63_2377
; %bb.2374:
	s_cmp_eq_u32 s16, 29
	s_cbranch_scc0 .LBB63_2376
; %bb.2375:
	global_load_b32 v28, v[26:27], off
	s_mov_b32 s17, 0
	s_mov_b32 s19, -1
	s_branch .LBB63_2377
.LBB63_2376:
	s_mov_b32 s17, -1
                                        ; implicit-def: $vgpr28
.LBB63_2377:
	s_mov_b32 s20, 0
.LBB63_2378:
	s_delay_alu instid0(SALU_CYCLE_1)
	s_and_b32 vcc_lo, exec_lo, s20
	s_cbranch_vccz .LBB63_2394
; %bb.2379:
	s_cmp_lt_i32 s16, 27
	s_cbranch_scc1 .LBB63_2382
; %bb.2380:
	s_cmp_gt_i32 s16, 27
	s_cbranch_scc0 .LBB63_2383
; %bb.2381:
	s_wait_loadcnt 0x0
	global_load_b32 v28, v[26:27], off
	s_mov_b32 s19, 0
	s_branch .LBB63_2384
.LBB63_2382:
	s_mov_b32 s19, -1
                                        ; implicit-def: $vgpr28
	s_branch .LBB63_2387
.LBB63_2383:
	s_mov_b32 s19, -1
                                        ; implicit-def: $vgpr28
.LBB63_2384:
	s_delay_alu instid0(SALU_CYCLE_1)
	s_and_not1_b32 vcc_lo, exec_lo, s19
	s_cbranch_vccnz .LBB63_2386
; %bb.2385:
	s_wait_loadcnt 0x0
	global_load_u16 v28, v[26:27], off
.LBB63_2386:
	s_mov_b32 s19, 0
.LBB63_2387:
	s_delay_alu instid0(SALU_CYCLE_1)
	s_and_not1_b32 vcc_lo, exec_lo, s19
	s_cbranch_vccnz .LBB63_2393
; %bb.2388:
	global_load_u8 v5, v[26:27], off
	s_mov_b32 s20, 0
	s_mov_b32 s19, exec_lo
	s_wait_loadcnt 0x0
	v_cmpx_lt_i16_e32 0x7f, v5
	s_xor_b32 s19, exec_lo, s19
	s_cbranch_execz .LBB63_2405
; %bb.2389:
	v_cmp_ne_u16_e32 vcc_lo, 0x80, v5
	s_and_b32 s20, vcc_lo, exec_lo
	s_and_not1_saveexec_b32 s19, s19
	s_cbranch_execnz .LBB63_2406
.LBB63_2390:
	s_or_b32 exec_lo, exec_lo, s19
	v_mov_b32_e32 v28, 0
	s_and_saveexec_b32 s19, s20
	s_cbranch_execz .LBB63_2392
.LBB63_2391:
	v_and_b32_e32 v7, 0xffff, v5
	s_delay_alu instid0(VALU_DEP_1) | instskip(SKIP_1) | instid1(VALU_DEP_2)
	v_dual_lshlrev_b32 v5, 24, v5 :: v_dual_bitop2_b32 v9, 7, v7 bitop3:0x40
	v_bfe_u32 v15, v7, 3, 4
	v_and_b32_e32 v5, 0x80000000, v5
	s_delay_alu instid0(VALU_DEP_3) | instskip(NEXT) | instid1(VALU_DEP_3)
	v_clz_i32_u32_e32 v11, v9
	v_cmp_eq_u32_e32 vcc_lo, 0, v15
	s_delay_alu instid0(VALU_DEP_2) | instskip(NEXT) | instid1(VALU_DEP_1)
	v_min_u32_e32 v11, 32, v11
	v_subrev_nc_u32_e32 v13, 28, v11
	v_sub_nc_u32_e32 v11, 29, v11
	s_delay_alu instid0(VALU_DEP_2) | instskip(NEXT) | instid1(VALU_DEP_2)
	v_lshlrev_b32_e32 v7, v13, v7
	v_cndmask_b32_e32 v11, v15, v11, vcc_lo
	s_delay_alu instid0(VALU_DEP_2) | instskip(NEXT) | instid1(VALU_DEP_1)
	v_and_b32_e32 v7, 7, v7
	v_cndmask_b32_e32 v7, v9, v7, vcc_lo
	s_delay_alu instid0(VALU_DEP_3) | instskip(NEXT) | instid1(VALU_DEP_2)
	v_lshl_add_u32 v9, v11, 23, 0x3b800000
	v_lshlrev_b32_e32 v7, 20, v7
	s_delay_alu instid0(VALU_DEP_1) | instskip(NEXT) | instid1(VALU_DEP_1)
	v_or3_b32 v5, v5, v9, v7
	v_cvt_i32_f32_e32 v28, v5
.LBB63_2392:
	s_or_b32 exec_lo, exec_lo, s19
.LBB63_2393:
	s_mov_b32 s19, -1
.LBB63_2394:
	s_mov_b32 s20, 0
.LBB63_2395:
	s_delay_alu instid0(SALU_CYCLE_1)
	s_and_b32 vcc_lo, exec_lo, s20
	s_cbranch_vccz .LBB63_2426
; %bb.2396:
	s_cmp_gt_i32 s16, 22
	s_cbranch_scc0 .LBB63_2404
; %bb.2397:
	s_cmp_lt_i32 s16, 24
	s_cbranch_scc1 .LBB63_2407
; %bb.2398:
	s_cmp_gt_i32 s16, 24
	s_cbranch_scc0 .LBB63_2408
; %bb.2399:
	global_load_u8 v5, v[26:27], off
	s_mov_b32 s19, 0
	s_mov_b32 s18, exec_lo
	s_wait_loadcnt 0x0
	v_cmpx_lt_i16_e32 0x7f, v5
	s_xor_b32 s18, exec_lo, s18
	s_cbranch_execz .LBB63_2420
; %bb.2400:
	v_cmp_ne_u16_e32 vcc_lo, 0x80, v5
	s_and_b32 s19, vcc_lo, exec_lo
	s_and_not1_saveexec_b32 s18, s18
	s_cbranch_execnz .LBB63_2421
.LBB63_2401:
	s_or_b32 exec_lo, exec_lo, s18
	v_mov_b32_e32 v28, 0
	s_and_saveexec_b32 s18, s19
	s_cbranch_execz .LBB63_2403
.LBB63_2402:
	v_and_b32_e32 v7, 0xffff, v5
	s_delay_alu instid0(VALU_DEP_1) | instskip(SKIP_1) | instid1(VALU_DEP_2)
	v_dual_lshlrev_b32 v5, 24, v5 :: v_dual_bitop2_b32 v9, 3, v7 bitop3:0x40
	v_bfe_u32 v15, v7, 2, 5
	v_and_b32_e32 v5, 0x80000000, v5
	s_delay_alu instid0(VALU_DEP_3) | instskip(NEXT) | instid1(VALU_DEP_3)
	v_clz_i32_u32_e32 v11, v9
	v_cmp_eq_u32_e32 vcc_lo, 0, v15
	s_delay_alu instid0(VALU_DEP_2) | instskip(NEXT) | instid1(VALU_DEP_1)
	v_min_u32_e32 v11, 32, v11
	v_subrev_nc_u32_e32 v13, 29, v11
	v_sub_nc_u32_e32 v11, 30, v11
	s_delay_alu instid0(VALU_DEP_2) | instskip(NEXT) | instid1(VALU_DEP_2)
	v_lshlrev_b32_e32 v7, v13, v7
	v_cndmask_b32_e32 v11, v15, v11, vcc_lo
	s_delay_alu instid0(VALU_DEP_2) | instskip(NEXT) | instid1(VALU_DEP_1)
	v_and_b32_e32 v7, 3, v7
	v_cndmask_b32_e32 v7, v9, v7, vcc_lo
	s_delay_alu instid0(VALU_DEP_3) | instskip(NEXT) | instid1(VALU_DEP_2)
	v_lshl_add_u32 v9, v11, 23, 0x37800000
	v_lshlrev_b32_e32 v7, 21, v7
	s_delay_alu instid0(VALU_DEP_1) | instskip(NEXT) | instid1(VALU_DEP_1)
	v_or3_b32 v5, v5, v9, v7
	v_cvt_i32_f32_e32 v28, v5
.LBB63_2403:
	s_or_b32 exec_lo, exec_lo, s18
	s_mov_b32 s18, 0
	s_branch .LBB63_2409
.LBB63_2404:
	s_mov_b32 s18, -1
                                        ; implicit-def: $vgpr28
	s_branch .LBB63_2415
.LBB63_2405:
	s_and_not1_saveexec_b32 s19, s19
	s_cbranch_execz .LBB63_2390
.LBB63_2406:
	v_cmp_ne_u16_e32 vcc_lo, 0, v5
	s_and_not1_b32 s20, s20, exec_lo
	s_and_b32 s21, vcc_lo, exec_lo
	s_delay_alu instid0(SALU_CYCLE_1)
	s_or_b32 s20, s20, s21
	s_or_b32 exec_lo, exec_lo, s19
	v_mov_b32_e32 v28, 0
	s_and_saveexec_b32 s19, s20
	s_cbranch_execnz .LBB63_2391
	s_branch .LBB63_2392
.LBB63_2407:
	s_mov_b32 s18, -1
                                        ; implicit-def: $vgpr28
	s_branch .LBB63_2412
.LBB63_2408:
	s_mov_b32 s18, -1
                                        ; implicit-def: $vgpr28
.LBB63_2409:
	s_delay_alu instid0(SALU_CYCLE_1)
	s_and_b32 vcc_lo, exec_lo, s18
	s_cbranch_vccz .LBB63_2411
; %bb.2410:
	global_load_u8 v5, v[26:27], off
	s_wait_loadcnt 0x0
	v_lshlrev_b32_e32 v5, 24, v5
	s_delay_alu instid0(VALU_DEP_1) | instskip(NEXT) | instid1(VALU_DEP_1)
	v_and_b32_e32 v7, 0x7f000000, v5
	v_clz_i32_u32_e32 v9, v7
	v_add_nc_u32_e32 v13, 0x1000000, v7
	v_cmp_ne_u32_e32 vcc_lo, 0, v7
	s_delay_alu instid0(VALU_DEP_3) | instskip(NEXT) | instid1(VALU_DEP_1)
	v_min_u32_e32 v9, 32, v9
	v_sub_nc_u32_e64 v9, v9, 4 clamp
	s_delay_alu instid0(VALU_DEP_1) | instskip(NEXT) | instid1(VALU_DEP_1)
	v_dual_lshlrev_b32 v11, v9, v7 :: v_dual_lshlrev_b32 v9, 23, v9
	v_lshrrev_b32_e32 v11, 4, v11
	s_delay_alu instid0(VALU_DEP_1) | instskip(SKIP_1) | instid1(VALU_DEP_2)
	v_sub_nc_u32_e32 v9, v11, v9
	v_ashrrev_i32_e32 v11, 8, v13
	v_add_nc_u32_e32 v9, 0x3c000000, v9
	s_delay_alu instid0(VALU_DEP_1) | instskip(NEXT) | instid1(VALU_DEP_1)
	v_and_or_b32 v9, 0x7f800000, v11, v9
	v_cndmask_b32_e32 v7, 0, v9, vcc_lo
	s_delay_alu instid0(VALU_DEP_1) | instskip(NEXT) | instid1(VALU_DEP_1)
	v_and_or_b32 v5, 0x80000000, v5, v7
	v_cvt_i32_f32_e32 v28, v5
.LBB63_2411:
	s_mov_b32 s18, 0
.LBB63_2412:
	s_delay_alu instid0(SALU_CYCLE_1)
	s_and_not1_b32 vcc_lo, exec_lo, s18
	s_cbranch_vccnz .LBB63_2414
; %bb.2413:
	global_load_u8 v5, v[26:27], off
	s_wait_loadcnt 0x0
	v_lshlrev_b32_e32 v7, 25, v5
	v_lshlrev_b16 v5, 8, v5
	s_delay_alu instid0(VALU_DEP_1) | instskip(SKIP_1) | instid1(VALU_DEP_2)
	v_and_or_b32 v11, 0x7f00, v5, 0.5
	v_bfe_i32 v5, v5, 0, 16
	v_add_f32_e32 v11, -0.5, v11
	v_lshrrev_b32_e32 v9, 4, v7
	v_cmp_gt_u32_e32 vcc_lo, 0x8000000, v7
	s_delay_alu instid0(VALU_DEP_2) | instskip(NEXT) | instid1(VALU_DEP_1)
	v_or_b32_e32 v9, 0x70000000, v9
	v_mul_f32_e32 v9, 0x7800000, v9
	s_delay_alu instid0(VALU_DEP_1) | instskip(NEXT) | instid1(VALU_DEP_1)
	v_cndmask_b32_e32 v7, v9, v11, vcc_lo
	v_and_or_b32 v5, 0x80000000, v5, v7
	s_delay_alu instid0(VALU_DEP_1)
	v_cvt_i32_f32_e32 v28, v5
.LBB63_2414:
	s_mov_b32 s18, 0
	s_mov_b32 s19, -1
.LBB63_2415:
	s_and_not1_b32 vcc_lo, exec_lo, s18
	s_mov_b32 s18, 0
	s_cbranch_vccnz .LBB63_2426
; %bb.2416:
	s_cmp_gt_i32 s16, 14
	s_cbranch_scc0 .LBB63_2419
; %bb.2417:
	s_cmp_eq_u32 s16, 15
	s_cbranch_scc0 .LBB63_2422
; %bb.2418:
	global_load_u16 v5, v[26:27], off
	s_mov_b32 s17, 0
	s_mov_b32 s19, -1
	s_wait_loadcnt 0x0
	v_lshlrev_b32_e32 v5, 16, v5
	s_delay_alu instid0(VALU_DEP_1)
	v_cvt_i32_f32_e32 v28, v5
	s_branch .LBB63_2424
.LBB63_2419:
	s_mov_b32 s18, -1
	s_branch .LBB63_2423
.LBB63_2420:
	s_and_not1_saveexec_b32 s18, s18
	s_cbranch_execz .LBB63_2401
.LBB63_2421:
	v_cmp_ne_u16_e32 vcc_lo, 0, v5
	s_and_not1_b32 s19, s19, exec_lo
	s_and_b32 s20, vcc_lo, exec_lo
	s_delay_alu instid0(SALU_CYCLE_1)
	s_or_b32 s19, s19, s20
	s_or_b32 exec_lo, exec_lo, s18
	v_mov_b32_e32 v28, 0
	s_and_saveexec_b32 s18, s19
	s_cbranch_execnz .LBB63_2402
	s_branch .LBB63_2403
.LBB63_2422:
	s_mov_b32 s17, -1
.LBB63_2423:
                                        ; implicit-def: $vgpr28
.LBB63_2424:
	s_and_b32 vcc_lo, exec_lo, s18
	s_mov_b32 s18, 0
	s_cbranch_vccz .LBB63_2426
; %bb.2425:
	s_cmp_lg_u32 s16, 11
	s_mov_b32 s18, -1
	s_cselect_b32 s17, -1, 0
.LBB63_2426:
	s_delay_alu instid0(SALU_CYCLE_1)
	s_and_b32 vcc_lo, exec_lo, s17
	s_cbranch_vccnz .LBB63_2489
; %bb.2427:
	s_and_not1_b32 vcc_lo, exec_lo, s18
	s_cbranch_vccnz .LBB63_2429
.LBB63_2428:
	global_load_u8 v5, v[26:27], off
	s_mov_b32 s19, -1
	s_wait_loadcnt 0x0
	v_cmp_ne_u16_e32 vcc_lo, 0, v5
	v_cndmask_b32_e64 v28, 0, 1, vcc_lo
.LBB63_2429:
	s_branch .LBB63_2360
.LBB63_2430:
	s_and_b32 s16, 0xffff, s15
	s_delay_alu instid0(SALU_CYCLE_1)
	s_cmp_lt_i32 s16, 5
	s_cbranch_scc1 .LBB63_2435
; %bb.2431:
	s_cmp_lt_i32 s16, 8
	s_cbranch_scc1 .LBB63_2436
; %bb.2432:
	;; [unrolled: 3-line block ×3, first 2 shown]
	s_cmp_gt_i32 s16, 9
	s_cbranch_scc0 .LBB63_2438
; %bb.2434:
	s_wait_loadcnt 0x0
	global_load_b64 v[28:29], v[26:27], off
	s_mov_b32 s17, 0
	s_wait_loadcnt 0x0
	v_cvt_i32_f64_e32 v28, v[28:29]
	s_branch .LBB63_2439
.LBB63_2435:
	s_mov_b32 s17, -1
                                        ; implicit-def: $vgpr28
	s_branch .LBB63_2457
.LBB63_2436:
	s_mov_b32 s17, -1
                                        ; implicit-def: $vgpr28
	s_branch .LBB63_2445
.LBB63_2437:
	s_mov_b32 s17, -1
                                        ; implicit-def: $vgpr28
	s_branch .LBB63_2442
.LBB63_2438:
	s_mov_b32 s17, -1
                                        ; implicit-def: $vgpr28
.LBB63_2439:
	s_delay_alu instid0(SALU_CYCLE_1)
	s_and_not1_b32 vcc_lo, exec_lo, s17
	s_cbranch_vccnz .LBB63_2441
; %bb.2440:
	global_load_b32 v5, v[26:27], off
	s_wait_loadcnt 0x0
	v_cvt_i32_f32_e32 v28, v5
.LBB63_2441:
	s_mov_b32 s17, 0
.LBB63_2442:
	s_delay_alu instid0(SALU_CYCLE_1)
	s_and_not1_b32 vcc_lo, exec_lo, s17
	s_cbranch_vccnz .LBB63_2444
; %bb.2443:
	global_load_b32 v5, v[26:27], off
	s_wait_loadcnt 0x0
	v_cvt_f32_f16_e32 v5, v5
	s_delay_alu instid0(VALU_DEP_1)
	v_cvt_i32_f32_e32 v28, v5
.LBB63_2444:
	s_mov_b32 s17, 0
.LBB63_2445:
	s_delay_alu instid0(SALU_CYCLE_1)
	s_and_not1_b32 vcc_lo, exec_lo, s17
	s_cbranch_vccnz .LBB63_2456
; %bb.2446:
	s_cmp_lt_i32 s16, 6
	s_cbranch_scc1 .LBB63_2449
; %bb.2447:
	s_cmp_gt_i32 s16, 6
	s_cbranch_scc0 .LBB63_2450
; %bb.2448:
	s_wait_loadcnt 0x0
	global_load_b64 v[28:29], v[26:27], off
	s_mov_b32 s17, 0
	s_wait_loadcnt 0x0
	v_cvt_i32_f64_e32 v28, v[28:29]
	s_branch .LBB63_2451
.LBB63_2449:
	s_mov_b32 s17, -1
                                        ; implicit-def: $vgpr28
	s_branch .LBB63_2454
.LBB63_2450:
	s_mov_b32 s17, -1
                                        ; implicit-def: $vgpr28
.LBB63_2451:
	s_delay_alu instid0(SALU_CYCLE_1)
	s_and_not1_b32 vcc_lo, exec_lo, s17
	s_cbranch_vccnz .LBB63_2453
; %bb.2452:
	global_load_b32 v5, v[26:27], off
	s_wait_loadcnt 0x0
	v_cvt_i32_f32_e32 v28, v5
.LBB63_2453:
	s_mov_b32 s17, 0
.LBB63_2454:
	s_delay_alu instid0(SALU_CYCLE_1)
	s_and_not1_b32 vcc_lo, exec_lo, s17
	s_cbranch_vccnz .LBB63_2456
; %bb.2455:
	global_load_u16 v5, v[26:27], off
	s_wait_loadcnt 0x0
	v_cvt_f32_f16_e32 v5, v5
	s_delay_alu instid0(VALU_DEP_1)
	v_cvt_i32_f32_e32 v28, v5
.LBB63_2456:
	s_mov_b32 s17, 0
.LBB63_2457:
	s_delay_alu instid0(SALU_CYCLE_1)
	s_and_not1_b32 vcc_lo, exec_lo, s17
	s_cbranch_vccnz .LBB63_2477
; %bb.2458:
	s_cmp_lt_i32 s16, 2
	s_cbranch_scc1 .LBB63_2462
; %bb.2459:
	s_cmp_lt_i32 s16, 3
	s_cbranch_scc1 .LBB63_2463
; %bb.2460:
	s_cmp_gt_i32 s16, 3
	s_cbranch_scc0 .LBB63_2464
; %bb.2461:
	s_wait_loadcnt 0x0
	global_load_b32 v28, v[26:27], off
	s_mov_b32 s17, 0
	s_branch .LBB63_2465
.LBB63_2462:
	s_mov_b32 s17, -1
                                        ; implicit-def: $vgpr28
	s_branch .LBB63_2471
.LBB63_2463:
	s_mov_b32 s17, -1
                                        ; implicit-def: $vgpr28
	s_branch .LBB63_2468
.LBB63_2464:
	s_mov_b32 s17, -1
                                        ; implicit-def: $vgpr28
.LBB63_2465:
	s_delay_alu instid0(SALU_CYCLE_1)
	s_and_not1_b32 vcc_lo, exec_lo, s17
	s_cbranch_vccnz .LBB63_2467
; %bb.2466:
	s_wait_loadcnt 0x0
	global_load_b32 v28, v[26:27], off
.LBB63_2467:
	s_mov_b32 s17, 0
.LBB63_2468:
	s_delay_alu instid0(SALU_CYCLE_1)
	s_and_not1_b32 vcc_lo, exec_lo, s17
	s_cbranch_vccnz .LBB63_2470
; %bb.2469:
	s_wait_loadcnt 0x0
	global_load_i16 v28, v[26:27], off
.LBB63_2470:
	s_mov_b32 s17, 0
.LBB63_2471:
	s_delay_alu instid0(SALU_CYCLE_1)
	s_and_not1_b32 vcc_lo, exec_lo, s17
	s_cbranch_vccnz .LBB63_2477
; %bb.2472:
	s_cmp_gt_i32 s16, 0
	s_mov_b32 s16, 0
	s_cbranch_scc0 .LBB63_2474
; %bb.2473:
	s_wait_loadcnt 0x0
	global_load_i8 v28, v[26:27], off
	s_branch .LBB63_2475
.LBB63_2474:
	s_mov_b32 s16, -1
                                        ; implicit-def: $vgpr28
.LBB63_2475:
	s_delay_alu instid0(SALU_CYCLE_1)
	s_and_not1_b32 vcc_lo, exec_lo, s16
	s_cbranch_vccnz .LBB63_2477
; %bb.2476:
	s_wait_loadcnt 0x0
	global_load_u8 v28, v[26:27], off
.LBB63_2477:
.LBB63_2478:
	v_mov_b32_e32 v25, 0
	s_and_b32 s10, 0xffff, s10
	s_delay_alu instid0(SALU_CYCLE_1) | instskip(NEXT) | instid1(VALU_DEP_1)
	s_cmp_lt_i32 s10, 11
	v_add_nc_u64_e32 v[24:25], s[6:7], v[24:25]
	s_cbranch_scc1 .LBB63_2485
; %bb.2479:
	s_cmp_gt_i32 s10, 25
	s_mov_b32 s17, 0
	s_cbranch_scc0 .LBB63_2486
; %bb.2480:
	s_cmp_gt_i32 s10, 28
	s_cbranch_scc0 .LBB63_2487
; %bb.2481:
	s_cmp_gt_i32 s10, 43
	;; [unrolled: 3-line block ×3, first 2 shown]
	s_cbranch_scc0 .LBB63_2490
; %bb.2483:
	s_cmp_eq_u32 s10, 46
	s_mov_b32 s19, 0
	s_cbranch_scc0 .LBB63_2491
; %bb.2484:
	global_load_b32 v5, v[24:25], off
	s_mov_b32 s16, 0
	s_mov_b32 s18, -1
	s_wait_loadcnt 0x0
	v_lshlrev_b32_e32 v5, 16, v5
	s_delay_alu instid0(VALU_DEP_1)
	v_cvt_i32_f32_e32 v5, v5
	s_branch .LBB63_2493
.LBB63_2485:
	s_mov_b32 s16, -1
	s_mov_b32 s18, 0
                                        ; implicit-def: $vgpr5
	s_branch .LBB63_2555
.LBB63_2486:
	s_mov_b32 s19, -1
	s_mov_b32 s18, 0
	s_mov_b32 s16, 0
                                        ; implicit-def: $vgpr5
	s_branch .LBB63_2520
.LBB63_2487:
	s_mov_b32 s19, -1
	s_mov_b32 s18, 0
	s_mov_b32 s16, 0
                                        ; implicit-def: $vgpr5
	s_branch .LBB63_2503
.LBB63_2488:
	s_mov_b32 s19, -1
	s_mov_b32 s18, 0
	s_mov_b32 s16, 0
                                        ; implicit-def: $vgpr5
	s_branch .LBB63_2498
.LBB63_2489:
	s_or_b32 s13, s13, exec_lo
	s_trap 2
	s_cbranch_execz .LBB63_2428
	s_branch .LBB63_2429
.LBB63_2490:
	s_mov_b32 s19, -1
	s_mov_b32 s18, 0
	s_mov_b32 s16, 0
	s_branch .LBB63_2492
.LBB63_2491:
	s_mov_b32 s16, -1
	s_mov_b32 s18, 0
.LBB63_2492:
                                        ; implicit-def: $vgpr5
.LBB63_2493:
	s_and_b32 vcc_lo, exec_lo, s19
	s_cbranch_vccz .LBB63_2497
; %bb.2494:
	s_cmp_eq_u32 s10, 44
	s_cbranch_scc0 .LBB63_2496
; %bb.2495:
	global_load_u8 v5, v[24:25], off
	s_mov_b32 s16, 0
	s_mov_b32 s18, -1
	s_wait_loadcnt 0x0
	v_lshlrev_b32_e32 v7, 23, v5
	v_cmp_ne_u32_e32 vcc_lo, 0, v5
	s_delay_alu instid0(VALU_DEP_2) | instskip(NEXT) | instid1(VALU_DEP_1)
	v_cvt_i32_f32_e32 v7, v7
	v_cndmask_b32_e32 v5, 0, v7, vcc_lo
	s_branch .LBB63_2497
.LBB63_2496:
	s_mov_b32 s16, -1
                                        ; implicit-def: $vgpr5
.LBB63_2497:
	s_mov_b32 s19, 0
.LBB63_2498:
	s_delay_alu instid0(SALU_CYCLE_1)
	s_and_b32 vcc_lo, exec_lo, s19
	s_cbranch_vccz .LBB63_2502
; %bb.2499:
	s_cmp_eq_u32 s10, 29
	s_cbranch_scc0 .LBB63_2501
; %bb.2500:
	global_load_b32 v5, v[24:25], off
	s_mov_b32 s16, 0
	s_mov_b32 s18, -1
	s_branch .LBB63_2502
.LBB63_2501:
	s_mov_b32 s16, -1
                                        ; implicit-def: $vgpr5
.LBB63_2502:
	s_mov_b32 s19, 0
.LBB63_2503:
	s_delay_alu instid0(SALU_CYCLE_1)
	s_and_b32 vcc_lo, exec_lo, s19
	s_cbranch_vccz .LBB63_2519
; %bb.2504:
	s_cmp_lt_i32 s10, 27
	s_cbranch_scc1 .LBB63_2507
; %bb.2505:
	s_cmp_gt_i32 s10, 27
	s_cbranch_scc0 .LBB63_2508
; %bb.2506:
	s_wait_loadcnt 0x0
	global_load_b32 v5, v[24:25], off
	s_mov_b32 s18, 0
	s_branch .LBB63_2509
.LBB63_2507:
	s_mov_b32 s18, -1
                                        ; implicit-def: $vgpr5
	s_branch .LBB63_2512
.LBB63_2508:
	s_mov_b32 s18, -1
                                        ; implicit-def: $vgpr5
.LBB63_2509:
	s_delay_alu instid0(SALU_CYCLE_1)
	s_and_not1_b32 vcc_lo, exec_lo, s18
	s_cbranch_vccnz .LBB63_2511
; %bb.2510:
	s_wait_loadcnt 0x0
	global_load_u16 v5, v[24:25], off
.LBB63_2511:
	s_mov_b32 s18, 0
.LBB63_2512:
	s_delay_alu instid0(SALU_CYCLE_1)
	s_and_not1_b32 vcc_lo, exec_lo, s18
	s_cbranch_vccnz .LBB63_2518
; %bb.2513:
	global_load_u8 v7, v[24:25], off
	s_mov_b32 s19, 0
	s_mov_b32 s18, exec_lo
	s_wait_loadcnt 0x0
	v_cmpx_lt_i16_e32 0x7f, v7
	s_xor_b32 s18, exec_lo, s18
	s_cbranch_execz .LBB63_2530
; %bb.2514:
	v_cmp_ne_u16_e32 vcc_lo, 0x80, v7
	s_and_b32 s19, vcc_lo, exec_lo
	s_and_not1_saveexec_b32 s18, s18
	s_cbranch_execnz .LBB63_2531
.LBB63_2515:
	s_or_b32 exec_lo, exec_lo, s18
	v_mov_b32_e32 v5, 0
	s_and_saveexec_b32 s18, s19
	s_cbranch_execz .LBB63_2517
.LBB63_2516:
	v_and_b32_e32 v5, 0xffff, v7
	s_delay_alu instid0(VALU_DEP_1) | instskip(SKIP_1) | instid1(VALU_DEP_2)
	v_and_b32_e32 v9, 7, v5
	v_bfe_u32 v15, v5, 3, 4
	v_clz_i32_u32_e32 v11, v9
	s_delay_alu instid0(VALU_DEP_2) | instskip(NEXT) | instid1(VALU_DEP_2)
	v_cmp_eq_u32_e32 vcc_lo, 0, v15
	v_min_u32_e32 v11, 32, v11
	s_delay_alu instid0(VALU_DEP_1) | instskip(NEXT) | instid1(VALU_DEP_1)
	v_subrev_nc_u32_e32 v13, 28, v11
	v_dual_lshlrev_b32 v5, v13, v5 :: v_dual_sub_nc_u32 v11, 29, v11
	s_delay_alu instid0(VALU_DEP_1) | instskip(NEXT) | instid1(VALU_DEP_1)
	v_dual_lshlrev_b32 v7, 24, v7 :: v_dual_bitop2_b32 v5, 7, v5 bitop3:0x40
	v_dual_cndmask_b32 v5, v9, v5, vcc_lo :: v_dual_cndmask_b32 v11, v15, v11, vcc_lo
	s_delay_alu instid0(VALU_DEP_2) | instskip(NEXT) | instid1(VALU_DEP_2)
	v_and_b32_e32 v7, 0x80000000, v7
	v_lshlrev_b32_e32 v5, 20, v5
	s_delay_alu instid0(VALU_DEP_3) | instskip(NEXT) | instid1(VALU_DEP_1)
	v_lshl_add_u32 v9, v11, 23, 0x3b800000
	v_or3_b32 v5, v7, v9, v5
	s_delay_alu instid0(VALU_DEP_1)
	v_cvt_i32_f32_e32 v5, v5
.LBB63_2517:
	s_or_b32 exec_lo, exec_lo, s18
.LBB63_2518:
	s_mov_b32 s18, -1
.LBB63_2519:
	s_mov_b32 s19, 0
.LBB63_2520:
	s_delay_alu instid0(SALU_CYCLE_1)
	s_and_b32 vcc_lo, exec_lo, s19
	s_cbranch_vccz .LBB63_2551
; %bb.2521:
	s_cmp_gt_i32 s10, 22
	s_cbranch_scc0 .LBB63_2529
; %bb.2522:
	s_cmp_lt_i32 s10, 24
	s_cbranch_scc1 .LBB63_2532
; %bb.2523:
	s_cmp_gt_i32 s10, 24
	s_cbranch_scc0 .LBB63_2533
; %bb.2524:
	global_load_u8 v7, v[24:25], off
	s_mov_b32 s18, 0
	s_mov_b32 s17, exec_lo
	s_wait_loadcnt 0x0
	v_cmpx_lt_i16_e32 0x7f, v7
	s_xor_b32 s17, exec_lo, s17
	s_cbranch_execz .LBB63_2545
; %bb.2525:
	v_cmp_ne_u16_e32 vcc_lo, 0x80, v7
	s_and_b32 s18, vcc_lo, exec_lo
	s_and_not1_saveexec_b32 s17, s17
	s_cbranch_execnz .LBB63_2546
.LBB63_2526:
	s_or_b32 exec_lo, exec_lo, s17
	v_mov_b32_e32 v5, 0
	s_and_saveexec_b32 s17, s18
	s_cbranch_execz .LBB63_2528
.LBB63_2527:
	v_and_b32_e32 v5, 0xffff, v7
	s_delay_alu instid0(VALU_DEP_1) | instskip(SKIP_1) | instid1(VALU_DEP_2)
	v_and_b32_e32 v9, 3, v5
	v_bfe_u32 v15, v5, 2, 5
	v_clz_i32_u32_e32 v11, v9
	s_delay_alu instid0(VALU_DEP_2) | instskip(NEXT) | instid1(VALU_DEP_2)
	v_cmp_eq_u32_e32 vcc_lo, 0, v15
	v_min_u32_e32 v11, 32, v11
	s_delay_alu instid0(VALU_DEP_1) | instskip(NEXT) | instid1(VALU_DEP_1)
	v_subrev_nc_u32_e32 v13, 29, v11
	v_dual_lshlrev_b32 v5, v13, v5 :: v_dual_sub_nc_u32 v11, 30, v11
	s_delay_alu instid0(VALU_DEP_1) | instskip(NEXT) | instid1(VALU_DEP_1)
	v_dual_lshlrev_b32 v7, 24, v7 :: v_dual_bitop2_b32 v5, 3, v5 bitop3:0x40
	v_dual_cndmask_b32 v5, v9, v5, vcc_lo :: v_dual_cndmask_b32 v11, v15, v11, vcc_lo
	s_delay_alu instid0(VALU_DEP_2) | instskip(NEXT) | instid1(VALU_DEP_2)
	v_and_b32_e32 v7, 0x80000000, v7
	v_lshlrev_b32_e32 v5, 21, v5
	s_delay_alu instid0(VALU_DEP_3) | instskip(NEXT) | instid1(VALU_DEP_1)
	v_lshl_add_u32 v9, v11, 23, 0x37800000
	v_or3_b32 v5, v7, v9, v5
	s_delay_alu instid0(VALU_DEP_1)
	v_cvt_i32_f32_e32 v5, v5
.LBB63_2528:
	s_or_b32 exec_lo, exec_lo, s17
	s_mov_b32 s17, 0
	s_branch .LBB63_2534
.LBB63_2529:
	s_mov_b32 s17, -1
                                        ; implicit-def: $vgpr5
	s_branch .LBB63_2540
.LBB63_2530:
	s_and_not1_saveexec_b32 s18, s18
	s_cbranch_execz .LBB63_2515
.LBB63_2531:
	v_cmp_ne_u16_e32 vcc_lo, 0, v7
	s_and_not1_b32 s19, s19, exec_lo
	s_and_b32 s20, vcc_lo, exec_lo
	s_delay_alu instid0(SALU_CYCLE_1)
	s_or_b32 s19, s19, s20
	s_or_b32 exec_lo, exec_lo, s18
	v_mov_b32_e32 v5, 0
	s_and_saveexec_b32 s18, s19
	s_cbranch_execnz .LBB63_2516
	s_branch .LBB63_2517
.LBB63_2532:
	s_mov_b32 s17, -1
                                        ; implicit-def: $vgpr5
	s_branch .LBB63_2537
.LBB63_2533:
	s_mov_b32 s17, -1
                                        ; implicit-def: $vgpr5
.LBB63_2534:
	s_delay_alu instid0(SALU_CYCLE_1)
	s_and_b32 vcc_lo, exec_lo, s17
	s_cbranch_vccz .LBB63_2536
; %bb.2535:
	s_wait_loadcnt 0x0
	global_load_u8 v5, v[24:25], off
	s_wait_loadcnt 0x0
	v_lshlrev_b32_e32 v5, 24, v5
	s_delay_alu instid0(VALU_DEP_1) | instskip(NEXT) | instid1(VALU_DEP_1)
	v_and_b32_e32 v7, 0x7f000000, v5
	v_clz_i32_u32_e32 v9, v7
	v_add_nc_u32_e32 v13, 0x1000000, v7
	v_cmp_ne_u32_e32 vcc_lo, 0, v7
	s_delay_alu instid0(VALU_DEP_3) | instskip(NEXT) | instid1(VALU_DEP_1)
	v_min_u32_e32 v9, 32, v9
	v_sub_nc_u32_e64 v9, v9, 4 clamp
	s_delay_alu instid0(VALU_DEP_1) | instskip(NEXT) | instid1(VALU_DEP_1)
	v_dual_lshlrev_b32 v11, v9, v7 :: v_dual_lshlrev_b32 v9, 23, v9
	v_lshrrev_b32_e32 v11, 4, v11
	s_delay_alu instid0(VALU_DEP_1) | instskip(SKIP_1) | instid1(VALU_DEP_2)
	v_sub_nc_u32_e32 v9, v11, v9
	v_ashrrev_i32_e32 v11, 8, v13
	v_add_nc_u32_e32 v9, 0x3c000000, v9
	s_delay_alu instid0(VALU_DEP_1) | instskip(NEXT) | instid1(VALU_DEP_1)
	v_and_or_b32 v9, 0x7f800000, v11, v9
	v_cndmask_b32_e32 v7, 0, v9, vcc_lo
	s_delay_alu instid0(VALU_DEP_1) | instskip(NEXT) | instid1(VALU_DEP_1)
	v_and_or_b32 v5, 0x80000000, v5, v7
	v_cvt_i32_f32_e32 v5, v5
.LBB63_2536:
	s_mov_b32 s17, 0
.LBB63_2537:
	s_delay_alu instid0(SALU_CYCLE_1)
	s_and_not1_b32 vcc_lo, exec_lo, s17
	s_cbranch_vccnz .LBB63_2539
; %bb.2538:
	s_wait_loadcnt 0x0
	global_load_u8 v5, v[24:25], off
	s_wait_loadcnt 0x0
	v_lshlrev_b32_e32 v7, 25, v5
	v_lshlrev_b16 v5, 8, v5
	s_delay_alu instid0(VALU_DEP_1) | instskip(SKIP_1) | instid1(VALU_DEP_2)
	v_and_or_b32 v11, 0x7f00, v5, 0.5
	v_bfe_i32 v5, v5, 0, 16
	v_add_f32_e32 v11, -0.5, v11
	v_lshrrev_b32_e32 v9, 4, v7
	v_cmp_gt_u32_e32 vcc_lo, 0x8000000, v7
	s_delay_alu instid0(VALU_DEP_2) | instskip(NEXT) | instid1(VALU_DEP_1)
	v_or_b32_e32 v9, 0x70000000, v9
	v_mul_f32_e32 v9, 0x7800000, v9
	s_delay_alu instid0(VALU_DEP_1) | instskip(NEXT) | instid1(VALU_DEP_1)
	v_cndmask_b32_e32 v7, v9, v11, vcc_lo
	v_and_or_b32 v5, 0x80000000, v5, v7
	s_delay_alu instid0(VALU_DEP_1)
	v_cvt_i32_f32_e32 v5, v5
.LBB63_2539:
	s_mov_b32 s17, 0
	s_mov_b32 s18, -1
.LBB63_2540:
	s_and_not1_b32 vcc_lo, exec_lo, s17
	s_mov_b32 s17, 0
	s_cbranch_vccnz .LBB63_2551
; %bb.2541:
	s_cmp_gt_i32 s10, 14
	s_cbranch_scc0 .LBB63_2544
; %bb.2542:
	s_cmp_eq_u32 s10, 15
	s_cbranch_scc0 .LBB63_2547
; %bb.2543:
	s_wait_loadcnt 0x0
	global_load_u16 v5, v[24:25], off
	s_mov_b32 s16, 0
	s_mov_b32 s18, -1
	s_wait_loadcnt 0x0
	v_lshlrev_b32_e32 v5, 16, v5
	s_delay_alu instid0(VALU_DEP_1)
	v_cvt_i32_f32_e32 v5, v5
	s_branch .LBB63_2549
.LBB63_2544:
	s_mov_b32 s17, -1
	s_branch .LBB63_2548
.LBB63_2545:
	s_and_not1_saveexec_b32 s17, s17
	s_cbranch_execz .LBB63_2526
.LBB63_2546:
	v_cmp_ne_u16_e32 vcc_lo, 0, v7
	s_and_not1_b32 s18, s18, exec_lo
	s_and_b32 s19, vcc_lo, exec_lo
	s_delay_alu instid0(SALU_CYCLE_1)
	s_or_b32 s18, s18, s19
	s_or_b32 exec_lo, exec_lo, s17
	v_mov_b32_e32 v5, 0
	s_and_saveexec_b32 s17, s18
	s_cbranch_execnz .LBB63_2527
	s_branch .LBB63_2528
.LBB63_2547:
	s_mov_b32 s16, -1
.LBB63_2548:
                                        ; implicit-def: $vgpr5
.LBB63_2549:
	s_and_b32 vcc_lo, exec_lo, s17
	s_mov_b32 s17, 0
	s_cbranch_vccz .LBB63_2551
; %bb.2550:
	s_cmp_lg_u32 s10, 11
	s_mov_b32 s17, -1
	s_cselect_b32 s16, -1, 0
.LBB63_2551:
	s_delay_alu instid0(SALU_CYCLE_1)
	s_and_b32 vcc_lo, exec_lo, s16
	s_cbranch_vccnz .LBB63_2616
; %bb.2552:
	s_and_not1_b32 vcc_lo, exec_lo, s17
	s_cbranch_vccnz .LBB63_2554
.LBB63_2553:
	s_wait_loadcnt 0x0
	global_load_u8 v5, v[24:25], off
	s_mov_b32 s18, -1
	s_wait_loadcnt 0x0
	v_cmp_ne_u16_e32 vcc_lo, 0, v5
	v_cndmask_b32_e64 v5, 0, 1, vcc_lo
.LBB63_2554:
	s_mov_b32 s16, 0
.LBB63_2555:
	s_delay_alu instid0(SALU_CYCLE_1)
	s_and_b32 vcc_lo, exec_lo, s16
	s_cbranch_vccz .LBB63_2604
; %bb.2556:
	s_cmp_lt_i32 s10, 5
	s_cbranch_scc1 .LBB63_2561
; %bb.2557:
	s_cmp_lt_i32 s10, 8
	s_cbranch_scc1 .LBB63_2562
	;; [unrolled: 3-line block ×3, first 2 shown]
; %bb.2559:
	s_cmp_gt_i32 s10, 9
	s_cbranch_scc0 .LBB63_2564
; %bb.2560:
	global_load_b64 v[26:27], v[24:25], off
	s_mov_b32 s16, 0
	s_wait_loadcnt 0x0
	v_cvt_i32_f64_e32 v5, v[26:27]
	s_branch .LBB63_2565
.LBB63_2561:
	s_mov_b32 s16, -1
                                        ; implicit-def: $vgpr5
	s_branch .LBB63_2583
.LBB63_2562:
	s_mov_b32 s16, -1
                                        ; implicit-def: $vgpr5
	s_branch .LBB63_2571
.LBB63_2563:
	s_mov_b32 s16, -1
                                        ; implicit-def: $vgpr5
	s_branch .LBB63_2568
.LBB63_2564:
	s_mov_b32 s16, -1
                                        ; implicit-def: $vgpr5
.LBB63_2565:
	s_delay_alu instid0(SALU_CYCLE_1)
	s_and_not1_b32 vcc_lo, exec_lo, s16
	s_cbranch_vccnz .LBB63_2567
; %bb.2566:
	s_wait_loadcnt 0x0
	global_load_b32 v5, v[24:25], off
	s_wait_loadcnt 0x0
	v_cvt_i32_f32_e32 v5, v5
.LBB63_2567:
	s_mov_b32 s16, 0
.LBB63_2568:
	s_delay_alu instid0(SALU_CYCLE_1)
	s_and_not1_b32 vcc_lo, exec_lo, s16
	s_cbranch_vccnz .LBB63_2570
; %bb.2569:
	s_wait_loadcnt 0x0
	global_load_b32 v5, v[24:25], off
	s_wait_loadcnt 0x0
	v_cvt_f32_f16_e32 v5, v5
	s_delay_alu instid0(VALU_DEP_1)
	v_cvt_i32_f32_e32 v5, v5
.LBB63_2570:
	s_mov_b32 s16, 0
.LBB63_2571:
	s_delay_alu instid0(SALU_CYCLE_1)
	s_and_not1_b32 vcc_lo, exec_lo, s16
	s_cbranch_vccnz .LBB63_2582
; %bb.2572:
	s_cmp_lt_i32 s10, 6
	s_cbranch_scc1 .LBB63_2575
; %bb.2573:
	s_cmp_gt_i32 s10, 6
	s_cbranch_scc0 .LBB63_2576
; %bb.2574:
	global_load_b64 v[26:27], v[24:25], off
	s_mov_b32 s16, 0
	s_wait_loadcnt 0x0
	v_cvt_i32_f64_e32 v5, v[26:27]
	s_branch .LBB63_2577
.LBB63_2575:
	s_mov_b32 s16, -1
                                        ; implicit-def: $vgpr5
	s_branch .LBB63_2580
.LBB63_2576:
	s_mov_b32 s16, -1
                                        ; implicit-def: $vgpr5
.LBB63_2577:
	s_delay_alu instid0(SALU_CYCLE_1)
	s_and_not1_b32 vcc_lo, exec_lo, s16
	s_cbranch_vccnz .LBB63_2579
; %bb.2578:
	s_wait_loadcnt 0x0
	global_load_b32 v5, v[24:25], off
	s_wait_loadcnt 0x0
	v_cvt_i32_f32_e32 v5, v5
.LBB63_2579:
	s_mov_b32 s16, 0
.LBB63_2580:
	s_delay_alu instid0(SALU_CYCLE_1)
	s_and_not1_b32 vcc_lo, exec_lo, s16
	s_cbranch_vccnz .LBB63_2582
; %bb.2581:
	s_wait_loadcnt 0x0
	global_load_u16 v5, v[24:25], off
	s_wait_loadcnt 0x0
	v_cvt_f32_f16_e32 v5, v5
	s_delay_alu instid0(VALU_DEP_1)
	v_cvt_i32_f32_e32 v5, v5
.LBB63_2582:
	s_mov_b32 s16, 0
.LBB63_2583:
	s_delay_alu instid0(SALU_CYCLE_1)
	s_and_not1_b32 vcc_lo, exec_lo, s16
	s_cbranch_vccnz .LBB63_2603
; %bb.2584:
	s_cmp_lt_i32 s10, 2
	s_cbranch_scc1 .LBB63_2588
; %bb.2585:
	s_cmp_lt_i32 s10, 3
	s_cbranch_scc1 .LBB63_2589
; %bb.2586:
	s_cmp_gt_i32 s10, 3
	s_cbranch_scc0 .LBB63_2590
; %bb.2587:
	s_wait_loadcnt 0x0
	global_load_b32 v5, v[24:25], off
	s_mov_b32 s16, 0
	s_branch .LBB63_2591
.LBB63_2588:
	s_mov_b32 s16, -1
                                        ; implicit-def: $vgpr5
	s_branch .LBB63_2597
.LBB63_2589:
	s_mov_b32 s16, -1
                                        ; implicit-def: $vgpr5
	s_branch .LBB63_2594
.LBB63_2590:
	s_mov_b32 s16, -1
                                        ; implicit-def: $vgpr5
.LBB63_2591:
	s_delay_alu instid0(SALU_CYCLE_1)
	s_and_not1_b32 vcc_lo, exec_lo, s16
	s_cbranch_vccnz .LBB63_2593
; %bb.2592:
	s_wait_loadcnt 0x0
	global_load_b32 v5, v[24:25], off
.LBB63_2593:
	s_mov_b32 s16, 0
.LBB63_2594:
	s_delay_alu instid0(SALU_CYCLE_1)
	s_and_not1_b32 vcc_lo, exec_lo, s16
	s_cbranch_vccnz .LBB63_2596
; %bb.2595:
	s_wait_loadcnt 0x0
	global_load_i16 v5, v[24:25], off
.LBB63_2596:
	s_mov_b32 s16, 0
.LBB63_2597:
	s_delay_alu instid0(SALU_CYCLE_1)
	s_and_not1_b32 vcc_lo, exec_lo, s16
	s_cbranch_vccnz .LBB63_2603
; %bb.2598:
	s_cmp_gt_i32 s10, 0
	s_mov_b32 s16, 0
	s_cbranch_scc0 .LBB63_2600
; %bb.2599:
	s_wait_loadcnt 0x0
	global_load_i8 v5, v[24:25], off
	s_branch .LBB63_2601
.LBB63_2600:
	s_mov_b32 s16, -1
                                        ; implicit-def: $vgpr5
.LBB63_2601:
	s_delay_alu instid0(SALU_CYCLE_1)
	s_and_not1_b32 vcc_lo, exec_lo, s16
	s_cbranch_vccnz .LBB63_2603
; %bb.2602:
	s_wait_loadcnt 0x0
	global_load_u8 v5, v[24:25], off
.LBB63_2603:
	s_mov_b32 s18, -1
.LBB63_2604:
	s_delay_alu instid0(SALU_CYCLE_1)
	s_and_not1_b32 vcc_lo, exec_lo, s18
	s_cbranch_vccnz .LBB63_4058
; %bb.2605:
	v_mov_b32_e32 v23, 0
	s_and_b32 s14, 0xffff, s14
	s_delay_alu instid0(SALU_CYCLE_1) | instskip(NEXT) | instid1(VALU_DEP_1)
	s_cmp_lt_i32 s14, 11
	v_add_nc_u64_e32 v[22:23], s[0:1], v[22:23]
	s_cbranch_scc1 .LBB63_2612
; %bb.2606:
	s_cmp_gt_i32 s14, 25
	s_mov_b32 s17, 0
	s_cbranch_scc0 .LBB63_2613
; %bb.2607:
	s_cmp_gt_i32 s14, 28
	s_cbranch_scc0 .LBB63_2614
; %bb.2608:
	s_cmp_gt_i32 s14, 43
	;; [unrolled: 3-line block ×3, first 2 shown]
	s_cbranch_scc0 .LBB63_2617
; %bb.2610:
	s_cmp_eq_u32 s14, 46
	s_mov_b32 s19, 0
	s_cbranch_scc0 .LBB63_2618
; %bb.2611:
	global_load_b32 v7, v[22:23], off
	s_mov_b32 s16, 0
	s_mov_b32 s18, -1
	s_wait_loadcnt 0x0
	v_lshlrev_b32_e32 v7, 16, v7
	s_wait_xcnt 0x1
	s_delay_alu instid0(VALU_DEP_1)
	v_cvt_i32_f32_e32 v24, v7
	s_branch .LBB63_2620
.LBB63_2612:
	s_mov_b32 s16, -1
	s_mov_b32 s18, 0
                                        ; implicit-def: $vgpr24
	s_branch .LBB63_2682
.LBB63_2613:
	s_mov_b32 s19, -1
	s_mov_b32 s18, 0
	s_mov_b32 s16, 0
                                        ; implicit-def: $vgpr24
	s_branch .LBB63_2647
.LBB63_2614:
	s_mov_b32 s19, -1
	s_mov_b32 s18, 0
	s_mov_b32 s16, 0
                                        ; implicit-def: $vgpr24
	s_branch .LBB63_2630
.LBB63_2615:
	s_mov_b32 s19, -1
	s_mov_b32 s18, 0
	s_mov_b32 s16, 0
                                        ; implicit-def: $vgpr24
	s_branch .LBB63_2625
.LBB63_2616:
	s_or_b32 s13, s13, exec_lo
	s_trap 2
	s_cbranch_execz .LBB63_2553
	s_branch .LBB63_2554
.LBB63_2617:
	s_mov_b32 s19, -1
	s_mov_b32 s18, 0
	s_mov_b32 s16, 0
	s_branch .LBB63_2619
.LBB63_2618:
	s_mov_b32 s16, -1
	s_mov_b32 s18, 0
.LBB63_2619:
                                        ; implicit-def: $vgpr24
.LBB63_2620:
	s_and_b32 vcc_lo, exec_lo, s19
	s_cbranch_vccz .LBB63_2624
; %bb.2621:
	s_cmp_eq_u32 s14, 44
	s_cbranch_scc0 .LBB63_2623
; %bb.2622:
	global_load_u8 v7, v[22:23], off
	s_mov_b32 s16, 0
	s_mov_b32 s18, -1
	s_wait_loadcnt 0x0
	v_lshlrev_b32_e32 v9, 23, v7
	v_cmp_ne_u32_e32 vcc_lo, 0, v7
	s_delay_alu instid0(VALU_DEP_2) | instskip(SKIP_1) | instid1(VALU_DEP_1)
	v_cvt_i32_f32_e32 v9, v9
	s_wait_xcnt 0x1
	v_cndmask_b32_e32 v24, 0, v9, vcc_lo
	s_branch .LBB63_2624
.LBB63_2623:
	s_mov_b32 s16, -1
                                        ; implicit-def: $vgpr24
.LBB63_2624:
	s_mov_b32 s19, 0
.LBB63_2625:
	s_delay_alu instid0(SALU_CYCLE_1)
	s_and_b32 vcc_lo, exec_lo, s19
	s_cbranch_vccz .LBB63_2629
; %bb.2626:
	s_cmp_eq_u32 s14, 29
	s_cbranch_scc0 .LBB63_2628
; %bb.2627:
	global_load_b32 v24, v[22:23], off
	s_mov_b32 s16, 0
	s_mov_b32 s18, -1
	s_branch .LBB63_2629
.LBB63_2628:
	s_mov_b32 s16, -1
                                        ; implicit-def: $vgpr24
.LBB63_2629:
	s_mov_b32 s19, 0
.LBB63_2630:
	s_delay_alu instid0(SALU_CYCLE_1)
	s_and_b32 vcc_lo, exec_lo, s19
	s_cbranch_vccz .LBB63_2646
; %bb.2631:
	s_cmp_lt_i32 s14, 27
	s_cbranch_scc1 .LBB63_2634
; %bb.2632:
	s_cmp_gt_i32 s14, 27
	s_cbranch_scc0 .LBB63_2635
; %bb.2633:
	s_wait_loadcnt 0x0
	global_load_b32 v24, v[22:23], off
	s_mov_b32 s18, 0
	s_branch .LBB63_2636
.LBB63_2634:
	s_mov_b32 s18, -1
                                        ; implicit-def: $vgpr24
	s_branch .LBB63_2639
.LBB63_2635:
	s_mov_b32 s18, -1
                                        ; implicit-def: $vgpr24
.LBB63_2636:
	s_delay_alu instid0(SALU_CYCLE_1)
	s_and_not1_b32 vcc_lo, exec_lo, s18
	s_cbranch_vccnz .LBB63_2638
; %bb.2637:
	s_wait_loadcnt 0x0
	global_load_u16 v24, v[22:23], off
.LBB63_2638:
	s_mov_b32 s18, 0
.LBB63_2639:
	s_delay_alu instid0(SALU_CYCLE_1)
	s_and_not1_b32 vcc_lo, exec_lo, s18
	s_cbranch_vccnz .LBB63_2645
; %bb.2640:
	global_load_u8 v7, v[22:23], off
	s_mov_b32 s19, 0
	s_mov_b32 s18, exec_lo
	s_wait_loadcnt 0x0
	v_cmpx_lt_i16_e32 0x7f, v7
	s_xor_b32 s18, exec_lo, s18
	s_cbranch_execz .LBB63_2657
; %bb.2641:
	v_cmp_ne_u16_e32 vcc_lo, 0x80, v7
	s_and_b32 s19, vcc_lo, exec_lo
	s_and_not1_saveexec_b32 s18, s18
	s_cbranch_execnz .LBB63_2658
.LBB63_2642:
	s_or_b32 exec_lo, exec_lo, s18
	v_mov_b32_e32 v24, 0
	s_and_saveexec_b32 s18, s19
	s_cbranch_execz .LBB63_2644
.LBB63_2643:
	v_and_b32_e32 v9, 0xffff, v7
	s_delay_alu instid0(VALU_DEP_1) | instskip(SKIP_1) | instid1(VALU_DEP_2)
	v_dual_lshlrev_b32 v7, 24, v7 :: v_dual_bitop2_b32 v11, 7, v9 bitop3:0x40
	v_bfe_u32 v17, v9, 3, 4
	v_and_b32_e32 v7, 0x80000000, v7
	s_delay_alu instid0(VALU_DEP_3) | instskip(NEXT) | instid1(VALU_DEP_3)
	v_clz_i32_u32_e32 v13, v11
	v_cmp_eq_u32_e32 vcc_lo, 0, v17
	s_delay_alu instid0(VALU_DEP_2) | instskip(NEXT) | instid1(VALU_DEP_1)
	v_min_u32_e32 v13, 32, v13
	v_subrev_nc_u32_e32 v15, 28, v13
	v_sub_nc_u32_e32 v13, 29, v13
	s_delay_alu instid0(VALU_DEP_2) | instskip(NEXT) | instid1(VALU_DEP_2)
	v_lshlrev_b32_e32 v9, v15, v9
	v_cndmask_b32_e32 v13, v17, v13, vcc_lo
	s_delay_alu instid0(VALU_DEP_2) | instskip(NEXT) | instid1(VALU_DEP_1)
	v_and_b32_e32 v9, 7, v9
	v_cndmask_b32_e32 v9, v11, v9, vcc_lo
	s_delay_alu instid0(VALU_DEP_3) | instskip(NEXT) | instid1(VALU_DEP_2)
	v_lshl_add_u32 v11, v13, 23, 0x3b800000
	v_lshlrev_b32_e32 v9, 20, v9
	s_delay_alu instid0(VALU_DEP_1) | instskip(NEXT) | instid1(VALU_DEP_1)
	v_or3_b32 v7, v7, v11, v9
	v_cvt_i32_f32_e32 v24, v7
.LBB63_2644:
	s_or_b32 exec_lo, exec_lo, s18
.LBB63_2645:
	s_mov_b32 s18, -1
.LBB63_2646:
	s_mov_b32 s19, 0
.LBB63_2647:
	s_delay_alu instid0(SALU_CYCLE_1)
	s_and_b32 vcc_lo, exec_lo, s19
	s_cbranch_vccz .LBB63_2678
; %bb.2648:
	s_cmp_gt_i32 s14, 22
	s_cbranch_scc0 .LBB63_2656
; %bb.2649:
	s_cmp_lt_i32 s14, 24
	s_cbranch_scc1 .LBB63_2659
; %bb.2650:
	s_cmp_gt_i32 s14, 24
	s_cbranch_scc0 .LBB63_2660
; %bb.2651:
	global_load_u8 v7, v[22:23], off
	s_mov_b32 s18, 0
	s_mov_b32 s17, exec_lo
	s_wait_loadcnt 0x0
	v_cmpx_lt_i16_e32 0x7f, v7
	s_xor_b32 s17, exec_lo, s17
	s_cbranch_execz .LBB63_2672
; %bb.2652:
	v_cmp_ne_u16_e32 vcc_lo, 0x80, v7
	s_and_b32 s18, vcc_lo, exec_lo
	s_and_not1_saveexec_b32 s17, s17
	s_cbranch_execnz .LBB63_2673
.LBB63_2653:
	s_or_b32 exec_lo, exec_lo, s17
	v_mov_b32_e32 v24, 0
	s_and_saveexec_b32 s17, s18
	s_cbranch_execz .LBB63_2655
.LBB63_2654:
	v_and_b32_e32 v9, 0xffff, v7
	s_delay_alu instid0(VALU_DEP_1) | instskip(SKIP_1) | instid1(VALU_DEP_2)
	v_dual_lshlrev_b32 v7, 24, v7 :: v_dual_bitop2_b32 v11, 3, v9 bitop3:0x40
	v_bfe_u32 v17, v9, 2, 5
	v_and_b32_e32 v7, 0x80000000, v7
	s_delay_alu instid0(VALU_DEP_3) | instskip(NEXT) | instid1(VALU_DEP_3)
	v_clz_i32_u32_e32 v13, v11
	v_cmp_eq_u32_e32 vcc_lo, 0, v17
	s_delay_alu instid0(VALU_DEP_2) | instskip(NEXT) | instid1(VALU_DEP_1)
	v_min_u32_e32 v13, 32, v13
	v_subrev_nc_u32_e32 v15, 29, v13
	v_sub_nc_u32_e32 v13, 30, v13
	s_delay_alu instid0(VALU_DEP_2) | instskip(NEXT) | instid1(VALU_DEP_2)
	v_lshlrev_b32_e32 v9, v15, v9
	v_cndmask_b32_e32 v13, v17, v13, vcc_lo
	s_delay_alu instid0(VALU_DEP_2) | instskip(NEXT) | instid1(VALU_DEP_1)
	v_and_b32_e32 v9, 3, v9
	v_cndmask_b32_e32 v9, v11, v9, vcc_lo
	s_delay_alu instid0(VALU_DEP_3) | instskip(NEXT) | instid1(VALU_DEP_2)
	v_lshl_add_u32 v11, v13, 23, 0x37800000
	v_lshlrev_b32_e32 v9, 21, v9
	s_delay_alu instid0(VALU_DEP_1) | instskip(NEXT) | instid1(VALU_DEP_1)
	v_or3_b32 v7, v7, v11, v9
	v_cvt_i32_f32_e32 v24, v7
.LBB63_2655:
	s_or_b32 exec_lo, exec_lo, s17
	s_mov_b32 s17, 0
	s_branch .LBB63_2661
.LBB63_2656:
	s_mov_b32 s17, -1
                                        ; implicit-def: $vgpr24
	s_branch .LBB63_2667
.LBB63_2657:
	s_and_not1_saveexec_b32 s18, s18
	s_cbranch_execz .LBB63_2642
.LBB63_2658:
	v_cmp_ne_u16_e32 vcc_lo, 0, v7
	s_and_not1_b32 s19, s19, exec_lo
	s_and_b32 s20, vcc_lo, exec_lo
	s_delay_alu instid0(SALU_CYCLE_1)
	s_or_b32 s19, s19, s20
	s_or_b32 exec_lo, exec_lo, s18
	v_mov_b32_e32 v24, 0
	s_and_saveexec_b32 s18, s19
	s_cbranch_execnz .LBB63_2643
	s_branch .LBB63_2644
.LBB63_2659:
	s_mov_b32 s17, -1
                                        ; implicit-def: $vgpr24
	s_branch .LBB63_2664
.LBB63_2660:
	s_mov_b32 s17, -1
                                        ; implicit-def: $vgpr24
.LBB63_2661:
	s_delay_alu instid0(SALU_CYCLE_1)
	s_and_b32 vcc_lo, exec_lo, s17
	s_cbranch_vccz .LBB63_2663
; %bb.2662:
	global_load_u8 v7, v[22:23], off
	s_wait_loadcnt 0x0
	v_lshlrev_b32_e32 v7, 24, v7
	s_delay_alu instid0(VALU_DEP_1) | instskip(NEXT) | instid1(VALU_DEP_1)
	v_and_b32_e32 v9, 0x7f000000, v7
	v_clz_i32_u32_e32 v11, v9
	v_add_nc_u32_e32 v15, 0x1000000, v9
	v_cmp_ne_u32_e32 vcc_lo, 0, v9
	s_delay_alu instid0(VALU_DEP_3) | instskip(NEXT) | instid1(VALU_DEP_1)
	v_min_u32_e32 v11, 32, v11
	v_sub_nc_u32_e64 v11, v11, 4 clamp
	s_delay_alu instid0(VALU_DEP_1) | instskip(NEXT) | instid1(VALU_DEP_1)
	v_dual_lshlrev_b32 v13, v11, v9 :: v_dual_lshlrev_b32 v11, 23, v11
	v_lshrrev_b32_e32 v13, 4, v13
	s_delay_alu instid0(VALU_DEP_1) | instskip(SKIP_1) | instid1(VALU_DEP_2)
	v_sub_nc_u32_e32 v11, v13, v11
	v_ashrrev_i32_e32 v13, 8, v15
	v_add_nc_u32_e32 v11, 0x3c000000, v11
	s_delay_alu instid0(VALU_DEP_1) | instskip(NEXT) | instid1(VALU_DEP_1)
	v_and_or_b32 v11, 0x7f800000, v13, v11
	v_cndmask_b32_e32 v9, 0, v11, vcc_lo
	s_delay_alu instid0(VALU_DEP_1) | instskip(SKIP_1) | instid1(VALU_DEP_1)
	v_and_or_b32 v7, 0x80000000, v7, v9
	s_wait_xcnt 0x1
	v_cvt_i32_f32_e32 v24, v7
.LBB63_2663:
	s_mov_b32 s17, 0
.LBB63_2664:
	s_delay_alu instid0(SALU_CYCLE_1)
	s_and_not1_b32 vcc_lo, exec_lo, s17
	s_cbranch_vccnz .LBB63_2666
; %bb.2665:
	global_load_u8 v7, v[22:23], off
	s_wait_loadcnt 0x0
	v_lshlrev_b32_e32 v9, 25, v7
	v_lshlrev_b16 v7, 8, v7
	s_delay_alu instid0(VALU_DEP_1) | instskip(SKIP_1) | instid1(VALU_DEP_2)
	v_and_or_b32 v13, 0x7f00, v7, 0.5
	v_bfe_i32 v7, v7, 0, 16
	v_add_f32_e32 v13, -0.5, v13
	v_lshrrev_b32_e32 v11, 4, v9
	v_cmp_gt_u32_e32 vcc_lo, 0x8000000, v9
	s_delay_alu instid0(VALU_DEP_2) | instskip(NEXT) | instid1(VALU_DEP_1)
	v_or_b32_e32 v11, 0x70000000, v11
	v_mul_f32_e32 v11, 0x7800000, v11
	s_delay_alu instid0(VALU_DEP_1) | instskip(NEXT) | instid1(VALU_DEP_1)
	v_cndmask_b32_e32 v9, v11, v13, vcc_lo
	v_and_or_b32 v7, 0x80000000, v7, v9
	s_wait_xcnt 0x1
	s_delay_alu instid0(VALU_DEP_1)
	v_cvt_i32_f32_e32 v24, v7
.LBB63_2666:
	s_mov_b32 s17, 0
	s_mov_b32 s18, -1
.LBB63_2667:
	s_and_not1_b32 vcc_lo, exec_lo, s17
	s_mov_b32 s17, 0
	s_cbranch_vccnz .LBB63_2678
; %bb.2668:
	s_cmp_gt_i32 s14, 14
	s_cbranch_scc0 .LBB63_2671
; %bb.2669:
	s_cmp_eq_u32 s14, 15
	s_cbranch_scc0 .LBB63_2674
; %bb.2670:
	global_load_u16 v7, v[22:23], off
	s_mov_b32 s16, 0
	s_mov_b32 s18, -1
	s_wait_loadcnt 0x0
	v_lshlrev_b32_e32 v7, 16, v7
	s_wait_xcnt 0x1
	s_delay_alu instid0(VALU_DEP_1)
	v_cvt_i32_f32_e32 v24, v7
	s_branch .LBB63_2676
.LBB63_2671:
	s_mov_b32 s17, -1
	s_branch .LBB63_2675
.LBB63_2672:
	s_and_not1_saveexec_b32 s17, s17
	s_cbranch_execz .LBB63_2653
.LBB63_2673:
	v_cmp_ne_u16_e32 vcc_lo, 0, v7
	s_and_not1_b32 s18, s18, exec_lo
	s_and_b32 s19, vcc_lo, exec_lo
	s_delay_alu instid0(SALU_CYCLE_1)
	s_or_b32 s18, s18, s19
	s_or_b32 exec_lo, exec_lo, s17
	v_mov_b32_e32 v24, 0
	s_and_saveexec_b32 s17, s18
	s_cbranch_execnz .LBB63_2654
	s_branch .LBB63_2655
.LBB63_2674:
	s_mov_b32 s16, -1
.LBB63_2675:
                                        ; implicit-def: $vgpr24
.LBB63_2676:
	s_and_b32 vcc_lo, exec_lo, s17
	s_mov_b32 s17, 0
	s_cbranch_vccz .LBB63_2678
; %bb.2677:
	s_cmp_lg_u32 s14, 11
	s_mov_b32 s17, -1
	s_cselect_b32 s16, -1, 0
.LBB63_2678:
	s_delay_alu instid0(SALU_CYCLE_1)
	s_and_b32 vcc_lo, exec_lo, s16
	s_cbranch_vccnz .LBB63_2743
; %bb.2679:
	s_and_not1_b32 vcc_lo, exec_lo, s17
	s_cbranch_vccnz .LBB63_2681
.LBB63_2680:
	global_load_u8 v7, v[22:23], off
	s_mov_b32 s18, -1
	s_wait_loadcnt 0x0
	v_cmp_ne_u16_e32 vcc_lo, 0, v7
	s_wait_xcnt 0x1
	v_cndmask_b32_e64 v24, 0, 1, vcc_lo
.LBB63_2681:
	s_mov_b32 s16, 0
.LBB63_2682:
	s_delay_alu instid0(SALU_CYCLE_1)
	s_and_b32 vcc_lo, exec_lo, s16
	s_cbranch_vccz .LBB63_2731
; %bb.2683:
	s_cmp_lt_i32 s14, 5
	s_cbranch_scc1 .LBB63_2688
; %bb.2684:
	s_cmp_lt_i32 s14, 8
	s_cbranch_scc1 .LBB63_2689
	;; [unrolled: 3-line block ×3, first 2 shown]
; %bb.2686:
	s_cmp_gt_i32 s14, 9
	s_cbranch_scc0 .LBB63_2691
; %bb.2687:
	s_wait_loadcnt 0x0
	global_load_b64 v[24:25], v[22:23], off
	s_mov_b32 s16, 0
	s_wait_loadcnt 0x0
	v_cvt_i32_f64_e32 v24, v[24:25]
	s_branch .LBB63_2692
.LBB63_2688:
	s_mov_b32 s16, -1
                                        ; implicit-def: $vgpr24
	s_branch .LBB63_2710
.LBB63_2689:
	s_mov_b32 s16, -1
                                        ; implicit-def: $vgpr24
	s_branch .LBB63_2698
.LBB63_2690:
	s_mov_b32 s16, -1
                                        ; implicit-def: $vgpr24
	s_branch .LBB63_2695
.LBB63_2691:
	s_mov_b32 s16, -1
                                        ; implicit-def: $vgpr24
.LBB63_2692:
	s_delay_alu instid0(SALU_CYCLE_1)
	s_and_not1_b32 vcc_lo, exec_lo, s16
	s_cbranch_vccnz .LBB63_2694
; %bb.2693:
	global_load_b32 v7, v[22:23], off
	s_wait_loadcnt 0x0
	s_wait_xcnt 0x1
	v_cvt_i32_f32_e32 v24, v7
.LBB63_2694:
	s_mov_b32 s16, 0
.LBB63_2695:
	s_delay_alu instid0(SALU_CYCLE_1)
	s_and_not1_b32 vcc_lo, exec_lo, s16
	s_cbranch_vccnz .LBB63_2697
; %bb.2696:
	global_load_b32 v7, v[22:23], off
	s_wait_loadcnt 0x0
	v_cvt_f32_f16_e32 v7, v7
	s_wait_xcnt 0x1
	s_delay_alu instid0(VALU_DEP_1)
	v_cvt_i32_f32_e32 v24, v7
.LBB63_2697:
	s_mov_b32 s16, 0
.LBB63_2698:
	s_delay_alu instid0(SALU_CYCLE_1)
	s_and_not1_b32 vcc_lo, exec_lo, s16
	s_cbranch_vccnz .LBB63_2709
; %bb.2699:
	s_cmp_lt_i32 s14, 6
	s_cbranch_scc1 .LBB63_2702
; %bb.2700:
	s_cmp_gt_i32 s14, 6
	s_cbranch_scc0 .LBB63_2703
; %bb.2701:
	s_wait_loadcnt 0x0
	global_load_b64 v[24:25], v[22:23], off
	s_mov_b32 s16, 0
	s_wait_loadcnt 0x0
	v_cvt_i32_f64_e32 v24, v[24:25]
	s_branch .LBB63_2704
.LBB63_2702:
	s_mov_b32 s16, -1
                                        ; implicit-def: $vgpr24
	s_branch .LBB63_2707
.LBB63_2703:
	s_mov_b32 s16, -1
                                        ; implicit-def: $vgpr24
.LBB63_2704:
	s_delay_alu instid0(SALU_CYCLE_1)
	s_and_not1_b32 vcc_lo, exec_lo, s16
	s_cbranch_vccnz .LBB63_2706
; %bb.2705:
	global_load_b32 v7, v[22:23], off
	s_wait_loadcnt 0x0
	s_wait_xcnt 0x1
	v_cvt_i32_f32_e32 v24, v7
.LBB63_2706:
	s_mov_b32 s16, 0
.LBB63_2707:
	s_delay_alu instid0(SALU_CYCLE_1)
	s_and_not1_b32 vcc_lo, exec_lo, s16
	s_cbranch_vccnz .LBB63_2709
; %bb.2708:
	global_load_u16 v7, v[22:23], off
	s_wait_loadcnt 0x0
	v_cvt_f32_f16_e32 v7, v7
	s_wait_xcnt 0x1
	s_delay_alu instid0(VALU_DEP_1)
	v_cvt_i32_f32_e32 v24, v7
.LBB63_2709:
	s_mov_b32 s16, 0
.LBB63_2710:
	s_delay_alu instid0(SALU_CYCLE_1)
	s_and_not1_b32 vcc_lo, exec_lo, s16
	s_cbranch_vccnz .LBB63_2730
; %bb.2711:
	s_cmp_lt_i32 s14, 2
	s_cbranch_scc1 .LBB63_2715
; %bb.2712:
	s_cmp_lt_i32 s14, 3
	s_cbranch_scc1 .LBB63_2716
; %bb.2713:
	s_cmp_gt_i32 s14, 3
	s_cbranch_scc0 .LBB63_2717
; %bb.2714:
	s_wait_loadcnt 0x0
	global_load_b32 v24, v[22:23], off
	s_mov_b32 s16, 0
	s_branch .LBB63_2718
.LBB63_2715:
	s_mov_b32 s16, -1
                                        ; implicit-def: $vgpr24
	s_branch .LBB63_2724
.LBB63_2716:
	s_mov_b32 s16, -1
                                        ; implicit-def: $vgpr24
	s_branch .LBB63_2721
.LBB63_2717:
	s_mov_b32 s16, -1
                                        ; implicit-def: $vgpr24
.LBB63_2718:
	s_delay_alu instid0(SALU_CYCLE_1)
	s_and_not1_b32 vcc_lo, exec_lo, s16
	s_cbranch_vccnz .LBB63_2720
; %bb.2719:
	s_wait_loadcnt 0x0
	global_load_b32 v24, v[22:23], off
.LBB63_2720:
	s_mov_b32 s16, 0
.LBB63_2721:
	s_delay_alu instid0(SALU_CYCLE_1)
	s_and_not1_b32 vcc_lo, exec_lo, s16
	s_cbranch_vccnz .LBB63_2723
; %bb.2722:
	s_wait_loadcnt 0x0
	global_load_i16 v24, v[22:23], off
.LBB63_2723:
	s_mov_b32 s16, 0
.LBB63_2724:
	s_delay_alu instid0(SALU_CYCLE_1)
	s_and_not1_b32 vcc_lo, exec_lo, s16
	s_cbranch_vccnz .LBB63_2730
; %bb.2725:
	s_cmp_gt_i32 s14, 0
	s_mov_b32 s16, 0
	s_cbranch_scc0 .LBB63_2727
; %bb.2726:
	s_wait_loadcnt 0x0
	global_load_i8 v24, v[22:23], off
	s_branch .LBB63_2728
.LBB63_2727:
	s_mov_b32 s16, -1
                                        ; implicit-def: $vgpr24
.LBB63_2728:
	s_delay_alu instid0(SALU_CYCLE_1)
	s_and_not1_b32 vcc_lo, exec_lo, s16
	s_cbranch_vccnz .LBB63_2730
; %bb.2729:
	s_wait_loadcnt 0x0
	global_load_u8 v24, v[22:23], off
.LBB63_2730:
	s_mov_b32 s18, -1
.LBB63_2731:
	s_delay_alu instid0(SALU_CYCLE_1)
	s_and_not1_b32 vcc_lo, exec_lo, s18
	s_cbranch_vccnz .LBB63_4058
; %bb.2732:
	v_mov_b32_e32 v21, 0
	s_and_b32 s15, 0xffff, s15
	s_delay_alu instid0(SALU_CYCLE_1) | instskip(NEXT) | instid1(VALU_DEP_1)
	s_cmp_lt_i32 s15, 11
	v_add_nc_u64_e32 v[20:21], s[8:9], v[20:21]
	s_cbranch_scc1 .LBB63_2739
; %bb.2733:
	s_cmp_gt_i32 s15, 25
	s_mov_b32 s17, 0
	s_cbranch_scc0 .LBB63_2740
; %bb.2734:
	s_cmp_gt_i32 s15, 28
	s_cbranch_scc0 .LBB63_2741
; %bb.2735:
	s_cmp_gt_i32 s15, 43
	;; [unrolled: 3-line block ×3, first 2 shown]
	s_cbranch_scc0 .LBB63_2744
; %bb.2737:
	s_cmp_eq_u32 s15, 46
	s_mov_b32 s19, 0
	s_cbranch_scc0 .LBB63_2747
; %bb.2738:
	global_load_b32 v7, v[20:21], off
	s_mov_b32 s16, 0
	s_mov_b32 s18, -1
	s_wait_loadcnt 0x0
	v_lshlrev_b32_e32 v7, 16, v7
	s_wait_xcnt 0x1
	s_delay_alu instid0(VALU_DEP_1)
	v_cvt_i32_f32_e32 v22, v7
	s_branch .LBB63_2749
.LBB63_2739:
	s_mov_b32 s16, -1
	s_mov_b32 s18, 0
                                        ; implicit-def: $vgpr22
	s_branch .LBB63_2811
.LBB63_2740:
	s_mov_b32 s19, -1
	s_mov_b32 s18, 0
	s_mov_b32 s16, 0
                                        ; implicit-def: $vgpr22
	s_branch .LBB63_2776
.LBB63_2741:
	s_mov_b32 s19, -1
	s_mov_b32 s18, 0
	s_mov_b32 s16, 0
                                        ; implicit-def: $vgpr22
	s_branch .LBB63_2759
.LBB63_2742:
	s_mov_b32 s19, -1
	s_mov_b32 s18, 0
	s_mov_b32 s16, 0
                                        ; implicit-def: $vgpr22
	s_branch .LBB63_2754
.LBB63_2743:
	s_or_b32 s13, s13, exec_lo
	s_trap 2
	s_cbranch_execz .LBB63_2680
	s_branch .LBB63_2681
.LBB63_2744:
	s_mov_b32 s19, -1
	s_mov_b32 s18, 0
	s_mov_b32 s16, 0
	s_branch .LBB63_2748
.LBB63_2745:
	s_and_not1_saveexec_b32 s61, s61
	s_cbranch_execz .LBB63_1462
.LBB63_2746:
	v_add_f32_e64 v5, 0x46000000, |v1|
	s_and_not1_b32 s60, s60, exec_lo
	s_delay_alu instid0(VALU_DEP_1) | instskip(NEXT) | instid1(VALU_DEP_1)
	v_and_b32_e32 v5, 0xff, v5
	v_cmp_ne_u32_e32 vcc_lo, 0, v5
	s_and_b32 s62, vcc_lo, exec_lo
	s_delay_alu instid0(SALU_CYCLE_1)
	s_or_b32 s60, s60, s62
	s_or_b32 exec_lo, exec_lo, s61
	v_mov_b32_e32 v6, 0
	s_and_saveexec_b32 s61, s60
	s_cbranch_execnz .LBB63_1463
	s_branch .LBB63_1464
.LBB63_2747:
	s_mov_b32 s16, -1
	s_mov_b32 s18, 0
.LBB63_2748:
                                        ; implicit-def: $vgpr22
.LBB63_2749:
	s_and_b32 vcc_lo, exec_lo, s19
	s_cbranch_vccz .LBB63_2753
; %bb.2750:
	s_cmp_eq_u32 s15, 44
	s_cbranch_scc0 .LBB63_2752
; %bb.2751:
	global_load_u8 v7, v[20:21], off
	s_mov_b32 s16, 0
	s_mov_b32 s18, -1
	s_wait_loadcnt 0x0
	v_lshlrev_b32_e32 v9, 23, v7
	v_cmp_ne_u32_e32 vcc_lo, 0, v7
	s_delay_alu instid0(VALU_DEP_2) | instskip(SKIP_1) | instid1(VALU_DEP_1)
	v_cvt_i32_f32_e32 v9, v9
	s_wait_xcnt 0x1
	v_cndmask_b32_e32 v22, 0, v9, vcc_lo
	s_branch .LBB63_2753
.LBB63_2752:
	s_mov_b32 s16, -1
                                        ; implicit-def: $vgpr22
.LBB63_2753:
	s_mov_b32 s19, 0
.LBB63_2754:
	s_delay_alu instid0(SALU_CYCLE_1)
	s_and_b32 vcc_lo, exec_lo, s19
	s_cbranch_vccz .LBB63_2758
; %bb.2755:
	s_cmp_eq_u32 s15, 29
	s_cbranch_scc0 .LBB63_2757
; %bb.2756:
	global_load_b32 v22, v[20:21], off
	s_mov_b32 s16, 0
	s_mov_b32 s18, -1
	s_branch .LBB63_2758
.LBB63_2757:
	s_mov_b32 s16, -1
                                        ; implicit-def: $vgpr22
.LBB63_2758:
	s_mov_b32 s19, 0
.LBB63_2759:
	s_delay_alu instid0(SALU_CYCLE_1)
	s_and_b32 vcc_lo, exec_lo, s19
	s_cbranch_vccz .LBB63_2775
; %bb.2760:
	s_cmp_lt_i32 s15, 27
	s_cbranch_scc1 .LBB63_2763
; %bb.2761:
	s_cmp_gt_i32 s15, 27
	s_cbranch_scc0 .LBB63_2764
; %bb.2762:
	s_wait_loadcnt 0x0
	global_load_b32 v22, v[20:21], off
	s_mov_b32 s18, 0
	s_branch .LBB63_2765
.LBB63_2763:
	s_mov_b32 s18, -1
                                        ; implicit-def: $vgpr22
	s_branch .LBB63_2768
.LBB63_2764:
	s_mov_b32 s18, -1
                                        ; implicit-def: $vgpr22
.LBB63_2765:
	s_delay_alu instid0(SALU_CYCLE_1)
	s_and_not1_b32 vcc_lo, exec_lo, s18
	s_cbranch_vccnz .LBB63_2767
; %bb.2766:
	s_wait_loadcnt 0x0
	global_load_u16 v22, v[20:21], off
.LBB63_2767:
	s_mov_b32 s18, 0
.LBB63_2768:
	s_delay_alu instid0(SALU_CYCLE_1)
	s_and_not1_b32 vcc_lo, exec_lo, s18
	s_cbranch_vccnz .LBB63_2774
; %bb.2769:
	global_load_u8 v7, v[20:21], off
	s_mov_b32 s19, 0
	s_mov_b32 s18, exec_lo
	s_wait_loadcnt 0x0
	v_cmpx_lt_i16_e32 0x7f, v7
	s_xor_b32 s18, exec_lo, s18
	s_cbranch_execz .LBB63_2786
; %bb.2770:
	v_cmp_ne_u16_e32 vcc_lo, 0x80, v7
	s_and_b32 s19, vcc_lo, exec_lo
	s_and_not1_saveexec_b32 s18, s18
	s_cbranch_execnz .LBB63_2787
.LBB63_2771:
	s_or_b32 exec_lo, exec_lo, s18
	v_mov_b32_e32 v22, 0
	s_and_saveexec_b32 s18, s19
	s_cbranch_execz .LBB63_2773
.LBB63_2772:
	v_and_b32_e32 v9, 0xffff, v7
	s_delay_alu instid0(VALU_DEP_1) | instskip(SKIP_1) | instid1(VALU_DEP_2)
	v_dual_lshlrev_b32 v7, 24, v7 :: v_dual_bitop2_b32 v11, 7, v9 bitop3:0x40
	v_bfe_u32 v17, v9, 3, 4
	v_and_b32_e32 v7, 0x80000000, v7
	s_delay_alu instid0(VALU_DEP_3) | instskip(NEXT) | instid1(VALU_DEP_3)
	v_clz_i32_u32_e32 v13, v11
	v_cmp_eq_u32_e32 vcc_lo, 0, v17
	s_delay_alu instid0(VALU_DEP_2) | instskip(NEXT) | instid1(VALU_DEP_1)
	v_min_u32_e32 v13, 32, v13
	v_subrev_nc_u32_e32 v15, 28, v13
	v_sub_nc_u32_e32 v13, 29, v13
	s_delay_alu instid0(VALU_DEP_2) | instskip(NEXT) | instid1(VALU_DEP_2)
	v_lshlrev_b32_e32 v9, v15, v9
	v_cndmask_b32_e32 v13, v17, v13, vcc_lo
	s_delay_alu instid0(VALU_DEP_2) | instskip(NEXT) | instid1(VALU_DEP_1)
	v_and_b32_e32 v9, 7, v9
	v_cndmask_b32_e32 v9, v11, v9, vcc_lo
	s_delay_alu instid0(VALU_DEP_3) | instskip(NEXT) | instid1(VALU_DEP_2)
	v_lshl_add_u32 v11, v13, 23, 0x3b800000
	v_lshlrev_b32_e32 v9, 20, v9
	s_delay_alu instid0(VALU_DEP_1) | instskip(NEXT) | instid1(VALU_DEP_1)
	v_or3_b32 v7, v7, v11, v9
	v_cvt_i32_f32_e32 v22, v7
.LBB63_2773:
	s_or_b32 exec_lo, exec_lo, s18
.LBB63_2774:
	s_mov_b32 s18, -1
.LBB63_2775:
	s_mov_b32 s19, 0
.LBB63_2776:
	s_delay_alu instid0(SALU_CYCLE_1)
	s_and_b32 vcc_lo, exec_lo, s19
	s_cbranch_vccz .LBB63_2807
; %bb.2777:
	s_cmp_gt_i32 s15, 22
	s_cbranch_scc0 .LBB63_2785
; %bb.2778:
	s_cmp_lt_i32 s15, 24
	s_cbranch_scc1 .LBB63_2788
; %bb.2779:
	s_cmp_gt_i32 s15, 24
	s_cbranch_scc0 .LBB63_2789
; %bb.2780:
	global_load_u8 v7, v[20:21], off
	s_mov_b32 s18, 0
	s_mov_b32 s17, exec_lo
	s_wait_loadcnt 0x0
	v_cmpx_lt_i16_e32 0x7f, v7
	s_xor_b32 s17, exec_lo, s17
	s_cbranch_execz .LBB63_2801
; %bb.2781:
	v_cmp_ne_u16_e32 vcc_lo, 0x80, v7
	s_and_b32 s18, vcc_lo, exec_lo
	s_and_not1_saveexec_b32 s17, s17
	s_cbranch_execnz .LBB63_2802
.LBB63_2782:
	s_or_b32 exec_lo, exec_lo, s17
	v_mov_b32_e32 v22, 0
	s_and_saveexec_b32 s17, s18
	s_cbranch_execz .LBB63_2784
.LBB63_2783:
	v_and_b32_e32 v9, 0xffff, v7
	s_delay_alu instid0(VALU_DEP_1) | instskip(SKIP_1) | instid1(VALU_DEP_2)
	v_dual_lshlrev_b32 v7, 24, v7 :: v_dual_bitop2_b32 v11, 3, v9 bitop3:0x40
	v_bfe_u32 v17, v9, 2, 5
	v_and_b32_e32 v7, 0x80000000, v7
	s_delay_alu instid0(VALU_DEP_3) | instskip(NEXT) | instid1(VALU_DEP_3)
	v_clz_i32_u32_e32 v13, v11
	v_cmp_eq_u32_e32 vcc_lo, 0, v17
	s_delay_alu instid0(VALU_DEP_2) | instskip(NEXT) | instid1(VALU_DEP_1)
	v_min_u32_e32 v13, 32, v13
	v_subrev_nc_u32_e32 v15, 29, v13
	v_sub_nc_u32_e32 v13, 30, v13
	s_delay_alu instid0(VALU_DEP_2) | instskip(NEXT) | instid1(VALU_DEP_2)
	v_lshlrev_b32_e32 v9, v15, v9
	v_cndmask_b32_e32 v13, v17, v13, vcc_lo
	s_delay_alu instid0(VALU_DEP_2) | instskip(NEXT) | instid1(VALU_DEP_1)
	v_and_b32_e32 v9, 3, v9
	v_cndmask_b32_e32 v9, v11, v9, vcc_lo
	s_delay_alu instid0(VALU_DEP_3) | instskip(NEXT) | instid1(VALU_DEP_2)
	v_lshl_add_u32 v11, v13, 23, 0x37800000
	v_lshlrev_b32_e32 v9, 21, v9
	s_delay_alu instid0(VALU_DEP_1) | instskip(NEXT) | instid1(VALU_DEP_1)
	v_or3_b32 v7, v7, v11, v9
	v_cvt_i32_f32_e32 v22, v7
.LBB63_2784:
	s_or_b32 exec_lo, exec_lo, s17
	s_mov_b32 s17, 0
	s_branch .LBB63_2790
.LBB63_2785:
	s_mov_b32 s17, -1
                                        ; implicit-def: $vgpr22
	s_branch .LBB63_2796
.LBB63_2786:
	s_and_not1_saveexec_b32 s18, s18
	s_cbranch_execz .LBB63_2771
.LBB63_2787:
	v_cmp_ne_u16_e32 vcc_lo, 0, v7
	s_and_not1_b32 s19, s19, exec_lo
	s_and_b32 s20, vcc_lo, exec_lo
	s_delay_alu instid0(SALU_CYCLE_1)
	s_or_b32 s19, s19, s20
	s_or_b32 exec_lo, exec_lo, s18
	v_mov_b32_e32 v22, 0
	s_and_saveexec_b32 s18, s19
	s_cbranch_execnz .LBB63_2772
	s_branch .LBB63_2773
.LBB63_2788:
	s_mov_b32 s17, -1
                                        ; implicit-def: $vgpr22
	s_branch .LBB63_2793
.LBB63_2789:
	s_mov_b32 s17, -1
                                        ; implicit-def: $vgpr22
.LBB63_2790:
	s_delay_alu instid0(SALU_CYCLE_1)
	s_and_b32 vcc_lo, exec_lo, s17
	s_cbranch_vccz .LBB63_2792
; %bb.2791:
	global_load_u8 v7, v[20:21], off
	s_wait_loadcnt 0x0
	v_lshlrev_b32_e32 v7, 24, v7
	s_delay_alu instid0(VALU_DEP_1) | instskip(NEXT) | instid1(VALU_DEP_1)
	v_and_b32_e32 v9, 0x7f000000, v7
	v_clz_i32_u32_e32 v11, v9
	v_add_nc_u32_e32 v15, 0x1000000, v9
	v_cmp_ne_u32_e32 vcc_lo, 0, v9
	s_delay_alu instid0(VALU_DEP_3) | instskip(NEXT) | instid1(VALU_DEP_1)
	v_min_u32_e32 v11, 32, v11
	v_sub_nc_u32_e64 v11, v11, 4 clamp
	s_delay_alu instid0(VALU_DEP_1) | instskip(NEXT) | instid1(VALU_DEP_1)
	v_dual_lshlrev_b32 v13, v11, v9 :: v_dual_lshlrev_b32 v11, 23, v11
	v_lshrrev_b32_e32 v13, 4, v13
	s_delay_alu instid0(VALU_DEP_1) | instskip(SKIP_1) | instid1(VALU_DEP_2)
	v_sub_nc_u32_e32 v11, v13, v11
	v_ashrrev_i32_e32 v13, 8, v15
	v_add_nc_u32_e32 v11, 0x3c000000, v11
	s_delay_alu instid0(VALU_DEP_1) | instskip(NEXT) | instid1(VALU_DEP_1)
	v_and_or_b32 v11, 0x7f800000, v13, v11
	v_cndmask_b32_e32 v9, 0, v11, vcc_lo
	s_delay_alu instid0(VALU_DEP_1) | instskip(SKIP_1) | instid1(VALU_DEP_1)
	v_and_or_b32 v7, 0x80000000, v7, v9
	s_wait_xcnt 0x1
	v_cvt_i32_f32_e32 v22, v7
.LBB63_2792:
	s_mov_b32 s17, 0
.LBB63_2793:
	s_delay_alu instid0(SALU_CYCLE_1)
	s_and_not1_b32 vcc_lo, exec_lo, s17
	s_cbranch_vccnz .LBB63_2795
; %bb.2794:
	global_load_u8 v7, v[20:21], off
	s_wait_loadcnt 0x0
	v_lshlrev_b32_e32 v9, 25, v7
	v_lshlrev_b16 v7, 8, v7
	s_delay_alu instid0(VALU_DEP_1) | instskip(SKIP_1) | instid1(VALU_DEP_2)
	v_and_or_b32 v13, 0x7f00, v7, 0.5
	v_bfe_i32 v7, v7, 0, 16
	v_add_f32_e32 v13, -0.5, v13
	v_lshrrev_b32_e32 v11, 4, v9
	v_cmp_gt_u32_e32 vcc_lo, 0x8000000, v9
	s_delay_alu instid0(VALU_DEP_2) | instskip(NEXT) | instid1(VALU_DEP_1)
	v_or_b32_e32 v11, 0x70000000, v11
	v_mul_f32_e32 v11, 0x7800000, v11
	s_delay_alu instid0(VALU_DEP_1) | instskip(NEXT) | instid1(VALU_DEP_1)
	v_cndmask_b32_e32 v9, v11, v13, vcc_lo
	v_and_or_b32 v7, 0x80000000, v7, v9
	s_wait_xcnt 0x1
	s_delay_alu instid0(VALU_DEP_1)
	v_cvt_i32_f32_e32 v22, v7
.LBB63_2795:
	s_mov_b32 s17, 0
	s_mov_b32 s18, -1
.LBB63_2796:
	s_and_not1_b32 vcc_lo, exec_lo, s17
	s_mov_b32 s17, 0
	s_cbranch_vccnz .LBB63_2807
; %bb.2797:
	s_cmp_gt_i32 s15, 14
	s_cbranch_scc0 .LBB63_2800
; %bb.2798:
	s_cmp_eq_u32 s15, 15
	s_cbranch_scc0 .LBB63_2803
; %bb.2799:
	global_load_u16 v7, v[20:21], off
	s_mov_b32 s16, 0
	s_mov_b32 s18, -1
	s_wait_loadcnt 0x0
	v_lshlrev_b32_e32 v7, 16, v7
	s_wait_xcnt 0x1
	s_delay_alu instid0(VALU_DEP_1)
	v_cvt_i32_f32_e32 v22, v7
	s_branch .LBB63_2805
.LBB63_2800:
	s_mov_b32 s17, -1
	s_branch .LBB63_2804
.LBB63_2801:
	s_and_not1_saveexec_b32 s17, s17
	s_cbranch_execz .LBB63_2782
.LBB63_2802:
	v_cmp_ne_u16_e32 vcc_lo, 0, v7
	s_and_not1_b32 s18, s18, exec_lo
	s_and_b32 s19, vcc_lo, exec_lo
	s_delay_alu instid0(SALU_CYCLE_1)
	s_or_b32 s18, s18, s19
	s_or_b32 exec_lo, exec_lo, s17
	v_mov_b32_e32 v22, 0
	s_and_saveexec_b32 s17, s18
	s_cbranch_execnz .LBB63_2783
	s_branch .LBB63_2784
.LBB63_2803:
	s_mov_b32 s16, -1
.LBB63_2804:
                                        ; implicit-def: $vgpr22
.LBB63_2805:
	s_and_b32 vcc_lo, exec_lo, s17
	s_mov_b32 s17, 0
	s_cbranch_vccz .LBB63_2807
; %bb.2806:
	s_cmp_lg_u32 s15, 11
	s_mov_b32 s17, -1
	s_cselect_b32 s16, -1, 0
.LBB63_2807:
	s_delay_alu instid0(SALU_CYCLE_1)
	s_and_b32 vcc_lo, exec_lo, s16
	s_cbranch_vccnz .LBB63_2872
; %bb.2808:
	s_and_not1_b32 vcc_lo, exec_lo, s17
	s_cbranch_vccnz .LBB63_2810
.LBB63_2809:
	global_load_u8 v7, v[20:21], off
	s_mov_b32 s18, -1
	s_wait_loadcnt 0x0
	v_cmp_ne_u16_e32 vcc_lo, 0, v7
	s_wait_xcnt 0x1
	v_cndmask_b32_e64 v22, 0, 1, vcc_lo
.LBB63_2810:
	s_mov_b32 s16, 0
.LBB63_2811:
	s_delay_alu instid0(SALU_CYCLE_1)
	s_and_b32 vcc_lo, exec_lo, s16
	s_cbranch_vccz .LBB63_2860
; %bb.2812:
	s_cmp_lt_i32 s15, 5
	s_cbranch_scc1 .LBB63_2817
; %bb.2813:
	s_cmp_lt_i32 s15, 8
	s_cbranch_scc1 .LBB63_2818
	;; [unrolled: 3-line block ×3, first 2 shown]
; %bb.2815:
	s_cmp_gt_i32 s15, 9
	s_cbranch_scc0 .LBB63_2820
; %bb.2816:
	s_wait_loadcnt 0x0
	global_load_b64 v[22:23], v[20:21], off
	s_mov_b32 s16, 0
	s_wait_loadcnt 0x0
	v_cvt_i32_f64_e32 v22, v[22:23]
	s_branch .LBB63_2821
.LBB63_2817:
	s_mov_b32 s16, -1
                                        ; implicit-def: $vgpr22
	s_branch .LBB63_2839
.LBB63_2818:
	s_mov_b32 s16, -1
                                        ; implicit-def: $vgpr22
	s_branch .LBB63_2827
.LBB63_2819:
	s_mov_b32 s16, -1
                                        ; implicit-def: $vgpr22
	s_branch .LBB63_2824
.LBB63_2820:
	s_mov_b32 s16, -1
                                        ; implicit-def: $vgpr22
.LBB63_2821:
	s_delay_alu instid0(SALU_CYCLE_1)
	s_and_not1_b32 vcc_lo, exec_lo, s16
	s_cbranch_vccnz .LBB63_2823
; %bb.2822:
	global_load_b32 v7, v[20:21], off
	s_wait_loadcnt 0x0
	s_wait_xcnt 0x1
	v_cvt_i32_f32_e32 v22, v7
.LBB63_2823:
	s_mov_b32 s16, 0
.LBB63_2824:
	s_delay_alu instid0(SALU_CYCLE_1)
	s_and_not1_b32 vcc_lo, exec_lo, s16
	s_cbranch_vccnz .LBB63_2826
; %bb.2825:
	global_load_b32 v7, v[20:21], off
	s_wait_loadcnt 0x0
	v_cvt_f32_f16_e32 v7, v7
	s_wait_xcnt 0x1
	s_delay_alu instid0(VALU_DEP_1)
	v_cvt_i32_f32_e32 v22, v7
.LBB63_2826:
	s_mov_b32 s16, 0
.LBB63_2827:
	s_delay_alu instid0(SALU_CYCLE_1)
	s_and_not1_b32 vcc_lo, exec_lo, s16
	s_cbranch_vccnz .LBB63_2838
; %bb.2828:
	s_cmp_lt_i32 s15, 6
	s_cbranch_scc1 .LBB63_2831
; %bb.2829:
	s_cmp_gt_i32 s15, 6
	s_cbranch_scc0 .LBB63_2832
; %bb.2830:
	s_wait_loadcnt 0x0
	global_load_b64 v[22:23], v[20:21], off
	s_mov_b32 s16, 0
	s_wait_loadcnt 0x0
	v_cvt_i32_f64_e32 v22, v[22:23]
	s_branch .LBB63_2833
.LBB63_2831:
	s_mov_b32 s16, -1
                                        ; implicit-def: $vgpr22
	s_branch .LBB63_2836
.LBB63_2832:
	s_mov_b32 s16, -1
                                        ; implicit-def: $vgpr22
.LBB63_2833:
	s_delay_alu instid0(SALU_CYCLE_1)
	s_and_not1_b32 vcc_lo, exec_lo, s16
	s_cbranch_vccnz .LBB63_2835
; %bb.2834:
	global_load_b32 v7, v[20:21], off
	s_wait_loadcnt 0x0
	s_wait_xcnt 0x1
	v_cvt_i32_f32_e32 v22, v7
.LBB63_2835:
	s_mov_b32 s16, 0
.LBB63_2836:
	s_delay_alu instid0(SALU_CYCLE_1)
	s_and_not1_b32 vcc_lo, exec_lo, s16
	s_cbranch_vccnz .LBB63_2838
; %bb.2837:
	global_load_u16 v7, v[20:21], off
	s_wait_loadcnt 0x0
	v_cvt_f32_f16_e32 v7, v7
	s_wait_xcnt 0x1
	s_delay_alu instid0(VALU_DEP_1)
	v_cvt_i32_f32_e32 v22, v7
.LBB63_2838:
	s_mov_b32 s16, 0
.LBB63_2839:
	s_delay_alu instid0(SALU_CYCLE_1)
	s_and_not1_b32 vcc_lo, exec_lo, s16
	s_cbranch_vccnz .LBB63_2859
; %bb.2840:
	s_cmp_lt_i32 s15, 2
	s_cbranch_scc1 .LBB63_2844
; %bb.2841:
	s_cmp_lt_i32 s15, 3
	s_cbranch_scc1 .LBB63_2845
; %bb.2842:
	s_cmp_gt_i32 s15, 3
	s_cbranch_scc0 .LBB63_2846
; %bb.2843:
	s_wait_loadcnt 0x0
	global_load_b32 v22, v[20:21], off
	s_mov_b32 s16, 0
	s_branch .LBB63_2847
.LBB63_2844:
	s_mov_b32 s16, -1
                                        ; implicit-def: $vgpr22
	s_branch .LBB63_2853
.LBB63_2845:
	s_mov_b32 s16, -1
                                        ; implicit-def: $vgpr22
	s_branch .LBB63_2850
.LBB63_2846:
	s_mov_b32 s16, -1
                                        ; implicit-def: $vgpr22
.LBB63_2847:
	s_delay_alu instid0(SALU_CYCLE_1)
	s_and_not1_b32 vcc_lo, exec_lo, s16
	s_cbranch_vccnz .LBB63_2849
; %bb.2848:
	s_wait_loadcnt 0x0
	global_load_b32 v22, v[20:21], off
.LBB63_2849:
	s_mov_b32 s16, 0
.LBB63_2850:
	s_delay_alu instid0(SALU_CYCLE_1)
	s_and_not1_b32 vcc_lo, exec_lo, s16
	s_cbranch_vccnz .LBB63_2852
; %bb.2851:
	s_wait_loadcnt 0x0
	global_load_i16 v22, v[20:21], off
.LBB63_2852:
	s_mov_b32 s16, 0
.LBB63_2853:
	s_delay_alu instid0(SALU_CYCLE_1)
	s_and_not1_b32 vcc_lo, exec_lo, s16
	s_cbranch_vccnz .LBB63_2859
; %bb.2854:
	s_cmp_gt_i32 s15, 0
	s_mov_b32 s16, 0
	s_cbranch_scc0 .LBB63_2856
; %bb.2855:
	s_wait_loadcnt 0x0
	global_load_i8 v22, v[20:21], off
	s_branch .LBB63_2857
.LBB63_2856:
	s_mov_b32 s16, -1
                                        ; implicit-def: $vgpr22
.LBB63_2857:
	s_delay_alu instid0(SALU_CYCLE_1)
	s_and_not1_b32 vcc_lo, exec_lo, s16
	s_cbranch_vccnz .LBB63_2859
; %bb.2858:
	s_wait_loadcnt 0x0
	global_load_u8 v22, v[20:21], off
.LBB63_2859:
	s_mov_b32 s18, -1
.LBB63_2860:
	s_delay_alu instid0(SALU_CYCLE_1)
	s_and_not1_b32 vcc_lo, exec_lo, s18
	s_cbranch_vccnz .LBB63_4058
; %bb.2861:
	v_mov_b32_e32 v19, 0
	s_cmp_lt_i32 s10, 11
	s_delay_alu instid0(VALU_DEP_1)
	v_add_nc_u64_e32 v[18:19], s[6:7], v[18:19]
	s_cbranch_scc1 .LBB63_2868
; %bb.2862:
	s_cmp_gt_i32 s10, 25
	s_mov_b32 s17, 0
	s_cbranch_scc0 .LBB63_2869
; %bb.2863:
	s_cmp_gt_i32 s10, 28
	s_cbranch_scc0 .LBB63_2870
; %bb.2864:
	s_cmp_gt_i32 s10, 43
	;; [unrolled: 3-line block ×3, first 2 shown]
	s_cbranch_scc0 .LBB63_2873
; %bb.2866:
	s_cmp_eq_u32 s10, 46
	s_mov_b32 s19, 0
	s_cbranch_scc0 .LBB63_2876
; %bb.2867:
	global_load_b32 v7, v[18:19], off
	s_mov_b32 s16, 0
	s_mov_b32 s18, -1
	s_wait_loadcnt 0x0
	v_lshlrev_b32_e32 v7, 16, v7
	s_wait_xcnt 0x1
	s_delay_alu instid0(VALU_DEP_1)
	v_cvt_i32_f32_e32 v20, v7
	s_branch .LBB63_2878
.LBB63_2868:
	s_mov_b32 s16, -1
	s_mov_b32 s18, 0
                                        ; implicit-def: $vgpr20
	s_branch .LBB63_2940
.LBB63_2869:
	s_mov_b32 s19, -1
	s_mov_b32 s18, 0
	s_mov_b32 s16, 0
                                        ; implicit-def: $vgpr20
	s_branch .LBB63_2905
.LBB63_2870:
	s_mov_b32 s19, -1
	s_mov_b32 s18, 0
	s_mov_b32 s16, 0
                                        ; implicit-def: $vgpr20
	s_branch .LBB63_2888
.LBB63_2871:
	s_mov_b32 s19, -1
	s_mov_b32 s18, 0
	s_mov_b32 s16, 0
                                        ; implicit-def: $vgpr20
	s_branch .LBB63_2883
.LBB63_2872:
	s_or_b32 s13, s13, exec_lo
	s_trap 2
	s_cbranch_execz .LBB63_2809
	s_branch .LBB63_2810
.LBB63_2873:
	s_mov_b32 s19, -1
	s_mov_b32 s18, 0
	s_mov_b32 s16, 0
	s_branch .LBB63_2877
.LBB63_2874:
	s_and_not1_saveexec_b32 s61, s61
	s_cbranch_execz .LBB63_1475
.LBB63_2875:
	v_add_f32_e64 v5, 0x42800000, |v1|
	s_and_not1_b32 s60, s60, exec_lo
	s_delay_alu instid0(VALU_DEP_1) | instskip(NEXT) | instid1(VALU_DEP_1)
	v_and_b32_e32 v5, 0xff, v5
	v_cmp_ne_u32_e32 vcc_lo, 0, v5
	s_and_b32 s62, vcc_lo, exec_lo
	s_delay_alu instid0(SALU_CYCLE_1)
	s_or_b32 s60, s60, s62
	s_or_b32 exec_lo, exec_lo, s61
	v_mov_b32_e32 v6, 0
	s_and_saveexec_b32 s61, s60
	s_cbranch_execnz .LBB63_1476
	s_branch .LBB63_1477
.LBB63_2876:
	s_mov_b32 s16, -1
	s_mov_b32 s18, 0
.LBB63_2877:
                                        ; implicit-def: $vgpr20
.LBB63_2878:
	s_and_b32 vcc_lo, exec_lo, s19
	s_cbranch_vccz .LBB63_2882
; %bb.2879:
	s_cmp_eq_u32 s10, 44
	s_cbranch_scc0 .LBB63_2881
; %bb.2880:
	global_load_u8 v7, v[18:19], off
	s_mov_b32 s16, 0
	s_mov_b32 s18, -1
	s_wait_loadcnt 0x0
	v_lshlrev_b32_e32 v9, 23, v7
	v_cmp_ne_u32_e32 vcc_lo, 0, v7
	s_delay_alu instid0(VALU_DEP_2) | instskip(SKIP_1) | instid1(VALU_DEP_1)
	v_cvt_i32_f32_e32 v9, v9
	s_wait_xcnt 0x1
	v_cndmask_b32_e32 v20, 0, v9, vcc_lo
	s_branch .LBB63_2882
.LBB63_2881:
	s_mov_b32 s16, -1
                                        ; implicit-def: $vgpr20
.LBB63_2882:
	s_mov_b32 s19, 0
.LBB63_2883:
	s_delay_alu instid0(SALU_CYCLE_1)
	s_and_b32 vcc_lo, exec_lo, s19
	s_cbranch_vccz .LBB63_2887
; %bb.2884:
	s_cmp_eq_u32 s10, 29
	s_cbranch_scc0 .LBB63_2886
; %bb.2885:
	global_load_b32 v20, v[18:19], off
	s_mov_b32 s16, 0
	s_mov_b32 s18, -1
	s_branch .LBB63_2887
.LBB63_2886:
	s_mov_b32 s16, -1
                                        ; implicit-def: $vgpr20
.LBB63_2887:
	s_mov_b32 s19, 0
.LBB63_2888:
	s_delay_alu instid0(SALU_CYCLE_1)
	s_and_b32 vcc_lo, exec_lo, s19
	s_cbranch_vccz .LBB63_2904
; %bb.2889:
	s_cmp_lt_i32 s10, 27
	s_cbranch_scc1 .LBB63_2892
; %bb.2890:
	s_cmp_gt_i32 s10, 27
	s_cbranch_scc0 .LBB63_2893
; %bb.2891:
	s_wait_loadcnt 0x0
	global_load_b32 v20, v[18:19], off
	s_mov_b32 s18, 0
	s_branch .LBB63_2894
.LBB63_2892:
	s_mov_b32 s18, -1
                                        ; implicit-def: $vgpr20
	s_branch .LBB63_2897
.LBB63_2893:
	s_mov_b32 s18, -1
                                        ; implicit-def: $vgpr20
.LBB63_2894:
	s_delay_alu instid0(SALU_CYCLE_1)
	s_and_not1_b32 vcc_lo, exec_lo, s18
	s_cbranch_vccnz .LBB63_2896
; %bb.2895:
	s_wait_loadcnt 0x0
	global_load_u16 v20, v[18:19], off
.LBB63_2896:
	s_mov_b32 s18, 0
.LBB63_2897:
	s_delay_alu instid0(SALU_CYCLE_1)
	s_and_not1_b32 vcc_lo, exec_lo, s18
	s_cbranch_vccnz .LBB63_2903
; %bb.2898:
	global_load_u8 v7, v[18:19], off
	s_mov_b32 s19, 0
	s_mov_b32 s18, exec_lo
	s_wait_loadcnt 0x0
	v_cmpx_lt_i16_e32 0x7f, v7
	s_xor_b32 s18, exec_lo, s18
	s_cbranch_execz .LBB63_2915
; %bb.2899:
	v_cmp_ne_u16_e32 vcc_lo, 0x80, v7
	s_and_b32 s19, vcc_lo, exec_lo
	s_and_not1_saveexec_b32 s18, s18
	s_cbranch_execnz .LBB63_2916
.LBB63_2900:
	s_or_b32 exec_lo, exec_lo, s18
	v_mov_b32_e32 v20, 0
	s_and_saveexec_b32 s18, s19
	s_cbranch_execz .LBB63_2902
.LBB63_2901:
	v_and_b32_e32 v9, 0xffff, v7
	s_delay_alu instid0(VALU_DEP_1) | instskip(SKIP_1) | instid1(VALU_DEP_2)
	v_dual_lshlrev_b32 v7, 24, v7 :: v_dual_bitop2_b32 v11, 7, v9 bitop3:0x40
	v_bfe_u32 v17, v9, 3, 4
	v_and_b32_e32 v7, 0x80000000, v7
	s_delay_alu instid0(VALU_DEP_3) | instskip(NEXT) | instid1(VALU_DEP_3)
	v_clz_i32_u32_e32 v13, v11
	v_cmp_eq_u32_e32 vcc_lo, 0, v17
	s_delay_alu instid0(VALU_DEP_2) | instskip(NEXT) | instid1(VALU_DEP_1)
	v_min_u32_e32 v13, 32, v13
	v_subrev_nc_u32_e32 v15, 28, v13
	v_sub_nc_u32_e32 v13, 29, v13
	s_delay_alu instid0(VALU_DEP_2) | instskip(NEXT) | instid1(VALU_DEP_2)
	v_lshlrev_b32_e32 v9, v15, v9
	v_cndmask_b32_e32 v13, v17, v13, vcc_lo
	s_delay_alu instid0(VALU_DEP_2) | instskip(NEXT) | instid1(VALU_DEP_1)
	v_and_b32_e32 v9, 7, v9
	v_cndmask_b32_e32 v9, v11, v9, vcc_lo
	s_delay_alu instid0(VALU_DEP_3) | instskip(NEXT) | instid1(VALU_DEP_2)
	v_lshl_add_u32 v11, v13, 23, 0x3b800000
	v_lshlrev_b32_e32 v9, 20, v9
	s_delay_alu instid0(VALU_DEP_1) | instskip(NEXT) | instid1(VALU_DEP_1)
	v_or3_b32 v7, v7, v11, v9
	v_cvt_i32_f32_e32 v20, v7
.LBB63_2902:
	s_or_b32 exec_lo, exec_lo, s18
.LBB63_2903:
	s_mov_b32 s18, -1
.LBB63_2904:
	s_mov_b32 s19, 0
.LBB63_2905:
	s_delay_alu instid0(SALU_CYCLE_1)
	s_and_b32 vcc_lo, exec_lo, s19
	s_cbranch_vccz .LBB63_2936
; %bb.2906:
	s_cmp_gt_i32 s10, 22
	s_cbranch_scc0 .LBB63_2914
; %bb.2907:
	s_cmp_lt_i32 s10, 24
	s_cbranch_scc1 .LBB63_2917
; %bb.2908:
	s_cmp_gt_i32 s10, 24
	s_cbranch_scc0 .LBB63_2918
; %bb.2909:
	global_load_u8 v7, v[18:19], off
	s_mov_b32 s18, 0
	s_mov_b32 s17, exec_lo
	s_wait_loadcnt 0x0
	v_cmpx_lt_i16_e32 0x7f, v7
	s_xor_b32 s17, exec_lo, s17
	s_cbranch_execz .LBB63_2930
; %bb.2910:
	v_cmp_ne_u16_e32 vcc_lo, 0x80, v7
	s_and_b32 s18, vcc_lo, exec_lo
	s_and_not1_saveexec_b32 s17, s17
	s_cbranch_execnz .LBB63_2931
.LBB63_2911:
	s_or_b32 exec_lo, exec_lo, s17
	v_mov_b32_e32 v20, 0
	s_and_saveexec_b32 s17, s18
	s_cbranch_execz .LBB63_2913
.LBB63_2912:
	v_and_b32_e32 v9, 0xffff, v7
	s_delay_alu instid0(VALU_DEP_1) | instskip(SKIP_1) | instid1(VALU_DEP_2)
	v_dual_lshlrev_b32 v7, 24, v7 :: v_dual_bitop2_b32 v11, 3, v9 bitop3:0x40
	v_bfe_u32 v17, v9, 2, 5
	v_and_b32_e32 v7, 0x80000000, v7
	s_delay_alu instid0(VALU_DEP_3) | instskip(NEXT) | instid1(VALU_DEP_3)
	v_clz_i32_u32_e32 v13, v11
	v_cmp_eq_u32_e32 vcc_lo, 0, v17
	s_delay_alu instid0(VALU_DEP_2) | instskip(NEXT) | instid1(VALU_DEP_1)
	v_min_u32_e32 v13, 32, v13
	v_subrev_nc_u32_e32 v15, 29, v13
	v_sub_nc_u32_e32 v13, 30, v13
	s_delay_alu instid0(VALU_DEP_2) | instskip(NEXT) | instid1(VALU_DEP_2)
	v_lshlrev_b32_e32 v9, v15, v9
	v_cndmask_b32_e32 v13, v17, v13, vcc_lo
	s_delay_alu instid0(VALU_DEP_2) | instskip(NEXT) | instid1(VALU_DEP_1)
	v_and_b32_e32 v9, 3, v9
	v_cndmask_b32_e32 v9, v11, v9, vcc_lo
	s_delay_alu instid0(VALU_DEP_3) | instskip(NEXT) | instid1(VALU_DEP_2)
	v_lshl_add_u32 v11, v13, 23, 0x37800000
	v_lshlrev_b32_e32 v9, 21, v9
	s_delay_alu instid0(VALU_DEP_1) | instskip(NEXT) | instid1(VALU_DEP_1)
	v_or3_b32 v7, v7, v11, v9
	v_cvt_i32_f32_e32 v20, v7
.LBB63_2913:
	s_or_b32 exec_lo, exec_lo, s17
	s_mov_b32 s17, 0
	s_branch .LBB63_2919
.LBB63_2914:
	s_mov_b32 s17, -1
                                        ; implicit-def: $vgpr20
	s_branch .LBB63_2925
.LBB63_2915:
	s_and_not1_saveexec_b32 s18, s18
	s_cbranch_execz .LBB63_2900
.LBB63_2916:
	v_cmp_ne_u16_e32 vcc_lo, 0, v7
	s_and_not1_b32 s19, s19, exec_lo
	s_and_b32 s20, vcc_lo, exec_lo
	s_delay_alu instid0(SALU_CYCLE_1)
	s_or_b32 s19, s19, s20
	s_or_b32 exec_lo, exec_lo, s18
	v_mov_b32_e32 v20, 0
	s_and_saveexec_b32 s18, s19
	s_cbranch_execnz .LBB63_2901
	s_branch .LBB63_2902
.LBB63_2917:
	s_mov_b32 s17, -1
                                        ; implicit-def: $vgpr20
	s_branch .LBB63_2922
.LBB63_2918:
	s_mov_b32 s17, -1
                                        ; implicit-def: $vgpr20
.LBB63_2919:
	s_delay_alu instid0(SALU_CYCLE_1)
	s_and_b32 vcc_lo, exec_lo, s17
	s_cbranch_vccz .LBB63_2921
; %bb.2920:
	global_load_u8 v7, v[18:19], off
	s_wait_loadcnt 0x0
	v_lshlrev_b32_e32 v7, 24, v7
	s_delay_alu instid0(VALU_DEP_1) | instskip(NEXT) | instid1(VALU_DEP_1)
	v_and_b32_e32 v9, 0x7f000000, v7
	v_clz_i32_u32_e32 v11, v9
	v_add_nc_u32_e32 v15, 0x1000000, v9
	v_cmp_ne_u32_e32 vcc_lo, 0, v9
	s_delay_alu instid0(VALU_DEP_3) | instskip(NEXT) | instid1(VALU_DEP_1)
	v_min_u32_e32 v11, 32, v11
	v_sub_nc_u32_e64 v11, v11, 4 clamp
	s_delay_alu instid0(VALU_DEP_1) | instskip(NEXT) | instid1(VALU_DEP_1)
	v_dual_lshlrev_b32 v13, v11, v9 :: v_dual_lshlrev_b32 v11, 23, v11
	v_lshrrev_b32_e32 v13, 4, v13
	s_delay_alu instid0(VALU_DEP_1) | instskip(SKIP_1) | instid1(VALU_DEP_2)
	v_sub_nc_u32_e32 v11, v13, v11
	v_ashrrev_i32_e32 v13, 8, v15
	v_add_nc_u32_e32 v11, 0x3c000000, v11
	s_delay_alu instid0(VALU_DEP_1) | instskip(NEXT) | instid1(VALU_DEP_1)
	v_and_or_b32 v11, 0x7f800000, v13, v11
	v_cndmask_b32_e32 v9, 0, v11, vcc_lo
	s_delay_alu instid0(VALU_DEP_1) | instskip(SKIP_1) | instid1(VALU_DEP_1)
	v_and_or_b32 v7, 0x80000000, v7, v9
	s_wait_xcnt 0x1
	v_cvt_i32_f32_e32 v20, v7
.LBB63_2921:
	s_mov_b32 s17, 0
.LBB63_2922:
	s_delay_alu instid0(SALU_CYCLE_1)
	s_and_not1_b32 vcc_lo, exec_lo, s17
	s_cbranch_vccnz .LBB63_2924
; %bb.2923:
	global_load_u8 v7, v[18:19], off
	s_wait_loadcnt 0x0
	v_lshlrev_b32_e32 v9, 25, v7
	v_lshlrev_b16 v7, 8, v7
	s_delay_alu instid0(VALU_DEP_1) | instskip(SKIP_1) | instid1(VALU_DEP_2)
	v_and_or_b32 v13, 0x7f00, v7, 0.5
	v_bfe_i32 v7, v7, 0, 16
	v_add_f32_e32 v13, -0.5, v13
	v_lshrrev_b32_e32 v11, 4, v9
	v_cmp_gt_u32_e32 vcc_lo, 0x8000000, v9
	s_delay_alu instid0(VALU_DEP_2) | instskip(NEXT) | instid1(VALU_DEP_1)
	v_or_b32_e32 v11, 0x70000000, v11
	v_mul_f32_e32 v11, 0x7800000, v11
	s_delay_alu instid0(VALU_DEP_1) | instskip(NEXT) | instid1(VALU_DEP_1)
	v_cndmask_b32_e32 v9, v11, v13, vcc_lo
	v_and_or_b32 v7, 0x80000000, v7, v9
	s_wait_xcnt 0x1
	s_delay_alu instid0(VALU_DEP_1)
	v_cvt_i32_f32_e32 v20, v7
.LBB63_2924:
	s_mov_b32 s17, 0
	s_mov_b32 s18, -1
.LBB63_2925:
	s_and_not1_b32 vcc_lo, exec_lo, s17
	s_mov_b32 s17, 0
	s_cbranch_vccnz .LBB63_2936
; %bb.2926:
	s_cmp_gt_i32 s10, 14
	s_cbranch_scc0 .LBB63_2929
; %bb.2927:
	s_cmp_eq_u32 s10, 15
	s_cbranch_scc0 .LBB63_2932
; %bb.2928:
	global_load_u16 v7, v[18:19], off
	s_mov_b32 s16, 0
	s_mov_b32 s18, -1
	s_wait_loadcnt 0x0
	v_lshlrev_b32_e32 v7, 16, v7
	s_wait_xcnt 0x1
	s_delay_alu instid0(VALU_DEP_1)
	v_cvt_i32_f32_e32 v20, v7
	s_branch .LBB63_2934
.LBB63_2929:
	s_mov_b32 s17, -1
	s_branch .LBB63_2933
.LBB63_2930:
	s_and_not1_saveexec_b32 s17, s17
	s_cbranch_execz .LBB63_2911
.LBB63_2931:
	v_cmp_ne_u16_e32 vcc_lo, 0, v7
	s_and_not1_b32 s18, s18, exec_lo
	s_and_b32 s19, vcc_lo, exec_lo
	s_delay_alu instid0(SALU_CYCLE_1)
	s_or_b32 s18, s18, s19
	s_or_b32 exec_lo, exec_lo, s17
	v_mov_b32_e32 v20, 0
	s_and_saveexec_b32 s17, s18
	s_cbranch_execnz .LBB63_2912
	s_branch .LBB63_2913
.LBB63_2932:
	s_mov_b32 s16, -1
.LBB63_2933:
                                        ; implicit-def: $vgpr20
.LBB63_2934:
	s_and_b32 vcc_lo, exec_lo, s17
	s_mov_b32 s17, 0
	s_cbranch_vccz .LBB63_2936
; %bb.2935:
	s_cmp_lg_u32 s10, 11
	s_mov_b32 s17, -1
	s_cselect_b32 s16, -1, 0
.LBB63_2936:
	s_delay_alu instid0(SALU_CYCLE_1)
	s_and_b32 vcc_lo, exec_lo, s16
	s_cbranch_vccnz .LBB63_3001
; %bb.2937:
	s_and_not1_b32 vcc_lo, exec_lo, s17
	s_cbranch_vccnz .LBB63_2939
.LBB63_2938:
	global_load_u8 v7, v[18:19], off
	s_mov_b32 s18, -1
	s_wait_loadcnt 0x0
	v_cmp_ne_u16_e32 vcc_lo, 0, v7
	s_wait_xcnt 0x1
	v_cndmask_b32_e64 v20, 0, 1, vcc_lo
.LBB63_2939:
	s_mov_b32 s16, 0
.LBB63_2940:
	s_delay_alu instid0(SALU_CYCLE_1)
	s_and_b32 vcc_lo, exec_lo, s16
	s_cbranch_vccz .LBB63_2989
; %bb.2941:
	s_cmp_lt_i32 s10, 5
	s_cbranch_scc1 .LBB63_2946
; %bb.2942:
	s_cmp_lt_i32 s10, 8
	s_cbranch_scc1 .LBB63_2947
	;; [unrolled: 3-line block ×3, first 2 shown]
; %bb.2944:
	s_cmp_gt_i32 s10, 9
	s_cbranch_scc0 .LBB63_2949
; %bb.2945:
	s_wait_loadcnt 0x0
	global_load_b64 v[20:21], v[18:19], off
	s_mov_b32 s16, 0
	s_wait_loadcnt 0x0
	v_cvt_i32_f64_e32 v20, v[20:21]
	s_branch .LBB63_2950
.LBB63_2946:
	s_mov_b32 s16, -1
                                        ; implicit-def: $vgpr20
	s_branch .LBB63_2968
.LBB63_2947:
	s_mov_b32 s16, -1
                                        ; implicit-def: $vgpr20
	s_branch .LBB63_2956
.LBB63_2948:
	s_mov_b32 s16, -1
                                        ; implicit-def: $vgpr20
	s_branch .LBB63_2953
.LBB63_2949:
	s_mov_b32 s16, -1
                                        ; implicit-def: $vgpr20
.LBB63_2950:
	s_delay_alu instid0(SALU_CYCLE_1)
	s_and_not1_b32 vcc_lo, exec_lo, s16
	s_cbranch_vccnz .LBB63_2952
; %bb.2951:
	global_load_b32 v7, v[18:19], off
	s_wait_loadcnt 0x0
	s_wait_xcnt 0x1
	v_cvt_i32_f32_e32 v20, v7
.LBB63_2952:
	s_mov_b32 s16, 0
.LBB63_2953:
	s_delay_alu instid0(SALU_CYCLE_1)
	s_and_not1_b32 vcc_lo, exec_lo, s16
	s_cbranch_vccnz .LBB63_2955
; %bb.2954:
	global_load_b32 v7, v[18:19], off
	s_wait_loadcnt 0x0
	v_cvt_f32_f16_e32 v7, v7
	s_wait_xcnt 0x1
	s_delay_alu instid0(VALU_DEP_1)
	v_cvt_i32_f32_e32 v20, v7
.LBB63_2955:
	s_mov_b32 s16, 0
.LBB63_2956:
	s_delay_alu instid0(SALU_CYCLE_1)
	s_and_not1_b32 vcc_lo, exec_lo, s16
	s_cbranch_vccnz .LBB63_2967
; %bb.2957:
	s_cmp_lt_i32 s10, 6
	s_cbranch_scc1 .LBB63_2960
; %bb.2958:
	s_cmp_gt_i32 s10, 6
	s_cbranch_scc0 .LBB63_2961
; %bb.2959:
	s_wait_loadcnt 0x0
	global_load_b64 v[20:21], v[18:19], off
	s_mov_b32 s16, 0
	s_wait_loadcnt 0x0
	v_cvt_i32_f64_e32 v20, v[20:21]
	s_branch .LBB63_2962
.LBB63_2960:
	s_mov_b32 s16, -1
                                        ; implicit-def: $vgpr20
	s_branch .LBB63_2965
.LBB63_2961:
	s_mov_b32 s16, -1
                                        ; implicit-def: $vgpr20
.LBB63_2962:
	s_delay_alu instid0(SALU_CYCLE_1)
	s_and_not1_b32 vcc_lo, exec_lo, s16
	s_cbranch_vccnz .LBB63_2964
; %bb.2963:
	global_load_b32 v7, v[18:19], off
	s_wait_loadcnt 0x0
	s_wait_xcnt 0x1
	v_cvt_i32_f32_e32 v20, v7
.LBB63_2964:
	s_mov_b32 s16, 0
.LBB63_2965:
	s_delay_alu instid0(SALU_CYCLE_1)
	s_and_not1_b32 vcc_lo, exec_lo, s16
	s_cbranch_vccnz .LBB63_2967
; %bb.2966:
	global_load_u16 v7, v[18:19], off
	s_wait_loadcnt 0x0
	v_cvt_f32_f16_e32 v7, v7
	s_wait_xcnt 0x1
	s_delay_alu instid0(VALU_DEP_1)
	v_cvt_i32_f32_e32 v20, v7
.LBB63_2967:
	s_mov_b32 s16, 0
.LBB63_2968:
	s_delay_alu instid0(SALU_CYCLE_1)
	s_and_not1_b32 vcc_lo, exec_lo, s16
	s_cbranch_vccnz .LBB63_2988
; %bb.2969:
	s_cmp_lt_i32 s10, 2
	s_cbranch_scc1 .LBB63_2973
; %bb.2970:
	s_cmp_lt_i32 s10, 3
	s_cbranch_scc1 .LBB63_2974
; %bb.2971:
	s_cmp_gt_i32 s10, 3
	s_cbranch_scc0 .LBB63_2975
; %bb.2972:
	s_wait_loadcnt 0x0
	global_load_b32 v20, v[18:19], off
	s_mov_b32 s16, 0
	s_branch .LBB63_2976
.LBB63_2973:
	s_mov_b32 s16, -1
                                        ; implicit-def: $vgpr20
	s_branch .LBB63_2982
.LBB63_2974:
	s_mov_b32 s16, -1
                                        ; implicit-def: $vgpr20
	s_branch .LBB63_2979
.LBB63_2975:
	s_mov_b32 s16, -1
                                        ; implicit-def: $vgpr20
.LBB63_2976:
	s_delay_alu instid0(SALU_CYCLE_1)
	s_and_not1_b32 vcc_lo, exec_lo, s16
	s_cbranch_vccnz .LBB63_2978
; %bb.2977:
	s_wait_loadcnt 0x0
	global_load_b32 v20, v[18:19], off
.LBB63_2978:
	s_mov_b32 s16, 0
.LBB63_2979:
	s_delay_alu instid0(SALU_CYCLE_1)
	s_and_not1_b32 vcc_lo, exec_lo, s16
	s_cbranch_vccnz .LBB63_2981
; %bb.2980:
	s_wait_loadcnt 0x0
	global_load_i16 v20, v[18:19], off
.LBB63_2981:
	s_mov_b32 s16, 0
.LBB63_2982:
	s_delay_alu instid0(SALU_CYCLE_1)
	s_and_not1_b32 vcc_lo, exec_lo, s16
	s_cbranch_vccnz .LBB63_2988
; %bb.2983:
	s_cmp_gt_i32 s10, 0
	s_mov_b32 s16, 0
	s_cbranch_scc0 .LBB63_2985
; %bb.2984:
	s_wait_loadcnt 0x0
	global_load_i8 v20, v[18:19], off
	s_branch .LBB63_2986
.LBB63_2985:
	s_mov_b32 s16, -1
                                        ; implicit-def: $vgpr20
.LBB63_2986:
	s_delay_alu instid0(SALU_CYCLE_1)
	s_and_not1_b32 vcc_lo, exec_lo, s16
	s_cbranch_vccnz .LBB63_2988
; %bb.2987:
	s_wait_loadcnt 0x0
	global_load_u8 v20, v[18:19], off
.LBB63_2988:
	s_mov_b32 s18, -1
.LBB63_2989:
	s_delay_alu instid0(SALU_CYCLE_1)
	s_and_not1_b32 vcc_lo, exec_lo, s18
	s_cbranch_vccnz .LBB63_4058
; %bb.2990:
	v_mov_b32_e32 v17, 0
	s_cmp_lt_i32 s14, 11
	s_delay_alu instid0(VALU_DEP_1)
	v_add_nc_u64_e32 v[16:17], s[0:1], v[16:17]
	s_cbranch_scc1 .LBB63_2997
; %bb.2991:
	s_cmp_gt_i32 s14, 25
	s_mov_b32 s17, 0
	s_cbranch_scc0 .LBB63_2998
; %bb.2992:
	s_cmp_gt_i32 s14, 28
	s_cbranch_scc0 .LBB63_2999
; %bb.2993:
	s_cmp_gt_i32 s14, 43
	;; [unrolled: 3-line block ×3, first 2 shown]
	s_cbranch_scc0 .LBB63_3002
; %bb.2995:
	s_cmp_eq_u32 s14, 46
	s_mov_b32 s19, 0
	s_cbranch_scc0 .LBB63_3003
; %bb.2996:
	global_load_b32 v7, v[16:17], off
	s_mov_b32 s16, 0
	s_mov_b32 s18, -1
	s_wait_loadcnt 0x0
	v_lshlrev_b32_e32 v7, 16, v7
	s_wait_xcnt 0x1
	s_delay_alu instid0(VALU_DEP_1)
	v_cvt_i32_f32_e32 v18, v7
	s_branch .LBB63_3005
.LBB63_2997:
	s_mov_b32 s16, -1
	s_mov_b32 s18, 0
                                        ; implicit-def: $vgpr18
	s_branch .LBB63_3067
.LBB63_2998:
	s_mov_b32 s19, -1
	s_mov_b32 s18, 0
	s_mov_b32 s16, 0
                                        ; implicit-def: $vgpr18
	s_branch .LBB63_3032
.LBB63_2999:
	s_mov_b32 s19, -1
	s_mov_b32 s18, 0
	s_mov_b32 s16, 0
                                        ; implicit-def: $vgpr18
	s_branch .LBB63_3015
.LBB63_3000:
	s_mov_b32 s19, -1
	s_mov_b32 s18, 0
	s_mov_b32 s16, 0
                                        ; implicit-def: $vgpr18
	s_branch .LBB63_3010
.LBB63_3001:
	s_or_b32 s13, s13, exec_lo
	s_trap 2
	s_cbranch_execz .LBB63_2938
	s_branch .LBB63_2939
.LBB63_3002:
	s_mov_b32 s19, -1
	s_mov_b32 s18, 0
	s_mov_b32 s16, 0
	s_branch .LBB63_3004
.LBB63_3003:
	s_mov_b32 s16, -1
	s_mov_b32 s18, 0
.LBB63_3004:
                                        ; implicit-def: $vgpr18
.LBB63_3005:
	s_and_b32 vcc_lo, exec_lo, s19
	s_cbranch_vccz .LBB63_3009
; %bb.3006:
	s_cmp_eq_u32 s14, 44
	s_cbranch_scc0 .LBB63_3008
; %bb.3007:
	global_load_u8 v7, v[16:17], off
	s_mov_b32 s16, 0
	s_mov_b32 s18, -1
	s_wait_loadcnt 0x0
	v_lshlrev_b32_e32 v9, 23, v7
	v_cmp_ne_u32_e32 vcc_lo, 0, v7
	s_delay_alu instid0(VALU_DEP_2) | instskip(SKIP_1) | instid1(VALU_DEP_1)
	v_cvt_i32_f32_e32 v9, v9
	s_wait_xcnt 0x1
	v_cndmask_b32_e32 v18, 0, v9, vcc_lo
	s_branch .LBB63_3009
.LBB63_3008:
	s_mov_b32 s16, -1
                                        ; implicit-def: $vgpr18
.LBB63_3009:
	s_mov_b32 s19, 0
.LBB63_3010:
	s_delay_alu instid0(SALU_CYCLE_1)
	s_and_b32 vcc_lo, exec_lo, s19
	s_cbranch_vccz .LBB63_3014
; %bb.3011:
	s_cmp_eq_u32 s14, 29
	s_cbranch_scc0 .LBB63_3013
; %bb.3012:
	global_load_b32 v18, v[16:17], off
	s_mov_b32 s16, 0
	s_mov_b32 s18, -1
	s_branch .LBB63_3014
.LBB63_3013:
	s_mov_b32 s16, -1
                                        ; implicit-def: $vgpr18
.LBB63_3014:
	s_mov_b32 s19, 0
.LBB63_3015:
	s_delay_alu instid0(SALU_CYCLE_1)
	s_and_b32 vcc_lo, exec_lo, s19
	s_cbranch_vccz .LBB63_3031
; %bb.3016:
	s_cmp_lt_i32 s14, 27
	s_cbranch_scc1 .LBB63_3019
; %bb.3017:
	s_cmp_gt_i32 s14, 27
	s_cbranch_scc0 .LBB63_3020
; %bb.3018:
	s_wait_loadcnt 0x0
	global_load_b32 v18, v[16:17], off
	s_mov_b32 s18, 0
	s_branch .LBB63_3021
.LBB63_3019:
	s_mov_b32 s18, -1
                                        ; implicit-def: $vgpr18
	s_branch .LBB63_3024
.LBB63_3020:
	s_mov_b32 s18, -1
                                        ; implicit-def: $vgpr18
.LBB63_3021:
	s_delay_alu instid0(SALU_CYCLE_1)
	s_and_not1_b32 vcc_lo, exec_lo, s18
	s_cbranch_vccnz .LBB63_3023
; %bb.3022:
	s_wait_loadcnt 0x0
	global_load_u16 v18, v[16:17], off
.LBB63_3023:
	s_mov_b32 s18, 0
.LBB63_3024:
	s_delay_alu instid0(SALU_CYCLE_1)
	s_and_not1_b32 vcc_lo, exec_lo, s18
	s_cbranch_vccnz .LBB63_3030
; %bb.3025:
	global_load_u8 v7, v[16:17], off
	s_mov_b32 s19, 0
	s_mov_b32 s18, exec_lo
	s_wait_loadcnt 0x0
	v_cmpx_lt_i16_e32 0x7f, v7
	s_xor_b32 s18, exec_lo, s18
	s_cbranch_execz .LBB63_3042
; %bb.3026:
	v_cmp_ne_u16_e32 vcc_lo, 0x80, v7
	s_and_b32 s19, vcc_lo, exec_lo
	s_and_not1_saveexec_b32 s18, s18
	s_cbranch_execnz .LBB63_3043
.LBB63_3027:
	s_or_b32 exec_lo, exec_lo, s18
	v_mov_b32_e32 v18, 0
	s_and_saveexec_b32 s18, s19
	s_cbranch_execz .LBB63_3029
.LBB63_3028:
	v_and_b32_e32 v9, 0xffff, v7
	s_delay_alu instid0(VALU_DEP_1) | instskip(SKIP_1) | instid1(VALU_DEP_2)
	v_dual_lshlrev_b32 v7, 24, v7 :: v_dual_bitop2_b32 v11, 7, v9 bitop3:0x40
	v_bfe_u32 v18, v9, 3, 4
	v_and_b32_e32 v7, 0x80000000, v7
	s_delay_alu instid0(VALU_DEP_3) | instskip(NEXT) | instid1(VALU_DEP_3)
	v_clz_i32_u32_e32 v13, v11
	v_cmp_eq_u32_e32 vcc_lo, 0, v18
	s_delay_alu instid0(VALU_DEP_2) | instskip(NEXT) | instid1(VALU_DEP_1)
	v_min_u32_e32 v13, 32, v13
	v_subrev_nc_u32_e32 v15, 28, v13
	v_sub_nc_u32_e32 v13, 29, v13
	s_delay_alu instid0(VALU_DEP_2) | instskip(NEXT) | instid1(VALU_DEP_2)
	v_lshlrev_b32_e32 v9, v15, v9
	v_cndmask_b32_e32 v13, v18, v13, vcc_lo
	s_delay_alu instid0(VALU_DEP_2) | instskip(NEXT) | instid1(VALU_DEP_1)
	v_and_b32_e32 v9, 7, v9
	v_cndmask_b32_e32 v9, v11, v9, vcc_lo
	s_delay_alu instid0(VALU_DEP_3) | instskip(NEXT) | instid1(VALU_DEP_2)
	v_lshl_add_u32 v11, v13, 23, 0x3b800000
	v_lshlrev_b32_e32 v9, 20, v9
	s_delay_alu instid0(VALU_DEP_1) | instskip(NEXT) | instid1(VALU_DEP_1)
	v_or3_b32 v7, v7, v11, v9
	v_cvt_i32_f32_e32 v18, v7
.LBB63_3029:
	s_or_b32 exec_lo, exec_lo, s18
.LBB63_3030:
	s_mov_b32 s18, -1
.LBB63_3031:
	s_mov_b32 s19, 0
.LBB63_3032:
	s_delay_alu instid0(SALU_CYCLE_1)
	s_and_b32 vcc_lo, exec_lo, s19
	s_cbranch_vccz .LBB63_3063
; %bb.3033:
	s_cmp_gt_i32 s14, 22
	s_cbranch_scc0 .LBB63_3041
; %bb.3034:
	s_cmp_lt_i32 s14, 24
	s_cbranch_scc1 .LBB63_3044
; %bb.3035:
	s_cmp_gt_i32 s14, 24
	s_cbranch_scc0 .LBB63_3045
; %bb.3036:
	global_load_u8 v7, v[16:17], off
	s_mov_b32 s18, 0
	s_mov_b32 s17, exec_lo
	s_wait_loadcnt 0x0
	v_cmpx_lt_i16_e32 0x7f, v7
	s_xor_b32 s17, exec_lo, s17
	s_cbranch_execz .LBB63_3057
; %bb.3037:
	v_cmp_ne_u16_e32 vcc_lo, 0x80, v7
	s_and_b32 s18, vcc_lo, exec_lo
	s_and_not1_saveexec_b32 s17, s17
	s_cbranch_execnz .LBB63_3058
.LBB63_3038:
	s_or_b32 exec_lo, exec_lo, s17
	v_mov_b32_e32 v18, 0
	s_and_saveexec_b32 s17, s18
	s_cbranch_execz .LBB63_3040
.LBB63_3039:
	v_and_b32_e32 v9, 0xffff, v7
	s_delay_alu instid0(VALU_DEP_1) | instskip(SKIP_1) | instid1(VALU_DEP_2)
	v_dual_lshlrev_b32 v7, 24, v7 :: v_dual_bitop2_b32 v11, 3, v9 bitop3:0x40
	v_bfe_u32 v18, v9, 2, 5
	v_and_b32_e32 v7, 0x80000000, v7
	s_delay_alu instid0(VALU_DEP_3) | instskip(NEXT) | instid1(VALU_DEP_3)
	v_clz_i32_u32_e32 v13, v11
	v_cmp_eq_u32_e32 vcc_lo, 0, v18
	s_delay_alu instid0(VALU_DEP_2) | instskip(NEXT) | instid1(VALU_DEP_1)
	v_min_u32_e32 v13, 32, v13
	v_subrev_nc_u32_e32 v15, 29, v13
	v_sub_nc_u32_e32 v13, 30, v13
	s_delay_alu instid0(VALU_DEP_2) | instskip(NEXT) | instid1(VALU_DEP_2)
	v_lshlrev_b32_e32 v9, v15, v9
	v_cndmask_b32_e32 v13, v18, v13, vcc_lo
	s_delay_alu instid0(VALU_DEP_2) | instskip(NEXT) | instid1(VALU_DEP_1)
	v_and_b32_e32 v9, 3, v9
	v_cndmask_b32_e32 v9, v11, v9, vcc_lo
	s_delay_alu instid0(VALU_DEP_3) | instskip(NEXT) | instid1(VALU_DEP_2)
	v_lshl_add_u32 v11, v13, 23, 0x37800000
	v_lshlrev_b32_e32 v9, 21, v9
	s_delay_alu instid0(VALU_DEP_1) | instskip(NEXT) | instid1(VALU_DEP_1)
	v_or3_b32 v7, v7, v11, v9
	v_cvt_i32_f32_e32 v18, v7
.LBB63_3040:
	s_or_b32 exec_lo, exec_lo, s17
	s_mov_b32 s17, 0
	s_branch .LBB63_3046
.LBB63_3041:
	s_mov_b32 s17, -1
                                        ; implicit-def: $vgpr18
	s_branch .LBB63_3052
.LBB63_3042:
	s_and_not1_saveexec_b32 s18, s18
	s_cbranch_execz .LBB63_3027
.LBB63_3043:
	v_cmp_ne_u16_e32 vcc_lo, 0, v7
	s_and_not1_b32 s19, s19, exec_lo
	s_and_b32 s20, vcc_lo, exec_lo
	s_delay_alu instid0(SALU_CYCLE_1)
	s_or_b32 s19, s19, s20
	s_or_b32 exec_lo, exec_lo, s18
	v_mov_b32_e32 v18, 0
	s_and_saveexec_b32 s18, s19
	s_cbranch_execnz .LBB63_3028
	s_branch .LBB63_3029
.LBB63_3044:
	s_mov_b32 s17, -1
                                        ; implicit-def: $vgpr18
	s_branch .LBB63_3049
.LBB63_3045:
	s_mov_b32 s17, -1
                                        ; implicit-def: $vgpr18
.LBB63_3046:
	s_delay_alu instid0(SALU_CYCLE_1)
	s_and_b32 vcc_lo, exec_lo, s17
	s_cbranch_vccz .LBB63_3048
; %bb.3047:
	global_load_u8 v7, v[16:17], off
	s_wait_loadcnt 0x0
	v_lshlrev_b32_e32 v7, 24, v7
	s_delay_alu instid0(VALU_DEP_1) | instskip(NEXT) | instid1(VALU_DEP_1)
	v_and_b32_e32 v9, 0x7f000000, v7
	v_clz_i32_u32_e32 v11, v9
	v_add_nc_u32_e32 v15, 0x1000000, v9
	v_cmp_ne_u32_e32 vcc_lo, 0, v9
	s_delay_alu instid0(VALU_DEP_3) | instskip(NEXT) | instid1(VALU_DEP_1)
	v_min_u32_e32 v11, 32, v11
	v_sub_nc_u32_e64 v11, v11, 4 clamp
	s_delay_alu instid0(VALU_DEP_1) | instskip(NEXT) | instid1(VALU_DEP_1)
	v_dual_lshlrev_b32 v13, v11, v9 :: v_dual_lshlrev_b32 v11, 23, v11
	v_lshrrev_b32_e32 v13, 4, v13
	s_delay_alu instid0(VALU_DEP_1) | instskip(SKIP_1) | instid1(VALU_DEP_2)
	v_sub_nc_u32_e32 v11, v13, v11
	v_ashrrev_i32_e32 v13, 8, v15
	v_add_nc_u32_e32 v11, 0x3c000000, v11
	s_delay_alu instid0(VALU_DEP_1) | instskip(NEXT) | instid1(VALU_DEP_1)
	v_and_or_b32 v11, 0x7f800000, v13, v11
	v_cndmask_b32_e32 v9, 0, v11, vcc_lo
	s_delay_alu instid0(VALU_DEP_1) | instskip(SKIP_1) | instid1(VALU_DEP_1)
	v_and_or_b32 v7, 0x80000000, v7, v9
	s_wait_xcnt 0x1
	v_cvt_i32_f32_e32 v18, v7
.LBB63_3048:
	s_mov_b32 s17, 0
.LBB63_3049:
	s_delay_alu instid0(SALU_CYCLE_1)
	s_and_not1_b32 vcc_lo, exec_lo, s17
	s_cbranch_vccnz .LBB63_3051
; %bb.3050:
	global_load_u8 v7, v[16:17], off
	s_wait_loadcnt 0x0
	v_lshlrev_b32_e32 v9, 25, v7
	v_lshlrev_b16 v7, 8, v7
	s_delay_alu instid0(VALU_DEP_1) | instskip(SKIP_1) | instid1(VALU_DEP_2)
	v_and_or_b32 v13, 0x7f00, v7, 0.5
	v_bfe_i32 v7, v7, 0, 16
	v_add_f32_e32 v13, -0.5, v13
	v_lshrrev_b32_e32 v11, 4, v9
	v_cmp_gt_u32_e32 vcc_lo, 0x8000000, v9
	s_delay_alu instid0(VALU_DEP_2) | instskip(NEXT) | instid1(VALU_DEP_1)
	v_or_b32_e32 v11, 0x70000000, v11
	v_mul_f32_e32 v11, 0x7800000, v11
	s_delay_alu instid0(VALU_DEP_1) | instskip(NEXT) | instid1(VALU_DEP_1)
	v_cndmask_b32_e32 v9, v11, v13, vcc_lo
	v_and_or_b32 v7, 0x80000000, v7, v9
	s_wait_xcnt 0x1
	s_delay_alu instid0(VALU_DEP_1)
	v_cvt_i32_f32_e32 v18, v7
.LBB63_3051:
	s_mov_b32 s17, 0
	s_mov_b32 s18, -1
.LBB63_3052:
	s_and_not1_b32 vcc_lo, exec_lo, s17
	s_mov_b32 s17, 0
	s_cbranch_vccnz .LBB63_3063
; %bb.3053:
	s_cmp_gt_i32 s14, 14
	s_cbranch_scc0 .LBB63_3056
; %bb.3054:
	s_cmp_eq_u32 s14, 15
	s_cbranch_scc0 .LBB63_3059
; %bb.3055:
	global_load_u16 v7, v[16:17], off
	s_mov_b32 s16, 0
	s_mov_b32 s18, -1
	s_wait_loadcnt 0x0
	v_lshlrev_b32_e32 v7, 16, v7
	s_wait_xcnt 0x1
	s_delay_alu instid0(VALU_DEP_1)
	v_cvt_i32_f32_e32 v18, v7
	s_branch .LBB63_3061
.LBB63_3056:
	s_mov_b32 s17, -1
	s_branch .LBB63_3060
.LBB63_3057:
	s_and_not1_saveexec_b32 s17, s17
	s_cbranch_execz .LBB63_3038
.LBB63_3058:
	v_cmp_ne_u16_e32 vcc_lo, 0, v7
	s_and_not1_b32 s18, s18, exec_lo
	s_and_b32 s19, vcc_lo, exec_lo
	s_delay_alu instid0(SALU_CYCLE_1)
	s_or_b32 s18, s18, s19
	s_or_b32 exec_lo, exec_lo, s17
	v_mov_b32_e32 v18, 0
	s_and_saveexec_b32 s17, s18
	s_cbranch_execnz .LBB63_3039
	s_branch .LBB63_3040
.LBB63_3059:
	s_mov_b32 s16, -1
.LBB63_3060:
                                        ; implicit-def: $vgpr18
.LBB63_3061:
	s_and_b32 vcc_lo, exec_lo, s17
	s_mov_b32 s17, 0
	s_cbranch_vccz .LBB63_3063
; %bb.3062:
	s_cmp_lg_u32 s14, 11
	s_mov_b32 s17, -1
	s_cselect_b32 s16, -1, 0
.LBB63_3063:
	s_delay_alu instid0(SALU_CYCLE_1)
	s_and_b32 vcc_lo, exec_lo, s16
	s_cbranch_vccnz .LBB63_3128
; %bb.3064:
	s_and_not1_b32 vcc_lo, exec_lo, s17
	s_cbranch_vccnz .LBB63_3066
.LBB63_3065:
	global_load_u8 v7, v[16:17], off
	s_mov_b32 s18, -1
	s_wait_loadcnt 0x0
	v_cmp_ne_u16_e32 vcc_lo, 0, v7
	s_wait_xcnt 0x1
	v_cndmask_b32_e64 v18, 0, 1, vcc_lo
.LBB63_3066:
	s_mov_b32 s16, 0
.LBB63_3067:
	s_delay_alu instid0(SALU_CYCLE_1)
	s_and_b32 vcc_lo, exec_lo, s16
	s_cbranch_vccz .LBB63_3116
; %bb.3068:
	s_cmp_lt_i32 s14, 5
	s_cbranch_scc1 .LBB63_3073
; %bb.3069:
	s_cmp_lt_i32 s14, 8
	s_cbranch_scc1 .LBB63_3074
	;; [unrolled: 3-line block ×3, first 2 shown]
; %bb.3071:
	s_cmp_gt_i32 s14, 9
	s_cbranch_scc0 .LBB63_3076
; %bb.3072:
	s_wait_loadcnt 0x0
	global_load_b64 v[18:19], v[16:17], off
	s_mov_b32 s16, 0
	s_wait_loadcnt 0x0
	v_cvt_i32_f64_e32 v18, v[18:19]
	s_branch .LBB63_3077
.LBB63_3073:
	s_mov_b32 s16, -1
                                        ; implicit-def: $vgpr18
	s_branch .LBB63_3095
.LBB63_3074:
	s_mov_b32 s16, -1
                                        ; implicit-def: $vgpr18
	s_branch .LBB63_3083
.LBB63_3075:
	s_mov_b32 s16, -1
                                        ; implicit-def: $vgpr18
	s_branch .LBB63_3080
.LBB63_3076:
	s_mov_b32 s16, -1
                                        ; implicit-def: $vgpr18
.LBB63_3077:
	s_delay_alu instid0(SALU_CYCLE_1)
	s_and_not1_b32 vcc_lo, exec_lo, s16
	s_cbranch_vccnz .LBB63_3079
; %bb.3078:
	global_load_b32 v7, v[16:17], off
	s_wait_loadcnt 0x0
	s_wait_xcnt 0x1
	v_cvt_i32_f32_e32 v18, v7
.LBB63_3079:
	s_mov_b32 s16, 0
.LBB63_3080:
	s_delay_alu instid0(SALU_CYCLE_1)
	s_and_not1_b32 vcc_lo, exec_lo, s16
	s_cbranch_vccnz .LBB63_3082
; %bb.3081:
	global_load_b32 v7, v[16:17], off
	s_wait_loadcnt 0x0
	v_cvt_f32_f16_e32 v7, v7
	s_wait_xcnt 0x1
	s_delay_alu instid0(VALU_DEP_1)
	v_cvt_i32_f32_e32 v18, v7
.LBB63_3082:
	s_mov_b32 s16, 0
.LBB63_3083:
	s_delay_alu instid0(SALU_CYCLE_1)
	s_and_not1_b32 vcc_lo, exec_lo, s16
	s_cbranch_vccnz .LBB63_3094
; %bb.3084:
	s_cmp_lt_i32 s14, 6
	s_cbranch_scc1 .LBB63_3087
; %bb.3085:
	s_cmp_gt_i32 s14, 6
	s_cbranch_scc0 .LBB63_3088
; %bb.3086:
	s_wait_loadcnt 0x0
	global_load_b64 v[18:19], v[16:17], off
	s_mov_b32 s16, 0
	s_wait_loadcnt 0x0
	v_cvt_i32_f64_e32 v18, v[18:19]
	s_branch .LBB63_3089
.LBB63_3087:
	s_mov_b32 s16, -1
                                        ; implicit-def: $vgpr18
	s_branch .LBB63_3092
.LBB63_3088:
	s_mov_b32 s16, -1
                                        ; implicit-def: $vgpr18
.LBB63_3089:
	s_delay_alu instid0(SALU_CYCLE_1)
	s_and_not1_b32 vcc_lo, exec_lo, s16
	s_cbranch_vccnz .LBB63_3091
; %bb.3090:
	global_load_b32 v7, v[16:17], off
	s_wait_loadcnt 0x0
	s_wait_xcnt 0x1
	v_cvt_i32_f32_e32 v18, v7
.LBB63_3091:
	s_mov_b32 s16, 0
.LBB63_3092:
	s_delay_alu instid0(SALU_CYCLE_1)
	s_and_not1_b32 vcc_lo, exec_lo, s16
	s_cbranch_vccnz .LBB63_3094
; %bb.3093:
	global_load_u16 v7, v[16:17], off
	s_wait_loadcnt 0x0
	v_cvt_f32_f16_e32 v7, v7
	s_wait_xcnt 0x1
	s_delay_alu instid0(VALU_DEP_1)
	v_cvt_i32_f32_e32 v18, v7
.LBB63_3094:
	s_mov_b32 s16, 0
.LBB63_3095:
	s_delay_alu instid0(SALU_CYCLE_1)
	s_and_not1_b32 vcc_lo, exec_lo, s16
	s_cbranch_vccnz .LBB63_3115
; %bb.3096:
	s_cmp_lt_i32 s14, 2
	s_cbranch_scc1 .LBB63_3100
; %bb.3097:
	s_cmp_lt_i32 s14, 3
	s_cbranch_scc1 .LBB63_3101
; %bb.3098:
	s_cmp_gt_i32 s14, 3
	s_cbranch_scc0 .LBB63_3102
; %bb.3099:
	s_wait_loadcnt 0x0
	global_load_b32 v18, v[16:17], off
	s_mov_b32 s16, 0
	s_branch .LBB63_3103
.LBB63_3100:
	s_mov_b32 s16, -1
                                        ; implicit-def: $vgpr18
	s_branch .LBB63_3109
.LBB63_3101:
	s_mov_b32 s16, -1
                                        ; implicit-def: $vgpr18
	s_branch .LBB63_3106
.LBB63_3102:
	s_mov_b32 s16, -1
                                        ; implicit-def: $vgpr18
.LBB63_3103:
	s_delay_alu instid0(SALU_CYCLE_1)
	s_and_not1_b32 vcc_lo, exec_lo, s16
	s_cbranch_vccnz .LBB63_3105
; %bb.3104:
	s_wait_loadcnt 0x0
	global_load_b32 v18, v[16:17], off
.LBB63_3105:
	s_mov_b32 s16, 0
.LBB63_3106:
	s_delay_alu instid0(SALU_CYCLE_1)
	s_and_not1_b32 vcc_lo, exec_lo, s16
	s_cbranch_vccnz .LBB63_3108
; %bb.3107:
	s_wait_loadcnt 0x0
	global_load_i16 v18, v[16:17], off
.LBB63_3108:
	s_mov_b32 s16, 0
.LBB63_3109:
	s_delay_alu instid0(SALU_CYCLE_1)
	s_and_not1_b32 vcc_lo, exec_lo, s16
	s_cbranch_vccnz .LBB63_3115
; %bb.3110:
	s_cmp_gt_i32 s14, 0
	s_mov_b32 s16, 0
	s_cbranch_scc0 .LBB63_3112
; %bb.3111:
	s_wait_loadcnt 0x0
	global_load_i8 v18, v[16:17], off
	s_branch .LBB63_3113
.LBB63_3112:
	s_mov_b32 s16, -1
                                        ; implicit-def: $vgpr18
.LBB63_3113:
	s_delay_alu instid0(SALU_CYCLE_1)
	s_and_not1_b32 vcc_lo, exec_lo, s16
	s_cbranch_vccnz .LBB63_3115
; %bb.3114:
	s_wait_loadcnt 0x0
	global_load_u8 v18, v[16:17], off
.LBB63_3115:
	s_mov_b32 s18, -1
.LBB63_3116:
	s_delay_alu instid0(SALU_CYCLE_1)
	s_and_not1_b32 vcc_lo, exec_lo, s18
	s_cbranch_vccnz .LBB63_4058
; %bb.3117:
	v_mov_b32_e32 v15, 0
	s_cmp_lt_i32 s15, 11
	s_delay_alu instid0(VALU_DEP_1)
	v_add_nc_u64_e32 v[14:15], s[8:9], v[14:15]
	s_cbranch_scc1 .LBB63_3124
; %bb.3118:
	s_cmp_gt_i32 s15, 25
	s_mov_b32 s17, 0
	s_cbranch_scc0 .LBB63_3125
; %bb.3119:
	s_cmp_gt_i32 s15, 28
	s_cbranch_scc0 .LBB63_3126
; %bb.3120:
	s_cmp_gt_i32 s15, 43
	;; [unrolled: 3-line block ×3, first 2 shown]
	s_cbranch_scc0 .LBB63_3129
; %bb.3122:
	s_cmp_eq_u32 s15, 46
	s_mov_b32 s19, 0
	s_cbranch_scc0 .LBB63_3130
; %bb.3123:
	global_load_b32 v7, v[14:15], off
	s_mov_b32 s16, 0
	s_mov_b32 s18, -1
	s_wait_loadcnt 0x0
	v_lshlrev_b32_e32 v7, 16, v7
	s_wait_xcnt 0x1
	s_delay_alu instid0(VALU_DEP_1)
	v_cvt_i32_f32_e32 v16, v7
	s_branch .LBB63_3132
.LBB63_3124:
	s_mov_b32 s16, -1
	s_mov_b32 s18, 0
                                        ; implicit-def: $vgpr16
	s_branch .LBB63_3194
.LBB63_3125:
	s_mov_b32 s19, -1
	s_mov_b32 s18, 0
	s_mov_b32 s16, 0
                                        ; implicit-def: $vgpr16
	s_branch .LBB63_3159
.LBB63_3126:
	s_mov_b32 s19, -1
	s_mov_b32 s18, 0
	s_mov_b32 s16, 0
                                        ; implicit-def: $vgpr16
	s_branch .LBB63_3142
.LBB63_3127:
	s_mov_b32 s19, -1
	s_mov_b32 s18, 0
	s_mov_b32 s16, 0
                                        ; implicit-def: $vgpr16
	s_branch .LBB63_3137
.LBB63_3128:
	s_or_b32 s13, s13, exec_lo
	s_trap 2
	s_cbranch_execz .LBB63_3065
	s_branch .LBB63_3066
.LBB63_3129:
	s_mov_b32 s19, -1
	s_mov_b32 s18, 0
	s_mov_b32 s16, 0
	s_branch .LBB63_3131
.LBB63_3130:
	s_mov_b32 s16, -1
	s_mov_b32 s18, 0
.LBB63_3131:
                                        ; implicit-def: $vgpr16
.LBB63_3132:
	s_and_b32 vcc_lo, exec_lo, s19
	s_cbranch_vccz .LBB63_3136
; %bb.3133:
	s_cmp_eq_u32 s15, 44
	s_cbranch_scc0 .LBB63_3135
; %bb.3134:
	global_load_u8 v7, v[14:15], off
	s_mov_b32 s16, 0
	s_mov_b32 s18, -1
	s_wait_loadcnt 0x0
	v_lshlrev_b32_e32 v9, 23, v7
	v_cmp_ne_u32_e32 vcc_lo, 0, v7
	s_delay_alu instid0(VALU_DEP_2) | instskip(SKIP_1) | instid1(VALU_DEP_1)
	v_cvt_i32_f32_e32 v9, v9
	s_wait_xcnt 0x1
	v_cndmask_b32_e32 v16, 0, v9, vcc_lo
	s_branch .LBB63_3136
.LBB63_3135:
	s_mov_b32 s16, -1
                                        ; implicit-def: $vgpr16
.LBB63_3136:
	s_mov_b32 s19, 0
.LBB63_3137:
	s_delay_alu instid0(SALU_CYCLE_1)
	s_and_b32 vcc_lo, exec_lo, s19
	s_cbranch_vccz .LBB63_3141
; %bb.3138:
	s_cmp_eq_u32 s15, 29
	s_cbranch_scc0 .LBB63_3140
; %bb.3139:
	global_load_b32 v16, v[14:15], off
	s_mov_b32 s16, 0
	s_mov_b32 s18, -1
	s_branch .LBB63_3141
.LBB63_3140:
	s_mov_b32 s16, -1
                                        ; implicit-def: $vgpr16
.LBB63_3141:
	s_mov_b32 s19, 0
.LBB63_3142:
	s_delay_alu instid0(SALU_CYCLE_1)
	s_and_b32 vcc_lo, exec_lo, s19
	s_cbranch_vccz .LBB63_3158
; %bb.3143:
	s_cmp_lt_i32 s15, 27
	s_cbranch_scc1 .LBB63_3146
; %bb.3144:
	s_cmp_gt_i32 s15, 27
	s_cbranch_scc0 .LBB63_3147
; %bb.3145:
	s_wait_loadcnt 0x0
	global_load_b32 v16, v[14:15], off
	s_mov_b32 s18, 0
	s_branch .LBB63_3148
.LBB63_3146:
	s_mov_b32 s18, -1
                                        ; implicit-def: $vgpr16
	s_branch .LBB63_3151
.LBB63_3147:
	s_mov_b32 s18, -1
                                        ; implicit-def: $vgpr16
.LBB63_3148:
	s_delay_alu instid0(SALU_CYCLE_1)
	s_and_not1_b32 vcc_lo, exec_lo, s18
	s_cbranch_vccnz .LBB63_3150
; %bb.3149:
	s_wait_loadcnt 0x0
	global_load_u16 v16, v[14:15], off
.LBB63_3150:
	s_mov_b32 s18, 0
.LBB63_3151:
	s_delay_alu instid0(SALU_CYCLE_1)
	s_and_not1_b32 vcc_lo, exec_lo, s18
	s_cbranch_vccnz .LBB63_3157
; %bb.3152:
	global_load_u8 v7, v[14:15], off
	s_mov_b32 s19, 0
	s_mov_b32 s18, exec_lo
	s_wait_loadcnt 0x0
	v_cmpx_lt_i16_e32 0x7f, v7
	s_xor_b32 s18, exec_lo, s18
	s_cbranch_execz .LBB63_3169
; %bb.3153:
	v_cmp_ne_u16_e32 vcc_lo, 0x80, v7
	s_and_b32 s19, vcc_lo, exec_lo
	s_and_not1_saveexec_b32 s18, s18
	s_cbranch_execnz .LBB63_3170
.LBB63_3154:
	s_or_b32 exec_lo, exec_lo, s18
	v_mov_b32_e32 v16, 0
	s_and_saveexec_b32 s18, s19
	s_cbranch_execz .LBB63_3156
.LBB63_3155:
	v_and_b32_e32 v9, 0xffff, v7
	s_delay_alu instid0(VALU_DEP_1) | instskip(SKIP_1) | instid1(VALU_DEP_2)
	v_dual_lshlrev_b32 v7, 24, v7 :: v_dual_bitop2_b32 v11, 7, v9 bitop3:0x40
	v_bfe_u32 v17, v9, 3, 4
	v_and_b32_e32 v7, 0x80000000, v7
	s_delay_alu instid0(VALU_DEP_3) | instskip(NEXT) | instid1(VALU_DEP_3)
	v_clz_i32_u32_e32 v13, v11
	v_cmp_eq_u32_e32 vcc_lo, 0, v17
	s_delay_alu instid0(VALU_DEP_2) | instskip(NEXT) | instid1(VALU_DEP_1)
	v_min_u32_e32 v13, 32, v13
	v_subrev_nc_u32_e32 v16, 28, v13
	v_sub_nc_u32_e32 v13, 29, v13
	s_delay_alu instid0(VALU_DEP_2) | instskip(NEXT) | instid1(VALU_DEP_2)
	v_lshlrev_b32_e32 v9, v16, v9
	v_cndmask_b32_e32 v13, v17, v13, vcc_lo
	s_delay_alu instid0(VALU_DEP_2) | instskip(NEXT) | instid1(VALU_DEP_1)
	v_and_b32_e32 v9, 7, v9
	v_cndmask_b32_e32 v9, v11, v9, vcc_lo
	s_delay_alu instid0(VALU_DEP_3) | instskip(NEXT) | instid1(VALU_DEP_2)
	v_lshl_add_u32 v11, v13, 23, 0x3b800000
	v_lshlrev_b32_e32 v9, 20, v9
	s_delay_alu instid0(VALU_DEP_1) | instskip(NEXT) | instid1(VALU_DEP_1)
	v_or3_b32 v7, v7, v11, v9
	v_cvt_i32_f32_e32 v16, v7
.LBB63_3156:
	s_or_b32 exec_lo, exec_lo, s18
.LBB63_3157:
	s_mov_b32 s18, -1
.LBB63_3158:
	s_mov_b32 s19, 0
.LBB63_3159:
	s_delay_alu instid0(SALU_CYCLE_1)
	s_and_b32 vcc_lo, exec_lo, s19
	s_cbranch_vccz .LBB63_3190
; %bb.3160:
	s_cmp_gt_i32 s15, 22
	s_cbranch_scc0 .LBB63_3168
; %bb.3161:
	s_cmp_lt_i32 s15, 24
	s_cbranch_scc1 .LBB63_3171
; %bb.3162:
	s_cmp_gt_i32 s15, 24
	s_cbranch_scc0 .LBB63_3172
; %bb.3163:
	global_load_u8 v7, v[14:15], off
	s_mov_b32 s18, 0
	s_mov_b32 s17, exec_lo
	s_wait_loadcnt 0x0
	v_cmpx_lt_i16_e32 0x7f, v7
	s_xor_b32 s17, exec_lo, s17
	s_cbranch_execz .LBB63_3184
; %bb.3164:
	v_cmp_ne_u16_e32 vcc_lo, 0x80, v7
	s_and_b32 s18, vcc_lo, exec_lo
	s_and_not1_saveexec_b32 s17, s17
	s_cbranch_execnz .LBB63_3185
.LBB63_3165:
	s_or_b32 exec_lo, exec_lo, s17
	v_mov_b32_e32 v16, 0
	s_and_saveexec_b32 s17, s18
	s_cbranch_execz .LBB63_3167
.LBB63_3166:
	v_and_b32_e32 v9, 0xffff, v7
	s_delay_alu instid0(VALU_DEP_1) | instskip(SKIP_1) | instid1(VALU_DEP_2)
	v_dual_lshlrev_b32 v7, 24, v7 :: v_dual_bitop2_b32 v11, 3, v9 bitop3:0x40
	v_bfe_u32 v17, v9, 2, 5
	v_and_b32_e32 v7, 0x80000000, v7
	s_delay_alu instid0(VALU_DEP_3) | instskip(NEXT) | instid1(VALU_DEP_3)
	v_clz_i32_u32_e32 v13, v11
	v_cmp_eq_u32_e32 vcc_lo, 0, v17
	s_delay_alu instid0(VALU_DEP_2) | instskip(NEXT) | instid1(VALU_DEP_1)
	v_min_u32_e32 v13, 32, v13
	v_subrev_nc_u32_e32 v16, 29, v13
	v_sub_nc_u32_e32 v13, 30, v13
	s_delay_alu instid0(VALU_DEP_2) | instskip(NEXT) | instid1(VALU_DEP_2)
	v_lshlrev_b32_e32 v9, v16, v9
	v_cndmask_b32_e32 v13, v17, v13, vcc_lo
	s_delay_alu instid0(VALU_DEP_2) | instskip(NEXT) | instid1(VALU_DEP_1)
	v_and_b32_e32 v9, 3, v9
	v_cndmask_b32_e32 v9, v11, v9, vcc_lo
	s_delay_alu instid0(VALU_DEP_3) | instskip(NEXT) | instid1(VALU_DEP_2)
	v_lshl_add_u32 v11, v13, 23, 0x37800000
	v_lshlrev_b32_e32 v9, 21, v9
	s_delay_alu instid0(VALU_DEP_1) | instskip(NEXT) | instid1(VALU_DEP_1)
	v_or3_b32 v7, v7, v11, v9
	v_cvt_i32_f32_e32 v16, v7
.LBB63_3167:
	s_or_b32 exec_lo, exec_lo, s17
	s_mov_b32 s17, 0
	s_branch .LBB63_3173
.LBB63_3168:
	s_mov_b32 s17, -1
                                        ; implicit-def: $vgpr16
	s_branch .LBB63_3179
.LBB63_3169:
	s_and_not1_saveexec_b32 s18, s18
	s_cbranch_execz .LBB63_3154
.LBB63_3170:
	v_cmp_ne_u16_e32 vcc_lo, 0, v7
	s_and_not1_b32 s19, s19, exec_lo
	s_and_b32 s20, vcc_lo, exec_lo
	s_delay_alu instid0(SALU_CYCLE_1)
	s_or_b32 s19, s19, s20
	s_or_b32 exec_lo, exec_lo, s18
	v_mov_b32_e32 v16, 0
	s_and_saveexec_b32 s18, s19
	s_cbranch_execnz .LBB63_3155
	s_branch .LBB63_3156
.LBB63_3171:
	s_mov_b32 s17, -1
                                        ; implicit-def: $vgpr16
	s_branch .LBB63_3176
.LBB63_3172:
	s_mov_b32 s17, -1
                                        ; implicit-def: $vgpr16
.LBB63_3173:
	s_delay_alu instid0(SALU_CYCLE_1)
	s_and_b32 vcc_lo, exec_lo, s17
	s_cbranch_vccz .LBB63_3175
; %bb.3174:
	global_load_u8 v7, v[14:15], off
	s_wait_loadcnt 0x0
	v_lshlrev_b32_e32 v7, 24, v7
	s_delay_alu instid0(VALU_DEP_1) | instskip(NEXT) | instid1(VALU_DEP_1)
	v_and_b32_e32 v9, 0x7f000000, v7
	v_clz_i32_u32_e32 v11, v9
	v_cmp_ne_u32_e32 vcc_lo, 0, v9
	s_wait_xcnt 0x1
	v_add_nc_u32_e32 v16, 0x1000000, v9
	s_delay_alu instid0(VALU_DEP_3) | instskip(NEXT) | instid1(VALU_DEP_1)
	v_min_u32_e32 v11, 32, v11
	v_sub_nc_u32_e64 v11, v11, 4 clamp
	s_delay_alu instid0(VALU_DEP_1) | instskip(NEXT) | instid1(VALU_DEP_1)
	v_dual_lshlrev_b32 v13, v11, v9 :: v_dual_lshlrev_b32 v11, 23, v11
	v_lshrrev_b32_e32 v13, 4, v13
	s_delay_alu instid0(VALU_DEP_1) | instskip(NEXT) | instid1(VALU_DEP_1)
	v_dual_sub_nc_u32 v11, v13, v11 :: v_dual_ashrrev_i32 v13, 8, v16
	v_add_nc_u32_e32 v11, 0x3c000000, v11
	s_delay_alu instid0(VALU_DEP_1) | instskip(NEXT) | instid1(VALU_DEP_1)
	v_and_or_b32 v11, 0x7f800000, v13, v11
	v_cndmask_b32_e32 v9, 0, v11, vcc_lo
	s_delay_alu instid0(VALU_DEP_1) | instskip(NEXT) | instid1(VALU_DEP_1)
	v_and_or_b32 v7, 0x80000000, v7, v9
	v_cvt_i32_f32_e32 v16, v7
.LBB63_3175:
	s_mov_b32 s17, 0
.LBB63_3176:
	s_delay_alu instid0(SALU_CYCLE_1)
	s_and_not1_b32 vcc_lo, exec_lo, s17
	s_cbranch_vccnz .LBB63_3178
; %bb.3177:
	global_load_u8 v7, v[14:15], off
	s_wait_loadcnt 0x0
	v_lshlrev_b32_e32 v9, 25, v7
	v_lshlrev_b16 v7, 8, v7
	s_delay_alu instid0(VALU_DEP_1) | instskip(SKIP_1) | instid1(VALU_DEP_2)
	v_and_or_b32 v13, 0x7f00, v7, 0.5
	v_bfe_i32 v7, v7, 0, 16
	v_add_f32_e32 v13, -0.5, v13
	v_lshrrev_b32_e32 v11, 4, v9
	v_cmp_gt_u32_e32 vcc_lo, 0x8000000, v9
	s_delay_alu instid0(VALU_DEP_2) | instskip(NEXT) | instid1(VALU_DEP_1)
	v_or_b32_e32 v11, 0x70000000, v11
	v_mul_f32_e32 v11, 0x7800000, v11
	s_delay_alu instid0(VALU_DEP_1) | instskip(NEXT) | instid1(VALU_DEP_1)
	v_cndmask_b32_e32 v9, v11, v13, vcc_lo
	v_and_or_b32 v7, 0x80000000, v7, v9
	s_wait_xcnt 0x1
	s_delay_alu instid0(VALU_DEP_1)
	v_cvt_i32_f32_e32 v16, v7
.LBB63_3178:
	s_mov_b32 s17, 0
	s_mov_b32 s18, -1
.LBB63_3179:
	s_and_not1_b32 vcc_lo, exec_lo, s17
	s_mov_b32 s17, 0
	s_cbranch_vccnz .LBB63_3190
; %bb.3180:
	s_cmp_gt_i32 s15, 14
	s_cbranch_scc0 .LBB63_3183
; %bb.3181:
	s_cmp_eq_u32 s15, 15
	s_cbranch_scc0 .LBB63_3186
; %bb.3182:
	global_load_u16 v7, v[14:15], off
	s_mov_b32 s16, 0
	s_mov_b32 s18, -1
	s_wait_loadcnt 0x0
	v_lshlrev_b32_e32 v7, 16, v7
	s_wait_xcnt 0x1
	s_delay_alu instid0(VALU_DEP_1)
	v_cvt_i32_f32_e32 v16, v7
	s_branch .LBB63_3188
.LBB63_3183:
	s_mov_b32 s17, -1
	s_branch .LBB63_3187
.LBB63_3184:
	s_and_not1_saveexec_b32 s17, s17
	s_cbranch_execz .LBB63_3165
.LBB63_3185:
	v_cmp_ne_u16_e32 vcc_lo, 0, v7
	s_and_not1_b32 s18, s18, exec_lo
	s_and_b32 s19, vcc_lo, exec_lo
	s_delay_alu instid0(SALU_CYCLE_1)
	s_or_b32 s18, s18, s19
	s_or_b32 exec_lo, exec_lo, s17
	v_mov_b32_e32 v16, 0
	s_and_saveexec_b32 s17, s18
	s_cbranch_execnz .LBB63_3166
	s_branch .LBB63_3167
.LBB63_3186:
	s_mov_b32 s16, -1
.LBB63_3187:
                                        ; implicit-def: $vgpr16
.LBB63_3188:
	s_and_b32 vcc_lo, exec_lo, s17
	s_mov_b32 s17, 0
	s_cbranch_vccz .LBB63_3190
; %bb.3189:
	s_cmp_lg_u32 s15, 11
	s_mov_b32 s17, -1
	s_cselect_b32 s16, -1, 0
.LBB63_3190:
	s_delay_alu instid0(SALU_CYCLE_1)
	s_and_b32 vcc_lo, exec_lo, s16
	s_cbranch_vccnz .LBB63_3255
; %bb.3191:
	s_and_not1_b32 vcc_lo, exec_lo, s17
	s_cbranch_vccnz .LBB63_3193
.LBB63_3192:
	global_load_u8 v7, v[14:15], off
	s_mov_b32 s18, -1
	s_wait_loadcnt 0x0
	v_cmp_ne_u16_e32 vcc_lo, 0, v7
	s_wait_xcnt 0x1
	v_cndmask_b32_e64 v16, 0, 1, vcc_lo
.LBB63_3193:
	s_mov_b32 s16, 0
.LBB63_3194:
	s_delay_alu instid0(SALU_CYCLE_1)
	s_and_b32 vcc_lo, exec_lo, s16
	s_cbranch_vccz .LBB63_3243
; %bb.3195:
	s_cmp_lt_i32 s15, 5
	s_cbranch_scc1 .LBB63_3200
; %bb.3196:
	s_cmp_lt_i32 s15, 8
	s_cbranch_scc1 .LBB63_3201
	;; [unrolled: 3-line block ×3, first 2 shown]
; %bb.3198:
	s_cmp_gt_i32 s15, 9
	s_cbranch_scc0 .LBB63_3203
; %bb.3199:
	s_wait_loadcnt 0x0
	global_load_b64 v[16:17], v[14:15], off
	s_mov_b32 s16, 0
	s_wait_loadcnt 0x0
	v_cvt_i32_f64_e32 v16, v[16:17]
	s_branch .LBB63_3204
.LBB63_3200:
	s_mov_b32 s16, -1
                                        ; implicit-def: $vgpr16
	s_branch .LBB63_3222
.LBB63_3201:
	s_mov_b32 s16, -1
                                        ; implicit-def: $vgpr16
	s_branch .LBB63_3210
.LBB63_3202:
	s_mov_b32 s16, -1
                                        ; implicit-def: $vgpr16
	s_branch .LBB63_3207
.LBB63_3203:
	s_mov_b32 s16, -1
                                        ; implicit-def: $vgpr16
.LBB63_3204:
	s_delay_alu instid0(SALU_CYCLE_1)
	s_and_not1_b32 vcc_lo, exec_lo, s16
	s_cbranch_vccnz .LBB63_3206
; %bb.3205:
	global_load_b32 v7, v[14:15], off
	s_wait_loadcnt 0x0
	s_wait_xcnt 0x1
	v_cvt_i32_f32_e32 v16, v7
.LBB63_3206:
	s_mov_b32 s16, 0
.LBB63_3207:
	s_delay_alu instid0(SALU_CYCLE_1)
	s_and_not1_b32 vcc_lo, exec_lo, s16
	s_cbranch_vccnz .LBB63_3209
; %bb.3208:
	global_load_b32 v7, v[14:15], off
	s_wait_loadcnt 0x0
	v_cvt_f32_f16_e32 v7, v7
	s_wait_xcnt 0x1
	s_delay_alu instid0(VALU_DEP_1)
	v_cvt_i32_f32_e32 v16, v7
.LBB63_3209:
	s_mov_b32 s16, 0
.LBB63_3210:
	s_delay_alu instid0(SALU_CYCLE_1)
	s_and_not1_b32 vcc_lo, exec_lo, s16
	s_cbranch_vccnz .LBB63_3221
; %bb.3211:
	s_cmp_lt_i32 s15, 6
	s_cbranch_scc1 .LBB63_3214
; %bb.3212:
	s_cmp_gt_i32 s15, 6
	s_cbranch_scc0 .LBB63_3215
; %bb.3213:
	s_wait_loadcnt 0x0
	global_load_b64 v[16:17], v[14:15], off
	s_mov_b32 s16, 0
	s_wait_loadcnt 0x0
	v_cvt_i32_f64_e32 v16, v[16:17]
	s_branch .LBB63_3216
.LBB63_3214:
	s_mov_b32 s16, -1
                                        ; implicit-def: $vgpr16
	s_branch .LBB63_3219
.LBB63_3215:
	s_mov_b32 s16, -1
                                        ; implicit-def: $vgpr16
.LBB63_3216:
	s_delay_alu instid0(SALU_CYCLE_1)
	s_and_not1_b32 vcc_lo, exec_lo, s16
	s_cbranch_vccnz .LBB63_3218
; %bb.3217:
	global_load_b32 v7, v[14:15], off
	s_wait_loadcnt 0x0
	s_wait_xcnt 0x1
	v_cvt_i32_f32_e32 v16, v7
.LBB63_3218:
	s_mov_b32 s16, 0
.LBB63_3219:
	s_delay_alu instid0(SALU_CYCLE_1)
	s_and_not1_b32 vcc_lo, exec_lo, s16
	s_cbranch_vccnz .LBB63_3221
; %bb.3220:
	global_load_u16 v7, v[14:15], off
	s_wait_loadcnt 0x0
	v_cvt_f32_f16_e32 v7, v7
	s_wait_xcnt 0x1
	s_delay_alu instid0(VALU_DEP_1)
	v_cvt_i32_f32_e32 v16, v7
.LBB63_3221:
	s_mov_b32 s16, 0
.LBB63_3222:
	s_delay_alu instid0(SALU_CYCLE_1)
	s_and_not1_b32 vcc_lo, exec_lo, s16
	s_cbranch_vccnz .LBB63_3242
; %bb.3223:
	s_cmp_lt_i32 s15, 2
	s_cbranch_scc1 .LBB63_3227
; %bb.3224:
	s_cmp_lt_i32 s15, 3
	s_cbranch_scc1 .LBB63_3228
; %bb.3225:
	s_cmp_gt_i32 s15, 3
	s_cbranch_scc0 .LBB63_3229
; %bb.3226:
	s_wait_loadcnt 0x0
	global_load_b32 v16, v[14:15], off
	s_mov_b32 s16, 0
	s_branch .LBB63_3230
.LBB63_3227:
	s_mov_b32 s16, -1
                                        ; implicit-def: $vgpr16
	s_branch .LBB63_3236
.LBB63_3228:
	s_mov_b32 s16, -1
                                        ; implicit-def: $vgpr16
	s_branch .LBB63_3233
.LBB63_3229:
	s_mov_b32 s16, -1
                                        ; implicit-def: $vgpr16
.LBB63_3230:
	s_delay_alu instid0(SALU_CYCLE_1)
	s_and_not1_b32 vcc_lo, exec_lo, s16
	s_cbranch_vccnz .LBB63_3232
; %bb.3231:
	s_wait_loadcnt 0x0
	global_load_b32 v16, v[14:15], off
.LBB63_3232:
	s_mov_b32 s16, 0
.LBB63_3233:
	s_delay_alu instid0(SALU_CYCLE_1)
	s_and_not1_b32 vcc_lo, exec_lo, s16
	s_cbranch_vccnz .LBB63_3235
; %bb.3234:
	s_wait_loadcnt 0x0
	global_load_i16 v16, v[14:15], off
.LBB63_3235:
	s_mov_b32 s16, 0
.LBB63_3236:
	s_delay_alu instid0(SALU_CYCLE_1)
	s_and_not1_b32 vcc_lo, exec_lo, s16
	s_cbranch_vccnz .LBB63_3242
; %bb.3237:
	s_cmp_gt_i32 s15, 0
	s_mov_b32 s16, 0
	s_cbranch_scc0 .LBB63_3239
; %bb.3238:
	s_wait_loadcnt 0x0
	global_load_i8 v16, v[14:15], off
	s_branch .LBB63_3240
.LBB63_3239:
	s_mov_b32 s16, -1
                                        ; implicit-def: $vgpr16
.LBB63_3240:
	s_delay_alu instid0(SALU_CYCLE_1)
	s_and_not1_b32 vcc_lo, exec_lo, s16
	s_cbranch_vccnz .LBB63_3242
; %bb.3241:
	s_wait_loadcnt 0x0
	global_load_u8 v16, v[14:15], off
.LBB63_3242:
	s_mov_b32 s18, -1
.LBB63_3243:
	s_delay_alu instid0(SALU_CYCLE_1)
	s_and_not1_b32 vcc_lo, exec_lo, s18
	s_cbranch_vccnz .LBB63_4058
; %bb.3244:
	v_mov_b32_e32 v13, 0
	s_cmp_lt_i32 s10, 11
	s_delay_alu instid0(VALU_DEP_1)
	v_add_nc_u64_e32 v[12:13], s[6:7], v[12:13]
	s_cbranch_scc1 .LBB63_3251
; %bb.3245:
	s_cmp_gt_i32 s10, 25
	s_mov_b32 s7, 0
	s_cbranch_scc0 .LBB63_3252
; %bb.3246:
	s_cmp_gt_i32 s10, 28
	s_cbranch_scc0 .LBB63_3253
; %bb.3247:
	s_cmp_gt_i32 s10, 43
	;; [unrolled: 3-line block ×3, first 2 shown]
	s_cbranch_scc0 .LBB63_3256
; %bb.3249:
	s_cmp_eq_u32 s10, 46
	s_mov_b32 s17, 0
	s_cbranch_scc0 .LBB63_3257
; %bb.3250:
	global_load_b32 v7, v[12:13], off
	s_mov_b32 s6, 0
	s_mov_b32 s16, -1
	s_wait_loadcnt 0x0
	v_lshlrev_b32_e32 v7, 16, v7
	s_wait_xcnt 0x1
	s_delay_alu instid0(VALU_DEP_1)
	v_cvt_i32_f32_e32 v14, v7
	s_branch .LBB63_3259
.LBB63_3251:
	s_mov_b32 s6, -1
	s_mov_b32 s16, 0
                                        ; implicit-def: $vgpr14
	s_branch .LBB63_3321
.LBB63_3252:
	s_mov_b32 s17, -1
	s_mov_b32 s16, 0
	s_mov_b32 s6, 0
                                        ; implicit-def: $vgpr14
	s_branch .LBB63_3286
.LBB63_3253:
	s_mov_b32 s17, -1
	s_mov_b32 s16, 0
	s_mov_b32 s6, 0
                                        ; implicit-def: $vgpr14
	s_branch .LBB63_3269
.LBB63_3254:
	s_mov_b32 s17, -1
	s_mov_b32 s16, 0
	s_mov_b32 s6, 0
                                        ; implicit-def: $vgpr14
	s_branch .LBB63_3264
.LBB63_3255:
	s_or_b32 s13, s13, exec_lo
	s_trap 2
	s_cbranch_execz .LBB63_3192
	s_branch .LBB63_3193
.LBB63_3256:
	s_mov_b32 s17, -1
	s_mov_b32 s16, 0
	s_mov_b32 s6, 0
	s_branch .LBB63_3258
.LBB63_3257:
	s_mov_b32 s6, -1
	s_mov_b32 s16, 0
.LBB63_3258:
                                        ; implicit-def: $vgpr14
.LBB63_3259:
	s_and_b32 vcc_lo, exec_lo, s17
	s_cbranch_vccz .LBB63_3263
; %bb.3260:
	s_cmp_eq_u32 s10, 44
	s_cbranch_scc0 .LBB63_3262
; %bb.3261:
	global_load_u8 v7, v[12:13], off
	s_mov_b32 s6, 0
	s_mov_b32 s16, -1
	s_wait_loadcnt 0x0
	v_lshlrev_b32_e32 v9, 23, v7
	v_cmp_ne_u32_e32 vcc_lo, 0, v7
	s_delay_alu instid0(VALU_DEP_2) | instskip(SKIP_1) | instid1(VALU_DEP_1)
	v_cvt_i32_f32_e32 v9, v9
	s_wait_xcnt 0x1
	v_cndmask_b32_e32 v14, 0, v9, vcc_lo
	s_branch .LBB63_3263
.LBB63_3262:
	s_mov_b32 s6, -1
                                        ; implicit-def: $vgpr14
.LBB63_3263:
	s_mov_b32 s17, 0
.LBB63_3264:
	s_delay_alu instid0(SALU_CYCLE_1)
	s_and_b32 vcc_lo, exec_lo, s17
	s_cbranch_vccz .LBB63_3268
; %bb.3265:
	s_cmp_eq_u32 s10, 29
	s_cbranch_scc0 .LBB63_3267
; %bb.3266:
	global_load_b32 v14, v[12:13], off
	s_mov_b32 s6, 0
	s_mov_b32 s16, -1
	s_branch .LBB63_3268
.LBB63_3267:
	s_mov_b32 s6, -1
                                        ; implicit-def: $vgpr14
.LBB63_3268:
	s_mov_b32 s17, 0
.LBB63_3269:
	s_delay_alu instid0(SALU_CYCLE_1)
	s_and_b32 vcc_lo, exec_lo, s17
	s_cbranch_vccz .LBB63_3285
; %bb.3270:
	s_cmp_lt_i32 s10, 27
	s_cbranch_scc1 .LBB63_3273
; %bb.3271:
	s_cmp_gt_i32 s10, 27
	s_cbranch_scc0 .LBB63_3274
; %bb.3272:
	s_wait_loadcnt 0x0
	global_load_b32 v14, v[12:13], off
	s_mov_b32 s16, 0
	s_branch .LBB63_3275
.LBB63_3273:
	s_mov_b32 s16, -1
                                        ; implicit-def: $vgpr14
	s_branch .LBB63_3278
.LBB63_3274:
	s_mov_b32 s16, -1
                                        ; implicit-def: $vgpr14
.LBB63_3275:
	s_delay_alu instid0(SALU_CYCLE_1)
	s_and_not1_b32 vcc_lo, exec_lo, s16
	s_cbranch_vccnz .LBB63_3277
; %bb.3276:
	s_wait_loadcnt 0x0
	global_load_u16 v14, v[12:13], off
.LBB63_3277:
	s_mov_b32 s16, 0
.LBB63_3278:
	s_delay_alu instid0(SALU_CYCLE_1)
	s_and_not1_b32 vcc_lo, exec_lo, s16
	s_cbranch_vccnz .LBB63_3284
; %bb.3279:
	global_load_u8 v7, v[12:13], off
	s_mov_b32 s17, 0
	s_mov_b32 s16, exec_lo
	s_wait_loadcnt 0x0
	v_cmpx_lt_i16_e32 0x7f, v7
	s_xor_b32 s16, exec_lo, s16
	s_cbranch_execz .LBB63_3296
; %bb.3280:
	v_cmp_ne_u16_e32 vcc_lo, 0x80, v7
	s_and_b32 s17, vcc_lo, exec_lo
	s_and_not1_saveexec_b32 s16, s16
	s_cbranch_execnz .LBB63_3297
.LBB63_3281:
	s_or_b32 exec_lo, exec_lo, s16
	v_mov_b32_e32 v14, 0
	s_and_saveexec_b32 s16, s17
	s_cbranch_execz .LBB63_3283
.LBB63_3282:
	v_and_b32_e32 v9, 0xffff, v7
	s_delay_alu instid0(VALU_DEP_1) | instskip(SKIP_1) | instid1(VALU_DEP_2)
	v_and_b32_e32 v11, 7, v9
	v_bfe_u32 v17, v9, 3, 4
	v_clz_i32_u32_e32 v14, v11
	s_delay_alu instid0(VALU_DEP_2) | instskip(NEXT) | instid1(VALU_DEP_2)
	v_cmp_eq_u32_e32 vcc_lo, 0, v17
	v_min_u32_e32 v14, 32, v14
	s_delay_alu instid0(VALU_DEP_1) | instskip(NEXT) | instid1(VALU_DEP_1)
	v_subrev_nc_u32_e32 v15, 28, v14
	v_dual_lshlrev_b32 v9, v15, v9 :: v_dual_sub_nc_u32 v14, 29, v14
	s_delay_alu instid0(VALU_DEP_1) | instskip(NEXT) | instid1(VALU_DEP_1)
	v_dual_lshlrev_b32 v7, 24, v7 :: v_dual_bitop2_b32 v9, 7, v9 bitop3:0x40
	v_dual_cndmask_b32 v14, v17, v14 :: v_dual_cndmask_b32 v9, v11, v9
	s_delay_alu instid0(VALU_DEP_2) | instskip(NEXT) | instid1(VALU_DEP_2)
	v_and_b32_e32 v7, 0x80000000, v7
	v_lshl_add_u32 v11, v14, 23, 0x3b800000
	s_delay_alu instid0(VALU_DEP_3) | instskip(NEXT) | instid1(VALU_DEP_1)
	v_lshlrev_b32_e32 v9, 20, v9
	v_or3_b32 v7, v7, v11, v9
	s_delay_alu instid0(VALU_DEP_1)
	v_cvt_i32_f32_e32 v14, v7
.LBB63_3283:
	s_or_b32 exec_lo, exec_lo, s16
.LBB63_3284:
	s_mov_b32 s16, -1
.LBB63_3285:
	s_mov_b32 s17, 0
.LBB63_3286:
	s_delay_alu instid0(SALU_CYCLE_1)
	s_and_b32 vcc_lo, exec_lo, s17
	s_cbranch_vccz .LBB63_3317
; %bb.3287:
	s_cmp_gt_i32 s10, 22
	s_cbranch_scc0 .LBB63_3295
; %bb.3288:
	s_cmp_lt_i32 s10, 24
	s_cbranch_scc1 .LBB63_3298
; %bb.3289:
	s_cmp_gt_i32 s10, 24
	s_cbranch_scc0 .LBB63_3299
; %bb.3290:
	global_load_u8 v7, v[12:13], off
	s_mov_b32 s16, 0
	s_mov_b32 s7, exec_lo
	s_wait_loadcnt 0x0
	v_cmpx_lt_i16_e32 0x7f, v7
	s_xor_b32 s7, exec_lo, s7
	s_cbranch_execz .LBB63_3311
; %bb.3291:
	v_cmp_ne_u16_e32 vcc_lo, 0x80, v7
	s_and_b32 s16, vcc_lo, exec_lo
	s_and_not1_saveexec_b32 s7, s7
	s_cbranch_execnz .LBB63_3312
.LBB63_3292:
	s_or_b32 exec_lo, exec_lo, s7
	v_mov_b32_e32 v14, 0
	s_and_saveexec_b32 s7, s16
	s_cbranch_execz .LBB63_3294
.LBB63_3293:
	v_and_b32_e32 v9, 0xffff, v7
	s_delay_alu instid0(VALU_DEP_1) | instskip(SKIP_1) | instid1(VALU_DEP_2)
	v_and_b32_e32 v11, 3, v9
	v_bfe_u32 v17, v9, 2, 5
	v_clz_i32_u32_e32 v14, v11
	s_delay_alu instid0(VALU_DEP_2) | instskip(NEXT) | instid1(VALU_DEP_2)
	v_cmp_eq_u32_e32 vcc_lo, 0, v17
	v_min_u32_e32 v14, 32, v14
	s_delay_alu instid0(VALU_DEP_1) | instskip(NEXT) | instid1(VALU_DEP_1)
	v_subrev_nc_u32_e32 v15, 29, v14
	v_dual_lshlrev_b32 v9, v15, v9 :: v_dual_sub_nc_u32 v14, 30, v14
	s_delay_alu instid0(VALU_DEP_1) | instskip(NEXT) | instid1(VALU_DEP_1)
	v_dual_lshlrev_b32 v7, 24, v7 :: v_dual_bitop2_b32 v9, 3, v9 bitop3:0x40
	v_dual_cndmask_b32 v14, v17, v14 :: v_dual_cndmask_b32 v9, v11, v9
	s_delay_alu instid0(VALU_DEP_2) | instskip(NEXT) | instid1(VALU_DEP_2)
	v_and_b32_e32 v7, 0x80000000, v7
	v_lshl_add_u32 v11, v14, 23, 0x37800000
	s_delay_alu instid0(VALU_DEP_3) | instskip(NEXT) | instid1(VALU_DEP_1)
	v_lshlrev_b32_e32 v9, 21, v9
	v_or3_b32 v7, v7, v11, v9
	s_delay_alu instid0(VALU_DEP_1)
	v_cvt_i32_f32_e32 v14, v7
.LBB63_3294:
	s_or_b32 exec_lo, exec_lo, s7
	s_mov_b32 s7, 0
	s_branch .LBB63_3300
.LBB63_3295:
	s_mov_b32 s7, -1
                                        ; implicit-def: $vgpr14
	s_branch .LBB63_3306
.LBB63_3296:
	s_and_not1_saveexec_b32 s16, s16
	s_cbranch_execz .LBB63_3281
.LBB63_3297:
	v_cmp_ne_u16_e32 vcc_lo, 0, v7
	s_and_not1_b32 s17, s17, exec_lo
	s_and_b32 s18, vcc_lo, exec_lo
	s_delay_alu instid0(SALU_CYCLE_1)
	s_or_b32 s17, s17, s18
	s_or_b32 exec_lo, exec_lo, s16
	v_mov_b32_e32 v14, 0
	s_and_saveexec_b32 s16, s17
	s_cbranch_execnz .LBB63_3282
	s_branch .LBB63_3283
.LBB63_3298:
	s_mov_b32 s7, -1
                                        ; implicit-def: $vgpr14
	s_branch .LBB63_3303
.LBB63_3299:
	s_mov_b32 s7, -1
                                        ; implicit-def: $vgpr14
.LBB63_3300:
	s_delay_alu instid0(SALU_CYCLE_1)
	s_and_b32 vcc_lo, exec_lo, s7
	s_cbranch_vccz .LBB63_3302
; %bb.3301:
	global_load_u8 v7, v[12:13], off
	s_wait_loadcnt 0x0
	v_lshlrev_b32_e32 v7, 24, v7
	s_delay_alu instid0(VALU_DEP_1) | instskip(NEXT) | instid1(VALU_DEP_1)
	v_and_b32_e32 v9, 0x7f000000, v7
	v_clz_i32_u32_e32 v11, v9
	s_wait_xcnt 0x1
	v_add_nc_u32_e32 v15, 0x1000000, v9
	v_cmp_ne_u32_e32 vcc_lo, 0, v9
	s_delay_alu instid0(VALU_DEP_3) | instskip(NEXT) | instid1(VALU_DEP_1)
	v_min_u32_e32 v11, 32, v11
	v_sub_nc_u32_e64 v11, v11, 4 clamp
	s_delay_alu instid0(VALU_DEP_1) | instskip(NEXT) | instid1(VALU_DEP_1)
	v_dual_lshlrev_b32 v14, v11, v9 :: v_dual_lshlrev_b32 v11, 23, v11
	v_lshrrev_b32_e32 v14, 4, v14
	s_delay_alu instid0(VALU_DEP_1) | instskip(SKIP_1) | instid1(VALU_DEP_2)
	v_sub_nc_u32_e32 v11, v14, v11
	v_ashrrev_i32_e32 v14, 8, v15
	v_add_nc_u32_e32 v11, 0x3c000000, v11
	s_delay_alu instid0(VALU_DEP_1) | instskip(NEXT) | instid1(VALU_DEP_1)
	v_and_or_b32 v11, 0x7f800000, v14, v11
	v_cndmask_b32_e32 v9, 0, v11, vcc_lo
	s_delay_alu instid0(VALU_DEP_1) | instskip(NEXT) | instid1(VALU_DEP_1)
	v_and_or_b32 v7, 0x80000000, v7, v9
	v_cvt_i32_f32_e32 v14, v7
.LBB63_3302:
	s_mov_b32 s7, 0
.LBB63_3303:
	s_delay_alu instid0(SALU_CYCLE_1)
	s_and_not1_b32 vcc_lo, exec_lo, s7
	s_cbranch_vccnz .LBB63_3305
; %bb.3304:
	global_load_u8 v7, v[12:13], off
	s_wait_loadcnt 0x0
	v_lshlrev_b32_e32 v9, 25, v7
	v_lshlrev_b16 v7, 8, v7
	s_wait_xcnt 0x1
	s_delay_alu instid0(VALU_DEP_1) | instskip(SKIP_1) | instid1(VALU_DEP_2)
	v_and_or_b32 v14, 0x7f00, v7, 0.5
	v_bfe_i32 v7, v7, 0, 16
	v_dual_add_f32 v14, -0.5, v14 :: v_dual_lshrrev_b32 v11, 4, v9
	v_cmp_gt_u32_e32 vcc_lo, 0x8000000, v9
	s_delay_alu instid0(VALU_DEP_2) | instskip(NEXT) | instid1(VALU_DEP_1)
	v_or_b32_e32 v11, 0x70000000, v11
	v_mul_f32_e32 v11, 0x7800000, v11
	s_delay_alu instid0(VALU_DEP_1) | instskip(NEXT) | instid1(VALU_DEP_1)
	v_cndmask_b32_e32 v9, v11, v14, vcc_lo
	v_and_or_b32 v7, 0x80000000, v7, v9
	s_delay_alu instid0(VALU_DEP_1)
	v_cvt_i32_f32_e32 v14, v7
.LBB63_3305:
	s_mov_b32 s7, 0
	s_mov_b32 s16, -1
.LBB63_3306:
	s_and_not1_b32 vcc_lo, exec_lo, s7
	s_mov_b32 s7, 0
	s_cbranch_vccnz .LBB63_3317
; %bb.3307:
	s_cmp_gt_i32 s10, 14
	s_cbranch_scc0 .LBB63_3310
; %bb.3308:
	s_cmp_eq_u32 s10, 15
	s_cbranch_scc0 .LBB63_3313
; %bb.3309:
	global_load_u16 v7, v[12:13], off
	s_mov_b32 s6, 0
	s_mov_b32 s16, -1
	s_wait_loadcnt 0x0
	v_lshlrev_b32_e32 v7, 16, v7
	s_wait_xcnt 0x1
	s_delay_alu instid0(VALU_DEP_1)
	v_cvt_i32_f32_e32 v14, v7
	s_branch .LBB63_3315
.LBB63_3310:
	s_mov_b32 s7, -1
	s_branch .LBB63_3314
.LBB63_3311:
	s_and_not1_saveexec_b32 s7, s7
	s_cbranch_execz .LBB63_3292
.LBB63_3312:
	v_cmp_ne_u16_e32 vcc_lo, 0, v7
	s_and_not1_b32 s16, s16, exec_lo
	s_and_b32 s17, vcc_lo, exec_lo
	s_delay_alu instid0(SALU_CYCLE_1)
	s_or_b32 s16, s16, s17
	s_or_b32 exec_lo, exec_lo, s7
	v_mov_b32_e32 v14, 0
	s_and_saveexec_b32 s7, s16
	s_cbranch_execnz .LBB63_3293
	s_branch .LBB63_3294
.LBB63_3313:
	s_mov_b32 s6, -1
.LBB63_3314:
                                        ; implicit-def: $vgpr14
.LBB63_3315:
	s_and_b32 vcc_lo, exec_lo, s7
	s_mov_b32 s7, 0
	s_cbranch_vccz .LBB63_3317
; %bb.3316:
	s_cmp_lg_u32 s10, 11
	s_mov_b32 s7, -1
	s_cselect_b32 s6, -1, 0
.LBB63_3317:
	s_delay_alu instid0(SALU_CYCLE_1)
	s_and_b32 vcc_lo, exec_lo, s6
	s_cbranch_vccnz .LBB63_3382
; %bb.3318:
	s_and_not1_b32 vcc_lo, exec_lo, s7
	s_cbranch_vccnz .LBB63_3320
.LBB63_3319:
	global_load_u8 v7, v[12:13], off
	s_mov_b32 s16, -1
	s_wait_loadcnt 0x0
	v_cmp_ne_u16_e32 vcc_lo, 0, v7
	s_wait_xcnt 0x1
	v_cndmask_b32_e64 v14, 0, 1, vcc_lo
.LBB63_3320:
	s_mov_b32 s6, 0
.LBB63_3321:
	s_delay_alu instid0(SALU_CYCLE_1)
	s_and_b32 vcc_lo, exec_lo, s6
	s_cbranch_vccz .LBB63_3370
; %bb.3322:
	s_cmp_lt_i32 s10, 5
	s_cbranch_scc1 .LBB63_3327
; %bb.3323:
	s_cmp_lt_i32 s10, 8
	s_cbranch_scc1 .LBB63_3328
	;; [unrolled: 3-line block ×3, first 2 shown]
; %bb.3325:
	s_cmp_gt_i32 s10, 9
	s_cbranch_scc0 .LBB63_3330
; %bb.3326:
	s_wait_loadcnt 0x0
	global_load_b64 v[14:15], v[12:13], off
	s_mov_b32 s6, 0
	s_wait_loadcnt 0x0
	v_cvt_i32_f64_e32 v14, v[14:15]
	s_branch .LBB63_3331
.LBB63_3327:
	s_mov_b32 s6, -1
                                        ; implicit-def: $vgpr14
	s_branch .LBB63_3349
.LBB63_3328:
	s_mov_b32 s6, -1
                                        ; implicit-def: $vgpr14
	s_branch .LBB63_3337
.LBB63_3329:
	s_mov_b32 s6, -1
                                        ; implicit-def: $vgpr14
	s_branch .LBB63_3334
.LBB63_3330:
	s_mov_b32 s6, -1
                                        ; implicit-def: $vgpr14
.LBB63_3331:
	s_delay_alu instid0(SALU_CYCLE_1)
	s_and_not1_b32 vcc_lo, exec_lo, s6
	s_cbranch_vccnz .LBB63_3333
; %bb.3332:
	global_load_b32 v7, v[12:13], off
	s_wait_loadcnt 0x0
	s_wait_xcnt 0x1
	v_cvt_i32_f32_e32 v14, v7
.LBB63_3333:
	s_mov_b32 s6, 0
.LBB63_3334:
	s_delay_alu instid0(SALU_CYCLE_1)
	s_and_not1_b32 vcc_lo, exec_lo, s6
	s_cbranch_vccnz .LBB63_3336
; %bb.3335:
	global_load_b32 v7, v[12:13], off
	s_wait_loadcnt 0x0
	v_cvt_f32_f16_e32 v7, v7
	s_wait_xcnt 0x1
	s_delay_alu instid0(VALU_DEP_1)
	v_cvt_i32_f32_e32 v14, v7
.LBB63_3336:
	s_mov_b32 s6, 0
.LBB63_3337:
	s_delay_alu instid0(SALU_CYCLE_1)
	s_and_not1_b32 vcc_lo, exec_lo, s6
	s_cbranch_vccnz .LBB63_3348
; %bb.3338:
	s_cmp_lt_i32 s10, 6
	s_cbranch_scc1 .LBB63_3341
; %bb.3339:
	s_cmp_gt_i32 s10, 6
	s_cbranch_scc0 .LBB63_3342
; %bb.3340:
	s_wait_loadcnt 0x0
	global_load_b64 v[14:15], v[12:13], off
	s_mov_b32 s6, 0
	s_wait_loadcnt 0x0
	v_cvt_i32_f64_e32 v14, v[14:15]
	s_branch .LBB63_3343
.LBB63_3341:
	s_mov_b32 s6, -1
                                        ; implicit-def: $vgpr14
	s_branch .LBB63_3346
.LBB63_3342:
	s_mov_b32 s6, -1
                                        ; implicit-def: $vgpr14
.LBB63_3343:
	s_delay_alu instid0(SALU_CYCLE_1)
	s_and_not1_b32 vcc_lo, exec_lo, s6
	s_cbranch_vccnz .LBB63_3345
; %bb.3344:
	global_load_b32 v7, v[12:13], off
	s_wait_loadcnt 0x0
	s_wait_xcnt 0x1
	v_cvt_i32_f32_e32 v14, v7
.LBB63_3345:
	s_mov_b32 s6, 0
.LBB63_3346:
	s_delay_alu instid0(SALU_CYCLE_1)
	s_and_not1_b32 vcc_lo, exec_lo, s6
	s_cbranch_vccnz .LBB63_3348
; %bb.3347:
	global_load_u16 v7, v[12:13], off
	s_wait_loadcnt 0x0
	v_cvt_f32_f16_e32 v7, v7
	s_wait_xcnt 0x1
	s_delay_alu instid0(VALU_DEP_1)
	v_cvt_i32_f32_e32 v14, v7
.LBB63_3348:
	s_mov_b32 s6, 0
.LBB63_3349:
	s_delay_alu instid0(SALU_CYCLE_1)
	s_and_not1_b32 vcc_lo, exec_lo, s6
	s_cbranch_vccnz .LBB63_3369
; %bb.3350:
	s_cmp_lt_i32 s10, 2
	s_cbranch_scc1 .LBB63_3354
; %bb.3351:
	s_cmp_lt_i32 s10, 3
	s_cbranch_scc1 .LBB63_3355
; %bb.3352:
	s_cmp_gt_i32 s10, 3
	s_cbranch_scc0 .LBB63_3356
; %bb.3353:
	s_wait_loadcnt 0x0
	global_load_b32 v14, v[12:13], off
	s_mov_b32 s6, 0
	s_branch .LBB63_3357
.LBB63_3354:
	s_mov_b32 s6, -1
                                        ; implicit-def: $vgpr14
	s_branch .LBB63_3363
.LBB63_3355:
	s_mov_b32 s6, -1
                                        ; implicit-def: $vgpr14
	s_branch .LBB63_3360
.LBB63_3356:
	s_mov_b32 s6, -1
                                        ; implicit-def: $vgpr14
.LBB63_3357:
	s_delay_alu instid0(SALU_CYCLE_1)
	s_and_not1_b32 vcc_lo, exec_lo, s6
	s_cbranch_vccnz .LBB63_3359
; %bb.3358:
	s_wait_loadcnt 0x0
	global_load_b32 v14, v[12:13], off
.LBB63_3359:
	s_mov_b32 s6, 0
.LBB63_3360:
	s_delay_alu instid0(SALU_CYCLE_1)
	s_and_not1_b32 vcc_lo, exec_lo, s6
	s_cbranch_vccnz .LBB63_3362
; %bb.3361:
	s_wait_loadcnt 0x0
	global_load_i16 v14, v[12:13], off
.LBB63_3362:
	s_mov_b32 s6, 0
.LBB63_3363:
	s_delay_alu instid0(SALU_CYCLE_1)
	s_and_not1_b32 vcc_lo, exec_lo, s6
	s_cbranch_vccnz .LBB63_3369
; %bb.3364:
	s_cmp_gt_i32 s10, 0
	s_mov_b32 s6, 0
	s_cbranch_scc0 .LBB63_3366
; %bb.3365:
	s_wait_loadcnt 0x0
	global_load_i8 v14, v[12:13], off
	s_branch .LBB63_3367
.LBB63_3366:
	s_mov_b32 s6, -1
                                        ; implicit-def: $vgpr14
.LBB63_3367:
	s_delay_alu instid0(SALU_CYCLE_1)
	s_and_not1_b32 vcc_lo, exec_lo, s6
	s_cbranch_vccnz .LBB63_3369
; %bb.3368:
	s_wait_loadcnt 0x0
	global_load_u8 v14, v[12:13], off
.LBB63_3369:
	s_mov_b32 s16, -1
.LBB63_3370:
	s_delay_alu instid0(SALU_CYCLE_1)
	s_and_not1_b32 vcc_lo, exec_lo, s16
	s_cbranch_vccnz .LBB63_4058
; %bb.3371:
	v_mov_b32_e32 v11, 0
	s_cmp_lt_i32 s14, 11
	s_delay_alu instid0(VALU_DEP_1)
	v_add_nc_u64_e32 v[10:11], s[0:1], v[10:11]
	s_cbranch_scc1 .LBB63_3378
; %bb.3372:
	s_cmp_gt_i32 s14, 25
	s_mov_b32 s1, 0
	s_cbranch_scc0 .LBB63_3379
; %bb.3373:
	s_cmp_gt_i32 s14, 28
	s_cbranch_scc0 .LBB63_3380
; %bb.3374:
	s_cmp_gt_i32 s14, 43
	;; [unrolled: 3-line block ×3, first 2 shown]
	s_cbranch_scc0 .LBB63_3383
; %bb.3376:
	s_cmp_eq_u32 s14, 46
	s_mov_b32 s7, 0
	s_cbranch_scc0 .LBB63_3384
; %bb.3377:
	global_load_b32 v7, v[10:11], off
	s_mov_b32 s0, 0
	s_mov_b32 s6, -1
	s_wait_loadcnt 0x0
	v_lshlrev_b32_e32 v7, 16, v7
	s_wait_xcnt 0x1
	s_delay_alu instid0(VALU_DEP_1)
	v_cvt_i32_f32_e32 v12, v7
	s_branch .LBB63_3386
.LBB63_3378:
	s_mov_b32 s0, -1
	s_mov_b32 s6, 0
                                        ; implicit-def: $vgpr12
	s_branch .LBB63_3448
.LBB63_3379:
	s_mov_b32 s7, -1
	s_mov_b32 s6, 0
	s_mov_b32 s0, 0
                                        ; implicit-def: $vgpr12
	s_branch .LBB63_3413
.LBB63_3380:
	s_mov_b32 s7, -1
	s_mov_b32 s6, 0
	s_mov_b32 s0, 0
                                        ; implicit-def: $vgpr12
	s_branch .LBB63_3396
.LBB63_3381:
	s_mov_b32 s7, -1
	s_mov_b32 s6, 0
	s_mov_b32 s0, 0
                                        ; implicit-def: $vgpr12
	s_branch .LBB63_3391
.LBB63_3382:
	s_or_b32 s13, s13, exec_lo
	s_trap 2
	s_cbranch_execz .LBB63_3319
	s_branch .LBB63_3320
.LBB63_3383:
	s_mov_b32 s7, -1
	s_mov_b32 s6, 0
	s_mov_b32 s0, 0
	s_branch .LBB63_3385
.LBB63_3384:
	s_mov_b32 s0, -1
	s_mov_b32 s6, 0
.LBB63_3385:
                                        ; implicit-def: $vgpr12
.LBB63_3386:
	s_and_b32 vcc_lo, exec_lo, s7
	s_cbranch_vccz .LBB63_3390
; %bb.3387:
	s_cmp_eq_u32 s14, 44
	s_cbranch_scc0 .LBB63_3389
; %bb.3388:
	global_load_u8 v7, v[10:11], off
	s_mov_b32 s0, 0
	s_mov_b32 s6, -1
	s_wait_loadcnt 0x0
	v_lshlrev_b32_e32 v9, 23, v7
	v_cmp_ne_u32_e32 vcc_lo, 0, v7
	s_delay_alu instid0(VALU_DEP_2) | instskip(SKIP_1) | instid1(VALU_DEP_1)
	v_cvt_i32_f32_e32 v9, v9
	s_wait_xcnt 0x1
	v_cndmask_b32_e32 v12, 0, v9, vcc_lo
	s_branch .LBB63_3390
.LBB63_3389:
	s_mov_b32 s0, -1
                                        ; implicit-def: $vgpr12
.LBB63_3390:
	s_mov_b32 s7, 0
.LBB63_3391:
	s_delay_alu instid0(SALU_CYCLE_1)
	s_and_b32 vcc_lo, exec_lo, s7
	s_cbranch_vccz .LBB63_3395
; %bb.3392:
	s_cmp_eq_u32 s14, 29
	s_cbranch_scc0 .LBB63_3394
; %bb.3393:
	global_load_b32 v12, v[10:11], off
	s_mov_b32 s0, 0
	s_mov_b32 s6, -1
	s_branch .LBB63_3395
.LBB63_3394:
	s_mov_b32 s0, -1
                                        ; implicit-def: $vgpr12
.LBB63_3395:
	s_mov_b32 s7, 0
.LBB63_3396:
	s_delay_alu instid0(SALU_CYCLE_1)
	s_and_b32 vcc_lo, exec_lo, s7
	s_cbranch_vccz .LBB63_3412
; %bb.3397:
	s_cmp_lt_i32 s14, 27
	s_cbranch_scc1 .LBB63_3400
; %bb.3398:
	s_cmp_gt_i32 s14, 27
	s_cbranch_scc0 .LBB63_3401
; %bb.3399:
	s_wait_loadcnt 0x0
	global_load_b32 v12, v[10:11], off
	s_mov_b32 s6, 0
	s_branch .LBB63_3402
.LBB63_3400:
	s_mov_b32 s6, -1
                                        ; implicit-def: $vgpr12
	s_branch .LBB63_3405
.LBB63_3401:
	s_mov_b32 s6, -1
                                        ; implicit-def: $vgpr12
.LBB63_3402:
	s_delay_alu instid0(SALU_CYCLE_1)
	s_and_not1_b32 vcc_lo, exec_lo, s6
	s_cbranch_vccnz .LBB63_3404
; %bb.3403:
	s_wait_loadcnt 0x0
	global_load_u16 v12, v[10:11], off
.LBB63_3404:
	s_mov_b32 s6, 0
.LBB63_3405:
	s_delay_alu instid0(SALU_CYCLE_1)
	s_and_not1_b32 vcc_lo, exec_lo, s6
	s_cbranch_vccnz .LBB63_3411
; %bb.3406:
	global_load_u8 v7, v[10:11], off
	s_mov_b32 s7, 0
	s_mov_b32 s6, exec_lo
	s_wait_loadcnt 0x0
	v_cmpx_lt_i16_e32 0x7f, v7
	s_xor_b32 s6, exec_lo, s6
	s_cbranch_execz .LBB63_3423
; %bb.3407:
	v_cmp_ne_u16_e32 vcc_lo, 0x80, v7
	s_and_b32 s7, vcc_lo, exec_lo
	s_and_not1_saveexec_b32 s6, s6
	s_cbranch_execnz .LBB63_3424
.LBB63_3408:
	s_or_b32 exec_lo, exec_lo, s6
	v_mov_b32_e32 v12, 0
	s_and_saveexec_b32 s6, s7
	s_cbranch_execz .LBB63_3410
.LBB63_3409:
	v_and_b32_e32 v9, 0xffff, v7
	s_delay_alu instid0(VALU_DEP_1) | instskip(SKIP_1) | instid1(VALU_DEP_2)
	v_dual_lshlrev_b32 v7, 24, v7 :: v_dual_bitop2_b32 v12, 7, v9 bitop3:0x40
	v_bfe_u32 v17, v9, 3, 4
	v_and_b32_e32 v7, 0x80000000, v7
	s_delay_alu instid0(VALU_DEP_3) | instskip(NEXT) | instid1(VALU_DEP_3)
	v_clz_i32_u32_e32 v13, v12
	v_cmp_eq_u32_e32 vcc_lo, 0, v17
	s_delay_alu instid0(VALU_DEP_2) | instskip(NEXT) | instid1(VALU_DEP_1)
	v_min_u32_e32 v13, 32, v13
	v_subrev_nc_u32_e32 v15, 28, v13
	v_sub_nc_u32_e32 v13, 29, v13
	s_delay_alu instid0(VALU_DEP_2) | instskip(NEXT) | instid1(VALU_DEP_2)
	v_lshlrev_b32_e32 v9, v15, v9
	v_cndmask_b32_e32 v13, v17, v13, vcc_lo
	s_delay_alu instid0(VALU_DEP_2) | instskip(NEXT) | instid1(VALU_DEP_1)
	v_and_b32_e32 v9, 7, v9
	v_cndmask_b32_e32 v9, v12, v9, vcc_lo
	s_delay_alu instid0(VALU_DEP_3) | instskip(NEXT) | instid1(VALU_DEP_2)
	v_lshl_add_u32 v12, v13, 23, 0x3b800000
	v_lshlrev_b32_e32 v9, 20, v9
	s_delay_alu instid0(VALU_DEP_1) | instskip(NEXT) | instid1(VALU_DEP_1)
	v_or3_b32 v7, v7, v12, v9
	v_cvt_i32_f32_e32 v12, v7
.LBB63_3410:
	s_or_b32 exec_lo, exec_lo, s6
.LBB63_3411:
	s_mov_b32 s6, -1
.LBB63_3412:
	s_mov_b32 s7, 0
.LBB63_3413:
	s_delay_alu instid0(SALU_CYCLE_1)
	s_and_b32 vcc_lo, exec_lo, s7
	s_cbranch_vccz .LBB63_3444
; %bb.3414:
	s_cmp_gt_i32 s14, 22
	s_cbranch_scc0 .LBB63_3422
; %bb.3415:
	s_cmp_lt_i32 s14, 24
	s_cbranch_scc1 .LBB63_3425
; %bb.3416:
	s_cmp_gt_i32 s14, 24
	s_cbranch_scc0 .LBB63_3426
; %bb.3417:
	global_load_u8 v7, v[10:11], off
	s_mov_b32 s6, 0
	s_mov_b32 s1, exec_lo
	s_wait_loadcnt 0x0
	v_cmpx_lt_i16_e32 0x7f, v7
	s_xor_b32 s1, exec_lo, s1
	s_cbranch_execz .LBB63_3438
; %bb.3418:
	v_cmp_ne_u16_e32 vcc_lo, 0x80, v7
	s_and_b32 s6, vcc_lo, exec_lo
	s_and_not1_saveexec_b32 s1, s1
	s_cbranch_execnz .LBB63_3439
.LBB63_3419:
	s_or_b32 exec_lo, exec_lo, s1
	v_mov_b32_e32 v12, 0
	s_and_saveexec_b32 s1, s6
	s_cbranch_execz .LBB63_3421
.LBB63_3420:
	v_and_b32_e32 v9, 0xffff, v7
	s_delay_alu instid0(VALU_DEP_1) | instskip(SKIP_1) | instid1(VALU_DEP_2)
	v_dual_lshlrev_b32 v7, 24, v7 :: v_dual_bitop2_b32 v12, 3, v9 bitop3:0x40
	v_bfe_u32 v17, v9, 2, 5
	v_and_b32_e32 v7, 0x80000000, v7
	s_delay_alu instid0(VALU_DEP_3) | instskip(NEXT) | instid1(VALU_DEP_3)
	v_clz_i32_u32_e32 v13, v12
	v_cmp_eq_u32_e32 vcc_lo, 0, v17
	s_delay_alu instid0(VALU_DEP_2) | instskip(NEXT) | instid1(VALU_DEP_1)
	v_min_u32_e32 v13, 32, v13
	v_subrev_nc_u32_e32 v15, 29, v13
	v_sub_nc_u32_e32 v13, 30, v13
	s_delay_alu instid0(VALU_DEP_2) | instskip(NEXT) | instid1(VALU_DEP_2)
	v_lshlrev_b32_e32 v9, v15, v9
	v_cndmask_b32_e32 v13, v17, v13, vcc_lo
	s_delay_alu instid0(VALU_DEP_2) | instskip(NEXT) | instid1(VALU_DEP_1)
	v_and_b32_e32 v9, 3, v9
	v_cndmask_b32_e32 v9, v12, v9, vcc_lo
	s_delay_alu instid0(VALU_DEP_3) | instskip(NEXT) | instid1(VALU_DEP_2)
	v_lshl_add_u32 v12, v13, 23, 0x37800000
	v_lshlrev_b32_e32 v9, 21, v9
	s_delay_alu instid0(VALU_DEP_1) | instskip(NEXT) | instid1(VALU_DEP_1)
	v_or3_b32 v7, v7, v12, v9
	v_cvt_i32_f32_e32 v12, v7
.LBB63_3421:
	s_or_b32 exec_lo, exec_lo, s1
	s_mov_b32 s1, 0
	s_branch .LBB63_3427
.LBB63_3422:
	s_mov_b32 s1, -1
                                        ; implicit-def: $vgpr12
	s_branch .LBB63_3433
.LBB63_3423:
	s_and_not1_saveexec_b32 s6, s6
	s_cbranch_execz .LBB63_3408
.LBB63_3424:
	v_cmp_ne_u16_e32 vcc_lo, 0, v7
	s_and_not1_b32 s7, s7, exec_lo
	s_and_b32 s10, vcc_lo, exec_lo
	s_delay_alu instid0(SALU_CYCLE_1)
	s_or_b32 s7, s7, s10
	s_or_b32 exec_lo, exec_lo, s6
	v_mov_b32_e32 v12, 0
	s_and_saveexec_b32 s6, s7
	s_cbranch_execnz .LBB63_3409
	s_branch .LBB63_3410
.LBB63_3425:
	s_mov_b32 s1, -1
                                        ; implicit-def: $vgpr12
	s_branch .LBB63_3430
.LBB63_3426:
	s_mov_b32 s1, -1
                                        ; implicit-def: $vgpr12
.LBB63_3427:
	s_delay_alu instid0(SALU_CYCLE_1)
	s_and_b32 vcc_lo, exec_lo, s1
	s_cbranch_vccz .LBB63_3429
; %bb.3428:
	global_load_u8 v7, v[10:11], off
	s_wait_loadcnt 0x0
	v_lshlrev_b32_e32 v7, 24, v7
	s_delay_alu instid0(VALU_DEP_1) | instskip(SKIP_1) | instid1(VALU_DEP_1)
	v_and_b32_e32 v9, 0x7f000000, v7
	s_wait_xcnt 0x1
	v_clz_i32_u32_e32 v12, v9
	v_add_nc_u32_e32 v15, 0x1000000, v9
	v_cmp_ne_u32_e32 vcc_lo, 0, v9
	s_delay_alu instid0(VALU_DEP_3) | instskip(NEXT) | instid1(VALU_DEP_1)
	v_min_u32_e32 v12, 32, v12
	v_sub_nc_u32_e64 v12, v12, 4 clamp
	s_delay_alu instid0(VALU_DEP_1) | instskip(NEXT) | instid1(VALU_DEP_1)
	v_dual_lshlrev_b32 v13, v12, v9 :: v_dual_lshlrev_b32 v12, 23, v12
	v_lshrrev_b32_e32 v13, 4, v13
	s_delay_alu instid0(VALU_DEP_1) | instskip(NEXT) | instid1(VALU_DEP_1)
	v_dual_sub_nc_u32 v12, v13, v12 :: v_dual_ashrrev_i32 v13, 8, v15
	v_add_nc_u32_e32 v12, 0x3c000000, v12
	s_delay_alu instid0(VALU_DEP_1) | instskip(NEXT) | instid1(VALU_DEP_1)
	v_and_or_b32 v12, 0x7f800000, v13, v12
	v_cndmask_b32_e32 v9, 0, v12, vcc_lo
	s_delay_alu instid0(VALU_DEP_1) | instskip(NEXT) | instid1(VALU_DEP_1)
	v_and_or_b32 v7, 0x80000000, v7, v9
	v_cvt_i32_f32_e32 v12, v7
.LBB63_3429:
	s_mov_b32 s1, 0
.LBB63_3430:
	s_delay_alu instid0(SALU_CYCLE_1)
	s_and_not1_b32 vcc_lo, exec_lo, s1
	s_cbranch_vccnz .LBB63_3432
; %bb.3431:
	global_load_u8 v7, v[10:11], off
	s_wait_loadcnt 0x0
	v_lshlrev_b32_e32 v9, 25, v7
	v_lshlrev_b16 v7, 8, v7
	s_wait_xcnt 0x1
	s_delay_alu instid0(VALU_DEP_1) | instskip(SKIP_1) | instid1(VALU_DEP_2)
	v_and_or_b32 v13, 0x7f00, v7, 0.5
	v_bfe_i32 v7, v7, 0, 16
	v_add_f32_e32 v13, -0.5, v13
	v_lshrrev_b32_e32 v12, 4, v9
	v_cmp_gt_u32_e32 vcc_lo, 0x8000000, v9
	s_delay_alu instid0(VALU_DEP_2) | instskip(NEXT) | instid1(VALU_DEP_1)
	v_or_b32_e32 v12, 0x70000000, v12
	v_mul_f32_e32 v12, 0x7800000, v12
	s_delay_alu instid0(VALU_DEP_1) | instskip(NEXT) | instid1(VALU_DEP_1)
	v_cndmask_b32_e32 v9, v12, v13, vcc_lo
	v_and_or_b32 v7, 0x80000000, v7, v9
	s_delay_alu instid0(VALU_DEP_1)
	v_cvt_i32_f32_e32 v12, v7
.LBB63_3432:
	s_mov_b32 s1, 0
	s_mov_b32 s6, -1
.LBB63_3433:
	s_and_not1_b32 vcc_lo, exec_lo, s1
	s_mov_b32 s1, 0
	s_cbranch_vccnz .LBB63_3444
; %bb.3434:
	s_cmp_gt_i32 s14, 14
	s_cbranch_scc0 .LBB63_3437
; %bb.3435:
	s_cmp_eq_u32 s14, 15
	s_cbranch_scc0 .LBB63_3440
; %bb.3436:
	global_load_u16 v7, v[10:11], off
	s_mov_b32 s0, 0
	s_mov_b32 s6, -1
	s_wait_loadcnt 0x0
	v_lshlrev_b32_e32 v7, 16, v7
	s_wait_xcnt 0x1
	s_delay_alu instid0(VALU_DEP_1)
	v_cvt_i32_f32_e32 v12, v7
	s_branch .LBB63_3442
.LBB63_3437:
	s_mov_b32 s1, -1
	s_branch .LBB63_3441
.LBB63_3438:
	s_and_not1_saveexec_b32 s1, s1
	s_cbranch_execz .LBB63_3419
.LBB63_3439:
	v_cmp_ne_u16_e32 vcc_lo, 0, v7
	s_and_not1_b32 s6, s6, exec_lo
	s_and_b32 s7, vcc_lo, exec_lo
	s_delay_alu instid0(SALU_CYCLE_1)
	s_or_b32 s6, s6, s7
	s_or_b32 exec_lo, exec_lo, s1
	v_mov_b32_e32 v12, 0
	s_and_saveexec_b32 s1, s6
	s_cbranch_execnz .LBB63_3420
	s_branch .LBB63_3421
.LBB63_3440:
	s_mov_b32 s0, -1
.LBB63_3441:
                                        ; implicit-def: $vgpr12
.LBB63_3442:
	s_and_b32 vcc_lo, exec_lo, s1
	s_mov_b32 s1, 0
	s_cbranch_vccz .LBB63_3444
; %bb.3443:
	s_cmp_lg_u32 s14, 11
	s_mov_b32 s1, -1
	s_cselect_b32 s0, -1, 0
.LBB63_3444:
	s_delay_alu instid0(SALU_CYCLE_1)
	s_and_b32 vcc_lo, exec_lo, s0
	s_cbranch_vccnz .LBB63_3509
; %bb.3445:
	s_and_not1_b32 vcc_lo, exec_lo, s1
	s_cbranch_vccnz .LBB63_3447
.LBB63_3446:
	global_load_u8 v7, v[10:11], off
	s_mov_b32 s6, -1
	s_wait_loadcnt 0x0
	v_cmp_ne_u16_e32 vcc_lo, 0, v7
	s_wait_xcnt 0x1
	v_cndmask_b32_e64 v12, 0, 1, vcc_lo
.LBB63_3447:
	s_mov_b32 s0, 0
.LBB63_3448:
	s_delay_alu instid0(SALU_CYCLE_1)
	s_and_b32 vcc_lo, exec_lo, s0
	s_cbranch_vccz .LBB63_3497
; %bb.3449:
	s_cmp_lt_i32 s14, 5
	s_cbranch_scc1 .LBB63_3454
; %bb.3450:
	s_cmp_lt_i32 s14, 8
	s_cbranch_scc1 .LBB63_3455
	;; [unrolled: 3-line block ×3, first 2 shown]
; %bb.3452:
	s_cmp_gt_i32 s14, 9
	s_cbranch_scc0 .LBB63_3457
; %bb.3453:
	s_wait_loadcnt 0x0
	global_load_b64 v[12:13], v[10:11], off
	s_mov_b32 s0, 0
	s_wait_loadcnt 0x0
	v_cvt_i32_f64_e32 v12, v[12:13]
	s_branch .LBB63_3458
.LBB63_3454:
	s_mov_b32 s0, -1
                                        ; implicit-def: $vgpr12
	s_branch .LBB63_3476
.LBB63_3455:
	s_mov_b32 s0, -1
                                        ; implicit-def: $vgpr12
	s_branch .LBB63_3464
.LBB63_3456:
	s_mov_b32 s0, -1
                                        ; implicit-def: $vgpr12
	s_branch .LBB63_3461
.LBB63_3457:
	s_mov_b32 s0, -1
                                        ; implicit-def: $vgpr12
.LBB63_3458:
	s_delay_alu instid0(SALU_CYCLE_1)
	s_and_not1_b32 vcc_lo, exec_lo, s0
	s_cbranch_vccnz .LBB63_3460
; %bb.3459:
	global_load_b32 v7, v[10:11], off
	s_wait_loadcnt 0x0
	s_wait_xcnt 0x1
	v_cvt_i32_f32_e32 v12, v7
.LBB63_3460:
	s_mov_b32 s0, 0
.LBB63_3461:
	s_delay_alu instid0(SALU_CYCLE_1)
	s_and_not1_b32 vcc_lo, exec_lo, s0
	s_cbranch_vccnz .LBB63_3463
; %bb.3462:
	global_load_b32 v7, v[10:11], off
	s_wait_loadcnt 0x0
	v_cvt_f32_f16_e32 v7, v7
	s_wait_xcnt 0x1
	s_delay_alu instid0(VALU_DEP_1)
	v_cvt_i32_f32_e32 v12, v7
.LBB63_3463:
	s_mov_b32 s0, 0
.LBB63_3464:
	s_delay_alu instid0(SALU_CYCLE_1)
	s_and_not1_b32 vcc_lo, exec_lo, s0
	s_cbranch_vccnz .LBB63_3475
; %bb.3465:
	s_cmp_lt_i32 s14, 6
	s_cbranch_scc1 .LBB63_3468
; %bb.3466:
	s_cmp_gt_i32 s14, 6
	s_cbranch_scc0 .LBB63_3469
; %bb.3467:
	s_wait_loadcnt 0x0
	global_load_b64 v[12:13], v[10:11], off
	s_mov_b32 s0, 0
	s_wait_loadcnt 0x0
	v_cvt_i32_f64_e32 v12, v[12:13]
	s_branch .LBB63_3470
.LBB63_3468:
	s_mov_b32 s0, -1
                                        ; implicit-def: $vgpr12
	s_branch .LBB63_3473
.LBB63_3469:
	s_mov_b32 s0, -1
                                        ; implicit-def: $vgpr12
.LBB63_3470:
	s_delay_alu instid0(SALU_CYCLE_1)
	s_and_not1_b32 vcc_lo, exec_lo, s0
	s_cbranch_vccnz .LBB63_3472
; %bb.3471:
	global_load_b32 v7, v[10:11], off
	s_wait_loadcnt 0x0
	s_wait_xcnt 0x1
	v_cvt_i32_f32_e32 v12, v7
.LBB63_3472:
	s_mov_b32 s0, 0
.LBB63_3473:
	s_delay_alu instid0(SALU_CYCLE_1)
	s_and_not1_b32 vcc_lo, exec_lo, s0
	s_cbranch_vccnz .LBB63_3475
; %bb.3474:
	global_load_u16 v7, v[10:11], off
	s_wait_loadcnt 0x0
	v_cvt_f32_f16_e32 v7, v7
	s_wait_xcnt 0x1
	s_delay_alu instid0(VALU_DEP_1)
	v_cvt_i32_f32_e32 v12, v7
.LBB63_3475:
	s_mov_b32 s0, 0
.LBB63_3476:
	s_delay_alu instid0(SALU_CYCLE_1)
	s_and_not1_b32 vcc_lo, exec_lo, s0
	s_cbranch_vccnz .LBB63_3496
; %bb.3477:
	s_cmp_lt_i32 s14, 2
	s_cbranch_scc1 .LBB63_3481
; %bb.3478:
	s_cmp_lt_i32 s14, 3
	s_cbranch_scc1 .LBB63_3482
; %bb.3479:
	s_cmp_gt_i32 s14, 3
	s_cbranch_scc0 .LBB63_3483
; %bb.3480:
	s_wait_loadcnt 0x0
	global_load_b32 v12, v[10:11], off
	s_mov_b32 s0, 0
	s_branch .LBB63_3484
.LBB63_3481:
	s_mov_b32 s0, -1
                                        ; implicit-def: $vgpr12
	s_branch .LBB63_3490
.LBB63_3482:
	s_mov_b32 s0, -1
                                        ; implicit-def: $vgpr12
	s_branch .LBB63_3487
.LBB63_3483:
	s_mov_b32 s0, -1
                                        ; implicit-def: $vgpr12
.LBB63_3484:
	s_delay_alu instid0(SALU_CYCLE_1)
	s_and_not1_b32 vcc_lo, exec_lo, s0
	s_cbranch_vccnz .LBB63_3486
; %bb.3485:
	s_wait_loadcnt 0x0
	global_load_b32 v12, v[10:11], off
.LBB63_3486:
	s_mov_b32 s0, 0
.LBB63_3487:
	s_delay_alu instid0(SALU_CYCLE_1)
	s_and_not1_b32 vcc_lo, exec_lo, s0
	s_cbranch_vccnz .LBB63_3489
; %bb.3488:
	s_wait_loadcnt 0x0
	global_load_i16 v12, v[10:11], off
.LBB63_3489:
	s_mov_b32 s0, 0
.LBB63_3490:
	s_delay_alu instid0(SALU_CYCLE_1)
	s_and_not1_b32 vcc_lo, exec_lo, s0
	s_cbranch_vccnz .LBB63_3496
; %bb.3491:
	s_cmp_gt_i32 s14, 0
	s_mov_b32 s0, 0
	s_cbranch_scc0 .LBB63_3493
; %bb.3492:
	s_wait_loadcnt 0x0
	global_load_i8 v12, v[10:11], off
	s_branch .LBB63_3494
.LBB63_3493:
	s_mov_b32 s0, -1
                                        ; implicit-def: $vgpr12
.LBB63_3494:
	s_delay_alu instid0(SALU_CYCLE_1)
	s_and_not1_b32 vcc_lo, exec_lo, s0
	s_cbranch_vccnz .LBB63_3496
; %bb.3495:
	s_wait_loadcnt 0x0
	global_load_u8 v12, v[10:11], off
.LBB63_3496:
	s_mov_b32 s6, -1
.LBB63_3497:
	s_delay_alu instid0(SALU_CYCLE_1)
	s_and_not1_b32 vcc_lo, exec_lo, s6
	s_cbranch_vccnz .LBB63_4058
; %bb.3498:
	v_mov_b32_e32 v9, 0
	s_cmp_lt_i32 s15, 11
	s_delay_alu instid0(VALU_DEP_1)
	v_add_nc_u64_e32 v[8:9], s[8:9], v[8:9]
	s_cbranch_scc1 .LBB63_3505
; %bb.3499:
	s_cmp_gt_i32 s15, 25
	s_mov_b32 s1, 0
	s_cbranch_scc0 .LBB63_3506
; %bb.3500:
	s_cmp_gt_i32 s15, 28
	s_cbranch_scc0 .LBB63_3507
; %bb.3501:
	s_cmp_gt_i32 s15, 43
	;; [unrolled: 3-line block ×3, first 2 shown]
	s_cbranch_scc0 .LBB63_3510
; %bb.3503:
	s_cmp_eq_u32 s15, 46
	s_mov_b32 s7, 0
	s_cbranch_scc0 .LBB63_3511
; %bb.3504:
	global_load_b32 v7, v[8:9], off
	s_mov_b32 s0, 0
	s_mov_b32 s6, -1
	s_wait_loadcnt 0x0
	v_lshlrev_b32_e32 v7, 16, v7
	s_wait_xcnt 0x1
	s_delay_alu instid0(VALU_DEP_1)
	v_cvt_i32_f32_e32 v10, v7
	s_branch .LBB63_3513
.LBB63_3505:
	s_mov_b32 s0, -1
	s_mov_b32 s6, 0
                                        ; implicit-def: $vgpr10
	s_branch .LBB63_3575
.LBB63_3506:
	s_mov_b32 s7, -1
	s_mov_b32 s6, 0
	s_mov_b32 s0, 0
                                        ; implicit-def: $vgpr10
	s_branch .LBB63_3540
.LBB63_3507:
	s_mov_b32 s7, -1
	s_mov_b32 s6, 0
	s_mov_b32 s0, 0
                                        ; implicit-def: $vgpr10
	s_branch .LBB63_3523
.LBB63_3508:
	s_mov_b32 s7, -1
	s_mov_b32 s6, 0
	s_mov_b32 s0, 0
                                        ; implicit-def: $vgpr10
	s_branch .LBB63_3518
.LBB63_3509:
	s_or_b32 s13, s13, exec_lo
	s_trap 2
	s_cbranch_execz .LBB63_3446
	s_branch .LBB63_3447
.LBB63_3510:
	s_mov_b32 s7, -1
	s_mov_b32 s6, 0
	s_mov_b32 s0, 0
	s_branch .LBB63_3512
.LBB63_3511:
	s_mov_b32 s0, -1
	s_mov_b32 s6, 0
.LBB63_3512:
                                        ; implicit-def: $vgpr10
.LBB63_3513:
	s_and_b32 vcc_lo, exec_lo, s7
	s_cbranch_vccz .LBB63_3517
; %bb.3514:
	s_cmp_eq_u32 s15, 44
	s_cbranch_scc0 .LBB63_3516
; %bb.3515:
	global_load_u8 v7, v[8:9], off
	s_mov_b32 s0, 0
	s_mov_b32 s6, -1
	s_wait_loadcnt 0x0
	s_wait_xcnt 0x1
	v_lshlrev_b32_e32 v10, 23, v7
	v_cmp_ne_u32_e32 vcc_lo, 0, v7
	s_delay_alu instid0(VALU_DEP_2) | instskip(NEXT) | instid1(VALU_DEP_1)
	v_cvt_i32_f32_e32 v10, v10
	v_cndmask_b32_e32 v10, 0, v10, vcc_lo
	s_branch .LBB63_3517
.LBB63_3516:
	s_mov_b32 s0, -1
                                        ; implicit-def: $vgpr10
.LBB63_3517:
	s_mov_b32 s7, 0
.LBB63_3518:
	s_delay_alu instid0(SALU_CYCLE_1)
	s_and_b32 vcc_lo, exec_lo, s7
	s_cbranch_vccz .LBB63_3522
; %bb.3519:
	s_cmp_eq_u32 s15, 29
	s_cbranch_scc0 .LBB63_3521
; %bb.3520:
	global_load_b32 v10, v[8:9], off
	s_mov_b32 s0, 0
	s_mov_b32 s6, -1
	s_branch .LBB63_3522
.LBB63_3521:
	s_mov_b32 s0, -1
                                        ; implicit-def: $vgpr10
.LBB63_3522:
	s_mov_b32 s7, 0
.LBB63_3523:
	s_delay_alu instid0(SALU_CYCLE_1)
	s_and_b32 vcc_lo, exec_lo, s7
	s_cbranch_vccz .LBB63_3539
; %bb.3524:
	s_cmp_lt_i32 s15, 27
	s_cbranch_scc1 .LBB63_3527
; %bb.3525:
	s_cmp_gt_i32 s15, 27
	s_cbranch_scc0 .LBB63_3528
; %bb.3526:
	s_wait_loadcnt 0x0
	global_load_b32 v10, v[8:9], off
	s_mov_b32 s6, 0
	s_branch .LBB63_3529
.LBB63_3527:
	s_mov_b32 s6, -1
                                        ; implicit-def: $vgpr10
	s_branch .LBB63_3532
.LBB63_3528:
	s_mov_b32 s6, -1
                                        ; implicit-def: $vgpr10
.LBB63_3529:
	s_delay_alu instid0(SALU_CYCLE_1)
	s_and_not1_b32 vcc_lo, exec_lo, s6
	s_cbranch_vccnz .LBB63_3531
; %bb.3530:
	s_wait_loadcnt 0x0
	global_load_u16 v10, v[8:9], off
.LBB63_3531:
	s_mov_b32 s6, 0
.LBB63_3532:
	s_delay_alu instid0(SALU_CYCLE_1)
	s_and_not1_b32 vcc_lo, exec_lo, s6
	s_cbranch_vccnz .LBB63_3538
; %bb.3533:
	global_load_u8 v7, v[8:9], off
	s_mov_b32 s7, 0
	s_mov_b32 s6, exec_lo
	s_wait_loadcnt 0x0
	v_cmpx_lt_i16_e32 0x7f, v7
	s_xor_b32 s6, exec_lo, s6
	s_cbranch_execz .LBB63_3550
; %bb.3534:
	v_cmp_ne_u16_e32 vcc_lo, 0x80, v7
	s_and_b32 s7, vcc_lo, exec_lo
	s_and_not1_saveexec_b32 s6, s6
	s_cbranch_execnz .LBB63_3551
.LBB63_3535:
	s_or_b32 exec_lo, exec_lo, s6
	v_mov_b32_e32 v10, 0
	s_and_saveexec_b32 s6, s7
	s_cbranch_execz .LBB63_3537
.LBB63_3536:
	v_and_b32_e32 v10, 0xffff, v7
	s_delay_alu instid0(VALU_DEP_1) | instskip(SKIP_1) | instid1(VALU_DEP_2)
	v_and_b32_e32 v11, 7, v10
	v_bfe_u32 v17, v10, 3, 4
	v_clz_i32_u32_e32 v13, v11
	s_delay_alu instid0(VALU_DEP_2) | instskip(NEXT) | instid1(VALU_DEP_2)
	v_cmp_eq_u32_e32 vcc_lo, 0, v17
	v_min_u32_e32 v13, 32, v13
	s_delay_alu instid0(VALU_DEP_1) | instskip(NEXT) | instid1(VALU_DEP_1)
	v_subrev_nc_u32_e32 v15, 28, v13
	v_dual_lshlrev_b32 v10, v15, v10 :: v_dual_sub_nc_u32 v13, 29, v13
	s_delay_alu instid0(VALU_DEP_1) | instskip(NEXT) | instid1(VALU_DEP_1)
	v_dual_lshlrev_b32 v7, 24, v7 :: v_dual_bitop2_b32 v10, 7, v10 bitop3:0x40
	v_dual_cndmask_b32 v13, v17, v13 :: v_dual_cndmask_b32 v10, v11, v10
	s_delay_alu instid0(VALU_DEP_2) | instskip(NEXT) | instid1(VALU_DEP_2)
	v_and_b32_e32 v7, 0x80000000, v7
	v_lshl_add_u32 v11, v13, 23, 0x3b800000
	s_delay_alu instid0(VALU_DEP_3) | instskip(NEXT) | instid1(VALU_DEP_1)
	v_lshlrev_b32_e32 v10, 20, v10
	v_or3_b32 v7, v7, v11, v10
	s_delay_alu instid0(VALU_DEP_1)
	v_cvt_i32_f32_e32 v10, v7
.LBB63_3537:
	s_or_b32 exec_lo, exec_lo, s6
.LBB63_3538:
	s_mov_b32 s6, -1
.LBB63_3539:
	s_mov_b32 s7, 0
.LBB63_3540:
	s_delay_alu instid0(SALU_CYCLE_1)
	s_and_b32 vcc_lo, exec_lo, s7
	s_cbranch_vccz .LBB63_3571
; %bb.3541:
	s_cmp_gt_i32 s15, 22
	s_cbranch_scc0 .LBB63_3549
; %bb.3542:
	s_cmp_lt_i32 s15, 24
	s_cbranch_scc1 .LBB63_3552
; %bb.3543:
	s_cmp_gt_i32 s15, 24
	s_cbranch_scc0 .LBB63_3553
; %bb.3544:
	global_load_u8 v7, v[8:9], off
	s_mov_b32 s6, 0
	s_mov_b32 s1, exec_lo
	s_wait_loadcnt 0x0
	v_cmpx_lt_i16_e32 0x7f, v7
	s_xor_b32 s1, exec_lo, s1
	s_cbranch_execz .LBB63_3565
; %bb.3545:
	v_cmp_ne_u16_e32 vcc_lo, 0x80, v7
	s_and_b32 s6, vcc_lo, exec_lo
	s_and_not1_saveexec_b32 s1, s1
	s_cbranch_execnz .LBB63_3566
.LBB63_3546:
	s_or_b32 exec_lo, exec_lo, s1
	v_mov_b32_e32 v10, 0
	s_and_saveexec_b32 s1, s6
	s_cbranch_execz .LBB63_3548
.LBB63_3547:
	v_and_b32_e32 v10, 0xffff, v7
	s_delay_alu instid0(VALU_DEP_1) | instskip(SKIP_1) | instid1(VALU_DEP_2)
	v_and_b32_e32 v11, 3, v10
	v_bfe_u32 v17, v10, 2, 5
	v_clz_i32_u32_e32 v13, v11
	s_delay_alu instid0(VALU_DEP_2) | instskip(NEXT) | instid1(VALU_DEP_2)
	v_cmp_eq_u32_e32 vcc_lo, 0, v17
	v_min_u32_e32 v13, 32, v13
	s_delay_alu instid0(VALU_DEP_1) | instskip(NEXT) | instid1(VALU_DEP_1)
	v_subrev_nc_u32_e32 v15, 29, v13
	v_dual_lshlrev_b32 v10, v15, v10 :: v_dual_sub_nc_u32 v13, 30, v13
	s_delay_alu instid0(VALU_DEP_1) | instskip(NEXT) | instid1(VALU_DEP_1)
	v_dual_lshlrev_b32 v7, 24, v7 :: v_dual_bitop2_b32 v10, 3, v10 bitop3:0x40
	v_dual_cndmask_b32 v13, v17, v13 :: v_dual_cndmask_b32 v10, v11, v10
	s_delay_alu instid0(VALU_DEP_2) | instskip(NEXT) | instid1(VALU_DEP_2)
	v_and_b32_e32 v7, 0x80000000, v7
	v_lshl_add_u32 v11, v13, 23, 0x37800000
	s_delay_alu instid0(VALU_DEP_3) | instskip(NEXT) | instid1(VALU_DEP_1)
	v_lshlrev_b32_e32 v10, 21, v10
	v_or3_b32 v7, v7, v11, v10
	s_delay_alu instid0(VALU_DEP_1)
	v_cvt_i32_f32_e32 v10, v7
.LBB63_3548:
	s_or_b32 exec_lo, exec_lo, s1
	s_mov_b32 s1, 0
	s_branch .LBB63_3554
.LBB63_3549:
	s_mov_b32 s1, -1
                                        ; implicit-def: $vgpr10
	s_branch .LBB63_3560
.LBB63_3550:
	s_and_not1_saveexec_b32 s6, s6
	s_cbranch_execz .LBB63_3535
.LBB63_3551:
	v_cmp_ne_u16_e32 vcc_lo, 0, v7
	s_and_not1_b32 s7, s7, exec_lo
	s_and_b32 s8, vcc_lo, exec_lo
	s_delay_alu instid0(SALU_CYCLE_1)
	s_or_b32 s7, s7, s8
	s_or_b32 exec_lo, exec_lo, s6
	v_mov_b32_e32 v10, 0
	s_and_saveexec_b32 s6, s7
	s_cbranch_execnz .LBB63_3536
	s_branch .LBB63_3537
.LBB63_3552:
	s_mov_b32 s1, -1
                                        ; implicit-def: $vgpr10
	s_branch .LBB63_3557
.LBB63_3553:
	s_mov_b32 s1, -1
                                        ; implicit-def: $vgpr10
.LBB63_3554:
	s_delay_alu instid0(SALU_CYCLE_1)
	s_and_b32 vcc_lo, exec_lo, s1
	s_cbranch_vccz .LBB63_3556
; %bb.3555:
	global_load_u8 v7, v[8:9], off
	s_wait_loadcnt 0x0
	v_lshlrev_b32_e32 v7, 24, v7
	s_wait_xcnt 0x1
	s_delay_alu instid0(VALU_DEP_1) | instskip(NEXT) | instid1(VALU_DEP_1)
	v_and_b32_e32 v10, 0x7f000000, v7
	v_clz_i32_u32_e32 v11, v10
	v_cmp_ne_u32_e32 vcc_lo, 0, v10
	v_add_nc_u32_e32 v15, 0x1000000, v10
	s_delay_alu instid0(VALU_DEP_3) | instskip(NEXT) | instid1(VALU_DEP_1)
	v_min_u32_e32 v11, 32, v11
	v_sub_nc_u32_e64 v11, v11, 4 clamp
	s_delay_alu instid0(VALU_DEP_1) | instskip(NEXT) | instid1(VALU_DEP_1)
	v_dual_lshlrev_b32 v13, v11, v10 :: v_dual_lshlrev_b32 v11, 23, v11
	v_lshrrev_b32_e32 v13, 4, v13
	s_delay_alu instid0(VALU_DEP_1) | instskip(SKIP_1) | instid1(VALU_DEP_2)
	v_sub_nc_u32_e32 v11, v13, v11
	v_ashrrev_i32_e32 v13, 8, v15
	v_add_nc_u32_e32 v11, 0x3c000000, v11
	s_delay_alu instid0(VALU_DEP_1) | instskip(NEXT) | instid1(VALU_DEP_1)
	v_and_or_b32 v11, 0x7f800000, v13, v11
	v_cndmask_b32_e32 v10, 0, v11, vcc_lo
	s_delay_alu instid0(VALU_DEP_1) | instskip(NEXT) | instid1(VALU_DEP_1)
	v_and_or_b32 v7, 0x80000000, v7, v10
	v_cvt_i32_f32_e32 v10, v7
.LBB63_3556:
	s_mov_b32 s1, 0
.LBB63_3557:
	s_delay_alu instid0(SALU_CYCLE_1)
	s_and_not1_b32 vcc_lo, exec_lo, s1
	s_cbranch_vccnz .LBB63_3559
; %bb.3558:
	global_load_u8 v7, v[8:9], off
	s_wait_loadcnt 0x0
	s_wait_xcnt 0x1
	v_lshlrev_b32_e32 v10, 25, v7
	v_lshlrev_b16 v7, 8, v7
	s_delay_alu instid0(VALU_DEP_1) | instskip(SKIP_1) | instid1(VALU_DEP_2)
	v_and_or_b32 v13, 0x7f00, v7, 0.5
	v_bfe_i32 v7, v7, 0, 16
	v_dual_add_f32 v13, -0.5, v13 :: v_dual_lshrrev_b32 v11, 4, v10
	v_cmp_gt_u32_e32 vcc_lo, 0x8000000, v10
	s_delay_alu instid0(VALU_DEP_2) | instskip(NEXT) | instid1(VALU_DEP_1)
	v_or_b32_e32 v11, 0x70000000, v11
	v_mul_f32_e32 v11, 0x7800000, v11
	s_delay_alu instid0(VALU_DEP_1) | instskip(NEXT) | instid1(VALU_DEP_1)
	v_cndmask_b32_e32 v10, v11, v13, vcc_lo
	v_and_or_b32 v7, 0x80000000, v7, v10
	s_delay_alu instid0(VALU_DEP_1)
	v_cvt_i32_f32_e32 v10, v7
.LBB63_3559:
	s_mov_b32 s1, 0
	s_mov_b32 s6, -1
.LBB63_3560:
	s_and_not1_b32 vcc_lo, exec_lo, s1
	s_mov_b32 s1, 0
	s_cbranch_vccnz .LBB63_3571
; %bb.3561:
	s_cmp_gt_i32 s15, 14
	s_cbranch_scc0 .LBB63_3564
; %bb.3562:
	s_cmp_eq_u32 s15, 15
	s_cbranch_scc0 .LBB63_3567
; %bb.3563:
	global_load_u16 v7, v[8:9], off
	s_mov_b32 s0, 0
	s_mov_b32 s6, -1
	s_wait_loadcnt 0x0
	v_lshlrev_b32_e32 v7, 16, v7
	s_wait_xcnt 0x1
	s_delay_alu instid0(VALU_DEP_1)
	v_cvt_i32_f32_e32 v10, v7
	s_branch .LBB63_3569
.LBB63_3564:
	s_mov_b32 s1, -1
	s_branch .LBB63_3568
.LBB63_3565:
	s_and_not1_saveexec_b32 s1, s1
	s_cbranch_execz .LBB63_3546
.LBB63_3566:
	v_cmp_ne_u16_e32 vcc_lo, 0, v7
	s_and_not1_b32 s6, s6, exec_lo
	s_and_b32 s7, vcc_lo, exec_lo
	s_delay_alu instid0(SALU_CYCLE_1)
	s_or_b32 s6, s6, s7
	s_or_b32 exec_lo, exec_lo, s1
	v_mov_b32_e32 v10, 0
	s_and_saveexec_b32 s1, s6
	s_cbranch_execnz .LBB63_3547
	s_branch .LBB63_3548
.LBB63_3567:
	s_mov_b32 s0, -1
.LBB63_3568:
                                        ; implicit-def: $vgpr10
.LBB63_3569:
	s_and_b32 vcc_lo, exec_lo, s1
	s_mov_b32 s1, 0
	s_cbranch_vccz .LBB63_3571
; %bb.3570:
	s_cmp_lg_u32 s15, 11
	s_mov_b32 s1, -1
	s_cselect_b32 s0, -1, 0
.LBB63_3571:
	s_delay_alu instid0(SALU_CYCLE_1)
	s_and_b32 vcc_lo, exec_lo, s0
	s_cbranch_vccnz .LBB63_4104
; %bb.3572:
	s_and_not1_b32 vcc_lo, exec_lo, s1
	s_cbranch_vccnz .LBB63_3574
.LBB63_3573:
	global_load_u8 v7, v[8:9], off
	s_mov_b32 s6, -1
	s_wait_loadcnt 0x0
	v_cmp_ne_u16_e32 vcc_lo, 0, v7
	s_wait_xcnt 0x1
	v_cndmask_b32_e64 v10, 0, 1, vcc_lo
.LBB63_3574:
	s_mov_b32 s0, 0
.LBB63_3575:
	s_delay_alu instid0(SALU_CYCLE_1)
	s_and_b32 vcc_lo, exec_lo, s0
	s_cbranch_vccz .LBB63_3624
; %bb.3576:
	s_cmp_lt_i32 s15, 5
	s_cbranch_scc1 .LBB63_3581
; %bb.3577:
	s_cmp_lt_i32 s15, 8
	s_cbranch_scc1 .LBB63_3582
	;; [unrolled: 3-line block ×3, first 2 shown]
; %bb.3579:
	s_cmp_gt_i32 s15, 9
	s_cbranch_scc0 .LBB63_3584
; %bb.3580:
	s_wait_loadcnt 0x0
	global_load_b64 v[10:11], v[8:9], off
	s_mov_b32 s0, 0
	s_wait_loadcnt 0x0
	v_cvt_i32_f64_e32 v10, v[10:11]
	s_branch .LBB63_3585
.LBB63_3581:
	s_mov_b32 s0, -1
                                        ; implicit-def: $vgpr10
	s_branch .LBB63_3603
.LBB63_3582:
	s_mov_b32 s0, -1
                                        ; implicit-def: $vgpr10
	s_branch .LBB63_3591
.LBB63_3583:
	s_mov_b32 s0, -1
                                        ; implicit-def: $vgpr10
	s_branch .LBB63_3588
.LBB63_3584:
	s_mov_b32 s0, -1
                                        ; implicit-def: $vgpr10
.LBB63_3585:
	s_delay_alu instid0(SALU_CYCLE_1)
	s_and_not1_b32 vcc_lo, exec_lo, s0
	s_cbranch_vccnz .LBB63_3587
; %bb.3586:
	global_load_b32 v7, v[8:9], off
	s_wait_loadcnt 0x0
	s_wait_xcnt 0x1
	v_cvt_i32_f32_e32 v10, v7
.LBB63_3587:
	s_mov_b32 s0, 0
.LBB63_3588:
	s_delay_alu instid0(SALU_CYCLE_1)
	s_and_not1_b32 vcc_lo, exec_lo, s0
	s_cbranch_vccnz .LBB63_3590
; %bb.3589:
	global_load_b32 v7, v[8:9], off
	s_wait_loadcnt 0x0
	v_cvt_f32_f16_e32 v7, v7
	s_wait_xcnt 0x1
	s_delay_alu instid0(VALU_DEP_1)
	v_cvt_i32_f32_e32 v10, v7
.LBB63_3590:
	s_mov_b32 s0, 0
.LBB63_3591:
	s_delay_alu instid0(SALU_CYCLE_1)
	s_and_not1_b32 vcc_lo, exec_lo, s0
	s_cbranch_vccnz .LBB63_3602
; %bb.3592:
	s_cmp_lt_i32 s15, 6
	s_cbranch_scc1 .LBB63_3595
; %bb.3593:
	s_cmp_gt_i32 s15, 6
	s_cbranch_scc0 .LBB63_3596
; %bb.3594:
	s_wait_loadcnt 0x0
	global_load_b64 v[10:11], v[8:9], off
	s_mov_b32 s0, 0
	s_wait_loadcnt 0x0
	v_cvt_i32_f64_e32 v10, v[10:11]
	s_branch .LBB63_3597
.LBB63_3595:
	s_mov_b32 s0, -1
                                        ; implicit-def: $vgpr10
	s_branch .LBB63_3600
.LBB63_3596:
	s_mov_b32 s0, -1
                                        ; implicit-def: $vgpr10
.LBB63_3597:
	s_delay_alu instid0(SALU_CYCLE_1)
	s_and_not1_b32 vcc_lo, exec_lo, s0
	s_cbranch_vccnz .LBB63_3599
; %bb.3598:
	global_load_b32 v7, v[8:9], off
	s_wait_loadcnt 0x0
	s_wait_xcnt 0x1
	v_cvt_i32_f32_e32 v10, v7
.LBB63_3599:
	s_mov_b32 s0, 0
.LBB63_3600:
	s_delay_alu instid0(SALU_CYCLE_1)
	s_and_not1_b32 vcc_lo, exec_lo, s0
	s_cbranch_vccnz .LBB63_3602
; %bb.3601:
	global_load_u16 v7, v[8:9], off
	s_wait_loadcnt 0x0
	v_cvt_f32_f16_e32 v7, v7
	s_wait_xcnt 0x1
	s_delay_alu instid0(VALU_DEP_1)
	v_cvt_i32_f32_e32 v10, v7
.LBB63_3602:
	s_mov_b32 s0, 0
.LBB63_3603:
	s_delay_alu instid0(SALU_CYCLE_1)
	s_and_not1_b32 vcc_lo, exec_lo, s0
	s_cbranch_vccnz .LBB63_3623
; %bb.3604:
	s_cmp_lt_i32 s15, 2
	s_cbranch_scc1 .LBB63_3608
; %bb.3605:
	s_cmp_lt_i32 s15, 3
	s_cbranch_scc1 .LBB63_3609
; %bb.3606:
	s_cmp_gt_i32 s15, 3
	s_cbranch_scc0 .LBB63_3610
; %bb.3607:
	s_wait_loadcnt 0x0
	global_load_b32 v10, v[8:9], off
	s_mov_b32 s0, 0
	s_branch .LBB63_3611
.LBB63_3608:
	s_mov_b32 s0, -1
                                        ; implicit-def: $vgpr10
	s_branch .LBB63_3617
.LBB63_3609:
	s_mov_b32 s0, -1
                                        ; implicit-def: $vgpr10
	s_branch .LBB63_3614
.LBB63_3610:
	s_mov_b32 s0, -1
                                        ; implicit-def: $vgpr10
.LBB63_3611:
	s_delay_alu instid0(SALU_CYCLE_1)
	s_and_not1_b32 vcc_lo, exec_lo, s0
	s_cbranch_vccnz .LBB63_3613
; %bb.3612:
	s_wait_loadcnt 0x0
	global_load_b32 v10, v[8:9], off
.LBB63_3613:
	s_mov_b32 s0, 0
.LBB63_3614:
	s_delay_alu instid0(SALU_CYCLE_1)
	s_and_not1_b32 vcc_lo, exec_lo, s0
	s_cbranch_vccnz .LBB63_3616
; %bb.3615:
	s_wait_loadcnt 0x0
	global_load_i16 v10, v[8:9], off
.LBB63_3616:
	s_mov_b32 s0, 0
.LBB63_3617:
	s_delay_alu instid0(SALU_CYCLE_1)
	s_and_not1_b32 vcc_lo, exec_lo, s0
	s_cbranch_vccnz .LBB63_3623
; %bb.3618:
	s_cmp_gt_i32 s15, 0
	s_mov_b32 s0, 0
	s_cbranch_scc0 .LBB63_3620
; %bb.3619:
	s_wait_loadcnt 0x0
	global_load_i8 v10, v[8:9], off
	s_branch .LBB63_3621
.LBB63_3620:
	s_mov_b32 s0, -1
                                        ; implicit-def: $vgpr10
.LBB63_3621:
	s_delay_alu instid0(SALU_CYCLE_1)
	s_and_not1_b32 vcc_lo, exec_lo, s0
	s_cbranch_vccnz .LBB63_3623
; %bb.3622:
	s_wait_loadcnt 0x0
	global_load_u8 v10, v[8:9], off
.LBB63_3623:
	s_mov_b32 s6, -1
.LBB63_3624:
	s_delay_alu instid0(SALU_CYCLE_1)
	s_and_not1_b32 vcc_lo, exec_lo, s6
	s_cbranch_vccnz .LBB63_4058
; %bb.3625:
	s_load_b96 s[8:10], s[2:3], 0x1e8
	v_mov_b32_e32 v7, 0
	s_delay_alu instid0(VALU_DEP_1) | instskip(SKIP_4) | instid1(SALU_CYCLE_1)
	v_add_nc_u64_e32 v[6:7], s[4:5], v[6:7]
	s_wait_kmcnt 0x0
	v_mul_lo_u32 v1, v1, s8
	v_mul_lo_u32 v3, v3, s9
	s_and_b32 s1, s10, 0xff
	s_cmp_lt_i32 s1, 11
	s_wait_loadcnt 0x0
	s_delay_alu instid0(VALU_DEP_1)
	v_mad_u32 v8, v3, v28, v1
	s_cbranch_scc1 .LBB63_3703
; %bb.3626:
	s_and_b32 s2, 0xffff, s1
	s_mov_b32 s7, -1
	s_mov_b32 s3, 0
	s_cmp_gt_i32 s2, 25
	s_mov_b32 s6, 0
	s_mov_b32 s0, 0
	s_cbranch_scc0 .LBB63_3659
; %bb.3627:
	s_cmp_gt_i32 s2, 28
	s_cbranch_scc0 .LBB63_3642
; %bb.3628:
	s_cmp_gt_i32 s2, 43
	;; [unrolled: 3-line block ×3, first 2 shown]
	s_cbranch_scc0 .LBB63_3632
; %bb.3630:
	s_mov_b32 s0, -1
	s_mov_b32 s7, 0
	s_cmp_eq_u32 s2, 46
	s_cbranch_scc0 .LBB63_3632
; %bb.3631:
	v_cvt_f32_i32_e32 v1, v8
	s_mov_b32 s0, 0
	s_mov_b32 s6, -1
	s_delay_alu instid0(VALU_DEP_1) | instskip(NEXT) | instid1(VALU_DEP_1)
	v_bfe_u32 v3, v1, 16, 1
	v_add3_u32 v1, v1, v3, 0x7fff
	s_delay_alu instid0(VALU_DEP_1)
	v_lshrrev_b32_e32 v1, 16, v1
	global_store_b32 v[6:7], v1, off
.LBB63_3632:
	s_and_b32 vcc_lo, exec_lo, s7
	s_cbranch_vccz .LBB63_3637
; %bb.3633:
	s_cmp_eq_u32 s2, 44
	s_mov_b32 s0, -1
	s_cbranch_scc0 .LBB63_3637
; %bb.3634:
	s_wait_xcnt 0x0
	v_cvt_f32_i32_e32 v1, v8
	v_mov_b32_e32 v3, 0xff
	s_mov_b32 s6, exec_lo
	s_delay_alu instid0(VALU_DEP_2) | instskip(NEXT) | instid1(VALU_DEP_1)
	v_bfe_u32 v9, v1, 23, 8
	v_cmpx_ne_u32_e32 0xff, v9
	s_cbranch_execz .LBB63_3636
; %bb.3635:
	v_and_b32_e32 v3, 0x400000, v1
	v_and_or_b32 v9, 0x3fffff, v1, v9
	v_lshrrev_b32_e32 v1, 23, v1
	s_delay_alu instid0(VALU_DEP_3) | instskip(NEXT) | instid1(VALU_DEP_3)
	v_cmp_ne_u32_e32 vcc_lo, 0, v3
	v_cmp_ne_u32_e64 s0, 0, v9
	s_and_b32 s0, vcc_lo, s0
	s_delay_alu instid0(SALU_CYCLE_1) | instskip(NEXT) | instid1(VALU_DEP_1)
	v_cndmask_b32_e64 v3, 0, 1, s0
	v_add_nc_u32_e32 v3, v1, v3
.LBB63_3636:
	s_or_b32 exec_lo, exec_lo, s6
	s_mov_b32 s0, 0
	s_mov_b32 s6, -1
	global_store_b8 v[6:7], v3, off
.LBB63_3637:
	s_mov_b32 s7, 0
.LBB63_3638:
	s_delay_alu instid0(SALU_CYCLE_1)
	s_and_b32 vcc_lo, exec_lo, s7
	s_cbranch_vccz .LBB63_3641
; %bb.3639:
	s_cmp_eq_u32 s2, 29
	s_mov_b32 s0, -1
	s_cbranch_scc0 .LBB63_3641
; %bb.3640:
	v_ashrrev_i32_e32 v9, 31, v8
	s_mov_b32 s0, 0
	s_mov_b32 s6, -1
	global_store_b64 v[6:7], v[8:9], off
.LBB63_3641:
	s_mov_b32 s7, 0
.LBB63_3642:
	s_delay_alu instid0(SALU_CYCLE_1)
	s_and_b32 vcc_lo, exec_lo, s7
	s_cbranch_vccz .LBB63_3658
; %bb.3643:
	s_cmp_lt_i32 s2, 27
	s_mov_b32 s6, -1
	s_cbranch_scc1 .LBB63_3649
; %bb.3644:
	s_cmp_gt_i32 s2, 27
	s_cbranch_scc0 .LBB63_3646
; %bb.3645:
	s_mov_b32 s6, 0
	global_store_b32 v[6:7], v8, off
.LBB63_3646:
	s_and_not1_b32 vcc_lo, exec_lo, s6
	s_cbranch_vccnz .LBB63_3648
; %bb.3647:
	global_store_b16 v[6:7], v8, off
.LBB63_3648:
	s_mov_b32 s6, 0
.LBB63_3649:
	s_delay_alu instid0(SALU_CYCLE_1)
	s_and_not1_b32 vcc_lo, exec_lo, s6
	s_cbranch_vccnz .LBB63_3657
; %bb.3650:
	s_wait_xcnt 0x0
	v_cvt_f32_i32_e32 v1, v8
	v_mov_b32_e32 v9, 0x80
	s_mov_b32 s6, exec_lo
	s_delay_alu instid0(VALU_DEP_2) | instskip(NEXT) | instid1(VALU_DEP_1)
	v_and_b32_e32 v3, 0x7fffffff, v1
	v_cmpx_gt_u32_e32 0x43800000, v3
	s_cbranch_execz .LBB63_3656
; %bb.3651:
	v_cmp_lt_u32_e32 vcc_lo, 0x3bffffff, v3
	s_mov_b32 s7, 0
                                        ; implicit-def: $vgpr3
	s_and_saveexec_b32 s10, vcc_lo
	s_delay_alu instid0(SALU_CYCLE_1)
	s_xor_b32 s10, exec_lo, s10
	s_cbranch_execz .LBB63_4105
; %bb.3652:
	v_bfe_u32 v3, v1, 20, 1
	s_mov_b32 s7, exec_lo
	s_delay_alu instid0(VALU_DEP_1) | instskip(NEXT) | instid1(VALU_DEP_1)
	v_add3_u32 v3, v1, v3, 0x487ffff
	v_lshrrev_b32_e32 v3, 20, v3
	s_and_not1_saveexec_b32 s10, s10
	s_cbranch_execnz .LBB63_4106
.LBB63_3653:
	s_or_b32 exec_lo, exec_lo, s10
	v_mov_b32_e32 v9, 0
	s_and_saveexec_b32 s10, s7
.LBB63_3654:
	v_lshrrev_b32_e32 v1, 24, v1
	s_delay_alu instid0(VALU_DEP_1)
	v_and_or_b32 v9, 0x80, v1, v3
.LBB63_3655:
	s_or_b32 exec_lo, exec_lo, s10
.LBB63_3656:
	s_delay_alu instid0(SALU_CYCLE_1)
	s_or_b32 exec_lo, exec_lo, s6
	global_store_b8 v[6:7], v9, off
.LBB63_3657:
	s_mov_b32 s6, -1
.LBB63_3658:
	s_mov_b32 s7, 0
.LBB63_3659:
	s_delay_alu instid0(SALU_CYCLE_1)
	s_and_b32 vcc_lo, exec_lo, s7
	s_cbranch_vccz .LBB63_3699
; %bb.3660:
	s_cmp_gt_i32 s2, 22
	s_mov_b32 s3, -1
	s_cbranch_scc0 .LBB63_3692
; %bb.3661:
	s_cmp_lt_i32 s2, 24
	s_cbranch_scc1 .LBB63_3681
; %bb.3662:
	s_cmp_gt_i32 s2, 24
	s_cbranch_scc0 .LBB63_3670
; %bb.3663:
	s_wait_xcnt 0x0
	v_cvt_f32_i32_e32 v1, v8
	v_mov_b32_e32 v9, 0x80
	s_mov_b32 s3, exec_lo
	s_delay_alu instid0(VALU_DEP_2) | instskip(NEXT) | instid1(VALU_DEP_1)
	v_and_b32_e32 v3, 0x7fffffff, v1
	v_cmpx_gt_u32_e32 0x47800000, v3
	s_cbranch_execz .LBB63_3669
; %bb.3664:
	v_cmp_lt_u32_e32 vcc_lo, 0x37ffffff, v3
	s_mov_b32 s6, 0
                                        ; implicit-def: $vgpr3
	s_and_saveexec_b32 s7, vcc_lo
	s_delay_alu instid0(SALU_CYCLE_1)
	s_xor_b32 s7, exec_lo, s7
	s_cbranch_execz .LBB63_4108
; %bb.3665:
	v_bfe_u32 v3, v1, 21, 1
	s_mov_b32 s6, exec_lo
	s_delay_alu instid0(VALU_DEP_1) | instskip(NEXT) | instid1(VALU_DEP_1)
	v_add3_u32 v3, v1, v3, 0x88fffff
	v_lshrrev_b32_e32 v3, 21, v3
	s_and_not1_saveexec_b32 s7, s7
	s_cbranch_execnz .LBB63_4109
.LBB63_3666:
	s_or_b32 exec_lo, exec_lo, s7
	v_mov_b32_e32 v9, 0
	s_and_saveexec_b32 s7, s6
.LBB63_3667:
	v_lshrrev_b32_e32 v1, 24, v1
	s_delay_alu instid0(VALU_DEP_1)
	v_and_or_b32 v9, 0x80, v1, v3
.LBB63_3668:
	s_or_b32 exec_lo, exec_lo, s7
.LBB63_3669:
	s_delay_alu instid0(SALU_CYCLE_1)
	s_or_b32 exec_lo, exec_lo, s3
	s_mov_b32 s3, 0
	global_store_b8 v[6:7], v9, off
.LBB63_3670:
	s_and_b32 vcc_lo, exec_lo, s3
	s_cbranch_vccz .LBB63_3680
; %bb.3671:
	s_wait_xcnt 0x0
	v_cvt_f32_i32_e32 v1, v8
	s_mov_b32 s3, exec_lo
                                        ; implicit-def: $vgpr3
	s_delay_alu instid0(VALU_DEP_1) | instskip(NEXT) | instid1(VALU_DEP_1)
	v_and_b32_e32 v9, 0x7fffffff, v1
	v_cmpx_gt_u32_e32 0x43f00000, v9
	s_xor_b32 s3, exec_lo, s3
	s_cbranch_execz .LBB63_3677
; %bb.3672:
	s_mov_b32 s6, exec_lo
                                        ; implicit-def: $vgpr3
	v_cmpx_lt_u32_e32 0x3c7fffff, v9
	s_xor_b32 s6, exec_lo, s6
; %bb.3673:
	v_bfe_u32 v3, v1, 20, 1
	s_delay_alu instid0(VALU_DEP_1) | instskip(NEXT) | instid1(VALU_DEP_1)
	v_add3_u32 v3, v1, v3, 0x407ffff
	v_and_b32_e32 v9, 0xff00000, v3
	v_lshrrev_b32_e32 v3, 20, v3
	s_delay_alu instid0(VALU_DEP_2) | instskip(NEXT) | instid1(VALU_DEP_2)
	v_cmp_ne_u32_e32 vcc_lo, 0x7f00000, v9
	v_cndmask_b32_e32 v3, 0x7e, v3, vcc_lo
; %bb.3674:
	s_and_not1_saveexec_b32 s6, s6
; %bb.3675:
	v_add_f32_e64 v3, 0x46800000, |v1|
; %bb.3676:
	s_or_b32 exec_lo, exec_lo, s6
                                        ; implicit-def: $vgpr9
.LBB63_3677:
	s_and_not1_saveexec_b32 s3, s3
; %bb.3678:
	v_mov_b32_e32 v3, 0x7f
	v_cmp_lt_u32_e32 vcc_lo, 0x7f800000, v9
	s_delay_alu instid0(VALU_DEP_2)
	v_cndmask_b32_e32 v3, 0x7e, v3, vcc_lo
; %bb.3679:
	s_or_b32 exec_lo, exec_lo, s3
	v_lshrrev_b32_e32 v1, 24, v1
	s_delay_alu instid0(VALU_DEP_1)
	v_and_or_b32 v1, 0x80, v1, v3
	global_store_b8 v[6:7], v1, off
.LBB63_3680:
	s_mov_b32 s3, 0
.LBB63_3681:
	s_delay_alu instid0(SALU_CYCLE_1)
	s_and_not1_b32 vcc_lo, exec_lo, s3
	s_cbranch_vccnz .LBB63_3691
; %bb.3682:
	s_wait_xcnt 0x0
	v_cvt_f32_i32_e32 v1, v8
	s_mov_b32 s3, exec_lo
                                        ; implicit-def: $vgpr3
	s_delay_alu instid0(VALU_DEP_1) | instskip(NEXT) | instid1(VALU_DEP_1)
	v_and_b32_e32 v9, 0x7fffffff, v1
	v_cmpx_gt_u32_e32 0x47800000, v9
	s_xor_b32 s3, exec_lo, s3
	s_cbranch_execz .LBB63_3688
; %bb.3683:
	s_mov_b32 s6, exec_lo
                                        ; implicit-def: $vgpr3
	v_cmpx_lt_u32_e32 0x387fffff, v9
	s_xor_b32 s6, exec_lo, s6
; %bb.3684:
	v_bfe_u32 v3, v1, 21, 1
	s_delay_alu instid0(VALU_DEP_1) | instskip(NEXT) | instid1(VALU_DEP_1)
	v_add3_u32 v3, v1, v3, 0x80fffff
	v_lshrrev_b32_e32 v3, 21, v3
; %bb.3685:
	s_and_not1_saveexec_b32 s6, s6
; %bb.3686:
	v_add_f32_e64 v3, 0x43000000, |v1|
; %bb.3687:
	s_or_b32 exec_lo, exec_lo, s6
                                        ; implicit-def: $vgpr9
.LBB63_3688:
	s_and_not1_saveexec_b32 s3, s3
; %bb.3689:
	v_mov_b32_e32 v3, 0x7f
	v_cmp_lt_u32_e32 vcc_lo, 0x7f800000, v9
	s_delay_alu instid0(VALU_DEP_2)
	v_cndmask_b32_e32 v3, 0x7c, v3, vcc_lo
; %bb.3690:
	s_or_b32 exec_lo, exec_lo, s3
	v_lshrrev_b32_e32 v1, 24, v1
	s_delay_alu instid0(VALU_DEP_1)
	v_and_or_b32 v1, 0x80, v1, v3
	global_store_b8 v[6:7], v1, off
.LBB63_3691:
	s_mov_b32 s3, 0
	s_mov_b32 s6, -1
.LBB63_3692:
	s_and_not1_b32 vcc_lo, exec_lo, s3
	s_mov_b32 s3, 0
	s_cbranch_vccnz .LBB63_3699
; %bb.3693:
	s_cmp_gt_i32 s2, 14
	s_mov_b32 s3, -1
	s_cbranch_scc0 .LBB63_3697
; %bb.3694:
	s_cmp_eq_u32 s2, 15
	s_mov_b32 s0, -1
	s_cbranch_scc0 .LBB63_3696
; %bb.3695:
	s_wait_xcnt 0x0
	v_cvt_f32_i32_e32 v1, v8
	s_mov_b32 s0, 0
	s_mov_b32 s6, -1
	s_delay_alu instid0(VALU_DEP_1) | instskip(NEXT) | instid1(VALU_DEP_1)
	v_bfe_u32 v3, v1, 16, 1
	v_add3_u32 v1, v1, v3, 0x7fff
	global_store_d16_hi_b16 v[6:7], v1, off
.LBB63_3696:
	s_mov_b32 s3, 0
.LBB63_3697:
	s_delay_alu instid0(SALU_CYCLE_1)
	s_and_b32 vcc_lo, exec_lo, s3
	s_mov_b32 s3, 0
	s_cbranch_vccz .LBB63_3699
; %bb.3698:
	s_cmp_lg_u32 s2, 11
	s_mov_b32 s3, -1
	s_cselect_b32 s0, -1, 0
.LBB63_3699:
	s_delay_alu instid0(SALU_CYCLE_1)
	s_and_b32 vcc_lo, exec_lo, s0
	s_cbranch_vccnz .LBB63_4107
; %bb.3700:
	s_and_not1_b32 vcc_lo, exec_lo, s3
	s_cbranch_vccnz .LBB63_3702
.LBB63_3701:
	v_cmp_ne_u32_e32 vcc_lo, 0, v8
	s_mov_b32 s6, -1
	s_wait_xcnt 0x0
	v_cndmask_b32_e64 v1, 0, 1, vcc_lo
	global_store_b8 v[6:7], v1, off
.LBB63_3702:
	s_mov_b32 s0, 0
	s_branch .LBB63_3704
.LBB63_3703:
	s_mov_b32 s0, -1
	s_mov_b32 s6, 0
.LBB63_3704:
	s_and_b32 vcc_lo, exec_lo, s0
	s_cbranch_vccz .LBB63_3743
; %bb.3705:
	s_and_b32 s0, 0xffff, s1
	s_mov_b32 s2, -1
	s_cmp_lt_i32 s0, 5
	s_cbranch_scc1 .LBB63_3726
; %bb.3706:
	s_cmp_lt_i32 s0, 8
	s_cbranch_scc1 .LBB63_3716
; %bb.3707:
	;; [unrolled: 3-line block ×3, first 2 shown]
	s_cmp_gt_i32 s0, 9
	s_cbranch_scc0 .LBB63_3710
; %bb.3709:
	v_cvt_f64_i32_e32 v[26:27], v8
	v_mov_b32_e32 v28, 0
	s_mov_b32 s2, 0
	s_delay_alu instid0(VALU_DEP_1)
	v_mov_b32_e32 v29, v28
	global_store_b128 v[6:7], v[26:29], off
.LBB63_3710:
	s_and_not1_b32 vcc_lo, exec_lo, s2
	s_cbranch_vccnz .LBB63_3712
; %bb.3711:
	s_wait_xcnt 0x0
	v_cvt_f32_i32_e32 v26, v8
	v_mov_b32_e32 v27, 0
	global_store_b64 v[6:7], v[26:27], off
.LBB63_3712:
	s_mov_b32 s2, 0
.LBB63_3713:
	s_delay_alu instid0(SALU_CYCLE_1)
	s_and_not1_b32 vcc_lo, exec_lo, s2
	s_cbranch_vccnz .LBB63_3715
; %bb.3714:
	s_wait_xcnt 0x0
	v_cvt_f32_i32_e32 v1, v8
	s_delay_alu instid0(VALU_DEP_1) | instskip(NEXT) | instid1(VALU_DEP_1)
	v_cvt_f16_f32_e32 v1, v1
	v_and_b32_e32 v1, 0xffff, v1
	global_store_b32 v[6:7], v1, off
.LBB63_3715:
	s_mov_b32 s2, 0
.LBB63_3716:
	s_delay_alu instid0(SALU_CYCLE_1)
	s_and_not1_b32 vcc_lo, exec_lo, s2
	s_cbranch_vccnz .LBB63_3725
; %bb.3717:
	s_cmp_lt_i32 s0, 6
	s_mov_b32 s2, -1
	s_cbranch_scc1 .LBB63_3723
; %bb.3718:
	s_cmp_gt_i32 s0, 6
	s_cbranch_scc0 .LBB63_3720
; %bb.3719:
	s_wait_xcnt 0x0
	v_cvt_f64_i32_e32 v[26:27], v8
	s_mov_b32 s2, 0
	global_store_b64 v[6:7], v[26:27], off
.LBB63_3720:
	s_and_not1_b32 vcc_lo, exec_lo, s2
	s_cbranch_vccnz .LBB63_3722
; %bb.3721:
	s_wait_xcnt 0x0
	v_cvt_f32_i32_e32 v1, v8
	global_store_b32 v[6:7], v1, off
.LBB63_3722:
	s_mov_b32 s2, 0
.LBB63_3723:
	s_delay_alu instid0(SALU_CYCLE_1)
	s_and_not1_b32 vcc_lo, exec_lo, s2
	s_cbranch_vccnz .LBB63_3725
; %bb.3724:
	s_wait_xcnt 0x0
	v_cvt_f32_i32_e32 v1, v8
	s_delay_alu instid0(VALU_DEP_1)
	v_cvt_f16_f32_e32 v1, v1
	global_store_b16 v[6:7], v1, off
.LBB63_3725:
	s_mov_b32 s2, 0
.LBB63_3726:
	s_delay_alu instid0(SALU_CYCLE_1)
	s_and_not1_b32 vcc_lo, exec_lo, s2
	s_cbranch_vccnz .LBB63_3742
; %bb.3727:
	s_cmp_lt_i32 s0, 2
	s_mov_b32 s2, -1
	s_cbranch_scc1 .LBB63_3737
; %bb.3728:
	s_cmp_lt_i32 s0, 3
	s_cbranch_scc1 .LBB63_3734
; %bb.3729:
	s_cmp_gt_i32 s0, 3
	s_cbranch_scc0 .LBB63_3731
; %bb.3730:
	s_wait_xcnt 0x0
	v_ashrrev_i32_e32 v9, 31, v8
	s_mov_b32 s2, 0
	global_store_b64 v[6:7], v[8:9], off
.LBB63_3731:
	s_and_not1_b32 vcc_lo, exec_lo, s2
	s_cbranch_vccnz .LBB63_3733
; %bb.3732:
	global_store_b32 v[6:7], v8, off
.LBB63_3733:
	s_mov_b32 s2, 0
.LBB63_3734:
	s_delay_alu instid0(SALU_CYCLE_1)
	s_and_not1_b32 vcc_lo, exec_lo, s2
	s_cbranch_vccnz .LBB63_3736
; %bb.3735:
	global_store_b16 v[6:7], v8, off
.LBB63_3736:
	s_mov_b32 s2, 0
.LBB63_3737:
	s_delay_alu instid0(SALU_CYCLE_1)
	s_and_not1_b32 vcc_lo, exec_lo, s2
	s_cbranch_vccnz .LBB63_3742
; %bb.3738:
	s_cmp_gt_i32 s0, 0
	s_mov_b32 s0, -1
	s_cbranch_scc0 .LBB63_3740
; %bb.3739:
	s_mov_b32 s0, 0
	global_store_b8 v[6:7], v8, off
.LBB63_3740:
	s_and_not1_b32 vcc_lo, exec_lo, s0
	s_cbranch_vccnz .LBB63_3742
; %bb.3741:
	global_store_b8 v[6:7], v8, off
.LBB63_3742:
	s_mov_b32 s6, -1
.LBB63_3743:
	s_delay_alu instid0(SALU_CYCLE_1)
	s_and_not1_b32 vcc_lo, exec_lo, s6
	s_cbranch_vccnz .LBB63_4058
; %bb.3744:
	s_wait_xcnt 0x0
	v_mul_lo_u32 v1, v5, s8
	v_mul_lo_u32 v3, v24, s9
	v_mov_b32_e32 v5, 0
	s_and_b32 s2, 0xffff, s1
	s_delay_alu instid0(SALU_CYCLE_1) | instskip(NEXT) | instid1(VALU_DEP_1)
	s_cmp_lt_i32 s2, 11
	v_add_nc_u64_e32 v[4:5], s[4:5], v[4:5]
	s_delay_alu instid0(VALU_DEP_3)
	v_mad_u32 v6, v3, v22, v1
	s_cbranch_scc1 .LBB63_3822
; %bb.3745:
	s_mov_b32 s7, -1
	s_mov_b32 s3, 0
	s_cmp_gt_i32 s2, 25
	s_mov_b32 s6, 0
	s_mov_b32 s0, 0
	s_cbranch_scc0 .LBB63_3778
; %bb.3746:
	s_cmp_gt_i32 s2, 28
	s_cbranch_scc0 .LBB63_3761
; %bb.3747:
	s_cmp_gt_i32 s2, 43
	;; [unrolled: 3-line block ×3, first 2 shown]
	s_cbranch_scc0 .LBB63_3751
; %bb.3749:
	s_mov_b32 s0, -1
	s_mov_b32 s7, 0
	s_cmp_eq_u32 s2, 46
	s_cbranch_scc0 .LBB63_3751
; %bb.3750:
	v_cvt_f32_i32_e32 v1, v6
	s_mov_b32 s0, 0
	s_mov_b32 s6, -1
	s_delay_alu instid0(VALU_DEP_1) | instskip(NEXT) | instid1(VALU_DEP_1)
	v_bfe_u32 v3, v1, 16, 1
	v_add3_u32 v1, v1, v3, 0x7fff
	s_delay_alu instid0(VALU_DEP_1)
	v_lshrrev_b32_e32 v1, 16, v1
	global_store_b32 v[4:5], v1, off
.LBB63_3751:
	s_and_b32 vcc_lo, exec_lo, s7
	s_cbranch_vccz .LBB63_3756
; %bb.3752:
	s_cmp_eq_u32 s2, 44
	s_mov_b32 s0, -1
	s_cbranch_scc0 .LBB63_3756
; %bb.3753:
	s_wait_xcnt 0x0
	v_cvt_f32_i32_e32 v1, v6
	v_mov_b32_e32 v3, 0xff
	s_mov_b32 s6, exec_lo
	s_delay_alu instid0(VALU_DEP_2) | instskip(NEXT) | instid1(VALU_DEP_1)
	v_bfe_u32 v7, v1, 23, 8
	v_cmpx_ne_u32_e32 0xff, v7
	s_cbranch_execz .LBB63_3755
; %bb.3754:
	v_and_b32_e32 v3, 0x400000, v1
	v_and_or_b32 v7, 0x3fffff, v1, v7
	v_lshrrev_b32_e32 v1, 23, v1
	s_delay_alu instid0(VALU_DEP_3) | instskip(NEXT) | instid1(VALU_DEP_3)
	v_cmp_ne_u32_e32 vcc_lo, 0, v3
	v_cmp_ne_u32_e64 s0, 0, v7
	s_and_b32 s0, vcc_lo, s0
	s_delay_alu instid0(SALU_CYCLE_1) | instskip(NEXT) | instid1(VALU_DEP_1)
	v_cndmask_b32_e64 v3, 0, 1, s0
	v_add_nc_u32_e32 v3, v1, v3
.LBB63_3755:
	s_or_b32 exec_lo, exec_lo, s6
	s_mov_b32 s0, 0
	s_mov_b32 s6, -1
	global_store_b8 v[4:5], v3, off
.LBB63_3756:
	s_mov_b32 s7, 0
.LBB63_3757:
	s_delay_alu instid0(SALU_CYCLE_1)
	s_and_b32 vcc_lo, exec_lo, s7
	s_cbranch_vccz .LBB63_3760
; %bb.3758:
	s_cmp_eq_u32 s2, 29
	s_mov_b32 s0, -1
	s_cbranch_scc0 .LBB63_3760
; %bb.3759:
	v_ashrrev_i32_e32 v7, 31, v6
	s_mov_b32 s0, 0
	s_mov_b32 s6, -1
	global_store_b64 v[4:5], v[6:7], off
.LBB63_3760:
	s_mov_b32 s7, 0
.LBB63_3761:
	s_delay_alu instid0(SALU_CYCLE_1)
	s_and_b32 vcc_lo, exec_lo, s7
	s_cbranch_vccz .LBB63_3777
; %bb.3762:
	s_cmp_lt_i32 s2, 27
	s_mov_b32 s6, -1
	s_cbranch_scc1 .LBB63_3768
; %bb.3763:
	s_cmp_gt_i32 s2, 27
	s_cbranch_scc0 .LBB63_3765
; %bb.3764:
	s_mov_b32 s6, 0
	global_store_b32 v[4:5], v6, off
.LBB63_3765:
	s_and_not1_b32 vcc_lo, exec_lo, s6
	s_cbranch_vccnz .LBB63_3767
; %bb.3766:
	global_store_b16 v[4:5], v6, off
.LBB63_3767:
	s_mov_b32 s6, 0
.LBB63_3768:
	s_delay_alu instid0(SALU_CYCLE_1)
	s_and_not1_b32 vcc_lo, exec_lo, s6
	s_cbranch_vccnz .LBB63_3776
; %bb.3769:
	s_wait_xcnt 0x0
	v_cvt_f32_i32_e32 v1, v6
	v_mov_b32_e32 v7, 0x80
	s_mov_b32 s6, exec_lo
	s_delay_alu instid0(VALU_DEP_2) | instskip(NEXT) | instid1(VALU_DEP_1)
	v_and_b32_e32 v3, 0x7fffffff, v1
	v_cmpx_gt_u32_e32 0x43800000, v3
	s_cbranch_execz .LBB63_3775
; %bb.3770:
	v_cmp_lt_u32_e32 vcc_lo, 0x3bffffff, v3
	s_mov_b32 s7, 0
                                        ; implicit-def: $vgpr3
	s_and_saveexec_b32 s10, vcc_lo
	s_delay_alu instid0(SALU_CYCLE_1)
	s_xor_b32 s10, exec_lo, s10
	s_cbranch_execz .LBB63_4110
; %bb.3771:
	v_bfe_u32 v3, v1, 20, 1
	s_mov_b32 s7, exec_lo
	s_delay_alu instid0(VALU_DEP_1) | instskip(NEXT) | instid1(VALU_DEP_1)
	v_add3_u32 v3, v1, v3, 0x487ffff
	v_lshrrev_b32_e32 v3, 20, v3
	s_and_not1_saveexec_b32 s10, s10
	s_cbranch_execnz .LBB63_4111
.LBB63_3772:
	s_or_b32 exec_lo, exec_lo, s10
	v_mov_b32_e32 v7, 0
	s_and_saveexec_b32 s10, s7
.LBB63_3773:
	v_lshrrev_b32_e32 v1, 24, v1
	s_delay_alu instid0(VALU_DEP_1)
	v_and_or_b32 v7, 0x80, v1, v3
.LBB63_3774:
	s_or_b32 exec_lo, exec_lo, s10
.LBB63_3775:
	s_delay_alu instid0(SALU_CYCLE_1)
	s_or_b32 exec_lo, exec_lo, s6
	global_store_b8 v[4:5], v7, off
.LBB63_3776:
	s_mov_b32 s6, -1
.LBB63_3777:
	s_mov_b32 s7, 0
.LBB63_3778:
	s_delay_alu instid0(SALU_CYCLE_1)
	s_and_b32 vcc_lo, exec_lo, s7
	s_cbranch_vccz .LBB63_3818
; %bb.3779:
	s_cmp_gt_i32 s2, 22
	s_mov_b32 s3, -1
	s_cbranch_scc0 .LBB63_3811
; %bb.3780:
	s_cmp_lt_i32 s2, 24
	s_cbranch_scc1 .LBB63_3800
; %bb.3781:
	s_cmp_gt_i32 s2, 24
	s_cbranch_scc0 .LBB63_3789
; %bb.3782:
	s_wait_xcnt 0x0
	v_cvt_f32_i32_e32 v1, v6
	v_mov_b32_e32 v7, 0x80
	s_mov_b32 s3, exec_lo
	s_delay_alu instid0(VALU_DEP_2) | instskip(NEXT) | instid1(VALU_DEP_1)
	v_and_b32_e32 v3, 0x7fffffff, v1
	v_cmpx_gt_u32_e32 0x47800000, v3
	s_cbranch_execz .LBB63_3788
; %bb.3783:
	v_cmp_lt_u32_e32 vcc_lo, 0x37ffffff, v3
	s_mov_b32 s6, 0
                                        ; implicit-def: $vgpr3
	s_and_saveexec_b32 s7, vcc_lo
	s_delay_alu instid0(SALU_CYCLE_1)
	s_xor_b32 s7, exec_lo, s7
	s_cbranch_execz .LBB63_4113
; %bb.3784:
	v_bfe_u32 v3, v1, 21, 1
	s_mov_b32 s6, exec_lo
	s_delay_alu instid0(VALU_DEP_1) | instskip(NEXT) | instid1(VALU_DEP_1)
	v_add3_u32 v3, v1, v3, 0x88fffff
	v_lshrrev_b32_e32 v3, 21, v3
	s_and_not1_saveexec_b32 s7, s7
	s_cbranch_execnz .LBB63_4114
.LBB63_3785:
	s_or_b32 exec_lo, exec_lo, s7
	v_mov_b32_e32 v7, 0
	s_and_saveexec_b32 s7, s6
.LBB63_3786:
	v_lshrrev_b32_e32 v1, 24, v1
	s_delay_alu instid0(VALU_DEP_1)
	v_and_or_b32 v7, 0x80, v1, v3
.LBB63_3787:
	s_or_b32 exec_lo, exec_lo, s7
.LBB63_3788:
	s_delay_alu instid0(SALU_CYCLE_1)
	s_or_b32 exec_lo, exec_lo, s3
	s_mov_b32 s3, 0
	global_store_b8 v[4:5], v7, off
.LBB63_3789:
	s_and_b32 vcc_lo, exec_lo, s3
	s_cbranch_vccz .LBB63_3799
; %bb.3790:
	s_wait_xcnt 0x0
	v_cvt_f32_i32_e32 v1, v6
	s_mov_b32 s3, exec_lo
                                        ; implicit-def: $vgpr3
	s_delay_alu instid0(VALU_DEP_1) | instskip(NEXT) | instid1(VALU_DEP_1)
	v_and_b32_e32 v7, 0x7fffffff, v1
	v_cmpx_gt_u32_e32 0x43f00000, v7
	s_xor_b32 s3, exec_lo, s3
	s_cbranch_execz .LBB63_3796
; %bb.3791:
	s_mov_b32 s6, exec_lo
                                        ; implicit-def: $vgpr3
	v_cmpx_lt_u32_e32 0x3c7fffff, v7
	s_xor_b32 s6, exec_lo, s6
; %bb.3792:
	v_bfe_u32 v3, v1, 20, 1
	s_delay_alu instid0(VALU_DEP_1) | instskip(NEXT) | instid1(VALU_DEP_1)
	v_add3_u32 v3, v1, v3, 0x407ffff
	v_and_b32_e32 v7, 0xff00000, v3
	v_lshrrev_b32_e32 v3, 20, v3
	s_delay_alu instid0(VALU_DEP_2) | instskip(NEXT) | instid1(VALU_DEP_2)
	v_cmp_ne_u32_e32 vcc_lo, 0x7f00000, v7
	v_cndmask_b32_e32 v3, 0x7e, v3, vcc_lo
; %bb.3793:
	s_and_not1_saveexec_b32 s6, s6
; %bb.3794:
	v_add_f32_e64 v3, 0x46800000, |v1|
; %bb.3795:
	s_or_b32 exec_lo, exec_lo, s6
                                        ; implicit-def: $vgpr7
.LBB63_3796:
	s_and_not1_saveexec_b32 s3, s3
; %bb.3797:
	v_mov_b32_e32 v3, 0x7f
	v_cmp_lt_u32_e32 vcc_lo, 0x7f800000, v7
	s_delay_alu instid0(VALU_DEP_2)
	v_cndmask_b32_e32 v3, 0x7e, v3, vcc_lo
; %bb.3798:
	s_or_b32 exec_lo, exec_lo, s3
	v_lshrrev_b32_e32 v1, 24, v1
	s_delay_alu instid0(VALU_DEP_1)
	v_and_or_b32 v1, 0x80, v1, v3
	global_store_b8 v[4:5], v1, off
.LBB63_3799:
	s_mov_b32 s3, 0
.LBB63_3800:
	s_delay_alu instid0(SALU_CYCLE_1)
	s_and_not1_b32 vcc_lo, exec_lo, s3
	s_cbranch_vccnz .LBB63_3810
; %bb.3801:
	s_wait_xcnt 0x0
	v_cvt_f32_i32_e32 v1, v6
	s_mov_b32 s3, exec_lo
                                        ; implicit-def: $vgpr3
	s_delay_alu instid0(VALU_DEP_1) | instskip(NEXT) | instid1(VALU_DEP_1)
	v_and_b32_e32 v7, 0x7fffffff, v1
	v_cmpx_gt_u32_e32 0x47800000, v7
	s_xor_b32 s3, exec_lo, s3
	s_cbranch_execz .LBB63_3807
; %bb.3802:
	s_mov_b32 s6, exec_lo
                                        ; implicit-def: $vgpr3
	v_cmpx_lt_u32_e32 0x387fffff, v7
	s_xor_b32 s6, exec_lo, s6
; %bb.3803:
	v_bfe_u32 v3, v1, 21, 1
	s_delay_alu instid0(VALU_DEP_1) | instskip(NEXT) | instid1(VALU_DEP_1)
	v_add3_u32 v3, v1, v3, 0x80fffff
	v_lshrrev_b32_e32 v3, 21, v3
; %bb.3804:
	s_and_not1_saveexec_b32 s6, s6
; %bb.3805:
	v_add_f32_e64 v3, 0x43000000, |v1|
; %bb.3806:
	s_or_b32 exec_lo, exec_lo, s6
                                        ; implicit-def: $vgpr7
.LBB63_3807:
	s_and_not1_saveexec_b32 s3, s3
; %bb.3808:
	v_mov_b32_e32 v3, 0x7f
	v_cmp_lt_u32_e32 vcc_lo, 0x7f800000, v7
	s_delay_alu instid0(VALU_DEP_2)
	v_cndmask_b32_e32 v3, 0x7c, v3, vcc_lo
; %bb.3809:
	s_or_b32 exec_lo, exec_lo, s3
	v_lshrrev_b32_e32 v1, 24, v1
	s_delay_alu instid0(VALU_DEP_1)
	v_and_or_b32 v1, 0x80, v1, v3
	global_store_b8 v[4:5], v1, off
.LBB63_3810:
	s_mov_b32 s3, 0
	s_mov_b32 s6, -1
.LBB63_3811:
	s_and_not1_b32 vcc_lo, exec_lo, s3
	s_mov_b32 s3, 0
	s_cbranch_vccnz .LBB63_3818
; %bb.3812:
	s_cmp_gt_i32 s2, 14
	s_mov_b32 s3, -1
	s_cbranch_scc0 .LBB63_3816
; %bb.3813:
	s_cmp_eq_u32 s2, 15
	s_mov_b32 s0, -1
	s_cbranch_scc0 .LBB63_3815
; %bb.3814:
	s_wait_xcnt 0x0
	v_cvt_f32_i32_e32 v1, v6
	s_mov_b32 s0, 0
	s_mov_b32 s6, -1
	s_delay_alu instid0(VALU_DEP_1) | instskip(NEXT) | instid1(VALU_DEP_1)
	v_bfe_u32 v3, v1, 16, 1
	v_add3_u32 v1, v1, v3, 0x7fff
	global_store_d16_hi_b16 v[4:5], v1, off
.LBB63_3815:
	s_mov_b32 s3, 0
.LBB63_3816:
	s_delay_alu instid0(SALU_CYCLE_1)
	s_and_b32 vcc_lo, exec_lo, s3
	s_mov_b32 s3, 0
	s_cbranch_vccz .LBB63_3818
; %bb.3817:
	s_cmp_lg_u32 s2, 11
	s_mov_b32 s3, -1
	s_cselect_b32 s0, -1, 0
.LBB63_3818:
	s_delay_alu instid0(SALU_CYCLE_1)
	s_and_b32 vcc_lo, exec_lo, s0
	s_cbranch_vccnz .LBB63_4112
; %bb.3819:
	s_and_not1_b32 vcc_lo, exec_lo, s3
	s_cbranch_vccnz .LBB63_3821
.LBB63_3820:
	v_cmp_ne_u32_e32 vcc_lo, 0, v6
	s_mov_b32 s6, -1
	s_wait_xcnt 0x0
	v_cndmask_b32_e64 v1, 0, 1, vcc_lo
	global_store_b8 v[4:5], v1, off
.LBB63_3821:
	s_mov_b32 s0, 0
	s_branch .LBB63_3823
.LBB63_3822:
	s_mov_b32 s0, -1
	s_mov_b32 s6, 0
.LBB63_3823:
	s_and_b32 vcc_lo, exec_lo, s0
	s_cbranch_vccz .LBB63_3862
; %bb.3824:
	s_cmp_lt_i32 s2, 5
	s_mov_b32 s0, -1
	s_cbranch_scc1 .LBB63_3845
; %bb.3825:
	s_cmp_lt_i32 s2, 8
	s_cbranch_scc1 .LBB63_3835
; %bb.3826:
	s_cmp_lt_i32 s2, 9
	s_cbranch_scc1 .LBB63_3832
; %bb.3827:
	s_cmp_gt_i32 s2, 9
	s_cbranch_scc0 .LBB63_3829
; %bb.3828:
	v_cvt_f64_i32_e32 v[22:23], v6
	v_mov_b32_e32 v24, 0
	s_mov_b32 s0, 0
	s_delay_alu instid0(VALU_DEP_1)
	v_mov_b32_e32 v25, v24
	global_store_b128 v[4:5], v[22:25], off
.LBB63_3829:
	s_and_not1_b32 vcc_lo, exec_lo, s0
	s_cbranch_vccnz .LBB63_3831
; %bb.3830:
	v_cvt_f32_i32_e32 v8, v6
	v_mov_b32_e32 v9, 0
	global_store_b64 v[4:5], v[8:9], off
.LBB63_3831:
	s_mov_b32 s0, 0
.LBB63_3832:
	s_delay_alu instid0(SALU_CYCLE_1)
	s_and_not1_b32 vcc_lo, exec_lo, s0
	s_cbranch_vccnz .LBB63_3834
; %bb.3833:
	s_wait_xcnt 0x0
	v_cvt_f32_i32_e32 v1, v6
	s_delay_alu instid0(VALU_DEP_1) | instskip(NEXT) | instid1(VALU_DEP_1)
	v_cvt_f16_f32_e32 v1, v1
	v_and_b32_e32 v1, 0xffff, v1
	global_store_b32 v[4:5], v1, off
.LBB63_3834:
	s_mov_b32 s0, 0
.LBB63_3835:
	s_delay_alu instid0(SALU_CYCLE_1)
	s_and_not1_b32 vcc_lo, exec_lo, s0
	s_cbranch_vccnz .LBB63_3844
; %bb.3836:
	s_cmp_lt_i32 s2, 6
	s_mov_b32 s0, -1
	s_cbranch_scc1 .LBB63_3842
; %bb.3837:
	s_cmp_gt_i32 s2, 6
	s_cbranch_scc0 .LBB63_3839
; %bb.3838:
	s_wait_xcnt 0x0
	v_cvt_f64_i32_e32 v[8:9], v6
	s_mov_b32 s0, 0
	global_store_b64 v[4:5], v[8:9], off
.LBB63_3839:
	s_and_not1_b32 vcc_lo, exec_lo, s0
	s_cbranch_vccnz .LBB63_3841
; %bb.3840:
	s_wait_xcnt 0x0
	v_cvt_f32_i32_e32 v1, v6
	global_store_b32 v[4:5], v1, off
.LBB63_3841:
	s_mov_b32 s0, 0
.LBB63_3842:
	s_delay_alu instid0(SALU_CYCLE_1)
	s_and_not1_b32 vcc_lo, exec_lo, s0
	s_cbranch_vccnz .LBB63_3844
; %bb.3843:
	s_wait_xcnt 0x0
	v_cvt_f32_i32_e32 v1, v6
	s_delay_alu instid0(VALU_DEP_1)
	v_cvt_f16_f32_e32 v1, v1
	global_store_b16 v[4:5], v1, off
.LBB63_3844:
	s_mov_b32 s0, 0
.LBB63_3845:
	s_delay_alu instid0(SALU_CYCLE_1)
	s_and_not1_b32 vcc_lo, exec_lo, s0
	s_cbranch_vccnz .LBB63_3861
; %bb.3846:
	s_cmp_lt_i32 s2, 2
	s_mov_b32 s0, -1
	s_cbranch_scc1 .LBB63_3856
; %bb.3847:
	s_cmp_lt_i32 s2, 3
	s_cbranch_scc1 .LBB63_3853
; %bb.3848:
	s_cmp_gt_i32 s2, 3
	s_cbranch_scc0 .LBB63_3850
; %bb.3849:
	s_wait_xcnt 0x0
	v_ashrrev_i32_e32 v7, 31, v6
	s_mov_b32 s0, 0
	global_store_b64 v[4:5], v[6:7], off
.LBB63_3850:
	s_and_not1_b32 vcc_lo, exec_lo, s0
	s_cbranch_vccnz .LBB63_3852
; %bb.3851:
	global_store_b32 v[4:5], v6, off
.LBB63_3852:
	s_mov_b32 s0, 0
.LBB63_3853:
	s_delay_alu instid0(SALU_CYCLE_1)
	s_and_not1_b32 vcc_lo, exec_lo, s0
	s_cbranch_vccnz .LBB63_3855
; %bb.3854:
	global_store_b16 v[4:5], v6, off
.LBB63_3855:
	s_mov_b32 s0, 0
.LBB63_3856:
	s_delay_alu instid0(SALU_CYCLE_1)
	s_and_not1_b32 vcc_lo, exec_lo, s0
	s_cbranch_vccnz .LBB63_3861
; %bb.3857:
	s_cmp_gt_i32 s2, 0
	s_mov_b32 s0, -1
	s_cbranch_scc0 .LBB63_3859
; %bb.3858:
	s_mov_b32 s0, 0
	global_store_b8 v[4:5], v6, off
.LBB63_3859:
	s_and_not1_b32 vcc_lo, exec_lo, s0
	s_cbranch_vccnz .LBB63_3861
; %bb.3860:
	global_store_b8 v[4:5], v6, off
.LBB63_3861:
	s_mov_b32 s6, -1
.LBB63_3862:
	s_delay_alu instid0(SALU_CYCLE_1)
	s_and_not1_b32 vcc_lo, exec_lo, s6
	s_cbranch_vccnz .LBB63_4058
; %bb.3863:
	s_wait_xcnt 0x0
	v_mul_lo_u32 v1, v20, s8
	v_mul_lo_u32 v4, v18, s9
	v_mov_b32_e32 v3, 0
	s_cmp_lt_i32 s2, 11
	s_delay_alu instid0(VALU_DEP_1) | instskip(NEXT) | instid1(VALU_DEP_3)
	v_add_nc_u64_e32 v[2:3], s[4:5], v[2:3]
	v_mad_u32 v4, v4, v16, v1
	s_cbranch_scc1 .LBB63_3941
; %bb.3864:
	s_mov_b32 s7, -1
	s_mov_b32 s3, 0
	s_cmp_gt_i32 s2, 25
	s_mov_b32 s6, 0
	s_mov_b32 s0, 0
	s_cbranch_scc0 .LBB63_3897
; %bb.3865:
	s_cmp_gt_i32 s2, 28
	s_cbranch_scc0 .LBB63_3880
; %bb.3866:
	s_cmp_gt_i32 s2, 43
	;; [unrolled: 3-line block ×3, first 2 shown]
	s_cbranch_scc0 .LBB63_3870
; %bb.3868:
	s_mov_b32 s0, -1
	s_mov_b32 s7, 0
	s_cmp_eq_u32 s2, 46
	s_cbranch_scc0 .LBB63_3870
; %bb.3869:
	v_cvt_f32_i32_e32 v1, v4
	s_mov_b32 s0, 0
	s_mov_b32 s6, -1
	s_delay_alu instid0(VALU_DEP_1) | instskip(NEXT) | instid1(VALU_DEP_1)
	v_bfe_u32 v5, v1, 16, 1
	v_add3_u32 v1, v1, v5, 0x7fff
	s_delay_alu instid0(VALU_DEP_1)
	v_lshrrev_b32_e32 v1, 16, v1
	global_store_b32 v[2:3], v1, off
.LBB63_3870:
	s_and_b32 vcc_lo, exec_lo, s7
	s_cbranch_vccz .LBB63_3875
; %bb.3871:
	s_cmp_eq_u32 s2, 44
	s_mov_b32 s0, -1
	s_cbranch_scc0 .LBB63_3875
; %bb.3872:
	s_wait_xcnt 0x0
	v_cvt_f32_i32_e32 v1, v4
	v_mov_b32_e32 v5, 0xff
	s_mov_b32 s6, exec_lo
	s_delay_alu instid0(VALU_DEP_2) | instskip(NEXT) | instid1(VALU_DEP_1)
	v_bfe_u32 v6, v1, 23, 8
	v_cmpx_ne_u32_e32 0xff, v6
	s_cbranch_execz .LBB63_3874
; %bb.3873:
	v_and_b32_e32 v5, 0x400000, v1
	v_and_or_b32 v6, 0x3fffff, v1, v6
	v_lshrrev_b32_e32 v1, 23, v1
	s_delay_alu instid0(VALU_DEP_3) | instskip(NEXT) | instid1(VALU_DEP_3)
	v_cmp_ne_u32_e32 vcc_lo, 0, v5
	v_cmp_ne_u32_e64 s0, 0, v6
	s_and_b32 s0, vcc_lo, s0
	s_delay_alu instid0(SALU_CYCLE_1) | instskip(NEXT) | instid1(VALU_DEP_1)
	v_cndmask_b32_e64 v5, 0, 1, s0
	v_add_nc_u32_e32 v5, v1, v5
.LBB63_3874:
	s_or_b32 exec_lo, exec_lo, s6
	s_mov_b32 s0, 0
	s_mov_b32 s6, -1
	global_store_b8 v[2:3], v5, off
.LBB63_3875:
	s_mov_b32 s7, 0
.LBB63_3876:
	s_delay_alu instid0(SALU_CYCLE_1)
	s_and_b32 vcc_lo, exec_lo, s7
	s_cbranch_vccz .LBB63_3879
; %bb.3877:
	s_cmp_eq_u32 s2, 29
	s_mov_b32 s0, -1
	s_cbranch_scc0 .LBB63_3879
; %bb.3878:
	s_wait_xcnt 0x0
	v_ashrrev_i32_e32 v5, 31, v4
	s_mov_b32 s0, 0
	s_mov_b32 s6, -1
	global_store_b64 v[2:3], v[4:5], off
.LBB63_3879:
	s_mov_b32 s7, 0
.LBB63_3880:
	s_delay_alu instid0(SALU_CYCLE_1)
	s_and_b32 vcc_lo, exec_lo, s7
	s_cbranch_vccz .LBB63_3896
; %bb.3881:
	s_cmp_lt_i32 s2, 27
	s_mov_b32 s6, -1
	s_cbranch_scc1 .LBB63_3887
; %bb.3882:
	s_cmp_gt_i32 s2, 27
	s_cbranch_scc0 .LBB63_3884
; %bb.3883:
	s_mov_b32 s6, 0
	global_store_b32 v[2:3], v4, off
.LBB63_3884:
	s_and_not1_b32 vcc_lo, exec_lo, s6
	s_cbranch_vccnz .LBB63_3886
; %bb.3885:
	global_store_b16 v[2:3], v4, off
.LBB63_3886:
	s_mov_b32 s6, 0
.LBB63_3887:
	s_delay_alu instid0(SALU_CYCLE_1)
	s_and_not1_b32 vcc_lo, exec_lo, s6
	s_cbranch_vccnz .LBB63_3895
; %bb.3888:
	s_wait_xcnt 0x0
	v_cvt_f32_i32_e32 v1, v4
	v_mov_b32_e32 v6, 0x80
	s_mov_b32 s6, exec_lo
	s_delay_alu instid0(VALU_DEP_2) | instskip(NEXT) | instid1(VALU_DEP_1)
	v_and_b32_e32 v5, 0x7fffffff, v1
	v_cmpx_gt_u32_e32 0x43800000, v5
	s_cbranch_execz .LBB63_3894
; %bb.3889:
	v_cmp_lt_u32_e32 vcc_lo, 0x3bffffff, v5
	s_mov_b32 s7, 0
                                        ; implicit-def: $vgpr5
	s_and_saveexec_b32 s10, vcc_lo
	s_delay_alu instid0(SALU_CYCLE_1)
	s_xor_b32 s10, exec_lo, s10
	s_cbranch_execz .LBB63_4115
; %bb.3890:
	v_bfe_u32 v5, v1, 20, 1
	s_mov_b32 s7, exec_lo
	s_delay_alu instid0(VALU_DEP_1) | instskip(NEXT) | instid1(VALU_DEP_1)
	v_add3_u32 v5, v1, v5, 0x487ffff
	v_lshrrev_b32_e32 v5, 20, v5
	s_and_not1_saveexec_b32 s10, s10
	s_cbranch_execnz .LBB63_4116
.LBB63_3891:
	s_or_b32 exec_lo, exec_lo, s10
	v_mov_b32_e32 v6, 0
	s_and_saveexec_b32 s10, s7
.LBB63_3892:
	v_lshrrev_b32_e32 v1, 24, v1
	s_delay_alu instid0(VALU_DEP_1)
	v_and_or_b32 v6, 0x80, v1, v5
.LBB63_3893:
	s_or_b32 exec_lo, exec_lo, s10
.LBB63_3894:
	s_delay_alu instid0(SALU_CYCLE_1)
	s_or_b32 exec_lo, exec_lo, s6
	global_store_b8 v[2:3], v6, off
.LBB63_3895:
	s_mov_b32 s6, -1
.LBB63_3896:
	s_mov_b32 s7, 0
.LBB63_3897:
	s_delay_alu instid0(SALU_CYCLE_1)
	s_and_b32 vcc_lo, exec_lo, s7
	s_cbranch_vccz .LBB63_3937
; %bb.3898:
	s_cmp_gt_i32 s2, 22
	s_mov_b32 s3, -1
	s_cbranch_scc0 .LBB63_3930
; %bb.3899:
	s_cmp_lt_i32 s2, 24
	s_cbranch_scc1 .LBB63_3919
; %bb.3900:
	s_cmp_gt_i32 s2, 24
	s_cbranch_scc0 .LBB63_3908
; %bb.3901:
	s_wait_xcnt 0x0
	v_cvt_f32_i32_e32 v1, v4
	v_mov_b32_e32 v6, 0x80
	s_mov_b32 s3, exec_lo
	s_delay_alu instid0(VALU_DEP_2) | instskip(NEXT) | instid1(VALU_DEP_1)
	v_and_b32_e32 v5, 0x7fffffff, v1
	v_cmpx_gt_u32_e32 0x47800000, v5
	s_cbranch_execz .LBB63_3907
; %bb.3902:
	v_cmp_lt_u32_e32 vcc_lo, 0x37ffffff, v5
	s_mov_b32 s6, 0
                                        ; implicit-def: $vgpr5
	s_and_saveexec_b32 s7, vcc_lo
	s_delay_alu instid0(SALU_CYCLE_1)
	s_xor_b32 s7, exec_lo, s7
	s_cbranch_execz .LBB63_4118
; %bb.3903:
	v_bfe_u32 v5, v1, 21, 1
	s_mov_b32 s6, exec_lo
	s_delay_alu instid0(VALU_DEP_1) | instskip(NEXT) | instid1(VALU_DEP_1)
	v_add3_u32 v5, v1, v5, 0x88fffff
	v_lshrrev_b32_e32 v5, 21, v5
	s_and_not1_saveexec_b32 s7, s7
	s_cbranch_execnz .LBB63_4119
.LBB63_3904:
	s_or_b32 exec_lo, exec_lo, s7
	v_mov_b32_e32 v6, 0
	s_and_saveexec_b32 s7, s6
.LBB63_3905:
	v_lshrrev_b32_e32 v1, 24, v1
	s_delay_alu instid0(VALU_DEP_1)
	v_and_or_b32 v6, 0x80, v1, v5
.LBB63_3906:
	s_or_b32 exec_lo, exec_lo, s7
.LBB63_3907:
	s_delay_alu instid0(SALU_CYCLE_1)
	s_or_b32 exec_lo, exec_lo, s3
	s_mov_b32 s3, 0
	global_store_b8 v[2:3], v6, off
.LBB63_3908:
	s_and_b32 vcc_lo, exec_lo, s3
	s_cbranch_vccz .LBB63_3918
; %bb.3909:
	s_wait_xcnt 0x0
	v_cvt_f32_i32_e32 v1, v4
	s_mov_b32 s3, exec_lo
                                        ; implicit-def: $vgpr5
	s_delay_alu instid0(VALU_DEP_1) | instskip(NEXT) | instid1(VALU_DEP_1)
	v_and_b32_e32 v6, 0x7fffffff, v1
	v_cmpx_gt_u32_e32 0x43f00000, v6
	s_xor_b32 s3, exec_lo, s3
	s_cbranch_execz .LBB63_3915
; %bb.3910:
	s_mov_b32 s6, exec_lo
                                        ; implicit-def: $vgpr5
	v_cmpx_lt_u32_e32 0x3c7fffff, v6
	s_xor_b32 s6, exec_lo, s6
; %bb.3911:
	v_bfe_u32 v5, v1, 20, 1
	s_delay_alu instid0(VALU_DEP_1) | instskip(NEXT) | instid1(VALU_DEP_1)
	v_add3_u32 v5, v1, v5, 0x407ffff
	v_and_b32_e32 v6, 0xff00000, v5
	v_lshrrev_b32_e32 v5, 20, v5
	s_delay_alu instid0(VALU_DEP_2) | instskip(NEXT) | instid1(VALU_DEP_2)
	v_cmp_ne_u32_e32 vcc_lo, 0x7f00000, v6
	v_cndmask_b32_e32 v5, 0x7e, v5, vcc_lo
; %bb.3912:
	s_and_not1_saveexec_b32 s6, s6
; %bb.3913:
	v_add_f32_e64 v5, 0x46800000, |v1|
; %bb.3914:
	s_or_b32 exec_lo, exec_lo, s6
                                        ; implicit-def: $vgpr6
.LBB63_3915:
	s_and_not1_saveexec_b32 s3, s3
; %bb.3916:
	v_mov_b32_e32 v5, 0x7f
	v_cmp_lt_u32_e32 vcc_lo, 0x7f800000, v6
	s_delay_alu instid0(VALU_DEP_2)
	v_cndmask_b32_e32 v5, 0x7e, v5, vcc_lo
; %bb.3917:
	s_or_b32 exec_lo, exec_lo, s3
	v_lshrrev_b32_e32 v1, 24, v1
	s_delay_alu instid0(VALU_DEP_1)
	v_and_or_b32 v1, 0x80, v1, v5
	global_store_b8 v[2:3], v1, off
.LBB63_3918:
	s_mov_b32 s3, 0
.LBB63_3919:
	s_delay_alu instid0(SALU_CYCLE_1)
	s_and_not1_b32 vcc_lo, exec_lo, s3
	s_cbranch_vccnz .LBB63_3929
; %bb.3920:
	s_wait_xcnt 0x0
	v_cvt_f32_i32_e32 v1, v4
	s_mov_b32 s3, exec_lo
                                        ; implicit-def: $vgpr5
	s_delay_alu instid0(VALU_DEP_1) | instskip(NEXT) | instid1(VALU_DEP_1)
	v_and_b32_e32 v6, 0x7fffffff, v1
	v_cmpx_gt_u32_e32 0x47800000, v6
	s_xor_b32 s3, exec_lo, s3
	s_cbranch_execz .LBB63_3926
; %bb.3921:
	s_mov_b32 s6, exec_lo
                                        ; implicit-def: $vgpr5
	v_cmpx_lt_u32_e32 0x387fffff, v6
	s_xor_b32 s6, exec_lo, s6
; %bb.3922:
	v_bfe_u32 v5, v1, 21, 1
	s_delay_alu instid0(VALU_DEP_1) | instskip(NEXT) | instid1(VALU_DEP_1)
	v_add3_u32 v5, v1, v5, 0x80fffff
	v_lshrrev_b32_e32 v5, 21, v5
; %bb.3923:
	s_and_not1_saveexec_b32 s6, s6
; %bb.3924:
	v_add_f32_e64 v5, 0x43000000, |v1|
; %bb.3925:
	s_or_b32 exec_lo, exec_lo, s6
                                        ; implicit-def: $vgpr6
.LBB63_3926:
	s_and_not1_saveexec_b32 s3, s3
; %bb.3927:
	v_mov_b32_e32 v5, 0x7f
	v_cmp_lt_u32_e32 vcc_lo, 0x7f800000, v6
	s_delay_alu instid0(VALU_DEP_2)
	v_cndmask_b32_e32 v5, 0x7c, v5, vcc_lo
; %bb.3928:
	s_or_b32 exec_lo, exec_lo, s3
	v_lshrrev_b32_e32 v1, 24, v1
	s_delay_alu instid0(VALU_DEP_1)
	v_and_or_b32 v1, 0x80, v1, v5
	global_store_b8 v[2:3], v1, off
.LBB63_3929:
	s_mov_b32 s3, 0
	s_mov_b32 s6, -1
.LBB63_3930:
	s_and_not1_b32 vcc_lo, exec_lo, s3
	s_mov_b32 s3, 0
	s_cbranch_vccnz .LBB63_3937
; %bb.3931:
	s_cmp_gt_i32 s2, 14
	s_mov_b32 s3, -1
	s_cbranch_scc0 .LBB63_3935
; %bb.3932:
	s_cmp_eq_u32 s2, 15
	s_mov_b32 s0, -1
	s_cbranch_scc0 .LBB63_3934
; %bb.3933:
	s_wait_xcnt 0x0
	v_cvt_f32_i32_e32 v1, v4
	s_mov_b32 s0, 0
	s_mov_b32 s6, -1
	s_delay_alu instid0(VALU_DEP_1) | instskip(NEXT) | instid1(VALU_DEP_1)
	v_bfe_u32 v5, v1, 16, 1
	v_add3_u32 v1, v1, v5, 0x7fff
	global_store_d16_hi_b16 v[2:3], v1, off
.LBB63_3934:
	s_mov_b32 s3, 0
.LBB63_3935:
	s_delay_alu instid0(SALU_CYCLE_1)
	s_and_b32 vcc_lo, exec_lo, s3
	s_mov_b32 s3, 0
	s_cbranch_vccz .LBB63_3937
; %bb.3936:
	s_cmp_lg_u32 s2, 11
	s_mov_b32 s3, -1
	s_cselect_b32 s0, -1, 0
.LBB63_3937:
	s_delay_alu instid0(SALU_CYCLE_1)
	s_and_b32 vcc_lo, exec_lo, s0
	s_cbranch_vccnz .LBB63_4117
; %bb.3938:
	s_and_not1_b32 vcc_lo, exec_lo, s3
	s_cbranch_vccnz .LBB63_3940
.LBB63_3939:
	v_cmp_ne_u32_e32 vcc_lo, 0, v4
	s_mov_b32 s6, -1
	s_wait_xcnt 0x0
	v_cndmask_b32_e64 v1, 0, 1, vcc_lo
	global_store_b8 v[2:3], v1, off
.LBB63_3940:
	s_mov_b32 s0, 0
	s_branch .LBB63_3942
.LBB63_3941:
	s_mov_b32 s0, -1
	s_mov_b32 s6, 0
.LBB63_3942:
	s_and_b32 vcc_lo, exec_lo, s0
	s_cbranch_vccz .LBB63_3981
; %bb.3943:
	s_cmp_lt_i32 s2, 5
	s_mov_b32 s0, -1
	s_cbranch_scc1 .LBB63_3964
; %bb.3944:
	s_cmp_lt_i32 s2, 8
	s_cbranch_scc1 .LBB63_3954
; %bb.3945:
	s_cmp_lt_i32 s2, 9
	s_cbranch_scc1 .LBB63_3951
; %bb.3946:
	s_cmp_gt_i32 s2, 9
	s_cbranch_scc0 .LBB63_3948
; %bb.3947:
	s_wait_xcnt 0x0
	v_cvt_f64_i32_e32 v[6:7], v4
	v_mov_b32_e32 v8, 0
	s_mov_b32 s0, 0
	s_delay_alu instid0(VALU_DEP_1)
	v_mov_b32_e32 v9, v8
	global_store_b128 v[2:3], v[6:9], off
.LBB63_3948:
	s_and_not1_b32 vcc_lo, exec_lo, s0
	s_cbranch_vccnz .LBB63_3950
; %bb.3949:
	s_wait_xcnt 0x0
	v_cvt_f32_i32_e32 v6, v4
	v_mov_b32_e32 v7, 0
	global_store_b64 v[2:3], v[6:7], off
.LBB63_3950:
	s_mov_b32 s0, 0
.LBB63_3951:
	s_delay_alu instid0(SALU_CYCLE_1)
	s_and_not1_b32 vcc_lo, exec_lo, s0
	s_cbranch_vccnz .LBB63_3953
; %bb.3952:
	s_wait_xcnt 0x0
	v_cvt_f32_i32_e32 v1, v4
	s_delay_alu instid0(VALU_DEP_1) | instskip(NEXT) | instid1(VALU_DEP_1)
	v_cvt_f16_f32_e32 v1, v1
	v_and_b32_e32 v1, 0xffff, v1
	global_store_b32 v[2:3], v1, off
.LBB63_3953:
	s_mov_b32 s0, 0
.LBB63_3954:
	s_delay_alu instid0(SALU_CYCLE_1)
	s_and_not1_b32 vcc_lo, exec_lo, s0
	s_cbranch_vccnz .LBB63_3963
; %bb.3955:
	s_cmp_lt_i32 s2, 6
	s_mov_b32 s0, -1
	s_cbranch_scc1 .LBB63_3961
; %bb.3956:
	s_cmp_gt_i32 s2, 6
	s_cbranch_scc0 .LBB63_3958
; %bb.3957:
	s_wait_xcnt 0x0
	v_cvt_f64_i32_e32 v[6:7], v4
	s_mov_b32 s0, 0
	global_store_b64 v[2:3], v[6:7], off
.LBB63_3958:
	s_and_not1_b32 vcc_lo, exec_lo, s0
	s_cbranch_vccnz .LBB63_3960
; %bb.3959:
	s_wait_xcnt 0x0
	v_cvt_f32_i32_e32 v1, v4
	global_store_b32 v[2:3], v1, off
.LBB63_3960:
	s_mov_b32 s0, 0
.LBB63_3961:
	s_delay_alu instid0(SALU_CYCLE_1)
	s_and_not1_b32 vcc_lo, exec_lo, s0
	s_cbranch_vccnz .LBB63_3963
; %bb.3962:
	s_wait_xcnt 0x0
	v_cvt_f32_i32_e32 v1, v4
	s_delay_alu instid0(VALU_DEP_1)
	v_cvt_f16_f32_e32 v1, v1
	global_store_b16 v[2:3], v1, off
.LBB63_3963:
	s_mov_b32 s0, 0
.LBB63_3964:
	s_delay_alu instid0(SALU_CYCLE_1)
	s_and_not1_b32 vcc_lo, exec_lo, s0
	s_cbranch_vccnz .LBB63_3980
; %bb.3965:
	s_cmp_lt_i32 s2, 2
	s_mov_b32 s0, -1
	s_cbranch_scc1 .LBB63_3975
; %bb.3966:
	s_cmp_lt_i32 s2, 3
	s_cbranch_scc1 .LBB63_3972
; %bb.3967:
	s_cmp_gt_i32 s2, 3
	s_cbranch_scc0 .LBB63_3969
; %bb.3968:
	s_wait_xcnt 0x0
	v_ashrrev_i32_e32 v5, 31, v4
	s_mov_b32 s0, 0
	global_store_b64 v[2:3], v[4:5], off
.LBB63_3969:
	s_and_not1_b32 vcc_lo, exec_lo, s0
	s_cbranch_vccnz .LBB63_3971
; %bb.3970:
	global_store_b32 v[2:3], v4, off
.LBB63_3971:
	s_mov_b32 s0, 0
.LBB63_3972:
	s_delay_alu instid0(SALU_CYCLE_1)
	s_and_not1_b32 vcc_lo, exec_lo, s0
	s_cbranch_vccnz .LBB63_3974
; %bb.3973:
	global_store_b16 v[2:3], v4, off
.LBB63_3974:
	s_mov_b32 s0, 0
.LBB63_3975:
	s_delay_alu instid0(SALU_CYCLE_1)
	s_and_not1_b32 vcc_lo, exec_lo, s0
	s_cbranch_vccnz .LBB63_3980
; %bb.3976:
	s_cmp_gt_i32 s2, 0
	s_mov_b32 s0, -1
	s_cbranch_scc0 .LBB63_3978
; %bb.3977:
	s_mov_b32 s0, 0
	global_store_b8 v[2:3], v4, off
.LBB63_3978:
	s_and_not1_b32 vcc_lo, exec_lo, s0
	s_cbranch_vccnz .LBB63_3980
; %bb.3979:
	global_store_b8 v[2:3], v4, off
.LBB63_3980:
	s_mov_b32 s6, -1
.LBB63_3981:
	s_delay_alu instid0(SALU_CYCLE_1)
	s_and_not1_b32 vcc_lo, exec_lo, s6
	s_cbranch_vccnz .LBB63_4058
; %bb.3982:
	s_wait_xcnt 0x0
	v_mul_lo_u32 v2, v14, s8
	v_mul_lo_u32 v3, v12, s9
	v_mov_b32_e32 v1, 0
	s_cmp_lt_i32 s2, 11
	s_delay_alu instid0(VALU_DEP_2) | instskip(NEXT) | instid1(VALU_DEP_2)
	v_mad_u32 v4, v3, v10, v2
	v_add_nc_u64_e32 v[2:3], s[4:5], v[0:1]
	s_cbranch_scc1 .LBB63_4103
; %bb.3983:
	s_mov_b32 s4, -1
	s_mov_b32 s3, 0
	s_cmp_gt_i32 s2, 25
	s_mov_b32 s0, 0
	s_cbranch_scc0 .LBB63_4016
; %bb.3984:
	s_cmp_gt_i32 s2, 28
	s_cbranch_scc0 .LBB63_4000
; %bb.3985:
	s_cmp_gt_i32 s2, 43
	;; [unrolled: 3-line block ×3, first 2 shown]
	s_cbranch_scc0 .LBB63_3990
; %bb.3987:
	s_cmp_eq_u32 s2, 46
	s_mov_b32 s0, -1
	s_cbranch_scc0 .LBB63_3989
; %bb.3988:
	v_cvt_f32_i32_e32 v0, v4
	s_mov_b32 s0, 0
	s_delay_alu instid0(VALU_DEP_1) | instskip(NEXT) | instid1(VALU_DEP_1)
	v_bfe_u32 v1, v0, 16, 1
	v_add3_u32 v0, v0, v1, 0x7fff
	s_delay_alu instid0(VALU_DEP_1)
	v_lshrrev_b32_e32 v0, 16, v0
	global_store_b32 v[2:3], v0, off
.LBB63_3989:
	s_mov_b32 s4, 0
.LBB63_3990:
	s_delay_alu instid0(SALU_CYCLE_1)
	s_and_b32 vcc_lo, exec_lo, s4
	s_cbranch_vccz .LBB63_3995
; %bb.3991:
	s_cmp_eq_u32 s2, 44
	s_mov_b32 s0, -1
	s_cbranch_scc0 .LBB63_3995
; %bb.3992:
	s_wait_xcnt 0x0
	v_cvt_f32_i32_e32 v0, v4
	v_mov_b32_e32 v1, 0xff
	s_mov_b32 s4, exec_lo
	s_delay_alu instid0(VALU_DEP_2) | instskip(NEXT) | instid1(VALU_DEP_1)
	v_bfe_u32 v5, v0, 23, 8
	v_cmpx_ne_u32_e32 0xff, v5
	s_cbranch_execz .LBB63_3994
; %bb.3993:
	v_and_b32_e32 v1, 0x400000, v0
	v_and_or_b32 v5, 0x3fffff, v0, v5
	v_lshrrev_b32_e32 v0, 23, v0
	s_delay_alu instid0(VALU_DEP_3) | instskip(NEXT) | instid1(VALU_DEP_3)
	v_cmp_ne_u32_e32 vcc_lo, 0, v1
	v_cmp_ne_u32_e64 s0, 0, v5
	s_and_b32 s0, vcc_lo, s0
	s_delay_alu instid0(SALU_CYCLE_1) | instskip(NEXT) | instid1(VALU_DEP_1)
	v_cndmask_b32_e64 v1, 0, 1, s0
	v_add_nc_u32_e32 v1, v0, v1
.LBB63_3994:
	s_or_b32 exec_lo, exec_lo, s4
	s_mov_b32 s0, 0
	global_store_b8 v[2:3], v1, off
.LBB63_3995:
	s_mov_b32 s4, 0
.LBB63_3996:
	s_delay_alu instid0(SALU_CYCLE_1)
	s_and_b32 vcc_lo, exec_lo, s4
	s_cbranch_vccz .LBB63_3999
; %bb.3997:
	s_cmp_eq_u32 s2, 29
	s_mov_b32 s0, -1
	s_cbranch_scc0 .LBB63_3999
; %bb.3998:
	v_ashrrev_i32_e32 v5, 31, v4
	s_mov_b32 s0, 0
	global_store_b64 v[2:3], v[4:5], off
.LBB63_3999:
	s_mov_b32 s4, 0
.LBB63_4000:
	s_delay_alu instid0(SALU_CYCLE_1)
	s_and_b32 vcc_lo, exec_lo, s4
	s_cbranch_vccz .LBB63_4015
; %bb.4001:
	s_cmp_lt_i32 s2, 27
	s_mov_b32 s4, -1
	s_cbranch_scc1 .LBB63_4007
; %bb.4002:
	s_cmp_gt_i32 s2, 27
	s_cbranch_scc0 .LBB63_4004
; %bb.4003:
	s_mov_b32 s4, 0
	global_store_b32 v[2:3], v4, off
.LBB63_4004:
	s_and_not1_b32 vcc_lo, exec_lo, s4
	s_cbranch_vccnz .LBB63_4006
; %bb.4005:
	global_store_b16 v[2:3], v4, off
.LBB63_4006:
	s_mov_b32 s4, 0
.LBB63_4007:
	s_delay_alu instid0(SALU_CYCLE_1)
	s_and_not1_b32 vcc_lo, exec_lo, s4
	s_cbranch_vccnz .LBB63_4015
; %bb.4008:
	s_wait_xcnt 0x0
	v_cvt_f32_i32_e32 v0, v4
	v_mov_b32_e32 v5, 0x80
	s_mov_b32 s4, exec_lo
	s_delay_alu instid0(VALU_DEP_2) | instskip(NEXT) | instid1(VALU_DEP_1)
	v_and_b32_e32 v1, 0x7fffffff, v0
	v_cmpx_gt_u32_e32 0x43800000, v1
	s_cbranch_execz .LBB63_4014
; %bb.4009:
	v_cmp_lt_u32_e32 vcc_lo, 0x3bffffff, v1
	s_mov_b32 s5, 0
                                        ; implicit-def: $vgpr1
	s_and_saveexec_b32 s6, vcc_lo
	s_delay_alu instid0(SALU_CYCLE_1)
	s_xor_b32 s6, exec_lo, s6
	s_cbranch_execz .LBB63_4120
; %bb.4010:
	v_bfe_u32 v1, v0, 20, 1
	s_mov_b32 s5, exec_lo
	s_delay_alu instid0(VALU_DEP_1) | instskip(NEXT) | instid1(VALU_DEP_1)
	v_add3_u32 v1, v0, v1, 0x487ffff
	v_lshrrev_b32_e32 v1, 20, v1
	s_and_not1_saveexec_b32 s6, s6
	s_cbranch_execnz .LBB63_4121
.LBB63_4011:
	s_or_b32 exec_lo, exec_lo, s6
	v_mov_b32_e32 v5, 0
	s_and_saveexec_b32 s6, s5
.LBB63_4012:
	v_lshrrev_b32_e32 v0, 24, v0
	s_delay_alu instid0(VALU_DEP_1)
	v_and_or_b32 v5, 0x80, v0, v1
.LBB63_4013:
	s_or_b32 exec_lo, exec_lo, s6
.LBB63_4014:
	s_delay_alu instid0(SALU_CYCLE_1)
	s_or_b32 exec_lo, exec_lo, s4
	global_store_b8 v[2:3], v5, off
.LBB63_4015:
	s_mov_b32 s4, 0
.LBB63_4016:
	s_delay_alu instid0(SALU_CYCLE_1)
	s_and_b32 vcc_lo, exec_lo, s4
	s_cbranch_vccz .LBB63_4056
; %bb.4017:
	s_cmp_gt_i32 s2, 22
	s_mov_b32 s3, -1
	s_cbranch_scc0 .LBB63_4049
; %bb.4018:
	s_cmp_lt_i32 s2, 24
	s_cbranch_scc1 .LBB63_4038
; %bb.4019:
	s_cmp_gt_i32 s2, 24
	s_cbranch_scc0 .LBB63_4027
; %bb.4020:
	s_wait_xcnt 0x0
	v_cvt_f32_i32_e32 v0, v4
	v_mov_b32_e32 v5, 0x80
	s_mov_b32 s3, exec_lo
	s_delay_alu instid0(VALU_DEP_2) | instskip(NEXT) | instid1(VALU_DEP_1)
	v_and_b32_e32 v1, 0x7fffffff, v0
	v_cmpx_gt_u32_e32 0x47800000, v1
	s_cbranch_execz .LBB63_4026
; %bb.4021:
	v_cmp_lt_u32_e32 vcc_lo, 0x37ffffff, v1
	s_mov_b32 s4, 0
                                        ; implicit-def: $vgpr1
	s_and_saveexec_b32 s5, vcc_lo
	s_delay_alu instid0(SALU_CYCLE_1)
	s_xor_b32 s5, exec_lo, s5
	s_cbranch_execz .LBB63_4123
; %bb.4022:
	v_bfe_u32 v1, v0, 21, 1
	s_mov_b32 s4, exec_lo
	s_delay_alu instid0(VALU_DEP_1) | instskip(NEXT) | instid1(VALU_DEP_1)
	v_add3_u32 v1, v0, v1, 0x88fffff
	v_lshrrev_b32_e32 v1, 21, v1
	s_and_not1_saveexec_b32 s5, s5
	s_cbranch_execnz .LBB63_4124
.LBB63_4023:
	s_or_b32 exec_lo, exec_lo, s5
	v_mov_b32_e32 v5, 0
	s_and_saveexec_b32 s5, s4
.LBB63_4024:
	v_lshrrev_b32_e32 v0, 24, v0
	s_delay_alu instid0(VALU_DEP_1)
	v_and_or_b32 v5, 0x80, v0, v1
.LBB63_4025:
	s_or_b32 exec_lo, exec_lo, s5
.LBB63_4026:
	s_delay_alu instid0(SALU_CYCLE_1)
	s_or_b32 exec_lo, exec_lo, s3
	s_mov_b32 s3, 0
	global_store_b8 v[2:3], v5, off
.LBB63_4027:
	s_and_b32 vcc_lo, exec_lo, s3
	s_cbranch_vccz .LBB63_4037
; %bb.4028:
	s_wait_xcnt 0x0
	v_cvt_f32_i32_e32 v0, v4
	s_mov_b32 s3, exec_lo
                                        ; implicit-def: $vgpr1
	s_delay_alu instid0(VALU_DEP_1) | instskip(NEXT) | instid1(VALU_DEP_1)
	v_and_b32_e32 v5, 0x7fffffff, v0
	v_cmpx_gt_u32_e32 0x43f00000, v5
	s_xor_b32 s3, exec_lo, s3
	s_cbranch_execz .LBB63_4034
; %bb.4029:
	s_mov_b32 s4, exec_lo
                                        ; implicit-def: $vgpr1
	v_cmpx_lt_u32_e32 0x3c7fffff, v5
	s_xor_b32 s4, exec_lo, s4
; %bb.4030:
	v_bfe_u32 v1, v0, 20, 1
	s_delay_alu instid0(VALU_DEP_1) | instskip(NEXT) | instid1(VALU_DEP_1)
	v_add3_u32 v1, v0, v1, 0x407ffff
	v_and_b32_e32 v5, 0xff00000, v1
	v_lshrrev_b32_e32 v1, 20, v1
	s_delay_alu instid0(VALU_DEP_2) | instskip(NEXT) | instid1(VALU_DEP_2)
	v_cmp_ne_u32_e32 vcc_lo, 0x7f00000, v5
	v_cndmask_b32_e32 v1, 0x7e, v1, vcc_lo
; %bb.4031:
	s_and_not1_saveexec_b32 s4, s4
; %bb.4032:
	v_add_f32_e64 v1, 0x46800000, |v0|
; %bb.4033:
	s_or_b32 exec_lo, exec_lo, s4
                                        ; implicit-def: $vgpr5
.LBB63_4034:
	s_and_not1_saveexec_b32 s3, s3
; %bb.4035:
	v_mov_b32_e32 v1, 0x7f
	v_cmp_lt_u32_e32 vcc_lo, 0x7f800000, v5
	s_delay_alu instid0(VALU_DEP_2)
	v_cndmask_b32_e32 v1, 0x7e, v1, vcc_lo
; %bb.4036:
	s_or_b32 exec_lo, exec_lo, s3
	v_lshrrev_b32_e32 v0, 24, v0
	s_delay_alu instid0(VALU_DEP_1)
	v_and_or_b32 v0, 0x80, v0, v1
	global_store_b8 v[2:3], v0, off
.LBB63_4037:
	s_mov_b32 s3, 0
.LBB63_4038:
	s_delay_alu instid0(SALU_CYCLE_1)
	s_and_not1_b32 vcc_lo, exec_lo, s3
	s_cbranch_vccnz .LBB63_4048
; %bb.4039:
	s_wait_xcnt 0x0
	v_cvt_f32_i32_e32 v0, v4
	s_mov_b32 s3, exec_lo
                                        ; implicit-def: $vgpr1
	s_delay_alu instid0(VALU_DEP_1) | instskip(NEXT) | instid1(VALU_DEP_1)
	v_and_b32_e32 v5, 0x7fffffff, v0
	v_cmpx_gt_u32_e32 0x47800000, v5
	s_xor_b32 s3, exec_lo, s3
	s_cbranch_execz .LBB63_4045
; %bb.4040:
	s_mov_b32 s4, exec_lo
                                        ; implicit-def: $vgpr1
	v_cmpx_lt_u32_e32 0x387fffff, v5
	s_xor_b32 s4, exec_lo, s4
; %bb.4041:
	v_bfe_u32 v1, v0, 21, 1
	s_delay_alu instid0(VALU_DEP_1) | instskip(NEXT) | instid1(VALU_DEP_1)
	v_add3_u32 v1, v0, v1, 0x80fffff
	v_lshrrev_b32_e32 v1, 21, v1
; %bb.4042:
	s_and_not1_saveexec_b32 s4, s4
; %bb.4043:
	v_add_f32_e64 v1, 0x43000000, |v0|
; %bb.4044:
	s_or_b32 exec_lo, exec_lo, s4
                                        ; implicit-def: $vgpr5
.LBB63_4045:
	s_and_not1_saveexec_b32 s3, s3
; %bb.4046:
	v_mov_b32_e32 v1, 0x7f
	v_cmp_lt_u32_e32 vcc_lo, 0x7f800000, v5
	s_delay_alu instid0(VALU_DEP_2)
	v_cndmask_b32_e32 v1, 0x7c, v1, vcc_lo
; %bb.4047:
	s_or_b32 exec_lo, exec_lo, s3
	v_lshrrev_b32_e32 v0, 24, v0
	s_delay_alu instid0(VALU_DEP_1)
	v_and_or_b32 v0, 0x80, v0, v1
	global_store_b8 v[2:3], v0, off
.LBB63_4048:
	s_mov_b32 s3, 0
.LBB63_4049:
	s_delay_alu instid0(SALU_CYCLE_1)
	s_and_not1_b32 vcc_lo, exec_lo, s3
	s_mov_b32 s3, 0
	s_cbranch_vccnz .LBB63_4056
; %bb.4050:
	s_cmp_gt_i32 s2, 14
	s_mov_b32 s3, -1
	s_cbranch_scc0 .LBB63_4054
; %bb.4051:
	s_cmp_eq_u32 s2, 15
	s_mov_b32 s0, -1
	s_cbranch_scc0 .LBB63_4053
; %bb.4052:
	s_wait_xcnt 0x0
	v_cvt_f32_i32_e32 v0, v4
	s_mov_b32 s0, 0
	s_delay_alu instid0(VALU_DEP_1) | instskip(NEXT) | instid1(VALU_DEP_1)
	v_bfe_u32 v1, v0, 16, 1
	v_add3_u32 v0, v0, v1, 0x7fff
	global_store_d16_hi_b16 v[2:3], v0, off
.LBB63_4053:
	s_mov_b32 s3, 0
.LBB63_4054:
	s_delay_alu instid0(SALU_CYCLE_1)
	s_and_b32 vcc_lo, exec_lo, s3
	s_mov_b32 s3, 0
	s_cbranch_vccz .LBB63_4056
; %bb.4055:
	s_cmp_lg_u32 s2, 11
	s_mov_b32 s3, -1
	s_cselect_b32 s0, -1, 0
.LBB63_4056:
	s_delay_alu instid0(SALU_CYCLE_1)
	s_and_b32 vcc_lo, exec_lo, s0
	s_cbranch_vccnz .LBB63_4122
.LBB63_4057:
	s_mov_b32 s0, 0
	s_branch .LBB63_4059
.LBB63_4058:
	s_mov_b32 s0, 0
	s_mov_b32 s3, 0
                                        ; implicit-def: $vgpr2_vgpr3
                                        ; implicit-def: $sgpr1
                                        ; implicit-def: $vgpr4
.LBB63_4059:
	s_and_not1_b32 s2, s11, exec_lo
	s_and_b32 s4, s13, exec_lo
	s_and_b32 s0, s0, exec_lo
	s_and_b32 s38, s3, exec_lo
	s_or_b32 s11, s2, s4
.LBB63_4060:
	s_wait_xcnt 0x0
	s_or_b32 exec_lo, exec_lo, s12
	s_and_saveexec_b32 s2, s11
	s_cbranch_execz .LBB63_4063
; %bb.4061:
	; divergent unreachable
	s_or_b32 exec_lo, exec_lo, s2
	s_and_saveexec_b32 s2, s38
	s_delay_alu instid0(SALU_CYCLE_1)
	s_xor_b32 s2, exec_lo, s2
	s_cbranch_execnz .LBB63_4064
.LBB63_4062:
	s_or_b32 exec_lo, exec_lo, s2
	s_and_saveexec_b32 s2, s0
	s_cbranch_execnz .LBB63_4065
	s_branch .LBB63_4102
.LBB63_4063:
	s_or_b32 exec_lo, exec_lo, s2
	s_and_saveexec_b32 s2, s38
	s_delay_alu instid0(SALU_CYCLE_1)
	s_xor_b32 s2, exec_lo, s2
	s_cbranch_execz .LBB63_4062
.LBB63_4064:
	v_cmp_ne_u32_e32 vcc_lo, 0, v4
	v_cndmask_b32_e64 v0, 0, 1, vcc_lo
	s_wait_loadcnt 0x0
	global_store_b8 v[2:3], v0, off
	s_wait_xcnt 0x0
	s_or_b32 exec_lo, exec_lo, s2
	s_and_saveexec_b32 s2, s0
	s_cbranch_execz .LBB63_4102
.LBB63_4065:
	s_sext_i32_i16 s2, s1
	s_mov_b32 s0, -1
	s_cmp_lt_i32 s2, 5
	s_cbranch_scc1 .LBB63_4086
; %bb.4066:
	s_cmp_lt_i32 s2, 8
	s_cbranch_scc1 .LBB63_4076
; %bb.4067:
	;; [unrolled: 3-line block ×3, first 2 shown]
	s_cmp_gt_i32 s2, 9
	s_cbranch_scc0 .LBB63_4070
; %bb.4069:
	s_wait_loadcnt 0x0
	v_cvt_f64_i32_e32 v[6:7], v4
	v_mov_b32_e32 v8, 0
	s_mov_b32 s0, 0
	s_delay_alu instid0(VALU_DEP_1)
	v_mov_b32_e32 v9, v8
	global_store_b128 v[2:3], v[6:9], off
.LBB63_4070:
	s_and_not1_b32 vcc_lo, exec_lo, s0
	s_cbranch_vccnz .LBB63_4072
; %bb.4071:
	v_cvt_f32_i32_e32 v0, v4
	s_wait_loadcnt 0x0
	v_mov_b32_e32 v1, 0
	global_store_b64 v[2:3], v[0:1], off
.LBB63_4072:
	s_mov_b32 s0, 0
.LBB63_4073:
	s_delay_alu instid0(SALU_CYCLE_1)
	s_and_not1_b32 vcc_lo, exec_lo, s0
	s_cbranch_vccnz .LBB63_4075
; %bb.4074:
	s_wait_xcnt 0x0
	v_cvt_f32_i32_e32 v0, v4
	s_delay_alu instid0(VALU_DEP_1) | instskip(NEXT) | instid1(VALU_DEP_1)
	v_cvt_f16_f32_e32 v0, v0
	v_and_b32_e32 v0, 0xffff, v0
	s_wait_loadcnt 0x0
	global_store_b32 v[2:3], v0, off
.LBB63_4075:
	s_mov_b32 s0, 0
.LBB63_4076:
	s_delay_alu instid0(SALU_CYCLE_1)
	s_and_not1_b32 vcc_lo, exec_lo, s0
	s_cbranch_vccnz .LBB63_4085
; %bb.4077:
	s_sext_i32_i16 s2, s1
	s_mov_b32 s0, -1
	s_cmp_lt_i32 s2, 6
	s_cbranch_scc1 .LBB63_4083
; %bb.4078:
	s_cmp_gt_i32 s2, 6
	s_cbranch_scc0 .LBB63_4080
; %bb.4079:
	s_wait_loadcnt 0x0
	v_cvt_f64_i32_e32 v[0:1], v4
	s_mov_b32 s0, 0
	global_store_b64 v[2:3], v[0:1], off
.LBB63_4080:
	s_and_not1_b32 vcc_lo, exec_lo, s0
	s_cbranch_vccnz .LBB63_4082
; %bb.4081:
	s_wait_xcnt 0x0
	v_cvt_f32_i32_e32 v0, v4
	s_wait_loadcnt 0x0
	global_store_b32 v[2:3], v0, off
.LBB63_4082:
	s_mov_b32 s0, 0
.LBB63_4083:
	s_delay_alu instid0(SALU_CYCLE_1)
	s_and_not1_b32 vcc_lo, exec_lo, s0
	s_cbranch_vccnz .LBB63_4085
; %bb.4084:
	s_wait_xcnt 0x0
	v_cvt_f32_i32_e32 v0, v4
	s_delay_alu instid0(VALU_DEP_1)
	v_cvt_f16_f32_e32 v0, v0
	s_wait_loadcnt 0x0
	global_store_b16 v[2:3], v0, off
.LBB63_4085:
	s_mov_b32 s0, 0
.LBB63_4086:
	s_delay_alu instid0(SALU_CYCLE_1)
	s_and_not1_b32 vcc_lo, exec_lo, s0
	s_cbranch_vccnz .LBB63_4102
; %bb.4087:
	s_sext_i32_i16 s2, s1
	s_mov_b32 s0, -1
	s_cmp_lt_i32 s2, 2
	s_cbranch_scc1 .LBB63_4097
; %bb.4088:
	s_cmp_lt_i32 s2, 3
	s_cbranch_scc1 .LBB63_4094
; %bb.4089:
	s_cmp_gt_i32 s2, 3
	s_cbranch_scc0 .LBB63_4091
; %bb.4090:
	s_wait_loadcnt 0x0
	v_ashrrev_i32_e32 v5, 31, v4
	s_mov_b32 s0, 0
	global_store_b64 v[2:3], v[4:5], off
.LBB63_4091:
	s_and_not1_b32 vcc_lo, exec_lo, s0
	s_cbranch_vccnz .LBB63_4093
; %bb.4092:
	s_wait_loadcnt 0x0
	global_store_b32 v[2:3], v4, off
.LBB63_4093:
	s_mov_b32 s0, 0
.LBB63_4094:
	s_delay_alu instid0(SALU_CYCLE_1)
	s_and_not1_b32 vcc_lo, exec_lo, s0
	s_cbranch_vccnz .LBB63_4096
; %bb.4095:
	s_wait_loadcnt 0x0
	global_store_b16 v[2:3], v4, off
.LBB63_4096:
	s_mov_b32 s0, 0
.LBB63_4097:
	s_delay_alu instid0(SALU_CYCLE_1)
	s_and_not1_b32 vcc_lo, exec_lo, s0
	s_cbranch_vccnz .LBB63_4102
; %bb.4098:
	s_sext_i32_i16 s0, s1
	s_delay_alu instid0(SALU_CYCLE_1)
	s_cmp_gt_i32 s0, 0
	s_mov_b32 s0, -1
	s_cbranch_scc0 .LBB63_4100
; %bb.4099:
	s_mov_b32 s0, 0
	s_wait_loadcnt 0x0
	global_store_b8 v[2:3], v4, off
.LBB63_4100:
	s_and_not1_b32 vcc_lo, exec_lo, s0
	s_cbranch_vccnz .LBB63_4102
; %bb.4101:
	s_wait_loadcnt 0x0
	global_store_b8 v[2:3], v4, off
	s_endpgm
.LBB63_4102:
	s_endpgm
.LBB63_4103:
	s_mov_b32 s3, 0
	s_mov_b32 s0, -1
	s_branch .LBB63_4059
.LBB63_4104:
	s_or_b32 s13, s13, exec_lo
	s_trap 2
	s_cbranch_execz .LBB63_3573
	s_branch .LBB63_3574
.LBB63_4105:
	s_and_not1_saveexec_b32 s10, s10
	s_cbranch_execz .LBB63_3653
.LBB63_4106:
	v_add_f32_e64 v3, 0x46000000, |v1|
	s_and_not1_b32 s7, s7, exec_lo
	s_delay_alu instid0(VALU_DEP_1) | instskip(NEXT) | instid1(VALU_DEP_1)
	v_and_b32_e32 v3, 0xff, v3
	v_cmp_ne_u32_e32 vcc_lo, 0, v3
	s_and_b32 s14, vcc_lo, exec_lo
	s_delay_alu instid0(SALU_CYCLE_1)
	s_or_b32 s7, s7, s14
	s_or_b32 exec_lo, exec_lo, s10
	v_mov_b32_e32 v9, 0
	s_and_saveexec_b32 s10, s7
	s_cbranch_execnz .LBB63_3654
	s_branch .LBB63_3655
.LBB63_4107:
	s_or_b32 s13, s13, exec_lo
	s_trap 2
	s_cbranch_execz .LBB63_3701
	s_branch .LBB63_3702
.LBB63_4108:
	s_and_not1_saveexec_b32 s7, s7
	s_cbranch_execz .LBB63_3666
.LBB63_4109:
	v_add_f32_e64 v3, 0x42800000, |v1|
	s_and_not1_b32 s6, s6, exec_lo
	s_delay_alu instid0(VALU_DEP_1) | instskip(NEXT) | instid1(VALU_DEP_1)
	v_and_b32_e32 v3, 0xff, v3
	v_cmp_ne_u32_e32 vcc_lo, 0, v3
	s_and_b32 s10, vcc_lo, exec_lo
	s_delay_alu instid0(SALU_CYCLE_1)
	s_or_b32 s6, s6, s10
	s_or_b32 exec_lo, exec_lo, s7
	v_mov_b32_e32 v9, 0
	s_and_saveexec_b32 s7, s6
	s_cbranch_execnz .LBB63_3667
	s_branch .LBB63_3668
.LBB63_4110:
	s_and_not1_saveexec_b32 s10, s10
	s_cbranch_execz .LBB63_3772
.LBB63_4111:
	v_add_f32_e64 v3, 0x46000000, |v1|
	s_and_not1_b32 s7, s7, exec_lo
	s_delay_alu instid0(VALU_DEP_1) | instskip(NEXT) | instid1(VALU_DEP_1)
	v_and_b32_e32 v3, 0xff, v3
	v_cmp_ne_u32_e32 vcc_lo, 0, v3
	s_and_b32 s14, vcc_lo, exec_lo
	s_delay_alu instid0(SALU_CYCLE_1)
	s_or_b32 s7, s7, s14
	s_or_b32 exec_lo, exec_lo, s10
	v_mov_b32_e32 v7, 0
	s_and_saveexec_b32 s10, s7
	s_cbranch_execnz .LBB63_3773
	s_branch .LBB63_3774
.LBB63_4112:
	s_or_b32 s13, s13, exec_lo
	s_trap 2
	s_cbranch_execz .LBB63_3820
	s_branch .LBB63_3821
.LBB63_4113:
	s_and_not1_saveexec_b32 s7, s7
	s_cbranch_execz .LBB63_3785
.LBB63_4114:
	v_add_f32_e64 v3, 0x42800000, |v1|
	s_and_not1_b32 s6, s6, exec_lo
	s_delay_alu instid0(VALU_DEP_1) | instskip(NEXT) | instid1(VALU_DEP_1)
	v_and_b32_e32 v3, 0xff, v3
	v_cmp_ne_u32_e32 vcc_lo, 0, v3
	s_and_b32 s10, vcc_lo, exec_lo
	s_delay_alu instid0(SALU_CYCLE_1)
	s_or_b32 s6, s6, s10
	s_or_b32 exec_lo, exec_lo, s7
	v_mov_b32_e32 v7, 0
	s_and_saveexec_b32 s7, s6
	s_cbranch_execnz .LBB63_3786
	s_branch .LBB63_3787
.LBB63_4115:
	s_and_not1_saveexec_b32 s10, s10
	s_cbranch_execz .LBB63_3891
.LBB63_4116:
	v_add_f32_e64 v5, 0x46000000, |v1|
	s_and_not1_b32 s7, s7, exec_lo
	s_delay_alu instid0(VALU_DEP_1) | instskip(NEXT) | instid1(VALU_DEP_1)
	v_and_b32_e32 v5, 0xff, v5
	v_cmp_ne_u32_e32 vcc_lo, 0, v5
	s_and_b32 s14, vcc_lo, exec_lo
	s_delay_alu instid0(SALU_CYCLE_1)
	s_or_b32 s7, s7, s14
	s_or_b32 exec_lo, exec_lo, s10
	v_mov_b32_e32 v6, 0
	s_and_saveexec_b32 s10, s7
	s_cbranch_execnz .LBB63_3892
	s_branch .LBB63_3893
.LBB63_4117:
	s_or_b32 s13, s13, exec_lo
	s_trap 2
	s_cbranch_execz .LBB63_3939
	s_branch .LBB63_3940
.LBB63_4118:
	s_and_not1_saveexec_b32 s7, s7
	s_cbranch_execz .LBB63_3904
.LBB63_4119:
	v_add_f32_e64 v5, 0x42800000, |v1|
	s_and_not1_b32 s6, s6, exec_lo
	s_delay_alu instid0(VALU_DEP_1) | instskip(NEXT) | instid1(VALU_DEP_1)
	v_and_b32_e32 v5, 0xff, v5
	v_cmp_ne_u32_e32 vcc_lo, 0, v5
	s_and_b32 s10, vcc_lo, exec_lo
	s_delay_alu instid0(SALU_CYCLE_1)
	s_or_b32 s6, s6, s10
	s_or_b32 exec_lo, exec_lo, s7
	v_mov_b32_e32 v6, 0
	s_and_saveexec_b32 s7, s6
	s_cbranch_execnz .LBB63_3905
	s_branch .LBB63_3906
.LBB63_4120:
	s_and_not1_saveexec_b32 s6, s6
	s_cbranch_execz .LBB63_4011
.LBB63_4121:
	v_add_f32_e64 v1, 0x46000000, |v0|
	s_and_not1_b32 s5, s5, exec_lo
	s_delay_alu instid0(VALU_DEP_1) | instskip(NEXT) | instid1(VALU_DEP_1)
	v_and_b32_e32 v1, 0xff, v1
	v_cmp_ne_u32_e32 vcc_lo, 0, v1
	s_and_b32 s7, vcc_lo, exec_lo
	s_delay_alu instid0(SALU_CYCLE_1)
	s_or_b32 s5, s5, s7
	s_or_b32 exec_lo, exec_lo, s6
	v_mov_b32_e32 v5, 0
	s_and_saveexec_b32 s6, s5
	s_cbranch_execnz .LBB63_4012
	s_branch .LBB63_4013
.LBB63_4122:
	s_mov_b32 s3, 0
	s_or_b32 s13, s13, exec_lo
	s_trap 2
	s_branch .LBB63_4057
.LBB63_4123:
	s_and_not1_saveexec_b32 s5, s5
	s_cbranch_execz .LBB63_4023
.LBB63_4124:
	v_add_f32_e64 v1, 0x42800000, |v0|
	s_and_not1_b32 s4, s4, exec_lo
	s_delay_alu instid0(VALU_DEP_1) | instskip(NEXT) | instid1(VALU_DEP_1)
	v_and_b32_e32 v1, 0xff, v1
	v_cmp_ne_u32_e32 vcc_lo, 0, v1
	s_and_b32 s6, vcc_lo, exec_lo
	s_delay_alu instid0(SALU_CYCLE_1)
	s_or_b32 s4, s4, s6
	s_or_b32 exec_lo, exec_lo, s5
	v_mov_b32_e32 v5, 0
	s_and_saveexec_b32 s5, s4
	s_cbranch_execnz .LBB63_4024
	s_branch .LBB63_4025
	.section	.rodata,"a",@progbits
	.p2align	6, 0x0
	.amdhsa_kernel _ZN2at6native32elementwise_kernel_manual_unrollILi128ELi4EZNS0_15gpu_kernel_implIZZZNS0_12_GLOBAL__N_116addr_kernel_cudaERNS_14TensorIteratorERKN3c106ScalarES9_ENKUlvE_clEvENKUlvE1_clEvEUliiiE0_EEvRNS_18TensorIteratorBaseERKT_EUlibE0_EEviT1_
		.amdhsa_group_segment_fixed_size 0
		.amdhsa_private_segment_fixed_size 0
		.amdhsa_kernarg_size 512
		.amdhsa_user_sgpr_count 2
		.amdhsa_user_sgpr_dispatch_ptr 0
		.amdhsa_user_sgpr_queue_ptr 0
		.amdhsa_user_sgpr_kernarg_segment_ptr 1
		.amdhsa_user_sgpr_dispatch_id 0
		.amdhsa_user_sgpr_kernarg_preload_length 0
		.amdhsa_user_sgpr_kernarg_preload_offset 0
		.amdhsa_user_sgpr_private_segment_size 0
		.amdhsa_wavefront_size32 1
		.amdhsa_uses_dynamic_stack 0
		.amdhsa_enable_private_segment 0
		.amdhsa_system_sgpr_workgroup_id_x 1
		.amdhsa_system_sgpr_workgroup_id_y 0
		.amdhsa_system_sgpr_workgroup_id_z 0
		.amdhsa_system_sgpr_workgroup_info 0
		.amdhsa_system_vgpr_workitem_id 0
		.amdhsa_next_free_vgpr 34
		.amdhsa_next_free_sgpr 76
		.amdhsa_named_barrier_count 0
		.amdhsa_reserve_vcc 1
		.amdhsa_float_round_mode_32 0
		.amdhsa_float_round_mode_16_64 0
		.amdhsa_float_denorm_mode_32 3
		.amdhsa_float_denorm_mode_16_64 3
		.amdhsa_fp16_overflow 0
		.amdhsa_memory_ordered 1
		.amdhsa_forward_progress 1
		.amdhsa_inst_pref_size 255
		.amdhsa_round_robin_scheduling 0
		.amdhsa_exception_fp_ieee_invalid_op 0
		.amdhsa_exception_fp_denorm_src 0
		.amdhsa_exception_fp_ieee_div_zero 0
		.amdhsa_exception_fp_ieee_overflow 0
		.amdhsa_exception_fp_ieee_underflow 0
		.amdhsa_exception_fp_ieee_inexact 0
		.amdhsa_exception_int_div_zero 0
	.end_amdhsa_kernel
	.section	.text._ZN2at6native32elementwise_kernel_manual_unrollILi128ELi4EZNS0_15gpu_kernel_implIZZZNS0_12_GLOBAL__N_116addr_kernel_cudaERNS_14TensorIteratorERKN3c106ScalarES9_ENKUlvE_clEvENKUlvE1_clEvEUliiiE0_EEvRNS_18TensorIteratorBaseERKT_EUlibE0_EEviT1_,"axG",@progbits,_ZN2at6native32elementwise_kernel_manual_unrollILi128ELi4EZNS0_15gpu_kernel_implIZZZNS0_12_GLOBAL__N_116addr_kernel_cudaERNS_14TensorIteratorERKN3c106ScalarES9_ENKUlvE_clEvENKUlvE1_clEvEUliiiE0_EEvRNS_18TensorIteratorBaseERKT_EUlibE0_EEviT1_,comdat
.Lfunc_end63:
	.size	_ZN2at6native32elementwise_kernel_manual_unrollILi128ELi4EZNS0_15gpu_kernel_implIZZZNS0_12_GLOBAL__N_116addr_kernel_cudaERNS_14TensorIteratorERKN3c106ScalarES9_ENKUlvE_clEvENKUlvE1_clEvEUliiiE0_EEvRNS_18TensorIteratorBaseERKT_EUlibE0_EEviT1_, .Lfunc_end63-_ZN2at6native32elementwise_kernel_manual_unrollILi128ELi4EZNS0_15gpu_kernel_implIZZZNS0_12_GLOBAL__N_116addr_kernel_cudaERNS_14TensorIteratorERKN3c106ScalarES9_ENKUlvE_clEvENKUlvE1_clEvEUliiiE0_EEvRNS_18TensorIteratorBaseERKT_EUlibE0_EEviT1_
                                        ; -- End function
	.set _ZN2at6native32elementwise_kernel_manual_unrollILi128ELi4EZNS0_15gpu_kernel_implIZZZNS0_12_GLOBAL__N_116addr_kernel_cudaERNS_14TensorIteratorERKN3c106ScalarES9_ENKUlvE_clEvENKUlvE1_clEvEUliiiE0_EEvRNS_18TensorIteratorBaseERKT_EUlibE0_EEviT1_.num_vgpr, 34
	.set _ZN2at6native32elementwise_kernel_manual_unrollILi128ELi4EZNS0_15gpu_kernel_implIZZZNS0_12_GLOBAL__N_116addr_kernel_cudaERNS_14TensorIteratorERKN3c106ScalarES9_ENKUlvE_clEvENKUlvE1_clEvEUliiiE0_EEvRNS_18TensorIteratorBaseERKT_EUlibE0_EEviT1_.num_agpr, 0
	.set _ZN2at6native32elementwise_kernel_manual_unrollILi128ELi4EZNS0_15gpu_kernel_implIZZZNS0_12_GLOBAL__N_116addr_kernel_cudaERNS_14TensorIteratorERKN3c106ScalarES9_ENKUlvE_clEvENKUlvE1_clEvEUliiiE0_EEvRNS_18TensorIteratorBaseERKT_EUlibE0_EEviT1_.numbered_sgpr, 76
	.set _ZN2at6native32elementwise_kernel_manual_unrollILi128ELi4EZNS0_15gpu_kernel_implIZZZNS0_12_GLOBAL__N_116addr_kernel_cudaERNS_14TensorIteratorERKN3c106ScalarES9_ENKUlvE_clEvENKUlvE1_clEvEUliiiE0_EEvRNS_18TensorIteratorBaseERKT_EUlibE0_EEviT1_.num_named_barrier, 0
	.set _ZN2at6native32elementwise_kernel_manual_unrollILi128ELi4EZNS0_15gpu_kernel_implIZZZNS0_12_GLOBAL__N_116addr_kernel_cudaERNS_14TensorIteratorERKN3c106ScalarES9_ENKUlvE_clEvENKUlvE1_clEvEUliiiE0_EEvRNS_18TensorIteratorBaseERKT_EUlibE0_EEviT1_.private_seg_size, 0
	.set _ZN2at6native32elementwise_kernel_manual_unrollILi128ELi4EZNS0_15gpu_kernel_implIZZZNS0_12_GLOBAL__N_116addr_kernel_cudaERNS_14TensorIteratorERKN3c106ScalarES9_ENKUlvE_clEvENKUlvE1_clEvEUliiiE0_EEvRNS_18TensorIteratorBaseERKT_EUlibE0_EEviT1_.uses_vcc, 1
	.set _ZN2at6native32elementwise_kernel_manual_unrollILi128ELi4EZNS0_15gpu_kernel_implIZZZNS0_12_GLOBAL__N_116addr_kernel_cudaERNS_14TensorIteratorERKN3c106ScalarES9_ENKUlvE_clEvENKUlvE1_clEvEUliiiE0_EEvRNS_18TensorIteratorBaseERKT_EUlibE0_EEviT1_.uses_flat_scratch, 0
	.set _ZN2at6native32elementwise_kernel_manual_unrollILi128ELi4EZNS0_15gpu_kernel_implIZZZNS0_12_GLOBAL__N_116addr_kernel_cudaERNS_14TensorIteratorERKN3c106ScalarES9_ENKUlvE_clEvENKUlvE1_clEvEUliiiE0_EEvRNS_18TensorIteratorBaseERKT_EUlibE0_EEviT1_.has_dyn_sized_stack, 0
	.set _ZN2at6native32elementwise_kernel_manual_unrollILi128ELi4EZNS0_15gpu_kernel_implIZZZNS0_12_GLOBAL__N_116addr_kernel_cudaERNS_14TensorIteratorERKN3c106ScalarES9_ENKUlvE_clEvENKUlvE1_clEvEUliiiE0_EEvRNS_18TensorIteratorBaseERKT_EUlibE0_EEviT1_.has_recursion, 0
	.set _ZN2at6native32elementwise_kernel_manual_unrollILi128ELi4EZNS0_15gpu_kernel_implIZZZNS0_12_GLOBAL__N_116addr_kernel_cudaERNS_14TensorIteratorERKN3c106ScalarES9_ENKUlvE_clEvENKUlvE1_clEvEUliiiE0_EEvRNS_18TensorIteratorBaseERKT_EUlibE0_EEviT1_.has_indirect_call, 0
	.section	.AMDGPU.csdata,"",@progbits
; Kernel info:
; codeLenInByte = 73552
; TotalNumSgprs: 78
; NumVgprs: 34
; ScratchSize: 0
; MemoryBound: 1
; FloatMode: 240
; IeeeMode: 1
; LDSByteSize: 0 bytes/workgroup (compile time only)
; SGPRBlocks: 0
; VGPRBlocks: 2
; NumSGPRsForWavesPerEU: 78
; NumVGPRsForWavesPerEU: 34
; NamedBarCnt: 0
; Occupancy: 16
; WaveLimiterHint : 1
; COMPUTE_PGM_RSRC2:SCRATCH_EN: 0
; COMPUTE_PGM_RSRC2:USER_SGPR: 2
; COMPUTE_PGM_RSRC2:TRAP_HANDLER: 0
; COMPUTE_PGM_RSRC2:TGID_X_EN: 1
; COMPUTE_PGM_RSRC2:TGID_Y_EN: 0
; COMPUTE_PGM_RSRC2:TGID_Z_EN: 0
; COMPUTE_PGM_RSRC2:TIDIG_COMP_CNT: 0
	.section	.text._ZN2at6native29vectorized_elementwise_kernelILi16EZZZNS0_12_GLOBAL__N_116addr_kernel_cudaERNS_14TensorIteratorERKN3c106ScalarES8_ENKUlvE_clEvENKUlvE2_clEvEUllllE_St5arrayIPcLm4EEEEviT0_T1_,"axG",@progbits,_ZN2at6native29vectorized_elementwise_kernelILi16EZZZNS0_12_GLOBAL__N_116addr_kernel_cudaERNS_14TensorIteratorERKN3c106ScalarES8_ENKUlvE_clEvENKUlvE2_clEvEUllllE_St5arrayIPcLm4EEEEviT0_T1_,comdat
	.globl	_ZN2at6native29vectorized_elementwise_kernelILi16EZZZNS0_12_GLOBAL__N_116addr_kernel_cudaERNS_14TensorIteratorERKN3c106ScalarES8_ENKUlvE_clEvENKUlvE2_clEvEUllllE_St5arrayIPcLm4EEEEviT0_T1_ ; -- Begin function _ZN2at6native29vectorized_elementwise_kernelILi16EZZZNS0_12_GLOBAL__N_116addr_kernel_cudaERNS_14TensorIteratorERKN3c106ScalarES8_ENKUlvE_clEvENKUlvE2_clEvEUllllE_St5arrayIPcLm4EEEEviT0_T1_
	.p2align	8
	.type	_ZN2at6native29vectorized_elementwise_kernelILi16EZZZNS0_12_GLOBAL__N_116addr_kernel_cudaERNS_14TensorIteratorERKN3c106ScalarES8_ENKUlvE_clEvENKUlvE2_clEvEUllllE_St5arrayIPcLm4EEEEviT0_T1_,@function
_ZN2at6native29vectorized_elementwise_kernelILi16EZZZNS0_12_GLOBAL__N_116addr_kernel_cudaERNS_14TensorIteratorERKN3c106ScalarES8_ENKUlvE_clEvENKUlvE2_clEvEUllllE_St5arrayIPcLm4EEEEviT0_T1_: ; @_ZN2at6native29vectorized_elementwise_kernelILi16EZZZNS0_12_GLOBAL__N_116addr_kernel_cudaERNS_14TensorIteratorERKN3c106ScalarES8_ENKUlvE_clEvENKUlvE2_clEvEUllllE_St5arrayIPcLm4EEEEviT0_T1_
; %bb.0:
	s_clause 0x2
	s_load_b32 s3, s[0:1], 0x0
	s_load_b128 s[4:7], s[0:1], 0x8
	s_load_b128 s[8:11], s[0:1], 0x20
	s_wait_xcnt 0x0
	s_bfe_u32 s0, ttmp6, 0x4000c
	s_and_b32 s1, ttmp6, 15
	s_add_co_i32 s0, s0, 1
	s_getreg_b32 s2, hwreg(HW_REG_IB_STS2, 6, 4)
	s_mul_i32 s0, ttmp9, s0
	s_delay_alu instid0(SALU_CYCLE_1) | instskip(SKIP_2) | instid1(SALU_CYCLE_1)
	s_add_co_i32 s1, s1, s0
	s_cmp_eq_u32 s2, 0
	s_cselect_b32 s0, ttmp9, s1
	s_lshl_b32 s2, s0, 10
	s_mov_b32 s0, -1
	s_wait_kmcnt 0x0
	s_sub_co_i32 s1, s3, s2
	s_delay_alu instid0(SALU_CYCLE_1)
	s_cmp_gt_i32 s1, 0x3ff
	s_cbranch_scc0 .LBB64_2
; %bb.1:
	s_ashr_i32 s3, s2, 31
	v_lshlrev_b32_e32 v1, 5, v0
	s_lshl_b64 s[12:13], s[2:3], 3
	s_mov_b32 s0, 0
	s_add_nc_u64 s[14:15], s[8:9], s[12:13]
	s_clause 0x1
	global_load_b128 v[2:5], v1, s[14:15]
	global_load_b128 v[6:9], v1, s[14:15] offset:16
	s_wait_xcnt 0x0
	s_add_nc_u64 s[14:15], s[10:11], s[12:13]
	s_clause 0x1
	global_load_b128 v[10:13], v1, s[14:15]
	global_load_b128 v[14:17], v1, s[14:15] offset:16
	s_add_nc_u64 s[12:13], s[6:7], s[12:13]
	s_wait_loadcnt 0x3
	v_mul_u64_e32 v[2:3], s[4:5], v[2:3]
	v_mul_u64_e32 v[4:5], s[4:5], v[4:5]
	s_wait_loadcnt 0x2
	v_mul_u64_e32 v[6:7], s[4:5], v[6:7]
	v_mul_u64_e32 v[8:9], s[4:5], v[8:9]
	s_wait_loadcnt 0x1
	s_delay_alu instid0(VALU_DEP_4) | instskip(NEXT) | instid1(VALU_DEP_4)
	v_mul_u64_e32 v[2:3], v[2:3], v[10:11]
	v_mul_u64_e32 v[4:5], v[4:5], v[12:13]
	s_wait_loadcnt 0x0
	s_delay_alu instid0(VALU_DEP_4) | instskip(NEXT) | instid1(VALU_DEP_4)
	v_mul_u64_e32 v[6:7], v[6:7], v[14:15]
	v_mul_u64_e32 v[8:9], v[8:9], v[16:17]
	s_clause 0x1
	global_store_b128 v1, v[2:5], s[12:13]
	global_store_b128 v1, v[6:9], s[12:13] offset:16
.LBB64_2:
	s_and_not1_b32 vcc_lo, exec_lo, s0
	s_cbranch_vccnz .LBB64_23
; %bb.3:
	s_wait_xcnt 0x1
	v_mov_b64_e32 v[2:3], 0
	v_mov_b64_e32 v[4:5], 0
	s_wait_xcnt 0x0
	v_mov_b64_e32 v[6:7], 0
	v_cmp_gt_i32_e32 vcc_lo, s1, v0
	v_dual_mov_b32 v18, v0 :: v_dual_bitop2_b32 v1, s2, v0 bitop3:0x54
	v_or_b32_e32 v20, 0x100, v0
	s_and_saveexec_b32 s0, vcc_lo
	s_cbranch_execz .LBB64_5
; %bb.4:
	s_clause 0x1
	global_load_b64 v[4:5], v1, s[8:9] scale_offset
	global_load_b64 v[6:7], v1, s[10:11] scale_offset
	v_or_b32_e32 v18, 0x100, v0
.LBB64_5:
	s_wait_xcnt 0x0
	s_or_b32 exec_lo, exec_lo, s0
	v_mov_b64_e32 v[10:11], 0
	s_mov_b32 s3, exec_lo
	v_cmpx_gt_i32_e64 s1, v18
	s_cbranch_execz .LBB64_7
; %bb.6:
	v_add_nc_u32_e32 v8, s2, v18
	v_add_nc_u32_e32 v18, 0x100, v18
	s_clause 0x1
	global_load_b64 v[2:3], v8, s[8:9] scale_offset
	global_load_b64 v[10:11], v8, s[10:11] scale_offset
.LBB64_7:
	s_wait_xcnt 0x0
	s_or_b32 exec_lo, exec_lo, s3
	v_mov_b64_e32 v[8:9], 0
	v_mov_b64_e32 v[12:13], 0
	;; [unrolled: 1-line block ×3, first 2 shown]
	s_mov_b32 s3, exec_lo
	v_cmpx_gt_i32_e64 s1, v18
	s_cbranch_execz .LBB64_9
; %bb.8:
	v_add_nc_u32_e32 v16, s2, v18
	v_add_nc_u32_e32 v18, 0x100, v18
	s_clause 0x1
	global_load_b64 v[12:13], v16, s[8:9] scale_offset
	global_load_b64 v[14:15], v16, s[10:11] scale_offset
.LBB64_9:
	s_wait_xcnt 0x0
	s_or_b32 exec_lo, exec_lo, s3
	v_mov_b64_e32 v[16:17], 0
	s_mov_b32 s3, exec_lo
	v_cmpx_gt_i32_e64 s1, v18
	s_cbranch_execz .LBB64_11
; %bb.10:
	v_add_nc_u32_e32 v18, s2, v18
	s_clause 0x1
	global_load_b64 v[8:9], v18, s[8:9] scale_offset
	global_load_b64 v[16:17], v18, s[10:11] scale_offset
	s_wait_xcnt 0x0
	s_or_b32 exec_lo, exec_lo, s3
                                        ; implicit-def: $vgpr18_vgpr19
	s_and_saveexec_b32 s0, vcc_lo
	s_cbranch_execz .LBB64_13
	s_branch .LBB64_12
.LBB64_11:
	s_or_b32 exec_lo, exec_lo, s3
                                        ; implicit-def: $vgpr18_vgpr19
	s_and_saveexec_b32 s0, vcc_lo
	s_cbranch_execz .LBB64_13
.LBB64_12:
	s_wait_loadcnt 0x1
	v_mul_u64_e32 v[4:5], s[4:5], v[4:5]
	s_wait_loadcnt 0x0
	s_delay_alu instid0(VALU_DEP_1)
	v_mul_u64_e32 v[18:19], v[4:5], v[6:7]
.LBB64_13:
	s_or_b32 exec_lo, exec_lo, s0
	s_delay_alu instid0(SALU_CYCLE_1)
	s_mov_b32 s3, exec_lo
                                        ; implicit-def: $vgpr4_vgpr5
	v_cmpx_gt_i32_e64 s1, v20
	s_cbranch_execz .LBB64_15
; %bb.14:
	s_wait_loadcnt 0x1
	v_mul_u64_e32 v[2:3], s[4:5], v[2:3]
	s_wait_loadcnt 0x0
	s_delay_alu instid0(VALU_DEP_1)
	v_mul_u64_e32 v[4:5], v[2:3], v[10:11]
.LBB64_15:
	s_or_b32 exec_lo, exec_lo, s3
	s_wait_loadcnt 0x1
	v_or_b32_e32 v2, 0x200, v0
	s_delay_alu instid0(VALU_DEP_1)
	v_cmp_gt_i32_e64 s0, s1, v2
                                        ; implicit-def: $vgpr2_vgpr3
	s_and_saveexec_b32 s3, s0
	s_cbranch_execz .LBB64_17
; %bb.16:
	v_mul_u64_e32 v[2:3], s[4:5], v[12:13]
	s_wait_loadcnt 0x0
	s_delay_alu instid0(VALU_DEP_1)
	v_mul_u64_e32 v[2:3], v[2:3], v[14:15]
.LBB64_17:
	s_or_b32 exec_lo, exec_lo, s3
	s_wait_loadcnt 0x0
	v_or_b32_e32 v6, 0x300, v0
	s_delay_alu instid0(VALU_DEP_1)
	v_cmp_gt_i32_e64 s0, s1, v6
                                        ; implicit-def: $vgpr6_vgpr7
	s_and_saveexec_b32 s3, s0
	s_cbranch_execz .LBB64_24
; %bb.18:
	v_mul_u64_e32 v[6:7], s[4:5], v[8:9]
	s_delay_alu instid0(VALU_DEP_1) | instskip(SKIP_2) | instid1(SALU_CYCLE_1)
	v_mul_u64_e32 v[6:7], v[6:7], v[16:17]
	s_or_b32 exec_lo, exec_lo, s3
	s_and_saveexec_b32 s0, vcc_lo
	s_xor_b32 s0, exec_lo, s0
	s_cbranch_execnz .LBB64_25
.LBB64_19:
	s_or_b32 exec_lo, exec_lo, s0
	s_delay_alu instid0(SALU_CYCLE_1)
	s_mov_b32 s0, exec_lo
	v_cmpx_gt_i32_e64 s1, v0
	s_cbranch_execz .LBB64_26
.LBB64_20:
	v_add_nc_u32_e32 v1, s2, v0
	v_add_nc_u32_e32 v0, 0x100, v0
	global_store_b64 v1, v[4:5], s[6:7] scale_offset
	s_wait_xcnt 0x0
	s_or_b32 exec_lo, exec_lo, s0
	s_delay_alu instid0(SALU_CYCLE_1)
	s_mov_b32 s0, exec_lo
	v_cmpx_gt_i32_e64 s1, v0
	s_cbranch_execnz .LBB64_27
.LBB64_21:
	s_or_b32 exec_lo, exec_lo, s0
	s_delay_alu instid0(SALU_CYCLE_1)
	s_mov_b32 s0, exec_lo
	v_cmpx_gt_i32_e64 s1, v0
	s_cbranch_execz .LBB64_23
.LBB64_22:
	v_add_nc_u32_e32 v0, s2, v0
	global_store_b64 v0, v[6:7], s[6:7] scale_offset
.LBB64_23:
	s_endpgm
.LBB64_24:
	s_or_b32 exec_lo, exec_lo, s3
	s_and_saveexec_b32 s0, vcc_lo
	s_delay_alu instid0(SALU_CYCLE_1)
	s_xor_b32 s0, exec_lo, s0
	s_cbranch_execz .LBB64_19
.LBB64_25:
	v_mov_b32_e32 v0, v20
	global_store_b64 v1, v[18:19], s[6:7] scale_offset
	s_wait_xcnt 0x0
	s_or_b32 exec_lo, exec_lo, s0
	s_delay_alu instid0(SALU_CYCLE_1)
	s_mov_b32 s0, exec_lo
	v_cmpx_gt_i32_e64 s1, v0
	s_cbranch_execnz .LBB64_20
.LBB64_26:
	s_or_b32 exec_lo, exec_lo, s0
	s_delay_alu instid0(SALU_CYCLE_1)
	s_mov_b32 s0, exec_lo
	v_cmpx_gt_i32_e64 s1, v0
	s_cbranch_execz .LBB64_21
.LBB64_27:
	v_add_nc_u32_e32 v1, s2, v0
	v_add_nc_u32_e32 v0, 0x100, v0
	global_store_b64 v1, v[2:3], s[6:7] scale_offset
	s_wait_xcnt 0x0
	s_or_b32 exec_lo, exec_lo, s0
	s_delay_alu instid0(SALU_CYCLE_1)
	s_mov_b32 s0, exec_lo
	v_cmpx_gt_i32_e64 s1, v0
	s_cbranch_execnz .LBB64_22
	s_branch .LBB64_23
	.section	.rodata,"a",@progbits
	.p2align	6, 0x0
	.amdhsa_kernel _ZN2at6native29vectorized_elementwise_kernelILi16EZZZNS0_12_GLOBAL__N_116addr_kernel_cudaERNS_14TensorIteratorERKN3c106ScalarES8_ENKUlvE_clEvENKUlvE2_clEvEUllllE_St5arrayIPcLm4EEEEviT0_T1_
		.amdhsa_group_segment_fixed_size 0
		.amdhsa_private_segment_fixed_size 0
		.amdhsa_kernarg_size 48
		.amdhsa_user_sgpr_count 2
		.amdhsa_user_sgpr_dispatch_ptr 0
		.amdhsa_user_sgpr_queue_ptr 0
		.amdhsa_user_sgpr_kernarg_segment_ptr 1
		.amdhsa_user_sgpr_dispatch_id 0
		.amdhsa_user_sgpr_kernarg_preload_length 0
		.amdhsa_user_sgpr_kernarg_preload_offset 0
		.amdhsa_user_sgpr_private_segment_size 0
		.amdhsa_wavefront_size32 1
		.amdhsa_uses_dynamic_stack 0
		.amdhsa_enable_private_segment 0
		.amdhsa_system_sgpr_workgroup_id_x 1
		.amdhsa_system_sgpr_workgroup_id_y 0
		.amdhsa_system_sgpr_workgroup_id_z 0
		.amdhsa_system_sgpr_workgroup_info 0
		.amdhsa_system_vgpr_workitem_id 0
		.amdhsa_next_free_vgpr 21
		.amdhsa_next_free_sgpr 16
		.amdhsa_named_barrier_count 0
		.amdhsa_reserve_vcc 1
		.amdhsa_float_round_mode_32 0
		.amdhsa_float_round_mode_16_64 0
		.amdhsa_float_denorm_mode_32 3
		.amdhsa_float_denorm_mode_16_64 3
		.amdhsa_fp16_overflow 0
		.amdhsa_memory_ordered 1
		.amdhsa_forward_progress 1
		.amdhsa_inst_pref_size 9
		.amdhsa_round_robin_scheduling 0
		.amdhsa_exception_fp_ieee_invalid_op 0
		.amdhsa_exception_fp_denorm_src 0
		.amdhsa_exception_fp_ieee_div_zero 0
		.amdhsa_exception_fp_ieee_overflow 0
		.amdhsa_exception_fp_ieee_underflow 0
		.amdhsa_exception_fp_ieee_inexact 0
		.amdhsa_exception_int_div_zero 0
	.end_amdhsa_kernel
	.section	.text._ZN2at6native29vectorized_elementwise_kernelILi16EZZZNS0_12_GLOBAL__N_116addr_kernel_cudaERNS_14TensorIteratorERKN3c106ScalarES8_ENKUlvE_clEvENKUlvE2_clEvEUllllE_St5arrayIPcLm4EEEEviT0_T1_,"axG",@progbits,_ZN2at6native29vectorized_elementwise_kernelILi16EZZZNS0_12_GLOBAL__N_116addr_kernel_cudaERNS_14TensorIteratorERKN3c106ScalarES8_ENKUlvE_clEvENKUlvE2_clEvEUllllE_St5arrayIPcLm4EEEEviT0_T1_,comdat
.Lfunc_end64:
	.size	_ZN2at6native29vectorized_elementwise_kernelILi16EZZZNS0_12_GLOBAL__N_116addr_kernel_cudaERNS_14TensorIteratorERKN3c106ScalarES8_ENKUlvE_clEvENKUlvE2_clEvEUllllE_St5arrayIPcLm4EEEEviT0_T1_, .Lfunc_end64-_ZN2at6native29vectorized_elementwise_kernelILi16EZZZNS0_12_GLOBAL__N_116addr_kernel_cudaERNS_14TensorIteratorERKN3c106ScalarES8_ENKUlvE_clEvENKUlvE2_clEvEUllllE_St5arrayIPcLm4EEEEviT0_T1_
                                        ; -- End function
	.set _ZN2at6native29vectorized_elementwise_kernelILi16EZZZNS0_12_GLOBAL__N_116addr_kernel_cudaERNS_14TensorIteratorERKN3c106ScalarES8_ENKUlvE_clEvENKUlvE2_clEvEUllllE_St5arrayIPcLm4EEEEviT0_T1_.num_vgpr, 21
	.set _ZN2at6native29vectorized_elementwise_kernelILi16EZZZNS0_12_GLOBAL__N_116addr_kernel_cudaERNS_14TensorIteratorERKN3c106ScalarES8_ENKUlvE_clEvENKUlvE2_clEvEUllllE_St5arrayIPcLm4EEEEviT0_T1_.num_agpr, 0
	.set _ZN2at6native29vectorized_elementwise_kernelILi16EZZZNS0_12_GLOBAL__N_116addr_kernel_cudaERNS_14TensorIteratorERKN3c106ScalarES8_ENKUlvE_clEvENKUlvE2_clEvEUllllE_St5arrayIPcLm4EEEEviT0_T1_.numbered_sgpr, 16
	.set _ZN2at6native29vectorized_elementwise_kernelILi16EZZZNS0_12_GLOBAL__N_116addr_kernel_cudaERNS_14TensorIteratorERKN3c106ScalarES8_ENKUlvE_clEvENKUlvE2_clEvEUllllE_St5arrayIPcLm4EEEEviT0_T1_.num_named_barrier, 0
	.set _ZN2at6native29vectorized_elementwise_kernelILi16EZZZNS0_12_GLOBAL__N_116addr_kernel_cudaERNS_14TensorIteratorERKN3c106ScalarES8_ENKUlvE_clEvENKUlvE2_clEvEUllllE_St5arrayIPcLm4EEEEviT0_T1_.private_seg_size, 0
	.set _ZN2at6native29vectorized_elementwise_kernelILi16EZZZNS0_12_GLOBAL__N_116addr_kernel_cudaERNS_14TensorIteratorERKN3c106ScalarES8_ENKUlvE_clEvENKUlvE2_clEvEUllllE_St5arrayIPcLm4EEEEviT0_T1_.uses_vcc, 1
	.set _ZN2at6native29vectorized_elementwise_kernelILi16EZZZNS0_12_GLOBAL__N_116addr_kernel_cudaERNS_14TensorIteratorERKN3c106ScalarES8_ENKUlvE_clEvENKUlvE2_clEvEUllllE_St5arrayIPcLm4EEEEviT0_T1_.uses_flat_scratch, 0
	.set _ZN2at6native29vectorized_elementwise_kernelILi16EZZZNS0_12_GLOBAL__N_116addr_kernel_cudaERNS_14TensorIteratorERKN3c106ScalarES8_ENKUlvE_clEvENKUlvE2_clEvEUllllE_St5arrayIPcLm4EEEEviT0_T1_.has_dyn_sized_stack, 0
	.set _ZN2at6native29vectorized_elementwise_kernelILi16EZZZNS0_12_GLOBAL__N_116addr_kernel_cudaERNS_14TensorIteratorERKN3c106ScalarES8_ENKUlvE_clEvENKUlvE2_clEvEUllllE_St5arrayIPcLm4EEEEviT0_T1_.has_recursion, 0
	.set _ZN2at6native29vectorized_elementwise_kernelILi16EZZZNS0_12_GLOBAL__N_116addr_kernel_cudaERNS_14TensorIteratorERKN3c106ScalarES8_ENKUlvE_clEvENKUlvE2_clEvEUllllE_St5arrayIPcLm4EEEEviT0_T1_.has_indirect_call, 0
	.section	.AMDGPU.csdata,"",@progbits
; Kernel info:
; codeLenInByte = 1052
; TotalNumSgprs: 18
; NumVgprs: 21
; ScratchSize: 0
; MemoryBound: 0
; FloatMode: 240
; IeeeMode: 1
; LDSByteSize: 0 bytes/workgroup (compile time only)
; SGPRBlocks: 0
; VGPRBlocks: 1
; NumSGPRsForWavesPerEU: 18
; NumVGPRsForWavesPerEU: 21
; NamedBarCnt: 0
; Occupancy: 16
; WaveLimiterHint : 0
; COMPUTE_PGM_RSRC2:SCRATCH_EN: 0
; COMPUTE_PGM_RSRC2:USER_SGPR: 2
; COMPUTE_PGM_RSRC2:TRAP_HANDLER: 0
; COMPUTE_PGM_RSRC2:TGID_X_EN: 1
; COMPUTE_PGM_RSRC2:TGID_Y_EN: 0
; COMPUTE_PGM_RSRC2:TGID_Z_EN: 0
; COMPUTE_PGM_RSRC2:TIDIG_COMP_CNT: 0
	.section	.text._ZN2at6native29vectorized_elementwise_kernelILi8EZZZNS0_12_GLOBAL__N_116addr_kernel_cudaERNS_14TensorIteratorERKN3c106ScalarES8_ENKUlvE_clEvENKUlvE2_clEvEUllllE_St5arrayIPcLm4EEEEviT0_T1_,"axG",@progbits,_ZN2at6native29vectorized_elementwise_kernelILi8EZZZNS0_12_GLOBAL__N_116addr_kernel_cudaERNS_14TensorIteratorERKN3c106ScalarES8_ENKUlvE_clEvENKUlvE2_clEvEUllllE_St5arrayIPcLm4EEEEviT0_T1_,comdat
	.globl	_ZN2at6native29vectorized_elementwise_kernelILi8EZZZNS0_12_GLOBAL__N_116addr_kernel_cudaERNS_14TensorIteratorERKN3c106ScalarES8_ENKUlvE_clEvENKUlvE2_clEvEUllllE_St5arrayIPcLm4EEEEviT0_T1_ ; -- Begin function _ZN2at6native29vectorized_elementwise_kernelILi8EZZZNS0_12_GLOBAL__N_116addr_kernel_cudaERNS_14TensorIteratorERKN3c106ScalarES8_ENKUlvE_clEvENKUlvE2_clEvEUllllE_St5arrayIPcLm4EEEEviT0_T1_
	.p2align	8
	.type	_ZN2at6native29vectorized_elementwise_kernelILi8EZZZNS0_12_GLOBAL__N_116addr_kernel_cudaERNS_14TensorIteratorERKN3c106ScalarES8_ENKUlvE_clEvENKUlvE2_clEvEUllllE_St5arrayIPcLm4EEEEviT0_T1_,@function
_ZN2at6native29vectorized_elementwise_kernelILi8EZZZNS0_12_GLOBAL__N_116addr_kernel_cudaERNS_14TensorIteratorERKN3c106ScalarES8_ENKUlvE_clEvENKUlvE2_clEvEUllllE_St5arrayIPcLm4EEEEviT0_T1_: ; @_ZN2at6native29vectorized_elementwise_kernelILi8EZZZNS0_12_GLOBAL__N_116addr_kernel_cudaERNS_14TensorIteratorERKN3c106ScalarES8_ENKUlvE_clEvENKUlvE2_clEvEUllllE_St5arrayIPcLm4EEEEviT0_T1_
; %bb.0:
	s_clause 0x2
	s_load_b32 s3, s[0:1], 0x0
	s_load_b128 s[4:7], s[0:1], 0x8
	s_load_b128 s[8:11], s[0:1], 0x20
	s_wait_xcnt 0x0
	s_bfe_u32 s0, ttmp6, 0x4000c
	s_and_b32 s1, ttmp6, 15
	s_add_co_i32 s0, s0, 1
	s_getreg_b32 s2, hwreg(HW_REG_IB_STS2, 6, 4)
	s_mul_i32 s0, ttmp9, s0
	s_delay_alu instid0(SALU_CYCLE_1) | instskip(SKIP_2) | instid1(SALU_CYCLE_1)
	s_add_co_i32 s1, s1, s0
	s_cmp_eq_u32 s2, 0
	s_cselect_b32 s0, ttmp9, s1
	s_lshl_b32 s2, s0, 10
	s_mov_b32 s0, -1
	s_wait_kmcnt 0x0
	s_sub_co_i32 s1, s3, s2
	s_delay_alu instid0(SALU_CYCLE_1)
	s_cmp_gt_i32 s1, 0x3ff
	s_cbranch_scc0 .LBB65_2
; %bb.1:
	s_ashr_i32 s3, s2, 31
	v_lshlrev_b32_e32 v1, 5, v0
	s_lshl_b64 s[12:13], s[2:3], 3
	s_mov_b32 s0, 0
	s_add_nc_u64 s[14:15], s[8:9], s[12:13]
	s_clause 0x1
	global_load_b128 v[2:5], v1, s[14:15]
	global_load_b128 v[6:9], v1, s[14:15] offset:16
	s_wait_xcnt 0x0
	s_add_nc_u64 s[14:15], s[10:11], s[12:13]
	s_clause 0x1
	global_load_b128 v[10:13], v1, s[14:15]
	global_load_b128 v[14:17], v1, s[14:15] offset:16
	s_add_nc_u64 s[12:13], s[6:7], s[12:13]
	s_wait_loadcnt 0x3
	v_mul_u64_e32 v[2:3], s[4:5], v[2:3]
	v_mul_u64_e32 v[4:5], s[4:5], v[4:5]
	s_wait_loadcnt 0x2
	v_mul_u64_e32 v[6:7], s[4:5], v[6:7]
	v_mul_u64_e32 v[8:9], s[4:5], v[8:9]
	s_wait_loadcnt 0x1
	s_delay_alu instid0(VALU_DEP_4) | instskip(NEXT) | instid1(VALU_DEP_4)
	v_mul_u64_e32 v[2:3], v[2:3], v[10:11]
	v_mul_u64_e32 v[4:5], v[4:5], v[12:13]
	s_wait_loadcnt 0x0
	s_delay_alu instid0(VALU_DEP_4) | instskip(NEXT) | instid1(VALU_DEP_4)
	v_mul_u64_e32 v[6:7], v[6:7], v[14:15]
	v_mul_u64_e32 v[8:9], v[8:9], v[16:17]
	s_clause 0x1
	global_store_b128 v1, v[2:5], s[12:13]
	global_store_b128 v1, v[6:9], s[12:13] offset:16
.LBB65_2:
	s_and_not1_b32 vcc_lo, exec_lo, s0
	s_cbranch_vccnz .LBB65_23
; %bb.3:
	s_wait_xcnt 0x1
	v_mov_b64_e32 v[2:3], 0
	v_mov_b64_e32 v[4:5], 0
	s_wait_xcnt 0x0
	v_mov_b64_e32 v[6:7], 0
	v_cmp_gt_i32_e32 vcc_lo, s1, v0
	v_dual_mov_b32 v18, v0 :: v_dual_bitop2_b32 v1, s2, v0 bitop3:0x54
	v_or_b32_e32 v20, 0x100, v0
	s_and_saveexec_b32 s0, vcc_lo
	s_cbranch_execz .LBB65_5
; %bb.4:
	s_clause 0x1
	global_load_b64 v[4:5], v1, s[8:9] scale_offset
	global_load_b64 v[6:7], v1, s[10:11] scale_offset
	v_or_b32_e32 v18, 0x100, v0
.LBB65_5:
	s_wait_xcnt 0x0
	s_or_b32 exec_lo, exec_lo, s0
	v_mov_b64_e32 v[10:11], 0
	s_mov_b32 s3, exec_lo
	v_cmpx_gt_i32_e64 s1, v18
	s_cbranch_execz .LBB65_7
; %bb.6:
	v_add_nc_u32_e32 v8, s2, v18
	v_add_nc_u32_e32 v18, 0x100, v18
	s_clause 0x1
	global_load_b64 v[2:3], v8, s[8:9] scale_offset
	global_load_b64 v[10:11], v8, s[10:11] scale_offset
.LBB65_7:
	s_wait_xcnt 0x0
	s_or_b32 exec_lo, exec_lo, s3
	v_mov_b64_e32 v[8:9], 0
	v_mov_b64_e32 v[12:13], 0
	;; [unrolled: 1-line block ×3, first 2 shown]
	s_mov_b32 s3, exec_lo
	v_cmpx_gt_i32_e64 s1, v18
	s_cbranch_execz .LBB65_9
; %bb.8:
	v_add_nc_u32_e32 v16, s2, v18
	v_add_nc_u32_e32 v18, 0x100, v18
	s_clause 0x1
	global_load_b64 v[12:13], v16, s[8:9] scale_offset
	global_load_b64 v[14:15], v16, s[10:11] scale_offset
.LBB65_9:
	s_wait_xcnt 0x0
	s_or_b32 exec_lo, exec_lo, s3
	v_mov_b64_e32 v[16:17], 0
	s_mov_b32 s3, exec_lo
	v_cmpx_gt_i32_e64 s1, v18
	s_cbranch_execz .LBB65_11
; %bb.10:
	v_add_nc_u32_e32 v18, s2, v18
	s_clause 0x1
	global_load_b64 v[8:9], v18, s[8:9] scale_offset
	global_load_b64 v[16:17], v18, s[10:11] scale_offset
	s_wait_xcnt 0x0
	s_or_b32 exec_lo, exec_lo, s3
                                        ; implicit-def: $vgpr18_vgpr19
	s_and_saveexec_b32 s0, vcc_lo
	s_cbranch_execz .LBB65_13
	s_branch .LBB65_12
.LBB65_11:
	s_or_b32 exec_lo, exec_lo, s3
                                        ; implicit-def: $vgpr18_vgpr19
	s_and_saveexec_b32 s0, vcc_lo
	s_cbranch_execz .LBB65_13
.LBB65_12:
	s_wait_loadcnt 0x1
	v_mul_u64_e32 v[4:5], s[4:5], v[4:5]
	s_wait_loadcnt 0x0
	s_delay_alu instid0(VALU_DEP_1)
	v_mul_u64_e32 v[18:19], v[4:5], v[6:7]
.LBB65_13:
	s_or_b32 exec_lo, exec_lo, s0
	s_delay_alu instid0(SALU_CYCLE_1)
	s_mov_b32 s3, exec_lo
                                        ; implicit-def: $vgpr4_vgpr5
	v_cmpx_gt_i32_e64 s1, v20
	s_cbranch_execz .LBB65_15
; %bb.14:
	s_wait_loadcnt 0x1
	v_mul_u64_e32 v[2:3], s[4:5], v[2:3]
	s_wait_loadcnt 0x0
	s_delay_alu instid0(VALU_DEP_1)
	v_mul_u64_e32 v[4:5], v[2:3], v[10:11]
.LBB65_15:
	s_or_b32 exec_lo, exec_lo, s3
	s_wait_loadcnt 0x1
	v_or_b32_e32 v2, 0x200, v0
	s_delay_alu instid0(VALU_DEP_1)
	v_cmp_gt_i32_e64 s0, s1, v2
                                        ; implicit-def: $vgpr2_vgpr3
	s_and_saveexec_b32 s3, s0
	s_cbranch_execz .LBB65_17
; %bb.16:
	v_mul_u64_e32 v[2:3], s[4:5], v[12:13]
	s_wait_loadcnt 0x0
	s_delay_alu instid0(VALU_DEP_1)
	v_mul_u64_e32 v[2:3], v[2:3], v[14:15]
.LBB65_17:
	s_or_b32 exec_lo, exec_lo, s3
	s_wait_loadcnt 0x0
	v_or_b32_e32 v6, 0x300, v0
	s_delay_alu instid0(VALU_DEP_1)
	v_cmp_gt_i32_e64 s0, s1, v6
                                        ; implicit-def: $vgpr6_vgpr7
	s_and_saveexec_b32 s3, s0
	s_cbranch_execz .LBB65_24
; %bb.18:
	v_mul_u64_e32 v[6:7], s[4:5], v[8:9]
	s_delay_alu instid0(VALU_DEP_1) | instskip(SKIP_2) | instid1(SALU_CYCLE_1)
	v_mul_u64_e32 v[6:7], v[6:7], v[16:17]
	s_or_b32 exec_lo, exec_lo, s3
	s_and_saveexec_b32 s0, vcc_lo
	s_xor_b32 s0, exec_lo, s0
	s_cbranch_execnz .LBB65_25
.LBB65_19:
	s_or_b32 exec_lo, exec_lo, s0
	s_delay_alu instid0(SALU_CYCLE_1)
	s_mov_b32 s0, exec_lo
	v_cmpx_gt_i32_e64 s1, v0
	s_cbranch_execz .LBB65_26
.LBB65_20:
	v_add_nc_u32_e32 v1, s2, v0
	v_add_nc_u32_e32 v0, 0x100, v0
	global_store_b64 v1, v[4:5], s[6:7] scale_offset
	s_wait_xcnt 0x0
	s_or_b32 exec_lo, exec_lo, s0
	s_delay_alu instid0(SALU_CYCLE_1)
	s_mov_b32 s0, exec_lo
	v_cmpx_gt_i32_e64 s1, v0
	s_cbranch_execnz .LBB65_27
.LBB65_21:
	s_or_b32 exec_lo, exec_lo, s0
	s_delay_alu instid0(SALU_CYCLE_1)
	s_mov_b32 s0, exec_lo
	v_cmpx_gt_i32_e64 s1, v0
	s_cbranch_execz .LBB65_23
.LBB65_22:
	v_add_nc_u32_e32 v0, s2, v0
	global_store_b64 v0, v[6:7], s[6:7] scale_offset
.LBB65_23:
	s_endpgm
.LBB65_24:
	s_or_b32 exec_lo, exec_lo, s3
	s_and_saveexec_b32 s0, vcc_lo
	s_delay_alu instid0(SALU_CYCLE_1)
	s_xor_b32 s0, exec_lo, s0
	s_cbranch_execz .LBB65_19
.LBB65_25:
	v_mov_b32_e32 v0, v20
	global_store_b64 v1, v[18:19], s[6:7] scale_offset
	s_wait_xcnt 0x0
	s_or_b32 exec_lo, exec_lo, s0
	s_delay_alu instid0(SALU_CYCLE_1)
	s_mov_b32 s0, exec_lo
	v_cmpx_gt_i32_e64 s1, v0
	s_cbranch_execnz .LBB65_20
.LBB65_26:
	s_or_b32 exec_lo, exec_lo, s0
	s_delay_alu instid0(SALU_CYCLE_1)
	s_mov_b32 s0, exec_lo
	v_cmpx_gt_i32_e64 s1, v0
	s_cbranch_execz .LBB65_21
.LBB65_27:
	v_add_nc_u32_e32 v1, s2, v0
	v_add_nc_u32_e32 v0, 0x100, v0
	global_store_b64 v1, v[2:3], s[6:7] scale_offset
	s_wait_xcnt 0x0
	s_or_b32 exec_lo, exec_lo, s0
	s_delay_alu instid0(SALU_CYCLE_1)
	s_mov_b32 s0, exec_lo
	v_cmpx_gt_i32_e64 s1, v0
	s_cbranch_execnz .LBB65_22
	s_branch .LBB65_23
	.section	.rodata,"a",@progbits
	.p2align	6, 0x0
	.amdhsa_kernel _ZN2at6native29vectorized_elementwise_kernelILi8EZZZNS0_12_GLOBAL__N_116addr_kernel_cudaERNS_14TensorIteratorERKN3c106ScalarES8_ENKUlvE_clEvENKUlvE2_clEvEUllllE_St5arrayIPcLm4EEEEviT0_T1_
		.amdhsa_group_segment_fixed_size 0
		.amdhsa_private_segment_fixed_size 0
		.amdhsa_kernarg_size 48
		.amdhsa_user_sgpr_count 2
		.amdhsa_user_sgpr_dispatch_ptr 0
		.amdhsa_user_sgpr_queue_ptr 0
		.amdhsa_user_sgpr_kernarg_segment_ptr 1
		.amdhsa_user_sgpr_dispatch_id 0
		.amdhsa_user_sgpr_kernarg_preload_length 0
		.amdhsa_user_sgpr_kernarg_preload_offset 0
		.amdhsa_user_sgpr_private_segment_size 0
		.amdhsa_wavefront_size32 1
		.amdhsa_uses_dynamic_stack 0
		.amdhsa_enable_private_segment 0
		.amdhsa_system_sgpr_workgroup_id_x 1
		.amdhsa_system_sgpr_workgroup_id_y 0
		.amdhsa_system_sgpr_workgroup_id_z 0
		.amdhsa_system_sgpr_workgroup_info 0
		.amdhsa_system_vgpr_workitem_id 0
		.amdhsa_next_free_vgpr 21
		.amdhsa_next_free_sgpr 16
		.amdhsa_named_barrier_count 0
		.amdhsa_reserve_vcc 1
		.amdhsa_float_round_mode_32 0
		.amdhsa_float_round_mode_16_64 0
		.amdhsa_float_denorm_mode_32 3
		.amdhsa_float_denorm_mode_16_64 3
		.amdhsa_fp16_overflow 0
		.amdhsa_memory_ordered 1
		.amdhsa_forward_progress 1
		.amdhsa_inst_pref_size 9
		.amdhsa_round_robin_scheduling 0
		.amdhsa_exception_fp_ieee_invalid_op 0
		.amdhsa_exception_fp_denorm_src 0
		.amdhsa_exception_fp_ieee_div_zero 0
		.amdhsa_exception_fp_ieee_overflow 0
		.amdhsa_exception_fp_ieee_underflow 0
		.amdhsa_exception_fp_ieee_inexact 0
		.amdhsa_exception_int_div_zero 0
	.end_amdhsa_kernel
	.section	.text._ZN2at6native29vectorized_elementwise_kernelILi8EZZZNS0_12_GLOBAL__N_116addr_kernel_cudaERNS_14TensorIteratorERKN3c106ScalarES8_ENKUlvE_clEvENKUlvE2_clEvEUllllE_St5arrayIPcLm4EEEEviT0_T1_,"axG",@progbits,_ZN2at6native29vectorized_elementwise_kernelILi8EZZZNS0_12_GLOBAL__N_116addr_kernel_cudaERNS_14TensorIteratorERKN3c106ScalarES8_ENKUlvE_clEvENKUlvE2_clEvEUllllE_St5arrayIPcLm4EEEEviT0_T1_,comdat
.Lfunc_end65:
	.size	_ZN2at6native29vectorized_elementwise_kernelILi8EZZZNS0_12_GLOBAL__N_116addr_kernel_cudaERNS_14TensorIteratorERKN3c106ScalarES8_ENKUlvE_clEvENKUlvE2_clEvEUllllE_St5arrayIPcLm4EEEEviT0_T1_, .Lfunc_end65-_ZN2at6native29vectorized_elementwise_kernelILi8EZZZNS0_12_GLOBAL__N_116addr_kernel_cudaERNS_14TensorIteratorERKN3c106ScalarES8_ENKUlvE_clEvENKUlvE2_clEvEUllllE_St5arrayIPcLm4EEEEviT0_T1_
                                        ; -- End function
	.set _ZN2at6native29vectorized_elementwise_kernelILi8EZZZNS0_12_GLOBAL__N_116addr_kernel_cudaERNS_14TensorIteratorERKN3c106ScalarES8_ENKUlvE_clEvENKUlvE2_clEvEUllllE_St5arrayIPcLm4EEEEviT0_T1_.num_vgpr, 21
	.set _ZN2at6native29vectorized_elementwise_kernelILi8EZZZNS0_12_GLOBAL__N_116addr_kernel_cudaERNS_14TensorIteratorERKN3c106ScalarES8_ENKUlvE_clEvENKUlvE2_clEvEUllllE_St5arrayIPcLm4EEEEviT0_T1_.num_agpr, 0
	.set _ZN2at6native29vectorized_elementwise_kernelILi8EZZZNS0_12_GLOBAL__N_116addr_kernel_cudaERNS_14TensorIteratorERKN3c106ScalarES8_ENKUlvE_clEvENKUlvE2_clEvEUllllE_St5arrayIPcLm4EEEEviT0_T1_.numbered_sgpr, 16
	.set _ZN2at6native29vectorized_elementwise_kernelILi8EZZZNS0_12_GLOBAL__N_116addr_kernel_cudaERNS_14TensorIteratorERKN3c106ScalarES8_ENKUlvE_clEvENKUlvE2_clEvEUllllE_St5arrayIPcLm4EEEEviT0_T1_.num_named_barrier, 0
	.set _ZN2at6native29vectorized_elementwise_kernelILi8EZZZNS0_12_GLOBAL__N_116addr_kernel_cudaERNS_14TensorIteratorERKN3c106ScalarES8_ENKUlvE_clEvENKUlvE2_clEvEUllllE_St5arrayIPcLm4EEEEviT0_T1_.private_seg_size, 0
	.set _ZN2at6native29vectorized_elementwise_kernelILi8EZZZNS0_12_GLOBAL__N_116addr_kernel_cudaERNS_14TensorIteratorERKN3c106ScalarES8_ENKUlvE_clEvENKUlvE2_clEvEUllllE_St5arrayIPcLm4EEEEviT0_T1_.uses_vcc, 1
	.set _ZN2at6native29vectorized_elementwise_kernelILi8EZZZNS0_12_GLOBAL__N_116addr_kernel_cudaERNS_14TensorIteratorERKN3c106ScalarES8_ENKUlvE_clEvENKUlvE2_clEvEUllllE_St5arrayIPcLm4EEEEviT0_T1_.uses_flat_scratch, 0
	.set _ZN2at6native29vectorized_elementwise_kernelILi8EZZZNS0_12_GLOBAL__N_116addr_kernel_cudaERNS_14TensorIteratorERKN3c106ScalarES8_ENKUlvE_clEvENKUlvE2_clEvEUllllE_St5arrayIPcLm4EEEEviT0_T1_.has_dyn_sized_stack, 0
	.set _ZN2at6native29vectorized_elementwise_kernelILi8EZZZNS0_12_GLOBAL__N_116addr_kernel_cudaERNS_14TensorIteratorERKN3c106ScalarES8_ENKUlvE_clEvENKUlvE2_clEvEUllllE_St5arrayIPcLm4EEEEviT0_T1_.has_recursion, 0
	.set _ZN2at6native29vectorized_elementwise_kernelILi8EZZZNS0_12_GLOBAL__N_116addr_kernel_cudaERNS_14TensorIteratorERKN3c106ScalarES8_ENKUlvE_clEvENKUlvE2_clEvEUllllE_St5arrayIPcLm4EEEEviT0_T1_.has_indirect_call, 0
	.section	.AMDGPU.csdata,"",@progbits
; Kernel info:
; codeLenInByte = 1052
; TotalNumSgprs: 18
; NumVgprs: 21
; ScratchSize: 0
; MemoryBound: 0
; FloatMode: 240
; IeeeMode: 1
; LDSByteSize: 0 bytes/workgroup (compile time only)
; SGPRBlocks: 0
; VGPRBlocks: 1
; NumSGPRsForWavesPerEU: 18
; NumVGPRsForWavesPerEU: 21
; NamedBarCnt: 0
; Occupancy: 16
; WaveLimiterHint : 0
; COMPUTE_PGM_RSRC2:SCRATCH_EN: 0
; COMPUTE_PGM_RSRC2:USER_SGPR: 2
; COMPUTE_PGM_RSRC2:TRAP_HANDLER: 0
; COMPUTE_PGM_RSRC2:TGID_X_EN: 1
; COMPUTE_PGM_RSRC2:TGID_Y_EN: 0
; COMPUTE_PGM_RSRC2:TGID_Z_EN: 0
; COMPUTE_PGM_RSRC2:TIDIG_COMP_CNT: 0
	.section	.text._ZN2at6native29vectorized_elementwise_kernelILi4EZZZNS0_12_GLOBAL__N_116addr_kernel_cudaERNS_14TensorIteratorERKN3c106ScalarES8_ENKUlvE_clEvENKUlvE2_clEvEUllllE_St5arrayIPcLm4EEEEviT0_T1_,"axG",@progbits,_ZN2at6native29vectorized_elementwise_kernelILi4EZZZNS0_12_GLOBAL__N_116addr_kernel_cudaERNS_14TensorIteratorERKN3c106ScalarES8_ENKUlvE_clEvENKUlvE2_clEvEUllllE_St5arrayIPcLm4EEEEviT0_T1_,comdat
	.globl	_ZN2at6native29vectorized_elementwise_kernelILi4EZZZNS0_12_GLOBAL__N_116addr_kernel_cudaERNS_14TensorIteratorERKN3c106ScalarES8_ENKUlvE_clEvENKUlvE2_clEvEUllllE_St5arrayIPcLm4EEEEviT0_T1_ ; -- Begin function _ZN2at6native29vectorized_elementwise_kernelILi4EZZZNS0_12_GLOBAL__N_116addr_kernel_cudaERNS_14TensorIteratorERKN3c106ScalarES8_ENKUlvE_clEvENKUlvE2_clEvEUllllE_St5arrayIPcLm4EEEEviT0_T1_
	.p2align	8
	.type	_ZN2at6native29vectorized_elementwise_kernelILi4EZZZNS0_12_GLOBAL__N_116addr_kernel_cudaERNS_14TensorIteratorERKN3c106ScalarES8_ENKUlvE_clEvENKUlvE2_clEvEUllllE_St5arrayIPcLm4EEEEviT0_T1_,@function
_ZN2at6native29vectorized_elementwise_kernelILi4EZZZNS0_12_GLOBAL__N_116addr_kernel_cudaERNS_14TensorIteratorERKN3c106ScalarES8_ENKUlvE_clEvENKUlvE2_clEvEUllllE_St5arrayIPcLm4EEEEviT0_T1_: ; @_ZN2at6native29vectorized_elementwise_kernelILi4EZZZNS0_12_GLOBAL__N_116addr_kernel_cudaERNS_14TensorIteratorERKN3c106ScalarES8_ENKUlvE_clEvENKUlvE2_clEvEUllllE_St5arrayIPcLm4EEEEviT0_T1_
; %bb.0:
	s_clause 0x2
	s_load_b32 s3, s[0:1], 0x0
	s_load_b128 s[4:7], s[0:1], 0x8
	s_load_b128 s[8:11], s[0:1], 0x20
	s_wait_xcnt 0x0
	s_bfe_u32 s0, ttmp6, 0x4000c
	s_and_b32 s1, ttmp6, 15
	s_add_co_i32 s0, s0, 1
	s_getreg_b32 s2, hwreg(HW_REG_IB_STS2, 6, 4)
	s_mul_i32 s0, ttmp9, s0
	s_delay_alu instid0(SALU_CYCLE_1) | instskip(SKIP_2) | instid1(SALU_CYCLE_1)
	s_add_co_i32 s1, s1, s0
	s_cmp_eq_u32 s2, 0
	s_cselect_b32 s0, ttmp9, s1
	s_lshl_b32 s2, s0, 10
	s_mov_b32 s0, -1
	s_wait_kmcnt 0x0
	s_sub_co_i32 s1, s3, s2
	s_delay_alu instid0(SALU_CYCLE_1)
	s_cmp_gt_i32 s1, 0x3ff
	s_cbranch_scc0 .LBB66_2
; %bb.1:
	s_ashr_i32 s3, s2, 31
	v_lshlrev_b32_e32 v1, 5, v0
	s_lshl_b64 s[12:13], s[2:3], 3
	s_mov_b32 s0, 0
	s_add_nc_u64 s[14:15], s[8:9], s[12:13]
	s_clause 0x1
	global_load_b128 v[2:5], v1, s[14:15]
	global_load_b128 v[6:9], v1, s[14:15] offset:16
	s_wait_xcnt 0x0
	s_add_nc_u64 s[14:15], s[10:11], s[12:13]
	s_clause 0x1
	global_load_b128 v[10:13], v1, s[14:15]
	global_load_b128 v[14:17], v1, s[14:15] offset:16
	s_add_nc_u64 s[12:13], s[6:7], s[12:13]
	s_wait_loadcnt 0x3
	v_mul_u64_e32 v[2:3], s[4:5], v[2:3]
	v_mul_u64_e32 v[4:5], s[4:5], v[4:5]
	s_wait_loadcnt 0x2
	v_mul_u64_e32 v[6:7], s[4:5], v[6:7]
	v_mul_u64_e32 v[8:9], s[4:5], v[8:9]
	s_wait_loadcnt 0x1
	s_delay_alu instid0(VALU_DEP_4) | instskip(NEXT) | instid1(VALU_DEP_4)
	v_mul_u64_e32 v[2:3], v[2:3], v[10:11]
	v_mul_u64_e32 v[4:5], v[4:5], v[12:13]
	s_wait_loadcnt 0x0
	s_delay_alu instid0(VALU_DEP_4) | instskip(NEXT) | instid1(VALU_DEP_4)
	v_mul_u64_e32 v[6:7], v[6:7], v[14:15]
	v_mul_u64_e32 v[8:9], v[8:9], v[16:17]
	s_clause 0x1
	global_store_b128 v1, v[2:5], s[12:13]
	global_store_b128 v1, v[6:9], s[12:13] offset:16
.LBB66_2:
	s_and_not1_b32 vcc_lo, exec_lo, s0
	s_cbranch_vccnz .LBB66_23
; %bb.3:
	s_wait_xcnt 0x1
	v_mov_b64_e32 v[2:3], 0
	v_mov_b64_e32 v[4:5], 0
	s_wait_xcnt 0x0
	v_mov_b64_e32 v[6:7], 0
	v_cmp_gt_i32_e32 vcc_lo, s1, v0
	v_dual_mov_b32 v18, v0 :: v_dual_bitop2_b32 v1, s2, v0 bitop3:0x54
	v_or_b32_e32 v20, 0x100, v0
	s_and_saveexec_b32 s0, vcc_lo
	s_cbranch_execz .LBB66_5
; %bb.4:
	s_clause 0x1
	global_load_b64 v[4:5], v1, s[8:9] scale_offset
	global_load_b64 v[6:7], v1, s[10:11] scale_offset
	v_or_b32_e32 v18, 0x100, v0
.LBB66_5:
	s_wait_xcnt 0x0
	s_or_b32 exec_lo, exec_lo, s0
	v_mov_b64_e32 v[10:11], 0
	s_mov_b32 s3, exec_lo
	v_cmpx_gt_i32_e64 s1, v18
	s_cbranch_execz .LBB66_7
; %bb.6:
	v_add_nc_u32_e32 v8, s2, v18
	v_add_nc_u32_e32 v18, 0x100, v18
	s_clause 0x1
	global_load_b64 v[2:3], v8, s[8:9] scale_offset
	global_load_b64 v[10:11], v8, s[10:11] scale_offset
.LBB66_7:
	s_wait_xcnt 0x0
	s_or_b32 exec_lo, exec_lo, s3
	v_mov_b64_e32 v[8:9], 0
	v_mov_b64_e32 v[12:13], 0
	;; [unrolled: 1-line block ×3, first 2 shown]
	s_mov_b32 s3, exec_lo
	v_cmpx_gt_i32_e64 s1, v18
	s_cbranch_execz .LBB66_9
; %bb.8:
	v_add_nc_u32_e32 v16, s2, v18
	v_add_nc_u32_e32 v18, 0x100, v18
	s_clause 0x1
	global_load_b64 v[12:13], v16, s[8:9] scale_offset
	global_load_b64 v[14:15], v16, s[10:11] scale_offset
.LBB66_9:
	s_wait_xcnt 0x0
	s_or_b32 exec_lo, exec_lo, s3
	v_mov_b64_e32 v[16:17], 0
	s_mov_b32 s3, exec_lo
	v_cmpx_gt_i32_e64 s1, v18
	s_cbranch_execz .LBB66_11
; %bb.10:
	v_add_nc_u32_e32 v18, s2, v18
	s_clause 0x1
	global_load_b64 v[8:9], v18, s[8:9] scale_offset
	global_load_b64 v[16:17], v18, s[10:11] scale_offset
	s_wait_xcnt 0x0
	s_or_b32 exec_lo, exec_lo, s3
                                        ; implicit-def: $vgpr18_vgpr19
	s_and_saveexec_b32 s0, vcc_lo
	s_cbranch_execz .LBB66_13
	s_branch .LBB66_12
.LBB66_11:
	s_or_b32 exec_lo, exec_lo, s3
                                        ; implicit-def: $vgpr18_vgpr19
	s_and_saveexec_b32 s0, vcc_lo
	s_cbranch_execz .LBB66_13
.LBB66_12:
	s_wait_loadcnt 0x1
	v_mul_u64_e32 v[4:5], s[4:5], v[4:5]
	s_wait_loadcnt 0x0
	s_delay_alu instid0(VALU_DEP_1)
	v_mul_u64_e32 v[18:19], v[4:5], v[6:7]
.LBB66_13:
	s_or_b32 exec_lo, exec_lo, s0
	s_delay_alu instid0(SALU_CYCLE_1)
	s_mov_b32 s3, exec_lo
                                        ; implicit-def: $vgpr4_vgpr5
	v_cmpx_gt_i32_e64 s1, v20
	s_cbranch_execz .LBB66_15
; %bb.14:
	s_wait_loadcnt 0x1
	v_mul_u64_e32 v[2:3], s[4:5], v[2:3]
	s_wait_loadcnt 0x0
	s_delay_alu instid0(VALU_DEP_1)
	v_mul_u64_e32 v[4:5], v[2:3], v[10:11]
.LBB66_15:
	s_or_b32 exec_lo, exec_lo, s3
	s_wait_loadcnt 0x1
	v_or_b32_e32 v2, 0x200, v0
	s_delay_alu instid0(VALU_DEP_1)
	v_cmp_gt_i32_e64 s0, s1, v2
                                        ; implicit-def: $vgpr2_vgpr3
	s_and_saveexec_b32 s3, s0
	s_cbranch_execz .LBB66_17
; %bb.16:
	v_mul_u64_e32 v[2:3], s[4:5], v[12:13]
	s_wait_loadcnt 0x0
	s_delay_alu instid0(VALU_DEP_1)
	v_mul_u64_e32 v[2:3], v[2:3], v[14:15]
.LBB66_17:
	s_or_b32 exec_lo, exec_lo, s3
	s_wait_loadcnt 0x0
	v_or_b32_e32 v6, 0x300, v0
	s_delay_alu instid0(VALU_DEP_1)
	v_cmp_gt_i32_e64 s0, s1, v6
                                        ; implicit-def: $vgpr6_vgpr7
	s_and_saveexec_b32 s3, s0
	s_cbranch_execz .LBB66_24
; %bb.18:
	v_mul_u64_e32 v[6:7], s[4:5], v[8:9]
	s_delay_alu instid0(VALU_DEP_1) | instskip(SKIP_2) | instid1(SALU_CYCLE_1)
	v_mul_u64_e32 v[6:7], v[6:7], v[16:17]
	s_or_b32 exec_lo, exec_lo, s3
	s_and_saveexec_b32 s0, vcc_lo
	s_xor_b32 s0, exec_lo, s0
	s_cbranch_execnz .LBB66_25
.LBB66_19:
	s_or_b32 exec_lo, exec_lo, s0
	s_delay_alu instid0(SALU_CYCLE_1)
	s_mov_b32 s0, exec_lo
	v_cmpx_gt_i32_e64 s1, v0
	s_cbranch_execz .LBB66_26
.LBB66_20:
	v_add_nc_u32_e32 v1, s2, v0
	v_add_nc_u32_e32 v0, 0x100, v0
	global_store_b64 v1, v[4:5], s[6:7] scale_offset
	s_wait_xcnt 0x0
	s_or_b32 exec_lo, exec_lo, s0
	s_delay_alu instid0(SALU_CYCLE_1)
	s_mov_b32 s0, exec_lo
	v_cmpx_gt_i32_e64 s1, v0
	s_cbranch_execnz .LBB66_27
.LBB66_21:
	s_or_b32 exec_lo, exec_lo, s0
	s_delay_alu instid0(SALU_CYCLE_1)
	s_mov_b32 s0, exec_lo
	v_cmpx_gt_i32_e64 s1, v0
	s_cbranch_execz .LBB66_23
.LBB66_22:
	v_add_nc_u32_e32 v0, s2, v0
	global_store_b64 v0, v[6:7], s[6:7] scale_offset
.LBB66_23:
	s_endpgm
.LBB66_24:
	s_or_b32 exec_lo, exec_lo, s3
	s_and_saveexec_b32 s0, vcc_lo
	s_delay_alu instid0(SALU_CYCLE_1)
	s_xor_b32 s0, exec_lo, s0
	s_cbranch_execz .LBB66_19
.LBB66_25:
	v_mov_b32_e32 v0, v20
	global_store_b64 v1, v[18:19], s[6:7] scale_offset
	s_wait_xcnt 0x0
	s_or_b32 exec_lo, exec_lo, s0
	s_delay_alu instid0(SALU_CYCLE_1)
	s_mov_b32 s0, exec_lo
	v_cmpx_gt_i32_e64 s1, v0
	s_cbranch_execnz .LBB66_20
.LBB66_26:
	s_or_b32 exec_lo, exec_lo, s0
	s_delay_alu instid0(SALU_CYCLE_1)
	s_mov_b32 s0, exec_lo
	v_cmpx_gt_i32_e64 s1, v0
	s_cbranch_execz .LBB66_21
.LBB66_27:
	v_add_nc_u32_e32 v1, s2, v0
	v_add_nc_u32_e32 v0, 0x100, v0
	global_store_b64 v1, v[2:3], s[6:7] scale_offset
	s_wait_xcnt 0x0
	s_or_b32 exec_lo, exec_lo, s0
	s_delay_alu instid0(SALU_CYCLE_1)
	s_mov_b32 s0, exec_lo
	v_cmpx_gt_i32_e64 s1, v0
	s_cbranch_execnz .LBB66_22
	s_branch .LBB66_23
	.section	.rodata,"a",@progbits
	.p2align	6, 0x0
	.amdhsa_kernel _ZN2at6native29vectorized_elementwise_kernelILi4EZZZNS0_12_GLOBAL__N_116addr_kernel_cudaERNS_14TensorIteratorERKN3c106ScalarES8_ENKUlvE_clEvENKUlvE2_clEvEUllllE_St5arrayIPcLm4EEEEviT0_T1_
		.amdhsa_group_segment_fixed_size 0
		.amdhsa_private_segment_fixed_size 0
		.amdhsa_kernarg_size 48
		.amdhsa_user_sgpr_count 2
		.amdhsa_user_sgpr_dispatch_ptr 0
		.amdhsa_user_sgpr_queue_ptr 0
		.amdhsa_user_sgpr_kernarg_segment_ptr 1
		.amdhsa_user_sgpr_dispatch_id 0
		.amdhsa_user_sgpr_kernarg_preload_length 0
		.amdhsa_user_sgpr_kernarg_preload_offset 0
		.amdhsa_user_sgpr_private_segment_size 0
		.amdhsa_wavefront_size32 1
		.amdhsa_uses_dynamic_stack 0
		.amdhsa_enable_private_segment 0
		.amdhsa_system_sgpr_workgroup_id_x 1
		.amdhsa_system_sgpr_workgroup_id_y 0
		.amdhsa_system_sgpr_workgroup_id_z 0
		.amdhsa_system_sgpr_workgroup_info 0
		.amdhsa_system_vgpr_workitem_id 0
		.amdhsa_next_free_vgpr 21
		.amdhsa_next_free_sgpr 16
		.amdhsa_named_barrier_count 0
		.amdhsa_reserve_vcc 1
		.amdhsa_float_round_mode_32 0
		.amdhsa_float_round_mode_16_64 0
		.amdhsa_float_denorm_mode_32 3
		.amdhsa_float_denorm_mode_16_64 3
		.amdhsa_fp16_overflow 0
		.amdhsa_memory_ordered 1
		.amdhsa_forward_progress 1
		.amdhsa_inst_pref_size 9
		.amdhsa_round_robin_scheduling 0
		.amdhsa_exception_fp_ieee_invalid_op 0
		.amdhsa_exception_fp_denorm_src 0
		.amdhsa_exception_fp_ieee_div_zero 0
		.amdhsa_exception_fp_ieee_overflow 0
		.amdhsa_exception_fp_ieee_underflow 0
		.amdhsa_exception_fp_ieee_inexact 0
		.amdhsa_exception_int_div_zero 0
	.end_amdhsa_kernel
	.section	.text._ZN2at6native29vectorized_elementwise_kernelILi4EZZZNS0_12_GLOBAL__N_116addr_kernel_cudaERNS_14TensorIteratorERKN3c106ScalarES8_ENKUlvE_clEvENKUlvE2_clEvEUllllE_St5arrayIPcLm4EEEEviT0_T1_,"axG",@progbits,_ZN2at6native29vectorized_elementwise_kernelILi4EZZZNS0_12_GLOBAL__N_116addr_kernel_cudaERNS_14TensorIteratorERKN3c106ScalarES8_ENKUlvE_clEvENKUlvE2_clEvEUllllE_St5arrayIPcLm4EEEEviT0_T1_,comdat
.Lfunc_end66:
	.size	_ZN2at6native29vectorized_elementwise_kernelILi4EZZZNS0_12_GLOBAL__N_116addr_kernel_cudaERNS_14TensorIteratorERKN3c106ScalarES8_ENKUlvE_clEvENKUlvE2_clEvEUllllE_St5arrayIPcLm4EEEEviT0_T1_, .Lfunc_end66-_ZN2at6native29vectorized_elementwise_kernelILi4EZZZNS0_12_GLOBAL__N_116addr_kernel_cudaERNS_14TensorIteratorERKN3c106ScalarES8_ENKUlvE_clEvENKUlvE2_clEvEUllllE_St5arrayIPcLm4EEEEviT0_T1_
                                        ; -- End function
	.set _ZN2at6native29vectorized_elementwise_kernelILi4EZZZNS0_12_GLOBAL__N_116addr_kernel_cudaERNS_14TensorIteratorERKN3c106ScalarES8_ENKUlvE_clEvENKUlvE2_clEvEUllllE_St5arrayIPcLm4EEEEviT0_T1_.num_vgpr, 21
	.set _ZN2at6native29vectorized_elementwise_kernelILi4EZZZNS0_12_GLOBAL__N_116addr_kernel_cudaERNS_14TensorIteratorERKN3c106ScalarES8_ENKUlvE_clEvENKUlvE2_clEvEUllllE_St5arrayIPcLm4EEEEviT0_T1_.num_agpr, 0
	.set _ZN2at6native29vectorized_elementwise_kernelILi4EZZZNS0_12_GLOBAL__N_116addr_kernel_cudaERNS_14TensorIteratorERKN3c106ScalarES8_ENKUlvE_clEvENKUlvE2_clEvEUllllE_St5arrayIPcLm4EEEEviT0_T1_.numbered_sgpr, 16
	.set _ZN2at6native29vectorized_elementwise_kernelILi4EZZZNS0_12_GLOBAL__N_116addr_kernel_cudaERNS_14TensorIteratorERKN3c106ScalarES8_ENKUlvE_clEvENKUlvE2_clEvEUllllE_St5arrayIPcLm4EEEEviT0_T1_.num_named_barrier, 0
	.set _ZN2at6native29vectorized_elementwise_kernelILi4EZZZNS0_12_GLOBAL__N_116addr_kernel_cudaERNS_14TensorIteratorERKN3c106ScalarES8_ENKUlvE_clEvENKUlvE2_clEvEUllllE_St5arrayIPcLm4EEEEviT0_T1_.private_seg_size, 0
	.set _ZN2at6native29vectorized_elementwise_kernelILi4EZZZNS0_12_GLOBAL__N_116addr_kernel_cudaERNS_14TensorIteratorERKN3c106ScalarES8_ENKUlvE_clEvENKUlvE2_clEvEUllllE_St5arrayIPcLm4EEEEviT0_T1_.uses_vcc, 1
	.set _ZN2at6native29vectorized_elementwise_kernelILi4EZZZNS0_12_GLOBAL__N_116addr_kernel_cudaERNS_14TensorIteratorERKN3c106ScalarES8_ENKUlvE_clEvENKUlvE2_clEvEUllllE_St5arrayIPcLm4EEEEviT0_T1_.uses_flat_scratch, 0
	.set _ZN2at6native29vectorized_elementwise_kernelILi4EZZZNS0_12_GLOBAL__N_116addr_kernel_cudaERNS_14TensorIteratorERKN3c106ScalarES8_ENKUlvE_clEvENKUlvE2_clEvEUllllE_St5arrayIPcLm4EEEEviT0_T1_.has_dyn_sized_stack, 0
	.set _ZN2at6native29vectorized_elementwise_kernelILi4EZZZNS0_12_GLOBAL__N_116addr_kernel_cudaERNS_14TensorIteratorERKN3c106ScalarES8_ENKUlvE_clEvENKUlvE2_clEvEUllllE_St5arrayIPcLm4EEEEviT0_T1_.has_recursion, 0
	.set _ZN2at6native29vectorized_elementwise_kernelILi4EZZZNS0_12_GLOBAL__N_116addr_kernel_cudaERNS_14TensorIteratorERKN3c106ScalarES8_ENKUlvE_clEvENKUlvE2_clEvEUllllE_St5arrayIPcLm4EEEEviT0_T1_.has_indirect_call, 0
	.section	.AMDGPU.csdata,"",@progbits
; Kernel info:
; codeLenInByte = 1052
; TotalNumSgprs: 18
; NumVgprs: 21
; ScratchSize: 0
; MemoryBound: 0
; FloatMode: 240
; IeeeMode: 1
; LDSByteSize: 0 bytes/workgroup (compile time only)
; SGPRBlocks: 0
; VGPRBlocks: 1
; NumSGPRsForWavesPerEU: 18
; NumVGPRsForWavesPerEU: 21
; NamedBarCnt: 0
; Occupancy: 16
; WaveLimiterHint : 0
; COMPUTE_PGM_RSRC2:SCRATCH_EN: 0
; COMPUTE_PGM_RSRC2:USER_SGPR: 2
; COMPUTE_PGM_RSRC2:TRAP_HANDLER: 0
; COMPUTE_PGM_RSRC2:TGID_X_EN: 1
; COMPUTE_PGM_RSRC2:TGID_Y_EN: 0
; COMPUTE_PGM_RSRC2:TGID_Z_EN: 0
; COMPUTE_PGM_RSRC2:TIDIG_COMP_CNT: 0
	.section	.text._ZN2at6native29vectorized_elementwise_kernelILi2EZZZNS0_12_GLOBAL__N_116addr_kernel_cudaERNS_14TensorIteratorERKN3c106ScalarES8_ENKUlvE_clEvENKUlvE2_clEvEUllllE_St5arrayIPcLm4EEEEviT0_T1_,"axG",@progbits,_ZN2at6native29vectorized_elementwise_kernelILi2EZZZNS0_12_GLOBAL__N_116addr_kernel_cudaERNS_14TensorIteratorERKN3c106ScalarES8_ENKUlvE_clEvENKUlvE2_clEvEUllllE_St5arrayIPcLm4EEEEviT0_T1_,comdat
	.globl	_ZN2at6native29vectorized_elementwise_kernelILi2EZZZNS0_12_GLOBAL__N_116addr_kernel_cudaERNS_14TensorIteratorERKN3c106ScalarES8_ENKUlvE_clEvENKUlvE2_clEvEUllllE_St5arrayIPcLm4EEEEviT0_T1_ ; -- Begin function _ZN2at6native29vectorized_elementwise_kernelILi2EZZZNS0_12_GLOBAL__N_116addr_kernel_cudaERNS_14TensorIteratorERKN3c106ScalarES8_ENKUlvE_clEvENKUlvE2_clEvEUllllE_St5arrayIPcLm4EEEEviT0_T1_
	.p2align	8
	.type	_ZN2at6native29vectorized_elementwise_kernelILi2EZZZNS0_12_GLOBAL__N_116addr_kernel_cudaERNS_14TensorIteratorERKN3c106ScalarES8_ENKUlvE_clEvENKUlvE2_clEvEUllllE_St5arrayIPcLm4EEEEviT0_T1_,@function
_ZN2at6native29vectorized_elementwise_kernelILi2EZZZNS0_12_GLOBAL__N_116addr_kernel_cudaERNS_14TensorIteratorERKN3c106ScalarES8_ENKUlvE_clEvENKUlvE2_clEvEUllllE_St5arrayIPcLm4EEEEviT0_T1_: ; @_ZN2at6native29vectorized_elementwise_kernelILi2EZZZNS0_12_GLOBAL__N_116addr_kernel_cudaERNS_14TensorIteratorERKN3c106ScalarES8_ENKUlvE_clEvENKUlvE2_clEvEUllllE_St5arrayIPcLm4EEEEviT0_T1_
; %bb.0:
	s_clause 0x2
	s_load_b32 s3, s[0:1], 0x0
	s_load_b128 s[4:7], s[0:1], 0x8
	s_load_b128 s[8:11], s[0:1], 0x20
	s_wait_xcnt 0x0
	s_bfe_u32 s0, ttmp6, 0x4000c
	s_and_b32 s1, ttmp6, 15
	s_add_co_i32 s0, s0, 1
	s_getreg_b32 s2, hwreg(HW_REG_IB_STS2, 6, 4)
	s_mul_i32 s0, ttmp9, s0
	s_delay_alu instid0(SALU_CYCLE_1) | instskip(SKIP_2) | instid1(SALU_CYCLE_1)
	s_add_co_i32 s1, s1, s0
	s_cmp_eq_u32 s2, 0
	s_cselect_b32 s0, ttmp9, s1
	s_lshl_b32 s2, s0, 10
	s_mov_b32 s0, -1
	s_wait_kmcnt 0x0
	s_sub_co_i32 s1, s3, s2
	s_delay_alu instid0(SALU_CYCLE_1)
	s_cmp_gt_i32 s1, 0x3ff
	s_cbranch_scc0 .LBB67_2
; %bb.1:
	s_ashr_i32 s3, s2, 31
	s_mov_b32 s0, 0
	s_lshl_b64 s[12:13], s[2:3], 3
	s_delay_alu instid0(SALU_CYCLE_1)
	s_add_nc_u64 s[14:15], s[8:9], s[12:13]
	s_clause 0x1
	global_load_b128 v[2:5], v0, s[14:15] scale_offset
	global_load_b128 v[6:9], v0, s[14:15] offset:4096 scale_offset
	s_wait_xcnt 0x0
	s_add_nc_u64 s[14:15], s[10:11], s[12:13]
	s_clause 0x1
	global_load_b128 v[10:13], v0, s[14:15] scale_offset
	global_load_b128 v[14:17], v0, s[14:15] offset:4096 scale_offset
	s_add_nc_u64 s[12:13], s[6:7], s[12:13]
	s_wait_loadcnt 0x3
	v_mul_u64_e32 v[2:3], s[4:5], v[2:3]
	v_mul_u64_e32 v[4:5], s[4:5], v[4:5]
	s_wait_loadcnt 0x2
	v_mul_u64_e32 v[6:7], s[4:5], v[6:7]
	v_mul_u64_e32 v[8:9], s[4:5], v[8:9]
	s_wait_loadcnt 0x1
	s_delay_alu instid0(VALU_DEP_4) | instskip(NEXT) | instid1(VALU_DEP_4)
	v_mul_u64_e32 v[2:3], v[2:3], v[10:11]
	v_mul_u64_e32 v[4:5], v[4:5], v[12:13]
	s_wait_loadcnt 0x0
	s_delay_alu instid0(VALU_DEP_4) | instskip(NEXT) | instid1(VALU_DEP_4)
	v_mul_u64_e32 v[6:7], v[6:7], v[14:15]
	v_mul_u64_e32 v[8:9], v[8:9], v[16:17]
	s_clause 0x1
	global_store_b128 v0, v[2:5], s[12:13] scale_offset
	global_store_b128 v0, v[6:9], s[12:13] offset:4096 scale_offset
.LBB67_2:
	s_and_not1_b32 vcc_lo, exec_lo, s0
	s_cbranch_vccnz .LBB67_23
; %bb.3:
	s_wait_xcnt 0x1
	v_mov_b64_e32 v[2:3], 0
	v_mov_b64_e32 v[4:5], 0
	s_wait_xcnt 0x0
	v_mov_b64_e32 v[6:7], 0
	v_cmp_gt_i32_e32 vcc_lo, s1, v0
	v_dual_mov_b32 v18, v0 :: v_dual_bitop2_b32 v1, s2, v0 bitop3:0x54
	v_or_b32_e32 v20, 0x100, v0
	s_and_saveexec_b32 s0, vcc_lo
	s_cbranch_execz .LBB67_5
; %bb.4:
	s_clause 0x1
	global_load_b64 v[4:5], v1, s[8:9] scale_offset
	global_load_b64 v[6:7], v1, s[10:11] scale_offset
	v_or_b32_e32 v18, 0x100, v0
.LBB67_5:
	s_wait_xcnt 0x0
	s_or_b32 exec_lo, exec_lo, s0
	v_mov_b64_e32 v[10:11], 0
	s_mov_b32 s3, exec_lo
	v_cmpx_gt_i32_e64 s1, v18
	s_cbranch_execz .LBB67_7
; %bb.6:
	v_add_nc_u32_e32 v8, s2, v18
	v_add_nc_u32_e32 v18, 0x100, v18
	s_clause 0x1
	global_load_b64 v[2:3], v8, s[8:9] scale_offset
	global_load_b64 v[10:11], v8, s[10:11] scale_offset
.LBB67_7:
	s_wait_xcnt 0x0
	s_or_b32 exec_lo, exec_lo, s3
	v_mov_b64_e32 v[8:9], 0
	v_mov_b64_e32 v[12:13], 0
	;; [unrolled: 1-line block ×3, first 2 shown]
	s_mov_b32 s3, exec_lo
	v_cmpx_gt_i32_e64 s1, v18
	s_cbranch_execz .LBB67_9
; %bb.8:
	v_add_nc_u32_e32 v16, s2, v18
	v_add_nc_u32_e32 v18, 0x100, v18
	s_clause 0x1
	global_load_b64 v[12:13], v16, s[8:9] scale_offset
	global_load_b64 v[14:15], v16, s[10:11] scale_offset
.LBB67_9:
	s_wait_xcnt 0x0
	s_or_b32 exec_lo, exec_lo, s3
	v_mov_b64_e32 v[16:17], 0
	s_mov_b32 s3, exec_lo
	v_cmpx_gt_i32_e64 s1, v18
	s_cbranch_execz .LBB67_11
; %bb.10:
	v_add_nc_u32_e32 v18, s2, v18
	s_clause 0x1
	global_load_b64 v[8:9], v18, s[8:9] scale_offset
	global_load_b64 v[16:17], v18, s[10:11] scale_offset
	s_wait_xcnt 0x0
	s_or_b32 exec_lo, exec_lo, s3
                                        ; implicit-def: $vgpr18_vgpr19
	s_and_saveexec_b32 s0, vcc_lo
	s_cbranch_execz .LBB67_13
	s_branch .LBB67_12
.LBB67_11:
	s_or_b32 exec_lo, exec_lo, s3
                                        ; implicit-def: $vgpr18_vgpr19
	s_and_saveexec_b32 s0, vcc_lo
	s_cbranch_execz .LBB67_13
.LBB67_12:
	s_wait_loadcnt 0x1
	v_mul_u64_e32 v[4:5], s[4:5], v[4:5]
	s_wait_loadcnt 0x0
	s_delay_alu instid0(VALU_DEP_1)
	v_mul_u64_e32 v[18:19], v[4:5], v[6:7]
.LBB67_13:
	s_or_b32 exec_lo, exec_lo, s0
	s_delay_alu instid0(SALU_CYCLE_1)
	s_mov_b32 s3, exec_lo
                                        ; implicit-def: $vgpr4_vgpr5
	v_cmpx_gt_i32_e64 s1, v20
	s_cbranch_execz .LBB67_15
; %bb.14:
	s_wait_loadcnt 0x1
	v_mul_u64_e32 v[2:3], s[4:5], v[2:3]
	s_wait_loadcnt 0x0
	s_delay_alu instid0(VALU_DEP_1)
	v_mul_u64_e32 v[4:5], v[2:3], v[10:11]
.LBB67_15:
	s_or_b32 exec_lo, exec_lo, s3
	s_wait_loadcnt 0x1
	v_or_b32_e32 v2, 0x200, v0
	s_delay_alu instid0(VALU_DEP_1)
	v_cmp_gt_i32_e64 s0, s1, v2
                                        ; implicit-def: $vgpr2_vgpr3
	s_and_saveexec_b32 s3, s0
	s_cbranch_execz .LBB67_17
; %bb.16:
	v_mul_u64_e32 v[2:3], s[4:5], v[12:13]
	s_wait_loadcnt 0x0
	s_delay_alu instid0(VALU_DEP_1)
	v_mul_u64_e32 v[2:3], v[2:3], v[14:15]
.LBB67_17:
	s_or_b32 exec_lo, exec_lo, s3
	s_wait_loadcnt 0x0
	v_or_b32_e32 v6, 0x300, v0
	s_delay_alu instid0(VALU_DEP_1)
	v_cmp_gt_i32_e64 s0, s1, v6
                                        ; implicit-def: $vgpr6_vgpr7
	s_and_saveexec_b32 s3, s0
	s_cbranch_execz .LBB67_24
; %bb.18:
	v_mul_u64_e32 v[6:7], s[4:5], v[8:9]
	s_delay_alu instid0(VALU_DEP_1) | instskip(SKIP_2) | instid1(SALU_CYCLE_1)
	v_mul_u64_e32 v[6:7], v[6:7], v[16:17]
	s_or_b32 exec_lo, exec_lo, s3
	s_and_saveexec_b32 s0, vcc_lo
	s_xor_b32 s0, exec_lo, s0
	s_cbranch_execnz .LBB67_25
.LBB67_19:
	s_or_b32 exec_lo, exec_lo, s0
	s_delay_alu instid0(SALU_CYCLE_1)
	s_mov_b32 s0, exec_lo
	v_cmpx_gt_i32_e64 s1, v0
	s_cbranch_execz .LBB67_26
.LBB67_20:
	v_add_nc_u32_e32 v1, s2, v0
	v_add_nc_u32_e32 v0, 0x100, v0
	global_store_b64 v1, v[4:5], s[6:7] scale_offset
	s_wait_xcnt 0x0
	s_or_b32 exec_lo, exec_lo, s0
	s_delay_alu instid0(SALU_CYCLE_1)
	s_mov_b32 s0, exec_lo
	v_cmpx_gt_i32_e64 s1, v0
	s_cbranch_execnz .LBB67_27
.LBB67_21:
	s_or_b32 exec_lo, exec_lo, s0
	s_delay_alu instid0(SALU_CYCLE_1)
	s_mov_b32 s0, exec_lo
	v_cmpx_gt_i32_e64 s1, v0
	s_cbranch_execz .LBB67_23
.LBB67_22:
	v_add_nc_u32_e32 v0, s2, v0
	global_store_b64 v0, v[6:7], s[6:7] scale_offset
.LBB67_23:
	s_endpgm
.LBB67_24:
	s_or_b32 exec_lo, exec_lo, s3
	s_and_saveexec_b32 s0, vcc_lo
	s_delay_alu instid0(SALU_CYCLE_1)
	s_xor_b32 s0, exec_lo, s0
	s_cbranch_execz .LBB67_19
.LBB67_25:
	v_mov_b32_e32 v0, v20
	global_store_b64 v1, v[18:19], s[6:7] scale_offset
	s_wait_xcnt 0x0
	s_or_b32 exec_lo, exec_lo, s0
	s_delay_alu instid0(SALU_CYCLE_1)
	s_mov_b32 s0, exec_lo
	v_cmpx_gt_i32_e64 s1, v0
	s_cbranch_execnz .LBB67_20
.LBB67_26:
	s_or_b32 exec_lo, exec_lo, s0
	s_delay_alu instid0(SALU_CYCLE_1)
	s_mov_b32 s0, exec_lo
	v_cmpx_gt_i32_e64 s1, v0
	s_cbranch_execz .LBB67_21
.LBB67_27:
	v_add_nc_u32_e32 v1, s2, v0
	v_add_nc_u32_e32 v0, 0x100, v0
	global_store_b64 v1, v[2:3], s[6:7] scale_offset
	s_wait_xcnt 0x0
	s_or_b32 exec_lo, exec_lo, s0
	s_delay_alu instid0(SALU_CYCLE_1)
	s_mov_b32 s0, exec_lo
	v_cmpx_gt_i32_e64 s1, v0
	s_cbranch_execnz .LBB67_22
	s_branch .LBB67_23
	.section	.rodata,"a",@progbits
	.p2align	6, 0x0
	.amdhsa_kernel _ZN2at6native29vectorized_elementwise_kernelILi2EZZZNS0_12_GLOBAL__N_116addr_kernel_cudaERNS_14TensorIteratorERKN3c106ScalarES8_ENKUlvE_clEvENKUlvE2_clEvEUllllE_St5arrayIPcLm4EEEEviT0_T1_
		.amdhsa_group_segment_fixed_size 0
		.amdhsa_private_segment_fixed_size 0
		.amdhsa_kernarg_size 48
		.amdhsa_user_sgpr_count 2
		.amdhsa_user_sgpr_dispatch_ptr 0
		.amdhsa_user_sgpr_queue_ptr 0
		.amdhsa_user_sgpr_kernarg_segment_ptr 1
		.amdhsa_user_sgpr_dispatch_id 0
		.amdhsa_user_sgpr_kernarg_preload_length 0
		.amdhsa_user_sgpr_kernarg_preload_offset 0
		.amdhsa_user_sgpr_private_segment_size 0
		.amdhsa_wavefront_size32 1
		.amdhsa_uses_dynamic_stack 0
		.amdhsa_enable_private_segment 0
		.amdhsa_system_sgpr_workgroup_id_x 1
		.amdhsa_system_sgpr_workgroup_id_y 0
		.amdhsa_system_sgpr_workgroup_id_z 0
		.amdhsa_system_sgpr_workgroup_info 0
		.amdhsa_system_vgpr_workitem_id 0
		.amdhsa_next_free_vgpr 21
		.amdhsa_next_free_sgpr 16
		.amdhsa_named_barrier_count 0
		.amdhsa_reserve_vcc 1
		.amdhsa_float_round_mode_32 0
		.amdhsa_float_round_mode_16_64 0
		.amdhsa_float_denorm_mode_32 3
		.amdhsa_float_denorm_mode_16_64 3
		.amdhsa_fp16_overflow 0
		.amdhsa_memory_ordered 1
		.amdhsa_forward_progress 1
		.amdhsa_inst_pref_size 9
		.amdhsa_round_robin_scheduling 0
		.amdhsa_exception_fp_ieee_invalid_op 0
		.amdhsa_exception_fp_denorm_src 0
		.amdhsa_exception_fp_ieee_div_zero 0
		.amdhsa_exception_fp_ieee_overflow 0
		.amdhsa_exception_fp_ieee_underflow 0
		.amdhsa_exception_fp_ieee_inexact 0
		.amdhsa_exception_int_div_zero 0
	.end_amdhsa_kernel
	.section	.text._ZN2at6native29vectorized_elementwise_kernelILi2EZZZNS0_12_GLOBAL__N_116addr_kernel_cudaERNS_14TensorIteratorERKN3c106ScalarES8_ENKUlvE_clEvENKUlvE2_clEvEUllllE_St5arrayIPcLm4EEEEviT0_T1_,"axG",@progbits,_ZN2at6native29vectorized_elementwise_kernelILi2EZZZNS0_12_GLOBAL__N_116addr_kernel_cudaERNS_14TensorIteratorERKN3c106ScalarES8_ENKUlvE_clEvENKUlvE2_clEvEUllllE_St5arrayIPcLm4EEEEviT0_T1_,comdat
.Lfunc_end67:
	.size	_ZN2at6native29vectorized_elementwise_kernelILi2EZZZNS0_12_GLOBAL__N_116addr_kernel_cudaERNS_14TensorIteratorERKN3c106ScalarES8_ENKUlvE_clEvENKUlvE2_clEvEUllllE_St5arrayIPcLm4EEEEviT0_T1_, .Lfunc_end67-_ZN2at6native29vectorized_elementwise_kernelILi2EZZZNS0_12_GLOBAL__N_116addr_kernel_cudaERNS_14TensorIteratorERKN3c106ScalarES8_ENKUlvE_clEvENKUlvE2_clEvEUllllE_St5arrayIPcLm4EEEEviT0_T1_
                                        ; -- End function
	.set _ZN2at6native29vectorized_elementwise_kernelILi2EZZZNS0_12_GLOBAL__N_116addr_kernel_cudaERNS_14TensorIteratorERKN3c106ScalarES8_ENKUlvE_clEvENKUlvE2_clEvEUllllE_St5arrayIPcLm4EEEEviT0_T1_.num_vgpr, 21
	.set _ZN2at6native29vectorized_elementwise_kernelILi2EZZZNS0_12_GLOBAL__N_116addr_kernel_cudaERNS_14TensorIteratorERKN3c106ScalarES8_ENKUlvE_clEvENKUlvE2_clEvEUllllE_St5arrayIPcLm4EEEEviT0_T1_.num_agpr, 0
	.set _ZN2at6native29vectorized_elementwise_kernelILi2EZZZNS0_12_GLOBAL__N_116addr_kernel_cudaERNS_14TensorIteratorERKN3c106ScalarES8_ENKUlvE_clEvENKUlvE2_clEvEUllllE_St5arrayIPcLm4EEEEviT0_T1_.numbered_sgpr, 16
	.set _ZN2at6native29vectorized_elementwise_kernelILi2EZZZNS0_12_GLOBAL__N_116addr_kernel_cudaERNS_14TensorIteratorERKN3c106ScalarES8_ENKUlvE_clEvENKUlvE2_clEvEUllllE_St5arrayIPcLm4EEEEviT0_T1_.num_named_barrier, 0
	.set _ZN2at6native29vectorized_elementwise_kernelILi2EZZZNS0_12_GLOBAL__N_116addr_kernel_cudaERNS_14TensorIteratorERKN3c106ScalarES8_ENKUlvE_clEvENKUlvE2_clEvEUllllE_St5arrayIPcLm4EEEEviT0_T1_.private_seg_size, 0
	.set _ZN2at6native29vectorized_elementwise_kernelILi2EZZZNS0_12_GLOBAL__N_116addr_kernel_cudaERNS_14TensorIteratorERKN3c106ScalarES8_ENKUlvE_clEvENKUlvE2_clEvEUllllE_St5arrayIPcLm4EEEEviT0_T1_.uses_vcc, 1
	.set _ZN2at6native29vectorized_elementwise_kernelILi2EZZZNS0_12_GLOBAL__N_116addr_kernel_cudaERNS_14TensorIteratorERKN3c106ScalarES8_ENKUlvE_clEvENKUlvE2_clEvEUllllE_St5arrayIPcLm4EEEEviT0_T1_.uses_flat_scratch, 0
	.set _ZN2at6native29vectorized_elementwise_kernelILi2EZZZNS0_12_GLOBAL__N_116addr_kernel_cudaERNS_14TensorIteratorERKN3c106ScalarES8_ENKUlvE_clEvENKUlvE2_clEvEUllllE_St5arrayIPcLm4EEEEviT0_T1_.has_dyn_sized_stack, 0
	.set _ZN2at6native29vectorized_elementwise_kernelILi2EZZZNS0_12_GLOBAL__N_116addr_kernel_cudaERNS_14TensorIteratorERKN3c106ScalarES8_ENKUlvE_clEvENKUlvE2_clEvEUllllE_St5arrayIPcLm4EEEEviT0_T1_.has_recursion, 0
	.set _ZN2at6native29vectorized_elementwise_kernelILi2EZZZNS0_12_GLOBAL__N_116addr_kernel_cudaERNS_14TensorIteratorERKN3c106ScalarES8_ENKUlvE_clEvENKUlvE2_clEvEUllllE_St5arrayIPcLm4EEEEviT0_T1_.has_indirect_call, 0
	.section	.AMDGPU.csdata,"",@progbits
; Kernel info:
; codeLenInByte = 1052
; TotalNumSgprs: 18
; NumVgprs: 21
; ScratchSize: 0
; MemoryBound: 0
; FloatMode: 240
; IeeeMode: 1
; LDSByteSize: 0 bytes/workgroup (compile time only)
; SGPRBlocks: 0
; VGPRBlocks: 1
; NumSGPRsForWavesPerEU: 18
; NumVGPRsForWavesPerEU: 21
; NamedBarCnt: 0
; Occupancy: 16
; WaveLimiterHint : 1
; COMPUTE_PGM_RSRC2:SCRATCH_EN: 0
; COMPUTE_PGM_RSRC2:USER_SGPR: 2
; COMPUTE_PGM_RSRC2:TRAP_HANDLER: 0
; COMPUTE_PGM_RSRC2:TGID_X_EN: 1
; COMPUTE_PGM_RSRC2:TGID_Y_EN: 0
; COMPUTE_PGM_RSRC2:TGID_Z_EN: 0
; COMPUTE_PGM_RSRC2:TIDIG_COMP_CNT: 0
	.section	.text._ZN2at6native27unrolled_elementwise_kernelIZZZNS0_12_GLOBAL__N_116addr_kernel_cudaERNS_14TensorIteratorERKN3c106ScalarES8_ENKUlvE_clEvENKUlvE2_clEvEUllllE_St5arrayIPcLm4EELi4E23TrivialOffsetCalculatorILi3EjESF_ILi1EjENS0_6memory15LoadWithoutCastENSI_16StoreWithoutCastEEEviT_T0_T2_T3_T4_T5_,"axG",@progbits,_ZN2at6native27unrolled_elementwise_kernelIZZZNS0_12_GLOBAL__N_116addr_kernel_cudaERNS_14TensorIteratorERKN3c106ScalarES8_ENKUlvE_clEvENKUlvE2_clEvEUllllE_St5arrayIPcLm4EELi4E23TrivialOffsetCalculatorILi3EjESF_ILi1EjENS0_6memory15LoadWithoutCastENSI_16StoreWithoutCastEEEviT_T0_T2_T3_T4_T5_,comdat
	.globl	_ZN2at6native27unrolled_elementwise_kernelIZZZNS0_12_GLOBAL__N_116addr_kernel_cudaERNS_14TensorIteratorERKN3c106ScalarES8_ENKUlvE_clEvENKUlvE2_clEvEUllllE_St5arrayIPcLm4EELi4E23TrivialOffsetCalculatorILi3EjESF_ILi1EjENS0_6memory15LoadWithoutCastENSI_16StoreWithoutCastEEEviT_T0_T2_T3_T4_T5_ ; -- Begin function _ZN2at6native27unrolled_elementwise_kernelIZZZNS0_12_GLOBAL__N_116addr_kernel_cudaERNS_14TensorIteratorERKN3c106ScalarES8_ENKUlvE_clEvENKUlvE2_clEvEUllllE_St5arrayIPcLm4EELi4E23TrivialOffsetCalculatorILi3EjESF_ILi1EjENS0_6memory15LoadWithoutCastENSI_16StoreWithoutCastEEEviT_T0_T2_T3_T4_T5_
	.p2align	8
	.type	_ZN2at6native27unrolled_elementwise_kernelIZZZNS0_12_GLOBAL__N_116addr_kernel_cudaERNS_14TensorIteratorERKN3c106ScalarES8_ENKUlvE_clEvENKUlvE2_clEvEUllllE_St5arrayIPcLm4EELi4E23TrivialOffsetCalculatorILi3EjESF_ILi1EjENS0_6memory15LoadWithoutCastENSI_16StoreWithoutCastEEEviT_T0_T2_T3_T4_T5_,@function
_ZN2at6native27unrolled_elementwise_kernelIZZZNS0_12_GLOBAL__N_116addr_kernel_cudaERNS_14TensorIteratorERKN3c106ScalarES8_ENKUlvE_clEvENKUlvE2_clEvEUllllE_St5arrayIPcLm4EELi4E23TrivialOffsetCalculatorILi3EjESF_ILi1EjENS0_6memory15LoadWithoutCastENSI_16StoreWithoutCastEEEviT_T0_T2_T3_T4_T5_: ; @_ZN2at6native27unrolled_elementwise_kernelIZZZNS0_12_GLOBAL__N_116addr_kernel_cudaERNS_14TensorIteratorERKN3c106ScalarES8_ENKUlvE_clEvENKUlvE2_clEvEUllllE_St5arrayIPcLm4EELi4E23TrivialOffsetCalculatorILi3EjESF_ILi1EjENS0_6memory15LoadWithoutCastENSI_16StoreWithoutCastEEEviT_T0_T2_T3_T4_T5_
; %bb.0:
	s_clause 0x1
	s_load_b32 s2, s[0:1], 0x0
	s_load_b128 s[8:11], s[0:1], 0x20
	s_bfe_u32 s4, ttmp6, 0x4000c
	s_and_b32 s3, ttmp6, 15
	s_add_co_i32 s4, s4, 1
	s_getreg_b32 s5, hwreg(HW_REG_IB_STS2, 6, 4)
	s_mul_i32 s4, ttmp9, s4
	v_mov_b64_e32 v[2:3], 0
	s_add_co_i32 s3, s3, s4
	s_cmp_eq_u32 s5, 0
	v_mov_b64_e32 v[4:5], 0
	s_cselect_b32 s3, ttmp9, s3
	v_mov_b64_e32 v[6:7], 0
	s_lshl_b32 s3, s3, 10
	v_or_b32_e32 v1, 0x100, v0
	v_dual_mov_b32 v18, v0 :: v_dual_bitop2_b32 v20, s3, v0 bitop3:0x54
	s_wait_kmcnt 0x0
	s_sub_co_i32 s12, s2, s3
	s_delay_alu instid0(SALU_CYCLE_1)
	v_cmp_gt_i32_e32 vcc_lo, s12, v0
	s_and_saveexec_b32 s2, vcc_lo
	s_cbranch_execz .LBB68_2
; %bb.1:
	s_clause 0x1
	global_load_b64 v[4:5], v20, s[8:9] scale_offset
	global_load_b64 v[6:7], v20, s[10:11] scale_offset
	v_or_b32_e32 v18, 0x100, v0
.LBB68_2:
	s_wait_xcnt 0x0
	s_or_b32 exec_lo, exec_lo, s2
	v_mov_b64_e32 v[10:11], 0
	s_mov_b32 s4, exec_lo
	v_cmpx_gt_i32_e64 s12, v18
	s_cbranch_execz .LBB68_4
; %bb.3:
	v_add_nc_u32_e32 v8, s3, v18
	v_add_nc_u32_e32 v18, 0x100, v18
	s_clause 0x1
	global_load_b64 v[2:3], v8, s[8:9] scale_offset
	global_load_b64 v[10:11], v8, s[10:11] scale_offset
.LBB68_4:
	s_wait_xcnt 0x0
	s_or_b32 exec_lo, exec_lo, s4
	v_mov_b64_e32 v[8:9], 0
	v_mov_b64_e32 v[12:13], 0
	;; [unrolled: 1-line block ×3, first 2 shown]
	s_mov_b32 s4, exec_lo
	v_cmpx_gt_i32_e64 s12, v18
	s_cbranch_execz .LBB68_6
; %bb.5:
	v_add_nc_u32_e32 v16, s3, v18
	v_add_nc_u32_e32 v18, 0x100, v18
	s_clause 0x1
	global_load_b64 v[12:13], v16, s[8:9] scale_offset
	global_load_b64 v[14:15], v16, s[10:11] scale_offset
.LBB68_6:
	s_wait_xcnt 0x0
	s_or_b32 exec_lo, exec_lo, s4
	s_load_b128 s[4:7], s[0:1], 0x8
	v_mov_b64_e32 v[16:17], 0
	s_wait_xcnt 0x0
	s_mov_b32 s1, exec_lo
	v_cmpx_gt_i32_e64 s12, v18
	s_cbranch_execz .LBB68_8
; %bb.7:
	v_add_nc_u32_e32 v18, s3, v18
	s_clause 0x1
	global_load_b64 v[8:9], v18, s[8:9] scale_offset
	global_load_b64 v[16:17], v18, s[10:11] scale_offset
	s_wait_xcnt 0x0
	s_or_b32 exec_lo, exec_lo, s1
                                        ; implicit-def: $vgpr18_vgpr19
	s_and_saveexec_b32 s0, vcc_lo
	s_cbranch_execz .LBB68_10
	s_branch .LBB68_9
.LBB68_8:
	s_or_b32 exec_lo, exec_lo, s1
                                        ; implicit-def: $vgpr18_vgpr19
	s_and_saveexec_b32 s0, vcc_lo
	s_cbranch_execz .LBB68_10
.LBB68_9:
	s_wait_loadcnt 0x1
	s_wait_kmcnt 0x0
	v_mul_u64_e32 v[4:5], s[4:5], v[4:5]
	s_wait_loadcnt 0x0
	s_delay_alu instid0(VALU_DEP_1)
	v_mul_u64_e32 v[18:19], v[4:5], v[6:7]
.LBB68_10:
	s_or_b32 exec_lo, exec_lo, s0
	s_delay_alu instid0(SALU_CYCLE_1)
	s_mov_b32 s1, exec_lo
                                        ; implicit-def: $vgpr4_vgpr5
	v_cmpx_gt_i32_e64 s12, v1
	s_cbranch_execz .LBB68_12
; %bb.11:
	s_wait_loadcnt 0x1
	s_wait_kmcnt 0x0
	v_mul_u64_e32 v[2:3], s[4:5], v[2:3]
	s_wait_loadcnt 0x0
	s_delay_alu instid0(VALU_DEP_1)
	v_mul_u64_e32 v[4:5], v[2:3], v[10:11]
.LBB68_12:
	s_or_b32 exec_lo, exec_lo, s1
	s_wait_loadcnt 0x1
	v_or_b32_e32 v2, 0x200, v0
	s_delay_alu instid0(VALU_DEP_1)
	v_cmp_gt_i32_e64 s0, s12, v2
                                        ; implicit-def: $vgpr2_vgpr3
	s_and_saveexec_b32 s1, s0
	s_cbranch_execz .LBB68_14
; %bb.13:
	s_wait_kmcnt 0x0
	v_mul_u64_e32 v[2:3], s[4:5], v[12:13]
	s_wait_loadcnt 0x0
	s_delay_alu instid0(VALU_DEP_1)
	v_mul_u64_e32 v[2:3], v[2:3], v[14:15]
.LBB68_14:
	s_or_b32 exec_lo, exec_lo, s1
	s_wait_loadcnt 0x0
	v_or_b32_e32 v6, 0x300, v0
	s_delay_alu instid0(VALU_DEP_1)
	v_cmp_gt_i32_e64 s0, s12, v6
                                        ; implicit-def: $vgpr6_vgpr7
	s_and_saveexec_b32 s1, s0
	s_cbranch_execz .LBB68_20
; %bb.15:
	s_wait_kmcnt 0x0
	v_mul_u64_e32 v[6:7], s[4:5], v[8:9]
	s_delay_alu instid0(VALU_DEP_1) | instskip(SKIP_2) | instid1(SALU_CYCLE_1)
	v_mul_u64_e32 v[6:7], v[6:7], v[16:17]
	s_or_b32 exec_lo, exec_lo, s1
	s_and_saveexec_b32 s0, vcc_lo
	s_xor_b32 s0, exec_lo, s0
	s_cbranch_execnz .LBB68_21
.LBB68_16:
	s_or_b32 exec_lo, exec_lo, s0
	s_delay_alu instid0(SALU_CYCLE_1)
	s_mov_b32 s0, exec_lo
	v_cmpx_gt_i32_e64 s12, v0
	s_cbranch_execz .LBB68_22
.LBB68_17:
	v_add_nc_u32_e32 v1, 0x100, v0
	s_delay_alu instid0(VALU_DEP_1) | instskip(SKIP_4) | instid1(SALU_CYCLE_1)
	v_dual_add_nc_u32 v8, s3, v0 :: v_dual_mov_b32 v0, v1
	s_wait_kmcnt 0x0
	global_store_b64 v8, v[4:5], s[6:7] scale_offset
	s_wait_xcnt 0x0
	s_or_b32 exec_lo, exec_lo, s0
	s_mov_b32 s0, exec_lo
	v_cmpx_gt_i32_e64 s12, v0
	s_cbranch_execnz .LBB68_23
.LBB68_18:
	s_or_b32 exec_lo, exec_lo, s0
	s_delay_alu instid0(SALU_CYCLE_1)
	s_mov_b32 s0, exec_lo
	v_cmpx_gt_i32_e64 s12, v0
	s_cbranch_execz .LBB68_24
.LBB68_19:
	v_add_nc_u32_e32 v0, s3, v0
	s_wait_kmcnt 0x0
	global_store_b64 v0, v[6:7], s[6:7] scale_offset
	s_endpgm
.LBB68_20:
	s_or_b32 exec_lo, exec_lo, s1
	s_and_saveexec_b32 s0, vcc_lo
	s_delay_alu instid0(SALU_CYCLE_1)
	s_xor_b32 s0, exec_lo, s0
	s_cbranch_execz .LBB68_16
.LBB68_21:
	v_mov_b32_e32 v0, v1
	s_wait_kmcnt 0x0
	global_store_b64 v20, v[18:19], s[6:7] scale_offset
	s_wait_xcnt 0x0
	s_or_b32 exec_lo, exec_lo, s0
	s_delay_alu instid0(SALU_CYCLE_1)
	s_mov_b32 s0, exec_lo
	v_cmpx_gt_i32_e64 s12, v0
	s_cbranch_execnz .LBB68_17
.LBB68_22:
	s_or_b32 exec_lo, exec_lo, s0
	s_delay_alu instid0(SALU_CYCLE_1)
	s_mov_b32 s0, exec_lo
	v_cmpx_gt_i32_e64 s12, v0
	s_cbranch_execz .LBB68_18
.LBB68_23:
	v_add_nc_u32_e32 v1, 0x100, v0
	s_delay_alu instid0(VALU_DEP_1) | instskip(SKIP_4) | instid1(SALU_CYCLE_1)
	v_dual_add_nc_u32 v4, s3, v0 :: v_dual_mov_b32 v0, v1
	s_wait_kmcnt 0x0
	global_store_b64 v4, v[2:3], s[6:7] scale_offset
	s_wait_xcnt 0x0
	s_or_b32 exec_lo, exec_lo, s0
	s_mov_b32 s0, exec_lo
	v_cmpx_gt_i32_e64 s12, v0
	s_cbranch_execnz .LBB68_19
.LBB68_24:
	s_endpgm
	.section	.rodata,"a",@progbits
	.p2align	6, 0x0
	.amdhsa_kernel _ZN2at6native27unrolled_elementwise_kernelIZZZNS0_12_GLOBAL__N_116addr_kernel_cudaERNS_14TensorIteratorERKN3c106ScalarES8_ENKUlvE_clEvENKUlvE2_clEvEUllllE_St5arrayIPcLm4EELi4E23TrivialOffsetCalculatorILi3EjESF_ILi1EjENS0_6memory15LoadWithoutCastENSI_16StoreWithoutCastEEEviT_T0_T2_T3_T4_T5_
		.amdhsa_group_segment_fixed_size 0
		.amdhsa_private_segment_fixed_size 0
		.amdhsa_kernarg_size 52
		.amdhsa_user_sgpr_count 2
		.amdhsa_user_sgpr_dispatch_ptr 0
		.amdhsa_user_sgpr_queue_ptr 0
		.amdhsa_user_sgpr_kernarg_segment_ptr 1
		.amdhsa_user_sgpr_dispatch_id 0
		.amdhsa_user_sgpr_kernarg_preload_length 0
		.amdhsa_user_sgpr_kernarg_preload_offset 0
		.amdhsa_user_sgpr_private_segment_size 0
		.amdhsa_wavefront_size32 1
		.amdhsa_uses_dynamic_stack 0
		.amdhsa_enable_private_segment 0
		.amdhsa_system_sgpr_workgroup_id_x 1
		.amdhsa_system_sgpr_workgroup_id_y 0
		.amdhsa_system_sgpr_workgroup_id_z 0
		.amdhsa_system_sgpr_workgroup_info 0
		.amdhsa_system_vgpr_workitem_id 0
		.amdhsa_next_free_vgpr 21
		.amdhsa_next_free_sgpr 13
		.amdhsa_named_barrier_count 0
		.amdhsa_reserve_vcc 1
		.amdhsa_float_round_mode_32 0
		.amdhsa_float_round_mode_16_64 0
		.amdhsa_float_denorm_mode_32 3
		.amdhsa_float_denorm_mode_16_64 3
		.amdhsa_fp16_overflow 0
		.amdhsa_memory_ordered 1
		.amdhsa_forward_progress 1
		.amdhsa_inst_pref_size 7
		.amdhsa_round_robin_scheduling 0
		.amdhsa_exception_fp_ieee_invalid_op 0
		.amdhsa_exception_fp_denorm_src 0
		.amdhsa_exception_fp_ieee_div_zero 0
		.amdhsa_exception_fp_ieee_overflow 0
		.amdhsa_exception_fp_ieee_underflow 0
		.amdhsa_exception_fp_ieee_inexact 0
		.amdhsa_exception_int_div_zero 0
	.end_amdhsa_kernel
	.section	.text._ZN2at6native27unrolled_elementwise_kernelIZZZNS0_12_GLOBAL__N_116addr_kernel_cudaERNS_14TensorIteratorERKN3c106ScalarES8_ENKUlvE_clEvENKUlvE2_clEvEUllllE_St5arrayIPcLm4EELi4E23TrivialOffsetCalculatorILi3EjESF_ILi1EjENS0_6memory15LoadWithoutCastENSI_16StoreWithoutCastEEEviT_T0_T2_T3_T4_T5_,"axG",@progbits,_ZN2at6native27unrolled_elementwise_kernelIZZZNS0_12_GLOBAL__N_116addr_kernel_cudaERNS_14TensorIteratorERKN3c106ScalarES8_ENKUlvE_clEvENKUlvE2_clEvEUllllE_St5arrayIPcLm4EELi4E23TrivialOffsetCalculatorILi3EjESF_ILi1EjENS0_6memory15LoadWithoutCastENSI_16StoreWithoutCastEEEviT_T0_T2_T3_T4_T5_,comdat
.Lfunc_end68:
	.size	_ZN2at6native27unrolled_elementwise_kernelIZZZNS0_12_GLOBAL__N_116addr_kernel_cudaERNS_14TensorIteratorERKN3c106ScalarES8_ENKUlvE_clEvENKUlvE2_clEvEUllllE_St5arrayIPcLm4EELi4E23TrivialOffsetCalculatorILi3EjESF_ILi1EjENS0_6memory15LoadWithoutCastENSI_16StoreWithoutCastEEEviT_T0_T2_T3_T4_T5_, .Lfunc_end68-_ZN2at6native27unrolled_elementwise_kernelIZZZNS0_12_GLOBAL__N_116addr_kernel_cudaERNS_14TensorIteratorERKN3c106ScalarES8_ENKUlvE_clEvENKUlvE2_clEvEUllllE_St5arrayIPcLm4EELi4E23TrivialOffsetCalculatorILi3EjESF_ILi1EjENS0_6memory15LoadWithoutCastENSI_16StoreWithoutCastEEEviT_T0_T2_T3_T4_T5_
                                        ; -- End function
	.set _ZN2at6native27unrolled_elementwise_kernelIZZZNS0_12_GLOBAL__N_116addr_kernel_cudaERNS_14TensorIteratorERKN3c106ScalarES8_ENKUlvE_clEvENKUlvE2_clEvEUllllE_St5arrayIPcLm4EELi4E23TrivialOffsetCalculatorILi3EjESF_ILi1EjENS0_6memory15LoadWithoutCastENSI_16StoreWithoutCastEEEviT_T0_T2_T3_T4_T5_.num_vgpr, 21
	.set _ZN2at6native27unrolled_elementwise_kernelIZZZNS0_12_GLOBAL__N_116addr_kernel_cudaERNS_14TensorIteratorERKN3c106ScalarES8_ENKUlvE_clEvENKUlvE2_clEvEUllllE_St5arrayIPcLm4EELi4E23TrivialOffsetCalculatorILi3EjESF_ILi1EjENS0_6memory15LoadWithoutCastENSI_16StoreWithoutCastEEEviT_T0_T2_T3_T4_T5_.num_agpr, 0
	.set _ZN2at6native27unrolled_elementwise_kernelIZZZNS0_12_GLOBAL__N_116addr_kernel_cudaERNS_14TensorIteratorERKN3c106ScalarES8_ENKUlvE_clEvENKUlvE2_clEvEUllllE_St5arrayIPcLm4EELi4E23TrivialOffsetCalculatorILi3EjESF_ILi1EjENS0_6memory15LoadWithoutCastENSI_16StoreWithoutCastEEEviT_T0_T2_T3_T4_T5_.numbered_sgpr, 13
	.set _ZN2at6native27unrolled_elementwise_kernelIZZZNS0_12_GLOBAL__N_116addr_kernel_cudaERNS_14TensorIteratorERKN3c106ScalarES8_ENKUlvE_clEvENKUlvE2_clEvEUllllE_St5arrayIPcLm4EELi4E23TrivialOffsetCalculatorILi3EjESF_ILi1EjENS0_6memory15LoadWithoutCastENSI_16StoreWithoutCastEEEviT_T0_T2_T3_T4_T5_.num_named_barrier, 0
	.set _ZN2at6native27unrolled_elementwise_kernelIZZZNS0_12_GLOBAL__N_116addr_kernel_cudaERNS_14TensorIteratorERKN3c106ScalarES8_ENKUlvE_clEvENKUlvE2_clEvEUllllE_St5arrayIPcLm4EELi4E23TrivialOffsetCalculatorILi3EjESF_ILi1EjENS0_6memory15LoadWithoutCastENSI_16StoreWithoutCastEEEviT_T0_T2_T3_T4_T5_.private_seg_size, 0
	.set _ZN2at6native27unrolled_elementwise_kernelIZZZNS0_12_GLOBAL__N_116addr_kernel_cudaERNS_14TensorIteratorERKN3c106ScalarES8_ENKUlvE_clEvENKUlvE2_clEvEUllllE_St5arrayIPcLm4EELi4E23TrivialOffsetCalculatorILi3EjESF_ILi1EjENS0_6memory15LoadWithoutCastENSI_16StoreWithoutCastEEEviT_T0_T2_T3_T4_T5_.uses_vcc, 1
	.set _ZN2at6native27unrolled_elementwise_kernelIZZZNS0_12_GLOBAL__N_116addr_kernel_cudaERNS_14TensorIteratorERKN3c106ScalarES8_ENKUlvE_clEvENKUlvE2_clEvEUllllE_St5arrayIPcLm4EELi4E23TrivialOffsetCalculatorILi3EjESF_ILi1EjENS0_6memory15LoadWithoutCastENSI_16StoreWithoutCastEEEviT_T0_T2_T3_T4_T5_.uses_flat_scratch, 0
	.set _ZN2at6native27unrolled_elementwise_kernelIZZZNS0_12_GLOBAL__N_116addr_kernel_cudaERNS_14TensorIteratorERKN3c106ScalarES8_ENKUlvE_clEvENKUlvE2_clEvEUllllE_St5arrayIPcLm4EELi4E23TrivialOffsetCalculatorILi3EjESF_ILi1EjENS0_6memory15LoadWithoutCastENSI_16StoreWithoutCastEEEviT_T0_T2_T3_T4_T5_.has_dyn_sized_stack, 0
	.set _ZN2at6native27unrolled_elementwise_kernelIZZZNS0_12_GLOBAL__N_116addr_kernel_cudaERNS_14TensorIteratorERKN3c106ScalarES8_ENKUlvE_clEvENKUlvE2_clEvEUllllE_St5arrayIPcLm4EELi4E23TrivialOffsetCalculatorILi3EjESF_ILi1EjENS0_6memory15LoadWithoutCastENSI_16StoreWithoutCastEEEviT_T0_T2_T3_T4_T5_.has_recursion, 0
	.set _ZN2at6native27unrolled_elementwise_kernelIZZZNS0_12_GLOBAL__N_116addr_kernel_cudaERNS_14TensorIteratorERKN3c106ScalarES8_ENKUlvE_clEvENKUlvE2_clEvEUllllE_St5arrayIPcLm4EELi4E23TrivialOffsetCalculatorILi3EjESF_ILi1EjENS0_6memory15LoadWithoutCastENSI_16StoreWithoutCastEEEviT_T0_T2_T3_T4_T5_.has_indirect_call, 0
	.section	.AMDGPU.csdata,"",@progbits
; Kernel info:
; codeLenInByte = 892
; TotalNumSgprs: 15
; NumVgprs: 21
; ScratchSize: 0
; MemoryBound: 0
; FloatMode: 240
; IeeeMode: 1
; LDSByteSize: 0 bytes/workgroup (compile time only)
; SGPRBlocks: 0
; VGPRBlocks: 1
; NumSGPRsForWavesPerEU: 15
; NumVGPRsForWavesPerEU: 21
; NamedBarCnt: 0
; Occupancy: 16
; WaveLimiterHint : 0
; COMPUTE_PGM_RSRC2:SCRATCH_EN: 0
; COMPUTE_PGM_RSRC2:USER_SGPR: 2
; COMPUTE_PGM_RSRC2:TRAP_HANDLER: 0
; COMPUTE_PGM_RSRC2:TGID_X_EN: 1
; COMPUTE_PGM_RSRC2:TGID_Y_EN: 0
; COMPUTE_PGM_RSRC2:TGID_Z_EN: 0
; COMPUTE_PGM_RSRC2:TIDIG_COMP_CNT: 0
	.section	.text._ZN2at6native32elementwise_kernel_manual_unrollILi128ELi4EZNS0_22gpu_kernel_impl_nocastIZZZNS0_12_GLOBAL__N_116addr_kernel_cudaERNS_14TensorIteratorERKN3c106ScalarES9_ENKUlvE_clEvENKUlvE2_clEvEUllllE_EEvRNS_18TensorIteratorBaseERKT_EUlibE_EEviT1_,"axG",@progbits,_ZN2at6native32elementwise_kernel_manual_unrollILi128ELi4EZNS0_22gpu_kernel_impl_nocastIZZZNS0_12_GLOBAL__N_116addr_kernel_cudaERNS_14TensorIteratorERKN3c106ScalarES9_ENKUlvE_clEvENKUlvE2_clEvEUllllE_EEvRNS_18TensorIteratorBaseERKT_EUlibE_EEviT1_,comdat
	.globl	_ZN2at6native32elementwise_kernel_manual_unrollILi128ELi4EZNS0_22gpu_kernel_impl_nocastIZZZNS0_12_GLOBAL__N_116addr_kernel_cudaERNS_14TensorIteratorERKN3c106ScalarES9_ENKUlvE_clEvENKUlvE2_clEvEUllllE_EEvRNS_18TensorIteratorBaseERKT_EUlibE_EEviT1_ ; -- Begin function _ZN2at6native32elementwise_kernel_manual_unrollILi128ELi4EZNS0_22gpu_kernel_impl_nocastIZZZNS0_12_GLOBAL__N_116addr_kernel_cudaERNS_14TensorIteratorERKN3c106ScalarES9_ENKUlvE_clEvENKUlvE2_clEvEUllllE_EEvRNS_18TensorIteratorBaseERKT_EUlibE_EEviT1_
	.p2align	8
	.type	_ZN2at6native32elementwise_kernel_manual_unrollILi128ELi4EZNS0_22gpu_kernel_impl_nocastIZZZNS0_12_GLOBAL__N_116addr_kernel_cudaERNS_14TensorIteratorERKN3c106ScalarES9_ENKUlvE_clEvENKUlvE2_clEvEUllllE_EEvRNS_18TensorIteratorBaseERKT_EUlibE_EEviT1_,@function
_ZN2at6native32elementwise_kernel_manual_unrollILi128ELi4EZNS0_22gpu_kernel_impl_nocastIZZZNS0_12_GLOBAL__N_116addr_kernel_cudaERNS_14TensorIteratorERKN3c106ScalarES9_ENKUlvE_clEvENKUlvE2_clEvEUllllE_EEvRNS_18TensorIteratorBaseERKT_EUlibE_EEviT1_: ; @_ZN2at6native32elementwise_kernel_manual_unrollILi128ELi4EZNS0_22gpu_kernel_impl_nocastIZZZNS0_12_GLOBAL__N_116addr_kernel_cudaERNS_14TensorIteratorERKN3c106ScalarES9_ENKUlvE_clEvENKUlvE2_clEvEUllllE_EEvRNS_18TensorIteratorBaseERKT_EUlibE_EEviT1_
; %bb.0:
	s_clause 0x1
	s_load_b32 s11, s[0:1], 0x8
	s_load_b32 s37, s[0:1], 0x0
	s_bfe_u32 s2, ttmp6, 0x4000c
	s_and_b32 s3, ttmp6, 15
	s_add_co_i32 s2, s2, 1
	s_getreg_b32 s4, hwreg(HW_REG_IB_STS2, 6, 4)
	s_mul_i32 s2, ttmp9, s2
	s_add_nc_u64 s[12:13], s[0:1], 8
	s_add_co_i32 s3, s3, s2
	s_cmp_eq_u32 s4, 0
	s_mov_b32 s23, 0
	s_cselect_b32 s2, ttmp9, s3
	s_wait_xcnt 0x0
	s_mov_b32 s0, exec_lo
	v_lshl_or_b32 v0, s2, 9, v0
	s_delay_alu instid0(VALU_DEP_1) | instskip(SKIP_2) | instid1(SALU_CYCLE_1)
	v_or_b32_e32 v3, 0x180, v0
	s_wait_kmcnt 0x0
	s_add_co_i32 s30, s11, -1
	s_cmp_gt_u32 s30, 1
	s_cselect_b32 s31, -1, 0
	v_cmpx_le_i32_e64 s37, v3
	s_xor_b32 s33, exec_lo, s0
	s_cbranch_execz .LBB69_54
; %bb.1:
	s_clause 0x7
	s_load_b128 s[4:7], s[12:13], 0x4
	s_load_b64 s[18:19], s[12:13], 0x14
	s_load_b32 s34, s[12:13], 0xc4
	s_load_b96 s[8:10], s[12:13], 0xcc
	s_load_b64 s[20:21], s[12:13], 0xdc
	s_load_b64 s[14:15], s[12:13], 0x1c8
	;; [unrolled: 1-line block ×3, first 2 shown]
	s_load_b128 s[0:3], s[12:13], 0x1d8
	s_cmp_lg_u32 s11, 0
	s_mov_b32 s25, s23
	s_cselect_b32 s38, -1, 0
	s_min_u32 s36, s30, 15
	s_cmp_gt_u32 s11, 1
	s_cselect_b32 s35, -1, 0
	s_wait_kmcnt 0x0
	s_mov_b32 s22, s5
	s_mov_b32 s24, s18
	s_mov_b32 s5, exec_lo
	v_cmpx_gt_i32_e64 s37, v0
	s_cbranch_execnz .LBB69_5
; %bb.2:
	s_or_b32 exec_lo, exec_lo, s5
	s_delay_alu instid0(SALU_CYCLE_1)
	s_mov_b32 s5, exec_lo
	v_cmpx_gt_i32_e64 s37, v0
	s_cbranch_execnz .LBB69_17
.LBB69_3:
	s_or_b32 exec_lo, exec_lo, s5
	s_delay_alu instid0(SALU_CYCLE_1)
	s_mov_b32 s5, exec_lo
	v_cmpx_gt_i32_e64 s37, v0
	s_cbranch_execnz .LBB69_29
.LBB69_4:
	s_or_b32 exec_lo, exec_lo, s5
	s_delay_alu instid0(SALU_CYCLE_1)
	s_mov_b32 s5, exec_lo
	v_cmpx_gt_i32_e64 s37, v0
	s_cbranch_execnz .LBB69_41
	s_branch .LBB69_53
.LBB69_5:
	s_and_not1_b32 vcc_lo, exec_lo, s31
	s_cbranch_vccnz .LBB69_11
; %bb.6:
	s_and_not1_b32 vcc_lo, exec_lo, s38
	s_cbranch_vccnz .LBB69_12
; %bb.7:
	v_dual_mov_b32 v4, 0 :: v_dual_mov_b32 v1, v0
	v_dual_mov_b32 v6, 0 :: v_dual_mov_b32 v5, 0
	s_add_co_i32 s18, s36, 1
	s_mov_b64 s[26:27], 0xffffffffffffffe0
	s_and_b32 s18, s18, 30
	s_add_nc_u64 s[26:27], s[12:13], s[26:27]
	s_mov_b64 s[28:29], s[12:13]
.LBB69_8:                               ; =>This Inner Loop Header: Depth=1
	s_clause 0x1
	s_load_b128 s[40:43], s[28:29], 0x4
	s_load_b64 s[44:45], s[28:29], 0x14
	s_load_b32 s39, s[26:27], 0xe4
	s_add_co_i32 s18, s18, -2
	s_wait_xcnt 0x0
	s_add_nc_u64 s[28:29], s[28:29], 24
	s_cmp_lg_u32 s18, 0
	s_wait_kmcnt 0x0
	v_mul_hi_u32 v2, s41, v1
	s_delay_alu instid0(VALU_DEP_1) | instskip(NEXT) | instid1(VALU_DEP_1)
	v_add_nc_u32_e32 v2, v1, v2
	v_lshrrev_b32_e32 v2, s42, v2
	s_delay_alu instid0(VALU_DEP_1) | instskip(SKIP_2) | instid1(VALU_DEP_2)
	v_mul_hi_u32 v3, s44, v2
	v_mul_lo_u32 v7, v2, s40
	s_load_b96 s[40:42], s[26:27], 0xec
	v_add_nc_u32_e32 v3, v2, v3
	s_delay_alu instid0(VALU_DEP_2) | instskip(NEXT) | instid1(VALU_DEP_2)
	v_sub_nc_u32_e32 v7, v1, v7
	v_lshrrev_b32_e32 v1, s45, v3
	s_load_b64 s[44:45], s[26:27], 0xfc
	s_delay_alu instid0(VALU_DEP_2)
	v_mad_u32 v4, v7, s39, v4
	s_wait_xcnt 0x0
	s_add_nc_u64 s[26:27], s[26:27], 32
	v_mul_lo_u32 v3, v1, s43
	s_wait_kmcnt 0x0
	v_mad_u32 v5, v7, s41, v5
	v_mad_u32 v6, v7, s40, v6
	s_delay_alu instid0(VALU_DEP_3) | instskip(NEXT) | instid1(VALU_DEP_1)
	v_sub_nc_u32_e32 v2, v2, v3
	v_mad_u32 v4, v2, s42, v4
	s_delay_alu instid0(VALU_DEP_4) | instskip(NEXT) | instid1(VALU_DEP_4)
	v_mad_u32 v5, v2, s45, v5
	v_mad_u32 v6, v2, s44, v6
	s_cbranch_scc1 .LBB69_8
; %bb.9:
	s_bitcmp1_b32 s36, 0
	s_cselect_b32 s18, -1, 0
	s_delay_alu instid0(SALU_CYCLE_1)
	s_and_b32 vcc_lo, exec_lo, s18
	s_cbranch_vccnz .LBB69_13
; %bb.10:
	s_load_b96 s[40:42], s[28:29], 0x4
	s_load_b32 s18, s[26:27], 0xe4
	s_wait_xcnt 0x0
	s_load_b64 s[28:29], s[26:27], 0xec
	s_wait_kmcnt 0x0
	v_mul_hi_u32 v2, s41, v1
	s_delay_alu instid0(VALU_DEP_1) | instskip(NEXT) | instid1(VALU_DEP_1)
	v_add_nc_u32_e32 v2, v1, v2
	v_lshrrev_b32_e32 v2, s42, v2
	s_delay_alu instid0(VALU_DEP_1) | instskip(NEXT) | instid1(VALU_DEP_1)
	v_mul_lo_u32 v2, v2, s40
	v_sub_nc_u32_e32 v1, v1, v2
	s_delay_alu instid0(VALU_DEP_1)
	v_mad_u32 v4, v1, s18, v4
	v_mad_u32 v6, v1, s28, v6
	;; [unrolled: 1-line block ×3, first 2 shown]
	s_cbranch_execz .LBB69_14
	s_branch .LBB69_16
.LBB69_11:
                                        ; implicit-def: $vgpr5
                                        ; implicit-def: $vgpr6
                                        ; implicit-def: $vgpr4
	s_branch .LBB69_14
.LBB69_12:
	v_dual_mov_b32 v5, 0 :: v_dual_mov_b32 v6, 0
	v_mov_b32_e32 v4, 0
.LBB69_13:
	s_cbranch_execnz .LBB69_16
.LBB69_14:
	v_mov_b32_e32 v1, 0
	s_and_not1_b32 vcc_lo, exec_lo, s35
	s_delay_alu instid0(VALU_DEP_1) | instskip(NEXT) | instid1(VALU_DEP_1)
	v_mul_u64_e32 v[2:3], s[22:23], v[0:1]
	v_add_nc_u32_e32 v2, v0, v3
	s_delay_alu instid0(VALU_DEP_1) | instskip(NEXT) | instid1(VALU_DEP_1)
	v_lshrrev_b32_e32 v2, s6, v2
	v_mul_lo_u32 v3, v2, s4
	s_delay_alu instid0(VALU_DEP_1) | instskip(NEXT) | instid1(VALU_DEP_1)
	v_sub_nc_u32_e32 v3, v0, v3
	v_mul_lo_u32 v4, v3, s34
	v_mul_lo_u32 v5, v3, s9
	;; [unrolled: 1-line block ×3, first 2 shown]
	s_cbranch_vccnz .LBB69_16
; %bb.15:
	v_mov_b32_e32 v3, v1
	s_delay_alu instid0(VALU_DEP_1) | instskip(NEXT) | instid1(VALU_DEP_1)
	v_mul_u64_e32 v[8:9], s[24:25], v[2:3]
	v_add_nc_u32_e32 v1, v2, v9
	s_delay_alu instid0(VALU_DEP_1) | instskip(NEXT) | instid1(VALU_DEP_1)
	v_lshrrev_b32_e32 v1, s19, v1
	v_mul_lo_u32 v1, v1, s7
	s_delay_alu instid0(VALU_DEP_1) | instskip(NEXT) | instid1(VALU_DEP_1)
	v_sub_nc_u32_e32 v1, v2, v1
	v_mad_u32 v4, v1, s10, v4
	v_mad_u32 v6, v1, s20, v6
	;; [unrolled: 1-line block ×3, first 2 shown]
.LBB69_16:
	global_load_b64 v[2:3], v6, s[0:1]
	global_load_b64 v[8:9], v5, s[2:3]
	v_add_nc_u32_e32 v0, 0x80, v0
	s_wait_loadcnt 0x1
	v_mul_u64_e32 v[2:3], s[16:17], v[2:3]
	s_wait_loadcnt 0x0
	s_delay_alu instid0(VALU_DEP_1) | instskip(SKIP_3) | instid1(SALU_CYCLE_1)
	v_mul_u64_e32 v[2:3], v[2:3], v[8:9]
	global_store_b64 v4, v[2:3], s[14:15]
	s_wait_xcnt 0x0
	s_or_b32 exec_lo, exec_lo, s5
	s_mov_b32 s5, exec_lo
	v_cmpx_gt_i32_e64 s37, v0
	s_cbranch_execz .LBB69_3
.LBB69_17:
	s_and_not1_b32 vcc_lo, exec_lo, s31
	s_cbranch_vccnz .LBB69_23
; %bb.18:
	s_and_not1_b32 vcc_lo, exec_lo, s38
	s_cbranch_vccnz .LBB69_24
; %bb.19:
	v_dual_mov_b32 v4, 0 :: v_dual_mov_b32 v1, v0
	v_dual_mov_b32 v6, 0 :: v_dual_mov_b32 v5, 0
	s_add_co_i32 s18, s36, 1
	s_mov_b64 s[26:27], 0xffffffffffffffe0
	s_and_b32 s18, s18, 30
	s_add_nc_u64 s[26:27], s[12:13], s[26:27]
	s_mov_b64 s[28:29], s[12:13]
.LBB69_20:                              ; =>This Inner Loop Header: Depth=1
	s_clause 0x1
	s_load_b128 s[40:43], s[28:29], 0x4
	s_load_b64 s[44:45], s[28:29], 0x14
	s_load_b32 s39, s[26:27], 0xe4
	s_add_co_i32 s18, s18, -2
	s_wait_xcnt 0x0
	s_add_nc_u64 s[28:29], s[28:29], 24
	s_cmp_eq_u32 s18, 0
	s_wait_kmcnt 0x0
	v_mul_hi_u32 v2, s41, v1
	s_delay_alu instid0(VALU_DEP_1) | instskip(NEXT) | instid1(VALU_DEP_1)
	v_add_nc_u32_e32 v2, v1, v2
	v_lshrrev_b32_e32 v2, s42, v2
	s_delay_alu instid0(VALU_DEP_1) | instskip(SKIP_2) | instid1(VALU_DEP_2)
	v_mul_hi_u32 v3, s44, v2
	v_mul_lo_u32 v7, v2, s40
	s_load_b96 s[40:42], s[26:27], 0xec
	v_add_nc_u32_e32 v3, v2, v3
	s_delay_alu instid0(VALU_DEP_2) | instskip(NEXT) | instid1(VALU_DEP_2)
	v_sub_nc_u32_e32 v7, v1, v7
	v_lshrrev_b32_e32 v1, s45, v3
	s_load_b64 s[44:45], s[26:27], 0xfc
	s_delay_alu instid0(VALU_DEP_2)
	v_mad_u32 v4, v7, s39, v4
	s_wait_xcnt 0x0
	s_add_nc_u64 s[26:27], s[26:27], 32
	v_mul_lo_u32 v3, v1, s43
	s_wait_kmcnt 0x0
	v_mad_u32 v5, v7, s41, v5
	v_mad_u32 v6, v7, s40, v6
	s_delay_alu instid0(VALU_DEP_3) | instskip(NEXT) | instid1(VALU_DEP_1)
	v_sub_nc_u32_e32 v2, v2, v3
	v_mad_u32 v4, v2, s42, v4
	s_delay_alu instid0(VALU_DEP_4) | instskip(NEXT) | instid1(VALU_DEP_4)
	v_mad_u32 v5, v2, s45, v5
	v_mad_u32 v6, v2, s44, v6
	s_cbranch_scc0 .LBB69_20
; %bb.21:
	s_bitcmp1_b32 s36, 0
	s_cselect_b32 s18, -1, 0
	s_delay_alu instid0(SALU_CYCLE_1)
	s_and_b32 vcc_lo, exec_lo, s18
	s_cbranch_vccnz .LBB69_25
; %bb.22:
	s_load_b96 s[40:42], s[28:29], 0x4
	s_load_b32 s18, s[26:27], 0xe4
	s_wait_xcnt 0x0
	s_load_b64 s[28:29], s[26:27], 0xec
	s_wait_kmcnt 0x0
	v_mul_hi_u32 v2, s41, v1
	s_delay_alu instid0(VALU_DEP_1) | instskip(NEXT) | instid1(VALU_DEP_1)
	v_add_nc_u32_e32 v2, v1, v2
	v_lshrrev_b32_e32 v2, s42, v2
	s_delay_alu instid0(VALU_DEP_1) | instskip(NEXT) | instid1(VALU_DEP_1)
	v_mul_lo_u32 v2, v2, s40
	v_sub_nc_u32_e32 v1, v1, v2
	s_delay_alu instid0(VALU_DEP_1)
	v_mad_u32 v4, v1, s18, v4
	v_mad_u32 v6, v1, s28, v6
	;; [unrolled: 1-line block ×3, first 2 shown]
	s_branch .LBB69_25
.LBB69_23:
                                        ; implicit-def: $vgpr5
                                        ; implicit-def: $vgpr6
                                        ; implicit-def: $vgpr4
	s_branch .LBB69_26
.LBB69_24:
	v_dual_mov_b32 v5, 0 :: v_dual_mov_b32 v6, 0
	v_mov_b32_e32 v4, 0
.LBB69_25:
	s_cbranch_execnz .LBB69_28
.LBB69_26:
	v_mov_b32_e32 v1, 0
	s_and_not1_b32 vcc_lo, exec_lo, s35
	s_delay_alu instid0(VALU_DEP_1) | instskip(NEXT) | instid1(VALU_DEP_1)
	v_mul_u64_e32 v[2:3], s[22:23], v[0:1]
	v_add_nc_u32_e32 v2, v0, v3
	s_delay_alu instid0(VALU_DEP_1) | instskip(NEXT) | instid1(VALU_DEP_1)
	v_lshrrev_b32_e32 v2, s6, v2
	v_mul_lo_u32 v3, v2, s4
	s_delay_alu instid0(VALU_DEP_1) | instskip(NEXT) | instid1(VALU_DEP_1)
	v_sub_nc_u32_e32 v3, v0, v3
	v_mul_lo_u32 v4, v3, s34
	v_mul_lo_u32 v5, v3, s9
	;; [unrolled: 1-line block ×3, first 2 shown]
	s_cbranch_vccnz .LBB69_28
; %bb.27:
	v_mov_b32_e32 v3, v1
	s_delay_alu instid0(VALU_DEP_1) | instskip(NEXT) | instid1(VALU_DEP_1)
	v_mul_u64_e32 v[8:9], s[24:25], v[2:3]
	v_add_nc_u32_e32 v1, v2, v9
	s_delay_alu instid0(VALU_DEP_1) | instskip(NEXT) | instid1(VALU_DEP_1)
	v_lshrrev_b32_e32 v1, s19, v1
	v_mul_lo_u32 v1, v1, s7
	s_delay_alu instid0(VALU_DEP_1) | instskip(NEXT) | instid1(VALU_DEP_1)
	v_sub_nc_u32_e32 v1, v2, v1
	v_mad_u32 v4, v1, s10, v4
	v_mad_u32 v6, v1, s20, v6
	;; [unrolled: 1-line block ×3, first 2 shown]
.LBB69_28:
	global_load_b64 v[2:3], v6, s[0:1]
	global_load_b64 v[8:9], v5, s[2:3]
	v_add_nc_u32_e32 v0, 0x80, v0
	s_wait_loadcnt 0x1
	v_mul_u64_e32 v[2:3], s[16:17], v[2:3]
	s_wait_loadcnt 0x0
	s_delay_alu instid0(VALU_DEP_1) | instskip(SKIP_3) | instid1(SALU_CYCLE_1)
	v_mul_u64_e32 v[2:3], v[2:3], v[8:9]
	global_store_b64 v4, v[2:3], s[14:15]
	s_wait_xcnt 0x0
	s_or_b32 exec_lo, exec_lo, s5
	s_mov_b32 s5, exec_lo
	v_cmpx_gt_i32_e64 s37, v0
	s_cbranch_execz .LBB69_4
.LBB69_29:
	s_and_not1_b32 vcc_lo, exec_lo, s31
	s_cbranch_vccnz .LBB69_35
; %bb.30:
	s_and_not1_b32 vcc_lo, exec_lo, s38
	s_cbranch_vccnz .LBB69_36
; %bb.31:
	v_dual_mov_b32 v4, 0 :: v_dual_mov_b32 v1, v0
	v_dual_mov_b32 v6, 0 :: v_dual_mov_b32 v5, 0
	s_add_co_i32 s18, s36, 1
	s_mov_b64 s[26:27], 0xffffffffffffffe0
	s_and_b32 s18, s18, 30
	s_add_nc_u64 s[26:27], s[12:13], s[26:27]
	s_mov_b64 s[28:29], s[12:13]
.LBB69_32:                              ; =>This Inner Loop Header: Depth=1
	s_clause 0x1
	s_load_b128 s[40:43], s[28:29], 0x4
	s_load_b64 s[44:45], s[28:29], 0x14
	s_load_b32 s39, s[26:27], 0xe4
	s_add_co_i32 s18, s18, -2
	s_wait_xcnt 0x0
	s_add_nc_u64 s[28:29], s[28:29], 24
	s_cmp_eq_u32 s18, 0
	s_wait_kmcnt 0x0
	v_mul_hi_u32 v2, s41, v1
	s_delay_alu instid0(VALU_DEP_1) | instskip(NEXT) | instid1(VALU_DEP_1)
	v_add_nc_u32_e32 v2, v1, v2
	v_lshrrev_b32_e32 v2, s42, v2
	s_delay_alu instid0(VALU_DEP_1) | instskip(SKIP_2) | instid1(VALU_DEP_2)
	v_mul_hi_u32 v3, s44, v2
	v_mul_lo_u32 v7, v2, s40
	s_load_b96 s[40:42], s[26:27], 0xec
	v_add_nc_u32_e32 v3, v2, v3
	s_delay_alu instid0(VALU_DEP_2) | instskip(NEXT) | instid1(VALU_DEP_2)
	v_sub_nc_u32_e32 v7, v1, v7
	v_lshrrev_b32_e32 v1, s45, v3
	s_load_b64 s[44:45], s[26:27], 0xfc
	s_delay_alu instid0(VALU_DEP_2)
	v_mad_u32 v4, v7, s39, v4
	s_wait_xcnt 0x0
	s_add_nc_u64 s[26:27], s[26:27], 32
	v_mul_lo_u32 v3, v1, s43
	s_wait_kmcnt 0x0
	v_mad_u32 v5, v7, s41, v5
	v_mad_u32 v6, v7, s40, v6
	s_delay_alu instid0(VALU_DEP_3) | instskip(NEXT) | instid1(VALU_DEP_1)
	v_sub_nc_u32_e32 v2, v2, v3
	v_mad_u32 v4, v2, s42, v4
	s_delay_alu instid0(VALU_DEP_4) | instskip(NEXT) | instid1(VALU_DEP_4)
	v_mad_u32 v5, v2, s45, v5
	v_mad_u32 v6, v2, s44, v6
	s_cbranch_scc0 .LBB69_32
; %bb.33:
	s_bitcmp1_b32 s36, 0
	s_cselect_b32 s18, -1, 0
	s_delay_alu instid0(SALU_CYCLE_1)
	s_and_b32 vcc_lo, exec_lo, s18
	s_cbranch_vccnz .LBB69_37
; %bb.34:
	s_load_b96 s[40:42], s[28:29], 0x4
	s_load_b32 s18, s[26:27], 0xe4
	s_wait_xcnt 0x0
	s_load_b64 s[28:29], s[26:27], 0xec
	s_wait_kmcnt 0x0
	v_mul_hi_u32 v2, s41, v1
	s_delay_alu instid0(VALU_DEP_1) | instskip(NEXT) | instid1(VALU_DEP_1)
	v_add_nc_u32_e32 v2, v1, v2
	v_lshrrev_b32_e32 v2, s42, v2
	s_delay_alu instid0(VALU_DEP_1) | instskip(NEXT) | instid1(VALU_DEP_1)
	v_mul_lo_u32 v2, v2, s40
	v_sub_nc_u32_e32 v1, v1, v2
	s_delay_alu instid0(VALU_DEP_1)
	v_mad_u32 v4, v1, s18, v4
	v_mad_u32 v6, v1, s28, v6
	;; [unrolled: 1-line block ×3, first 2 shown]
	s_branch .LBB69_37
.LBB69_35:
                                        ; implicit-def: $vgpr5
                                        ; implicit-def: $vgpr6
                                        ; implicit-def: $vgpr4
	s_branch .LBB69_38
.LBB69_36:
	v_dual_mov_b32 v5, 0 :: v_dual_mov_b32 v6, 0
	v_mov_b32_e32 v4, 0
.LBB69_37:
	s_cbranch_execnz .LBB69_40
.LBB69_38:
	v_mov_b32_e32 v1, 0
	s_and_not1_b32 vcc_lo, exec_lo, s35
	s_delay_alu instid0(VALU_DEP_1) | instskip(NEXT) | instid1(VALU_DEP_1)
	v_mul_u64_e32 v[2:3], s[22:23], v[0:1]
	v_add_nc_u32_e32 v2, v0, v3
	s_delay_alu instid0(VALU_DEP_1) | instskip(NEXT) | instid1(VALU_DEP_1)
	v_lshrrev_b32_e32 v2, s6, v2
	v_mul_lo_u32 v3, v2, s4
	s_delay_alu instid0(VALU_DEP_1) | instskip(NEXT) | instid1(VALU_DEP_1)
	v_sub_nc_u32_e32 v3, v0, v3
	v_mul_lo_u32 v4, v3, s34
	v_mul_lo_u32 v5, v3, s9
	;; [unrolled: 1-line block ×3, first 2 shown]
	s_cbranch_vccnz .LBB69_40
; %bb.39:
	v_mov_b32_e32 v3, v1
	s_delay_alu instid0(VALU_DEP_1) | instskip(NEXT) | instid1(VALU_DEP_1)
	v_mul_u64_e32 v[8:9], s[24:25], v[2:3]
	v_add_nc_u32_e32 v1, v2, v9
	s_delay_alu instid0(VALU_DEP_1) | instskip(NEXT) | instid1(VALU_DEP_1)
	v_lshrrev_b32_e32 v1, s19, v1
	v_mul_lo_u32 v1, v1, s7
	s_delay_alu instid0(VALU_DEP_1) | instskip(NEXT) | instid1(VALU_DEP_1)
	v_sub_nc_u32_e32 v1, v2, v1
	v_mad_u32 v4, v1, s10, v4
	v_mad_u32 v6, v1, s20, v6
	;; [unrolled: 1-line block ×3, first 2 shown]
.LBB69_40:
	global_load_b64 v[2:3], v6, s[0:1]
	global_load_b64 v[8:9], v5, s[2:3]
	v_add_nc_u32_e32 v0, 0x80, v0
	s_wait_loadcnt 0x1
	v_mul_u64_e32 v[2:3], s[16:17], v[2:3]
	s_wait_loadcnt 0x0
	s_delay_alu instid0(VALU_DEP_1) | instskip(SKIP_3) | instid1(SALU_CYCLE_1)
	v_mul_u64_e32 v[2:3], v[2:3], v[8:9]
	global_store_b64 v4, v[2:3], s[14:15]
	s_wait_xcnt 0x0
	s_or_b32 exec_lo, exec_lo, s5
	s_mov_b32 s5, exec_lo
	v_cmpx_gt_i32_e64 s37, v0
	s_cbranch_execz .LBB69_53
.LBB69_41:
	s_and_not1_b32 vcc_lo, exec_lo, s31
	s_cbranch_vccnz .LBB69_47
; %bb.42:
	s_and_not1_b32 vcc_lo, exec_lo, s38
	s_cbranch_vccnz .LBB69_48
; %bb.43:
	v_dual_mov_b32 v4, 0 :: v_dual_mov_b32 v1, v0
	v_dual_mov_b32 v6, 0 :: v_dual_mov_b32 v5, 0
	s_add_co_i32 s18, s36, 1
	s_mov_b64 s[26:27], 0xffffffffffffffe0
	s_and_b32 s18, s18, 30
	s_add_nc_u64 s[26:27], s[12:13], s[26:27]
	s_mov_b64 s[28:29], s[12:13]
.LBB69_44:                              ; =>This Inner Loop Header: Depth=1
	s_clause 0x1
	s_load_b128 s[40:43], s[28:29], 0x4
	s_load_b64 s[38:39], s[28:29], 0x14
	s_load_b32 s37, s[26:27], 0xe4
	s_add_co_i32 s18, s18, -2
	s_wait_xcnt 0x0
	s_add_nc_u64 s[28:29], s[28:29], 24
	s_cmp_eq_u32 s18, 0
	s_wait_kmcnt 0x0
	v_mul_hi_u32 v2, s41, v1
	s_delay_alu instid0(VALU_DEP_1) | instskip(NEXT) | instid1(VALU_DEP_1)
	v_add_nc_u32_e32 v2, v1, v2
	v_lshrrev_b32_e32 v2, s42, v2
	s_delay_alu instid0(VALU_DEP_1) | instskip(SKIP_2) | instid1(VALU_DEP_2)
	v_mul_hi_u32 v3, s38, v2
	v_mul_lo_u32 v7, v2, s40
	s_load_b96 s[40:42], s[26:27], 0xec
	v_add_nc_u32_e32 v3, v2, v3
	s_delay_alu instid0(VALU_DEP_2) | instskip(NEXT) | instid1(VALU_DEP_2)
	v_sub_nc_u32_e32 v7, v1, v7
	v_lshrrev_b32_e32 v1, s39, v3
	s_load_b64 s[38:39], s[26:27], 0xfc
	s_delay_alu instid0(VALU_DEP_2)
	v_mad_u32 v4, v7, s37, v4
	s_wait_xcnt 0x0
	s_add_nc_u64 s[26:27], s[26:27], 32
	v_mul_lo_u32 v3, v1, s43
	s_wait_kmcnt 0x0
	v_mad_u32 v5, v7, s41, v5
	v_mad_u32 v6, v7, s40, v6
	s_delay_alu instid0(VALU_DEP_3) | instskip(NEXT) | instid1(VALU_DEP_1)
	v_sub_nc_u32_e32 v2, v2, v3
	v_mad_u32 v4, v2, s42, v4
	s_delay_alu instid0(VALU_DEP_4) | instskip(NEXT) | instid1(VALU_DEP_4)
	v_mad_u32 v5, v2, s39, v5
	v_mad_u32 v6, v2, s38, v6
	s_cbranch_scc0 .LBB69_44
; %bb.45:
	s_bitcmp1_b32 s36, 0
	s_cselect_b32 s18, -1, 0
	s_delay_alu instid0(SALU_CYCLE_1)
	s_and_b32 vcc_lo, exec_lo, s18
	s_cbranch_vccnz .LBB69_49
; %bb.46:
	s_load_b96 s[36:38], s[28:29], 0x4
	s_load_b32 s18, s[26:27], 0xe4
	s_wait_xcnt 0x0
	s_load_b64 s[28:29], s[26:27], 0xec
	s_wait_kmcnt 0x0
	v_mul_hi_u32 v2, s37, v1
	s_delay_alu instid0(VALU_DEP_1) | instskip(NEXT) | instid1(VALU_DEP_1)
	v_add_nc_u32_e32 v2, v1, v2
	v_lshrrev_b32_e32 v2, s38, v2
	s_delay_alu instid0(VALU_DEP_1) | instskip(NEXT) | instid1(VALU_DEP_1)
	v_mul_lo_u32 v2, v2, s36
	v_sub_nc_u32_e32 v1, v1, v2
	s_delay_alu instid0(VALU_DEP_1)
	v_mad_u32 v4, v1, s18, v4
	v_mad_u32 v6, v1, s28, v6
	;; [unrolled: 1-line block ×3, first 2 shown]
	s_branch .LBB69_49
.LBB69_47:
                                        ; implicit-def: $vgpr5
                                        ; implicit-def: $vgpr6
                                        ; implicit-def: $vgpr4
	s_branch .LBB69_50
.LBB69_48:
	v_dual_mov_b32 v5, 0 :: v_dual_mov_b32 v6, 0
	v_mov_b32_e32 v4, 0
.LBB69_49:
	s_cbranch_execnz .LBB69_52
.LBB69_50:
	v_mov_b32_e32 v1, 0
	s_and_not1_b32 vcc_lo, exec_lo, s35
	s_delay_alu instid0(VALU_DEP_1) | instskip(NEXT) | instid1(VALU_DEP_1)
	v_mul_u64_e32 v[2:3], s[22:23], v[0:1]
	v_add_nc_u32_e32 v2, v0, v3
	s_delay_alu instid0(VALU_DEP_1) | instskip(NEXT) | instid1(VALU_DEP_1)
	v_lshrrev_b32_e32 v2, s6, v2
	v_mul_lo_u32 v3, v2, s4
	s_delay_alu instid0(VALU_DEP_1) | instskip(NEXT) | instid1(VALU_DEP_1)
	v_sub_nc_u32_e32 v0, v0, v3
	v_mul_lo_u32 v4, v0, s34
	v_mul_lo_u32 v5, v0, s9
	;; [unrolled: 1-line block ×3, first 2 shown]
	s_cbranch_vccnz .LBB69_52
; %bb.51:
	v_mov_b32_e32 v3, v1
	s_delay_alu instid0(VALU_DEP_1) | instskip(NEXT) | instid1(VALU_DEP_1)
	v_mul_u64_e32 v[0:1], s[24:25], v[2:3]
	v_add_nc_u32_e32 v0, v2, v1
	s_delay_alu instid0(VALU_DEP_1) | instskip(NEXT) | instid1(VALU_DEP_1)
	v_lshrrev_b32_e32 v0, s19, v0
	v_mul_lo_u32 v0, v0, s7
	s_delay_alu instid0(VALU_DEP_1) | instskip(NEXT) | instid1(VALU_DEP_1)
	v_sub_nc_u32_e32 v0, v2, v0
	v_mad_u32 v4, v0, s10, v4
	v_mad_u32 v6, v0, s20, v6
	;; [unrolled: 1-line block ×3, first 2 shown]
.LBB69_52:
	global_load_b64 v[0:1], v6, s[0:1]
	global_load_b64 v[2:3], v5, s[2:3]
	s_wait_loadcnt 0x1
	v_mul_u64_e32 v[0:1], s[16:17], v[0:1]
	s_wait_loadcnt 0x0
	s_delay_alu instid0(VALU_DEP_1)
	v_mul_u64_e32 v[0:1], v[0:1], v[2:3]
	global_store_b64 v4, v[0:1], s[14:15]
.LBB69_53:
	s_wait_xcnt 0x0
	s_or_b32 exec_lo, exec_lo, s5
                                        ; implicit-def: $vgpr3
                                        ; implicit-def: $vgpr0
.LBB69_54:
	s_and_not1_saveexec_b32 s0, s33
	s_cbranch_execz .LBB69_61
; %bb.55:
	v_cndmask_b32_e64 v6, 0, 1, s31
	s_and_not1_b32 vcc_lo, exec_lo, s31
	s_cbranch_vccnz .LBB69_62
; %bb.56:
	s_cmp_lg_u32 s11, 0
	s_mov_b32 s4, 0
	s_cbranch_scc0 .LBB69_66
; %bb.57:
	s_min_u32 s5, s30, 15
	v_dual_mov_b32 v1, 0 :: v_dual_mov_b32 v5, v0
	v_dual_mov_b32 v4, 0 :: v_dual_mov_b32 v2, 0
	s_add_co_i32 s2, s5, 1
	s_mov_b64 s[0:1], 0xffffffffffffffe0
	s_and_b32 s6, s2, 30
	s_add_nc_u64 s[0:1], s[12:13], s[0:1]
	s_mov_b64 s[2:3], s[12:13]
.LBB69_58:                              ; =>This Inner Loop Header: Depth=1
	s_clause 0x1
	s_load_b128 s[16:19], s[2:3], 0x4
	s_load_b64 s[14:15], s[2:3], 0x14
	s_clause 0x1
	s_load_b32 s7, s[0:1], 0xe4
	s_load_b96 s[8:10], s[0:1], 0xec
	s_add_co_i32 s6, s6, -2
	s_wait_xcnt 0x0
	s_add_nc_u64 s[2:3], s[2:3], 24
	s_cmp_lg_u32 s6, 0
	s_wait_kmcnt 0x0
	v_mul_hi_u32 v7, s17, v5
	s_delay_alu instid0(VALU_DEP_1) | instskip(NEXT) | instid1(VALU_DEP_1)
	v_add_nc_u32_e32 v7, v5, v7
	v_lshrrev_b32_e32 v7, s18, v7
	s_delay_alu instid0(VALU_DEP_1) | instskip(SKIP_1) | instid1(VALU_DEP_1)
	v_mul_hi_u32 v8, s14, v7
	v_mul_lo_u32 v9, v7, s16
	v_dual_add_nc_u32 v8, v7, v8 :: v_dual_sub_nc_u32 v9, v5, v9
	s_delay_alu instid0(VALU_DEP_1) | instskip(SKIP_1) | instid1(VALU_DEP_2)
	v_lshrrev_b32_e32 v5, s15, v8
	s_load_b64 s[14:15], s[0:1], 0xfc
	v_mad_u32 v1, v9, s7, v1
	v_mad_u32 v2, v9, s9, v2
	;; [unrolled: 1-line block ×3, first 2 shown]
	v_mul_lo_u32 v8, v5, s19
	s_wait_xcnt 0x0
	s_add_nc_u64 s[0:1], s[0:1], 32
	s_delay_alu instid0(VALU_DEP_1) | instskip(NEXT) | instid1(VALU_DEP_1)
	v_sub_nc_u32_e32 v7, v7, v8
	v_mad_u32 v1, v7, s10, v1
	s_wait_kmcnt 0x0
	v_mad_u32 v2, v7, s15, v2
	v_mad_u32 v4, v7, s14, v4
	s_cbranch_scc1 .LBB69_58
; %bb.59:
	s_bitcmp1_b32 s5, 0
	s_cselect_b32 s5, -1, 0
	s_delay_alu instid0(SALU_CYCLE_1)
	s_and_b32 vcc_lo, exec_lo, s5
	s_cbranch_vccnz .LBB69_63
; %bb.60:
	s_load_b96 s[8:10], s[2:3], 0x4
	s_load_b32 s5, s[0:1], 0xe4
	s_wait_xcnt 0x0
	s_load_b64 s[2:3], s[0:1], 0xec
	s_wait_kmcnt 0x0
	v_mul_hi_u32 v7, s9, v5
	s_delay_alu instid0(VALU_DEP_1) | instskip(NEXT) | instid1(VALU_DEP_1)
	v_add_nc_u32_e32 v7, v5, v7
	v_lshrrev_b32_e32 v7, s10, v7
	s_delay_alu instid0(VALU_DEP_1) | instskip(NEXT) | instid1(VALU_DEP_1)
	v_mul_lo_u32 v7, v7, s8
	v_sub_nc_u32_e32 v5, v5, v7
	s_delay_alu instid0(VALU_DEP_1)
	v_mad_u32 v1, v5, s5, v1
	v_mad_u32 v4, v5, s2, v4
	;; [unrolled: 1-line block ×3, first 2 shown]
	s_and_not1_b32 vcc_lo, exec_lo, s4
	s_cbranch_vccz .LBB69_64
	s_branch .LBB69_67
.LBB69_61:
	s_endpgm
.LBB69_62:
	s_mov_b32 s4, -1
                                        ; implicit-def: $vgpr2
                                        ; implicit-def: $vgpr4
                                        ; implicit-def: $vgpr1
.LBB69_63:
	s_delay_alu instid0(SALU_CYCLE_1)
	s_and_not1_b32 vcc_lo, exec_lo, s4
	s_cbranch_vccnz .LBB69_67
.LBB69_64:
	s_clause 0x2
	s_load_b96 s[0:2], s[12:13], 0x4
	s_load_b32 s3, s[12:13], 0xc4
	s_load_b64 s[4:5], s[12:13], 0xcc
	s_cmp_lt_u32 s11, 2
	s_wait_kmcnt 0x0
	v_mul_hi_u32 v1, s1, v0
	s_delay_alu instid0(VALU_DEP_1) | instskip(NEXT) | instid1(VALU_DEP_1)
	v_add_nc_u32_e32 v1, v0, v1
	v_lshrrev_b32_e32 v5, s2, v1
	s_delay_alu instid0(VALU_DEP_1) | instskip(NEXT) | instid1(VALU_DEP_1)
	v_mul_lo_u32 v1, v5, s0
	v_sub_nc_u32_e32 v4, v0, v1
	s_delay_alu instid0(VALU_DEP_1)
	v_mul_lo_u32 v1, v4, s3
	v_mul_lo_u32 v2, v4, s5
	;; [unrolled: 1-line block ×3, first 2 shown]
	s_cbranch_scc1 .LBB69_67
; %bb.65:
	s_clause 0x2
	s_load_b96 s[0:2], s[12:13], 0x10
	s_load_b32 s3, s[12:13], 0xd4
	s_load_b64 s[4:5], s[12:13], 0xdc
	s_wait_kmcnt 0x0
	v_mul_hi_u32 v7, s1, v5
	s_delay_alu instid0(VALU_DEP_1) | instskip(NEXT) | instid1(VALU_DEP_1)
	v_add_nc_u32_e32 v7, v5, v7
	v_lshrrev_b32_e32 v7, s2, v7
	s_delay_alu instid0(VALU_DEP_1) | instskip(NEXT) | instid1(VALU_DEP_1)
	v_mul_lo_u32 v7, v7, s0
	v_sub_nc_u32_e32 v5, v5, v7
	s_delay_alu instid0(VALU_DEP_1)
	v_mad_u32 v1, v5, s3, v1
	v_mad_u32 v4, v5, s4, v4
	;; [unrolled: 1-line block ×3, first 2 shown]
	s_branch .LBB69_67
.LBB69_66:
	v_dual_mov_b32 v2, 0 :: v_dual_mov_b32 v4, 0
	v_mov_b32_e32 v1, 0
	s_and_not1_b32 vcc_lo, exec_lo, s4
	s_cbranch_vccz .LBB69_64
.LBB69_67:
	v_cmp_ne_u32_e32 vcc_lo, 1, v6
	v_add_nc_u32_e32 v9, 0x80, v0
	s_cbranch_vccnz .LBB69_73
; %bb.68:
	s_cmp_lg_u32 s11, 0
	s_mov_b32 s4, 0
	s_cbranch_scc0 .LBB69_77
; %bb.69:
	s_min_u32 s5, s30, 15
	v_dual_mov_b32 v5, 0 :: v_dual_mov_b32 v10, v9
	v_dual_mov_b32 v7, 0 :: v_dual_mov_b32 v8, 0
	s_add_co_i32 s2, s5, 1
	s_mov_b64 s[0:1], 0xffffffffffffffe0
	s_and_b32 s6, s2, 30
	s_add_nc_u64 s[0:1], s[12:13], s[0:1]
	s_mov_b64 s[2:3], s[12:13]
.LBB69_70:                              ; =>This Inner Loop Header: Depth=1
	s_clause 0x1
	s_load_b128 s[16:19], s[2:3], 0x4
	s_load_b64 s[14:15], s[2:3], 0x14
	s_clause 0x1
	s_load_b32 s7, s[0:1], 0xe4
	s_load_b96 s[8:10], s[0:1], 0xec
	s_add_co_i32 s6, s6, -2
	s_wait_xcnt 0x0
	s_add_nc_u64 s[2:3], s[2:3], 24
	s_cmp_lg_u32 s6, 0
	s_wait_kmcnt 0x0
	v_mul_hi_u32 v11, s17, v10
	s_delay_alu instid0(VALU_DEP_1) | instskip(NEXT) | instid1(VALU_DEP_1)
	v_add_nc_u32_e32 v11, v10, v11
	v_lshrrev_b32_e32 v11, s18, v11
	s_delay_alu instid0(VALU_DEP_1) | instskip(SKIP_1) | instid1(VALU_DEP_1)
	v_mul_hi_u32 v12, s14, v11
	v_mul_lo_u32 v13, v11, s16
	v_dual_add_nc_u32 v12, v11, v12 :: v_dual_sub_nc_u32 v13, v10, v13
	s_delay_alu instid0(VALU_DEP_1) | instskip(SKIP_1) | instid1(VALU_DEP_2)
	v_lshrrev_b32_e32 v10, s15, v12
	s_load_b64 s[14:15], s[0:1], 0xfc
	v_mad_u32 v5, v13, s7, v5
	v_mad_u32 v8, v13, s9, v8
	;; [unrolled: 1-line block ×3, first 2 shown]
	v_mul_lo_u32 v12, v10, s19
	s_wait_xcnt 0x0
	s_add_nc_u64 s[0:1], s[0:1], 32
	s_delay_alu instid0(VALU_DEP_1) | instskip(NEXT) | instid1(VALU_DEP_1)
	v_sub_nc_u32_e32 v11, v11, v12
	v_mad_u32 v5, v11, s10, v5
	s_wait_kmcnt 0x0
	v_mad_u32 v8, v11, s15, v8
	v_mad_u32 v7, v11, s14, v7
	s_cbranch_scc1 .LBB69_70
; %bb.71:
	s_bitcmp1_b32 s5, 0
	s_cselect_b32 s5, -1, 0
	s_delay_alu instid0(SALU_CYCLE_1)
	s_and_b32 vcc_lo, exec_lo, s5
	s_cbranch_vccnz .LBB69_74
; %bb.72:
	s_load_b96 s[8:10], s[2:3], 0x4
	s_load_b32 s5, s[0:1], 0xe4
	s_wait_xcnt 0x0
	s_load_b64 s[2:3], s[0:1], 0xec
	s_wait_kmcnt 0x0
	v_mul_hi_u32 v11, s9, v10
	s_delay_alu instid0(VALU_DEP_1) | instskip(NEXT) | instid1(VALU_DEP_1)
	v_add_nc_u32_e32 v11, v10, v11
	v_lshrrev_b32_e32 v11, s10, v11
	s_delay_alu instid0(VALU_DEP_1) | instskip(NEXT) | instid1(VALU_DEP_1)
	v_mul_lo_u32 v11, v11, s8
	v_sub_nc_u32_e32 v10, v10, v11
	s_delay_alu instid0(VALU_DEP_1)
	v_mad_u32 v5, v10, s5, v5
	v_mad_u32 v7, v10, s2, v7
	;; [unrolled: 1-line block ×3, first 2 shown]
	s_and_not1_b32 vcc_lo, exec_lo, s4
	s_cbranch_vccz .LBB69_75
	s_branch .LBB69_78
.LBB69_73:
	s_mov_b32 s4, -1
                                        ; implicit-def: $vgpr8
                                        ; implicit-def: $vgpr7
                                        ; implicit-def: $vgpr5
.LBB69_74:
	s_delay_alu instid0(SALU_CYCLE_1)
	s_and_not1_b32 vcc_lo, exec_lo, s4
	s_cbranch_vccnz .LBB69_78
.LBB69_75:
	s_clause 0x2
	s_load_b96 s[0:2], s[12:13], 0x4
	s_load_b32 s3, s[12:13], 0xc4
	s_load_b64 s[4:5], s[12:13], 0xcc
	s_cmp_lt_u32 s11, 2
	s_wait_kmcnt 0x0
	v_mul_hi_u32 v5, s1, v9
	s_delay_alu instid0(VALU_DEP_1) | instskip(NEXT) | instid1(VALU_DEP_1)
	v_add_nc_u32_e32 v5, v9, v5
	v_lshrrev_b32_e32 v10, s2, v5
	s_delay_alu instid0(VALU_DEP_1) | instskip(NEXT) | instid1(VALU_DEP_1)
	v_mul_lo_u32 v5, v10, s0
	v_sub_nc_u32_e32 v7, v9, v5
	s_delay_alu instid0(VALU_DEP_1)
	v_mul_lo_u32 v5, v7, s3
	v_mul_lo_u32 v8, v7, s5
	;; [unrolled: 1-line block ×3, first 2 shown]
	s_cbranch_scc1 .LBB69_78
; %bb.76:
	s_clause 0x2
	s_load_b96 s[0:2], s[12:13], 0x10
	s_load_b32 s3, s[12:13], 0xd4
	s_load_b64 s[4:5], s[12:13], 0xdc
	s_wait_kmcnt 0x0
	v_mul_hi_u32 v9, s1, v10
	s_delay_alu instid0(VALU_DEP_1) | instskip(NEXT) | instid1(VALU_DEP_1)
	v_add_nc_u32_e32 v9, v10, v9
	v_lshrrev_b32_e32 v9, s2, v9
	s_delay_alu instid0(VALU_DEP_1) | instskip(NEXT) | instid1(VALU_DEP_1)
	v_mul_lo_u32 v9, v9, s0
	v_sub_nc_u32_e32 v9, v10, v9
	s_delay_alu instid0(VALU_DEP_1)
	v_mad_u32 v5, v9, s3, v5
	v_mad_u32 v7, v9, s4, v7
	;; [unrolled: 1-line block ×3, first 2 shown]
	s_branch .LBB69_78
.LBB69_77:
	v_dual_mov_b32 v8, 0 :: v_dual_mov_b32 v7, 0
	v_mov_b32_e32 v5, 0
	s_and_not1_b32 vcc_lo, exec_lo, s4
	s_cbranch_vccz .LBB69_75
.LBB69_78:
	v_cmp_ne_u32_e32 vcc_lo, 1, v6
	v_add_nc_u32_e32 v11, 0x100, v0
	s_cbranch_vccnz .LBB69_84
; %bb.79:
	s_cmp_lg_u32 s11, 0
	s_mov_b32 s4, 0
	s_cbranch_scc0 .LBB69_88
; %bb.80:
	s_min_u32 s5, s30, 15
	v_dual_mov_b32 v0, 0 :: v_dual_mov_b32 v12, v11
	v_dual_mov_b32 v10, 0 :: v_dual_mov_b32 v9, 0
	s_add_co_i32 s2, s5, 1
	s_mov_b64 s[0:1], 0xffffffffffffffe0
	s_and_b32 s6, s2, 30
	s_add_nc_u64 s[0:1], s[12:13], s[0:1]
	s_mov_b64 s[2:3], s[12:13]
.LBB69_81:                              ; =>This Inner Loop Header: Depth=1
	s_clause 0x1
	s_load_b128 s[16:19], s[2:3], 0x4
	s_load_b64 s[14:15], s[2:3], 0x14
	s_clause 0x1
	s_load_b32 s7, s[0:1], 0xe4
	s_load_b96 s[8:10], s[0:1], 0xec
	s_add_co_i32 s6, s6, -2
	s_wait_xcnt 0x0
	s_add_nc_u64 s[2:3], s[2:3], 24
	s_cmp_lg_u32 s6, 0
	s_wait_kmcnt 0x0
	v_mul_hi_u32 v13, s17, v12
	s_delay_alu instid0(VALU_DEP_1) | instskip(NEXT) | instid1(VALU_DEP_1)
	v_add_nc_u32_e32 v13, v12, v13
	v_lshrrev_b32_e32 v13, s18, v13
	s_delay_alu instid0(VALU_DEP_1) | instskip(SKIP_1) | instid1(VALU_DEP_1)
	v_mul_hi_u32 v14, s14, v13
	v_mul_lo_u32 v15, v13, s16
	v_dual_add_nc_u32 v14, v13, v14 :: v_dual_sub_nc_u32 v15, v12, v15
	s_delay_alu instid0(VALU_DEP_1) | instskip(SKIP_1) | instid1(VALU_DEP_2)
	v_lshrrev_b32_e32 v12, s15, v14
	s_load_b64 s[14:15], s[0:1], 0xfc
	v_mad_u32 v0, v15, s7, v0
	v_mad_u32 v9, v15, s9, v9
	;; [unrolled: 1-line block ×3, first 2 shown]
	v_mul_lo_u32 v14, v12, s19
	s_wait_xcnt 0x0
	s_add_nc_u64 s[0:1], s[0:1], 32
	s_delay_alu instid0(VALU_DEP_1) | instskip(NEXT) | instid1(VALU_DEP_1)
	v_sub_nc_u32_e32 v13, v13, v14
	v_mad_u32 v0, v13, s10, v0
	s_wait_kmcnt 0x0
	v_mad_u32 v9, v13, s15, v9
	v_mad_u32 v10, v13, s14, v10
	s_cbranch_scc1 .LBB69_81
; %bb.82:
	s_bitcmp1_b32 s5, 0
	s_cselect_b32 s5, -1, 0
	s_delay_alu instid0(SALU_CYCLE_1)
	s_and_b32 vcc_lo, exec_lo, s5
	s_cbranch_vccnz .LBB69_85
; %bb.83:
	s_load_b96 s[8:10], s[2:3], 0x4
	s_load_b32 s5, s[0:1], 0xe4
	s_wait_xcnt 0x0
	s_load_b64 s[2:3], s[0:1], 0xec
	s_wait_kmcnt 0x0
	v_mul_hi_u32 v13, s9, v12
	s_delay_alu instid0(VALU_DEP_1) | instskip(NEXT) | instid1(VALU_DEP_1)
	v_add_nc_u32_e32 v13, v12, v13
	v_lshrrev_b32_e32 v13, s10, v13
	s_delay_alu instid0(VALU_DEP_1) | instskip(NEXT) | instid1(VALU_DEP_1)
	v_mul_lo_u32 v13, v13, s8
	v_sub_nc_u32_e32 v12, v12, v13
	s_delay_alu instid0(VALU_DEP_1)
	v_mad_u32 v0, v12, s5, v0
	v_mad_u32 v10, v12, s2, v10
	;; [unrolled: 1-line block ×3, first 2 shown]
	s_and_not1_b32 vcc_lo, exec_lo, s4
	s_cbranch_vccz .LBB69_86
	s_branch .LBB69_89
.LBB69_84:
	s_mov_b32 s4, -1
                                        ; implicit-def: $vgpr9
                                        ; implicit-def: $vgpr10
                                        ; implicit-def: $vgpr0
.LBB69_85:
	s_delay_alu instid0(SALU_CYCLE_1)
	s_and_not1_b32 vcc_lo, exec_lo, s4
	s_cbranch_vccnz .LBB69_89
.LBB69_86:
	s_clause 0x2
	s_load_b96 s[0:2], s[12:13], 0x4
	s_load_b32 s3, s[12:13], 0xc4
	s_load_b64 s[4:5], s[12:13], 0xcc
	s_cmp_lt_u32 s11, 2
	s_wait_kmcnt 0x0
	v_mul_hi_u32 v0, s1, v11
	s_delay_alu instid0(VALU_DEP_1) | instskip(NEXT) | instid1(VALU_DEP_1)
	v_add_nc_u32_e32 v0, v11, v0
	v_lshrrev_b32_e32 v12, s2, v0
	s_delay_alu instid0(VALU_DEP_1) | instskip(NEXT) | instid1(VALU_DEP_1)
	v_mul_lo_u32 v0, v12, s0
	v_sub_nc_u32_e32 v10, v11, v0
	s_delay_alu instid0(VALU_DEP_1)
	v_mul_lo_u32 v0, v10, s3
	v_mul_lo_u32 v9, v10, s5
	;; [unrolled: 1-line block ×3, first 2 shown]
	s_cbranch_scc1 .LBB69_89
; %bb.87:
	s_clause 0x2
	s_load_b96 s[0:2], s[12:13], 0x10
	s_load_b32 s3, s[12:13], 0xd4
	s_load_b64 s[4:5], s[12:13], 0xdc
	s_wait_kmcnt 0x0
	v_mul_hi_u32 v11, s1, v12
	s_delay_alu instid0(VALU_DEP_1) | instskip(NEXT) | instid1(VALU_DEP_1)
	v_add_nc_u32_e32 v11, v12, v11
	v_lshrrev_b32_e32 v11, s2, v11
	s_delay_alu instid0(VALU_DEP_1) | instskip(NEXT) | instid1(VALU_DEP_1)
	v_mul_lo_u32 v11, v11, s0
	v_sub_nc_u32_e32 v11, v12, v11
	s_delay_alu instid0(VALU_DEP_1)
	v_mad_u32 v0, v11, s3, v0
	v_mad_u32 v10, v11, s4, v10
	;; [unrolled: 1-line block ×3, first 2 shown]
	s_branch .LBB69_89
.LBB69_88:
	v_dual_mov_b32 v9, 0 :: v_dual_mov_b32 v10, 0
	v_mov_b32_e32 v0, 0
	s_and_not1_b32 vcc_lo, exec_lo, s4
	s_cbranch_vccz .LBB69_86
.LBB69_89:
	v_cmp_ne_u32_e32 vcc_lo, 1, v6
	s_cbranch_vccnz .LBB69_95
; %bb.90:
	s_cmp_lg_u32 s11, 0
	s_mov_b32 s4, 0
	s_cbranch_scc0 .LBB69_99
; %bb.91:
	s_min_u32 s5, s30, 15
	v_dual_mov_b32 v6, 0 :: v_dual_mov_b32 v13, v3
	v_dual_mov_b32 v12, 0 :: v_dual_mov_b32 v11, 0
	s_add_co_i32 s2, s5, 1
	s_mov_b64 s[0:1], 0xffffffffffffffe0
	s_and_b32 s6, s2, 30
	s_add_nc_u64 s[0:1], s[12:13], s[0:1]
	s_mov_b64 s[2:3], s[12:13]
.LBB69_92:                              ; =>This Inner Loop Header: Depth=1
	s_clause 0x1
	s_load_b128 s[16:19], s[2:3], 0x4
	s_load_b64 s[14:15], s[2:3], 0x14
	s_clause 0x1
	s_load_b32 s7, s[0:1], 0xe4
	s_load_b96 s[8:10], s[0:1], 0xec
	s_add_co_i32 s6, s6, -2
	s_wait_xcnt 0x0
	s_add_nc_u64 s[2:3], s[2:3], 24
	s_cmp_lg_u32 s6, 0
	s_wait_kmcnt 0x0
	v_mul_hi_u32 v14, s17, v13
	s_delay_alu instid0(VALU_DEP_1) | instskip(NEXT) | instid1(VALU_DEP_1)
	v_add_nc_u32_e32 v14, v13, v14
	v_lshrrev_b32_e32 v14, s18, v14
	s_delay_alu instid0(VALU_DEP_1) | instskip(SKIP_1) | instid1(VALU_DEP_1)
	v_mul_hi_u32 v15, s14, v14
	v_mul_lo_u32 v16, v14, s16
	v_dual_add_nc_u32 v15, v14, v15 :: v_dual_sub_nc_u32 v16, v13, v16
	s_delay_alu instid0(VALU_DEP_1) | instskip(SKIP_1) | instid1(VALU_DEP_2)
	v_lshrrev_b32_e32 v13, s15, v15
	s_load_b64 s[14:15], s[0:1], 0xfc
	v_mad_u32 v6, v16, s7, v6
	v_mad_u32 v11, v16, s9, v11
	;; [unrolled: 1-line block ×3, first 2 shown]
	v_mul_lo_u32 v15, v13, s19
	s_wait_xcnt 0x0
	s_add_nc_u64 s[0:1], s[0:1], 32
	s_delay_alu instid0(VALU_DEP_1) | instskip(NEXT) | instid1(VALU_DEP_1)
	v_sub_nc_u32_e32 v14, v14, v15
	v_mad_u32 v6, v14, s10, v6
	s_wait_kmcnt 0x0
	v_mad_u32 v11, v14, s15, v11
	v_mad_u32 v12, v14, s14, v12
	s_cbranch_scc1 .LBB69_92
; %bb.93:
	s_bitcmp1_b32 s5, 0
	s_cselect_b32 s5, -1, 0
	s_delay_alu instid0(SALU_CYCLE_1)
	s_and_b32 vcc_lo, exec_lo, s5
	s_cbranch_vccnz .LBB69_96
; %bb.94:
	s_load_b96 s[8:10], s[2:3], 0x4
	s_load_b32 s5, s[0:1], 0xe4
	s_wait_xcnt 0x0
	s_load_b64 s[2:3], s[0:1], 0xec
	s_wait_kmcnt 0x0
	v_mul_hi_u32 v14, s9, v13
	s_delay_alu instid0(VALU_DEP_1) | instskip(NEXT) | instid1(VALU_DEP_1)
	v_add_nc_u32_e32 v14, v13, v14
	v_lshrrev_b32_e32 v14, s10, v14
	s_delay_alu instid0(VALU_DEP_1) | instskip(NEXT) | instid1(VALU_DEP_1)
	v_mul_lo_u32 v14, v14, s8
	v_sub_nc_u32_e32 v13, v13, v14
	s_delay_alu instid0(VALU_DEP_1)
	v_mad_u32 v6, v13, s5, v6
	v_mad_u32 v12, v13, s2, v12
	;; [unrolled: 1-line block ×3, first 2 shown]
	s_and_not1_b32 vcc_lo, exec_lo, s4
	s_cbranch_vccz .LBB69_97
	s_branch .LBB69_100
.LBB69_95:
	s_mov_b32 s4, -1
                                        ; implicit-def: $vgpr11
                                        ; implicit-def: $vgpr12
                                        ; implicit-def: $vgpr6
.LBB69_96:
	s_delay_alu instid0(SALU_CYCLE_1)
	s_and_not1_b32 vcc_lo, exec_lo, s4
	s_cbranch_vccnz .LBB69_100
.LBB69_97:
	s_clause 0x2
	s_load_b96 s[0:2], s[12:13], 0x4
	s_load_b32 s3, s[12:13], 0xc4
	s_load_b64 s[4:5], s[12:13], 0xcc
	s_cmp_lt_u32 s11, 2
	s_wait_kmcnt 0x0
	v_mul_hi_u32 v6, s1, v3
	s_delay_alu instid0(VALU_DEP_1) | instskip(NEXT) | instid1(VALU_DEP_1)
	v_add_nc_u32_e32 v6, v3, v6
	v_lshrrev_b32_e32 v13, s2, v6
	s_delay_alu instid0(VALU_DEP_1) | instskip(NEXT) | instid1(VALU_DEP_1)
	v_mul_lo_u32 v6, v13, s0
	v_sub_nc_u32_e32 v3, v3, v6
	s_delay_alu instid0(VALU_DEP_1)
	v_mul_lo_u32 v6, v3, s3
	v_mul_lo_u32 v11, v3, s5
	;; [unrolled: 1-line block ×3, first 2 shown]
	s_cbranch_scc1 .LBB69_100
; %bb.98:
	s_clause 0x2
	s_load_b96 s[0:2], s[12:13], 0x10
	s_load_b32 s3, s[12:13], 0xd4
	s_load_b64 s[4:5], s[12:13], 0xdc
	s_wait_kmcnt 0x0
	v_mul_hi_u32 v3, s1, v13
	s_delay_alu instid0(VALU_DEP_1) | instskip(NEXT) | instid1(VALU_DEP_1)
	v_add_nc_u32_e32 v3, v13, v3
	v_lshrrev_b32_e32 v3, s2, v3
	s_delay_alu instid0(VALU_DEP_1) | instskip(NEXT) | instid1(VALU_DEP_1)
	v_mul_lo_u32 v3, v3, s0
	v_sub_nc_u32_e32 v3, v13, v3
	s_delay_alu instid0(VALU_DEP_1)
	v_mad_u32 v6, v3, s3, v6
	v_mad_u32 v12, v3, s4, v12
	;; [unrolled: 1-line block ×3, first 2 shown]
	s_branch .LBB69_100
.LBB69_99:
	v_dual_mov_b32 v11, 0 :: v_dual_mov_b32 v12, 0
	v_mov_b32_e32 v6, 0
	s_and_not1_b32 vcc_lo, exec_lo, s4
	s_cbranch_vccz .LBB69_97
.LBB69_100:
	s_load_b128 s[0:3], s[12:13], 0x1d8
	s_wait_kmcnt 0x0
	s_clause 0x3
	global_load_b64 v[14:15], v4, s[0:1]
	global_load_b64 v[16:17], v7, s[0:1]
	;; [unrolled: 1-line block ×4, first 2 shown]
	s_clause 0x3
	global_load_b64 v[22:23], v2, s[2:3]
	global_load_b64 v[24:25], v8, s[2:3]
	;; [unrolled: 1-line block ×4, first 2 shown]
	s_wait_xcnt 0x4
	s_load_b64 s[0:1], s[12:13], 0x1e8
	s_wait_loadcnt 0x7
	s_wait_kmcnt 0x0
	v_mul_u64_e32 v[2:3], s[0:1], v[14:15]
	s_wait_loadcnt 0x6
	v_mul_u64_e32 v[8:9], s[0:1], v[16:17]
	s_wait_loadcnt 0x5
	;; [unrolled: 2-line block ×3, first 2 shown]
	v_mul_u64_e32 v[12:13], s[0:1], v[20:21]
	s_load_b64 s[0:1], s[12:13], 0x1c8
	s_wait_loadcnt 0x3
	s_delay_alu instid0(VALU_DEP_4) | instskip(SKIP_1) | instid1(VALU_DEP_4)
	v_mul_u64_e32 v[2:3], v[2:3], v[22:23]
	s_wait_loadcnt 0x2
	v_mul_u64_e32 v[8:9], v[8:9], v[24:25]
	s_wait_loadcnt 0x1
	s_delay_alu instid0(VALU_DEP_4) | instskip(SKIP_1) | instid1(VALU_DEP_4)
	v_mul_u64_e32 v[10:11], v[10:11], v[26:27]
	s_wait_loadcnt 0x0
	v_mul_u64_e32 v[12:13], v[12:13], v[28:29]
	s_wait_kmcnt 0x0
	s_clause 0x3
	global_store_b64 v1, v[2:3], s[0:1]
	global_store_b64 v5, v[8:9], s[0:1]
	;; [unrolled: 1-line block ×4, first 2 shown]
	s_endpgm
	.section	.rodata,"a",@progbits
	.p2align	6, 0x0
	.amdhsa_kernel _ZN2at6native32elementwise_kernel_manual_unrollILi128ELi4EZNS0_22gpu_kernel_impl_nocastIZZZNS0_12_GLOBAL__N_116addr_kernel_cudaERNS_14TensorIteratorERKN3c106ScalarES9_ENKUlvE_clEvENKUlvE2_clEvEUllllE_EEvRNS_18TensorIteratorBaseERKT_EUlibE_EEviT1_
		.amdhsa_group_segment_fixed_size 0
		.amdhsa_private_segment_fixed_size 0
		.amdhsa_kernarg_size 504
		.amdhsa_user_sgpr_count 2
		.amdhsa_user_sgpr_dispatch_ptr 0
		.amdhsa_user_sgpr_queue_ptr 0
		.amdhsa_user_sgpr_kernarg_segment_ptr 1
		.amdhsa_user_sgpr_dispatch_id 0
		.amdhsa_user_sgpr_kernarg_preload_length 0
		.amdhsa_user_sgpr_kernarg_preload_offset 0
		.amdhsa_user_sgpr_private_segment_size 0
		.amdhsa_wavefront_size32 1
		.amdhsa_uses_dynamic_stack 0
		.amdhsa_enable_private_segment 0
		.amdhsa_system_sgpr_workgroup_id_x 1
		.amdhsa_system_sgpr_workgroup_id_y 0
		.amdhsa_system_sgpr_workgroup_id_z 0
		.amdhsa_system_sgpr_workgroup_info 0
		.amdhsa_system_vgpr_workitem_id 0
		.amdhsa_next_free_vgpr 30
		.amdhsa_next_free_sgpr 46
		.amdhsa_named_barrier_count 0
		.amdhsa_reserve_vcc 1
		.amdhsa_float_round_mode_32 0
		.amdhsa_float_round_mode_16_64 0
		.amdhsa_float_denorm_mode_32 3
		.amdhsa_float_denorm_mode_16_64 3
		.amdhsa_fp16_overflow 0
		.amdhsa_memory_ordered 1
		.amdhsa_forward_progress 1
		.amdhsa_inst_pref_size 45
		.amdhsa_round_robin_scheduling 0
		.amdhsa_exception_fp_ieee_invalid_op 0
		.amdhsa_exception_fp_denorm_src 0
		.amdhsa_exception_fp_ieee_div_zero 0
		.amdhsa_exception_fp_ieee_overflow 0
		.amdhsa_exception_fp_ieee_underflow 0
		.amdhsa_exception_fp_ieee_inexact 0
		.amdhsa_exception_int_div_zero 0
	.end_amdhsa_kernel
	.section	.text._ZN2at6native32elementwise_kernel_manual_unrollILi128ELi4EZNS0_22gpu_kernel_impl_nocastIZZZNS0_12_GLOBAL__N_116addr_kernel_cudaERNS_14TensorIteratorERKN3c106ScalarES9_ENKUlvE_clEvENKUlvE2_clEvEUllllE_EEvRNS_18TensorIteratorBaseERKT_EUlibE_EEviT1_,"axG",@progbits,_ZN2at6native32elementwise_kernel_manual_unrollILi128ELi4EZNS0_22gpu_kernel_impl_nocastIZZZNS0_12_GLOBAL__N_116addr_kernel_cudaERNS_14TensorIteratorERKN3c106ScalarES9_ENKUlvE_clEvENKUlvE2_clEvEUllllE_EEvRNS_18TensorIteratorBaseERKT_EUlibE_EEviT1_,comdat
.Lfunc_end69:
	.size	_ZN2at6native32elementwise_kernel_manual_unrollILi128ELi4EZNS0_22gpu_kernel_impl_nocastIZZZNS0_12_GLOBAL__N_116addr_kernel_cudaERNS_14TensorIteratorERKN3c106ScalarES9_ENKUlvE_clEvENKUlvE2_clEvEUllllE_EEvRNS_18TensorIteratorBaseERKT_EUlibE_EEviT1_, .Lfunc_end69-_ZN2at6native32elementwise_kernel_manual_unrollILi128ELi4EZNS0_22gpu_kernel_impl_nocastIZZZNS0_12_GLOBAL__N_116addr_kernel_cudaERNS_14TensorIteratorERKN3c106ScalarES9_ENKUlvE_clEvENKUlvE2_clEvEUllllE_EEvRNS_18TensorIteratorBaseERKT_EUlibE_EEviT1_
                                        ; -- End function
	.set _ZN2at6native32elementwise_kernel_manual_unrollILi128ELi4EZNS0_22gpu_kernel_impl_nocastIZZZNS0_12_GLOBAL__N_116addr_kernel_cudaERNS_14TensorIteratorERKN3c106ScalarES9_ENKUlvE_clEvENKUlvE2_clEvEUllllE_EEvRNS_18TensorIteratorBaseERKT_EUlibE_EEviT1_.num_vgpr, 30
	.set _ZN2at6native32elementwise_kernel_manual_unrollILi128ELi4EZNS0_22gpu_kernel_impl_nocastIZZZNS0_12_GLOBAL__N_116addr_kernel_cudaERNS_14TensorIteratorERKN3c106ScalarES9_ENKUlvE_clEvENKUlvE2_clEvEUllllE_EEvRNS_18TensorIteratorBaseERKT_EUlibE_EEviT1_.num_agpr, 0
	.set _ZN2at6native32elementwise_kernel_manual_unrollILi128ELi4EZNS0_22gpu_kernel_impl_nocastIZZZNS0_12_GLOBAL__N_116addr_kernel_cudaERNS_14TensorIteratorERKN3c106ScalarES9_ENKUlvE_clEvENKUlvE2_clEvEUllllE_EEvRNS_18TensorIteratorBaseERKT_EUlibE_EEviT1_.numbered_sgpr, 46
	.set _ZN2at6native32elementwise_kernel_manual_unrollILi128ELi4EZNS0_22gpu_kernel_impl_nocastIZZZNS0_12_GLOBAL__N_116addr_kernel_cudaERNS_14TensorIteratorERKN3c106ScalarES9_ENKUlvE_clEvENKUlvE2_clEvEUllllE_EEvRNS_18TensorIteratorBaseERKT_EUlibE_EEviT1_.num_named_barrier, 0
	.set _ZN2at6native32elementwise_kernel_manual_unrollILi128ELi4EZNS0_22gpu_kernel_impl_nocastIZZZNS0_12_GLOBAL__N_116addr_kernel_cudaERNS_14TensorIteratorERKN3c106ScalarES9_ENKUlvE_clEvENKUlvE2_clEvEUllllE_EEvRNS_18TensorIteratorBaseERKT_EUlibE_EEviT1_.private_seg_size, 0
	.set _ZN2at6native32elementwise_kernel_manual_unrollILi128ELi4EZNS0_22gpu_kernel_impl_nocastIZZZNS0_12_GLOBAL__N_116addr_kernel_cudaERNS_14TensorIteratorERKN3c106ScalarES9_ENKUlvE_clEvENKUlvE2_clEvEUllllE_EEvRNS_18TensorIteratorBaseERKT_EUlibE_EEviT1_.uses_vcc, 1
	.set _ZN2at6native32elementwise_kernel_manual_unrollILi128ELi4EZNS0_22gpu_kernel_impl_nocastIZZZNS0_12_GLOBAL__N_116addr_kernel_cudaERNS_14TensorIteratorERKN3c106ScalarES9_ENKUlvE_clEvENKUlvE2_clEvEUllllE_EEvRNS_18TensorIteratorBaseERKT_EUlibE_EEviT1_.uses_flat_scratch, 0
	.set _ZN2at6native32elementwise_kernel_manual_unrollILi128ELi4EZNS0_22gpu_kernel_impl_nocastIZZZNS0_12_GLOBAL__N_116addr_kernel_cudaERNS_14TensorIteratorERKN3c106ScalarES9_ENKUlvE_clEvENKUlvE2_clEvEUllllE_EEvRNS_18TensorIteratorBaseERKT_EUlibE_EEviT1_.has_dyn_sized_stack, 0
	.set _ZN2at6native32elementwise_kernel_manual_unrollILi128ELi4EZNS0_22gpu_kernel_impl_nocastIZZZNS0_12_GLOBAL__N_116addr_kernel_cudaERNS_14TensorIteratorERKN3c106ScalarES9_ENKUlvE_clEvENKUlvE2_clEvEUllllE_EEvRNS_18TensorIteratorBaseERKT_EUlibE_EEviT1_.has_recursion, 0
	.set _ZN2at6native32elementwise_kernel_manual_unrollILi128ELi4EZNS0_22gpu_kernel_impl_nocastIZZZNS0_12_GLOBAL__N_116addr_kernel_cudaERNS_14TensorIteratorERKN3c106ScalarES9_ENKUlvE_clEvENKUlvE2_clEvEUllllE_EEvRNS_18TensorIteratorBaseERKT_EUlibE_EEviT1_.has_indirect_call, 0
	.section	.AMDGPU.csdata,"",@progbits
; Kernel info:
; codeLenInByte = 5696
; TotalNumSgprs: 48
; NumVgprs: 30
; ScratchSize: 0
; MemoryBound: 0
; FloatMode: 240
; IeeeMode: 1
; LDSByteSize: 0 bytes/workgroup (compile time only)
; SGPRBlocks: 0
; VGPRBlocks: 1
; NumSGPRsForWavesPerEU: 48
; NumVGPRsForWavesPerEU: 30
; NamedBarCnt: 0
; Occupancy: 16
; WaveLimiterHint : 1
; COMPUTE_PGM_RSRC2:SCRATCH_EN: 0
; COMPUTE_PGM_RSRC2:USER_SGPR: 2
; COMPUTE_PGM_RSRC2:TRAP_HANDLER: 0
; COMPUTE_PGM_RSRC2:TGID_X_EN: 1
; COMPUTE_PGM_RSRC2:TGID_Y_EN: 0
; COMPUTE_PGM_RSRC2:TGID_Z_EN: 0
; COMPUTE_PGM_RSRC2:TIDIG_COMP_CNT: 0
	.section	.text._ZN2at6native32elementwise_kernel_manual_unrollILi128ELi4EZNS0_15gpu_kernel_implIZZZNS0_12_GLOBAL__N_116addr_kernel_cudaERNS_14TensorIteratorERKN3c106ScalarES9_ENKUlvE_clEvENKUlvE2_clEvEUllllE_EEvRNS_18TensorIteratorBaseERKT_EUlibE_EEviT1_,"axG",@progbits,_ZN2at6native32elementwise_kernel_manual_unrollILi128ELi4EZNS0_15gpu_kernel_implIZZZNS0_12_GLOBAL__N_116addr_kernel_cudaERNS_14TensorIteratorERKN3c106ScalarES9_ENKUlvE_clEvENKUlvE2_clEvEUllllE_EEvRNS_18TensorIteratorBaseERKT_EUlibE_EEviT1_,comdat
	.globl	_ZN2at6native32elementwise_kernel_manual_unrollILi128ELi4EZNS0_15gpu_kernel_implIZZZNS0_12_GLOBAL__N_116addr_kernel_cudaERNS_14TensorIteratorERKN3c106ScalarES9_ENKUlvE_clEvENKUlvE2_clEvEUllllE_EEvRNS_18TensorIteratorBaseERKT_EUlibE_EEviT1_ ; -- Begin function _ZN2at6native32elementwise_kernel_manual_unrollILi128ELi4EZNS0_15gpu_kernel_implIZZZNS0_12_GLOBAL__N_116addr_kernel_cudaERNS_14TensorIteratorERKN3c106ScalarES9_ENKUlvE_clEvENKUlvE2_clEvEUllllE_EEvRNS_18TensorIteratorBaseERKT_EUlibE_EEviT1_
	.p2align	8
	.type	_ZN2at6native32elementwise_kernel_manual_unrollILi128ELi4EZNS0_15gpu_kernel_implIZZZNS0_12_GLOBAL__N_116addr_kernel_cudaERNS_14TensorIteratorERKN3c106ScalarES9_ENKUlvE_clEvENKUlvE2_clEvEUllllE_EEvRNS_18TensorIteratorBaseERKT_EUlibE_EEviT1_,@function
_ZN2at6native32elementwise_kernel_manual_unrollILi128ELi4EZNS0_15gpu_kernel_implIZZZNS0_12_GLOBAL__N_116addr_kernel_cudaERNS_14TensorIteratorERKN3c106ScalarES9_ENKUlvE_clEvENKUlvE2_clEvEUllllE_EEvRNS_18TensorIteratorBaseERKT_EUlibE_EEviT1_: ; @_ZN2at6native32elementwise_kernel_manual_unrollILi128ELi4EZNS0_15gpu_kernel_implIZZZNS0_12_GLOBAL__N_116addr_kernel_cudaERNS_14TensorIteratorERKN3c106ScalarES9_ENKUlvE_clEvENKUlvE2_clEvEUllllE_EEvRNS_18TensorIteratorBaseERKT_EUlibE_EEviT1_
; %bb.0:
	s_clause 0x1
	s_load_b32 s13, s[0:1], 0x40
	s_load_b128 s[4:7], s[0:1], 0x30
	s_bfe_u32 s8, ttmp6, 0x4000c
	s_clause 0x1
	s_load_b32 s19, s[0:1], 0x0
	s_load_b64 s[2:3], s[0:1], 0x8
	s_add_co_i32 s14, s8, 1
	s_clause 0x1
	s_load_b128 s[8:11], s[0:1], 0x18
	s_load_b32 s12, s[0:1], 0x28
	s_and_b32 s15, ttmp6, 15
	s_wait_xcnt 0x0
	s_mul_i32 s0, ttmp9, s14
	s_getreg_b32 s17, hwreg(HW_REG_IB_STS2, 6, 4)
	s_add_co_i32 s15, s15, s0
	s_mov_b32 s18, 0
	s_wait_kmcnt 0x0
	s_lshr_b32 s14, s13, 16
	s_lshr_b32 s16, s13, 8
	;; [unrolled: 1-line block ×3, first 2 shown]
	s_cmp_eq_u32 s17, 0
	s_cselect_b32 s0, ttmp9, s15
	s_mov_b32 s15, 0
	v_lshl_or_b32 v18, s0, 9, v0
	s_mov_b32 s0, exec_lo
	s_delay_alu instid0(VALU_DEP_1) | instskip(NEXT) | instid1(VALU_DEP_1)
	v_or_b32_e32 v0, 0x180, v18
	v_cmpx_le_i32_e64 s19, v0
	s_xor_b32 s17, exec_lo, s0
	s_cbranch_execz .LBB70_1592
; %bb.1:
	s_mov_b32 s0, -1
	s_mov_b32 s24, 0
	s_mov_b32 s22, 0
	;; [unrolled: 1-line block ×4, first 2 shown]
	s_mov_b32 s23, exec_lo
	v_cmpx_gt_i32_e64 s19, v18
	s_cbranch_execz .LBB70_394
; %bb.2:
	s_and_b32 s18, s16, 0xff
	s_delay_alu instid0(SALU_CYCLE_1)
	s_cmp_lt_i32 s18, 23
	s_cbranch_scc1 .LBB70_6
; %bb.3:
	s_and_b32 s20, 0xffff, s18
	s_delay_alu instid0(SALU_CYCLE_1)
	s_cmp_gt_i32 s20, 43
	s_cbranch_scc0 .LBB70_7
; %bb.4:
	s_cmp_gt_i32 s20, 45
	s_cbranch_scc0 .LBB70_8
; %bb.5:
	s_cmp_eq_u32 s20, 46
	s_mov_b32 s22, -1
	s_cselect_b32 s0, -1, 0
	s_branch .LBB70_9
.LBB70_6:
	s_mov_b32 s0, 0
	s_cbranch_execnz .LBB70_14
	s_branch .LBB70_18
.LBB70_7:
	s_mov_b32 s0, 0
	s_cbranch_execnz .LBB70_12
	s_branch .LBB70_13
.LBB70_8:
	s_mov_b32 s21, -1
	s_mov_b32 s0, 0
.LBB70_9:
	s_and_not1_b32 vcc_lo, exec_lo, s21
	s_cbranch_vccnz .LBB70_11
; %bb.10:
	s_cmp_eq_u32 s20, 44
	s_cselect_b32 s0, -1, 0
	s_cmp_lg_u32 s20, 44
	s_cselect_b32 s22, -1, 0
.LBB70_11:
	s_branch .LBB70_13
.LBB70_12:
	s_cmp_lt_i32 s20, 30
	s_cselect_b32 s0, -1, 0
	s_cmp_gt_i32 s20, 29
	s_cselect_b32 s22, -1, 0
.LBB70_13:
	s_branch .LBB70_18
.LBB70_14:
	s_and_b32 s18, 0xffff, s18
	s_mov_b32 s20, -1
	s_cmp_gt_i32 s18, 14
	s_cbranch_scc0 .LBB70_16
; %bb.15:
	s_cmp_eq_u32 s18, 15
	s_mov_b32 s20, 0
	s_cselect_b32 s0, -1, 0
	s_cmp_lg_u32 s18, 15
	s_cselect_b32 s22, -1, 0
.LBB70_16:
	s_and_not1_b32 vcc_lo, exec_lo, s20
	s_cbranch_vccnz .LBB70_18
; %bb.17:
	s_cmp_lt_i32 s18, 12
	s_cselect_b32 s0, -1, 0
	s_cmp_gt_i32 s18, 11
	s_cselect_b32 s22, -1, 0
.LBB70_18:
	s_and_b32 vcc_lo, exec_lo, s0
	s_cbranch_vccz .LBB70_26
; %bb.19:
	v_mul_lo_u32 v0, v18, s4
	s_and_b32 s0, s14, 0xff
	s_delay_alu instid0(SALU_CYCLE_1) | instskip(NEXT) | instid1(VALU_DEP_1)
	s_cmp_lt_i32 s0, 11
	v_ashrrev_i32_e32 v1, 31, v0
	s_delay_alu instid0(VALU_DEP_1)
	v_add_nc_u64_e32 v[2:3], s[8:9], v[0:1]
	s_cbranch_scc1 .LBB70_28
; %bb.20:
	s_and_b32 s18, 0xffff, s0
	s_delay_alu instid0(SALU_CYCLE_1)
	s_cmp_gt_i32 s18, 25
	s_cbranch_scc0 .LBB70_29
; %bb.21:
	s_cmp_gt_i32 s18, 28
	s_cbranch_scc0 .LBB70_30
; %bb.22:
	;; [unrolled: 3-line block ×4, first 2 shown]
	s_cmp_eq_u32 s18, 46
	s_mov_b32 s22, 0
	s_cbranch_scc0 .LBB70_33
; %bb.25:
	global_load_b32 v0, v[2:3], off
	s_mov_b32 s20, -1
	s_mov_b32 s21, 0
	s_wait_loadcnt 0x0
	v_lshlrev_b32_e32 v0, 16, v0
	s_delay_alu instid0(VALU_DEP_1) | instskip(NEXT) | instid1(VALU_DEP_1)
	v_trunc_f32_e32 v0, v0
	v_mul_f32_e64 v1, 0x2f800000, |v0|
	s_delay_alu instid0(VALU_DEP_1) | instskip(NEXT) | instid1(VALU_DEP_1)
	v_floor_f32_e32 v1, v1
	v_fma_f32 v4, 0xcf800000, v1, |v0|
	v_ashrrev_i32_e32 v0, 31, v0
	v_cvt_u32_f32_e32 v5, v1
	s_delay_alu instid0(VALU_DEP_3) | instskip(NEXT) | instid1(VALU_DEP_2)
	v_cvt_u32_f32_e32 v4, v4
	v_dual_mov_b32 v1, v0 :: v_dual_bitop2_b32 v5, v5, v0 bitop3:0x14
	s_delay_alu instid0(VALU_DEP_2) | instskip(NEXT) | instid1(VALU_DEP_1)
	v_xor_b32_e32 v4, v4, v0
	v_sub_nc_u64_e32 v[0:1], v[4:5], v[0:1]
	s_branch .LBB70_35
.LBB70_26:
	s_mov_b32 s0, 0
	s_mov_b32 s20, 0
	;; [unrolled: 1-line block ×3, first 2 shown]
.LBB70_27:
	s_mov_b32 s25, 0
                                        ; implicit-def: $vgpr18
	s_branch .LBB70_393
.LBB70_28:
	s_mov_b32 s21, 0
	s_mov_b32 s20, 0
                                        ; implicit-def: $vgpr0_vgpr1
	s_cbranch_execnz .LBB70_96
	s_branch .LBB70_144
.LBB70_29:
	s_mov_b32 s22, -1
	s_mov_b32 s21, 0
	s_mov_b32 s20, 0
                                        ; implicit-def: $vgpr0_vgpr1
	s_branch .LBB70_62
.LBB70_30:
	s_mov_b32 s22, -1
	s_mov_b32 s21, 0
	s_mov_b32 s20, 0
                                        ; implicit-def: $vgpr0_vgpr1
	s_branch .LBB70_45
.LBB70_31:
	s_mov_b32 s22, -1
	s_mov_b32 s21, 0
	s_mov_b32 s20, 0
                                        ; implicit-def: $vgpr0_vgpr1
	s_branch .LBB70_40
.LBB70_32:
	s_mov_b32 s22, -1
	s_mov_b32 s21, 0
	s_branch .LBB70_34
.LBB70_33:
	s_mov_b32 s21, -1
.LBB70_34:
	s_mov_b32 s20, 0
                                        ; implicit-def: $vgpr0_vgpr1
.LBB70_35:
	s_and_b32 vcc_lo, exec_lo, s22
	s_cbranch_vccz .LBB70_39
; %bb.36:
	s_cmp_eq_u32 s18, 44
	s_cbranch_scc0 .LBB70_38
; %bb.37:
	global_load_u8 v6, v[2:3], off
	s_mov_b32 s21, 0
	s_mov_b32 s20, -1
	s_wait_loadcnt 0x0
	v_cmp_ne_u32_e32 vcc_lo, 0, v6
	v_lshlrev_b32_e32 v0, 23, v6
	s_delay_alu instid0(VALU_DEP_1) | instskip(NEXT) | instid1(VALU_DEP_1)
	v_trunc_f32_e32 v0, v0
	v_mul_f32_e64 v1, 0x2f800000, |v0|
	s_delay_alu instid0(VALU_DEP_1) | instskip(NEXT) | instid1(VALU_DEP_1)
	v_floor_f32_e32 v1, v1
	v_fma_f32 v4, 0xcf800000, v1, |v0|
	v_ashrrev_i32_e32 v0, 31, v0
	v_cvt_u32_f32_e32 v5, v1
	s_delay_alu instid0(VALU_DEP_3) | instskip(NEXT) | instid1(VALU_DEP_2)
	v_cvt_u32_f32_e32 v4, v4
	v_dual_mov_b32 v1, v0 :: v_dual_bitop2_b32 v5, v5, v0 bitop3:0x14
	s_delay_alu instid0(VALU_DEP_2) | instskip(NEXT) | instid1(VALU_DEP_1)
	v_xor_b32_e32 v4, v4, v0
	v_sub_nc_u64_e32 v[0:1], v[4:5], v[0:1]
	s_delay_alu instid0(VALU_DEP_1)
	v_dual_cndmask_b32 v1, 0, v1 :: v_dual_cndmask_b32 v0, 0, v0
	s_branch .LBB70_39
.LBB70_38:
	s_mov_b32 s21, -1
                                        ; implicit-def: $vgpr0_vgpr1
.LBB70_39:
	s_mov_b32 s22, 0
.LBB70_40:
	s_delay_alu instid0(SALU_CYCLE_1)
	s_and_b32 vcc_lo, exec_lo, s22
	s_cbranch_vccz .LBB70_44
; %bb.41:
	s_cmp_eq_u32 s18, 29
	s_cbranch_scc0 .LBB70_43
; %bb.42:
	global_load_b64 v[0:1], v[2:3], off
	s_mov_b32 s20, -1
	s_mov_b32 s21, 0
	s_branch .LBB70_44
.LBB70_43:
	s_mov_b32 s21, -1
                                        ; implicit-def: $vgpr0_vgpr1
.LBB70_44:
	s_mov_b32 s22, 0
.LBB70_45:
	s_delay_alu instid0(SALU_CYCLE_1)
	s_and_b32 vcc_lo, exec_lo, s22
	s_cbranch_vccz .LBB70_61
; %bb.46:
	s_cmp_lt_i32 s18, 27
	s_cbranch_scc1 .LBB70_49
; %bb.47:
	s_cmp_gt_i32 s18, 27
	s_cbranch_scc0 .LBB70_50
; %bb.48:
	s_wait_loadcnt 0x0
	global_load_b32 v0, v[2:3], off
	v_mov_b32_e32 v1, 0
	s_mov_b32 s20, 0
	s_branch .LBB70_51
.LBB70_49:
	s_mov_b32 s20, -1
                                        ; implicit-def: $vgpr0_vgpr1
	s_branch .LBB70_54
.LBB70_50:
	s_mov_b32 s20, -1
                                        ; implicit-def: $vgpr0_vgpr1
.LBB70_51:
	s_delay_alu instid0(SALU_CYCLE_1)
	s_and_not1_b32 vcc_lo, exec_lo, s20
	s_cbranch_vccnz .LBB70_53
; %bb.52:
	s_wait_loadcnt 0x0
	global_load_u16 v0, v[2:3], off
	s_mov_b32 s20, 0
	s_delay_alu instid0(SALU_CYCLE_1)
	v_mov_b32_e32 v1, s20
	s_wait_loadcnt 0x0
	v_and_b32_e32 v0, 0xffff, v0
.LBB70_53:
	s_mov_b32 s20, 0
.LBB70_54:
	s_delay_alu instid0(SALU_CYCLE_1)
	s_and_not1_b32 vcc_lo, exec_lo, s20
	s_cbranch_vccnz .LBB70_60
; %bb.55:
	global_load_u8 v4, v[2:3], off
	s_mov_b32 s22, 0
	s_mov_b32 s20, exec_lo
	s_wait_loadcnt 0x0
	v_cmpx_lt_i16_e32 0x7f, v4
	s_xor_b32 s20, exec_lo, s20
	s_cbranch_execz .LBB70_72
; %bb.56:
	v_cmp_ne_u16_e32 vcc_lo, 0x80, v4
	s_and_b32 s22, vcc_lo, exec_lo
	s_and_not1_saveexec_b32 s20, s20
	s_cbranch_execnz .LBB70_73
.LBB70_57:
	s_or_b32 exec_lo, exec_lo, s20
	v_mov_b64_e32 v[0:1], 0
	s_and_saveexec_b32 s20, s22
	s_cbranch_execz .LBB70_59
.LBB70_58:
	v_and_b32_e32 v0, 0xffff, v4
	s_delay_alu instid0(VALU_DEP_1) | instskip(SKIP_1) | instid1(VALU_DEP_2)
	v_and_b32_e32 v1, 7, v0
	v_bfe_u32 v7, v0, 3, 4
	v_clz_i32_u32_e32 v5, v1
	s_delay_alu instid0(VALU_DEP_2) | instskip(NEXT) | instid1(VALU_DEP_2)
	v_cmp_eq_u32_e32 vcc_lo, 0, v7
	v_min_u32_e32 v5, 32, v5
	s_delay_alu instid0(VALU_DEP_1) | instskip(NEXT) | instid1(VALU_DEP_1)
	v_subrev_nc_u32_e32 v6, 28, v5
	v_dual_lshlrev_b32 v0, v6, v0 :: v_dual_sub_nc_u32 v5, 29, v5
	s_delay_alu instid0(VALU_DEP_1) | instskip(NEXT) | instid1(VALU_DEP_2)
	v_and_b32_e32 v0, 7, v0
	v_dual_cndmask_b32 v5, v7, v5 :: v_dual_lshlrev_b32 v4, 24, v4
	s_delay_alu instid0(VALU_DEP_2) | instskip(NEXT) | instid1(VALU_DEP_2)
	v_cndmask_b32_e32 v0, v1, v0, vcc_lo
	v_and_b32_e32 v1, 0x80000000, v4
	s_delay_alu instid0(VALU_DEP_3) | instskip(NEXT) | instid1(VALU_DEP_3)
	v_lshl_add_u32 v4, v5, 23, 0x3b800000
	v_lshlrev_b32_e32 v0, 20, v0
	s_delay_alu instid0(VALU_DEP_1) | instskip(NEXT) | instid1(VALU_DEP_1)
	v_or3_b32 v0, v1, v4, v0
	v_trunc_f32_e32 v0, v0
	s_delay_alu instid0(VALU_DEP_1) | instskip(NEXT) | instid1(VALU_DEP_1)
	v_mul_f32_e64 v1, 0x2f800000, |v0|
	v_floor_f32_e32 v1, v1
	s_delay_alu instid0(VALU_DEP_1) | instskip(SKIP_2) | instid1(VALU_DEP_3)
	v_fma_f32 v4, 0xcf800000, v1, |v0|
	v_ashrrev_i32_e32 v0, 31, v0
	v_cvt_u32_f32_e32 v5, v1
	v_cvt_u32_f32_e32 v4, v4
	s_delay_alu instid0(VALU_DEP_2) | instskip(NEXT) | instid1(VALU_DEP_2)
	v_dual_mov_b32 v1, v0 :: v_dual_bitop2_b32 v5, v5, v0 bitop3:0x14
	v_xor_b32_e32 v4, v4, v0
	s_delay_alu instid0(VALU_DEP_1)
	v_sub_nc_u64_e32 v[0:1], v[4:5], v[0:1]
.LBB70_59:
	s_or_b32 exec_lo, exec_lo, s20
.LBB70_60:
	s_mov_b32 s20, -1
.LBB70_61:
	s_mov_b32 s22, 0
.LBB70_62:
	s_delay_alu instid0(SALU_CYCLE_1)
	s_and_b32 vcc_lo, exec_lo, s22
	s_cbranch_vccz .LBB70_95
; %bb.63:
	s_cmp_gt_i32 s18, 22
	s_cbranch_scc0 .LBB70_71
; %bb.64:
	s_cmp_lt_i32 s18, 24
	s_cbranch_scc1 .LBB70_74
; %bb.65:
	s_cmp_gt_i32 s18, 24
	s_cbranch_scc0 .LBB70_75
; %bb.66:
	global_load_u8 v4, v[2:3], off
	s_mov_b32 s22, 0
	s_mov_b32 s20, exec_lo
	s_wait_loadcnt 0x0
	v_cmpx_lt_i16_e32 0x7f, v4
	s_xor_b32 s20, exec_lo, s20
	s_cbranch_execz .LBB70_87
; %bb.67:
	v_cmp_ne_u16_e32 vcc_lo, 0x80, v4
	s_and_b32 s22, vcc_lo, exec_lo
	s_and_not1_saveexec_b32 s20, s20
	s_cbranch_execnz .LBB70_88
.LBB70_68:
	s_or_b32 exec_lo, exec_lo, s20
	v_mov_b64_e32 v[0:1], 0
	s_and_saveexec_b32 s20, s22
	s_cbranch_execz .LBB70_70
.LBB70_69:
	v_and_b32_e32 v0, 0xffff, v4
	s_delay_alu instid0(VALU_DEP_1) | instskip(SKIP_1) | instid1(VALU_DEP_2)
	v_and_b32_e32 v1, 3, v0
	v_bfe_u32 v7, v0, 2, 5
	v_clz_i32_u32_e32 v5, v1
	s_delay_alu instid0(VALU_DEP_2) | instskip(NEXT) | instid1(VALU_DEP_2)
	v_cmp_eq_u32_e32 vcc_lo, 0, v7
	v_min_u32_e32 v5, 32, v5
	s_delay_alu instid0(VALU_DEP_1) | instskip(NEXT) | instid1(VALU_DEP_1)
	v_subrev_nc_u32_e32 v6, 29, v5
	v_dual_lshlrev_b32 v0, v6, v0 :: v_dual_sub_nc_u32 v5, 30, v5
	s_delay_alu instid0(VALU_DEP_1) | instskip(NEXT) | instid1(VALU_DEP_2)
	v_and_b32_e32 v0, 3, v0
	v_dual_cndmask_b32 v5, v7, v5 :: v_dual_lshlrev_b32 v4, 24, v4
	s_delay_alu instid0(VALU_DEP_2) | instskip(NEXT) | instid1(VALU_DEP_2)
	v_cndmask_b32_e32 v0, v1, v0, vcc_lo
	v_and_b32_e32 v1, 0x80000000, v4
	s_delay_alu instid0(VALU_DEP_3) | instskip(NEXT) | instid1(VALU_DEP_3)
	v_lshl_add_u32 v4, v5, 23, 0x37800000
	v_lshlrev_b32_e32 v0, 21, v0
	s_delay_alu instid0(VALU_DEP_1) | instskip(NEXT) | instid1(VALU_DEP_1)
	v_or3_b32 v0, v1, v4, v0
	v_trunc_f32_e32 v0, v0
	s_delay_alu instid0(VALU_DEP_1) | instskip(NEXT) | instid1(VALU_DEP_1)
	v_mul_f32_e64 v1, 0x2f800000, |v0|
	v_floor_f32_e32 v1, v1
	s_delay_alu instid0(VALU_DEP_1) | instskip(SKIP_2) | instid1(VALU_DEP_3)
	v_fma_f32 v4, 0xcf800000, v1, |v0|
	v_ashrrev_i32_e32 v0, 31, v0
	v_cvt_u32_f32_e32 v5, v1
	v_cvt_u32_f32_e32 v4, v4
	s_delay_alu instid0(VALU_DEP_2) | instskip(NEXT) | instid1(VALU_DEP_2)
	v_dual_mov_b32 v1, v0 :: v_dual_bitop2_b32 v5, v5, v0 bitop3:0x14
	v_xor_b32_e32 v4, v4, v0
	s_delay_alu instid0(VALU_DEP_1)
	v_sub_nc_u64_e32 v[0:1], v[4:5], v[0:1]
.LBB70_70:
	s_or_b32 exec_lo, exec_lo, s20
	s_mov_b32 s20, 0
	s_branch .LBB70_76
.LBB70_71:
	s_mov_b32 s22, -1
                                        ; implicit-def: $vgpr0_vgpr1
	s_branch .LBB70_82
.LBB70_72:
	s_and_not1_saveexec_b32 s20, s20
	s_cbranch_execz .LBB70_57
.LBB70_73:
	v_cmp_ne_u16_e32 vcc_lo, 0, v4
	s_and_not1_b32 s22, s22, exec_lo
	s_and_b32 s25, vcc_lo, exec_lo
	s_delay_alu instid0(SALU_CYCLE_1)
	s_or_b32 s22, s22, s25
	s_or_b32 exec_lo, exec_lo, s20
	v_mov_b64_e32 v[0:1], 0
	s_and_saveexec_b32 s20, s22
	s_cbranch_execnz .LBB70_58
	s_branch .LBB70_59
.LBB70_74:
	s_mov_b32 s20, -1
                                        ; implicit-def: $vgpr0_vgpr1
	s_branch .LBB70_79
.LBB70_75:
	s_mov_b32 s20, -1
                                        ; implicit-def: $vgpr0_vgpr1
.LBB70_76:
	s_delay_alu instid0(SALU_CYCLE_1)
	s_and_b32 vcc_lo, exec_lo, s20
	s_cbranch_vccz .LBB70_78
; %bb.77:
	s_wait_loadcnt 0x0
	global_load_u8 v0, v[2:3], off
	s_wait_loadcnt 0x0
	v_lshlrev_b32_e32 v0, 24, v0
	s_delay_alu instid0(VALU_DEP_1) | instskip(NEXT) | instid1(VALU_DEP_1)
	v_and_b32_e32 v1, 0x7f000000, v0
	v_clz_i32_u32_e32 v4, v1
	v_cmp_ne_u32_e32 vcc_lo, 0, v1
	v_add_nc_u32_e32 v6, 0x1000000, v1
	s_delay_alu instid0(VALU_DEP_3) | instskip(NEXT) | instid1(VALU_DEP_1)
	v_min_u32_e32 v4, 32, v4
	v_sub_nc_u32_e64 v4, v4, 4 clamp
	s_delay_alu instid0(VALU_DEP_1) | instskip(NEXT) | instid1(VALU_DEP_1)
	v_dual_lshlrev_b32 v5, v4, v1 :: v_dual_lshlrev_b32 v4, 23, v4
	v_lshrrev_b32_e32 v5, 4, v5
	s_delay_alu instid0(VALU_DEP_1) | instskip(NEXT) | instid1(VALU_DEP_1)
	v_dual_sub_nc_u32 v4, v5, v4 :: v_dual_ashrrev_i32 v5, 8, v6
	v_add_nc_u32_e32 v4, 0x3c000000, v4
	s_delay_alu instid0(VALU_DEP_1) | instskip(NEXT) | instid1(VALU_DEP_1)
	v_and_or_b32 v4, 0x7f800000, v5, v4
	v_cndmask_b32_e32 v1, 0, v4, vcc_lo
	s_delay_alu instid0(VALU_DEP_1) | instskip(NEXT) | instid1(VALU_DEP_1)
	v_and_or_b32 v0, 0x80000000, v0, v1
	v_trunc_f32_e32 v0, v0
	s_delay_alu instid0(VALU_DEP_1) | instskip(NEXT) | instid1(VALU_DEP_1)
	v_mul_f32_e64 v1, 0x2f800000, |v0|
	v_floor_f32_e32 v1, v1
	s_delay_alu instid0(VALU_DEP_1) | instskip(SKIP_2) | instid1(VALU_DEP_3)
	v_fma_f32 v4, 0xcf800000, v1, |v0|
	v_ashrrev_i32_e32 v0, 31, v0
	v_cvt_u32_f32_e32 v5, v1
	v_cvt_u32_f32_e32 v4, v4
	s_delay_alu instid0(VALU_DEP_2) | instskip(NEXT) | instid1(VALU_DEP_2)
	v_dual_mov_b32 v1, v0 :: v_dual_bitop2_b32 v5, v5, v0 bitop3:0x14
	v_xor_b32_e32 v4, v4, v0
	s_delay_alu instid0(VALU_DEP_1)
	v_sub_nc_u64_e32 v[0:1], v[4:5], v[0:1]
.LBB70_78:
	s_mov_b32 s20, 0
.LBB70_79:
	s_delay_alu instid0(SALU_CYCLE_1)
	s_and_not1_b32 vcc_lo, exec_lo, s20
	s_cbranch_vccnz .LBB70_81
; %bb.80:
	s_wait_loadcnt 0x0
	global_load_u8 v0, v[2:3], off
	s_wait_loadcnt 0x0
	v_lshlrev_b32_e32 v1, 25, v0
	v_lshlrev_b16 v0, 8, v0
	s_delay_alu instid0(VALU_DEP_1) | instskip(SKIP_1) | instid1(VALU_DEP_2)
	v_and_or_b32 v5, 0x7f00, v0, 0.5
	v_bfe_i32 v0, v0, 0, 16
	v_add_f32_e32 v5, -0.5, v5
	v_lshrrev_b32_e32 v4, 4, v1
	v_cmp_gt_u32_e32 vcc_lo, 0x8000000, v1
	s_delay_alu instid0(VALU_DEP_2) | instskip(NEXT) | instid1(VALU_DEP_1)
	v_or_b32_e32 v4, 0x70000000, v4
	v_mul_f32_e32 v4, 0x7800000, v4
	s_delay_alu instid0(VALU_DEP_1) | instskip(NEXT) | instid1(VALU_DEP_1)
	v_cndmask_b32_e32 v1, v4, v5, vcc_lo
	v_and_or_b32 v0, 0x80000000, v0, v1
	s_delay_alu instid0(VALU_DEP_1) | instskip(NEXT) | instid1(VALU_DEP_1)
	v_trunc_f32_e32 v0, v0
	v_mul_f32_e64 v1, 0x2f800000, |v0|
	s_delay_alu instid0(VALU_DEP_1) | instskip(NEXT) | instid1(VALU_DEP_1)
	v_floor_f32_e32 v1, v1
	v_fma_f32 v4, 0xcf800000, v1, |v0|
	v_ashrrev_i32_e32 v0, 31, v0
	v_cvt_u32_f32_e32 v5, v1
	s_delay_alu instid0(VALU_DEP_3) | instskip(NEXT) | instid1(VALU_DEP_2)
	v_cvt_u32_f32_e32 v4, v4
	v_dual_mov_b32 v1, v0 :: v_dual_bitop2_b32 v5, v5, v0 bitop3:0x14
	s_delay_alu instid0(VALU_DEP_2) | instskip(NEXT) | instid1(VALU_DEP_1)
	v_xor_b32_e32 v4, v4, v0
	v_sub_nc_u64_e32 v[0:1], v[4:5], v[0:1]
.LBB70_81:
	s_mov_b32 s22, 0
	s_mov_b32 s20, -1
.LBB70_82:
	s_and_not1_b32 vcc_lo, exec_lo, s22
	s_cbranch_vccnz .LBB70_95
; %bb.83:
	s_cmp_gt_i32 s18, 14
	s_cbranch_scc0 .LBB70_86
; %bb.84:
	s_cmp_eq_u32 s18, 15
	s_cbranch_scc0 .LBB70_89
; %bb.85:
	s_wait_loadcnt 0x0
	global_load_u16 v0, v[2:3], off
	s_mov_b32 s20, -1
	s_mov_b32 s21, 0
	s_wait_loadcnt 0x0
	v_lshlrev_b32_e32 v0, 16, v0
	s_delay_alu instid0(VALU_DEP_1) | instskip(NEXT) | instid1(VALU_DEP_1)
	v_trunc_f32_e32 v0, v0
	v_mul_f32_e64 v1, 0x2f800000, |v0|
	s_delay_alu instid0(VALU_DEP_1) | instskip(NEXT) | instid1(VALU_DEP_1)
	v_floor_f32_e32 v1, v1
	v_fma_f32 v4, 0xcf800000, v1, |v0|
	v_ashrrev_i32_e32 v0, 31, v0
	v_cvt_u32_f32_e32 v5, v1
	s_delay_alu instid0(VALU_DEP_3) | instskip(NEXT) | instid1(VALU_DEP_2)
	v_cvt_u32_f32_e32 v4, v4
	v_dual_mov_b32 v1, v0 :: v_dual_bitop2_b32 v5, v5, v0 bitop3:0x14
	s_delay_alu instid0(VALU_DEP_2) | instskip(NEXT) | instid1(VALU_DEP_1)
	v_xor_b32_e32 v4, v4, v0
	v_sub_nc_u64_e32 v[0:1], v[4:5], v[0:1]
	s_branch .LBB70_90
.LBB70_86:
	s_mov_b32 s22, -1
                                        ; implicit-def: $vgpr0_vgpr1
	s_branch .LBB70_91
.LBB70_87:
	s_and_not1_saveexec_b32 s20, s20
	s_cbranch_execz .LBB70_68
.LBB70_88:
	v_cmp_ne_u16_e32 vcc_lo, 0, v4
	s_and_not1_b32 s22, s22, exec_lo
	s_and_b32 s25, vcc_lo, exec_lo
	s_delay_alu instid0(SALU_CYCLE_1)
	s_or_b32 s22, s22, s25
	s_or_b32 exec_lo, exec_lo, s20
	v_mov_b64_e32 v[0:1], 0
	s_and_saveexec_b32 s20, s22
	s_cbranch_execnz .LBB70_69
	s_branch .LBB70_70
.LBB70_89:
	s_mov_b32 s21, -1
                                        ; implicit-def: $vgpr0_vgpr1
.LBB70_90:
	s_mov_b32 s22, 0
.LBB70_91:
	s_delay_alu instid0(SALU_CYCLE_1)
	s_and_b32 vcc_lo, exec_lo, s22
	s_cbranch_vccz .LBB70_95
; %bb.92:
	s_cmp_eq_u32 s18, 11
	s_cbranch_scc0 .LBB70_94
; %bb.93:
	s_wait_loadcnt 0x0
	global_load_u8 v0, v[2:3], off
	s_mov_b32 s21, 0
	s_mov_b32 s20, -1
	v_mov_b32_e32 v1, s21
	s_wait_loadcnt 0x0
	v_cmp_ne_u16_e32 vcc_lo, 0, v0
	v_cndmask_b32_e64 v0, 0, 1, vcc_lo
	s_branch .LBB70_95
.LBB70_94:
	s_mov_b32 s21, -1
                                        ; implicit-def: $vgpr0_vgpr1
.LBB70_95:
	s_branch .LBB70_144
.LBB70_96:
	s_and_b32 s0, 0xffff, s0
	s_delay_alu instid0(SALU_CYCLE_1)
	s_cmp_lt_i32 s0, 5
	s_cbranch_scc1 .LBB70_101
; %bb.97:
	s_cmp_lt_i32 s0, 8
	s_cbranch_scc1 .LBB70_102
; %bb.98:
	;; [unrolled: 3-line block ×3, first 2 shown]
	s_cmp_gt_i32 s0, 9
	s_cbranch_scc0 .LBB70_104
; %bb.100:
	s_wait_loadcnt 0x0
	global_load_b64 v[0:1], v[2:3], off
	s_mov_b32 s18, 0
	s_wait_loadcnt 0x0
	v_trunc_f64_e32 v[0:1], v[0:1]
	s_delay_alu instid0(VALU_DEP_1) | instskip(NEXT) | instid1(VALU_DEP_1)
	v_ldexp_f64 v[4:5], v[0:1], 0xffffffe0
	v_floor_f64_e32 v[4:5], v[4:5]
	s_delay_alu instid0(VALU_DEP_1) | instskip(SKIP_1) | instid1(VALU_DEP_2)
	v_fmamk_f64 v[6:7], v[4:5], 0xc1f00000, v[0:1]
	v_cvt_i32_f64_e32 v1, v[4:5]
	v_cvt_u32_f64_e32 v0, v[6:7]
	s_branch .LBB70_105
.LBB70_101:
	s_mov_b32 s18, -1
                                        ; implicit-def: $vgpr0_vgpr1
	s_branch .LBB70_123
.LBB70_102:
	s_mov_b32 s18, -1
                                        ; implicit-def: $vgpr0_vgpr1
	s_branch .LBB70_111
.LBB70_103:
	s_mov_b32 s18, -1
                                        ; implicit-def: $vgpr0_vgpr1
	s_branch .LBB70_108
.LBB70_104:
	s_mov_b32 s18, -1
                                        ; implicit-def: $vgpr0_vgpr1
.LBB70_105:
	s_delay_alu instid0(SALU_CYCLE_1)
	s_and_not1_b32 vcc_lo, exec_lo, s18
	s_cbranch_vccnz .LBB70_107
; %bb.106:
	s_wait_loadcnt 0x0
	global_load_b32 v0, v[2:3], off
	s_wait_loadcnt 0x0
	v_trunc_f32_e32 v0, v0
	s_delay_alu instid0(VALU_DEP_1) | instskip(NEXT) | instid1(VALU_DEP_1)
	v_mul_f32_e64 v1, 0x2f800000, |v0|
	v_floor_f32_e32 v1, v1
	s_delay_alu instid0(VALU_DEP_1) | instskip(SKIP_2) | instid1(VALU_DEP_3)
	v_fma_f32 v4, 0xcf800000, v1, |v0|
	v_ashrrev_i32_e32 v0, 31, v0
	v_cvt_u32_f32_e32 v5, v1
	v_cvt_u32_f32_e32 v4, v4
	s_delay_alu instid0(VALU_DEP_2) | instskip(NEXT) | instid1(VALU_DEP_2)
	v_dual_mov_b32 v1, v0 :: v_dual_bitop2_b32 v5, v5, v0 bitop3:0x14
	v_xor_b32_e32 v4, v4, v0
	s_delay_alu instid0(VALU_DEP_1)
	v_sub_nc_u64_e32 v[0:1], v[4:5], v[0:1]
.LBB70_107:
	s_mov_b32 s18, 0
.LBB70_108:
	s_delay_alu instid0(SALU_CYCLE_1)
	s_and_not1_b32 vcc_lo, exec_lo, s18
	s_cbranch_vccnz .LBB70_110
; %bb.109:
	s_wait_loadcnt 0x0
	global_load_b32 v0, v[2:3], off
	s_wait_loadcnt 0x0
	v_cvt_f32_f16_e32 v0, v0
	s_delay_alu instid0(VALU_DEP_1) | instskip(NEXT) | instid1(VALU_DEP_1)
	v_cvt_i32_f32_e32 v0, v0
	v_ashrrev_i32_e32 v1, 31, v0
.LBB70_110:
	s_mov_b32 s18, 0
.LBB70_111:
	s_delay_alu instid0(SALU_CYCLE_1)
	s_and_not1_b32 vcc_lo, exec_lo, s18
	s_cbranch_vccnz .LBB70_122
; %bb.112:
	s_cmp_lt_i32 s0, 6
	s_cbranch_scc1 .LBB70_115
; %bb.113:
	s_cmp_gt_i32 s0, 6
	s_cbranch_scc0 .LBB70_116
; %bb.114:
	s_wait_loadcnt 0x0
	global_load_b64 v[0:1], v[2:3], off
	s_mov_b32 s18, 0
	s_wait_loadcnt 0x0
	v_trunc_f64_e32 v[0:1], v[0:1]
	s_delay_alu instid0(VALU_DEP_1) | instskip(NEXT) | instid1(VALU_DEP_1)
	v_ldexp_f64 v[4:5], v[0:1], 0xffffffe0
	v_floor_f64_e32 v[4:5], v[4:5]
	s_delay_alu instid0(VALU_DEP_1) | instskip(SKIP_1) | instid1(VALU_DEP_2)
	v_fmamk_f64 v[6:7], v[4:5], 0xc1f00000, v[0:1]
	v_cvt_i32_f64_e32 v1, v[4:5]
	v_cvt_u32_f64_e32 v0, v[6:7]
	s_branch .LBB70_117
.LBB70_115:
	s_mov_b32 s18, -1
                                        ; implicit-def: $vgpr0_vgpr1
	s_branch .LBB70_120
.LBB70_116:
	s_mov_b32 s18, -1
                                        ; implicit-def: $vgpr0_vgpr1
.LBB70_117:
	s_delay_alu instid0(SALU_CYCLE_1)
	s_and_not1_b32 vcc_lo, exec_lo, s18
	s_cbranch_vccnz .LBB70_119
; %bb.118:
	s_wait_loadcnt 0x0
	global_load_b32 v0, v[2:3], off
	s_wait_loadcnt 0x0
	v_trunc_f32_e32 v0, v0
	s_delay_alu instid0(VALU_DEP_1) | instskip(NEXT) | instid1(VALU_DEP_1)
	v_mul_f32_e64 v1, 0x2f800000, |v0|
	v_floor_f32_e32 v1, v1
	s_delay_alu instid0(VALU_DEP_1) | instskip(SKIP_2) | instid1(VALU_DEP_3)
	v_fma_f32 v4, 0xcf800000, v1, |v0|
	v_ashrrev_i32_e32 v0, 31, v0
	v_cvt_u32_f32_e32 v5, v1
	v_cvt_u32_f32_e32 v4, v4
	s_delay_alu instid0(VALU_DEP_2) | instskip(NEXT) | instid1(VALU_DEP_2)
	v_dual_mov_b32 v1, v0 :: v_dual_bitop2_b32 v5, v5, v0 bitop3:0x14
	v_xor_b32_e32 v4, v4, v0
	s_delay_alu instid0(VALU_DEP_1)
	v_sub_nc_u64_e32 v[0:1], v[4:5], v[0:1]
.LBB70_119:
	s_mov_b32 s18, 0
.LBB70_120:
	s_delay_alu instid0(SALU_CYCLE_1)
	s_and_not1_b32 vcc_lo, exec_lo, s18
	s_cbranch_vccnz .LBB70_122
; %bb.121:
	s_wait_loadcnt 0x0
	global_load_u16 v0, v[2:3], off
	s_wait_loadcnt 0x0
	v_cvt_f32_f16_e32 v0, v0
	s_delay_alu instid0(VALU_DEP_1) | instskip(NEXT) | instid1(VALU_DEP_1)
	v_cvt_i32_f32_e32 v0, v0
	v_ashrrev_i32_e32 v1, 31, v0
.LBB70_122:
	s_mov_b32 s18, 0
.LBB70_123:
	s_delay_alu instid0(SALU_CYCLE_1)
	s_and_not1_b32 vcc_lo, exec_lo, s18
	s_cbranch_vccnz .LBB70_143
; %bb.124:
	s_cmp_lt_i32 s0, 2
	s_cbranch_scc1 .LBB70_128
; %bb.125:
	s_cmp_lt_i32 s0, 3
	s_cbranch_scc1 .LBB70_129
; %bb.126:
	s_cmp_gt_i32 s0, 3
	s_cbranch_scc0 .LBB70_130
; %bb.127:
	s_wait_loadcnt 0x0
	global_load_b64 v[0:1], v[2:3], off
	s_mov_b32 s18, 0
	s_branch .LBB70_131
.LBB70_128:
	s_mov_b32 s18, -1
                                        ; implicit-def: $vgpr0_vgpr1
	s_branch .LBB70_137
.LBB70_129:
	s_mov_b32 s18, -1
                                        ; implicit-def: $vgpr0_vgpr1
	s_branch .LBB70_134
.LBB70_130:
	s_mov_b32 s18, -1
                                        ; implicit-def: $vgpr0_vgpr1
.LBB70_131:
	s_delay_alu instid0(SALU_CYCLE_1)
	s_and_not1_b32 vcc_lo, exec_lo, s18
	s_cbranch_vccnz .LBB70_133
; %bb.132:
	s_wait_loadcnt 0x0
	global_load_b32 v0, v[2:3], off
	s_wait_loadcnt 0x0
	v_ashrrev_i32_e32 v1, 31, v0
.LBB70_133:
	s_mov_b32 s18, 0
.LBB70_134:
	s_delay_alu instid0(SALU_CYCLE_1)
	s_and_not1_b32 vcc_lo, exec_lo, s18
	s_cbranch_vccnz .LBB70_136
; %bb.135:
	s_wait_loadcnt 0x0
	global_load_u16 v0, v[2:3], off
	s_wait_loadcnt 0x0
	v_bfe_i32 v0, v0, 0, 16
	s_delay_alu instid0(VALU_DEP_1)
	v_ashrrev_i32_e32 v1, 31, v0
.LBB70_136:
	s_mov_b32 s18, 0
.LBB70_137:
	s_delay_alu instid0(SALU_CYCLE_1)
	s_and_not1_b32 vcc_lo, exec_lo, s18
	s_cbranch_vccnz .LBB70_143
; %bb.138:
	s_cmp_gt_i32 s0, 0
	s_mov_b32 s0, 0
	s_cbranch_scc0 .LBB70_140
; %bb.139:
	s_wait_loadcnt 0x0
	global_load_i8 v0, v[2:3], off
	s_wait_loadcnt 0x0
	v_bfe_i32 v0, v0, 0, 16
	s_delay_alu instid0(VALU_DEP_1)
	v_ashrrev_i32_e32 v1, 31, v0
	s_branch .LBB70_141
.LBB70_140:
	s_mov_b32 s0, -1
                                        ; implicit-def: $vgpr0_vgpr1
.LBB70_141:
	s_delay_alu instid0(SALU_CYCLE_1)
	s_and_not1_b32 vcc_lo, exec_lo, s0
	s_cbranch_vccnz .LBB70_143
; %bb.142:
	s_wait_loadcnt 0x0
	global_load_u8 v0, v[2:3], off
	s_mov_b32 s0, 0
	s_delay_alu instid0(SALU_CYCLE_1)
	v_mov_b32_e32 v1, s0
	s_wait_loadcnt 0x0
	v_and_b32_e32 v0, 0xffff, v0
.LBB70_143:
	s_mov_b32 s20, -1
.LBB70_144:
	s_mov_b32 s22, 0
	s_mov_b32 s0, 0
	s_and_not1_b32 vcc_lo, exec_lo, s20
	s_mov_b32 s20, 0
	s_mov_b32 s25, 0
	s_cbranch_vccnz .LBB70_393
; %bb.145:
	s_wait_xcnt 0x0
	v_mul_lo_u32 v2, v18, s5
	s_and_b32 s0, 0xffff, s1
	s_delay_alu instid0(SALU_CYCLE_1) | instskip(NEXT) | instid1(VALU_DEP_1)
	s_cmp_lt_i32 s0, 11
	v_ashrrev_i32_e32 v3, 31, v2
	s_delay_alu instid0(VALU_DEP_1)
	v_add_nc_u64_e32 v[2:3], s[10:11], v[2:3]
	s_cbranch_scc1 .LBB70_152
; %bb.146:
	s_cmp_gt_i32 s0, 25
	s_cbranch_scc0 .LBB70_153
; %bb.147:
	s_cmp_gt_i32 s0, 28
	s_cbranch_scc0 .LBB70_154
	;; [unrolled: 3-line block ×4, first 2 shown]
; %bb.150:
	s_cmp_eq_u32 s0, 46
	s_cbranch_scc0 .LBB70_157
; %bb.151:
	global_load_b32 v4, v[2:3], off
	s_mov_b32 s18, -1
	s_wait_loadcnt 0x0
	v_lshlrev_b32_e32 v4, 16, v4
	s_delay_alu instid0(VALU_DEP_1) | instskip(NEXT) | instid1(VALU_DEP_1)
	v_trunc_f32_e32 v4, v4
	v_mul_f32_e64 v5, 0x2f800000, |v4|
	s_delay_alu instid0(VALU_DEP_1) | instskip(NEXT) | instid1(VALU_DEP_1)
	v_floor_f32_e32 v5, v5
	v_fma_f32 v6, 0xcf800000, v5, |v4|
	v_ashrrev_i32_e32 v4, 31, v4
	v_cvt_u32_f32_e32 v7, v5
	s_delay_alu instid0(VALU_DEP_3) | instskip(NEXT) | instid1(VALU_DEP_2)
	v_cvt_u32_f32_e32 v6, v6
	v_dual_mov_b32 v5, v4 :: v_dual_bitop2_b32 v7, v7, v4 bitop3:0x14
	s_delay_alu instid0(VALU_DEP_2) | instskip(NEXT) | instid1(VALU_DEP_1)
	v_xor_b32_e32 v6, v6, v4
	v_sub_nc_u64_e32 v[4:5], v[6:7], v[4:5]
	s_branch .LBB70_159
.LBB70_152:
	s_mov_b32 s25, -1
	s_mov_b32 s18, 0
                                        ; implicit-def: $vgpr4_vgpr5
	s_branch .LBB70_220
.LBB70_153:
	s_mov_b32 s25, -1
	s_mov_b32 s18, 0
                                        ; implicit-def: $vgpr4_vgpr5
	s_branch .LBB70_186
.LBB70_154:
	s_mov_b32 s25, -1
	s_mov_b32 s18, 0
                                        ; implicit-def: $vgpr4_vgpr5
	s_branch .LBB70_169
.LBB70_155:
	s_mov_b32 s25, -1
	s_mov_b32 s18, 0
                                        ; implicit-def: $vgpr4_vgpr5
	s_branch .LBB70_164
.LBB70_156:
	s_mov_b32 s25, -1
	s_branch .LBB70_158
.LBB70_157:
	s_mov_b32 s20, -1
.LBB70_158:
	s_mov_b32 s18, 0
                                        ; implicit-def: $vgpr4_vgpr5
.LBB70_159:
	s_and_b32 vcc_lo, exec_lo, s25
	s_cbranch_vccz .LBB70_163
; %bb.160:
	s_cmp_eq_u32 s0, 44
	s_cbranch_scc0 .LBB70_162
; %bb.161:
	global_load_u8 v8, v[2:3], off
	s_mov_b32 s20, 0
	s_mov_b32 s18, -1
	s_wait_loadcnt 0x0
	v_cmp_ne_u32_e32 vcc_lo, 0, v8
	v_lshlrev_b32_e32 v4, 23, v8
	s_delay_alu instid0(VALU_DEP_1) | instskip(NEXT) | instid1(VALU_DEP_1)
	v_trunc_f32_e32 v4, v4
	v_mul_f32_e64 v5, 0x2f800000, |v4|
	s_delay_alu instid0(VALU_DEP_1) | instskip(NEXT) | instid1(VALU_DEP_1)
	v_floor_f32_e32 v5, v5
	v_fma_f32 v6, 0xcf800000, v5, |v4|
	v_ashrrev_i32_e32 v4, 31, v4
	v_cvt_u32_f32_e32 v7, v5
	s_delay_alu instid0(VALU_DEP_3) | instskip(NEXT) | instid1(VALU_DEP_2)
	v_cvt_u32_f32_e32 v6, v6
	v_dual_mov_b32 v5, v4 :: v_dual_bitop2_b32 v7, v7, v4 bitop3:0x14
	s_delay_alu instid0(VALU_DEP_2) | instskip(NEXT) | instid1(VALU_DEP_1)
	v_xor_b32_e32 v6, v6, v4
	v_sub_nc_u64_e32 v[4:5], v[6:7], v[4:5]
	s_delay_alu instid0(VALU_DEP_1)
	v_dual_cndmask_b32 v5, 0, v5 :: v_dual_cndmask_b32 v4, 0, v4
	s_branch .LBB70_163
.LBB70_162:
	s_mov_b32 s20, -1
                                        ; implicit-def: $vgpr4_vgpr5
.LBB70_163:
	s_mov_b32 s25, 0
.LBB70_164:
	s_delay_alu instid0(SALU_CYCLE_1)
	s_and_b32 vcc_lo, exec_lo, s25
	s_cbranch_vccz .LBB70_168
; %bb.165:
	s_cmp_eq_u32 s0, 29
	s_cbranch_scc0 .LBB70_167
; %bb.166:
	global_load_b64 v[4:5], v[2:3], off
	s_mov_b32 s18, -1
	s_mov_b32 s20, 0
	s_branch .LBB70_168
.LBB70_167:
	s_mov_b32 s20, -1
                                        ; implicit-def: $vgpr4_vgpr5
.LBB70_168:
	s_mov_b32 s25, 0
.LBB70_169:
	s_delay_alu instid0(SALU_CYCLE_1)
	s_and_b32 vcc_lo, exec_lo, s25
	s_cbranch_vccz .LBB70_185
; %bb.170:
	s_cmp_lt_i32 s0, 27
	s_cbranch_scc1 .LBB70_173
; %bb.171:
	s_cmp_gt_i32 s0, 27
	s_cbranch_scc0 .LBB70_174
; %bb.172:
	s_wait_loadcnt 0x0
	global_load_b32 v4, v[2:3], off
	v_mov_b32_e32 v5, 0
	s_mov_b32 s18, 0
	s_branch .LBB70_175
.LBB70_173:
	s_mov_b32 s18, -1
                                        ; implicit-def: $vgpr4_vgpr5
	s_branch .LBB70_178
.LBB70_174:
	s_mov_b32 s18, -1
                                        ; implicit-def: $vgpr4_vgpr5
.LBB70_175:
	s_delay_alu instid0(SALU_CYCLE_1)
	s_and_not1_b32 vcc_lo, exec_lo, s18
	s_cbranch_vccnz .LBB70_177
; %bb.176:
	s_wait_loadcnt 0x0
	global_load_u16 v4, v[2:3], off
	s_mov_b32 s18, 0
	s_delay_alu instid0(SALU_CYCLE_1)
	v_mov_b32_e32 v5, s18
	s_wait_loadcnt 0x0
	v_and_b32_e32 v4, 0xffff, v4
.LBB70_177:
	s_mov_b32 s18, 0
.LBB70_178:
	s_delay_alu instid0(SALU_CYCLE_1)
	s_and_not1_b32 vcc_lo, exec_lo, s18
	s_cbranch_vccnz .LBB70_184
; %bb.179:
	global_load_u8 v6, v[2:3], off
	s_mov_b32 s25, 0
	s_mov_b32 s18, exec_lo
	s_wait_loadcnt 0x0
	v_cmpx_lt_i16_e32 0x7f, v6
	s_xor_b32 s18, exec_lo, s18
	s_cbranch_execz .LBB70_196
; %bb.180:
	v_cmp_ne_u16_e32 vcc_lo, 0x80, v6
	s_and_b32 s25, vcc_lo, exec_lo
	s_and_not1_saveexec_b32 s18, s18
	s_cbranch_execnz .LBB70_197
.LBB70_181:
	s_or_b32 exec_lo, exec_lo, s18
	v_mov_b64_e32 v[4:5], 0
	s_and_saveexec_b32 s18, s25
	s_cbranch_execz .LBB70_183
.LBB70_182:
	v_and_b32_e32 v4, 0xffff, v6
	s_delay_alu instid0(VALU_DEP_1) | instskip(SKIP_1) | instid1(VALU_DEP_2)
	v_and_b32_e32 v5, 7, v4
	v_bfe_u32 v9, v4, 3, 4
	v_clz_i32_u32_e32 v7, v5
	s_delay_alu instid0(VALU_DEP_2) | instskip(NEXT) | instid1(VALU_DEP_2)
	v_cmp_eq_u32_e32 vcc_lo, 0, v9
	v_min_u32_e32 v7, 32, v7
	s_delay_alu instid0(VALU_DEP_1) | instskip(NEXT) | instid1(VALU_DEP_1)
	v_subrev_nc_u32_e32 v8, 28, v7
	v_dual_lshlrev_b32 v4, v8, v4 :: v_dual_sub_nc_u32 v7, 29, v7
	s_delay_alu instid0(VALU_DEP_1) | instskip(NEXT) | instid1(VALU_DEP_2)
	v_dual_lshlrev_b32 v6, 24, v6 :: v_dual_bitop2_b32 v4, 7, v4 bitop3:0x40
	v_cndmask_b32_e32 v7, v9, v7, vcc_lo
	s_delay_alu instid0(VALU_DEP_2) | instskip(NEXT) | instid1(VALU_DEP_3)
	v_cndmask_b32_e32 v4, v5, v4, vcc_lo
	v_and_b32_e32 v5, 0x80000000, v6
	s_delay_alu instid0(VALU_DEP_3) | instskip(NEXT) | instid1(VALU_DEP_3)
	v_lshl_add_u32 v6, v7, 23, 0x3b800000
	v_lshlrev_b32_e32 v4, 20, v4
	s_delay_alu instid0(VALU_DEP_1) | instskip(NEXT) | instid1(VALU_DEP_1)
	v_or3_b32 v4, v5, v6, v4
	v_trunc_f32_e32 v4, v4
	s_delay_alu instid0(VALU_DEP_1) | instskip(NEXT) | instid1(VALU_DEP_1)
	v_mul_f32_e64 v5, 0x2f800000, |v4|
	v_floor_f32_e32 v5, v5
	s_delay_alu instid0(VALU_DEP_1) | instskip(SKIP_2) | instid1(VALU_DEP_3)
	v_fma_f32 v6, 0xcf800000, v5, |v4|
	v_ashrrev_i32_e32 v4, 31, v4
	v_cvt_u32_f32_e32 v7, v5
	v_cvt_u32_f32_e32 v6, v6
	s_delay_alu instid0(VALU_DEP_2) | instskip(NEXT) | instid1(VALU_DEP_2)
	v_dual_mov_b32 v5, v4 :: v_dual_bitop2_b32 v7, v7, v4 bitop3:0x14
	v_xor_b32_e32 v6, v6, v4
	s_delay_alu instid0(VALU_DEP_1)
	v_sub_nc_u64_e32 v[4:5], v[6:7], v[4:5]
.LBB70_183:
	s_or_b32 exec_lo, exec_lo, s18
.LBB70_184:
	s_mov_b32 s18, -1
.LBB70_185:
	s_mov_b32 s25, 0
.LBB70_186:
	s_delay_alu instid0(SALU_CYCLE_1)
	s_and_b32 vcc_lo, exec_lo, s25
	s_cbranch_vccz .LBB70_219
; %bb.187:
	s_cmp_gt_i32 s0, 22
	s_cbranch_scc0 .LBB70_195
; %bb.188:
	s_cmp_lt_i32 s0, 24
	s_cbranch_scc1 .LBB70_198
; %bb.189:
	s_cmp_gt_i32 s0, 24
	s_cbranch_scc0 .LBB70_199
; %bb.190:
	global_load_u8 v6, v[2:3], off
	s_mov_b32 s25, 0
	s_mov_b32 s18, exec_lo
	s_wait_loadcnt 0x0
	v_cmpx_lt_i16_e32 0x7f, v6
	s_xor_b32 s18, exec_lo, s18
	s_cbranch_execz .LBB70_211
; %bb.191:
	v_cmp_ne_u16_e32 vcc_lo, 0x80, v6
	s_and_b32 s25, vcc_lo, exec_lo
	s_and_not1_saveexec_b32 s18, s18
	s_cbranch_execnz .LBB70_212
.LBB70_192:
	s_or_b32 exec_lo, exec_lo, s18
	v_mov_b64_e32 v[4:5], 0
	s_and_saveexec_b32 s18, s25
	s_cbranch_execz .LBB70_194
.LBB70_193:
	v_and_b32_e32 v4, 0xffff, v6
	s_delay_alu instid0(VALU_DEP_1) | instskip(SKIP_1) | instid1(VALU_DEP_2)
	v_and_b32_e32 v5, 3, v4
	v_bfe_u32 v9, v4, 2, 5
	v_clz_i32_u32_e32 v7, v5
	s_delay_alu instid0(VALU_DEP_2) | instskip(NEXT) | instid1(VALU_DEP_2)
	v_cmp_eq_u32_e32 vcc_lo, 0, v9
	v_min_u32_e32 v7, 32, v7
	s_delay_alu instid0(VALU_DEP_1) | instskip(NEXT) | instid1(VALU_DEP_1)
	v_subrev_nc_u32_e32 v8, 29, v7
	v_dual_lshlrev_b32 v4, v8, v4 :: v_dual_sub_nc_u32 v7, 30, v7
	s_delay_alu instid0(VALU_DEP_1) | instskip(NEXT) | instid1(VALU_DEP_2)
	v_dual_lshlrev_b32 v6, 24, v6 :: v_dual_bitop2_b32 v4, 3, v4 bitop3:0x40
	v_cndmask_b32_e32 v7, v9, v7, vcc_lo
	s_delay_alu instid0(VALU_DEP_2) | instskip(NEXT) | instid1(VALU_DEP_3)
	v_cndmask_b32_e32 v4, v5, v4, vcc_lo
	v_and_b32_e32 v5, 0x80000000, v6
	s_delay_alu instid0(VALU_DEP_3) | instskip(NEXT) | instid1(VALU_DEP_3)
	v_lshl_add_u32 v6, v7, 23, 0x37800000
	v_lshlrev_b32_e32 v4, 21, v4
	s_delay_alu instid0(VALU_DEP_1) | instskip(NEXT) | instid1(VALU_DEP_1)
	v_or3_b32 v4, v5, v6, v4
	v_trunc_f32_e32 v4, v4
	s_delay_alu instid0(VALU_DEP_1) | instskip(NEXT) | instid1(VALU_DEP_1)
	v_mul_f32_e64 v5, 0x2f800000, |v4|
	v_floor_f32_e32 v5, v5
	s_delay_alu instid0(VALU_DEP_1) | instskip(SKIP_2) | instid1(VALU_DEP_3)
	v_fma_f32 v6, 0xcf800000, v5, |v4|
	v_ashrrev_i32_e32 v4, 31, v4
	v_cvt_u32_f32_e32 v7, v5
	v_cvt_u32_f32_e32 v6, v6
	s_delay_alu instid0(VALU_DEP_2) | instskip(NEXT) | instid1(VALU_DEP_2)
	v_dual_mov_b32 v5, v4 :: v_dual_bitop2_b32 v7, v7, v4 bitop3:0x14
	v_xor_b32_e32 v6, v6, v4
	s_delay_alu instid0(VALU_DEP_1)
	v_sub_nc_u64_e32 v[4:5], v[6:7], v[4:5]
.LBB70_194:
	s_or_b32 exec_lo, exec_lo, s18
	s_mov_b32 s18, 0
	s_branch .LBB70_200
.LBB70_195:
	s_mov_b32 s25, -1
                                        ; implicit-def: $vgpr4_vgpr5
	s_branch .LBB70_206
.LBB70_196:
	s_and_not1_saveexec_b32 s18, s18
	s_cbranch_execz .LBB70_181
.LBB70_197:
	v_cmp_ne_u16_e32 vcc_lo, 0, v6
	s_and_not1_b32 s25, s25, exec_lo
	s_and_b32 s26, vcc_lo, exec_lo
	s_delay_alu instid0(SALU_CYCLE_1)
	s_or_b32 s25, s25, s26
	s_or_b32 exec_lo, exec_lo, s18
	v_mov_b64_e32 v[4:5], 0
	s_and_saveexec_b32 s18, s25
	s_cbranch_execnz .LBB70_182
	s_branch .LBB70_183
.LBB70_198:
	s_mov_b32 s18, -1
                                        ; implicit-def: $vgpr4_vgpr5
	s_branch .LBB70_203
.LBB70_199:
	s_mov_b32 s18, -1
                                        ; implicit-def: $vgpr4_vgpr5
.LBB70_200:
	s_delay_alu instid0(SALU_CYCLE_1)
	s_and_b32 vcc_lo, exec_lo, s18
	s_cbranch_vccz .LBB70_202
; %bb.201:
	s_wait_loadcnt 0x0
	global_load_u8 v4, v[2:3], off
	s_wait_loadcnt 0x0
	v_lshlrev_b32_e32 v4, 24, v4
	s_delay_alu instid0(VALU_DEP_1) | instskip(NEXT) | instid1(VALU_DEP_1)
	v_and_b32_e32 v5, 0x7f000000, v4
	v_clz_i32_u32_e32 v6, v5
	v_cmp_ne_u32_e32 vcc_lo, 0, v5
	v_add_nc_u32_e32 v8, 0x1000000, v5
	s_delay_alu instid0(VALU_DEP_3) | instskip(NEXT) | instid1(VALU_DEP_1)
	v_min_u32_e32 v6, 32, v6
	v_sub_nc_u32_e64 v6, v6, 4 clamp
	s_delay_alu instid0(VALU_DEP_1) | instskip(NEXT) | instid1(VALU_DEP_1)
	v_dual_lshlrev_b32 v7, v6, v5 :: v_dual_lshlrev_b32 v6, 23, v6
	v_lshrrev_b32_e32 v7, 4, v7
	s_delay_alu instid0(VALU_DEP_1) | instskip(NEXT) | instid1(VALU_DEP_1)
	v_dual_sub_nc_u32 v6, v7, v6 :: v_dual_ashrrev_i32 v7, 8, v8
	v_add_nc_u32_e32 v6, 0x3c000000, v6
	s_delay_alu instid0(VALU_DEP_1) | instskip(NEXT) | instid1(VALU_DEP_1)
	v_and_or_b32 v6, 0x7f800000, v7, v6
	v_cndmask_b32_e32 v5, 0, v6, vcc_lo
	s_delay_alu instid0(VALU_DEP_1) | instskip(NEXT) | instid1(VALU_DEP_1)
	v_and_or_b32 v4, 0x80000000, v4, v5
	v_trunc_f32_e32 v4, v4
	s_delay_alu instid0(VALU_DEP_1) | instskip(NEXT) | instid1(VALU_DEP_1)
	v_mul_f32_e64 v5, 0x2f800000, |v4|
	v_floor_f32_e32 v5, v5
	s_delay_alu instid0(VALU_DEP_1) | instskip(SKIP_2) | instid1(VALU_DEP_3)
	v_fma_f32 v6, 0xcf800000, v5, |v4|
	v_ashrrev_i32_e32 v4, 31, v4
	v_cvt_u32_f32_e32 v7, v5
	v_cvt_u32_f32_e32 v6, v6
	s_delay_alu instid0(VALU_DEP_2) | instskip(NEXT) | instid1(VALU_DEP_2)
	v_dual_mov_b32 v5, v4 :: v_dual_bitop2_b32 v7, v7, v4 bitop3:0x14
	v_xor_b32_e32 v6, v6, v4
	s_delay_alu instid0(VALU_DEP_1)
	v_sub_nc_u64_e32 v[4:5], v[6:7], v[4:5]
.LBB70_202:
	s_mov_b32 s18, 0
.LBB70_203:
	s_delay_alu instid0(SALU_CYCLE_1)
	s_and_not1_b32 vcc_lo, exec_lo, s18
	s_cbranch_vccnz .LBB70_205
; %bb.204:
	s_wait_loadcnt 0x0
	global_load_u8 v4, v[2:3], off
	s_wait_loadcnt 0x0
	v_lshlrev_b32_e32 v5, 25, v4
	v_lshlrev_b16 v4, 8, v4
	s_delay_alu instid0(VALU_DEP_1) | instskip(SKIP_1) | instid1(VALU_DEP_2)
	v_and_or_b32 v7, 0x7f00, v4, 0.5
	v_bfe_i32 v4, v4, 0, 16
	v_dual_add_f32 v7, -0.5, v7 :: v_dual_lshrrev_b32 v6, 4, v5
	v_cmp_gt_u32_e32 vcc_lo, 0x8000000, v5
	s_delay_alu instid0(VALU_DEP_2) | instskip(NEXT) | instid1(VALU_DEP_1)
	v_or_b32_e32 v6, 0x70000000, v6
	v_mul_f32_e32 v6, 0x7800000, v6
	s_delay_alu instid0(VALU_DEP_1) | instskip(NEXT) | instid1(VALU_DEP_1)
	v_cndmask_b32_e32 v5, v6, v7, vcc_lo
	v_and_or_b32 v4, 0x80000000, v4, v5
	s_delay_alu instid0(VALU_DEP_1) | instskip(NEXT) | instid1(VALU_DEP_1)
	v_trunc_f32_e32 v4, v4
	v_mul_f32_e64 v5, 0x2f800000, |v4|
	s_delay_alu instid0(VALU_DEP_1) | instskip(NEXT) | instid1(VALU_DEP_1)
	v_floor_f32_e32 v5, v5
	v_fma_f32 v6, 0xcf800000, v5, |v4|
	v_ashrrev_i32_e32 v4, 31, v4
	v_cvt_u32_f32_e32 v7, v5
	s_delay_alu instid0(VALU_DEP_3) | instskip(NEXT) | instid1(VALU_DEP_2)
	v_cvt_u32_f32_e32 v6, v6
	v_dual_mov_b32 v5, v4 :: v_dual_bitop2_b32 v7, v7, v4 bitop3:0x14
	s_delay_alu instid0(VALU_DEP_2) | instskip(NEXT) | instid1(VALU_DEP_1)
	v_xor_b32_e32 v6, v6, v4
	v_sub_nc_u64_e32 v[4:5], v[6:7], v[4:5]
.LBB70_205:
	s_mov_b32 s25, 0
	s_mov_b32 s18, -1
.LBB70_206:
	s_and_not1_b32 vcc_lo, exec_lo, s25
	s_cbranch_vccnz .LBB70_219
; %bb.207:
	s_cmp_gt_i32 s0, 14
	s_cbranch_scc0 .LBB70_210
; %bb.208:
	s_cmp_eq_u32 s0, 15
	s_cbranch_scc0 .LBB70_213
; %bb.209:
	s_wait_loadcnt 0x0
	global_load_u16 v4, v[2:3], off
	s_mov_b32 s18, -1
	s_mov_b32 s20, 0
	s_wait_loadcnt 0x0
	v_lshlrev_b32_e32 v4, 16, v4
	s_delay_alu instid0(VALU_DEP_1) | instskip(NEXT) | instid1(VALU_DEP_1)
	v_trunc_f32_e32 v4, v4
	v_mul_f32_e64 v5, 0x2f800000, |v4|
	s_delay_alu instid0(VALU_DEP_1) | instskip(NEXT) | instid1(VALU_DEP_1)
	v_floor_f32_e32 v5, v5
	v_fma_f32 v6, 0xcf800000, v5, |v4|
	v_ashrrev_i32_e32 v4, 31, v4
	v_cvt_u32_f32_e32 v7, v5
	s_delay_alu instid0(VALU_DEP_3) | instskip(NEXT) | instid1(VALU_DEP_2)
	v_cvt_u32_f32_e32 v6, v6
	v_dual_mov_b32 v5, v4 :: v_dual_bitop2_b32 v7, v7, v4 bitop3:0x14
	s_delay_alu instid0(VALU_DEP_2) | instskip(NEXT) | instid1(VALU_DEP_1)
	v_xor_b32_e32 v6, v6, v4
	v_sub_nc_u64_e32 v[4:5], v[6:7], v[4:5]
	s_branch .LBB70_214
.LBB70_210:
	s_mov_b32 s25, -1
                                        ; implicit-def: $vgpr4_vgpr5
	s_branch .LBB70_215
.LBB70_211:
	s_and_not1_saveexec_b32 s18, s18
	s_cbranch_execz .LBB70_192
.LBB70_212:
	v_cmp_ne_u16_e32 vcc_lo, 0, v6
	s_and_not1_b32 s25, s25, exec_lo
	s_and_b32 s26, vcc_lo, exec_lo
	s_delay_alu instid0(SALU_CYCLE_1)
	s_or_b32 s25, s25, s26
	s_or_b32 exec_lo, exec_lo, s18
	v_mov_b64_e32 v[4:5], 0
	s_and_saveexec_b32 s18, s25
	s_cbranch_execnz .LBB70_193
	s_branch .LBB70_194
.LBB70_213:
	s_mov_b32 s20, -1
                                        ; implicit-def: $vgpr4_vgpr5
.LBB70_214:
	s_mov_b32 s25, 0
.LBB70_215:
	s_delay_alu instid0(SALU_CYCLE_1)
	s_and_b32 vcc_lo, exec_lo, s25
	s_cbranch_vccz .LBB70_219
; %bb.216:
	s_cmp_eq_u32 s0, 11
	s_cbranch_scc0 .LBB70_218
; %bb.217:
	s_wait_loadcnt 0x0
	global_load_u8 v4, v[2:3], off
	s_mov_b32 s20, 0
	s_mov_b32 s18, -1
	v_mov_b32_e32 v5, s20
	s_wait_loadcnt 0x0
	v_cmp_ne_u16_e32 vcc_lo, 0, v4
	v_cndmask_b32_e64 v4, 0, 1, vcc_lo
	s_branch .LBB70_219
.LBB70_218:
	s_mov_b32 s20, -1
                                        ; implicit-def: $vgpr4_vgpr5
.LBB70_219:
	s_mov_b32 s25, 0
.LBB70_220:
	s_delay_alu instid0(SALU_CYCLE_1)
	s_and_b32 vcc_lo, exec_lo, s25
	s_cbranch_vccz .LBB70_269
; %bb.221:
	s_cmp_lt_i32 s0, 5
	s_cbranch_scc1 .LBB70_226
; %bb.222:
	s_cmp_lt_i32 s0, 8
	s_cbranch_scc1 .LBB70_227
	;; [unrolled: 3-line block ×3, first 2 shown]
; %bb.224:
	s_cmp_gt_i32 s0, 9
	s_cbranch_scc0 .LBB70_229
; %bb.225:
	s_wait_loadcnt 0x0
	global_load_b64 v[4:5], v[2:3], off
	s_mov_b32 s18, 0
	s_wait_loadcnt 0x0
	v_trunc_f64_e32 v[4:5], v[4:5]
	s_delay_alu instid0(VALU_DEP_1) | instskip(NEXT) | instid1(VALU_DEP_1)
	v_ldexp_f64 v[6:7], v[4:5], 0xffffffe0
	v_floor_f64_e32 v[6:7], v[6:7]
	s_delay_alu instid0(VALU_DEP_1) | instskip(SKIP_1) | instid1(VALU_DEP_2)
	v_fmamk_f64 v[8:9], v[6:7], 0xc1f00000, v[4:5]
	v_cvt_i32_f64_e32 v5, v[6:7]
	v_cvt_u32_f64_e32 v4, v[8:9]
	s_branch .LBB70_230
.LBB70_226:
	s_mov_b32 s18, -1
                                        ; implicit-def: $vgpr4_vgpr5
	s_branch .LBB70_248
.LBB70_227:
	s_mov_b32 s18, -1
                                        ; implicit-def: $vgpr4_vgpr5
	s_branch .LBB70_236
.LBB70_228:
	s_mov_b32 s18, -1
                                        ; implicit-def: $vgpr4_vgpr5
	s_branch .LBB70_233
.LBB70_229:
	s_mov_b32 s18, -1
                                        ; implicit-def: $vgpr4_vgpr5
.LBB70_230:
	s_delay_alu instid0(SALU_CYCLE_1)
	s_and_not1_b32 vcc_lo, exec_lo, s18
	s_cbranch_vccnz .LBB70_232
; %bb.231:
	s_wait_loadcnt 0x0
	global_load_b32 v4, v[2:3], off
	s_wait_loadcnt 0x0
	v_trunc_f32_e32 v4, v4
	s_delay_alu instid0(VALU_DEP_1) | instskip(NEXT) | instid1(VALU_DEP_1)
	v_mul_f32_e64 v5, 0x2f800000, |v4|
	v_floor_f32_e32 v5, v5
	s_delay_alu instid0(VALU_DEP_1) | instskip(SKIP_2) | instid1(VALU_DEP_3)
	v_fma_f32 v6, 0xcf800000, v5, |v4|
	v_ashrrev_i32_e32 v4, 31, v4
	v_cvt_u32_f32_e32 v7, v5
	v_cvt_u32_f32_e32 v6, v6
	s_delay_alu instid0(VALU_DEP_2) | instskip(NEXT) | instid1(VALU_DEP_2)
	v_dual_mov_b32 v5, v4 :: v_dual_bitop2_b32 v7, v7, v4 bitop3:0x14
	v_xor_b32_e32 v6, v6, v4
	s_delay_alu instid0(VALU_DEP_1)
	v_sub_nc_u64_e32 v[4:5], v[6:7], v[4:5]
.LBB70_232:
	s_mov_b32 s18, 0
.LBB70_233:
	s_delay_alu instid0(SALU_CYCLE_1)
	s_and_not1_b32 vcc_lo, exec_lo, s18
	s_cbranch_vccnz .LBB70_235
; %bb.234:
	s_wait_loadcnt 0x0
	global_load_b32 v4, v[2:3], off
	s_wait_loadcnt 0x0
	v_cvt_f32_f16_e32 v4, v4
	s_delay_alu instid0(VALU_DEP_1) | instskip(NEXT) | instid1(VALU_DEP_1)
	v_cvt_i32_f32_e32 v4, v4
	v_ashrrev_i32_e32 v5, 31, v4
.LBB70_235:
	s_mov_b32 s18, 0
.LBB70_236:
	s_delay_alu instid0(SALU_CYCLE_1)
	s_and_not1_b32 vcc_lo, exec_lo, s18
	s_cbranch_vccnz .LBB70_247
; %bb.237:
	s_cmp_lt_i32 s0, 6
	s_cbranch_scc1 .LBB70_240
; %bb.238:
	s_cmp_gt_i32 s0, 6
	s_cbranch_scc0 .LBB70_241
; %bb.239:
	s_wait_loadcnt 0x0
	global_load_b64 v[4:5], v[2:3], off
	s_mov_b32 s18, 0
	s_wait_loadcnt 0x0
	v_trunc_f64_e32 v[4:5], v[4:5]
	s_delay_alu instid0(VALU_DEP_1) | instskip(NEXT) | instid1(VALU_DEP_1)
	v_ldexp_f64 v[6:7], v[4:5], 0xffffffe0
	v_floor_f64_e32 v[6:7], v[6:7]
	s_delay_alu instid0(VALU_DEP_1) | instskip(SKIP_1) | instid1(VALU_DEP_2)
	v_fmamk_f64 v[8:9], v[6:7], 0xc1f00000, v[4:5]
	v_cvt_i32_f64_e32 v5, v[6:7]
	v_cvt_u32_f64_e32 v4, v[8:9]
	s_branch .LBB70_242
.LBB70_240:
	s_mov_b32 s18, -1
                                        ; implicit-def: $vgpr4_vgpr5
	s_branch .LBB70_245
.LBB70_241:
	s_mov_b32 s18, -1
                                        ; implicit-def: $vgpr4_vgpr5
.LBB70_242:
	s_delay_alu instid0(SALU_CYCLE_1)
	s_and_not1_b32 vcc_lo, exec_lo, s18
	s_cbranch_vccnz .LBB70_244
; %bb.243:
	s_wait_loadcnt 0x0
	global_load_b32 v4, v[2:3], off
	s_wait_loadcnt 0x0
	v_trunc_f32_e32 v4, v4
	s_delay_alu instid0(VALU_DEP_1) | instskip(NEXT) | instid1(VALU_DEP_1)
	v_mul_f32_e64 v5, 0x2f800000, |v4|
	v_floor_f32_e32 v5, v5
	s_delay_alu instid0(VALU_DEP_1) | instskip(SKIP_2) | instid1(VALU_DEP_3)
	v_fma_f32 v6, 0xcf800000, v5, |v4|
	v_ashrrev_i32_e32 v4, 31, v4
	v_cvt_u32_f32_e32 v7, v5
	v_cvt_u32_f32_e32 v6, v6
	s_delay_alu instid0(VALU_DEP_2) | instskip(NEXT) | instid1(VALU_DEP_2)
	v_dual_mov_b32 v5, v4 :: v_dual_bitop2_b32 v7, v7, v4 bitop3:0x14
	v_xor_b32_e32 v6, v6, v4
	s_delay_alu instid0(VALU_DEP_1)
	v_sub_nc_u64_e32 v[4:5], v[6:7], v[4:5]
.LBB70_244:
	s_mov_b32 s18, 0
.LBB70_245:
	s_delay_alu instid0(SALU_CYCLE_1)
	s_and_not1_b32 vcc_lo, exec_lo, s18
	s_cbranch_vccnz .LBB70_247
; %bb.246:
	s_wait_loadcnt 0x0
	global_load_u16 v4, v[2:3], off
	s_wait_loadcnt 0x0
	v_cvt_f32_f16_e32 v4, v4
	s_delay_alu instid0(VALU_DEP_1) | instskip(NEXT) | instid1(VALU_DEP_1)
	v_cvt_i32_f32_e32 v4, v4
	v_ashrrev_i32_e32 v5, 31, v4
.LBB70_247:
	s_mov_b32 s18, 0
.LBB70_248:
	s_delay_alu instid0(SALU_CYCLE_1)
	s_and_not1_b32 vcc_lo, exec_lo, s18
	s_cbranch_vccnz .LBB70_268
; %bb.249:
	s_cmp_lt_i32 s0, 2
	s_cbranch_scc1 .LBB70_253
; %bb.250:
	s_cmp_lt_i32 s0, 3
	s_cbranch_scc1 .LBB70_254
; %bb.251:
	s_cmp_gt_i32 s0, 3
	s_cbranch_scc0 .LBB70_255
; %bb.252:
	s_wait_loadcnt 0x0
	global_load_b64 v[4:5], v[2:3], off
	s_mov_b32 s18, 0
	s_branch .LBB70_256
.LBB70_253:
	s_mov_b32 s18, -1
                                        ; implicit-def: $vgpr4_vgpr5
	s_branch .LBB70_262
.LBB70_254:
	s_mov_b32 s18, -1
                                        ; implicit-def: $vgpr4_vgpr5
	s_branch .LBB70_259
.LBB70_255:
	s_mov_b32 s18, -1
                                        ; implicit-def: $vgpr4_vgpr5
.LBB70_256:
	s_delay_alu instid0(SALU_CYCLE_1)
	s_and_not1_b32 vcc_lo, exec_lo, s18
	s_cbranch_vccnz .LBB70_258
; %bb.257:
	s_wait_loadcnt 0x0
	global_load_b32 v4, v[2:3], off
	s_wait_loadcnt 0x0
	v_ashrrev_i32_e32 v5, 31, v4
.LBB70_258:
	s_mov_b32 s18, 0
.LBB70_259:
	s_delay_alu instid0(SALU_CYCLE_1)
	s_and_not1_b32 vcc_lo, exec_lo, s18
	s_cbranch_vccnz .LBB70_261
; %bb.260:
	s_wait_loadcnt 0x0
	global_load_u16 v4, v[2:3], off
	s_wait_loadcnt 0x0
	v_bfe_i32 v4, v4, 0, 16
	s_delay_alu instid0(VALU_DEP_1)
	v_ashrrev_i32_e32 v5, 31, v4
.LBB70_261:
	s_mov_b32 s18, 0
.LBB70_262:
	s_delay_alu instid0(SALU_CYCLE_1)
	s_and_not1_b32 vcc_lo, exec_lo, s18
	s_cbranch_vccnz .LBB70_268
; %bb.263:
	s_cmp_gt_i32 s0, 0
	s_mov_b32 s0, 0
	s_cbranch_scc0 .LBB70_265
; %bb.264:
	s_wait_loadcnt 0x0
	global_load_i8 v4, v[2:3], off
	s_wait_loadcnt 0x0
	v_bfe_i32 v4, v4, 0, 16
	s_delay_alu instid0(VALU_DEP_1)
	v_ashrrev_i32_e32 v5, 31, v4
	s_branch .LBB70_266
.LBB70_265:
	s_mov_b32 s0, -1
                                        ; implicit-def: $vgpr4_vgpr5
.LBB70_266:
	s_delay_alu instid0(SALU_CYCLE_1)
	s_and_not1_b32 vcc_lo, exec_lo, s0
	s_cbranch_vccnz .LBB70_268
; %bb.267:
	global_load_u8 v2, v[2:3], off
	s_mov_b32 s0, 0
	s_wait_loadcnt 0x1
	v_mov_b32_e32 v5, s0
	s_wait_loadcnt 0x0
	v_and_b32_e32 v4, 0xffff, v2
.LBB70_268:
	s_mov_b32 s18, -1
.LBB70_269:
	s_delay_alu instid0(SALU_CYCLE_1)
	s_and_not1_b32 vcc_lo, exec_lo, s18
	s_cbranch_vccnz .LBB70_277
; %bb.270:
	s_wait_loadcnt 0x0
	v_mul_u64_e32 v[0:1], s[6:7], v[0:1]
	v_mul_lo_u32 v2, v18, s12
	s_and_b32 s18, s13, 0xff
	s_delay_alu instid0(SALU_CYCLE_1) | instskip(NEXT) | instid1(VALU_DEP_1)
	s_cmp_lt_i32 s18, 11
	v_ashrrev_i32_e32 v3, 31, v2
	s_delay_alu instid0(VALU_DEP_1) | instskip(NEXT) | instid1(VALU_DEP_4)
	v_add_nc_u64_e32 v[2:3], s[2:3], v[2:3]
	v_mul_u64_e32 v[0:1], v[0:1], v[4:5]
	s_cbranch_scc1 .LBB70_278
; %bb.271:
	s_and_b32 s25, 0xffff, s18
	s_delay_alu instid0(SALU_CYCLE_1)
	s_cmp_gt_i32 s25, 25
	s_cbranch_scc0 .LBB70_279
; %bb.272:
	s_cmp_gt_i32 s25, 28
	s_cbranch_scc0 .LBB70_280
; %bb.273:
	;; [unrolled: 3-line block ×4, first 2 shown]
	s_mov_b32 s27, 0
	s_mov_b32 s0, -1
	s_cmp_eq_u32 s25, 46
	s_mov_b32 s26, 0
	s_cbranch_scc0 .LBB70_283
; %bb.276:
	s_delay_alu instid0(VALU_DEP_1) | instskip(SKIP_3) | instid1(VALU_DEP_2)
	v_xor_b32_e32 v4, v0, v1
	v_cls_i32_e32 v5, v1
	s_mov_b32 s26, -1
	s_mov_b32 s0, 0
	v_ashrrev_i32_e32 v4, 31, v4
	s_delay_alu instid0(VALU_DEP_1) | instskip(NEXT) | instid1(VALU_DEP_1)
	v_add_nc_u32_e32 v4, 32, v4
	v_add_min_u32_e64 v6, v5, -1, v4
	s_delay_alu instid0(VALU_DEP_1) | instskip(NEXT) | instid1(VALU_DEP_1)
	v_lshlrev_b64_e32 v[4:5], v6, v[0:1]
	v_min_u32_e32 v4, 1, v4
	s_delay_alu instid0(VALU_DEP_1) | instskip(NEXT) | instid1(VALU_DEP_1)
	v_dual_sub_nc_u32 v5, 32, v6 :: v_dual_bitop2_b32 v4, v5, v4 bitop3:0x54
	v_cvt_f32_i32_e32 v4, v4
	s_delay_alu instid0(VALU_DEP_1) | instskip(NEXT) | instid1(VALU_DEP_1)
	v_ldexp_f32 v4, v4, v5
	v_bfe_u32 v5, v4, 16, 1
	s_delay_alu instid0(VALU_DEP_1) | instskip(NEXT) | instid1(VALU_DEP_1)
	v_add3_u32 v4, v4, v5, 0x7fff
	v_lshrrev_b32_e32 v4, 16, v4
	global_store_b32 v[2:3], v4, off
	s_branch .LBB70_283
.LBB70_277:
	s_mov_b32 s0, 0
	s_mov_b32 s25, 0
                                        ; implicit-def: $vgpr18
	s_branch .LBB70_393
.LBB70_278:
	s_mov_b32 s25, -1
	s_mov_b32 s0, 0
	s_mov_b32 s26, 0
	s_branch .LBB70_352
.LBB70_279:
	s_mov_b32 s27, -1
	s_mov_b32 s0, 0
	s_mov_b32 s26, 0
	s_branch .LBB70_310
.LBB70_280:
	s_mov_b32 s27, -1
	s_mov_b32 s0, 0
	s_mov_b32 s26, 0
	s_branch .LBB70_293
.LBB70_281:
	s_mov_b32 s27, -1
	s_mov_b32 s0, 0
	s_mov_b32 s26, 0
	s_branch .LBB70_289
.LBB70_282:
	s_mov_b32 s27, -1
	s_mov_b32 s0, 0
	s_mov_b32 s26, 0
.LBB70_283:
	s_and_b32 vcc_lo, exec_lo, s27
	s_cbranch_vccz .LBB70_288
; %bb.284:
	s_cmp_eq_u32 s25, 44
	s_mov_b32 s0, -1
	s_cbranch_scc0 .LBB70_288
; %bb.285:
	s_wait_xcnt 0x0
	s_delay_alu instid0(VALU_DEP_1) | instskip(SKIP_3) | instid1(VALU_DEP_2)
	v_xor_b32_e32 v4, v0, v1
	v_cls_i32_e32 v5, v1
	s_mov_b32 s26, -1
	s_mov_b32 s27, exec_lo
	v_ashrrev_i32_e32 v4, 31, v4
	s_delay_alu instid0(VALU_DEP_1) | instskip(NEXT) | instid1(VALU_DEP_1)
	v_add_nc_u32_e32 v4, 32, v4
	v_add_min_u32_e64 v6, v5, -1, v4
	s_delay_alu instid0(VALU_DEP_1) | instskip(NEXT) | instid1(VALU_DEP_1)
	v_lshlrev_b64_e32 v[4:5], v6, v[0:1]
	v_min_u32_e32 v4, 1, v4
	s_delay_alu instid0(VALU_DEP_1) | instskip(NEXT) | instid1(VALU_DEP_1)
	v_dual_sub_nc_u32 v5, 32, v6 :: v_dual_bitop2_b32 v4, v5, v4 bitop3:0x54
	v_cvt_f32_i32_e32 v4, v4
	s_delay_alu instid0(VALU_DEP_1) | instskip(SKIP_1) | instid1(VALU_DEP_2)
	v_ldexp_f32 v4, v4, v5
	v_mov_b32_e32 v5, 0xff
	v_bfe_u32 v6, v4, 23, 8
	s_delay_alu instid0(VALU_DEP_1)
	v_cmpx_ne_u32_e32 0xff, v6
	s_cbranch_execz .LBB70_287
; %bb.286:
	v_and_b32_e32 v5, 0x400000, v4
	v_and_or_b32 v6, 0x3fffff, v4, v6
	v_lshrrev_b32_e32 v4, 23, v4
	s_delay_alu instid0(VALU_DEP_3) | instskip(NEXT) | instid1(VALU_DEP_3)
	v_cmp_ne_u32_e32 vcc_lo, 0, v5
	v_cmp_ne_u32_e64 s0, 0, v6
	s_and_b32 s0, vcc_lo, s0
	s_delay_alu instid0(SALU_CYCLE_1) | instskip(NEXT) | instid1(VALU_DEP_1)
	v_cndmask_b32_e64 v5, 0, 1, s0
	v_add_nc_u32_e32 v5, v4, v5
.LBB70_287:
	s_or_b32 exec_lo, exec_lo, s27
	s_mov_b32 s0, 0
	global_store_b8 v[2:3], v5, off
.LBB70_288:
	s_mov_b32 s27, 0
.LBB70_289:
	s_delay_alu instid0(SALU_CYCLE_1)
	s_and_b32 vcc_lo, exec_lo, s27
	s_cbranch_vccz .LBB70_292
; %bb.290:
	s_cmp_eq_u32 s25, 29
	s_mov_b32 s0, -1
	s_cbranch_scc0 .LBB70_292
; %bb.291:
	s_mov_b32 s26, -1
	s_mov_b32 s0, 0
	global_store_b64 v[2:3], v[0:1], off
.LBB70_292:
	s_mov_b32 s27, 0
.LBB70_293:
	s_delay_alu instid0(SALU_CYCLE_1)
	s_and_b32 vcc_lo, exec_lo, s27
	s_cbranch_vccz .LBB70_309
; %bb.294:
	s_cmp_lt_i32 s25, 27
	s_mov_b32 s26, -1
	s_cbranch_scc1 .LBB70_300
; %bb.295:
	s_cmp_gt_i32 s25, 27
	s_cbranch_scc0 .LBB70_297
; %bb.296:
	s_mov_b32 s26, 0
	global_store_b32 v[2:3], v0, off
.LBB70_297:
	s_and_not1_b32 vcc_lo, exec_lo, s26
	s_cbranch_vccnz .LBB70_299
; %bb.298:
	global_store_b16 v[2:3], v0, off
.LBB70_299:
	s_mov_b32 s26, 0
.LBB70_300:
	s_delay_alu instid0(SALU_CYCLE_1)
	s_and_not1_b32 vcc_lo, exec_lo, s26
	s_cbranch_vccnz .LBB70_308
; %bb.301:
	s_wait_xcnt 0x0
	s_delay_alu instid0(VALU_DEP_1) | instskip(SKIP_2) | instid1(VALU_DEP_2)
	v_xor_b32_e32 v4, v0, v1
	v_cls_i32_e32 v5, v1
	s_mov_b32 s26, exec_lo
	v_ashrrev_i32_e32 v4, 31, v4
	s_delay_alu instid0(VALU_DEP_1) | instskip(NEXT) | instid1(VALU_DEP_1)
	v_add_nc_u32_e32 v4, 32, v4
	v_add_min_u32_e64 v6, v5, -1, v4
	s_delay_alu instid0(VALU_DEP_1) | instskip(NEXT) | instid1(VALU_DEP_1)
	v_lshlrev_b64_e32 v[4:5], v6, v[0:1]
	v_min_u32_e32 v4, 1, v4
	s_delay_alu instid0(VALU_DEP_1) | instskip(SKIP_1) | instid1(VALU_DEP_2)
	v_dual_sub_nc_u32 v5, 32, v6 :: v_dual_bitop2_b32 v4, v5, v4 bitop3:0x54
	v_mov_b32_e32 v6, 0x80
	v_cvt_f32_i32_e32 v4, v4
	s_delay_alu instid0(VALU_DEP_1) | instskip(NEXT) | instid1(VALU_DEP_1)
	v_ldexp_f32 v4, v4, v5
	v_and_b32_e32 v5, 0x7fffffff, v4
	s_delay_alu instid0(VALU_DEP_1)
	v_cmpx_gt_u32_e32 0x43800000, v5
	s_cbranch_execz .LBB70_307
; %bb.302:
	v_cmp_lt_u32_e32 vcc_lo, 0x3bffffff, v5
	s_mov_b32 s27, 0
                                        ; implicit-def: $vgpr5
	s_and_saveexec_b32 s28, vcc_lo
	s_delay_alu instid0(SALU_CYCLE_1)
	s_xor_b32 s28, exec_lo, s28
	s_cbranch_execz .LBB70_428
; %bb.303:
	v_bfe_u32 v5, v4, 20, 1
	s_mov_b32 s27, exec_lo
	s_delay_alu instid0(VALU_DEP_1) | instskip(NEXT) | instid1(VALU_DEP_1)
	v_add3_u32 v5, v4, v5, 0x487ffff
	v_lshrrev_b32_e32 v5, 20, v5
	s_and_not1_saveexec_b32 s28, s28
	s_cbranch_execnz .LBB70_429
.LBB70_304:
	s_or_b32 exec_lo, exec_lo, s28
	v_mov_b32_e32 v6, 0
	s_and_saveexec_b32 s28, s27
.LBB70_305:
	v_lshrrev_b32_e32 v4, 24, v4
	s_delay_alu instid0(VALU_DEP_1)
	v_and_or_b32 v6, 0x80, v4, v5
.LBB70_306:
	s_or_b32 exec_lo, exec_lo, s28
.LBB70_307:
	s_delay_alu instid0(SALU_CYCLE_1)
	s_or_b32 exec_lo, exec_lo, s26
	global_store_b8 v[2:3], v6, off
.LBB70_308:
	s_mov_b32 s26, -1
.LBB70_309:
	s_mov_b32 s27, 0
.LBB70_310:
	s_delay_alu instid0(SALU_CYCLE_1)
	s_and_b32 vcc_lo, exec_lo, s27
	s_cbranch_vccz .LBB70_351
; %bb.311:
	s_cmp_gt_i32 s25, 22
	s_mov_b32 s27, -1
	s_cbranch_scc0 .LBB70_343
; %bb.312:
	s_cmp_lt_i32 s25, 24
	s_mov_b32 s26, -1
	s_cbranch_scc1 .LBB70_332
; %bb.313:
	s_cmp_gt_i32 s25, 24
	s_cbranch_scc0 .LBB70_321
; %bb.314:
	s_wait_xcnt 0x0
	s_delay_alu instid0(VALU_DEP_1) | instskip(SKIP_2) | instid1(VALU_DEP_2)
	v_xor_b32_e32 v4, v0, v1
	v_cls_i32_e32 v5, v1
	s_mov_b32 s26, exec_lo
	v_ashrrev_i32_e32 v4, 31, v4
	s_delay_alu instid0(VALU_DEP_1) | instskip(NEXT) | instid1(VALU_DEP_1)
	v_add_nc_u32_e32 v4, 32, v4
	v_add_min_u32_e64 v6, v5, -1, v4
	s_delay_alu instid0(VALU_DEP_1) | instskip(NEXT) | instid1(VALU_DEP_1)
	v_lshlrev_b64_e32 v[4:5], v6, v[0:1]
	v_min_u32_e32 v4, 1, v4
	s_delay_alu instid0(VALU_DEP_1) | instskip(SKIP_1) | instid1(VALU_DEP_2)
	v_dual_sub_nc_u32 v5, 32, v6 :: v_dual_bitop2_b32 v4, v5, v4 bitop3:0x54
	v_mov_b32_e32 v6, 0x80
	v_cvt_f32_i32_e32 v4, v4
	s_delay_alu instid0(VALU_DEP_1) | instskip(NEXT) | instid1(VALU_DEP_1)
	v_ldexp_f32 v4, v4, v5
	v_and_b32_e32 v5, 0x7fffffff, v4
	s_delay_alu instid0(VALU_DEP_1)
	v_cmpx_gt_u32_e32 0x47800000, v5
	s_cbranch_execz .LBB70_320
; %bb.315:
	v_cmp_lt_u32_e32 vcc_lo, 0x37ffffff, v5
	s_mov_b32 s27, 0
                                        ; implicit-def: $vgpr5
	s_and_saveexec_b32 s28, vcc_lo
	s_delay_alu instid0(SALU_CYCLE_1)
	s_xor_b32 s28, exec_lo, s28
	s_cbranch_execz .LBB70_555
; %bb.316:
	v_bfe_u32 v5, v4, 21, 1
	s_mov_b32 s27, exec_lo
	s_delay_alu instid0(VALU_DEP_1) | instskip(NEXT) | instid1(VALU_DEP_1)
	v_add3_u32 v5, v4, v5, 0x88fffff
	v_lshrrev_b32_e32 v5, 21, v5
	s_and_not1_saveexec_b32 s28, s28
	s_cbranch_execnz .LBB70_556
.LBB70_317:
	s_or_b32 exec_lo, exec_lo, s28
	v_mov_b32_e32 v6, 0
	s_and_saveexec_b32 s28, s27
.LBB70_318:
	v_lshrrev_b32_e32 v4, 24, v4
	s_delay_alu instid0(VALU_DEP_1)
	v_and_or_b32 v6, 0x80, v4, v5
.LBB70_319:
	s_or_b32 exec_lo, exec_lo, s28
.LBB70_320:
	s_delay_alu instid0(SALU_CYCLE_1)
	s_or_b32 exec_lo, exec_lo, s26
	s_mov_b32 s26, 0
	global_store_b8 v[2:3], v6, off
.LBB70_321:
	s_and_b32 vcc_lo, exec_lo, s26
	s_cbranch_vccz .LBB70_331
; %bb.322:
	s_wait_xcnt 0x0
	s_delay_alu instid0(VALU_DEP_1) | instskip(SKIP_2) | instid1(VALU_DEP_2)
	v_xor_b32_e32 v4, v0, v1
	v_cls_i32_e32 v5, v1
	s_mov_b32 s26, exec_lo
	v_ashrrev_i32_e32 v4, 31, v4
	s_delay_alu instid0(VALU_DEP_1) | instskip(NEXT) | instid1(VALU_DEP_1)
	v_add_nc_u32_e32 v4, 32, v4
	v_add_min_u32_e64 v6, v5, -1, v4
	s_delay_alu instid0(VALU_DEP_1) | instskip(NEXT) | instid1(VALU_DEP_1)
	v_lshlrev_b64_e32 v[4:5], v6, v[0:1]
	v_min_u32_e32 v4, 1, v4
	s_delay_alu instid0(VALU_DEP_1) | instskip(NEXT) | instid1(VALU_DEP_1)
	v_dual_sub_nc_u32 v5, 32, v6 :: v_dual_bitop2_b32 v4, v5, v4 bitop3:0x54
	v_cvt_f32_i32_e32 v4, v4
	s_delay_alu instid0(VALU_DEP_1) | instskip(NEXT) | instid1(VALU_DEP_1)
	v_ldexp_f32 v4, v4, v5
                                        ; implicit-def: $vgpr5
	v_and_b32_e32 v6, 0x7fffffff, v4
	s_delay_alu instid0(VALU_DEP_1)
	v_cmpx_gt_u32_e32 0x43f00000, v6
	s_xor_b32 s26, exec_lo, s26
	s_cbranch_execz .LBB70_328
; %bb.323:
	s_mov_b32 s27, exec_lo
                                        ; implicit-def: $vgpr5
	v_cmpx_lt_u32_e32 0x3c7fffff, v6
	s_xor_b32 s27, exec_lo, s27
; %bb.324:
	v_bfe_u32 v5, v4, 20, 1
	s_delay_alu instid0(VALU_DEP_1) | instskip(NEXT) | instid1(VALU_DEP_1)
	v_add3_u32 v5, v4, v5, 0x407ffff
	v_and_b32_e32 v6, 0xff00000, v5
	v_lshrrev_b32_e32 v5, 20, v5
	s_delay_alu instid0(VALU_DEP_2) | instskip(NEXT) | instid1(VALU_DEP_2)
	v_cmp_ne_u32_e32 vcc_lo, 0x7f00000, v6
	v_cndmask_b32_e32 v5, 0x7e, v5, vcc_lo
; %bb.325:
	s_and_not1_saveexec_b32 s27, s27
; %bb.326:
	v_add_f32_e64 v5, 0x46800000, |v4|
; %bb.327:
	s_or_b32 exec_lo, exec_lo, s27
                                        ; implicit-def: $vgpr6
.LBB70_328:
	s_and_not1_saveexec_b32 s26, s26
; %bb.329:
	v_mov_b32_e32 v5, 0x7f
	v_cmp_lt_u32_e32 vcc_lo, 0x7f800000, v6
	s_delay_alu instid0(VALU_DEP_2)
	v_cndmask_b32_e32 v5, 0x7e, v5, vcc_lo
; %bb.330:
	s_or_b32 exec_lo, exec_lo, s26
	v_lshrrev_b32_e32 v4, 24, v4
	s_delay_alu instid0(VALU_DEP_1)
	v_and_or_b32 v4, 0x80, v4, v5
	global_store_b8 v[2:3], v4, off
.LBB70_331:
	s_mov_b32 s26, 0
.LBB70_332:
	s_delay_alu instid0(SALU_CYCLE_1)
	s_and_not1_b32 vcc_lo, exec_lo, s26
	s_cbranch_vccnz .LBB70_342
; %bb.333:
	s_wait_xcnt 0x0
	s_delay_alu instid0(VALU_DEP_1) | instskip(SKIP_2) | instid1(VALU_DEP_2)
	v_xor_b32_e32 v4, v0, v1
	v_cls_i32_e32 v5, v1
	s_mov_b32 s26, exec_lo
	v_ashrrev_i32_e32 v4, 31, v4
	s_delay_alu instid0(VALU_DEP_1) | instskip(NEXT) | instid1(VALU_DEP_1)
	v_add_nc_u32_e32 v4, 32, v4
	v_add_min_u32_e64 v6, v5, -1, v4
	s_delay_alu instid0(VALU_DEP_1) | instskip(NEXT) | instid1(VALU_DEP_1)
	v_lshlrev_b64_e32 v[4:5], v6, v[0:1]
	v_min_u32_e32 v4, 1, v4
	s_delay_alu instid0(VALU_DEP_1) | instskip(NEXT) | instid1(VALU_DEP_1)
	v_dual_sub_nc_u32 v5, 32, v6 :: v_dual_bitop2_b32 v4, v5, v4 bitop3:0x54
	v_cvt_f32_i32_e32 v4, v4
	s_delay_alu instid0(VALU_DEP_1) | instskip(NEXT) | instid1(VALU_DEP_1)
	v_ldexp_f32 v4, v4, v5
                                        ; implicit-def: $vgpr5
	v_and_b32_e32 v6, 0x7fffffff, v4
	s_delay_alu instid0(VALU_DEP_1)
	v_cmpx_gt_u32_e32 0x47800000, v6
	s_xor_b32 s26, exec_lo, s26
	s_cbranch_execz .LBB70_339
; %bb.334:
	s_mov_b32 s27, exec_lo
                                        ; implicit-def: $vgpr5
	v_cmpx_lt_u32_e32 0x387fffff, v6
	s_xor_b32 s27, exec_lo, s27
; %bb.335:
	v_bfe_u32 v5, v4, 21, 1
	s_delay_alu instid0(VALU_DEP_1) | instskip(NEXT) | instid1(VALU_DEP_1)
	v_add3_u32 v5, v4, v5, 0x80fffff
	v_lshrrev_b32_e32 v5, 21, v5
; %bb.336:
	s_and_not1_saveexec_b32 s27, s27
; %bb.337:
	v_add_f32_e64 v5, 0x43000000, |v4|
; %bb.338:
	s_or_b32 exec_lo, exec_lo, s27
                                        ; implicit-def: $vgpr6
.LBB70_339:
	s_and_not1_saveexec_b32 s26, s26
; %bb.340:
	v_mov_b32_e32 v5, 0x7f
	v_cmp_lt_u32_e32 vcc_lo, 0x7f800000, v6
	s_delay_alu instid0(VALU_DEP_2)
	v_cndmask_b32_e32 v5, 0x7c, v5, vcc_lo
; %bb.341:
	s_or_b32 exec_lo, exec_lo, s26
	v_lshrrev_b32_e32 v4, 24, v4
	s_delay_alu instid0(VALU_DEP_1)
	v_and_or_b32 v4, 0x80, v4, v5
	global_store_b8 v[2:3], v4, off
.LBB70_342:
	s_mov_b32 s27, 0
	s_mov_b32 s26, -1
.LBB70_343:
	s_and_not1_b32 vcc_lo, exec_lo, s27
	s_cbranch_vccnz .LBB70_351
; %bb.344:
	s_cmp_gt_i32 s25, 14
	s_mov_b32 s27, -1
	s_cbranch_scc0 .LBB70_348
; %bb.345:
	s_cmp_eq_u32 s25, 15
	s_mov_b32 s0, -1
	s_cbranch_scc0 .LBB70_347
; %bb.346:
	s_wait_xcnt 0x0
	s_delay_alu instid0(VALU_DEP_1) | instskip(SKIP_3) | instid1(VALU_DEP_2)
	v_xor_b32_e32 v4, v0, v1
	v_cls_i32_e32 v5, v1
	s_mov_b32 s26, -1
	s_mov_b32 s0, 0
	v_ashrrev_i32_e32 v4, 31, v4
	s_delay_alu instid0(VALU_DEP_1) | instskip(NEXT) | instid1(VALU_DEP_1)
	v_add_nc_u32_e32 v4, 32, v4
	v_add_min_u32_e64 v6, v5, -1, v4
	s_delay_alu instid0(VALU_DEP_1) | instskip(NEXT) | instid1(VALU_DEP_1)
	v_lshlrev_b64_e32 v[4:5], v6, v[0:1]
	v_min_u32_e32 v4, 1, v4
	s_delay_alu instid0(VALU_DEP_1) | instskip(NEXT) | instid1(VALU_DEP_1)
	v_dual_sub_nc_u32 v5, 32, v6 :: v_dual_bitop2_b32 v4, v5, v4 bitop3:0x54
	v_cvt_f32_i32_e32 v4, v4
	s_delay_alu instid0(VALU_DEP_1) | instskip(NEXT) | instid1(VALU_DEP_1)
	v_ldexp_f32 v4, v4, v5
	v_bfe_u32 v5, v4, 16, 1
	s_delay_alu instid0(VALU_DEP_1)
	v_add3_u32 v4, v4, v5, 0x7fff
	global_store_d16_hi_b16 v[2:3], v4, off
.LBB70_347:
	s_mov_b32 s27, 0
.LBB70_348:
	s_delay_alu instid0(SALU_CYCLE_1)
	s_and_b32 vcc_lo, exec_lo, s27
	s_cbranch_vccz .LBB70_351
; %bb.349:
	s_cmp_eq_u32 s25, 11
	s_mov_b32 s0, -1
	s_cbranch_scc0 .LBB70_351
; %bb.350:
	s_delay_alu instid0(VALU_DEP_1)
	v_cmp_ne_u64_e32 vcc_lo, 0, v[0:1]
	s_mov_b32 s26, -1
	s_mov_b32 s0, 0
	s_wait_xcnt 0x0
	v_cndmask_b32_e64 v4, 0, 1, vcc_lo
	global_store_b8 v[2:3], v4, off
.LBB70_351:
	s_mov_b32 s25, 0
.LBB70_352:
	s_delay_alu instid0(SALU_CYCLE_1)
	s_and_b32 vcc_lo, exec_lo, s25
	s_cbranch_vccz .LBB70_391
; %bb.353:
	s_and_b32 s18, 0xffff, s18
	s_mov_b32 s25, -1
	s_cmp_lt_i32 s18, 5
	s_cbranch_scc1 .LBB70_374
; %bb.354:
	s_cmp_lt_i32 s18, 8
	s_cbranch_scc1 .LBB70_364
; %bb.355:
	;; [unrolled: 3-line block ×3, first 2 shown]
	s_cmp_gt_i32 s18, 9
	s_cbranch_scc0 .LBB70_358
; %bb.357:
	s_wait_xcnt 0x0
	s_delay_alu instid0(VALU_DEP_1) | instskip(NEXT) | instid1(VALU_DEP_2)
	v_cvt_f64_i32_e32 v[4:5], v1
	v_cvt_f64_u32_e32 v[6:7], v0
	s_mov_b32 s25, 0
	s_delay_alu instid0(VALU_DEP_2) | instskip(NEXT) | instid1(VALU_DEP_1)
	v_ldexp_f64 v[4:5], v[4:5], 32
	v_dual_add_f64 v[4:5], v[4:5], v[6:7] :: v_dual_mov_b32 v6, 0
	s_delay_alu instid0(VALU_DEP_1)
	v_mov_b32_e32 v7, v6
	global_store_b128 v[2:3], v[4:7], off
.LBB70_358:
	s_and_not1_b32 vcc_lo, exec_lo, s25
	s_cbranch_vccnz .LBB70_360
; %bb.359:
	s_wait_xcnt 0x0
	s_delay_alu instid0(VALU_DEP_1) | instskip(SKIP_1) | instid1(VALU_DEP_2)
	v_xor_b32_e32 v4, v0, v1
	v_cls_i32_e32 v5, v1
	v_ashrrev_i32_e32 v4, 31, v4
	s_delay_alu instid0(VALU_DEP_1) | instskip(NEXT) | instid1(VALU_DEP_1)
	v_add_nc_u32_e32 v4, 32, v4
	v_add_min_u32_e64 v6, v5, -1, v4
	s_delay_alu instid0(VALU_DEP_1) | instskip(NEXT) | instid1(VALU_DEP_1)
	v_lshlrev_b64_e32 v[4:5], v6, v[0:1]
	v_min_u32_e32 v4, 1, v4
	s_delay_alu instid0(VALU_DEP_1) | instskip(NEXT) | instid1(VALU_DEP_1)
	v_dual_sub_nc_u32 v5, 32, v6 :: v_dual_bitop2_b32 v4, v5, v4 bitop3:0x54
	v_cvt_f32_i32_e32 v4, v4
	s_delay_alu instid0(VALU_DEP_1)
	v_ldexp_f32 v4, v4, v5
	v_mov_b32_e32 v5, 0
	global_store_b64 v[2:3], v[4:5], off
.LBB70_360:
	s_mov_b32 s25, 0
.LBB70_361:
	s_delay_alu instid0(SALU_CYCLE_1)
	s_and_not1_b32 vcc_lo, exec_lo, s25
	s_cbranch_vccnz .LBB70_363
; %bb.362:
	s_wait_xcnt 0x0
	s_delay_alu instid0(VALU_DEP_1) | instskip(SKIP_1) | instid1(VALU_DEP_2)
	v_xor_b32_e32 v4, v0, v1
	v_cls_i32_e32 v5, v1
	v_ashrrev_i32_e32 v4, 31, v4
	s_delay_alu instid0(VALU_DEP_1) | instskip(NEXT) | instid1(VALU_DEP_1)
	v_add_nc_u32_e32 v4, 32, v4
	v_add_min_u32_e64 v6, v5, -1, v4
	s_delay_alu instid0(VALU_DEP_1) | instskip(NEXT) | instid1(VALU_DEP_1)
	v_lshlrev_b64_e32 v[4:5], v6, v[0:1]
	v_min_u32_e32 v4, 1, v4
	s_delay_alu instid0(VALU_DEP_1) | instskip(NEXT) | instid1(VALU_DEP_1)
	v_dual_sub_nc_u32 v5, 32, v6 :: v_dual_bitop2_b32 v4, v5, v4 bitop3:0x54
	v_cvt_f32_i32_e32 v4, v4
	s_delay_alu instid0(VALU_DEP_1) | instskip(NEXT) | instid1(VALU_DEP_1)
	v_ldexp_f32 v4, v4, v5
	v_cvt_f16_f32_e32 v4, v4
	s_delay_alu instid0(VALU_DEP_1)
	v_and_b32_e32 v4, 0xffff, v4
	global_store_b32 v[2:3], v4, off
.LBB70_363:
	s_mov_b32 s25, 0
.LBB70_364:
	s_delay_alu instid0(SALU_CYCLE_1)
	s_and_not1_b32 vcc_lo, exec_lo, s25
	s_cbranch_vccnz .LBB70_373
; %bb.365:
	s_cmp_lt_i32 s18, 6
	s_mov_b32 s25, -1
	s_cbranch_scc1 .LBB70_371
; %bb.366:
	s_cmp_gt_i32 s18, 6
	s_cbranch_scc0 .LBB70_368
; %bb.367:
	s_wait_xcnt 0x0
	s_delay_alu instid0(VALU_DEP_1) | instskip(NEXT) | instid1(VALU_DEP_2)
	v_cvt_f64_i32_e32 v[4:5], v1
	v_cvt_f64_u32_e32 v[6:7], v0
	s_mov_b32 s25, 0
	s_delay_alu instid0(VALU_DEP_2) | instskip(NEXT) | instid1(VALU_DEP_1)
	v_ldexp_f64 v[4:5], v[4:5], 32
	v_add_f64_e32 v[4:5], v[4:5], v[6:7]
	global_store_b64 v[2:3], v[4:5], off
.LBB70_368:
	s_and_not1_b32 vcc_lo, exec_lo, s25
	s_cbranch_vccnz .LBB70_370
; %bb.369:
	s_wait_xcnt 0x0
	s_delay_alu instid0(VALU_DEP_1) | instskip(SKIP_1) | instid1(VALU_DEP_2)
	v_xor_b32_e32 v4, v0, v1
	v_cls_i32_e32 v5, v1
	v_ashrrev_i32_e32 v4, 31, v4
	s_delay_alu instid0(VALU_DEP_1) | instskip(NEXT) | instid1(VALU_DEP_1)
	v_add_nc_u32_e32 v4, 32, v4
	v_add_min_u32_e64 v6, v5, -1, v4
	s_delay_alu instid0(VALU_DEP_1) | instskip(NEXT) | instid1(VALU_DEP_1)
	v_lshlrev_b64_e32 v[4:5], v6, v[0:1]
	v_min_u32_e32 v4, 1, v4
	s_delay_alu instid0(VALU_DEP_1) | instskip(NEXT) | instid1(VALU_DEP_1)
	v_dual_sub_nc_u32 v5, 32, v6 :: v_dual_bitop2_b32 v4, v5, v4 bitop3:0x54
	v_cvt_f32_i32_e32 v4, v4
	s_delay_alu instid0(VALU_DEP_1)
	v_ldexp_f32 v4, v4, v5
	global_store_b32 v[2:3], v4, off
.LBB70_370:
	s_mov_b32 s25, 0
.LBB70_371:
	s_delay_alu instid0(SALU_CYCLE_1)
	s_and_not1_b32 vcc_lo, exec_lo, s25
	s_cbranch_vccnz .LBB70_373
; %bb.372:
	s_wait_xcnt 0x0
	s_delay_alu instid0(VALU_DEP_1) | instskip(SKIP_1) | instid1(VALU_DEP_2)
	v_xor_b32_e32 v4, v0, v1
	v_cls_i32_e32 v5, v1
	v_ashrrev_i32_e32 v4, 31, v4
	s_delay_alu instid0(VALU_DEP_1) | instskip(NEXT) | instid1(VALU_DEP_1)
	v_add_nc_u32_e32 v4, 32, v4
	v_add_min_u32_e64 v6, v5, -1, v4
	s_delay_alu instid0(VALU_DEP_1) | instskip(NEXT) | instid1(VALU_DEP_1)
	v_lshlrev_b64_e32 v[4:5], v6, v[0:1]
	v_min_u32_e32 v4, 1, v4
	s_delay_alu instid0(VALU_DEP_1) | instskip(NEXT) | instid1(VALU_DEP_1)
	v_dual_sub_nc_u32 v5, 32, v6 :: v_dual_bitop2_b32 v4, v5, v4 bitop3:0x54
	v_cvt_f32_i32_e32 v4, v4
	s_delay_alu instid0(VALU_DEP_1) | instskip(NEXT) | instid1(VALU_DEP_1)
	v_ldexp_f32 v4, v4, v5
	v_cvt_f16_f32_e32 v4, v4
	global_store_b16 v[2:3], v4, off
.LBB70_373:
	s_mov_b32 s25, 0
.LBB70_374:
	s_delay_alu instid0(SALU_CYCLE_1)
	s_and_not1_b32 vcc_lo, exec_lo, s25
	s_cbranch_vccnz .LBB70_390
; %bb.375:
	s_cmp_lt_i32 s18, 2
	s_mov_b32 s25, -1
	s_cbranch_scc1 .LBB70_385
; %bb.376:
	s_cmp_lt_i32 s18, 3
	s_cbranch_scc1 .LBB70_382
; %bb.377:
	s_cmp_gt_i32 s18, 3
	s_cbranch_scc0 .LBB70_379
; %bb.378:
	s_mov_b32 s25, 0
	global_store_b64 v[2:3], v[0:1], off
.LBB70_379:
	s_and_not1_b32 vcc_lo, exec_lo, s25
	s_cbranch_vccnz .LBB70_381
; %bb.380:
	global_store_b32 v[2:3], v0, off
.LBB70_381:
	s_mov_b32 s25, 0
.LBB70_382:
	s_delay_alu instid0(SALU_CYCLE_1)
	s_and_not1_b32 vcc_lo, exec_lo, s25
	s_cbranch_vccnz .LBB70_384
; %bb.383:
	global_store_b16 v[2:3], v0, off
.LBB70_384:
	s_mov_b32 s25, 0
.LBB70_385:
	s_delay_alu instid0(SALU_CYCLE_1)
	s_and_not1_b32 vcc_lo, exec_lo, s25
	s_cbranch_vccnz .LBB70_390
; %bb.386:
	s_cmp_gt_i32 s18, 0
	s_mov_b32 s18, -1
	s_cbranch_scc0 .LBB70_388
; %bb.387:
	s_mov_b32 s18, 0
	global_store_b8 v[2:3], v0, off
.LBB70_388:
	s_and_not1_b32 vcc_lo, exec_lo, s18
	s_cbranch_vccnz .LBB70_390
; %bb.389:
	global_store_b8 v[2:3], v0, off
.LBB70_390:
	s_mov_b32 s26, -1
.LBB70_391:
	s_delay_alu instid0(SALU_CYCLE_1)
	s_and_not1_b32 vcc_lo, exec_lo, s26
	s_cbranch_vccnz .LBB70_27
; %bb.392:
	v_add_nc_u32_e32 v18, 0x80, v18
	s_mov_b32 s25, -1
.LBB70_393:
	s_and_b32 s18, s0, exec_lo
	s_and_b32 s20, s20, exec_lo
	;; [unrolled: 1-line block ×4, first 2 shown]
	s_or_not1_b32 s0, s25, exec_lo
.LBB70_394:
	s_wait_xcnt 0x0
	s_or_b32 exec_lo, exec_lo, s23
	s_and_saveexec_b32 s23, s0
	s_cbranch_execz .LBB70_1221
; %bb.395:
	s_mov_b32 s29, -1
	s_mov_b32 s24, s22
	s_mov_b32 s27, s21
	;; [unrolled: 1-line block ×4, first 2 shown]
	s_mov_b32 s28, exec_lo
	v_cmpx_gt_i32_e64 s19, v18
	s_cbranch_execz .LBB70_794
; %bb.396:
	s_and_b32 s24, s16, 0xff
	s_delay_alu instid0(SALU_CYCLE_1)
	s_cmp_lt_i32 s24, 23
	s_cbranch_scc1 .LBB70_400
; %bb.397:
	s_and_b32 s25, 0xffff, s24
	s_delay_alu instid0(SALU_CYCLE_1)
	s_cmp_gt_i32 s25, 43
	s_cbranch_scc0 .LBB70_401
; %bb.398:
	s_cmp_gt_i32 s25, 45
	s_cbranch_scc0 .LBB70_402
; %bb.399:
	s_cmp_eq_u32 s25, 46
	s_mov_b32 s26, 0
	s_cselect_b32 s0, -1, 0
	s_or_b32 s27, s22, exec_lo
	s_branch .LBB70_403
.LBB70_400:
	s_mov_b32 s0, 0
	s_mov_b32 s27, s22
	s_cbranch_execnz .LBB70_409
	s_branch .LBB70_413
.LBB70_401:
	s_mov_b32 s26, -1
	s_mov_b32 s0, 0
	s_mov_b32 s27, s22
	s_branch .LBB70_406
.LBB70_402:
	s_mov_b32 s26, -1
	s_mov_b32 s0, 0
	s_mov_b32 s27, s22
.LBB70_403:
	s_and_not1_b32 vcc_lo, exec_lo, s26
	s_cbranch_vccnz .LBB70_405
; %bb.404:
	s_cmp_eq_u32 s25, 44
	s_cselect_b32 s0, -1, 0
	s_cmp_lg_u32 s25, 44
	s_cselect_b32 s26, -1, 0
	s_and_not1_b32 s27, s27, exec_lo
	s_and_b32 s26, s26, exec_lo
	s_delay_alu instid0(SALU_CYCLE_1)
	s_or_b32 s27, s27, s26
.LBB70_405:
	s_mov_b32 s26, 0
.LBB70_406:
	s_delay_alu instid0(SALU_CYCLE_1)
	s_and_b32 vcc_lo, exec_lo, s26
	s_cbranch_vccz .LBB70_408
; %bb.407:
	s_cmp_lt_i32 s25, 30
	s_cselect_b32 s0, -1, 0
	s_cmp_gt_i32 s25, 29
	s_cselect_b32 s25, -1, 0
	s_and_not1_b32 s26, s27, exec_lo
	s_and_b32 s25, s25, exec_lo
	s_delay_alu instid0(SALU_CYCLE_1)
	s_or_b32 s27, s26, s25
.LBB70_408:
	s_branch .LBB70_413
.LBB70_409:
	s_and_b32 s24, 0xffff, s24
	s_mov_b32 s25, -1
	s_cmp_gt_i32 s24, 14
	s_cbranch_scc0 .LBB70_411
; %bb.410:
	s_cmp_eq_u32 s24, 15
	s_cselect_b32 s0, -1, 0
	s_cmp_lg_u32 s24, 15
	s_cselect_b32 s25, -1, 0
	s_and_not1_b32 s26, s27, exec_lo
	s_and_b32 s27, s25, exec_lo
	s_mov_b32 s25, 0
	s_or_b32 s27, s26, s27
.LBB70_411:
	s_and_not1_b32 vcc_lo, exec_lo, s25
	s_cbranch_vccnz .LBB70_413
; %bb.412:
	s_cmp_lt_i32 s24, 12
	s_cselect_b32 s0, -1, 0
	s_cmp_gt_i32 s24, 11
	s_cselect_b32 s24, -1, 0
	s_and_not1_b32 s25, s27, exec_lo
	s_and_b32 s24, s24, exec_lo
	s_delay_alu instid0(SALU_CYCLE_1)
	s_or_b32 s27, s25, s24
.LBB70_413:
	s_and_b32 vcc_lo, exec_lo, s0
	s_cbranch_vccz .LBB70_421
; %bb.414:
	s_wait_loadcnt 0x0
	v_mul_lo_u32 v0, v18, s4
	s_and_b32 s0, s14, 0xff
	s_delay_alu instid0(SALU_CYCLE_1) | instskip(NEXT) | instid1(VALU_DEP_1)
	s_cmp_lt_i32 s0, 11
	v_ashrrev_i32_e32 v1, 31, v0
	s_delay_alu instid0(VALU_DEP_1)
	v_add_nc_u64_e32 v[2:3], s[8:9], v[0:1]
	s_cbranch_scc1 .LBB70_423
; %bb.415:
	s_and_b32 s25, 0xffff, s0
	s_delay_alu instid0(SALU_CYCLE_1)
	s_cmp_gt_i32 s25, 25
	s_cbranch_scc0 .LBB70_424
; %bb.416:
	s_cmp_gt_i32 s25, 28
	s_cbranch_scc0 .LBB70_425
; %bb.417:
	;; [unrolled: 3-line block ×4, first 2 shown]
	s_cmp_eq_u32 s25, 46
	s_mov_b32 s27, 0
	s_cbranch_scc0 .LBB70_430
; %bb.420:
	global_load_b32 v0, v[2:3], off
	s_mov_b32 s26, -1
	s_mov_b32 s24, 0
	s_wait_loadcnt 0x0
	v_lshlrev_b32_e32 v0, 16, v0
	s_delay_alu instid0(VALU_DEP_1) | instskip(NEXT) | instid1(VALU_DEP_1)
	v_trunc_f32_e32 v0, v0
	v_mul_f32_e64 v1, 0x2f800000, |v0|
	s_delay_alu instid0(VALU_DEP_1) | instskip(NEXT) | instid1(VALU_DEP_1)
	v_floor_f32_e32 v1, v1
	v_fma_f32 v4, 0xcf800000, v1, |v0|
	v_ashrrev_i32_e32 v0, 31, v0
	v_cvt_u32_f32_e32 v5, v1
	s_delay_alu instid0(VALU_DEP_3) | instskip(NEXT) | instid1(VALU_DEP_2)
	v_cvt_u32_f32_e32 v4, v4
	v_dual_mov_b32 v1, v0 :: v_dual_bitop2_b32 v5, v5, v0 bitop3:0x14
	s_delay_alu instid0(VALU_DEP_2) | instskip(NEXT) | instid1(VALU_DEP_1)
	v_xor_b32_e32 v4, v4, v0
	v_sub_nc_u64_e32 v[0:1], v[4:5], v[0:1]
	s_branch .LBB70_432
.LBB70_421:
	s_mov_b32 s29, 0
	s_mov_b32 s0, s18
	;; [unrolled: 1-line block ×4, first 2 shown]
.LBB70_422:
                                        ; implicit-def: $vgpr18
	s_branch .LBB70_793
.LBB70_423:
	s_mov_b32 s25, -1
	s_mov_b32 s26, 0
	s_mov_b32 s24, s21
                                        ; implicit-def: $vgpr0_vgpr1
	s_branch .LBB70_493
.LBB70_424:
	s_mov_b32 s27, -1
	s_mov_b32 s26, 0
	s_mov_b32 s24, s21
                                        ; implicit-def: $vgpr0_vgpr1
	s_branch .LBB70_459
.LBB70_425:
	s_mov_b32 s27, -1
	s_mov_b32 s26, 0
	s_mov_b32 s24, s21
                                        ; implicit-def: $vgpr0_vgpr1
	s_branch .LBB70_442
.LBB70_426:
	s_mov_b32 s27, -1
	s_mov_b32 s26, 0
	s_mov_b32 s24, s21
                                        ; implicit-def: $vgpr0_vgpr1
	s_branch .LBB70_437
.LBB70_427:
	s_mov_b32 s27, -1
	s_mov_b32 s26, 0
	s_mov_b32 s24, s21
	s_branch .LBB70_431
.LBB70_428:
	s_and_not1_saveexec_b32 s28, s28
	s_cbranch_execz .LBB70_304
.LBB70_429:
	v_add_f32_e64 v5, 0x46000000, |v4|
	s_and_not1_b32 s27, s27, exec_lo
	s_delay_alu instid0(VALU_DEP_1) | instskip(NEXT) | instid1(VALU_DEP_1)
	v_and_b32_e32 v5, 0xff, v5
	v_cmp_ne_u32_e32 vcc_lo, 0, v5
	s_and_b32 s29, vcc_lo, exec_lo
	s_delay_alu instid0(SALU_CYCLE_1)
	s_or_b32 s27, s27, s29
	s_or_b32 exec_lo, exec_lo, s28
	v_mov_b32_e32 v6, 0
	s_and_saveexec_b32 s28, s27
	s_cbranch_execnz .LBB70_305
	s_branch .LBB70_306
.LBB70_430:
	s_mov_b32 s24, -1
	s_mov_b32 s26, 0
.LBB70_431:
                                        ; implicit-def: $vgpr0_vgpr1
.LBB70_432:
	s_and_b32 vcc_lo, exec_lo, s27
	s_cbranch_vccz .LBB70_436
; %bb.433:
	s_cmp_eq_u32 s25, 44
	s_cbranch_scc0 .LBB70_435
; %bb.434:
	global_load_u8 v6, v[2:3], off
	s_mov_b32 s24, 0
	s_mov_b32 s26, -1
	s_wait_loadcnt 0x0
	v_cmp_ne_u32_e32 vcc_lo, 0, v6
	v_lshlrev_b32_e32 v0, 23, v6
	s_delay_alu instid0(VALU_DEP_1) | instskip(NEXT) | instid1(VALU_DEP_1)
	v_trunc_f32_e32 v0, v0
	v_mul_f32_e64 v1, 0x2f800000, |v0|
	s_delay_alu instid0(VALU_DEP_1) | instskip(NEXT) | instid1(VALU_DEP_1)
	v_floor_f32_e32 v1, v1
	v_fma_f32 v4, 0xcf800000, v1, |v0|
	v_ashrrev_i32_e32 v0, 31, v0
	v_cvt_u32_f32_e32 v5, v1
	s_delay_alu instid0(VALU_DEP_3) | instskip(NEXT) | instid1(VALU_DEP_2)
	v_cvt_u32_f32_e32 v4, v4
	v_dual_mov_b32 v1, v0 :: v_dual_bitop2_b32 v5, v5, v0 bitop3:0x14
	s_delay_alu instid0(VALU_DEP_2) | instskip(NEXT) | instid1(VALU_DEP_1)
	v_xor_b32_e32 v4, v4, v0
	v_sub_nc_u64_e32 v[0:1], v[4:5], v[0:1]
	s_delay_alu instid0(VALU_DEP_1)
	v_dual_cndmask_b32 v1, 0, v1 :: v_dual_cndmask_b32 v0, 0, v0
	s_branch .LBB70_436
.LBB70_435:
	s_mov_b32 s24, -1
                                        ; implicit-def: $vgpr0_vgpr1
.LBB70_436:
	s_mov_b32 s27, 0
.LBB70_437:
	s_delay_alu instid0(SALU_CYCLE_1)
	s_and_b32 vcc_lo, exec_lo, s27
	s_cbranch_vccz .LBB70_441
; %bb.438:
	s_cmp_eq_u32 s25, 29
	s_cbranch_scc0 .LBB70_440
; %bb.439:
	global_load_b64 v[0:1], v[2:3], off
	s_mov_b32 s26, -1
	s_mov_b32 s24, 0
	s_branch .LBB70_441
.LBB70_440:
	s_mov_b32 s24, -1
                                        ; implicit-def: $vgpr0_vgpr1
.LBB70_441:
	s_mov_b32 s27, 0
.LBB70_442:
	s_delay_alu instid0(SALU_CYCLE_1)
	s_and_b32 vcc_lo, exec_lo, s27
	s_cbranch_vccz .LBB70_458
; %bb.443:
	s_cmp_lt_i32 s25, 27
	s_cbranch_scc1 .LBB70_446
; %bb.444:
	s_cmp_gt_i32 s25, 27
	s_cbranch_scc0 .LBB70_447
; %bb.445:
	s_wait_loadcnt 0x0
	global_load_b32 v0, v[2:3], off
	v_mov_b32_e32 v1, 0
	s_mov_b32 s26, 0
	s_branch .LBB70_448
.LBB70_446:
	s_mov_b32 s26, -1
                                        ; implicit-def: $vgpr0_vgpr1
	s_branch .LBB70_451
.LBB70_447:
	s_mov_b32 s26, -1
                                        ; implicit-def: $vgpr0_vgpr1
.LBB70_448:
	s_delay_alu instid0(SALU_CYCLE_1)
	s_and_not1_b32 vcc_lo, exec_lo, s26
	s_cbranch_vccnz .LBB70_450
; %bb.449:
	s_wait_loadcnt 0x0
	global_load_u16 v0, v[2:3], off
	s_mov_b32 s26, 0
	s_delay_alu instid0(SALU_CYCLE_1)
	v_mov_b32_e32 v1, s26
	s_wait_loadcnt 0x0
	v_and_b32_e32 v0, 0xffff, v0
.LBB70_450:
	s_mov_b32 s26, 0
.LBB70_451:
	s_delay_alu instid0(SALU_CYCLE_1)
	s_and_not1_b32 vcc_lo, exec_lo, s26
	s_cbranch_vccnz .LBB70_457
; %bb.452:
	global_load_u8 v4, v[2:3], off
	s_mov_b32 s27, 0
	s_mov_b32 s26, exec_lo
	s_wait_loadcnt 0x0
	v_cmpx_lt_i16_e32 0x7f, v4
	s_xor_b32 s26, exec_lo, s26
	s_cbranch_execz .LBB70_469
; %bb.453:
	v_cmp_ne_u16_e32 vcc_lo, 0x80, v4
	s_and_b32 s27, vcc_lo, exec_lo
	s_and_not1_saveexec_b32 s26, s26
	s_cbranch_execnz .LBB70_470
.LBB70_454:
	s_or_b32 exec_lo, exec_lo, s26
	v_mov_b64_e32 v[0:1], 0
	s_and_saveexec_b32 s26, s27
	s_cbranch_execz .LBB70_456
.LBB70_455:
	v_and_b32_e32 v0, 0xffff, v4
	s_delay_alu instid0(VALU_DEP_1) | instskip(SKIP_1) | instid1(VALU_DEP_2)
	v_and_b32_e32 v1, 7, v0
	v_bfe_u32 v7, v0, 3, 4
	v_clz_i32_u32_e32 v5, v1
	s_delay_alu instid0(VALU_DEP_2) | instskip(NEXT) | instid1(VALU_DEP_2)
	v_cmp_eq_u32_e32 vcc_lo, 0, v7
	v_min_u32_e32 v5, 32, v5
	s_delay_alu instid0(VALU_DEP_1) | instskip(NEXT) | instid1(VALU_DEP_1)
	v_subrev_nc_u32_e32 v6, 28, v5
	v_dual_lshlrev_b32 v0, v6, v0 :: v_dual_sub_nc_u32 v5, 29, v5
	s_delay_alu instid0(VALU_DEP_1) | instskip(NEXT) | instid1(VALU_DEP_2)
	v_and_b32_e32 v0, 7, v0
	v_dual_cndmask_b32 v5, v7, v5 :: v_dual_lshlrev_b32 v4, 24, v4
	s_delay_alu instid0(VALU_DEP_2) | instskip(NEXT) | instid1(VALU_DEP_2)
	v_cndmask_b32_e32 v0, v1, v0, vcc_lo
	v_and_b32_e32 v1, 0x80000000, v4
	s_delay_alu instid0(VALU_DEP_3) | instskip(NEXT) | instid1(VALU_DEP_3)
	v_lshl_add_u32 v4, v5, 23, 0x3b800000
	v_lshlrev_b32_e32 v0, 20, v0
	s_delay_alu instid0(VALU_DEP_1) | instskip(NEXT) | instid1(VALU_DEP_1)
	v_or3_b32 v0, v1, v4, v0
	v_trunc_f32_e32 v0, v0
	s_delay_alu instid0(VALU_DEP_1) | instskip(NEXT) | instid1(VALU_DEP_1)
	v_mul_f32_e64 v1, 0x2f800000, |v0|
	v_floor_f32_e32 v1, v1
	s_delay_alu instid0(VALU_DEP_1) | instskip(SKIP_2) | instid1(VALU_DEP_3)
	v_fma_f32 v4, 0xcf800000, v1, |v0|
	v_ashrrev_i32_e32 v0, 31, v0
	v_cvt_u32_f32_e32 v5, v1
	v_cvt_u32_f32_e32 v4, v4
	s_delay_alu instid0(VALU_DEP_2) | instskip(NEXT) | instid1(VALU_DEP_2)
	v_dual_mov_b32 v1, v0 :: v_dual_bitop2_b32 v5, v5, v0 bitop3:0x14
	v_xor_b32_e32 v4, v4, v0
	s_delay_alu instid0(VALU_DEP_1)
	v_sub_nc_u64_e32 v[0:1], v[4:5], v[0:1]
.LBB70_456:
	s_or_b32 exec_lo, exec_lo, s26
.LBB70_457:
	s_mov_b32 s26, -1
.LBB70_458:
	s_mov_b32 s27, 0
.LBB70_459:
	s_delay_alu instid0(SALU_CYCLE_1)
	s_and_b32 vcc_lo, exec_lo, s27
	s_cbranch_vccz .LBB70_492
; %bb.460:
	s_cmp_gt_i32 s25, 22
	s_cbranch_scc0 .LBB70_468
; %bb.461:
	s_cmp_lt_i32 s25, 24
	s_cbranch_scc1 .LBB70_471
; %bb.462:
	s_cmp_gt_i32 s25, 24
	s_cbranch_scc0 .LBB70_472
; %bb.463:
	global_load_u8 v4, v[2:3], off
	s_mov_b32 s27, 0
	s_mov_b32 s26, exec_lo
	s_wait_loadcnt 0x0
	v_cmpx_lt_i16_e32 0x7f, v4
	s_xor_b32 s26, exec_lo, s26
	s_cbranch_execz .LBB70_484
; %bb.464:
	v_cmp_ne_u16_e32 vcc_lo, 0x80, v4
	s_and_b32 s27, vcc_lo, exec_lo
	s_and_not1_saveexec_b32 s26, s26
	s_cbranch_execnz .LBB70_485
.LBB70_465:
	s_or_b32 exec_lo, exec_lo, s26
	v_mov_b64_e32 v[0:1], 0
	s_and_saveexec_b32 s26, s27
	s_cbranch_execz .LBB70_467
.LBB70_466:
	v_and_b32_e32 v0, 0xffff, v4
	s_delay_alu instid0(VALU_DEP_1) | instskip(SKIP_1) | instid1(VALU_DEP_2)
	v_and_b32_e32 v1, 3, v0
	v_bfe_u32 v7, v0, 2, 5
	v_clz_i32_u32_e32 v5, v1
	s_delay_alu instid0(VALU_DEP_2) | instskip(NEXT) | instid1(VALU_DEP_2)
	v_cmp_eq_u32_e32 vcc_lo, 0, v7
	v_min_u32_e32 v5, 32, v5
	s_delay_alu instid0(VALU_DEP_1) | instskip(NEXT) | instid1(VALU_DEP_1)
	v_subrev_nc_u32_e32 v6, 29, v5
	v_dual_lshlrev_b32 v0, v6, v0 :: v_dual_sub_nc_u32 v5, 30, v5
	s_delay_alu instid0(VALU_DEP_1) | instskip(NEXT) | instid1(VALU_DEP_2)
	v_and_b32_e32 v0, 3, v0
	v_dual_cndmask_b32 v5, v7, v5 :: v_dual_lshlrev_b32 v4, 24, v4
	s_delay_alu instid0(VALU_DEP_2) | instskip(NEXT) | instid1(VALU_DEP_2)
	v_cndmask_b32_e32 v0, v1, v0, vcc_lo
	v_and_b32_e32 v1, 0x80000000, v4
	s_delay_alu instid0(VALU_DEP_3) | instskip(NEXT) | instid1(VALU_DEP_3)
	v_lshl_add_u32 v4, v5, 23, 0x37800000
	v_lshlrev_b32_e32 v0, 21, v0
	s_delay_alu instid0(VALU_DEP_1) | instskip(NEXT) | instid1(VALU_DEP_1)
	v_or3_b32 v0, v1, v4, v0
	v_trunc_f32_e32 v0, v0
	s_delay_alu instid0(VALU_DEP_1) | instskip(NEXT) | instid1(VALU_DEP_1)
	v_mul_f32_e64 v1, 0x2f800000, |v0|
	v_floor_f32_e32 v1, v1
	s_delay_alu instid0(VALU_DEP_1) | instskip(SKIP_2) | instid1(VALU_DEP_3)
	v_fma_f32 v4, 0xcf800000, v1, |v0|
	v_ashrrev_i32_e32 v0, 31, v0
	v_cvt_u32_f32_e32 v5, v1
	v_cvt_u32_f32_e32 v4, v4
	s_delay_alu instid0(VALU_DEP_2) | instskip(NEXT) | instid1(VALU_DEP_2)
	v_dual_mov_b32 v1, v0 :: v_dual_bitop2_b32 v5, v5, v0 bitop3:0x14
	v_xor_b32_e32 v4, v4, v0
	s_delay_alu instid0(VALU_DEP_1)
	v_sub_nc_u64_e32 v[0:1], v[4:5], v[0:1]
.LBB70_467:
	s_or_b32 exec_lo, exec_lo, s26
	s_mov_b32 s26, 0
	s_branch .LBB70_473
.LBB70_468:
	s_mov_b32 s27, -1
                                        ; implicit-def: $vgpr0_vgpr1
	s_branch .LBB70_479
.LBB70_469:
	s_and_not1_saveexec_b32 s26, s26
	s_cbranch_execz .LBB70_454
.LBB70_470:
	v_cmp_ne_u16_e32 vcc_lo, 0, v4
	s_and_not1_b32 s27, s27, exec_lo
	s_and_b32 s29, vcc_lo, exec_lo
	s_delay_alu instid0(SALU_CYCLE_1)
	s_or_b32 s27, s27, s29
	s_or_b32 exec_lo, exec_lo, s26
	v_mov_b64_e32 v[0:1], 0
	s_and_saveexec_b32 s26, s27
	s_cbranch_execnz .LBB70_455
	s_branch .LBB70_456
.LBB70_471:
	s_mov_b32 s26, -1
                                        ; implicit-def: $vgpr0_vgpr1
	s_branch .LBB70_476
.LBB70_472:
	s_mov_b32 s26, -1
                                        ; implicit-def: $vgpr0_vgpr1
.LBB70_473:
	s_delay_alu instid0(SALU_CYCLE_1)
	s_and_b32 vcc_lo, exec_lo, s26
	s_cbranch_vccz .LBB70_475
; %bb.474:
	s_wait_loadcnt 0x0
	global_load_u8 v0, v[2:3], off
	s_wait_loadcnt 0x0
	v_lshlrev_b32_e32 v0, 24, v0
	s_delay_alu instid0(VALU_DEP_1) | instskip(NEXT) | instid1(VALU_DEP_1)
	v_and_b32_e32 v1, 0x7f000000, v0
	v_clz_i32_u32_e32 v4, v1
	v_cmp_ne_u32_e32 vcc_lo, 0, v1
	v_add_nc_u32_e32 v6, 0x1000000, v1
	s_delay_alu instid0(VALU_DEP_3) | instskip(NEXT) | instid1(VALU_DEP_1)
	v_min_u32_e32 v4, 32, v4
	v_sub_nc_u32_e64 v4, v4, 4 clamp
	s_delay_alu instid0(VALU_DEP_1) | instskip(NEXT) | instid1(VALU_DEP_1)
	v_dual_lshlrev_b32 v5, v4, v1 :: v_dual_lshlrev_b32 v4, 23, v4
	v_lshrrev_b32_e32 v5, 4, v5
	s_delay_alu instid0(VALU_DEP_1) | instskip(NEXT) | instid1(VALU_DEP_1)
	v_dual_sub_nc_u32 v4, v5, v4 :: v_dual_ashrrev_i32 v5, 8, v6
	v_add_nc_u32_e32 v4, 0x3c000000, v4
	s_delay_alu instid0(VALU_DEP_1) | instskip(NEXT) | instid1(VALU_DEP_1)
	v_and_or_b32 v4, 0x7f800000, v5, v4
	v_cndmask_b32_e32 v1, 0, v4, vcc_lo
	s_delay_alu instid0(VALU_DEP_1) | instskip(NEXT) | instid1(VALU_DEP_1)
	v_and_or_b32 v0, 0x80000000, v0, v1
	v_trunc_f32_e32 v0, v0
	s_delay_alu instid0(VALU_DEP_1) | instskip(NEXT) | instid1(VALU_DEP_1)
	v_mul_f32_e64 v1, 0x2f800000, |v0|
	v_floor_f32_e32 v1, v1
	s_delay_alu instid0(VALU_DEP_1) | instskip(SKIP_2) | instid1(VALU_DEP_3)
	v_fma_f32 v4, 0xcf800000, v1, |v0|
	v_ashrrev_i32_e32 v0, 31, v0
	v_cvt_u32_f32_e32 v5, v1
	v_cvt_u32_f32_e32 v4, v4
	s_delay_alu instid0(VALU_DEP_2) | instskip(NEXT) | instid1(VALU_DEP_2)
	v_dual_mov_b32 v1, v0 :: v_dual_bitop2_b32 v5, v5, v0 bitop3:0x14
	v_xor_b32_e32 v4, v4, v0
	s_delay_alu instid0(VALU_DEP_1)
	v_sub_nc_u64_e32 v[0:1], v[4:5], v[0:1]
.LBB70_475:
	s_mov_b32 s26, 0
.LBB70_476:
	s_delay_alu instid0(SALU_CYCLE_1)
	s_and_not1_b32 vcc_lo, exec_lo, s26
	s_cbranch_vccnz .LBB70_478
; %bb.477:
	s_wait_loadcnt 0x0
	global_load_u8 v0, v[2:3], off
	s_wait_loadcnt 0x0
	v_lshlrev_b32_e32 v1, 25, v0
	v_lshlrev_b16 v0, 8, v0
	s_delay_alu instid0(VALU_DEP_1) | instskip(SKIP_1) | instid1(VALU_DEP_2)
	v_and_or_b32 v5, 0x7f00, v0, 0.5
	v_bfe_i32 v0, v0, 0, 16
	v_add_f32_e32 v5, -0.5, v5
	v_lshrrev_b32_e32 v4, 4, v1
	v_cmp_gt_u32_e32 vcc_lo, 0x8000000, v1
	s_delay_alu instid0(VALU_DEP_2) | instskip(NEXT) | instid1(VALU_DEP_1)
	v_or_b32_e32 v4, 0x70000000, v4
	v_mul_f32_e32 v4, 0x7800000, v4
	s_delay_alu instid0(VALU_DEP_1) | instskip(NEXT) | instid1(VALU_DEP_1)
	v_cndmask_b32_e32 v1, v4, v5, vcc_lo
	v_and_or_b32 v0, 0x80000000, v0, v1
	s_delay_alu instid0(VALU_DEP_1) | instskip(NEXT) | instid1(VALU_DEP_1)
	v_trunc_f32_e32 v0, v0
	v_mul_f32_e64 v1, 0x2f800000, |v0|
	s_delay_alu instid0(VALU_DEP_1) | instskip(NEXT) | instid1(VALU_DEP_1)
	v_floor_f32_e32 v1, v1
	v_fma_f32 v4, 0xcf800000, v1, |v0|
	v_ashrrev_i32_e32 v0, 31, v0
	v_cvt_u32_f32_e32 v5, v1
	s_delay_alu instid0(VALU_DEP_3) | instskip(NEXT) | instid1(VALU_DEP_2)
	v_cvt_u32_f32_e32 v4, v4
	v_dual_mov_b32 v1, v0 :: v_dual_bitop2_b32 v5, v5, v0 bitop3:0x14
	s_delay_alu instid0(VALU_DEP_2) | instskip(NEXT) | instid1(VALU_DEP_1)
	v_xor_b32_e32 v4, v4, v0
	v_sub_nc_u64_e32 v[0:1], v[4:5], v[0:1]
.LBB70_478:
	s_mov_b32 s27, 0
	s_mov_b32 s26, -1
.LBB70_479:
	s_and_not1_b32 vcc_lo, exec_lo, s27
	s_cbranch_vccnz .LBB70_492
; %bb.480:
	s_cmp_gt_i32 s25, 14
	s_cbranch_scc0 .LBB70_483
; %bb.481:
	s_cmp_eq_u32 s25, 15
	s_cbranch_scc0 .LBB70_486
; %bb.482:
	s_wait_loadcnt 0x0
	global_load_u16 v0, v[2:3], off
	s_mov_b32 s26, -1
	s_mov_b32 s24, 0
	s_wait_loadcnt 0x0
	v_lshlrev_b32_e32 v0, 16, v0
	s_delay_alu instid0(VALU_DEP_1) | instskip(NEXT) | instid1(VALU_DEP_1)
	v_trunc_f32_e32 v0, v0
	v_mul_f32_e64 v1, 0x2f800000, |v0|
	s_delay_alu instid0(VALU_DEP_1) | instskip(NEXT) | instid1(VALU_DEP_1)
	v_floor_f32_e32 v1, v1
	v_fma_f32 v4, 0xcf800000, v1, |v0|
	v_ashrrev_i32_e32 v0, 31, v0
	v_cvt_u32_f32_e32 v5, v1
	s_delay_alu instid0(VALU_DEP_3) | instskip(NEXT) | instid1(VALU_DEP_2)
	v_cvt_u32_f32_e32 v4, v4
	v_dual_mov_b32 v1, v0 :: v_dual_bitop2_b32 v5, v5, v0 bitop3:0x14
	s_delay_alu instid0(VALU_DEP_2) | instskip(NEXT) | instid1(VALU_DEP_1)
	v_xor_b32_e32 v4, v4, v0
	v_sub_nc_u64_e32 v[0:1], v[4:5], v[0:1]
	s_branch .LBB70_487
.LBB70_483:
	s_mov_b32 s27, -1
                                        ; implicit-def: $vgpr0_vgpr1
	s_branch .LBB70_488
.LBB70_484:
	s_and_not1_saveexec_b32 s26, s26
	s_cbranch_execz .LBB70_465
.LBB70_485:
	v_cmp_ne_u16_e32 vcc_lo, 0, v4
	s_and_not1_b32 s27, s27, exec_lo
	s_and_b32 s29, vcc_lo, exec_lo
	s_delay_alu instid0(SALU_CYCLE_1)
	s_or_b32 s27, s27, s29
	s_or_b32 exec_lo, exec_lo, s26
	v_mov_b64_e32 v[0:1], 0
	s_and_saveexec_b32 s26, s27
	s_cbranch_execnz .LBB70_466
	s_branch .LBB70_467
.LBB70_486:
	s_mov_b32 s24, -1
                                        ; implicit-def: $vgpr0_vgpr1
.LBB70_487:
	s_mov_b32 s27, 0
.LBB70_488:
	s_delay_alu instid0(SALU_CYCLE_1)
	s_and_b32 vcc_lo, exec_lo, s27
	s_cbranch_vccz .LBB70_492
; %bb.489:
	s_cmp_eq_u32 s25, 11
	s_cbranch_scc0 .LBB70_491
; %bb.490:
	s_wait_loadcnt 0x0
	global_load_u8 v0, v[2:3], off
	s_mov_b32 s24, 0
	s_mov_b32 s26, -1
	v_mov_b32_e32 v1, s24
	s_wait_loadcnt 0x0
	v_cmp_ne_u16_e32 vcc_lo, 0, v0
	v_cndmask_b32_e64 v0, 0, 1, vcc_lo
	s_branch .LBB70_492
.LBB70_491:
	s_mov_b32 s24, -1
                                        ; implicit-def: $vgpr0_vgpr1
.LBB70_492:
	s_mov_b32 s25, 0
.LBB70_493:
	s_delay_alu instid0(SALU_CYCLE_1)
	s_and_b32 vcc_lo, exec_lo, s25
	s_cbranch_vccz .LBB70_542
; %bb.494:
	s_and_b32 s0, 0xffff, s0
	s_delay_alu instid0(SALU_CYCLE_1)
	s_cmp_lt_i32 s0, 5
	s_cbranch_scc1 .LBB70_499
; %bb.495:
	s_cmp_lt_i32 s0, 8
	s_cbranch_scc1 .LBB70_500
; %bb.496:
	;; [unrolled: 3-line block ×3, first 2 shown]
	s_cmp_gt_i32 s0, 9
	s_cbranch_scc0 .LBB70_502
; %bb.498:
	s_wait_loadcnt 0x0
	global_load_b64 v[0:1], v[2:3], off
	s_mov_b32 s25, 0
	s_wait_loadcnt 0x0
	v_trunc_f64_e32 v[0:1], v[0:1]
	s_delay_alu instid0(VALU_DEP_1) | instskip(NEXT) | instid1(VALU_DEP_1)
	v_ldexp_f64 v[4:5], v[0:1], 0xffffffe0
	v_floor_f64_e32 v[4:5], v[4:5]
	s_delay_alu instid0(VALU_DEP_1) | instskip(SKIP_1) | instid1(VALU_DEP_2)
	v_fmamk_f64 v[6:7], v[4:5], 0xc1f00000, v[0:1]
	v_cvt_i32_f64_e32 v1, v[4:5]
	v_cvt_u32_f64_e32 v0, v[6:7]
	s_branch .LBB70_503
.LBB70_499:
	s_mov_b32 s25, -1
                                        ; implicit-def: $vgpr0_vgpr1
	s_branch .LBB70_521
.LBB70_500:
	s_mov_b32 s25, -1
                                        ; implicit-def: $vgpr0_vgpr1
	s_branch .LBB70_509
.LBB70_501:
	s_mov_b32 s25, -1
                                        ; implicit-def: $vgpr0_vgpr1
	s_branch .LBB70_506
.LBB70_502:
	s_mov_b32 s25, -1
                                        ; implicit-def: $vgpr0_vgpr1
.LBB70_503:
	s_delay_alu instid0(SALU_CYCLE_1)
	s_and_not1_b32 vcc_lo, exec_lo, s25
	s_cbranch_vccnz .LBB70_505
; %bb.504:
	s_wait_loadcnt 0x0
	global_load_b32 v0, v[2:3], off
	s_wait_loadcnt 0x0
	v_trunc_f32_e32 v0, v0
	s_delay_alu instid0(VALU_DEP_1) | instskip(NEXT) | instid1(VALU_DEP_1)
	v_mul_f32_e64 v1, 0x2f800000, |v0|
	v_floor_f32_e32 v1, v1
	s_delay_alu instid0(VALU_DEP_1) | instskip(SKIP_2) | instid1(VALU_DEP_3)
	v_fma_f32 v4, 0xcf800000, v1, |v0|
	v_ashrrev_i32_e32 v0, 31, v0
	v_cvt_u32_f32_e32 v5, v1
	v_cvt_u32_f32_e32 v4, v4
	s_delay_alu instid0(VALU_DEP_2) | instskip(NEXT) | instid1(VALU_DEP_2)
	v_dual_mov_b32 v1, v0 :: v_dual_bitop2_b32 v5, v5, v0 bitop3:0x14
	v_xor_b32_e32 v4, v4, v0
	s_delay_alu instid0(VALU_DEP_1)
	v_sub_nc_u64_e32 v[0:1], v[4:5], v[0:1]
.LBB70_505:
	s_mov_b32 s25, 0
.LBB70_506:
	s_delay_alu instid0(SALU_CYCLE_1)
	s_and_not1_b32 vcc_lo, exec_lo, s25
	s_cbranch_vccnz .LBB70_508
; %bb.507:
	s_wait_loadcnt 0x0
	global_load_b32 v0, v[2:3], off
	s_wait_loadcnt 0x0
	v_cvt_f32_f16_e32 v0, v0
	s_delay_alu instid0(VALU_DEP_1) | instskip(NEXT) | instid1(VALU_DEP_1)
	v_cvt_i32_f32_e32 v0, v0
	v_ashrrev_i32_e32 v1, 31, v0
.LBB70_508:
	s_mov_b32 s25, 0
.LBB70_509:
	s_delay_alu instid0(SALU_CYCLE_1)
	s_and_not1_b32 vcc_lo, exec_lo, s25
	s_cbranch_vccnz .LBB70_520
; %bb.510:
	s_cmp_lt_i32 s0, 6
	s_cbranch_scc1 .LBB70_513
; %bb.511:
	s_cmp_gt_i32 s0, 6
	s_cbranch_scc0 .LBB70_514
; %bb.512:
	s_wait_loadcnt 0x0
	global_load_b64 v[0:1], v[2:3], off
	s_mov_b32 s25, 0
	s_wait_loadcnt 0x0
	v_trunc_f64_e32 v[0:1], v[0:1]
	s_delay_alu instid0(VALU_DEP_1) | instskip(NEXT) | instid1(VALU_DEP_1)
	v_ldexp_f64 v[4:5], v[0:1], 0xffffffe0
	v_floor_f64_e32 v[4:5], v[4:5]
	s_delay_alu instid0(VALU_DEP_1) | instskip(SKIP_1) | instid1(VALU_DEP_2)
	v_fmamk_f64 v[6:7], v[4:5], 0xc1f00000, v[0:1]
	v_cvt_i32_f64_e32 v1, v[4:5]
	v_cvt_u32_f64_e32 v0, v[6:7]
	s_branch .LBB70_515
.LBB70_513:
	s_mov_b32 s25, -1
                                        ; implicit-def: $vgpr0_vgpr1
	s_branch .LBB70_518
.LBB70_514:
	s_mov_b32 s25, -1
                                        ; implicit-def: $vgpr0_vgpr1
.LBB70_515:
	s_delay_alu instid0(SALU_CYCLE_1)
	s_and_not1_b32 vcc_lo, exec_lo, s25
	s_cbranch_vccnz .LBB70_517
; %bb.516:
	s_wait_loadcnt 0x0
	global_load_b32 v0, v[2:3], off
	s_wait_loadcnt 0x0
	v_trunc_f32_e32 v0, v0
	s_delay_alu instid0(VALU_DEP_1) | instskip(NEXT) | instid1(VALU_DEP_1)
	v_mul_f32_e64 v1, 0x2f800000, |v0|
	v_floor_f32_e32 v1, v1
	s_delay_alu instid0(VALU_DEP_1) | instskip(SKIP_2) | instid1(VALU_DEP_3)
	v_fma_f32 v4, 0xcf800000, v1, |v0|
	v_ashrrev_i32_e32 v0, 31, v0
	v_cvt_u32_f32_e32 v5, v1
	v_cvt_u32_f32_e32 v4, v4
	s_delay_alu instid0(VALU_DEP_2) | instskip(NEXT) | instid1(VALU_DEP_2)
	v_dual_mov_b32 v1, v0 :: v_dual_bitop2_b32 v5, v5, v0 bitop3:0x14
	v_xor_b32_e32 v4, v4, v0
	s_delay_alu instid0(VALU_DEP_1)
	v_sub_nc_u64_e32 v[0:1], v[4:5], v[0:1]
.LBB70_517:
	s_mov_b32 s25, 0
.LBB70_518:
	s_delay_alu instid0(SALU_CYCLE_1)
	s_and_not1_b32 vcc_lo, exec_lo, s25
	s_cbranch_vccnz .LBB70_520
; %bb.519:
	s_wait_loadcnt 0x0
	global_load_u16 v0, v[2:3], off
	s_wait_loadcnt 0x0
	v_cvt_f32_f16_e32 v0, v0
	s_delay_alu instid0(VALU_DEP_1) | instskip(NEXT) | instid1(VALU_DEP_1)
	v_cvt_i32_f32_e32 v0, v0
	v_ashrrev_i32_e32 v1, 31, v0
.LBB70_520:
	s_mov_b32 s25, 0
.LBB70_521:
	s_delay_alu instid0(SALU_CYCLE_1)
	s_and_not1_b32 vcc_lo, exec_lo, s25
	s_cbranch_vccnz .LBB70_541
; %bb.522:
	s_cmp_lt_i32 s0, 2
	s_cbranch_scc1 .LBB70_526
; %bb.523:
	s_cmp_lt_i32 s0, 3
	s_cbranch_scc1 .LBB70_527
; %bb.524:
	s_cmp_gt_i32 s0, 3
	s_cbranch_scc0 .LBB70_528
; %bb.525:
	s_wait_loadcnt 0x0
	global_load_b64 v[0:1], v[2:3], off
	s_mov_b32 s25, 0
	s_branch .LBB70_529
.LBB70_526:
	s_mov_b32 s25, -1
                                        ; implicit-def: $vgpr0_vgpr1
	s_branch .LBB70_535
.LBB70_527:
	s_mov_b32 s25, -1
                                        ; implicit-def: $vgpr0_vgpr1
	s_branch .LBB70_532
.LBB70_528:
	s_mov_b32 s25, -1
                                        ; implicit-def: $vgpr0_vgpr1
.LBB70_529:
	s_delay_alu instid0(SALU_CYCLE_1)
	s_and_not1_b32 vcc_lo, exec_lo, s25
	s_cbranch_vccnz .LBB70_531
; %bb.530:
	s_wait_loadcnt 0x0
	global_load_b32 v0, v[2:3], off
	s_wait_loadcnt 0x0
	v_ashrrev_i32_e32 v1, 31, v0
.LBB70_531:
	s_mov_b32 s25, 0
.LBB70_532:
	s_delay_alu instid0(SALU_CYCLE_1)
	s_and_not1_b32 vcc_lo, exec_lo, s25
	s_cbranch_vccnz .LBB70_534
; %bb.533:
	s_wait_loadcnt 0x0
	global_load_u16 v0, v[2:3], off
	s_wait_loadcnt 0x0
	v_bfe_i32 v0, v0, 0, 16
	s_delay_alu instid0(VALU_DEP_1)
	v_ashrrev_i32_e32 v1, 31, v0
.LBB70_534:
	s_mov_b32 s25, 0
.LBB70_535:
	s_delay_alu instid0(SALU_CYCLE_1)
	s_and_not1_b32 vcc_lo, exec_lo, s25
	s_cbranch_vccnz .LBB70_541
; %bb.536:
	s_cmp_gt_i32 s0, 0
	s_mov_b32 s0, 0
	s_cbranch_scc0 .LBB70_538
; %bb.537:
	s_wait_loadcnt 0x0
	global_load_i8 v0, v[2:3], off
	s_wait_loadcnt 0x0
	v_bfe_i32 v0, v0, 0, 16
	s_delay_alu instid0(VALU_DEP_1)
	v_ashrrev_i32_e32 v1, 31, v0
	s_branch .LBB70_539
.LBB70_538:
	s_mov_b32 s0, -1
                                        ; implicit-def: $vgpr0_vgpr1
.LBB70_539:
	s_delay_alu instid0(SALU_CYCLE_1)
	s_and_not1_b32 vcc_lo, exec_lo, s0
	s_cbranch_vccnz .LBB70_541
; %bb.540:
	s_wait_loadcnt 0x0
	global_load_u8 v0, v[2:3], off
	s_mov_b32 s0, 0
	s_delay_alu instid0(SALU_CYCLE_1)
	v_mov_b32_e32 v1, s0
	s_wait_loadcnt 0x0
	v_and_b32_e32 v0, 0xffff, v0
.LBB70_541:
	s_mov_b32 s26, -1
.LBB70_542:
	s_mov_b32 s27, 0
	s_mov_b32 s0, s18
	s_and_not1_b32 vcc_lo, exec_lo, s26
	s_mov_b32 s25, s20
	s_mov_b32 s29, 0
	s_cbranch_vccnz .LBB70_793
; %bb.543:
	s_wait_xcnt 0x0
	v_mul_lo_u32 v2, v18, s5
	s_and_b32 s0, 0xffff, s1
	s_delay_alu instid0(SALU_CYCLE_1) | instskip(NEXT) | instid1(VALU_DEP_1)
	s_cmp_lt_i32 s0, 11
	v_ashrrev_i32_e32 v3, 31, v2
	s_delay_alu instid0(VALU_DEP_1)
	v_add_nc_u64_e32 v[2:3], s[10:11], v[2:3]
	s_cbranch_scc1 .LBB70_550
; %bb.544:
	s_cmp_gt_i32 s0, 25
	s_cbranch_scc0 .LBB70_551
; %bb.545:
	s_cmp_gt_i32 s0, 28
	s_cbranch_scc0 .LBB70_552
	;; [unrolled: 3-line block ×4, first 2 shown]
; %bb.548:
	s_cmp_eq_u32 s0, 46
	s_cbranch_scc0 .LBB70_557
; %bb.549:
	global_load_b32 v4, v[2:3], off
	s_mov_b32 s26, -1
	s_mov_b32 s25, 0
	s_wait_loadcnt 0x0
	v_lshlrev_b32_e32 v4, 16, v4
	s_delay_alu instid0(VALU_DEP_1) | instskip(NEXT) | instid1(VALU_DEP_1)
	v_trunc_f32_e32 v4, v4
	v_mul_f32_e64 v5, 0x2f800000, |v4|
	s_delay_alu instid0(VALU_DEP_1) | instskip(NEXT) | instid1(VALU_DEP_1)
	v_floor_f32_e32 v5, v5
	v_fma_f32 v6, 0xcf800000, v5, |v4|
	v_ashrrev_i32_e32 v4, 31, v4
	v_cvt_u32_f32_e32 v7, v5
	s_delay_alu instid0(VALU_DEP_3) | instskip(NEXT) | instid1(VALU_DEP_2)
	v_cvt_u32_f32_e32 v6, v6
	v_dual_mov_b32 v5, v4 :: v_dual_bitop2_b32 v7, v7, v4 bitop3:0x14
	s_delay_alu instid0(VALU_DEP_2) | instskip(NEXT) | instid1(VALU_DEP_1)
	v_xor_b32_e32 v6, v6, v4
	v_sub_nc_u64_e32 v[4:5], v[6:7], v[4:5]
	s_branch .LBB70_559
.LBB70_550:
	s_mov_b32 s29, -1
	s_mov_b32 s26, 0
	s_mov_b32 s25, s20
                                        ; implicit-def: $vgpr4_vgpr5
	s_branch .LBB70_620
.LBB70_551:
	s_mov_b32 s29, -1
	s_mov_b32 s26, 0
	s_mov_b32 s25, s20
                                        ; implicit-def: $vgpr4_vgpr5
	s_branch .LBB70_586
.LBB70_552:
	s_mov_b32 s29, -1
	s_mov_b32 s26, 0
	s_mov_b32 s25, s20
                                        ; implicit-def: $vgpr4_vgpr5
	s_branch .LBB70_569
.LBB70_553:
	s_mov_b32 s29, -1
	s_mov_b32 s26, 0
	s_mov_b32 s25, s20
                                        ; implicit-def: $vgpr4_vgpr5
	s_branch .LBB70_564
.LBB70_554:
	s_mov_b32 s29, -1
	s_mov_b32 s26, 0
	s_mov_b32 s25, s20
	s_branch .LBB70_558
.LBB70_555:
	s_and_not1_saveexec_b32 s28, s28
	s_cbranch_execz .LBB70_317
.LBB70_556:
	v_add_f32_e64 v5, 0x42800000, |v4|
	s_and_not1_b32 s27, s27, exec_lo
	s_delay_alu instid0(VALU_DEP_1) | instskip(NEXT) | instid1(VALU_DEP_1)
	v_and_b32_e32 v5, 0xff, v5
	v_cmp_ne_u32_e32 vcc_lo, 0, v5
	s_and_b32 s29, vcc_lo, exec_lo
	s_delay_alu instid0(SALU_CYCLE_1)
	s_or_b32 s27, s27, s29
	s_or_b32 exec_lo, exec_lo, s28
	v_mov_b32_e32 v6, 0
	s_and_saveexec_b32 s28, s27
	s_cbranch_execnz .LBB70_318
	s_branch .LBB70_319
.LBB70_557:
	s_mov_b32 s25, -1
	s_mov_b32 s26, 0
.LBB70_558:
                                        ; implicit-def: $vgpr4_vgpr5
.LBB70_559:
	s_and_b32 vcc_lo, exec_lo, s29
	s_cbranch_vccz .LBB70_563
; %bb.560:
	s_cmp_eq_u32 s0, 44
	s_cbranch_scc0 .LBB70_562
; %bb.561:
	global_load_u8 v8, v[2:3], off
	s_mov_b32 s25, 0
	s_mov_b32 s26, -1
	s_wait_loadcnt 0x0
	v_cmp_ne_u32_e32 vcc_lo, 0, v8
	v_lshlrev_b32_e32 v4, 23, v8
	s_delay_alu instid0(VALU_DEP_1) | instskip(NEXT) | instid1(VALU_DEP_1)
	v_trunc_f32_e32 v4, v4
	v_mul_f32_e64 v5, 0x2f800000, |v4|
	s_delay_alu instid0(VALU_DEP_1) | instskip(NEXT) | instid1(VALU_DEP_1)
	v_floor_f32_e32 v5, v5
	v_fma_f32 v6, 0xcf800000, v5, |v4|
	v_ashrrev_i32_e32 v4, 31, v4
	v_cvt_u32_f32_e32 v7, v5
	s_delay_alu instid0(VALU_DEP_3) | instskip(NEXT) | instid1(VALU_DEP_2)
	v_cvt_u32_f32_e32 v6, v6
	v_dual_mov_b32 v5, v4 :: v_dual_bitop2_b32 v7, v7, v4 bitop3:0x14
	s_delay_alu instid0(VALU_DEP_2) | instskip(NEXT) | instid1(VALU_DEP_1)
	v_xor_b32_e32 v6, v6, v4
	v_sub_nc_u64_e32 v[4:5], v[6:7], v[4:5]
	s_delay_alu instid0(VALU_DEP_1)
	v_dual_cndmask_b32 v5, 0, v5 :: v_dual_cndmask_b32 v4, 0, v4
	s_branch .LBB70_563
.LBB70_562:
	s_mov_b32 s25, -1
                                        ; implicit-def: $vgpr4_vgpr5
.LBB70_563:
	s_mov_b32 s29, 0
.LBB70_564:
	s_delay_alu instid0(SALU_CYCLE_1)
	s_and_b32 vcc_lo, exec_lo, s29
	s_cbranch_vccz .LBB70_568
; %bb.565:
	s_cmp_eq_u32 s0, 29
	s_cbranch_scc0 .LBB70_567
; %bb.566:
	global_load_b64 v[4:5], v[2:3], off
	s_mov_b32 s26, -1
	s_mov_b32 s25, 0
	s_branch .LBB70_568
.LBB70_567:
	s_mov_b32 s25, -1
                                        ; implicit-def: $vgpr4_vgpr5
.LBB70_568:
	s_mov_b32 s29, 0
.LBB70_569:
	s_delay_alu instid0(SALU_CYCLE_1)
	s_and_b32 vcc_lo, exec_lo, s29
	s_cbranch_vccz .LBB70_585
; %bb.570:
	s_cmp_lt_i32 s0, 27
	s_cbranch_scc1 .LBB70_573
; %bb.571:
	s_cmp_gt_i32 s0, 27
	s_cbranch_scc0 .LBB70_574
; %bb.572:
	s_wait_loadcnt 0x0
	global_load_b32 v4, v[2:3], off
	v_mov_b32_e32 v5, 0
	s_mov_b32 s26, 0
	s_branch .LBB70_575
.LBB70_573:
	s_mov_b32 s26, -1
                                        ; implicit-def: $vgpr4_vgpr5
	s_branch .LBB70_578
.LBB70_574:
	s_mov_b32 s26, -1
                                        ; implicit-def: $vgpr4_vgpr5
.LBB70_575:
	s_delay_alu instid0(SALU_CYCLE_1)
	s_and_not1_b32 vcc_lo, exec_lo, s26
	s_cbranch_vccnz .LBB70_577
; %bb.576:
	s_wait_loadcnt 0x0
	global_load_u16 v4, v[2:3], off
	s_mov_b32 s26, 0
	s_delay_alu instid0(SALU_CYCLE_1)
	v_mov_b32_e32 v5, s26
	s_wait_loadcnt 0x0
	v_and_b32_e32 v4, 0xffff, v4
.LBB70_577:
	s_mov_b32 s26, 0
.LBB70_578:
	s_delay_alu instid0(SALU_CYCLE_1)
	s_and_not1_b32 vcc_lo, exec_lo, s26
	s_cbranch_vccnz .LBB70_584
; %bb.579:
	global_load_u8 v6, v[2:3], off
	s_mov_b32 s29, 0
	s_mov_b32 s26, exec_lo
	s_wait_loadcnt 0x0
	v_cmpx_lt_i16_e32 0x7f, v6
	s_xor_b32 s26, exec_lo, s26
	s_cbranch_execz .LBB70_596
; %bb.580:
	v_cmp_ne_u16_e32 vcc_lo, 0x80, v6
	s_and_b32 s29, vcc_lo, exec_lo
	s_and_not1_saveexec_b32 s26, s26
	s_cbranch_execnz .LBB70_597
.LBB70_581:
	s_or_b32 exec_lo, exec_lo, s26
	v_mov_b64_e32 v[4:5], 0
	s_and_saveexec_b32 s26, s29
	s_cbranch_execz .LBB70_583
.LBB70_582:
	v_and_b32_e32 v4, 0xffff, v6
	s_delay_alu instid0(VALU_DEP_1) | instskip(SKIP_1) | instid1(VALU_DEP_2)
	v_and_b32_e32 v5, 7, v4
	v_bfe_u32 v9, v4, 3, 4
	v_clz_i32_u32_e32 v7, v5
	s_delay_alu instid0(VALU_DEP_2) | instskip(NEXT) | instid1(VALU_DEP_2)
	v_cmp_eq_u32_e32 vcc_lo, 0, v9
	v_min_u32_e32 v7, 32, v7
	s_delay_alu instid0(VALU_DEP_1) | instskip(NEXT) | instid1(VALU_DEP_1)
	v_subrev_nc_u32_e32 v8, 28, v7
	v_dual_lshlrev_b32 v4, v8, v4 :: v_dual_sub_nc_u32 v7, 29, v7
	s_delay_alu instid0(VALU_DEP_1) | instskip(NEXT) | instid1(VALU_DEP_2)
	v_dual_lshlrev_b32 v6, 24, v6 :: v_dual_bitop2_b32 v4, 7, v4 bitop3:0x40
	v_cndmask_b32_e32 v7, v9, v7, vcc_lo
	s_delay_alu instid0(VALU_DEP_2) | instskip(NEXT) | instid1(VALU_DEP_3)
	v_cndmask_b32_e32 v4, v5, v4, vcc_lo
	v_and_b32_e32 v5, 0x80000000, v6
	s_delay_alu instid0(VALU_DEP_3) | instskip(NEXT) | instid1(VALU_DEP_3)
	v_lshl_add_u32 v6, v7, 23, 0x3b800000
	v_lshlrev_b32_e32 v4, 20, v4
	s_delay_alu instid0(VALU_DEP_1) | instskip(NEXT) | instid1(VALU_DEP_1)
	v_or3_b32 v4, v5, v6, v4
	v_trunc_f32_e32 v4, v4
	s_delay_alu instid0(VALU_DEP_1) | instskip(NEXT) | instid1(VALU_DEP_1)
	v_mul_f32_e64 v5, 0x2f800000, |v4|
	v_floor_f32_e32 v5, v5
	s_delay_alu instid0(VALU_DEP_1) | instskip(SKIP_2) | instid1(VALU_DEP_3)
	v_fma_f32 v6, 0xcf800000, v5, |v4|
	v_ashrrev_i32_e32 v4, 31, v4
	v_cvt_u32_f32_e32 v7, v5
	v_cvt_u32_f32_e32 v6, v6
	s_delay_alu instid0(VALU_DEP_2) | instskip(NEXT) | instid1(VALU_DEP_2)
	v_dual_mov_b32 v5, v4 :: v_dual_bitop2_b32 v7, v7, v4 bitop3:0x14
	v_xor_b32_e32 v6, v6, v4
	s_delay_alu instid0(VALU_DEP_1)
	v_sub_nc_u64_e32 v[4:5], v[6:7], v[4:5]
.LBB70_583:
	s_or_b32 exec_lo, exec_lo, s26
.LBB70_584:
	s_mov_b32 s26, -1
.LBB70_585:
	s_mov_b32 s29, 0
.LBB70_586:
	s_delay_alu instid0(SALU_CYCLE_1)
	s_and_b32 vcc_lo, exec_lo, s29
	s_cbranch_vccz .LBB70_619
; %bb.587:
	s_cmp_gt_i32 s0, 22
	s_cbranch_scc0 .LBB70_595
; %bb.588:
	s_cmp_lt_i32 s0, 24
	s_cbranch_scc1 .LBB70_598
; %bb.589:
	s_cmp_gt_i32 s0, 24
	s_cbranch_scc0 .LBB70_599
; %bb.590:
	global_load_u8 v6, v[2:3], off
	s_mov_b32 s29, 0
	s_mov_b32 s26, exec_lo
	s_wait_loadcnt 0x0
	v_cmpx_lt_i16_e32 0x7f, v6
	s_xor_b32 s26, exec_lo, s26
	s_cbranch_execz .LBB70_611
; %bb.591:
	v_cmp_ne_u16_e32 vcc_lo, 0x80, v6
	s_and_b32 s29, vcc_lo, exec_lo
	s_and_not1_saveexec_b32 s26, s26
	s_cbranch_execnz .LBB70_612
.LBB70_592:
	s_or_b32 exec_lo, exec_lo, s26
	v_mov_b64_e32 v[4:5], 0
	s_and_saveexec_b32 s26, s29
	s_cbranch_execz .LBB70_594
.LBB70_593:
	v_and_b32_e32 v4, 0xffff, v6
	s_delay_alu instid0(VALU_DEP_1) | instskip(SKIP_1) | instid1(VALU_DEP_2)
	v_and_b32_e32 v5, 3, v4
	v_bfe_u32 v9, v4, 2, 5
	v_clz_i32_u32_e32 v7, v5
	s_delay_alu instid0(VALU_DEP_2) | instskip(NEXT) | instid1(VALU_DEP_2)
	v_cmp_eq_u32_e32 vcc_lo, 0, v9
	v_min_u32_e32 v7, 32, v7
	s_delay_alu instid0(VALU_DEP_1) | instskip(NEXT) | instid1(VALU_DEP_1)
	v_subrev_nc_u32_e32 v8, 29, v7
	v_dual_lshlrev_b32 v4, v8, v4 :: v_dual_sub_nc_u32 v7, 30, v7
	s_delay_alu instid0(VALU_DEP_1) | instskip(NEXT) | instid1(VALU_DEP_2)
	v_dual_lshlrev_b32 v6, 24, v6 :: v_dual_bitop2_b32 v4, 3, v4 bitop3:0x40
	v_cndmask_b32_e32 v7, v9, v7, vcc_lo
	s_delay_alu instid0(VALU_DEP_2) | instskip(NEXT) | instid1(VALU_DEP_3)
	v_cndmask_b32_e32 v4, v5, v4, vcc_lo
	v_and_b32_e32 v5, 0x80000000, v6
	s_delay_alu instid0(VALU_DEP_3) | instskip(NEXT) | instid1(VALU_DEP_3)
	v_lshl_add_u32 v6, v7, 23, 0x37800000
	v_lshlrev_b32_e32 v4, 21, v4
	s_delay_alu instid0(VALU_DEP_1) | instskip(NEXT) | instid1(VALU_DEP_1)
	v_or3_b32 v4, v5, v6, v4
	v_trunc_f32_e32 v4, v4
	s_delay_alu instid0(VALU_DEP_1) | instskip(NEXT) | instid1(VALU_DEP_1)
	v_mul_f32_e64 v5, 0x2f800000, |v4|
	v_floor_f32_e32 v5, v5
	s_delay_alu instid0(VALU_DEP_1) | instskip(SKIP_2) | instid1(VALU_DEP_3)
	v_fma_f32 v6, 0xcf800000, v5, |v4|
	v_ashrrev_i32_e32 v4, 31, v4
	v_cvt_u32_f32_e32 v7, v5
	v_cvt_u32_f32_e32 v6, v6
	s_delay_alu instid0(VALU_DEP_2) | instskip(NEXT) | instid1(VALU_DEP_2)
	v_dual_mov_b32 v5, v4 :: v_dual_bitop2_b32 v7, v7, v4 bitop3:0x14
	v_xor_b32_e32 v6, v6, v4
	s_delay_alu instid0(VALU_DEP_1)
	v_sub_nc_u64_e32 v[4:5], v[6:7], v[4:5]
.LBB70_594:
	s_or_b32 exec_lo, exec_lo, s26
	s_mov_b32 s26, 0
	s_branch .LBB70_600
.LBB70_595:
	s_mov_b32 s29, -1
                                        ; implicit-def: $vgpr4_vgpr5
	s_branch .LBB70_606
.LBB70_596:
	s_and_not1_saveexec_b32 s26, s26
	s_cbranch_execz .LBB70_581
.LBB70_597:
	v_cmp_ne_u16_e32 vcc_lo, 0, v6
	s_and_not1_b32 s29, s29, exec_lo
	s_and_b32 s30, vcc_lo, exec_lo
	s_delay_alu instid0(SALU_CYCLE_1)
	s_or_b32 s29, s29, s30
	s_or_b32 exec_lo, exec_lo, s26
	v_mov_b64_e32 v[4:5], 0
	s_and_saveexec_b32 s26, s29
	s_cbranch_execnz .LBB70_582
	s_branch .LBB70_583
.LBB70_598:
	s_mov_b32 s26, -1
                                        ; implicit-def: $vgpr4_vgpr5
	s_branch .LBB70_603
.LBB70_599:
	s_mov_b32 s26, -1
                                        ; implicit-def: $vgpr4_vgpr5
.LBB70_600:
	s_delay_alu instid0(SALU_CYCLE_1)
	s_and_b32 vcc_lo, exec_lo, s26
	s_cbranch_vccz .LBB70_602
; %bb.601:
	s_wait_loadcnt 0x0
	global_load_u8 v4, v[2:3], off
	s_wait_loadcnt 0x0
	v_lshlrev_b32_e32 v4, 24, v4
	s_delay_alu instid0(VALU_DEP_1) | instskip(NEXT) | instid1(VALU_DEP_1)
	v_and_b32_e32 v5, 0x7f000000, v4
	v_clz_i32_u32_e32 v6, v5
	v_cmp_ne_u32_e32 vcc_lo, 0, v5
	v_add_nc_u32_e32 v8, 0x1000000, v5
	s_delay_alu instid0(VALU_DEP_3) | instskip(NEXT) | instid1(VALU_DEP_1)
	v_min_u32_e32 v6, 32, v6
	v_sub_nc_u32_e64 v6, v6, 4 clamp
	s_delay_alu instid0(VALU_DEP_1) | instskip(NEXT) | instid1(VALU_DEP_1)
	v_dual_lshlrev_b32 v7, v6, v5 :: v_dual_lshlrev_b32 v6, 23, v6
	v_lshrrev_b32_e32 v7, 4, v7
	s_delay_alu instid0(VALU_DEP_1) | instskip(NEXT) | instid1(VALU_DEP_1)
	v_dual_sub_nc_u32 v6, v7, v6 :: v_dual_ashrrev_i32 v7, 8, v8
	v_add_nc_u32_e32 v6, 0x3c000000, v6
	s_delay_alu instid0(VALU_DEP_1) | instskip(NEXT) | instid1(VALU_DEP_1)
	v_and_or_b32 v6, 0x7f800000, v7, v6
	v_cndmask_b32_e32 v5, 0, v6, vcc_lo
	s_delay_alu instid0(VALU_DEP_1) | instskip(NEXT) | instid1(VALU_DEP_1)
	v_and_or_b32 v4, 0x80000000, v4, v5
	v_trunc_f32_e32 v4, v4
	s_delay_alu instid0(VALU_DEP_1) | instskip(NEXT) | instid1(VALU_DEP_1)
	v_mul_f32_e64 v5, 0x2f800000, |v4|
	v_floor_f32_e32 v5, v5
	s_delay_alu instid0(VALU_DEP_1) | instskip(SKIP_2) | instid1(VALU_DEP_3)
	v_fma_f32 v6, 0xcf800000, v5, |v4|
	v_ashrrev_i32_e32 v4, 31, v4
	v_cvt_u32_f32_e32 v7, v5
	v_cvt_u32_f32_e32 v6, v6
	s_delay_alu instid0(VALU_DEP_2) | instskip(NEXT) | instid1(VALU_DEP_2)
	v_dual_mov_b32 v5, v4 :: v_dual_bitop2_b32 v7, v7, v4 bitop3:0x14
	v_xor_b32_e32 v6, v6, v4
	s_delay_alu instid0(VALU_DEP_1)
	v_sub_nc_u64_e32 v[4:5], v[6:7], v[4:5]
.LBB70_602:
	s_mov_b32 s26, 0
.LBB70_603:
	s_delay_alu instid0(SALU_CYCLE_1)
	s_and_not1_b32 vcc_lo, exec_lo, s26
	s_cbranch_vccnz .LBB70_605
; %bb.604:
	s_wait_loadcnt 0x0
	global_load_u8 v4, v[2:3], off
	s_wait_loadcnt 0x0
	v_lshlrev_b32_e32 v5, 25, v4
	v_lshlrev_b16 v4, 8, v4
	s_delay_alu instid0(VALU_DEP_1) | instskip(SKIP_1) | instid1(VALU_DEP_2)
	v_and_or_b32 v7, 0x7f00, v4, 0.5
	v_bfe_i32 v4, v4, 0, 16
	v_dual_add_f32 v7, -0.5, v7 :: v_dual_lshrrev_b32 v6, 4, v5
	v_cmp_gt_u32_e32 vcc_lo, 0x8000000, v5
	s_delay_alu instid0(VALU_DEP_2) | instskip(NEXT) | instid1(VALU_DEP_1)
	v_or_b32_e32 v6, 0x70000000, v6
	v_mul_f32_e32 v6, 0x7800000, v6
	s_delay_alu instid0(VALU_DEP_1) | instskip(NEXT) | instid1(VALU_DEP_1)
	v_cndmask_b32_e32 v5, v6, v7, vcc_lo
	v_and_or_b32 v4, 0x80000000, v4, v5
	s_delay_alu instid0(VALU_DEP_1) | instskip(NEXT) | instid1(VALU_DEP_1)
	v_trunc_f32_e32 v4, v4
	v_mul_f32_e64 v5, 0x2f800000, |v4|
	s_delay_alu instid0(VALU_DEP_1) | instskip(NEXT) | instid1(VALU_DEP_1)
	v_floor_f32_e32 v5, v5
	v_fma_f32 v6, 0xcf800000, v5, |v4|
	v_ashrrev_i32_e32 v4, 31, v4
	v_cvt_u32_f32_e32 v7, v5
	s_delay_alu instid0(VALU_DEP_3) | instskip(NEXT) | instid1(VALU_DEP_2)
	v_cvt_u32_f32_e32 v6, v6
	v_dual_mov_b32 v5, v4 :: v_dual_bitop2_b32 v7, v7, v4 bitop3:0x14
	s_delay_alu instid0(VALU_DEP_2) | instskip(NEXT) | instid1(VALU_DEP_1)
	v_xor_b32_e32 v6, v6, v4
	v_sub_nc_u64_e32 v[4:5], v[6:7], v[4:5]
.LBB70_605:
	s_mov_b32 s29, 0
	s_mov_b32 s26, -1
.LBB70_606:
	s_and_not1_b32 vcc_lo, exec_lo, s29
	s_cbranch_vccnz .LBB70_619
; %bb.607:
	s_cmp_gt_i32 s0, 14
	s_cbranch_scc0 .LBB70_610
; %bb.608:
	s_cmp_eq_u32 s0, 15
	s_cbranch_scc0 .LBB70_613
; %bb.609:
	s_wait_loadcnt 0x0
	global_load_u16 v4, v[2:3], off
	s_mov_b32 s26, -1
	s_mov_b32 s25, 0
	s_wait_loadcnt 0x0
	v_lshlrev_b32_e32 v4, 16, v4
	s_delay_alu instid0(VALU_DEP_1) | instskip(NEXT) | instid1(VALU_DEP_1)
	v_trunc_f32_e32 v4, v4
	v_mul_f32_e64 v5, 0x2f800000, |v4|
	s_delay_alu instid0(VALU_DEP_1) | instskip(NEXT) | instid1(VALU_DEP_1)
	v_floor_f32_e32 v5, v5
	v_fma_f32 v6, 0xcf800000, v5, |v4|
	v_ashrrev_i32_e32 v4, 31, v4
	v_cvt_u32_f32_e32 v7, v5
	s_delay_alu instid0(VALU_DEP_3) | instskip(NEXT) | instid1(VALU_DEP_2)
	v_cvt_u32_f32_e32 v6, v6
	v_dual_mov_b32 v5, v4 :: v_dual_bitop2_b32 v7, v7, v4 bitop3:0x14
	s_delay_alu instid0(VALU_DEP_2) | instskip(NEXT) | instid1(VALU_DEP_1)
	v_xor_b32_e32 v6, v6, v4
	v_sub_nc_u64_e32 v[4:5], v[6:7], v[4:5]
	s_branch .LBB70_614
.LBB70_610:
	s_mov_b32 s29, -1
                                        ; implicit-def: $vgpr4_vgpr5
	s_branch .LBB70_615
.LBB70_611:
	s_and_not1_saveexec_b32 s26, s26
	s_cbranch_execz .LBB70_592
.LBB70_612:
	v_cmp_ne_u16_e32 vcc_lo, 0, v6
	s_and_not1_b32 s29, s29, exec_lo
	s_and_b32 s30, vcc_lo, exec_lo
	s_delay_alu instid0(SALU_CYCLE_1)
	s_or_b32 s29, s29, s30
	s_or_b32 exec_lo, exec_lo, s26
	v_mov_b64_e32 v[4:5], 0
	s_and_saveexec_b32 s26, s29
	s_cbranch_execnz .LBB70_593
	s_branch .LBB70_594
.LBB70_613:
	s_mov_b32 s25, -1
                                        ; implicit-def: $vgpr4_vgpr5
.LBB70_614:
	s_mov_b32 s29, 0
.LBB70_615:
	s_delay_alu instid0(SALU_CYCLE_1)
	s_and_b32 vcc_lo, exec_lo, s29
	s_cbranch_vccz .LBB70_619
; %bb.616:
	s_cmp_eq_u32 s0, 11
	s_cbranch_scc0 .LBB70_618
; %bb.617:
	s_wait_loadcnt 0x0
	global_load_u8 v4, v[2:3], off
	s_mov_b32 s25, 0
	s_mov_b32 s26, -1
	v_mov_b32_e32 v5, s25
	s_wait_loadcnt 0x0
	v_cmp_ne_u16_e32 vcc_lo, 0, v4
	v_cndmask_b32_e64 v4, 0, 1, vcc_lo
	s_branch .LBB70_619
.LBB70_618:
	s_mov_b32 s25, -1
                                        ; implicit-def: $vgpr4_vgpr5
.LBB70_619:
	s_mov_b32 s29, 0
.LBB70_620:
	s_delay_alu instid0(SALU_CYCLE_1)
	s_and_b32 vcc_lo, exec_lo, s29
	s_cbranch_vccz .LBB70_669
; %bb.621:
	s_cmp_lt_i32 s0, 5
	s_cbranch_scc1 .LBB70_626
; %bb.622:
	s_cmp_lt_i32 s0, 8
	s_cbranch_scc1 .LBB70_627
	;; [unrolled: 3-line block ×3, first 2 shown]
; %bb.624:
	s_cmp_gt_i32 s0, 9
	s_cbranch_scc0 .LBB70_629
; %bb.625:
	s_wait_loadcnt 0x0
	global_load_b64 v[4:5], v[2:3], off
	s_mov_b32 s26, 0
	s_wait_loadcnt 0x0
	v_trunc_f64_e32 v[4:5], v[4:5]
	s_delay_alu instid0(VALU_DEP_1) | instskip(NEXT) | instid1(VALU_DEP_1)
	v_ldexp_f64 v[6:7], v[4:5], 0xffffffe0
	v_floor_f64_e32 v[6:7], v[6:7]
	s_delay_alu instid0(VALU_DEP_1) | instskip(SKIP_1) | instid1(VALU_DEP_2)
	v_fmamk_f64 v[8:9], v[6:7], 0xc1f00000, v[4:5]
	v_cvt_i32_f64_e32 v5, v[6:7]
	v_cvt_u32_f64_e32 v4, v[8:9]
	s_branch .LBB70_630
.LBB70_626:
	s_mov_b32 s26, -1
                                        ; implicit-def: $vgpr4_vgpr5
	s_branch .LBB70_648
.LBB70_627:
	s_mov_b32 s26, -1
                                        ; implicit-def: $vgpr4_vgpr5
	s_branch .LBB70_636
.LBB70_628:
	s_mov_b32 s26, -1
                                        ; implicit-def: $vgpr4_vgpr5
	s_branch .LBB70_633
.LBB70_629:
	s_mov_b32 s26, -1
                                        ; implicit-def: $vgpr4_vgpr5
.LBB70_630:
	s_delay_alu instid0(SALU_CYCLE_1)
	s_and_not1_b32 vcc_lo, exec_lo, s26
	s_cbranch_vccnz .LBB70_632
; %bb.631:
	s_wait_loadcnt 0x0
	global_load_b32 v4, v[2:3], off
	s_wait_loadcnt 0x0
	v_trunc_f32_e32 v4, v4
	s_delay_alu instid0(VALU_DEP_1) | instskip(NEXT) | instid1(VALU_DEP_1)
	v_mul_f32_e64 v5, 0x2f800000, |v4|
	v_floor_f32_e32 v5, v5
	s_delay_alu instid0(VALU_DEP_1) | instskip(SKIP_2) | instid1(VALU_DEP_3)
	v_fma_f32 v6, 0xcf800000, v5, |v4|
	v_ashrrev_i32_e32 v4, 31, v4
	v_cvt_u32_f32_e32 v7, v5
	v_cvt_u32_f32_e32 v6, v6
	s_delay_alu instid0(VALU_DEP_2) | instskip(NEXT) | instid1(VALU_DEP_2)
	v_dual_mov_b32 v5, v4 :: v_dual_bitop2_b32 v7, v7, v4 bitop3:0x14
	v_xor_b32_e32 v6, v6, v4
	s_delay_alu instid0(VALU_DEP_1)
	v_sub_nc_u64_e32 v[4:5], v[6:7], v[4:5]
.LBB70_632:
	s_mov_b32 s26, 0
.LBB70_633:
	s_delay_alu instid0(SALU_CYCLE_1)
	s_and_not1_b32 vcc_lo, exec_lo, s26
	s_cbranch_vccnz .LBB70_635
; %bb.634:
	s_wait_loadcnt 0x0
	global_load_b32 v4, v[2:3], off
	s_wait_loadcnt 0x0
	v_cvt_f32_f16_e32 v4, v4
	s_delay_alu instid0(VALU_DEP_1) | instskip(NEXT) | instid1(VALU_DEP_1)
	v_cvt_i32_f32_e32 v4, v4
	v_ashrrev_i32_e32 v5, 31, v4
.LBB70_635:
	s_mov_b32 s26, 0
.LBB70_636:
	s_delay_alu instid0(SALU_CYCLE_1)
	s_and_not1_b32 vcc_lo, exec_lo, s26
	s_cbranch_vccnz .LBB70_647
; %bb.637:
	s_cmp_lt_i32 s0, 6
	s_cbranch_scc1 .LBB70_640
; %bb.638:
	s_cmp_gt_i32 s0, 6
	s_cbranch_scc0 .LBB70_641
; %bb.639:
	s_wait_loadcnt 0x0
	global_load_b64 v[4:5], v[2:3], off
	s_mov_b32 s26, 0
	s_wait_loadcnt 0x0
	v_trunc_f64_e32 v[4:5], v[4:5]
	s_delay_alu instid0(VALU_DEP_1) | instskip(NEXT) | instid1(VALU_DEP_1)
	v_ldexp_f64 v[6:7], v[4:5], 0xffffffe0
	v_floor_f64_e32 v[6:7], v[6:7]
	s_delay_alu instid0(VALU_DEP_1) | instskip(SKIP_1) | instid1(VALU_DEP_2)
	v_fmamk_f64 v[8:9], v[6:7], 0xc1f00000, v[4:5]
	v_cvt_i32_f64_e32 v5, v[6:7]
	v_cvt_u32_f64_e32 v4, v[8:9]
	s_branch .LBB70_642
.LBB70_640:
	s_mov_b32 s26, -1
                                        ; implicit-def: $vgpr4_vgpr5
	s_branch .LBB70_645
.LBB70_641:
	s_mov_b32 s26, -1
                                        ; implicit-def: $vgpr4_vgpr5
.LBB70_642:
	s_delay_alu instid0(SALU_CYCLE_1)
	s_and_not1_b32 vcc_lo, exec_lo, s26
	s_cbranch_vccnz .LBB70_644
; %bb.643:
	s_wait_loadcnt 0x0
	global_load_b32 v4, v[2:3], off
	s_wait_loadcnt 0x0
	v_trunc_f32_e32 v4, v4
	s_delay_alu instid0(VALU_DEP_1) | instskip(NEXT) | instid1(VALU_DEP_1)
	v_mul_f32_e64 v5, 0x2f800000, |v4|
	v_floor_f32_e32 v5, v5
	s_delay_alu instid0(VALU_DEP_1) | instskip(SKIP_2) | instid1(VALU_DEP_3)
	v_fma_f32 v6, 0xcf800000, v5, |v4|
	v_ashrrev_i32_e32 v4, 31, v4
	v_cvt_u32_f32_e32 v7, v5
	v_cvt_u32_f32_e32 v6, v6
	s_delay_alu instid0(VALU_DEP_2) | instskip(NEXT) | instid1(VALU_DEP_2)
	v_dual_mov_b32 v5, v4 :: v_dual_bitop2_b32 v7, v7, v4 bitop3:0x14
	v_xor_b32_e32 v6, v6, v4
	s_delay_alu instid0(VALU_DEP_1)
	v_sub_nc_u64_e32 v[4:5], v[6:7], v[4:5]
.LBB70_644:
	s_mov_b32 s26, 0
.LBB70_645:
	s_delay_alu instid0(SALU_CYCLE_1)
	s_and_not1_b32 vcc_lo, exec_lo, s26
	s_cbranch_vccnz .LBB70_647
; %bb.646:
	s_wait_loadcnt 0x0
	global_load_u16 v4, v[2:3], off
	s_wait_loadcnt 0x0
	v_cvt_f32_f16_e32 v4, v4
	s_delay_alu instid0(VALU_DEP_1) | instskip(NEXT) | instid1(VALU_DEP_1)
	v_cvt_i32_f32_e32 v4, v4
	v_ashrrev_i32_e32 v5, 31, v4
.LBB70_647:
	s_mov_b32 s26, 0
.LBB70_648:
	s_delay_alu instid0(SALU_CYCLE_1)
	s_and_not1_b32 vcc_lo, exec_lo, s26
	s_cbranch_vccnz .LBB70_668
; %bb.649:
	s_cmp_lt_i32 s0, 2
	s_cbranch_scc1 .LBB70_653
; %bb.650:
	s_cmp_lt_i32 s0, 3
	s_cbranch_scc1 .LBB70_654
; %bb.651:
	s_cmp_gt_i32 s0, 3
	s_cbranch_scc0 .LBB70_655
; %bb.652:
	s_wait_loadcnt 0x0
	global_load_b64 v[4:5], v[2:3], off
	s_mov_b32 s26, 0
	s_branch .LBB70_656
.LBB70_653:
	s_mov_b32 s26, -1
                                        ; implicit-def: $vgpr4_vgpr5
	s_branch .LBB70_662
.LBB70_654:
	s_mov_b32 s26, -1
                                        ; implicit-def: $vgpr4_vgpr5
	s_branch .LBB70_659
.LBB70_655:
	s_mov_b32 s26, -1
                                        ; implicit-def: $vgpr4_vgpr5
.LBB70_656:
	s_delay_alu instid0(SALU_CYCLE_1)
	s_and_not1_b32 vcc_lo, exec_lo, s26
	s_cbranch_vccnz .LBB70_658
; %bb.657:
	s_wait_loadcnt 0x0
	global_load_b32 v4, v[2:3], off
	s_wait_loadcnt 0x0
	v_ashrrev_i32_e32 v5, 31, v4
.LBB70_658:
	s_mov_b32 s26, 0
.LBB70_659:
	s_delay_alu instid0(SALU_CYCLE_1)
	s_and_not1_b32 vcc_lo, exec_lo, s26
	s_cbranch_vccnz .LBB70_661
; %bb.660:
	s_wait_loadcnt 0x0
	global_load_u16 v4, v[2:3], off
	s_wait_loadcnt 0x0
	v_bfe_i32 v4, v4, 0, 16
	s_delay_alu instid0(VALU_DEP_1)
	v_ashrrev_i32_e32 v5, 31, v4
.LBB70_661:
	s_mov_b32 s26, 0
.LBB70_662:
	s_delay_alu instid0(SALU_CYCLE_1)
	s_and_not1_b32 vcc_lo, exec_lo, s26
	s_cbranch_vccnz .LBB70_668
; %bb.663:
	s_cmp_gt_i32 s0, 0
	s_mov_b32 s0, 0
	s_cbranch_scc0 .LBB70_665
; %bb.664:
	s_wait_loadcnt 0x0
	global_load_i8 v4, v[2:3], off
	s_wait_loadcnt 0x0
	v_bfe_i32 v4, v4, 0, 16
	s_delay_alu instid0(VALU_DEP_1)
	v_ashrrev_i32_e32 v5, 31, v4
	s_branch .LBB70_666
.LBB70_665:
	s_mov_b32 s0, -1
                                        ; implicit-def: $vgpr4_vgpr5
.LBB70_666:
	s_delay_alu instid0(SALU_CYCLE_1)
	s_and_not1_b32 vcc_lo, exec_lo, s0
	s_cbranch_vccnz .LBB70_668
; %bb.667:
	global_load_u8 v2, v[2:3], off
	s_mov_b32 s0, 0
	s_wait_loadcnt 0x1
	v_mov_b32_e32 v5, s0
	s_wait_loadcnt 0x0
	v_and_b32_e32 v4, 0xffff, v2
.LBB70_668:
	s_mov_b32 s26, -1
.LBB70_669:
	s_delay_alu instid0(SALU_CYCLE_1)
	s_and_not1_b32 vcc_lo, exec_lo, s26
	s_cbranch_vccnz .LBB70_677
; %bb.670:
	s_wait_loadcnt 0x0
	v_mul_u64_e32 v[0:1], s[6:7], v[0:1]
	s_wait_xcnt 0x0
	v_mul_lo_u32 v2, v18, s12
	s_and_b32 s26, s13, 0xff
	s_delay_alu instid0(SALU_CYCLE_1) | instskip(NEXT) | instid1(VALU_DEP_1)
	s_cmp_lt_i32 s26, 11
	v_ashrrev_i32_e32 v3, 31, v2
	s_delay_alu instid0(VALU_DEP_1) | instskip(NEXT) | instid1(VALU_DEP_4)
	v_add_nc_u64_e32 v[2:3], s[2:3], v[2:3]
	v_mul_u64_e32 v[0:1], v[0:1], v[4:5]
	s_cbranch_scc1 .LBB70_678
; %bb.671:
	s_and_b32 s29, 0xffff, s26
	s_delay_alu instid0(SALU_CYCLE_1)
	s_cmp_gt_i32 s29, 25
	s_cbranch_scc0 .LBB70_679
; %bb.672:
	s_cmp_gt_i32 s29, 28
	s_cbranch_scc0 .LBB70_680
; %bb.673:
	;; [unrolled: 3-line block ×4, first 2 shown]
	s_mov_b32 s31, 0
	s_mov_b32 s0, -1
	s_cmp_eq_u32 s29, 46
	s_mov_b32 s30, 0
	s_cbranch_scc0 .LBB70_683
; %bb.676:
	s_delay_alu instid0(VALU_DEP_1) | instskip(SKIP_3) | instid1(VALU_DEP_2)
	v_xor_b32_e32 v4, v0, v1
	v_cls_i32_e32 v5, v1
	s_mov_b32 s30, -1
	s_mov_b32 s0, 0
	v_ashrrev_i32_e32 v4, 31, v4
	s_delay_alu instid0(VALU_DEP_1) | instskip(NEXT) | instid1(VALU_DEP_1)
	v_add_nc_u32_e32 v4, 32, v4
	v_add_min_u32_e64 v6, v5, -1, v4
	s_delay_alu instid0(VALU_DEP_1) | instskip(NEXT) | instid1(VALU_DEP_1)
	v_lshlrev_b64_e32 v[4:5], v6, v[0:1]
	v_min_u32_e32 v4, 1, v4
	s_delay_alu instid0(VALU_DEP_1) | instskip(NEXT) | instid1(VALU_DEP_1)
	v_dual_sub_nc_u32 v5, 32, v6 :: v_dual_bitop2_b32 v4, v5, v4 bitop3:0x54
	v_cvt_f32_i32_e32 v4, v4
	s_delay_alu instid0(VALU_DEP_1) | instskip(NEXT) | instid1(VALU_DEP_1)
	v_ldexp_f32 v4, v4, v5
	v_bfe_u32 v5, v4, 16, 1
	s_delay_alu instid0(VALU_DEP_1) | instskip(NEXT) | instid1(VALU_DEP_1)
	v_add3_u32 v4, v4, v5, 0x7fff
	v_lshrrev_b32_e32 v4, 16, v4
	global_store_b32 v[2:3], v4, off
	s_branch .LBB70_683
.LBB70_677:
	s_mov_b32 s29, 0
	s_mov_b32 s0, s18
	s_branch .LBB70_422
.LBB70_678:
	s_mov_b32 s29, -1
	s_mov_b32 s30, 0
	s_mov_b32 s0, s18
	s_branch .LBB70_752
.LBB70_679:
	s_mov_b32 s31, -1
	s_mov_b32 s30, 0
	s_mov_b32 s0, s18
	s_branch .LBB70_710
.LBB70_680:
	s_mov_b32 s31, -1
	s_mov_b32 s30, 0
	s_mov_b32 s0, s18
	s_branch .LBB70_693
.LBB70_681:
	s_mov_b32 s31, -1
	s_mov_b32 s30, 0
	s_mov_b32 s0, s18
	s_branch .LBB70_689
.LBB70_682:
	s_mov_b32 s31, -1
	s_mov_b32 s30, 0
	s_mov_b32 s0, s18
.LBB70_683:
	s_and_b32 vcc_lo, exec_lo, s31
	s_cbranch_vccz .LBB70_688
; %bb.684:
	s_cmp_eq_u32 s29, 44
	s_mov_b32 s0, -1
	s_cbranch_scc0 .LBB70_688
; %bb.685:
	s_wait_xcnt 0x0
	s_delay_alu instid0(VALU_DEP_1) | instskip(SKIP_3) | instid1(VALU_DEP_2)
	v_xor_b32_e32 v4, v0, v1
	v_cls_i32_e32 v5, v1
	s_mov_b32 s30, -1
	s_mov_b32 s31, exec_lo
	v_ashrrev_i32_e32 v4, 31, v4
	s_delay_alu instid0(VALU_DEP_1) | instskip(NEXT) | instid1(VALU_DEP_1)
	v_add_nc_u32_e32 v4, 32, v4
	v_add_min_u32_e64 v6, v5, -1, v4
	s_delay_alu instid0(VALU_DEP_1) | instskip(NEXT) | instid1(VALU_DEP_1)
	v_lshlrev_b64_e32 v[4:5], v6, v[0:1]
	v_min_u32_e32 v4, 1, v4
	s_delay_alu instid0(VALU_DEP_1) | instskip(NEXT) | instid1(VALU_DEP_1)
	v_dual_sub_nc_u32 v5, 32, v6 :: v_dual_bitop2_b32 v4, v5, v4 bitop3:0x54
	v_cvt_f32_i32_e32 v4, v4
	s_delay_alu instid0(VALU_DEP_1) | instskip(SKIP_1) | instid1(VALU_DEP_2)
	v_ldexp_f32 v4, v4, v5
	v_mov_b32_e32 v5, 0xff
	v_bfe_u32 v6, v4, 23, 8
	s_delay_alu instid0(VALU_DEP_1)
	v_cmpx_ne_u32_e32 0xff, v6
	s_cbranch_execz .LBB70_687
; %bb.686:
	v_and_b32_e32 v5, 0x400000, v4
	v_and_or_b32 v6, 0x3fffff, v4, v6
	v_lshrrev_b32_e32 v4, 23, v4
	s_delay_alu instid0(VALU_DEP_3) | instskip(NEXT) | instid1(VALU_DEP_3)
	v_cmp_ne_u32_e32 vcc_lo, 0, v5
	v_cmp_ne_u32_e64 s0, 0, v6
	s_and_b32 s0, vcc_lo, s0
	s_delay_alu instid0(SALU_CYCLE_1) | instskip(NEXT) | instid1(VALU_DEP_1)
	v_cndmask_b32_e64 v5, 0, 1, s0
	v_add_nc_u32_e32 v5, v4, v5
.LBB70_687:
	s_or_b32 exec_lo, exec_lo, s31
	s_mov_b32 s0, 0
	global_store_b8 v[2:3], v5, off
.LBB70_688:
	s_mov_b32 s31, 0
.LBB70_689:
	s_delay_alu instid0(SALU_CYCLE_1)
	s_and_b32 vcc_lo, exec_lo, s31
	s_cbranch_vccz .LBB70_692
; %bb.690:
	s_cmp_eq_u32 s29, 29
	s_mov_b32 s0, -1
	s_cbranch_scc0 .LBB70_692
; %bb.691:
	s_mov_b32 s30, -1
	s_mov_b32 s0, 0
	global_store_b64 v[2:3], v[0:1], off
.LBB70_692:
	s_mov_b32 s31, 0
.LBB70_693:
	s_delay_alu instid0(SALU_CYCLE_1)
	s_and_b32 vcc_lo, exec_lo, s31
	s_cbranch_vccz .LBB70_709
; %bb.694:
	s_cmp_lt_i32 s29, 27
	s_mov_b32 s30, -1
	s_cbranch_scc1 .LBB70_700
; %bb.695:
	s_cmp_gt_i32 s29, 27
	s_cbranch_scc0 .LBB70_697
; %bb.696:
	s_mov_b32 s30, 0
	global_store_b32 v[2:3], v0, off
.LBB70_697:
	s_and_not1_b32 vcc_lo, exec_lo, s30
	s_cbranch_vccnz .LBB70_699
; %bb.698:
	global_store_b16 v[2:3], v0, off
.LBB70_699:
	s_mov_b32 s30, 0
.LBB70_700:
	s_delay_alu instid0(SALU_CYCLE_1)
	s_and_not1_b32 vcc_lo, exec_lo, s30
	s_cbranch_vccnz .LBB70_708
; %bb.701:
	s_wait_xcnt 0x0
	s_delay_alu instid0(VALU_DEP_1) | instskip(SKIP_2) | instid1(VALU_DEP_2)
	v_xor_b32_e32 v4, v0, v1
	v_cls_i32_e32 v5, v1
	s_mov_b32 s30, exec_lo
	v_ashrrev_i32_e32 v4, 31, v4
	s_delay_alu instid0(VALU_DEP_1) | instskip(NEXT) | instid1(VALU_DEP_1)
	v_add_nc_u32_e32 v4, 32, v4
	v_add_min_u32_e64 v6, v5, -1, v4
	s_delay_alu instid0(VALU_DEP_1) | instskip(NEXT) | instid1(VALU_DEP_1)
	v_lshlrev_b64_e32 v[4:5], v6, v[0:1]
	v_min_u32_e32 v4, 1, v4
	s_delay_alu instid0(VALU_DEP_1) | instskip(SKIP_1) | instid1(VALU_DEP_2)
	v_dual_sub_nc_u32 v5, 32, v6 :: v_dual_bitop2_b32 v4, v5, v4 bitop3:0x54
	v_mov_b32_e32 v6, 0x80
	v_cvt_f32_i32_e32 v4, v4
	s_delay_alu instid0(VALU_DEP_1) | instskip(NEXT) | instid1(VALU_DEP_1)
	v_ldexp_f32 v4, v4, v5
	v_and_b32_e32 v5, 0x7fffffff, v4
	s_delay_alu instid0(VALU_DEP_1)
	v_cmpx_gt_u32_e32 0x43800000, v5
	s_cbranch_execz .LBB70_707
; %bb.702:
	v_cmp_lt_u32_e32 vcc_lo, 0x3bffffff, v5
	s_mov_b32 s31, 0
                                        ; implicit-def: $vgpr5
	s_and_saveexec_b32 s33, vcc_lo
	s_delay_alu instid0(SALU_CYCLE_1)
	s_xor_b32 s33, exec_lo, s33
	s_cbranch_execz .LBB70_830
; %bb.703:
	v_bfe_u32 v5, v4, 20, 1
	s_mov_b32 s31, exec_lo
	s_delay_alu instid0(VALU_DEP_1) | instskip(NEXT) | instid1(VALU_DEP_1)
	v_add3_u32 v5, v4, v5, 0x487ffff
	v_lshrrev_b32_e32 v5, 20, v5
	s_and_not1_saveexec_b32 s33, s33
	s_cbranch_execnz .LBB70_831
.LBB70_704:
	s_or_b32 exec_lo, exec_lo, s33
	v_mov_b32_e32 v6, 0
	s_and_saveexec_b32 s33, s31
.LBB70_705:
	v_lshrrev_b32_e32 v4, 24, v4
	s_delay_alu instid0(VALU_DEP_1)
	v_and_or_b32 v6, 0x80, v4, v5
.LBB70_706:
	s_or_b32 exec_lo, exec_lo, s33
.LBB70_707:
	s_delay_alu instid0(SALU_CYCLE_1)
	s_or_b32 exec_lo, exec_lo, s30
	global_store_b8 v[2:3], v6, off
.LBB70_708:
	s_mov_b32 s30, -1
.LBB70_709:
	s_mov_b32 s31, 0
.LBB70_710:
	s_delay_alu instid0(SALU_CYCLE_1)
	s_and_b32 vcc_lo, exec_lo, s31
	s_cbranch_vccz .LBB70_751
; %bb.711:
	s_cmp_gt_i32 s29, 22
	s_mov_b32 s31, -1
	s_cbranch_scc0 .LBB70_743
; %bb.712:
	s_cmp_lt_i32 s29, 24
	s_mov_b32 s30, -1
	s_cbranch_scc1 .LBB70_732
; %bb.713:
	s_cmp_gt_i32 s29, 24
	s_cbranch_scc0 .LBB70_721
; %bb.714:
	s_wait_xcnt 0x0
	s_delay_alu instid0(VALU_DEP_1) | instskip(SKIP_2) | instid1(VALU_DEP_2)
	v_xor_b32_e32 v4, v0, v1
	v_cls_i32_e32 v5, v1
	s_mov_b32 s30, exec_lo
	v_ashrrev_i32_e32 v4, 31, v4
	s_delay_alu instid0(VALU_DEP_1) | instskip(NEXT) | instid1(VALU_DEP_1)
	v_add_nc_u32_e32 v4, 32, v4
	v_add_min_u32_e64 v6, v5, -1, v4
	s_delay_alu instid0(VALU_DEP_1) | instskip(NEXT) | instid1(VALU_DEP_1)
	v_lshlrev_b64_e32 v[4:5], v6, v[0:1]
	v_min_u32_e32 v4, 1, v4
	s_delay_alu instid0(VALU_DEP_1) | instskip(SKIP_1) | instid1(VALU_DEP_2)
	v_dual_sub_nc_u32 v5, 32, v6 :: v_dual_bitop2_b32 v4, v5, v4 bitop3:0x54
	v_mov_b32_e32 v6, 0x80
	v_cvt_f32_i32_e32 v4, v4
	s_delay_alu instid0(VALU_DEP_1) | instskip(NEXT) | instid1(VALU_DEP_1)
	v_ldexp_f32 v4, v4, v5
	v_and_b32_e32 v5, 0x7fffffff, v4
	s_delay_alu instid0(VALU_DEP_1)
	v_cmpx_gt_u32_e32 0x47800000, v5
	s_cbranch_execz .LBB70_720
; %bb.715:
	v_cmp_lt_u32_e32 vcc_lo, 0x37ffffff, v5
	s_mov_b32 s31, 0
                                        ; implicit-def: $vgpr5
	s_and_saveexec_b32 s33, vcc_lo
	s_delay_alu instid0(SALU_CYCLE_1)
	s_xor_b32 s33, exec_lo, s33
	s_cbranch_execz .LBB70_957
; %bb.716:
	v_bfe_u32 v5, v4, 21, 1
	s_mov_b32 s31, exec_lo
	s_delay_alu instid0(VALU_DEP_1) | instskip(NEXT) | instid1(VALU_DEP_1)
	v_add3_u32 v5, v4, v5, 0x88fffff
	v_lshrrev_b32_e32 v5, 21, v5
	s_and_not1_saveexec_b32 s33, s33
	s_cbranch_execnz .LBB70_958
.LBB70_717:
	s_or_b32 exec_lo, exec_lo, s33
	v_mov_b32_e32 v6, 0
	s_and_saveexec_b32 s33, s31
.LBB70_718:
	v_lshrrev_b32_e32 v4, 24, v4
	s_delay_alu instid0(VALU_DEP_1)
	v_and_or_b32 v6, 0x80, v4, v5
.LBB70_719:
	s_or_b32 exec_lo, exec_lo, s33
.LBB70_720:
	s_delay_alu instid0(SALU_CYCLE_1)
	s_or_b32 exec_lo, exec_lo, s30
	s_mov_b32 s30, 0
	global_store_b8 v[2:3], v6, off
.LBB70_721:
	s_and_b32 vcc_lo, exec_lo, s30
	s_cbranch_vccz .LBB70_731
; %bb.722:
	s_wait_xcnt 0x0
	s_delay_alu instid0(VALU_DEP_1) | instskip(SKIP_2) | instid1(VALU_DEP_2)
	v_xor_b32_e32 v4, v0, v1
	v_cls_i32_e32 v5, v1
	s_mov_b32 s30, exec_lo
	v_ashrrev_i32_e32 v4, 31, v4
	s_delay_alu instid0(VALU_DEP_1) | instskip(NEXT) | instid1(VALU_DEP_1)
	v_add_nc_u32_e32 v4, 32, v4
	v_add_min_u32_e64 v6, v5, -1, v4
	s_delay_alu instid0(VALU_DEP_1) | instskip(NEXT) | instid1(VALU_DEP_1)
	v_lshlrev_b64_e32 v[4:5], v6, v[0:1]
	v_min_u32_e32 v4, 1, v4
	s_delay_alu instid0(VALU_DEP_1) | instskip(NEXT) | instid1(VALU_DEP_1)
	v_dual_sub_nc_u32 v5, 32, v6 :: v_dual_bitop2_b32 v4, v5, v4 bitop3:0x54
	v_cvt_f32_i32_e32 v4, v4
	s_delay_alu instid0(VALU_DEP_1) | instskip(NEXT) | instid1(VALU_DEP_1)
	v_ldexp_f32 v4, v4, v5
                                        ; implicit-def: $vgpr5
	v_and_b32_e32 v6, 0x7fffffff, v4
	s_delay_alu instid0(VALU_DEP_1)
	v_cmpx_gt_u32_e32 0x43f00000, v6
	s_xor_b32 s30, exec_lo, s30
	s_cbranch_execz .LBB70_728
; %bb.723:
	s_mov_b32 s31, exec_lo
                                        ; implicit-def: $vgpr5
	v_cmpx_lt_u32_e32 0x3c7fffff, v6
	s_xor_b32 s31, exec_lo, s31
; %bb.724:
	v_bfe_u32 v5, v4, 20, 1
	s_delay_alu instid0(VALU_DEP_1) | instskip(NEXT) | instid1(VALU_DEP_1)
	v_add3_u32 v5, v4, v5, 0x407ffff
	v_and_b32_e32 v6, 0xff00000, v5
	v_lshrrev_b32_e32 v5, 20, v5
	s_delay_alu instid0(VALU_DEP_2) | instskip(NEXT) | instid1(VALU_DEP_2)
	v_cmp_ne_u32_e32 vcc_lo, 0x7f00000, v6
	v_cndmask_b32_e32 v5, 0x7e, v5, vcc_lo
; %bb.725:
	s_and_not1_saveexec_b32 s31, s31
; %bb.726:
	v_add_f32_e64 v5, 0x46800000, |v4|
; %bb.727:
	s_or_b32 exec_lo, exec_lo, s31
                                        ; implicit-def: $vgpr6
.LBB70_728:
	s_and_not1_saveexec_b32 s30, s30
; %bb.729:
	v_mov_b32_e32 v5, 0x7f
	v_cmp_lt_u32_e32 vcc_lo, 0x7f800000, v6
	s_delay_alu instid0(VALU_DEP_2)
	v_cndmask_b32_e32 v5, 0x7e, v5, vcc_lo
; %bb.730:
	s_or_b32 exec_lo, exec_lo, s30
	v_lshrrev_b32_e32 v4, 24, v4
	s_delay_alu instid0(VALU_DEP_1)
	v_and_or_b32 v4, 0x80, v4, v5
	global_store_b8 v[2:3], v4, off
.LBB70_731:
	s_mov_b32 s30, 0
.LBB70_732:
	s_delay_alu instid0(SALU_CYCLE_1)
	s_and_not1_b32 vcc_lo, exec_lo, s30
	s_cbranch_vccnz .LBB70_742
; %bb.733:
	s_wait_xcnt 0x0
	s_delay_alu instid0(VALU_DEP_1) | instskip(SKIP_2) | instid1(VALU_DEP_2)
	v_xor_b32_e32 v4, v0, v1
	v_cls_i32_e32 v5, v1
	s_mov_b32 s30, exec_lo
	v_ashrrev_i32_e32 v4, 31, v4
	s_delay_alu instid0(VALU_DEP_1) | instskip(NEXT) | instid1(VALU_DEP_1)
	v_add_nc_u32_e32 v4, 32, v4
	v_add_min_u32_e64 v6, v5, -1, v4
	s_delay_alu instid0(VALU_DEP_1) | instskip(NEXT) | instid1(VALU_DEP_1)
	v_lshlrev_b64_e32 v[4:5], v6, v[0:1]
	v_min_u32_e32 v4, 1, v4
	s_delay_alu instid0(VALU_DEP_1) | instskip(NEXT) | instid1(VALU_DEP_1)
	v_dual_sub_nc_u32 v5, 32, v6 :: v_dual_bitop2_b32 v4, v5, v4 bitop3:0x54
	v_cvt_f32_i32_e32 v4, v4
	s_delay_alu instid0(VALU_DEP_1) | instskip(NEXT) | instid1(VALU_DEP_1)
	v_ldexp_f32 v4, v4, v5
                                        ; implicit-def: $vgpr5
	v_and_b32_e32 v6, 0x7fffffff, v4
	s_delay_alu instid0(VALU_DEP_1)
	v_cmpx_gt_u32_e32 0x47800000, v6
	s_xor_b32 s30, exec_lo, s30
	s_cbranch_execz .LBB70_739
; %bb.734:
	s_mov_b32 s31, exec_lo
                                        ; implicit-def: $vgpr5
	v_cmpx_lt_u32_e32 0x387fffff, v6
	s_xor_b32 s31, exec_lo, s31
; %bb.735:
	v_bfe_u32 v5, v4, 21, 1
	s_delay_alu instid0(VALU_DEP_1) | instskip(NEXT) | instid1(VALU_DEP_1)
	v_add3_u32 v5, v4, v5, 0x80fffff
	v_lshrrev_b32_e32 v5, 21, v5
; %bb.736:
	s_and_not1_saveexec_b32 s31, s31
; %bb.737:
	v_add_f32_e64 v5, 0x43000000, |v4|
; %bb.738:
	s_or_b32 exec_lo, exec_lo, s31
                                        ; implicit-def: $vgpr6
.LBB70_739:
	s_and_not1_saveexec_b32 s30, s30
; %bb.740:
	v_mov_b32_e32 v5, 0x7f
	v_cmp_lt_u32_e32 vcc_lo, 0x7f800000, v6
	s_delay_alu instid0(VALU_DEP_2)
	v_cndmask_b32_e32 v5, 0x7c, v5, vcc_lo
; %bb.741:
	s_or_b32 exec_lo, exec_lo, s30
	v_lshrrev_b32_e32 v4, 24, v4
	s_delay_alu instid0(VALU_DEP_1)
	v_and_or_b32 v4, 0x80, v4, v5
	global_store_b8 v[2:3], v4, off
.LBB70_742:
	s_mov_b32 s31, 0
	s_mov_b32 s30, -1
.LBB70_743:
	s_and_not1_b32 vcc_lo, exec_lo, s31
	s_cbranch_vccnz .LBB70_751
; %bb.744:
	s_cmp_gt_i32 s29, 14
	s_mov_b32 s31, -1
	s_cbranch_scc0 .LBB70_748
; %bb.745:
	s_cmp_eq_u32 s29, 15
	s_mov_b32 s0, -1
	s_cbranch_scc0 .LBB70_747
; %bb.746:
	s_wait_xcnt 0x0
	s_delay_alu instid0(VALU_DEP_1) | instskip(SKIP_3) | instid1(VALU_DEP_2)
	v_xor_b32_e32 v4, v0, v1
	v_cls_i32_e32 v5, v1
	s_mov_b32 s30, -1
	s_mov_b32 s0, 0
	v_ashrrev_i32_e32 v4, 31, v4
	s_delay_alu instid0(VALU_DEP_1) | instskip(NEXT) | instid1(VALU_DEP_1)
	v_add_nc_u32_e32 v4, 32, v4
	v_add_min_u32_e64 v6, v5, -1, v4
	s_delay_alu instid0(VALU_DEP_1) | instskip(NEXT) | instid1(VALU_DEP_1)
	v_lshlrev_b64_e32 v[4:5], v6, v[0:1]
	v_min_u32_e32 v4, 1, v4
	s_delay_alu instid0(VALU_DEP_1) | instskip(NEXT) | instid1(VALU_DEP_1)
	v_dual_sub_nc_u32 v5, 32, v6 :: v_dual_bitop2_b32 v4, v5, v4 bitop3:0x54
	v_cvt_f32_i32_e32 v4, v4
	s_delay_alu instid0(VALU_DEP_1) | instskip(NEXT) | instid1(VALU_DEP_1)
	v_ldexp_f32 v4, v4, v5
	v_bfe_u32 v5, v4, 16, 1
	s_delay_alu instid0(VALU_DEP_1)
	v_add3_u32 v4, v4, v5, 0x7fff
	global_store_d16_hi_b16 v[2:3], v4, off
.LBB70_747:
	s_mov_b32 s31, 0
.LBB70_748:
	s_delay_alu instid0(SALU_CYCLE_1)
	s_and_b32 vcc_lo, exec_lo, s31
	s_cbranch_vccz .LBB70_751
; %bb.749:
	s_cmp_eq_u32 s29, 11
	s_mov_b32 s0, -1
	s_cbranch_scc0 .LBB70_751
; %bb.750:
	s_delay_alu instid0(VALU_DEP_1)
	v_cmp_ne_u64_e32 vcc_lo, 0, v[0:1]
	s_mov_b32 s30, -1
	s_mov_b32 s0, 0
	s_wait_xcnt 0x0
	v_cndmask_b32_e64 v4, 0, 1, vcc_lo
	global_store_b8 v[2:3], v4, off
.LBB70_751:
	s_mov_b32 s29, 0
.LBB70_752:
	s_delay_alu instid0(SALU_CYCLE_1)
	s_and_b32 vcc_lo, exec_lo, s29
	s_cbranch_vccz .LBB70_791
; %bb.753:
	s_and_b32 s26, 0xffff, s26
	s_mov_b32 s29, -1
	s_cmp_lt_i32 s26, 5
	s_cbranch_scc1 .LBB70_774
; %bb.754:
	s_cmp_lt_i32 s26, 8
	s_cbranch_scc1 .LBB70_764
; %bb.755:
	;; [unrolled: 3-line block ×3, first 2 shown]
	s_cmp_gt_i32 s26, 9
	s_cbranch_scc0 .LBB70_758
; %bb.757:
	s_wait_xcnt 0x0
	s_delay_alu instid0(VALU_DEP_1) | instskip(NEXT) | instid1(VALU_DEP_2)
	v_cvt_f64_i32_e32 v[4:5], v1
	v_cvt_f64_u32_e32 v[6:7], v0
	s_mov_b32 s29, 0
	s_delay_alu instid0(VALU_DEP_2) | instskip(NEXT) | instid1(VALU_DEP_1)
	v_ldexp_f64 v[4:5], v[4:5], 32
	v_dual_add_f64 v[4:5], v[4:5], v[6:7] :: v_dual_mov_b32 v6, 0
	s_delay_alu instid0(VALU_DEP_1)
	v_mov_b32_e32 v7, v6
	global_store_b128 v[2:3], v[4:7], off
.LBB70_758:
	s_and_not1_b32 vcc_lo, exec_lo, s29
	s_cbranch_vccnz .LBB70_760
; %bb.759:
	s_wait_xcnt 0x0
	s_delay_alu instid0(VALU_DEP_1) | instskip(SKIP_1) | instid1(VALU_DEP_2)
	v_xor_b32_e32 v4, v0, v1
	v_cls_i32_e32 v5, v1
	v_ashrrev_i32_e32 v4, 31, v4
	s_delay_alu instid0(VALU_DEP_1) | instskip(NEXT) | instid1(VALU_DEP_1)
	v_add_nc_u32_e32 v4, 32, v4
	v_add_min_u32_e64 v6, v5, -1, v4
	s_delay_alu instid0(VALU_DEP_1) | instskip(NEXT) | instid1(VALU_DEP_1)
	v_lshlrev_b64_e32 v[4:5], v6, v[0:1]
	v_min_u32_e32 v4, 1, v4
	s_delay_alu instid0(VALU_DEP_1) | instskip(NEXT) | instid1(VALU_DEP_1)
	v_dual_sub_nc_u32 v5, 32, v6 :: v_dual_bitop2_b32 v4, v5, v4 bitop3:0x54
	v_cvt_f32_i32_e32 v4, v4
	s_delay_alu instid0(VALU_DEP_1)
	v_ldexp_f32 v4, v4, v5
	v_mov_b32_e32 v5, 0
	global_store_b64 v[2:3], v[4:5], off
.LBB70_760:
	s_mov_b32 s29, 0
.LBB70_761:
	s_delay_alu instid0(SALU_CYCLE_1)
	s_and_not1_b32 vcc_lo, exec_lo, s29
	s_cbranch_vccnz .LBB70_763
; %bb.762:
	s_wait_xcnt 0x0
	s_delay_alu instid0(VALU_DEP_1) | instskip(SKIP_1) | instid1(VALU_DEP_2)
	v_xor_b32_e32 v4, v0, v1
	v_cls_i32_e32 v5, v1
	v_ashrrev_i32_e32 v4, 31, v4
	s_delay_alu instid0(VALU_DEP_1) | instskip(NEXT) | instid1(VALU_DEP_1)
	v_add_nc_u32_e32 v4, 32, v4
	v_add_min_u32_e64 v6, v5, -1, v4
	s_delay_alu instid0(VALU_DEP_1) | instskip(NEXT) | instid1(VALU_DEP_1)
	v_lshlrev_b64_e32 v[4:5], v6, v[0:1]
	v_min_u32_e32 v4, 1, v4
	s_delay_alu instid0(VALU_DEP_1) | instskip(NEXT) | instid1(VALU_DEP_1)
	v_dual_sub_nc_u32 v5, 32, v6 :: v_dual_bitop2_b32 v4, v5, v4 bitop3:0x54
	v_cvt_f32_i32_e32 v4, v4
	s_delay_alu instid0(VALU_DEP_1) | instskip(NEXT) | instid1(VALU_DEP_1)
	v_ldexp_f32 v4, v4, v5
	v_cvt_f16_f32_e32 v4, v4
	s_delay_alu instid0(VALU_DEP_1)
	v_and_b32_e32 v4, 0xffff, v4
	global_store_b32 v[2:3], v4, off
.LBB70_763:
	s_mov_b32 s29, 0
.LBB70_764:
	s_delay_alu instid0(SALU_CYCLE_1)
	s_and_not1_b32 vcc_lo, exec_lo, s29
	s_cbranch_vccnz .LBB70_773
; %bb.765:
	s_cmp_lt_i32 s26, 6
	s_mov_b32 s29, -1
	s_cbranch_scc1 .LBB70_771
; %bb.766:
	s_cmp_gt_i32 s26, 6
	s_cbranch_scc0 .LBB70_768
; %bb.767:
	s_wait_xcnt 0x0
	s_delay_alu instid0(VALU_DEP_1) | instskip(NEXT) | instid1(VALU_DEP_2)
	v_cvt_f64_i32_e32 v[4:5], v1
	v_cvt_f64_u32_e32 v[6:7], v0
	s_mov_b32 s29, 0
	s_delay_alu instid0(VALU_DEP_2) | instskip(NEXT) | instid1(VALU_DEP_1)
	v_ldexp_f64 v[4:5], v[4:5], 32
	v_add_f64_e32 v[4:5], v[4:5], v[6:7]
	global_store_b64 v[2:3], v[4:5], off
.LBB70_768:
	s_and_not1_b32 vcc_lo, exec_lo, s29
	s_cbranch_vccnz .LBB70_770
; %bb.769:
	s_wait_xcnt 0x0
	s_delay_alu instid0(VALU_DEP_1) | instskip(SKIP_1) | instid1(VALU_DEP_2)
	v_xor_b32_e32 v4, v0, v1
	v_cls_i32_e32 v5, v1
	v_ashrrev_i32_e32 v4, 31, v4
	s_delay_alu instid0(VALU_DEP_1) | instskip(NEXT) | instid1(VALU_DEP_1)
	v_add_nc_u32_e32 v4, 32, v4
	v_add_min_u32_e64 v6, v5, -1, v4
	s_delay_alu instid0(VALU_DEP_1) | instskip(NEXT) | instid1(VALU_DEP_1)
	v_lshlrev_b64_e32 v[4:5], v6, v[0:1]
	v_min_u32_e32 v4, 1, v4
	s_delay_alu instid0(VALU_DEP_1) | instskip(NEXT) | instid1(VALU_DEP_1)
	v_dual_sub_nc_u32 v5, 32, v6 :: v_dual_bitop2_b32 v4, v5, v4 bitop3:0x54
	v_cvt_f32_i32_e32 v4, v4
	s_delay_alu instid0(VALU_DEP_1)
	v_ldexp_f32 v4, v4, v5
	global_store_b32 v[2:3], v4, off
.LBB70_770:
	s_mov_b32 s29, 0
.LBB70_771:
	s_delay_alu instid0(SALU_CYCLE_1)
	s_and_not1_b32 vcc_lo, exec_lo, s29
	s_cbranch_vccnz .LBB70_773
; %bb.772:
	s_wait_xcnt 0x0
	s_delay_alu instid0(VALU_DEP_1) | instskip(SKIP_1) | instid1(VALU_DEP_2)
	v_xor_b32_e32 v4, v0, v1
	v_cls_i32_e32 v5, v1
	v_ashrrev_i32_e32 v4, 31, v4
	s_delay_alu instid0(VALU_DEP_1) | instskip(NEXT) | instid1(VALU_DEP_1)
	v_add_nc_u32_e32 v4, 32, v4
	v_add_min_u32_e64 v6, v5, -1, v4
	s_delay_alu instid0(VALU_DEP_1) | instskip(NEXT) | instid1(VALU_DEP_1)
	v_lshlrev_b64_e32 v[4:5], v6, v[0:1]
	v_min_u32_e32 v4, 1, v4
	s_delay_alu instid0(VALU_DEP_1) | instskip(NEXT) | instid1(VALU_DEP_1)
	v_dual_sub_nc_u32 v5, 32, v6 :: v_dual_bitop2_b32 v4, v5, v4 bitop3:0x54
	v_cvt_f32_i32_e32 v4, v4
	s_delay_alu instid0(VALU_DEP_1) | instskip(NEXT) | instid1(VALU_DEP_1)
	v_ldexp_f32 v4, v4, v5
	v_cvt_f16_f32_e32 v4, v4
	global_store_b16 v[2:3], v4, off
.LBB70_773:
	s_mov_b32 s29, 0
.LBB70_774:
	s_delay_alu instid0(SALU_CYCLE_1)
	s_and_not1_b32 vcc_lo, exec_lo, s29
	s_cbranch_vccnz .LBB70_790
; %bb.775:
	s_cmp_lt_i32 s26, 2
	s_mov_b32 s29, -1
	s_cbranch_scc1 .LBB70_785
; %bb.776:
	s_cmp_lt_i32 s26, 3
	s_cbranch_scc1 .LBB70_782
; %bb.777:
	s_cmp_gt_i32 s26, 3
	s_cbranch_scc0 .LBB70_779
; %bb.778:
	s_mov_b32 s29, 0
	global_store_b64 v[2:3], v[0:1], off
.LBB70_779:
	s_and_not1_b32 vcc_lo, exec_lo, s29
	s_cbranch_vccnz .LBB70_781
; %bb.780:
	global_store_b32 v[2:3], v0, off
.LBB70_781:
	s_mov_b32 s29, 0
.LBB70_782:
	s_delay_alu instid0(SALU_CYCLE_1)
	s_and_not1_b32 vcc_lo, exec_lo, s29
	s_cbranch_vccnz .LBB70_784
; %bb.783:
	global_store_b16 v[2:3], v0, off
.LBB70_784:
	s_mov_b32 s29, 0
.LBB70_785:
	s_delay_alu instid0(SALU_CYCLE_1)
	s_and_not1_b32 vcc_lo, exec_lo, s29
	s_cbranch_vccnz .LBB70_790
; %bb.786:
	s_cmp_gt_i32 s26, 0
	s_mov_b32 s26, -1
	s_cbranch_scc0 .LBB70_788
; %bb.787:
	s_mov_b32 s26, 0
	global_store_b8 v[2:3], v0, off
.LBB70_788:
	s_and_not1_b32 vcc_lo, exec_lo, s26
	s_cbranch_vccnz .LBB70_790
; %bb.789:
	global_store_b8 v[2:3], v0, off
.LBB70_790:
	s_mov_b32 s30, -1
.LBB70_791:
	s_delay_alu instid0(SALU_CYCLE_1)
	s_and_not1_b32 vcc_lo, exec_lo, s30
	s_cbranch_vccnz .LBB70_802
; %bb.792:
	v_add_nc_u32_e32 v18, 0x80, v18
	s_mov_b32 s29, -1
.LBB70_793:
	s_and_not1_b32 s26, s18, exec_lo
	s_and_b32 s0, s0, exec_lo
	s_and_not1_b32 s30, s20, exec_lo
	s_and_b32 s31, s25, exec_lo
	s_or_b32 s25, s26, s0
	s_or_b32 s26, s30, s31
	s_and_not1_b32 s0, s21, exec_lo
	s_and_b32 s24, s24, exec_lo
	s_and_not1_b32 s30, s22, exec_lo
	s_and_b32 s31, s27, exec_lo
	s_or_b32 s27, s0, s24
	s_or_b32 s24, s30, s31
	s_or_not1_b32 s29, s29, exec_lo
.LBB70_794:
	s_wait_xcnt 0x0
	s_or_b32 exec_lo, exec_lo, s28
	s_mov_b32 s0, 0
	s_and_saveexec_b32 s28, s29
	s_cbranch_execz .LBB70_1220
; %bb.795:
	s_mov_b32 s31, -1
	s_mov_b32 s0, s24
	s_mov_b32 s30, s27
	;; [unrolled: 1-line block ×4, first 2 shown]
	s_mov_b32 s29, exec_lo
	v_cmpx_gt_i32_e64 s19, v18
	s_cbranch_execz .LBB70_1196
; %bb.796:
	s_and_b32 s30, s16, 0xff
	s_delay_alu instid0(SALU_CYCLE_1)
	s_cmp_lt_i32 s30, 23
	s_cbranch_scc1 .LBB70_800
; %bb.797:
	s_and_b32 s33, 0xffff, s30
	s_delay_alu instid0(SALU_CYCLE_1)
	s_cmp_gt_i32 s33, 43
	s_cbranch_scc0 .LBB70_801
; %bb.798:
	s_cmp_gt_i32 s33, 45
	s_cbranch_scc0 .LBB70_803
; %bb.799:
	s_cmp_eq_u32 s33, 46
	s_mov_b32 s34, 0
	s_cselect_b32 s0, -1, 0
	s_or_b32 s31, s24, exec_lo
	s_branch .LBB70_804
.LBB70_800:
	s_mov_b32 s33, -1
	s_mov_b32 s0, 0
	s_mov_b32 s31, s24
	s_branch .LBB70_810
.LBB70_801:
	s_mov_b32 s34, -1
	s_mov_b32 s0, 0
	s_mov_b32 s31, s24
	s_branch .LBB70_807
.LBB70_802:
	s_mov_b32 s29, 0
	s_branch .LBB70_422
.LBB70_803:
	s_mov_b32 s34, -1
	s_mov_b32 s0, 0
	s_mov_b32 s31, s24
.LBB70_804:
	s_and_not1_b32 vcc_lo, exec_lo, s34
	s_cbranch_vccnz .LBB70_806
; %bb.805:
	s_cmp_eq_u32 s33, 44
	s_cselect_b32 s0, -1, 0
	s_cmp_lg_u32 s33, 44
	s_cselect_b32 s34, -1, 0
	s_and_not1_b32 s31, s31, exec_lo
	s_and_b32 s34, s34, exec_lo
	s_delay_alu instid0(SALU_CYCLE_1)
	s_or_b32 s31, s31, s34
.LBB70_806:
	s_mov_b32 s34, 0
.LBB70_807:
	s_delay_alu instid0(SALU_CYCLE_1)
	s_and_b32 vcc_lo, exec_lo, s34
	s_cbranch_vccz .LBB70_809
; %bb.808:
	s_cmp_lt_i32 s33, 30
	s_cselect_b32 s0, -1, 0
	s_cmp_gt_i32 s33, 29
	s_cselect_b32 s33, -1, 0
	s_and_not1_b32 s31, s31, exec_lo
	s_and_b32 s33, s33, exec_lo
	s_delay_alu instid0(SALU_CYCLE_1)
	s_or_b32 s31, s31, s33
.LBB70_809:
	s_mov_b32 s33, 0
.LBB70_810:
	s_delay_alu instid0(SALU_CYCLE_1)
	s_and_b32 vcc_lo, exec_lo, s33
	s_cbranch_vccz .LBB70_815
; %bb.811:
	s_and_b32 s30, 0xffff, s30
	s_mov_b32 s33, -1
	s_cmp_gt_i32 s30, 14
	s_cbranch_scc0 .LBB70_813
; %bb.812:
	s_cmp_eq_u32 s30, 15
	s_cselect_b32 s0, -1, 0
	s_cmp_lg_u32 s30, 15
	s_cselect_b32 s33, -1, 0
	s_and_not1_b32 s31, s31, exec_lo
	s_and_b32 s34, s33, exec_lo
	s_mov_b32 s33, 0
	s_or_b32 s31, s31, s34
.LBB70_813:
	s_and_not1_b32 vcc_lo, exec_lo, s33
	s_cbranch_vccnz .LBB70_815
; %bb.814:
	s_cmp_lt_i32 s30, 12
	s_cselect_b32 s0, -1, 0
	s_cmp_gt_i32 s30, 11
	s_cselect_b32 s30, -1, 0
	s_and_not1_b32 s31, s31, exec_lo
	s_and_b32 s30, s30, exec_lo
	s_delay_alu instid0(SALU_CYCLE_1)
	s_or_b32 s31, s31, s30
.LBB70_815:
	s_and_b32 vcc_lo, exec_lo, s0
	s_cbranch_vccz .LBB70_823
; %bb.816:
	s_wait_loadcnt 0x0
	v_mul_lo_u32 v0, v18, s4
	s_and_b32 s0, s14, 0xff
	s_delay_alu instid0(SALU_CYCLE_1) | instskip(NEXT) | instid1(VALU_DEP_1)
	s_cmp_lt_i32 s0, 11
	v_ashrrev_i32_e32 v1, 31, v0
	s_delay_alu instid0(VALU_DEP_1)
	v_add_nc_u64_e32 v[2:3], s[8:9], v[0:1]
	s_cbranch_scc1 .LBB70_825
; %bb.817:
	s_and_b32 s31, 0xffff, s0
	s_delay_alu instid0(SALU_CYCLE_1)
	s_cmp_gt_i32 s31, 25
	s_cbranch_scc0 .LBB70_826
; %bb.818:
	s_cmp_gt_i32 s31, 28
	s_cbranch_scc0 .LBB70_827
; %bb.819:
	;; [unrolled: 3-line block ×4, first 2 shown]
	s_cmp_eq_u32 s31, 46
	s_mov_b32 s34, 0
	s_cbranch_scc0 .LBB70_832
; %bb.822:
	global_load_b32 v0, v[2:3], off
	s_mov_b32 s33, -1
	s_mov_b32 s30, 0
	s_wait_loadcnt 0x0
	v_lshlrev_b32_e32 v0, 16, v0
	s_delay_alu instid0(VALU_DEP_1) | instskip(NEXT) | instid1(VALU_DEP_1)
	v_trunc_f32_e32 v0, v0
	v_mul_f32_e64 v1, 0x2f800000, |v0|
	s_delay_alu instid0(VALU_DEP_1) | instskip(NEXT) | instid1(VALU_DEP_1)
	v_floor_f32_e32 v1, v1
	v_fma_f32 v4, 0xcf800000, v1, |v0|
	v_ashrrev_i32_e32 v0, 31, v0
	v_cvt_u32_f32_e32 v5, v1
	s_delay_alu instid0(VALU_DEP_3) | instskip(NEXT) | instid1(VALU_DEP_2)
	v_cvt_u32_f32_e32 v4, v4
	v_dual_mov_b32 v1, v0 :: v_dual_bitop2_b32 v5, v5, v0 bitop3:0x14
	s_delay_alu instid0(VALU_DEP_2) | instskip(NEXT) | instid1(VALU_DEP_1)
	v_xor_b32_e32 v4, v4, v0
	v_sub_nc_u64_e32 v[0:1], v[4:5], v[0:1]
	s_branch .LBB70_834
.LBB70_823:
	s_mov_b32 s35, 0
	s_mov_b32 s0, s25
	;; [unrolled: 1-line block ×4, first 2 shown]
.LBB70_824:
                                        ; implicit-def: $vgpr18
	s_branch .LBB70_1195
.LBB70_825:
	s_mov_b32 s31, -1
	s_mov_b32 s33, 0
	s_mov_b32 s30, s27
                                        ; implicit-def: $vgpr0_vgpr1
	s_branch .LBB70_895
.LBB70_826:
	s_mov_b32 s34, -1
	s_mov_b32 s33, 0
	s_mov_b32 s30, s27
                                        ; implicit-def: $vgpr0_vgpr1
	s_branch .LBB70_861
.LBB70_827:
	s_mov_b32 s34, -1
	s_mov_b32 s33, 0
	s_mov_b32 s30, s27
                                        ; implicit-def: $vgpr0_vgpr1
	s_branch .LBB70_844
.LBB70_828:
	s_mov_b32 s34, -1
	s_mov_b32 s33, 0
	s_mov_b32 s30, s27
                                        ; implicit-def: $vgpr0_vgpr1
	s_branch .LBB70_839
.LBB70_829:
	s_mov_b32 s34, -1
	s_mov_b32 s33, 0
	s_mov_b32 s30, s27
	s_branch .LBB70_833
.LBB70_830:
	s_and_not1_saveexec_b32 s33, s33
	s_cbranch_execz .LBB70_704
.LBB70_831:
	v_add_f32_e64 v5, 0x46000000, |v4|
	s_and_not1_b32 s31, s31, exec_lo
	s_delay_alu instid0(VALU_DEP_1) | instskip(NEXT) | instid1(VALU_DEP_1)
	v_and_b32_e32 v5, 0xff, v5
	v_cmp_ne_u32_e32 vcc_lo, 0, v5
	s_and_b32 s34, vcc_lo, exec_lo
	s_delay_alu instid0(SALU_CYCLE_1)
	s_or_b32 s31, s31, s34
	s_or_b32 exec_lo, exec_lo, s33
	v_mov_b32_e32 v6, 0
	s_and_saveexec_b32 s33, s31
	s_cbranch_execnz .LBB70_705
	s_branch .LBB70_706
.LBB70_832:
	s_mov_b32 s30, -1
	s_mov_b32 s33, 0
.LBB70_833:
                                        ; implicit-def: $vgpr0_vgpr1
.LBB70_834:
	s_and_b32 vcc_lo, exec_lo, s34
	s_cbranch_vccz .LBB70_838
; %bb.835:
	s_cmp_eq_u32 s31, 44
	s_cbranch_scc0 .LBB70_837
; %bb.836:
	global_load_u8 v6, v[2:3], off
	s_mov_b32 s30, 0
	s_mov_b32 s33, -1
	s_wait_loadcnt 0x0
	v_cmp_ne_u32_e32 vcc_lo, 0, v6
	v_lshlrev_b32_e32 v0, 23, v6
	s_delay_alu instid0(VALU_DEP_1) | instskip(NEXT) | instid1(VALU_DEP_1)
	v_trunc_f32_e32 v0, v0
	v_mul_f32_e64 v1, 0x2f800000, |v0|
	s_delay_alu instid0(VALU_DEP_1) | instskip(NEXT) | instid1(VALU_DEP_1)
	v_floor_f32_e32 v1, v1
	v_fma_f32 v4, 0xcf800000, v1, |v0|
	v_ashrrev_i32_e32 v0, 31, v0
	v_cvt_u32_f32_e32 v5, v1
	s_delay_alu instid0(VALU_DEP_3) | instskip(NEXT) | instid1(VALU_DEP_2)
	v_cvt_u32_f32_e32 v4, v4
	v_dual_mov_b32 v1, v0 :: v_dual_bitop2_b32 v5, v5, v0 bitop3:0x14
	s_delay_alu instid0(VALU_DEP_2) | instskip(NEXT) | instid1(VALU_DEP_1)
	v_xor_b32_e32 v4, v4, v0
	v_sub_nc_u64_e32 v[0:1], v[4:5], v[0:1]
	s_delay_alu instid0(VALU_DEP_1)
	v_dual_cndmask_b32 v1, 0, v1 :: v_dual_cndmask_b32 v0, 0, v0
	s_branch .LBB70_838
.LBB70_837:
	s_mov_b32 s30, -1
                                        ; implicit-def: $vgpr0_vgpr1
.LBB70_838:
	s_mov_b32 s34, 0
.LBB70_839:
	s_delay_alu instid0(SALU_CYCLE_1)
	s_and_b32 vcc_lo, exec_lo, s34
	s_cbranch_vccz .LBB70_843
; %bb.840:
	s_cmp_eq_u32 s31, 29
	s_cbranch_scc0 .LBB70_842
; %bb.841:
	global_load_b64 v[0:1], v[2:3], off
	s_mov_b32 s33, -1
	s_mov_b32 s30, 0
	s_branch .LBB70_843
.LBB70_842:
	s_mov_b32 s30, -1
                                        ; implicit-def: $vgpr0_vgpr1
.LBB70_843:
	s_mov_b32 s34, 0
.LBB70_844:
	s_delay_alu instid0(SALU_CYCLE_1)
	s_and_b32 vcc_lo, exec_lo, s34
	s_cbranch_vccz .LBB70_860
; %bb.845:
	s_cmp_lt_i32 s31, 27
	s_cbranch_scc1 .LBB70_848
; %bb.846:
	s_cmp_gt_i32 s31, 27
	s_cbranch_scc0 .LBB70_849
; %bb.847:
	s_wait_loadcnt 0x0
	global_load_b32 v0, v[2:3], off
	v_mov_b32_e32 v1, 0
	s_mov_b32 s33, 0
	s_branch .LBB70_850
.LBB70_848:
	s_mov_b32 s33, -1
                                        ; implicit-def: $vgpr0_vgpr1
	s_branch .LBB70_853
.LBB70_849:
	s_mov_b32 s33, -1
                                        ; implicit-def: $vgpr0_vgpr1
.LBB70_850:
	s_delay_alu instid0(SALU_CYCLE_1)
	s_and_not1_b32 vcc_lo, exec_lo, s33
	s_cbranch_vccnz .LBB70_852
; %bb.851:
	s_wait_loadcnt 0x0
	global_load_u16 v0, v[2:3], off
	s_mov_b32 s33, 0
	s_delay_alu instid0(SALU_CYCLE_1)
	v_mov_b32_e32 v1, s33
	s_wait_loadcnt 0x0
	v_and_b32_e32 v0, 0xffff, v0
.LBB70_852:
	s_mov_b32 s33, 0
.LBB70_853:
	s_delay_alu instid0(SALU_CYCLE_1)
	s_and_not1_b32 vcc_lo, exec_lo, s33
	s_cbranch_vccnz .LBB70_859
; %bb.854:
	global_load_u8 v4, v[2:3], off
	s_mov_b32 s34, 0
	s_mov_b32 s33, exec_lo
	s_wait_loadcnt 0x0
	v_cmpx_lt_i16_e32 0x7f, v4
	s_xor_b32 s33, exec_lo, s33
	s_cbranch_execz .LBB70_871
; %bb.855:
	v_cmp_ne_u16_e32 vcc_lo, 0x80, v4
	s_and_b32 s34, vcc_lo, exec_lo
	s_and_not1_saveexec_b32 s33, s33
	s_cbranch_execnz .LBB70_872
.LBB70_856:
	s_or_b32 exec_lo, exec_lo, s33
	v_mov_b64_e32 v[0:1], 0
	s_and_saveexec_b32 s33, s34
	s_cbranch_execz .LBB70_858
.LBB70_857:
	v_and_b32_e32 v0, 0xffff, v4
	s_delay_alu instid0(VALU_DEP_1) | instskip(SKIP_1) | instid1(VALU_DEP_2)
	v_and_b32_e32 v1, 7, v0
	v_bfe_u32 v7, v0, 3, 4
	v_clz_i32_u32_e32 v5, v1
	s_delay_alu instid0(VALU_DEP_2) | instskip(NEXT) | instid1(VALU_DEP_2)
	v_cmp_eq_u32_e32 vcc_lo, 0, v7
	v_min_u32_e32 v5, 32, v5
	s_delay_alu instid0(VALU_DEP_1) | instskip(NEXT) | instid1(VALU_DEP_1)
	v_subrev_nc_u32_e32 v6, 28, v5
	v_dual_lshlrev_b32 v0, v6, v0 :: v_dual_sub_nc_u32 v5, 29, v5
	s_delay_alu instid0(VALU_DEP_1) | instskip(NEXT) | instid1(VALU_DEP_2)
	v_and_b32_e32 v0, 7, v0
	v_dual_cndmask_b32 v5, v7, v5 :: v_dual_lshlrev_b32 v4, 24, v4
	s_delay_alu instid0(VALU_DEP_2) | instskip(NEXT) | instid1(VALU_DEP_2)
	v_cndmask_b32_e32 v0, v1, v0, vcc_lo
	v_and_b32_e32 v1, 0x80000000, v4
	s_delay_alu instid0(VALU_DEP_3) | instskip(NEXT) | instid1(VALU_DEP_3)
	v_lshl_add_u32 v4, v5, 23, 0x3b800000
	v_lshlrev_b32_e32 v0, 20, v0
	s_delay_alu instid0(VALU_DEP_1) | instskip(NEXT) | instid1(VALU_DEP_1)
	v_or3_b32 v0, v1, v4, v0
	v_trunc_f32_e32 v0, v0
	s_delay_alu instid0(VALU_DEP_1) | instskip(NEXT) | instid1(VALU_DEP_1)
	v_mul_f32_e64 v1, 0x2f800000, |v0|
	v_floor_f32_e32 v1, v1
	s_delay_alu instid0(VALU_DEP_1) | instskip(SKIP_2) | instid1(VALU_DEP_3)
	v_fma_f32 v4, 0xcf800000, v1, |v0|
	v_ashrrev_i32_e32 v0, 31, v0
	v_cvt_u32_f32_e32 v5, v1
	v_cvt_u32_f32_e32 v4, v4
	s_delay_alu instid0(VALU_DEP_2) | instskip(NEXT) | instid1(VALU_DEP_2)
	v_dual_mov_b32 v1, v0 :: v_dual_bitop2_b32 v5, v5, v0 bitop3:0x14
	v_xor_b32_e32 v4, v4, v0
	s_delay_alu instid0(VALU_DEP_1)
	v_sub_nc_u64_e32 v[0:1], v[4:5], v[0:1]
.LBB70_858:
	s_or_b32 exec_lo, exec_lo, s33
.LBB70_859:
	s_mov_b32 s33, -1
.LBB70_860:
	s_mov_b32 s34, 0
.LBB70_861:
	s_delay_alu instid0(SALU_CYCLE_1)
	s_and_b32 vcc_lo, exec_lo, s34
	s_cbranch_vccz .LBB70_894
; %bb.862:
	s_cmp_gt_i32 s31, 22
	s_cbranch_scc0 .LBB70_870
; %bb.863:
	s_cmp_lt_i32 s31, 24
	s_cbranch_scc1 .LBB70_873
; %bb.864:
	s_cmp_gt_i32 s31, 24
	s_cbranch_scc0 .LBB70_874
; %bb.865:
	global_load_u8 v4, v[2:3], off
	s_mov_b32 s34, 0
	s_mov_b32 s33, exec_lo
	s_wait_loadcnt 0x0
	v_cmpx_lt_i16_e32 0x7f, v4
	s_xor_b32 s33, exec_lo, s33
	s_cbranch_execz .LBB70_886
; %bb.866:
	v_cmp_ne_u16_e32 vcc_lo, 0x80, v4
	s_and_b32 s34, vcc_lo, exec_lo
	s_and_not1_saveexec_b32 s33, s33
	s_cbranch_execnz .LBB70_887
.LBB70_867:
	s_or_b32 exec_lo, exec_lo, s33
	v_mov_b64_e32 v[0:1], 0
	s_and_saveexec_b32 s33, s34
	s_cbranch_execz .LBB70_869
.LBB70_868:
	v_and_b32_e32 v0, 0xffff, v4
	s_delay_alu instid0(VALU_DEP_1) | instskip(SKIP_1) | instid1(VALU_DEP_2)
	v_and_b32_e32 v1, 3, v0
	v_bfe_u32 v7, v0, 2, 5
	v_clz_i32_u32_e32 v5, v1
	s_delay_alu instid0(VALU_DEP_2) | instskip(NEXT) | instid1(VALU_DEP_2)
	v_cmp_eq_u32_e32 vcc_lo, 0, v7
	v_min_u32_e32 v5, 32, v5
	s_delay_alu instid0(VALU_DEP_1) | instskip(NEXT) | instid1(VALU_DEP_1)
	v_subrev_nc_u32_e32 v6, 29, v5
	v_dual_lshlrev_b32 v0, v6, v0 :: v_dual_sub_nc_u32 v5, 30, v5
	s_delay_alu instid0(VALU_DEP_1) | instskip(NEXT) | instid1(VALU_DEP_2)
	v_and_b32_e32 v0, 3, v0
	v_dual_cndmask_b32 v5, v7, v5 :: v_dual_lshlrev_b32 v4, 24, v4
	s_delay_alu instid0(VALU_DEP_2) | instskip(NEXT) | instid1(VALU_DEP_2)
	v_cndmask_b32_e32 v0, v1, v0, vcc_lo
	v_and_b32_e32 v1, 0x80000000, v4
	s_delay_alu instid0(VALU_DEP_3) | instskip(NEXT) | instid1(VALU_DEP_3)
	v_lshl_add_u32 v4, v5, 23, 0x37800000
	v_lshlrev_b32_e32 v0, 21, v0
	s_delay_alu instid0(VALU_DEP_1) | instskip(NEXT) | instid1(VALU_DEP_1)
	v_or3_b32 v0, v1, v4, v0
	v_trunc_f32_e32 v0, v0
	s_delay_alu instid0(VALU_DEP_1) | instskip(NEXT) | instid1(VALU_DEP_1)
	v_mul_f32_e64 v1, 0x2f800000, |v0|
	v_floor_f32_e32 v1, v1
	s_delay_alu instid0(VALU_DEP_1) | instskip(SKIP_2) | instid1(VALU_DEP_3)
	v_fma_f32 v4, 0xcf800000, v1, |v0|
	v_ashrrev_i32_e32 v0, 31, v0
	v_cvt_u32_f32_e32 v5, v1
	v_cvt_u32_f32_e32 v4, v4
	s_delay_alu instid0(VALU_DEP_2) | instskip(NEXT) | instid1(VALU_DEP_2)
	v_dual_mov_b32 v1, v0 :: v_dual_bitop2_b32 v5, v5, v0 bitop3:0x14
	v_xor_b32_e32 v4, v4, v0
	s_delay_alu instid0(VALU_DEP_1)
	v_sub_nc_u64_e32 v[0:1], v[4:5], v[0:1]
.LBB70_869:
	s_or_b32 exec_lo, exec_lo, s33
	s_mov_b32 s33, 0
	s_branch .LBB70_875
.LBB70_870:
	s_mov_b32 s34, -1
                                        ; implicit-def: $vgpr0_vgpr1
	s_branch .LBB70_881
.LBB70_871:
	s_and_not1_saveexec_b32 s33, s33
	s_cbranch_execz .LBB70_856
.LBB70_872:
	v_cmp_ne_u16_e32 vcc_lo, 0, v4
	s_and_not1_b32 s34, s34, exec_lo
	s_and_b32 s35, vcc_lo, exec_lo
	s_delay_alu instid0(SALU_CYCLE_1)
	s_or_b32 s34, s34, s35
	s_or_b32 exec_lo, exec_lo, s33
	v_mov_b64_e32 v[0:1], 0
	s_and_saveexec_b32 s33, s34
	s_cbranch_execnz .LBB70_857
	s_branch .LBB70_858
.LBB70_873:
	s_mov_b32 s33, -1
                                        ; implicit-def: $vgpr0_vgpr1
	s_branch .LBB70_878
.LBB70_874:
	s_mov_b32 s33, -1
                                        ; implicit-def: $vgpr0_vgpr1
.LBB70_875:
	s_delay_alu instid0(SALU_CYCLE_1)
	s_and_b32 vcc_lo, exec_lo, s33
	s_cbranch_vccz .LBB70_877
; %bb.876:
	s_wait_loadcnt 0x0
	global_load_u8 v0, v[2:3], off
	s_wait_loadcnt 0x0
	v_lshlrev_b32_e32 v0, 24, v0
	s_delay_alu instid0(VALU_DEP_1) | instskip(NEXT) | instid1(VALU_DEP_1)
	v_and_b32_e32 v1, 0x7f000000, v0
	v_clz_i32_u32_e32 v4, v1
	v_cmp_ne_u32_e32 vcc_lo, 0, v1
	v_add_nc_u32_e32 v6, 0x1000000, v1
	s_delay_alu instid0(VALU_DEP_3) | instskip(NEXT) | instid1(VALU_DEP_1)
	v_min_u32_e32 v4, 32, v4
	v_sub_nc_u32_e64 v4, v4, 4 clamp
	s_delay_alu instid0(VALU_DEP_1) | instskip(NEXT) | instid1(VALU_DEP_1)
	v_dual_lshlrev_b32 v5, v4, v1 :: v_dual_lshlrev_b32 v4, 23, v4
	v_lshrrev_b32_e32 v5, 4, v5
	s_delay_alu instid0(VALU_DEP_1) | instskip(NEXT) | instid1(VALU_DEP_1)
	v_dual_sub_nc_u32 v4, v5, v4 :: v_dual_ashrrev_i32 v5, 8, v6
	v_add_nc_u32_e32 v4, 0x3c000000, v4
	s_delay_alu instid0(VALU_DEP_1) | instskip(NEXT) | instid1(VALU_DEP_1)
	v_and_or_b32 v4, 0x7f800000, v5, v4
	v_cndmask_b32_e32 v1, 0, v4, vcc_lo
	s_delay_alu instid0(VALU_DEP_1) | instskip(NEXT) | instid1(VALU_DEP_1)
	v_and_or_b32 v0, 0x80000000, v0, v1
	v_trunc_f32_e32 v0, v0
	s_delay_alu instid0(VALU_DEP_1) | instskip(NEXT) | instid1(VALU_DEP_1)
	v_mul_f32_e64 v1, 0x2f800000, |v0|
	v_floor_f32_e32 v1, v1
	s_delay_alu instid0(VALU_DEP_1) | instskip(SKIP_2) | instid1(VALU_DEP_3)
	v_fma_f32 v4, 0xcf800000, v1, |v0|
	v_ashrrev_i32_e32 v0, 31, v0
	v_cvt_u32_f32_e32 v5, v1
	v_cvt_u32_f32_e32 v4, v4
	s_delay_alu instid0(VALU_DEP_2) | instskip(NEXT) | instid1(VALU_DEP_2)
	v_dual_mov_b32 v1, v0 :: v_dual_bitop2_b32 v5, v5, v0 bitop3:0x14
	v_xor_b32_e32 v4, v4, v0
	s_delay_alu instid0(VALU_DEP_1)
	v_sub_nc_u64_e32 v[0:1], v[4:5], v[0:1]
.LBB70_877:
	s_mov_b32 s33, 0
.LBB70_878:
	s_delay_alu instid0(SALU_CYCLE_1)
	s_and_not1_b32 vcc_lo, exec_lo, s33
	s_cbranch_vccnz .LBB70_880
; %bb.879:
	s_wait_loadcnt 0x0
	global_load_u8 v0, v[2:3], off
	s_wait_loadcnt 0x0
	v_lshlrev_b32_e32 v1, 25, v0
	v_lshlrev_b16 v0, 8, v0
	s_delay_alu instid0(VALU_DEP_1) | instskip(SKIP_1) | instid1(VALU_DEP_2)
	v_and_or_b32 v5, 0x7f00, v0, 0.5
	v_bfe_i32 v0, v0, 0, 16
	v_add_f32_e32 v5, -0.5, v5
	v_lshrrev_b32_e32 v4, 4, v1
	v_cmp_gt_u32_e32 vcc_lo, 0x8000000, v1
	s_delay_alu instid0(VALU_DEP_2) | instskip(NEXT) | instid1(VALU_DEP_1)
	v_or_b32_e32 v4, 0x70000000, v4
	v_mul_f32_e32 v4, 0x7800000, v4
	s_delay_alu instid0(VALU_DEP_1) | instskip(NEXT) | instid1(VALU_DEP_1)
	v_cndmask_b32_e32 v1, v4, v5, vcc_lo
	v_and_or_b32 v0, 0x80000000, v0, v1
	s_delay_alu instid0(VALU_DEP_1) | instskip(NEXT) | instid1(VALU_DEP_1)
	v_trunc_f32_e32 v0, v0
	v_mul_f32_e64 v1, 0x2f800000, |v0|
	s_delay_alu instid0(VALU_DEP_1) | instskip(NEXT) | instid1(VALU_DEP_1)
	v_floor_f32_e32 v1, v1
	v_fma_f32 v4, 0xcf800000, v1, |v0|
	v_ashrrev_i32_e32 v0, 31, v0
	v_cvt_u32_f32_e32 v5, v1
	s_delay_alu instid0(VALU_DEP_3) | instskip(NEXT) | instid1(VALU_DEP_2)
	v_cvt_u32_f32_e32 v4, v4
	v_dual_mov_b32 v1, v0 :: v_dual_bitop2_b32 v5, v5, v0 bitop3:0x14
	s_delay_alu instid0(VALU_DEP_2) | instskip(NEXT) | instid1(VALU_DEP_1)
	v_xor_b32_e32 v4, v4, v0
	v_sub_nc_u64_e32 v[0:1], v[4:5], v[0:1]
.LBB70_880:
	s_mov_b32 s34, 0
	s_mov_b32 s33, -1
.LBB70_881:
	s_and_not1_b32 vcc_lo, exec_lo, s34
	s_cbranch_vccnz .LBB70_894
; %bb.882:
	s_cmp_gt_i32 s31, 14
	s_cbranch_scc0 .LBB70_885
; %bb.883:
	s_cmp_eq_u32 s31, 15
	s_cbranch_scc0 .LBB70_888
; %bb.884:
	s_wait_loadcnt 0x0
	global_load_u16 v0, v[2:3], off
	s_mov_b32 s33, -1
	s_mov_b32 s30, 0
	s_wait_loadcnt 0x0
	v_lshlrev_b32_e32 v0, 16, v0
	s_delay_alu instid0(VALU_DEP_1) | instskip(NEXT) | instid1(VALU_DEP_1)
	v_trunc_f32_e32 v0, v0
	v_mul_f32_e64 v1, 0x2f800000, |v0|
	s_delay_alu instid0(VALU_DEP_1) | instskip(NEXT) | instid1(VALU_DEP_1)
	v_floor_f32_e32 v1, v1
	v_fma_f32 v4, 0xcf800000, v1, |v0|
	v_ashrrev_i32_e32 v0, 31, v0
	v_cvt_u32_f32_e32 v5, v1
	s_delay_alu instid0(VALU_DEP_3) | instskip(NEXT) | instid1(VALU_DEP_2)
	v_cvt_u32_f32_e32 v4, v4
	v_dual_mov_b32 v1, v0 :: v_dual_bitop2_b32 v5, v5, v0 bitop3:0x14
	s_delay_alu instid0(VALU_DEP_2) | instskip(NEXT) | instid1(VALU_DEP_1)
	v_xor_b32_e32 v4, v4, v0
	v_sub_nc_u64_e32 v[0:1], v[4:5], v[0:1]
	s_branch .LBB70_889
.LBB70_885:
	s_mov_b32 s34, -1
                                        ; implicit-def: $vgpr0_vgpr1
	s_branch .LBB70_890
.LBB70_886:
	s_and_not1_saveexec_b32 s33, s33
	s_cbranch_execz .LBB70_867
.LBB70_887:
	v_cmp_ne_u16_e32 vcc_lo, 0, v4
	s_and_not1_b32 s34, s34, exec_lo
	s_and_b32 s35, vcc_lo, exec_lo
	s_delay_alu instid0(SALU_CYCLE_1)
	s_or_b32 s34, s34, s35
	s_or_b32 exec_lo, exec_lo, s33
	v_mov_b64_e32 v[0:1], 0
	s_and_saveexec_b32 s33, s34
	s_cbranch_execnz .LBB70_868
	s_branch .LBB70_869
.LBB70_888:
	s_mov_b32 s30, -1
                                        ; implicit-def: $vgpr0_vgpr1
.LBB70_889:
	s_mov_b32 s34, 0
.LBB70_890:
	s_delay_alu instid0(SALU_CYCLE_1)
	s_and_b32 vcc_lo, exec_lo, s34
	s_cbranch_vccz .LBB70_894
; %bb.891:
	s_cmp_eq_u32 s31, 11
	s_cbranch_scc0 .LBB70_893
; %bb.892:
	s_wait_loadcnt 0x0
	global_load_u8 v0, v[2:3], off
	s_mov_b32 s30, 0
	s_mov_b32 s33, -1
	v_mov_b32_e32 v1, s30
	s_wait_loadcnt 0x0
	v_cmp_ne_u16_e32 vcc_lo, 0, v0
	v_cndmask_b32_e64 v0, 0, 1, vcc_lo
	s_branch .LBB70_894
.LBB70_893:
	s_mov_b32 s30, -1
                                        ; implicit-def: $vgpr0_vgpr1
.LBB70_894:
	s_mov_b32 s31, 0
.LBB70_895:
	s_delay_alu instid0(SALU_CYCLE_1)
	s_and_b32 vcc_lo, exec_lo, s31
	s_cbranch_vccz .LBB70_944
; %bb.896:
	s_and_b32 s0, 0xffff, s0
	s_delay_alu instid0(SALU_CYCLE_1)
	s_cmp_lt_i32 s0, 5
	s_cbranch_scc1 .LBB70_901
; %bb.897:
	s_cmp_lt_i32 s0, 8
	s_cbranch_scc1 .LBB70_902
; %bb.898:
	;; [unrolled: 3-line block ×3, first 2 shown]
	s_cmp_gt_i32 s0, 9
	s_cbranch_scc0 .LBB70_904
; %bb.900:
	s_wait_loadcnt 0x0
	global_load_b64 v[0:1], v[2:3], off
	s_mov_b32 s31, 0
	s_wait_loadcnt 0x0
	v_trunc_f64_e32 v[0:1], v[0:1]
	s_delay_alu instid0(VALU_DEP_1) | instskip(NEXT) | instid1(VALU_DEP_1)
	v_ldexp_f64 v[4:5], v[0:1], 0xffffffe0
	v_floor_f64_e32 v[4:5], v[4:5]
	s_delay_alu instid0(VALU_DEP_1) | instskip(SKIP_1) | instid1(VALU_DEP_2)
	v_fmamk_f64 v[6:7], v[4:5], 0xc1f00000, v[0:1]
	v_cvt_i32_f64_e32 v1, v[4:5]
	v_cvt_u32_f64_e32 v0, v[6:7]
	s_branch .LBB70_905
.LBB70_901:
	s_mov_b32 s31, -1
                                        ; implicit-def: $vgpr0_vgpr1
	s_branch .LBB70_923
.LBB70_902:
	s_mov_b32 s31, -1
                                        ; implicit-def: $vgpr0_vgpr1
	s_branch .LBB70_911
.LBB70_903:
	s_mov_b32 s31, -1
                                        ; implicit-def: $vgpr0_vgpr1
	s_branch .LBB70_908
.LBB70_904:
	s_mov_b32 s31, -1
                                        ; implicit-def: $vgpr0_vgpr1
.LBB70_905:
	s_delay_alu instid0(SALU_CYCLE_1)
	s_and_not1_b32 vcc_lo, exec_lo, s31
	s_cbranch_vccnz .LBB70_907
; %bb.906:
	s_wait_loadcnt 0x0
	global_load_b32 v0, v[2:3], off
	s_wait_loadcnt 0x0
	v_trunc_f32_e32 v0, v0
	s_delay_alu instid0(VALU_DEP_1) | instskip(NEXT) | instid1(VALU_DEP_1)
	v_mul_f32_e64 v1, 0x2f800000, |v0|
	v_floor_f32_e32 v1, v1
	s_delay_alu instid0(VALU_DEP_1) | instskip(SKIP_2) | instid1(VALU_DEP_3)
	v_fma_f32 v4, 0xcf800000, v1, |v0|
	v_ashrrev_i32_e32 v0, 31, v0
	v_cvt_u32_f32_e32 v5, v1
	v_cvt_u32_f32_e32 v4, v4
	s_delay_alu instid0(VALU_DEP_2) | instskip(NEXT) | instid1(VALU_DEP_2)
	v_dual_mov_b32 v1, v0 :: v_dual_bitop2_b32 v5, v5, v0 bitop3:0x14
	v_xor_b32_e32 v4, v4, v0
	s_delay_alu instid0(VALU_DEP_1)
	v_sub_nc_u64_e32 v[0:1], v[4:5], v[0:1]
.LBB70_907:
	s_mov_b32 s31, 0
.LBB70_908:
	s_delay_alu instid0(SALU_CYCLE_1)
	s_and_not1_b32 vcc_lo, exec_lo, s31
	s_cbranch_vccnz .LBB70_910
; %bb.909:
	s_wait_loadcnt 0x0
	global_load_b32 v0, v[2:3], off
	s_wait_loadcnt 0x0
	v_cvt_f32_f16_e32 v0, v0
	s_delay_alu instid0(VALU_DEP_1) | instskip(NEXT) | instid1(VALU_DEP_1)
	v_cvt_i32_f32_e32 v0, v0
	v_ashrrev_i32_e32 v1, 31, v0
.LBB70_910:
	s_mov_b32 s31, 0
.LBB70_911:
	s_delay_alu instid0(SALU_CYCLE_1)
	s_and_not1_b32 vcc_lo, exec_lo, s31
	s_cbranch_vccnz .LBB70_922
; %bb.912:
	s_cmp_lt_i32 s0, 6
	s_cbranch_scc1 .LBB70_915
; %bb.913:
	s_cmp_gt_i32 s0, 6
	s_cbranch_scc0 .LBB70_916
; %bb.914:
	s_wait_loadcnt 0x0
	global_load_b64 v[0:1], v[2:3], off
	s_mov_b32 s31, 0
	s_wait_loadcnt 0x0
	v_trunc_f64_e32 v[0:1], v[0:1]
	s_delay_alu instid0(VALU_DEP_1) | instskip(NEXT) | instid1(VALU_DEP_1)
	v_ldexp_f64 v[4:5], v[0:1], 0xffffffe0
	v_floor_f64_e32 v[4:5], v[4:5]
	s_delay_alu instid0(VALU_DEP_1) | instskip(SKIP_1) | instid1(VALU_DEP_2)
	v_fmamk_f64 v[6:7], v[4:5], 0xc1f00000, v[0:1]
	v_cvt_i32_f64_e32 v1, v[4:5]
	v_cvt_u32_f64_e32 v0, v[6:7]
	s_branch .LBB70_917
.LBB70_915:
	s_mov_b32 s31, -1
                                        ; implicit-def: $vgpr0_vgpr1
	s_branch .LBB70_920
.LBB70_916:
	s_mov_b32 s31, -1
                                        ; implicit-def: $vgpr0_vgpr1
.LBB70_917:
	s_delay_alu instid0(SALU_CYCLE_1)
	s_and_not1_b32 vcc_lo, exec_lo, s31
	s_cbranch_vccnz .LBB70_919
; %bb.918:
	s_wait_loadcnt 0x0
	global_load_b32 v0, v[2:3], off
	s_wait_loadcnt 0x0
	v_trunc_f32_e32 v0, v0
	s_delay_alu instid0(VALU_DEP_1) | instskip(NEXT) | instid1(VALU_DEP_1)
	v_mul_f32_e64 v1, 0x2f800000, |v0|
	v_floor_f32_e32 v1, v1
	s_delay_alu instid0(VALU_DEP_1) | instskip(SKIP_2) | instid1(VALU_DEP_3)
	v_fma_f32 v4, 0xcf800000, v1, |v0|
	v_ashrrev_i32_e32 v0, 31, v0
	v_cvt_u32_f32_e32 v5, v1
	v_cvt_u32_f32_e32 v4, v4
	s_delay_alu instid0(VALU_DEP_2) | instskip(NEXT) | instid1(VALU_DEP_2)
	v_dual_mov_b32 v1, v0 :: v_dual_bitop2_b32 v5, v5, v0 bitop3:0x14
	v_xor_b32_e32 v4, v4, v0
	s_delay_alu instid0(VALU_DEP_1)
	v_sub_nc_u64_e32 v[0:1], v[4:5], v[0:1]
.LBB70_919:
	s_mov_b32 s31, 0
.LBB70_920:
	s_delay_alu instid0(SALU_CYCLE_1)
	s_and_not1_b32 vcc_lo, exec_lo, s31
	s_cbranch_vccnz .LBB70_922
; %bb.921:
	s_wait_loadcnt 0x0
	global_load_u16 v0, v[2:3], off
	s_wait_loadcnt 0x0
	v_cvt_f32_f16_e32 v0, v0
	s_delay_alu instid0(VALU_DEP_1) | instskip(NEXT) | instid1(VALU_DEP_1)
	v_cvt_i32_f32_e32 v0, v0
	v_ashrrev_i32_e32 v1, 31, v0
.LBB70_922:
	s_mov_b32 s31, 0
.LBB70_923:
	s_delay_alu instid0(SALU_CYCLE_1)
	s_and_not1_b32 vcc_lo, exec_lo, s31
	s_cbranch_vccnz .LBB70_943
; %bb.924:
	s_cmp_lt_i32 s0, 2
	s_cbranch_scc1 .LBB70_928
; %bb.925:
	s_cmp_lt_i32 s0, 3
	s_cbranch_scc1 .LBB70_929
; %bb.926:
	s_cmp_gt_i32 s0, 3
	s_cbranch_scc0 .LBB70_930
; %bb.927:
	s_wait_loadcnt 0x0
	global_load_b64 v[0:1], v[2:3], off
	s_mov_b32 s31, 0
	s_branch .LBB70_931
.LBB70_928:
	s_mov_b32 s31, -1
                                        ; implicit-def: $vgpr0_vgpr1
	s_branch .LBB70_937
.LBB70_929:
	s_mov_b32 s31, -1
                                        ; implicit-def: $vgpr0_vgpr1
	s_branch .LBB70_934
.LBB70_930:
	s_mov_b32 s31, -1
                                        ; implicit-def: $vgpr0_vgpr1
.LBB70_931:
	s_delay_alu instid0(SALU_CYCLE_1)
	s_and_not1_b32 vcc_lo, exec_lo, s31
	s_cbranch_vccnz .LBB70_933
; %bb.932:
	s_wait_loadcnt 0x0
	global_load_b32 v0, v[2:3], off
	s_wait_loadcnt 0x0
	v_ashrrev_i32_e32 v1, 31, v0
.LBB70_933:
	s_mov_b32 s31, 0
.LBB70_934:
	s_delay_alu instid0(SALU_CYCLE_1)
	s_and_not1_b32 vcc_lo, exec_lo, s31
	s_cbranch_vccnz .LBB70_936
; %bb.935:
	s_wait_loadcnt 0x0
	global_load_u16 v0, v[2:3], off
	s_wait_loadcnt 0x0
	v_bfe_i32 v0, v0, 0, 16
	s_delay_alu instid0(VALU_DEP_1)
	v_ashrrev_i32_e32 v1, 31, v0
.LBB70_936:
	s_mov_b32 s31, 0
.LBB70_937:
	s_delay_alu instid0(SALU_CYCLE_1)
	s_and_not1_b32 vcc_lo, exec_lo, s31
	s_cbranch_vccnz .LBB70_943
; %bb.938:
	s_cmp_gt_i32 s0, 0
	s_mov_b32 s0, 0
	s_cbranch_scc0 .LBB70_940
; %bb.939:
	s_wait_loadcnt 0x0
	global_load_i8 v0, v[2:3], off
	s_wait_loadcnt 0x0
	v_bfe_i32 v0, v0, 0, 16
	s_delay_alu instid0(VALU_DEP_1)
	v_ashrrev_i32_e32 v1, 31, v0
	s_branch .LBB70_941
.LBB70_940:
	s_mov_b32 s0, -1
                                        ; implicit-def: $vgpr0_vgpr1
.LBB70_941:
	s_delay_alu instid0(SALU_CYCLE_1)
	s_and_not1_b32 vcc_lo, exec_lo, s0
	s_cbranch_vccnz .LBB70_943
; %bb.942:
	s_wait_loadcnt 0x0
	global_load_u8 v0, v[2:3], off
	s_mov_b32 s0, 0
	s_delay_alu instid0(SALU_CYCLE_1)
	v_mov_b32_e32 v1, s0
	s_wait_loadcnt 0x0
	v_and_b32_e32 v0, 0xffff, v0
.LBB70_943:
	s_mov_b32 s33, -1
.LBB70_944:
	s_mov_b32 s31, 0
	s_mov_b32 s0, s25
	s_and_not1_b32 vcc_lo, exec_lo, s33
	s_mov_b32 s33, s26
	s_mov_b32 s35, 0
	s_cbranch_vccnz .LBB70_1195
; %bb.945:
	s_wait_xcnt 0x0
	v_mul_lo_u32 v2, v18, s5
	s_and_b32 s0, 0xffff, s1
	s_delay_alu instid0(SALU_CYCLE_1) | instskip(NEXT) | instid1(VALU_DEP_1)
	s_cmp_lt_i32 s0, 11
	v_ashrrev_i32_e32 v3, 31, v2
	s_delay_alu instid0(VALU_DEP_1)
	v_add_nc_u64_e32 v[2:3], s[10:11], v[2:3]
	s_cbranch_scc1 .LBB70_952
; %bb.946:
	s_cmp_gt_i32 s0, 25
	s_cbranch_scc0 .LBB70_953
; %bb.947:
	s_cmp_gt_i32 s0, 28
	s_cbranch_scc0 .LBB70_954
	;; [unrolled: 3-line block ×4, first 2 shown]
; %bb.950:
	s_cmp_eq_u32 s0, 46
	s_cbranch_scc0 .LBB70_959
; %bb.951:
	global_load_b32 v4, v[2:3], off
	s_mov_b32 s34, -1
	s_mov_b32 s33, 0
	s_wait_loadcnt 0x0
	v_lshlrev_b32_e32 v4, 16, v4
	s_delay_alu instid0(VALU_DEP_1) | instskip(NEXT) | instid1(VALU_DEP_1)
	v_trunc_f32_e32 v4, v4
	v_mul_f32_e64 v5, 0x2f800000, |v4|
	s_delay_alu instid0(VALU_DEP_1) | instskip(NEXT) | instid1(VALU_DEP_1)
	v_floor_f32_e32 v5, v5
	v_fma_f32 v6, 0xcf800000, v5, |v4|
	v_ashrrev_i32_e32 v4, 31, v4
	v_cvt_u32_f32_e32 v7, v5
	s_delay_alu instid0(VALU_DEP_3) | instskip(NEXT) | instid1(VALU_DEP_2)
	v_cvt_u32_f32_e32 v6, v6
	v_dual_mov_b32 v5, v4 :: v_dual_bitop2_b32 v7, v7, v4 bitop3:0x14
	s_delay_alu instid0(VALU_DEP_2) | instskip(NEXT) | instid1(VALU_DEP_1)
	v_xor_b32_e32 v6, v6, v4
	v_sub_nc_u64_e32 v[4:5], v[6:7], v[4:5]
	s_branch .LBB70_961
.LBB70_952:
	s_mov_b32 s35, -1
	s_mov_b32 s34, 0
	s_mov_b32 s33, s26
                                        ; implicit-def: $vgpr4_vgpr5
	s_branch .LBB70_1022
.LBB70_953:
	s_mov_b32 s35, -1
	s_mov_b32 s34, 0
	s_mov_b32 s33, s26
                                        ; implicit-def: $vgpr4_vgpr5
	s_branch .LBB70_988
.LBB70_954:
	s_mov_b32 s35, -1
	s_mov_b32 s34, 0
	s_mov_b32 s33, s26
                                        ; implicit-def: $vgpr4_vgpr5
	s_branch .LBB70_971
.LBB70_955:
	s_mov_b32 s35, -1
	s_mov_b32 s34, 0
	s_mov_b32 s33, s26
                                        ; implicit-def: $vgpr4_vgpr5
	s_branch .LBB70_966
.LBB70_956:
	s_mov_b32 s35, -1
	s_mov_b32 s34, 0
	s_mov_b32 s33, s26
	s_branch .LBB70_960
.LBB70_957:
	s_and_not1_saveexec_b32 s33, s33
	s_cbranch_execz .LBB70_717
.LBB70_958:
	v_add_f32_e64 v5, 0x42800000, |v4|
	s_and_not1_b32 s31, s31, exec_lo
	s_delay_alu instid0(VALU_DEP_1) | instskip(NEXT) | instid1(VALU_DEP_1)
	v_and_b32_e32 v5, 0xff, v5
	v_cmp_ne_u32_e32 vcc_lo, 0, v5
	s_and_b32 s34, vcc_lo, exec_lo
	s_delay_alu instid0(SALU_CYCLE_1)
	s_or_b32 s31, s31, s34
	s_or_b32 exec_lo, exec_lo, s33
	v_mov_b32_e32 v6, 0
	s_and_saveexec_b32 s33, s31
	s_cbranch_execnz .LBB70_718
	s_branch .LBB70_719
.LBB70_959:
	s_mov_b32 s33, -1
	s_mov_b32 s34, 0
.LBB70_960:
                                        ; implicit-def: $vgpr4_vgpr5
.LBB70_961:
	s_and_b32 vcc_lo, exec_lo, s35
	s_cbranch_vccz .LBB70_965
; %bb.962:
	s_cmp_eq_u32 s0, 44
	s_cbranch_scc0 .LBB70_964
; %bb.963:
	global_load_u8 v8, v[2:3], off
	s_mov_b32 s33, 0
	s_mov_b32 s34, -1
	s_wait_loadcnt 0x0
	v_cmp_ne_u32_e32 vcc_lo, 0, v8
	v_lshlrev_b32_e32 v4, 23, v8
	s_delay_alu instid0(VALU_DEP_1) | instskip(NEXT) | instid1(VALU_DEP_1)
	v_trunc_f32_e32 v4, v4
	v_mul_f32_e64 v5, 0x2f800000, |v4|
	s_delay_alu instid0(VALU_DEP_1) | instskip(NEXT) | instid1(VALU_DEP_1)
	v_floor_f32_e32 v5, v5
	v_fma_f32 v6, 0xcf800000, v5, |v4|
	v_ashrrev_i32_e32 v4, 31, v4
	v_cvt_u32_f32_e32 v7, v5
	s_delay_alu instid0(VALU_DEP_3) | instskip(NEXT) | instid1(VALU_DEP_2)
	v_cvt_u32_f32_e32 v6, v6
	v_dual_mov_b32 v5, v4 :: v_dual_bitop2_b32 v7, v7, v4 bitop3:0x14
	s_delay_alu instid0(VALU_DEP_2) | instskip(NEXT) | instid1(VALU_DEP_1)
	v_xor_b32_e32 v6, v6, v4
	v_sub_nc_u64_e32 v[4:5], v[6:7], v[4:5]
	s_delay_alu instid0(VALU_DEP_1)
	v_dual_cndmask_b32 v5, 0, v5 :: v_dual_cndmask_b32 v4, 0, v4
	s_branch .LBB70_965
.LBB70_964:
	s_mov_b32 s33, -1
                                        ; implicit-def: $vgpr4_vgpr5
.LBB70_965:
	s_mov_b32 s35, 0
.LBB70_966:
	s_delay_alu instid0(SALU_CYCLE_1)
	s_and_b32 vcc_lo, exec_lo, s35
	s_cbranch_vccz .LBB70_970
; %bb.967:
	s_cmp_eq_u32 s0, 29
	s_cbranch_scc0 .LBB70_969
; %bb.968:
	global_load_b64 v[4:5], v[2:3], off
	s_mov_b32 s34, -1
	s_mov_b32 s33, 0
	s_branch .LBB70_970
.LBB70_969:
	s_mov_b32 s33, -1
                                        ; implicit-def: $vgpr4_vgpr5
.LBB70_970:
	s_mov_b32 s35, 0
.LBB70_971:
	s_delay_alu instid0(SALU_CYCLE_1)
	s_and_b32 vcc_lo, exec_lo, s35
	s_cbranch_vccz .LBB70_987
; %bb.972:
	s_cmp_lt_i32 s0, 27
	s_cbranch_scc1 .LBB70_975
; %bb.973:
	s_cmp_gt_i32 s0, 27
	s_cbranch_scc0 .LBB70_976
; %bb.974:
	s_wait_loadcnt 0x0
	global_load_b32 v4, v[2:3], off
	v_mov_b32_e32 v5, 0
	s_mov_b32 s34, 0
	s_branch .LBB70_977
.LBB70_975:
	s_mov_b32 s34, -1
                                        ; implicit-def: $vgpr4_vgpr5
	s_branch .LBB70_980
.LBB70_976:
	s_mov_b32 s34, -1
                                        ; implicit-def: $vgpr4_vgpr5
.LBB70_977:
	s_delay_alu instid0(SALU_CYCLE_1)
	s_and_not1_b32 vcc_lo, exec_lo, s34
	s_cbranch_vccnz .LBB70_979
; %bb.978:
	s_wait_loadcnt 0x0
	global_load_u16 v4, v[2:3], off
	s_mov_b32 s34, 0
	s_delay_alu instid0(SALU_CYCLE_1)
	v_mov_b32_e32 v5, s34
	s_wait_loadcnt 0x0
	v_and_b32_e32 v4, 0xffff, v4
.LBB70_979:
	s_mov_b32 s34, 0
.LBB70_980:
	s_delay_alu instid0(SALU_CYCLE_1)
	s_and_not1_b32 vcc_lo, exec_lo, s34
	s_cbranch_vccnz .LBB70_986
; %bb.981:
	global_load_u8 v6, v[2:3], off
	s_mov_b32 s35, 0
	s_mov_b32 s34, exec_lo
	s_wait_loadcnt 0x0
	v_cmpx_lt_i16_e32 0x7f, v6
	s_xor_b32 s34, exec_lo, s34
	s_cbranch_execz .LBB70_998
; %bb.982:
	v_cmp_ne_u16_e32 vcc_lo, 0x80, v6
	s_and_b32 s35, vcc_lo, exec_lo
	s_and_not1_saveexec_b32 s34, s34
	s_cbranch_execnz .LBB70_999
.LBB70_983:
	s_or_b32 exec_lo, exec_lo, s34
	v_mov_b64_e32 v[4:5], 0
	s_and_saveexec_b32 s34, s35
	s_cbranch_execz .LBB70_985
.LBB70_984:
	v_and_b32_e32 v4, 0xffff, v6
	s_delay_alu instid0(VALU_DEP_1) | instskip(SKIP_1) | instid1(VALU_DEP_2)
	v_and_b32_e32 v5, 7, v4
	v_bfe_u32 v9, v4, 3, 4
	v_clz_i32_u32_e32 v7, v5
	s_delay_alu instid0(VALU_DEP_2) | instskip(NEXT) | instid1(VALU_DEP_2)
	v_cmp_eq_u32_e32 vcc_lo, 0, v9
	v_min_u32_e32 v7, 32, v7
	s_delay_alu instid0(VALU_DEP_1) | instskip(NEXT) | instid1(VALU_DEP_1)
	v_subrev_nc_u32_e32 v8, 28, v7
	v_dual_lshlrev_b32 v4, v8, v4 :: v_dual_sub_nc_u32 v7, 29, v7
	s_delay_alu instid0(VALU_DEP_1) | instskip(NEXT) | instid1(VALU_DEP_2)
	v_dual_lshlrev_b32 v6, 24, v6 :: v_dual_bitop2_b32 v4, 7, v4 bitop3:0x40
	v_cndmask_b32_e32 v7, v9, v7, vcc_lo
	s_delay_alu instid0(VALU_DEP_2) | instskip(NEXT) | instid1(VALU_DEP_3)
	v_cndmask_b32_e32 v4, v5, v4, vcc_lo
	v_and_b32_e32 v5, 0x80000000, v6
	s_delay_alu instid0(VALU_DEP_3) | instskip(NEXT) | instid1(VALU_DEP_3)
	v_lshl_add_u32 v6, v7, 23, 0x3b800000
	v_lshlrev_b32_e32 v4, 20, v4
	s_delay_alu instid0(VALU_DEP_1) | instskip(NEXT) | instid1(VALU_DEP_1)
	v_or3_b32 v4, v5, v6, v4
	v_trunc_f32_e32 v4, v4
	s_delay_alu instid0(VALU_DEP_1) | instskip(NEXT) | instid1(VALU_DEP_1)
	v_mul_f32_e64 v5, 0x2f800000, |v4|
	v_floor_f32_e32 v5, v5
	s_delay_alu instid0(VALU_DEP_1) | instskip(SKIP_2) | instid1(VALU_DEP_3)
	v_fma_f32 v6, 0xcf800000, v5, |v4|
	v_ashrrev_i32_e32 v4, 31, v4
	v_cvt_u32_f32_e32 v7, v5
	v_cvt_u32_f32_e32 v6, v6
	s_delay_alu instid0(VALU_DEP_2) | instskip(NEXT) | instid1(VALU_DEP_2)
	v_dual_mov_b32 v5, v4 :: v_dual_bitop2_b32 v7, v7, v4 bitop3:0x14
	v_xor_b32_e32 v6, v6, v4
	s_delay_alu instid0(VALU_DEP_1)
	v_sub_nc_u64_e32 v[4:5], v[6:7], v[4:5]
.LBB70_985:
	s_or_b32 exec_lo, exec_lo, s34
.LBB70_986:
	s_mov_b32 s34, -1
.LBB70_987:
	s_mov_b32 s35, 0
.LBB70_988:
	s_delay_alu instid0(SALU_CYCLE_1)
	s_and_b32 vcc_lo, exec_lo, s35
	s_cbranch_vccz .LBB70_1021
; %bb.989:
	s_cmp_gt_i32 s0, 22
	s_cbranch_scc0 .LBB70_997
; %bb.990:
	s_cmp_lt_i32 s0, 24
	s_cbranch_scc1 .LBB70_1000
; %bb.991:
	s_cmp_gt_i32 s0, 24
	s_cbranch_scc0 .LBB70_1001
; %bb.992:
	global_load_u8 v6, v[2:3], off
	s_mov_b32 s35, 0
	s_mov_b32 s34, exec_lo
	s_wait_loadcnt 0x0
	v_cmpx_lt_i16_e32 0x7f, v6
	s_xor_b32 s34, exec_lo, s34
	s_cbranch_execz .LBB70_1013
; %bb.993:
	v_cmp_ne_u16_e32 vcc_lo, 0x80, v6
	s_and_b32 s35, vcc_lo, exec_lo
	s_and_not1_saveexec_b32 s34, s34
	s_cbranch_execnz .LBB70_1014
.LBB70_994:
	s_or_b32 exec_lo, exec_lo, s34
	v_mov_b64_e32 v[4:5], 0
	s_and_saveexec_b32 s34, s35
	s_cbranch_execz .LBB70_996
.LBB70_995:
	v_and_b32_e32 v4, 0xffff, v6
	s_delay_alu instid0(VALU_DEP_1) | instskip(SKIP_1) | instid1(VALU_DEP_2)
	v_and_b32_e32 v5, 3, v4
	v_bfe_u32 v9, v4, 2, 5
	v_clz_i32_u32_e32 v7, v5
	s_delay_alu instid0(VALU_DEP_2) | instskip(NEXT) | instid1(VALU_DEP_2)
	v_cmp_eq_u32_e32 vcc_lo, 0, v9
	v_min_u32_e32 v7, 32, v7
	s_delay_alu instid0(VALU_DEP_1) | instskip(NEXT) | instid1(VALU_DEP_1)
	v_subrev_nc_u32_e32 v8, 29, v7
	v_dual_lshlrev_b32 v4, v8, v4 :: v_dual_sub_nc_u32 v7, 30, v7
	s_delay_alu instid0(VALU_DEP_1) | instskip(NEXT) | instid1(VALU_DEP_2)
	v_dual_lshlrev_b32 v6, 24, v6 :: v_dual_bitop2_b32 v4, 3, v4 bitop3:0x40
	v_cndmask_b32_e32 v7, v9, v7, vcc_lo
	s_delay_alu instid0(VALU_DEP_2) | instskip(NEXT) | instid1(VALU_DEP_3)
	v_cndmask_b32_e32 v4, v5, v4, vcc_lo
	v_and_b32_e32 v5, 0x80000000, v6
	s_delay_alu instid0(VALU_DEP_3) | instskip(NEXT) | instid1(VALU_DEP_3)
	v_lshl_add_u32 v6, v7, 23, 0x37800000
	v_lshlrev_b32_e32 v4, 21, v4
	s_delay_alu instid0(VALU_DEP_1) | instskip(NEXT) | instid1(VALU_DEP_1)
	v_or3_b32 v4, v5, v6, v4
	v_trunc_f32_e32 v4, v4
	s_delay_alu instid0(VALU_DEP_1) | instskip(NEXT) | instid1(VALU_DEP_1)
	v_mul_f32_e64 v5, 0x2f800000, |v4|
	v_floor_f32_e32 v5, v5
	s_delay_alu instid0(VALU_DEP_1) | instskip(SKIP_2) | instid1(VALU_DEP_3)
	v_fma_f32 v6, 0xcf800000, v5, |v4|
	v_ashrrev_i32_e32 v4, 31, v4
	v_cvt_u32_f32_e32 v7, v5
	v_cvt_u32_f32_e32 v6, v6
	s_delay_alu instid0(VALU_DEP_2) | instskip(NEXT) | instid1(VALU_DEP_2)
	v_dual_mov_b32 v5, v4 :: v_dual_bitop2_b32 v7, v7, v4 bitop3:0x14
	v_xor_b32_e32 v6, v6, v4
	s_delay_alu instid0(VALU_DEP_1)
	v_sub_nc_u64_e32 v[4:5], v[6:7], v[4:5]
.LBB70_996:
	s_or_b32 exec_lo, exec_lo, s34
	s_mov_b32 s34, 0
	s_branch .LBB70_1002
.LBB70_997:
	s_mov_b32 s35, -1
                                        ; implicit-def: $vgpr4_vgpr5
	s_branch .LBB70_1008
.LBB70_998:
	s_and_not1_saveexec_b32 s34, s34
	s_cbranch_execz .LBB70_983
.LBB70_999:
	v_cmp_ne_u16_e32 vcc_lo, 0, v6
	s_and_not1_b32 s35, s35, exec_lo
	s_and_b32 s36, vcc_lo, exec_lo
	s_delay_alu instid0(SALU_CYCLE_1)
	s_or_b32 s35, s35, s36
	s_or_b32 exec_lo, exec_lo, s34
	v_mov_b64_e32 v[4:5], 0
	s_and_saveexec_b32 s34, s35
	s_cbranch_execnz .LBB70_984
	s_branch .LBB70_985
.LBB70_1000:
	s_mov_b32 s34, -1
                                        ; implicit-def: $vgpr4_vgpr5
	s_branch .LBB70_1005
.LBB70_1001:
	s_mov_b32 s34, -1
                                        ; implicit-def: $vgpr4_vgpr5
.LBB70_1002:
	s_delay_alu instid0(SALU_CYCLE_1)
	s_and_b32 vcc_lo, exec_lo, s34
	s_cbranch_vccz .LBB70_1004
; %bb.1003:
	s_wait_loadcnt 0x0
	global_load_u8 v4, v[2:3], off
	s_wait_loadcnt 0x0
	v_lshlrev_b32_e32 v4, 24, v4
	s_delay_alu instid0(VALU_DEP_1) | instskip(NEXT) | instid1(VALU_DEP_1)
	v_and_b32_e32 v5, 0x7f000000, v4
	v_clz_i32_u32_e32 v6, v5
	v_cmp_ne_u32_e32 vcc_lo, 0, v5
	v_add_nc_u32_e32 v8, 0x1000000, v5
	s_delay_alu instid0(VALU_DEP_3) | instskip(NEXT) | instid1(VALU_DEP_1)
	v_min_u32_e32 v6, 32, v6
	v_sub_nc_u32_e64 v6, v6, 4 clamp
	s_delay_alu instid0(VALU_DEP_1) | instskip(NEXT) | instid1(VALU_DEP_1)
	v_dual_lshlrev_b32 v7, v6, v5 :: v_dual_lshlrev_b32 v6, 23, v6
	v_lshrrev_b32_e32 v7, 4, v7
	s_delay_alu instid0(VALU_DEP_1) | instskip(NEXT) | instid1(VALU_DEP_1)
	v_dual_sub_nc_u32 v6, v7, v6 :: v_dual_ashrrev_i32 v7, 8, v8
	v_add_nc_u32_e32 v6, 0x3c000000, v6
	s_delay_alu instid0(VALU_DEP_1) | instskip(NEXT) | instid1(VALU_DEP_1)
	v_and_or_b32 v6, 0x7f800000, v7, v6
	v_cndmask_b32_e32 v5, 0, v6, vcc_lo
	s_delay_alu instid0(VALU_DEP_1) | instskip(NEXT) | instid1(VALU_DEP_1)
	v_and_or_b32 v4, 0x80000000, v4, v5
	v_trunc_f32_e32 v4, v4
	s_delay_alu instid0(VALU_DEP_1) | instskip(NEXT) | instid1(VALU_DEP_1)
	v_mul_f32_e64 v5, 0x2f800000, |v4|
	v_floor_f32_e32 v5, v5
	s_delay_alu instid0(VALU_DEP_1) | instskip(SKIP_2) | instid1(VALU_DEP_3)
	v_fma_f32 v6, 0xcf800000, v5, |v4|
	v_ashrrev_i32_e32 v4, 31, v4
	v_cvt_u32_f32_e32 v7, v5
	v_cvt_u32_f32_e32 v6, v6
	s_delay_alu instid0(VALU_DEP_2) | instskip(NEXT) | instid1(VALU_DEP_2)
	v_dual_mov_b32 v5, v4 :: v_dual_bitop2_b32 v7, v7, v4 bitop3:0x14
	v_xor_b32_e32 v6, v6, v4
	s_delay_alu instid0(VALU_DEP_1)
	v_sub_nc_u64_e32 v[4:5], v[6:7], v[4:5]
.LBB70_1004:
	s_mov_b32 s34, 0
.LBB70_1005:
	s_delay_alu instid0(SALU_CYCLE_1)
	s_and_not1_b32 vcc_lo, exec_lo, s34
	s_cbranch_vccnz .LBB70_1007
; %bb.1006:
	s_wait_loadcnt 0x0
	global_load_u8 v4, v[2:3], off
	s_wait_loadcnt 0x0
	v_lshlrev_b32_e32 v5, 25, v4
	v_lshlrev_b16 v4, 8, v4
	s_delay_alu instid0(VALU_DEP_1) | instskip(SKIP_1) | instid1(VALU_DEP_2)
	v_and_or_b32 v7, 0x7f00, v4, 0.5
	v_bfe_i32 v4, v4, 0, 16
	v_dual_add_f32 v7, -0.5, v7 :: v_dual_lshrrev_b32 v6, 4, v5
	v_cmp_gt_u32_e32 vcc_lo, 0x8000000, v5
	s_delay_alu instid0(VALU_DEP_2) | instskip(NEXT) | instid1(VALU_DEP_1)
	v_or_b32_e32 v6, 0x70000000, v6
	v_mul_f32_e32 v6, 0x7800000, v6
	s_delay_alu instid0(VALU_DEP_1) | instskip(NEXT) | instid1(VALU_DEP_1)
	v_cndmask_b32_e32 v5, v6, v7, vcc_lo
	v_and_or_b32 v4, 0x80000000, v4, v5
	s_delay_alu instid0(VALU_DEP_1) | instskip(NEXT) | instid1(VALU_DEP_1)
	v_trunc_f32_e32 v4, v4
	v_mul_f32_e64 v5, 0x2f800000, |v4|
	s_delay_alu instid0(VALU_DEP_1) | instskip(NEXT) | instid1(VALU_DEP_1)
	v_floor_f32_e32 v5, v5
	v_fma_f32 v6, 0xcf800000, v5, |v4|
	v_ashrrev_i32_e32 v4, 31, v4
	v_cvt_u32_f32_e32 v7, v5
	s_delay_alu instid0(VALU_DEP_3) | instskip(NEXT) | instid1(VALU_DEP_2)
	v_cvt_u32_f32_e32 v6, v6
	v_dual_mov_b32 v5, v4 :: v_dual_bitop2_b32 v7, v7, v4 bitop3:0x14
	s_delay_alu instid0(VALU_DEP_2) | instskip(NEXT) | instid1(VALU_DEP_1)
	v_xor_b32_e32 v6, v6, v4
	v_sub_nc_u64_e32 v[4:5], v[6:7], v[4:5]
.LBB70_1007:
	s_mov_b32 s35, 0
	s_mov_b32 s34, -1
.LBB70_1008:
	s_and_not1_b32 vcc_lo, exec_lo, s35
	s_cbranch_vccnz .LBB70_1021
; %bb.1009:
	s_cmp_gt_i32 s0, 14
	s_cbranch_scc0 .LBB70_1012
; %bb.1010:
	s_cmp_eq_u32 s0, 15
	s_cbranch_scc0 .LBB70_1015
; %bb.1011:
	s_wait_loadcnt 0x0
	global_load_u16 v4, v[2:3], off
	s_mov_b32 s34, -1
	s_mov_b32 s33, 0
	s_wait_loadcnt 0x0
	v_lshlrev_b32_e32 v4, 16, v4
	s_delay_alu instid0(VALU_DEP_1) | instskip(NEXT) | instid1(VALU_DEP_1)
	v_trunc_f32_e32 v4, v4
	v_mul_f32_e64 v5, 0x2f800000, |v4|
	s_delay_alu instid0(VALU_DEP_1) | instskip(NEXT) | instid1(VALU_DEP_1)
	v_floor_f32_e32 v5, v5
	v_fma_f32 v6, 0xcf800000, v5, |v4|
	v_ashrrev_i32_e32 v4, 31, v4
	v_cvt_u32_f32_e32 v7, v5
	s_delay_alu instid0(VALU_DEP_3) | instskip(NEXT) | instid1(VALU_DEP_2)
	v_cvt_u32_f32_e32 v6, v6
	v_dual_mov_b32 v5, v4 :: v_dual_bitop2_b32 v7, v7, v4 bitop3:0x14
	s_delay_alu instid0(VALU_DEP_2) | instskip(NEXT) | instid1(VALU_DEP_1)
	v_xor_b32_e32 v6, v6, v4
	v_sub_nc_u64_e32 v[4:5], v[6:7], v[4:5]
	s_branch .LBB70_1016
.LBB70_1012:
	s_mov_b32 s35, -1
                                        ; implicit-def: $vgpr4_vgpr5
	s_branch .LBB70_1017
.LBB70_1013:
	s_and_not1_saveexec_b32 s34, s34
	s_cbranch_execz .LBB70_994
.LBB70_1014:
	v_cmp_ne_u16_e32 vcc_lo, 0, v6
	s_and_not1_b32 s35, s35, exec_lo
	s_and_b32 s36, vcc_lo, exec_lo
	s_delay_alu instid0(SALU_CYCLE_1)
	s_or_b32 s35, s35, s36
	s_or_b32 exec_lo, exec_lo, s34
	v_mov_b64_e32 v[4:5], 0
	s_and_saveexec_b32 s34, s35
	s_cbranch_execnz .LBB70_995
	s_branch .LBB70_996
.LBB70_1015:
	s_mov_b32 s33, -1
                                        ; implicit-def: $vgpr4_vgpr5
.LBB70_1016:
	s_mov_b32 s35, 0
.LBB70_1017:
	s_delay_alu instid0(SALU_CYCLE_1)
	s_and_b32 vcc_lo, exec_lo, s35
	s_cbranch_vccz .LBB70_1021
; %bb.1018:
	s_cmp_eq_u32 s0, 11
	s_cbranch_scc0 .LBB70_1020
; %bb.1019:
	s_wait_loadcnt 0x0
	global_load_u8 v4, v[2:3], off
	s_mov_b32 s33, 0
	s_mov_b32 s34, -1
	v_mov_b32_e32 v5, s33
	s_wait_loadcnt 0x0
	v_cmp_ne_u16_e32 vcc_lo, 0, v4
	v_cndmask_b32_e64 v4, 0, 1, vcc_lo
	s_branch .LBB70_1021
.LBB70_1020:
	s_mov_b32 s33, -1
                                        ; implicit-def: $vgpr4_vgpr5
.LBB70_1021:
	s_mov_b32 s35, 0
.LBB70_1022:
	s_delay_alu instid0(SALU_CYCLE_1)
	s_and_b32 vcc_lo, exec_lo, s35
	s_cbranch_vccz .LBB70_1071
; %bb.1023:
	s_cmp_lt_i32 s0, 5
	s_cbranch_scc1 .LBB70_1028
; %bb.1024:
	s_cmp_lt_i32 s0, 8
	s_cbranch_scc1 .LBB70_1029
; %bb.1025:
	s_cmp_lt_i32 s0, 9
	s_cbranch_scc1 .LBB70_1030
; %bb.1026:
	s_cmp_gt_i32 s0, 9
	s_cbranch_scc0 .LBB70_1031
; %bb.1027:
	s_wait_loadcnt 0x0
	global_load_b64 v[4:5], v[2:3], off
	s_mov_b32 s34, 0
	s_wait_loadcnt 0x0
	v_trunc_f64_e32 v[4:5], v[4:5]
	s_delay_alu instid0(VALU_DEP_1) | instskip(NEXT) | instid1(VALU_DEP_1)
	v_ldexp_f64 v[6:7], v[4:5], 0xffffffe0
	v_floor_f64_e32 v[6:7], v[6:7]
	s_delay_alu instid0(VALU_DEP_1) | instskip(SKIP_1) | instid1(VALU_DEP_2)
	v_fmamk_f64 v[8:9], v[6:7], 0xc1f00000, v[4:5]
	v_cvt_i32_f64_e32 v5, v[6:7]
	v_cvt_u32_f64_e32 v4, v[8:9]
	s_branch .LBB70_1032
.LBB70_1028:
	s_mov_b32 s34, -1
                                        ; implicit-def: $vgpr4_vgpr5
	s_branch .LBB70_1050
.LBB70_1029:
	s_mov_b32 s34, -1
                                        ; implicit-def: $vgpr4_vgpr5
	s_branch .LBB70_1038
.LBB70_1030:
	s_mov_b32 s34, -1
                                        ; implicit-def: $vgpr4_vgpr5
	s_branch .LBB70_1035
.LBB70_1031:
	s_mov_b32 s34, -1
                                        ; implicit-def: $vgpr4_vgpr5
.LBB70_1032:
	s_delay_alu instid0(SALU_CYCLE_1)
	s_and_not1_b32 vcc_lo, exec_lo, s34
	s_cbranch_vccnz .LBB70_1034
; %bb.1033:
	s_wait_loadcnt 0x0
	global_load_b32 v4, v[2:3], off
	s_wait_loadcnt 0x0
	v_trunc_f32_e32 v4, v4
	s_delay_alu instid0(VALU_DEP_1) | instskip(NEXT) | instid1(VALU_DEP_1)
	v_mul_f32_e64 v5, 0x2f800000, |v4|
	v_floor_f32_e32 v5, v5
	s_delay_alu instid0(VALU_DEP_1) | instskip(SKIP_2) | instid1(VALU_DEP_3)
	v_fma_f32 v6, 0xcf800000, v5, |v4|
	v_ashrrev_i32_e32 v4, 31, v4
	v_cvt_u32_f32_e32 v7, v5
	v_cvt_u32_f32_e32 v6, v6
	s_delay_alu instid0(VALU_DEP_2) | instskip(NEXT) | instid1(VALU_DEP_2)
	v_dual_mov_b32 v5, v4 :: v_dual_bitop2_b32 v7, v7, v4 bitop3:0x14
	v_xor_b32_e32 v6, v6, v4
	s_delay_alu instid0(VALU_DEP_1)
	v_sub_nc_u64_e32 v[4:5], v[6:7], v[4:5]
.LBB70_1034:
	s_mov_b32 s34, 0
.LBB70_1035:
	s_delay_alu instid0(SALU_CYCLE_1)
	s_and_not1_b32 vcc_lo, exec_lo, s34
	s_cbranch_vccnz .LBB70_1037
; %bb.1036:
	s_wait_loadcnt 0x0
	global_load_b32 v4, v[2:3], off
	s_wait_loadcnt 0x0
	v_cvt_f32_f16_e32 v4, v4
	s_delay_alu instid0(VALU_DEP_1) | instskip(NEXT) | instid1(VALU_DEP_1)
	v_cvt_i32_f32_e32 v4, v4
	v_ashrrev_i32_e32 v5, 31, v4
.LBB70_1037:
	s_mov_b32 s34, 0
.LBB70_1038:
	s_delay_alu instid0(SALU_CYCLE_1)
	s_and_not1_b32 vcc_lo, exec_lo, s34
	s_cbranch_vccnz .LBB70_1049
; %bb.1039:
	s_cmp_lt_i32 s0, 6
	s_cbranch_scc1 .LBB70_1042
; %bb.1040:
	s_cmp_gt_i32 s0, 6
	s_cbranch_scc0 .LBB70_1043
; %bb.1041:
	s_wait_loadcnt 0x0
	global_load_b64 v[4:5], v[2:3], off
	s_mov_b32 s34, 0
	s_wait_loadcnt 0x0
	v_trunc_f64_e32 v[4:5], v[4:5]
	s_delay_alu instid0(VALU_DEP_1) | instskip(NEXT) | instid1(VALU_DEP_1)
	v_ldexp_f64 v[6:7], v[4:5], 0xffffffe0
	v_floor_f64_e32 v[6:7], v[6:7]
	s_delay_alu instid0(VALU_DEP_1) | instskip(SKIP_1) | instid1(VALU_DEP_2)
	v_fmamk_f64 v[8:9], v[6:7], 0xc1f00000, v[4:5]
	v_cvt_i32_f64_e32 v5, v[6:7]
	v_cvt_u32_f64_e32 v4, v[8:9]
	s_branch .LBB70_1044
.LBB70_1042:
	s_mov_b32 s34, -1
                                        ; implicit-def: $vgpr4_vgpr5
	s_branch .LBB70_1047
.LBB70_1043:
	s_mov_b32 s34, -1
                                        ; implicit-def: $vgpr4_vgpr5
.LBB70_1044:
	s_delay_alu instid0(SALU_CYCLE_1)
	s_and_not1_b32 vcc_lo, exec_lo, s34
	s_cbranch_vccnz .LBB70_1046
; %bb.1045:
	s_wait_loadcnt 0x0
	global_load_b32 v4, v[2:3], off
	s_wait_loadcnt 0x0
	v_trunc_f32_e32 v4, v4
	s_delay_alu instid0(VALU_DEP_1) | instskip(NEXT) | instid1(VALU_DEP_1)
	v_mul_f32_e64 v5, 0x2f800000, |v4|
	v_floor_f32_e32 v5, v5
	s_delay_alu instid0(VALU_DEP_1) | instskip(SKIP_2) | instid1(VALU_DEP_3)
	v_fma_f32 v6, 0xcf800000, v5, |v4|
	v_ashrrev_i32_e32 v4, 31, v4
	v_cvt_u32_f32_e32 v7, v5
	v_cvt_u32_f32_e32 v6, v6
	s_delay_alu instid0(VALU_DEP_2) | instskip(NEXT) | instid1(VALU_DEP_2)
	v_dual_mov_b32 v5, v4 :: v_dual_bitop2_b32 v7, v7, v4 bitop3:0x14
	v_xor_b32_e32 v6, v6, v4
	s_delay_alu instid0(VALU_DEP_1)
	v_sub_nc_u64_e32 v[4:5], v[6:7], v[4:5]
.LBB70_1046:
	s_mov_b32 s34, 0
.LBB70_1047:
	s_delay_alu instid0(SALU_CYCLE_1)
	s_and_not1_b32 vcc_lo, exec_lo, s34
	s_cbranch_vccnz .LBB70_1049
; %bb.1048:
	s_wait_loadcnt 0x0
	global_load_u16 v4, v[2:3], off
	s_wait_loadcnt 0x0
	v_cvt_f32_f16_e32 v4, v4
	s_delay_alu instid0(VALU_DEP_1) | instskip(NEXT) | instid1(VALU_DEP_1)
	v_cvt_i32_f32_e32 v4, v4
	v_ashrrev_i32_e32 v5, 31, v4
.LBB70_1049:
	s_mov_b32 s34, 0
.LBB70_1050:
	s_delay_alu instid0(SALU_CYCLE_1)
	s_and_not1_b32 vcc_lo, exec_lo, s34
	s_cbranch_vccnz .LBB70_1070
; %bb.1051:
	s_cmp_lt_i32 s0, 2
	s_cbranch_scc1 .LBB70_1055
; %bb.1052:
	s_cmp_lt_i32 s0, 3
	s_cbranch_scc1 .LBB70_1056
; %bb.1053:
	s_cmp_gt_i32 s0, 3
	s_cbranch_scc0 .LBB70_1057
; %bb.1054:
	s_wait_loadcnt 0x0
	global_load_b64 v[4:5], v[2:3], off
	s_mov_b32 s34, 0
	s_branch .LBB70_1058
.LBB70_1055:
	s_mov_b32 s34, -1
                                        ; implicit-def: $vgpr4_vgpr5
	s_branch .LBB70_1064
.LBB70_1056:
	s_mov_b32 s34, -1
                                        ; implicit-def: $vgpr4_vgpr5
	s_branch .LBB70_1061
.LBB70_1057:
	s_mov_b32 s34, -1
                                        ; implicit-def: $vgpr4_vgpr5
.LBB70_1058:
	s_delay_alu instid0(SALU_CYCLE_1)
	s_and_not1_b32 vcc_lo, exec_lo, s34
	s_cbranch_vccnz .LBB70_1060
; %bb.1059:
	s_wait_loadcnt 0x0
	global_load_b32 v4, v[2:3], off
	s_wait_loadcnt 0x0
	v_ashrrev_i32_e32 v5, 31, v4
.LBB70_1060:
	s_mov_b32 s34, 0
.LBB70_1061:
	s_delay_alu instid0(SALU_CYCLE_1)
	s_and_not1_b32 vcc_lo, exec_lo, s34
	s_cbranch_vccnz .LBB70_1063
; %bb.1062:
	s_wait_loadcnt 0x0
	global_load_u16 v4, v[2:3], off
	s_wait_loadcnt 0x0
	v_bfe_i32 v4, v4, 0, 16
	s_delay_alu instid0(VALU_DEP_1)
	v_ashrrev_i32_e32 v5, 31, v4
.LBB70_1063:
	s_mov_b32 s34, 0
.LBB70_1064:
	s_delay_alu instid0(SALU_CYCLE_1)
	s_and_not1_b32 vcc_lo, exec_lo, s34
	s_cbranch_vccnz .LBB70_1070
; %bb.1065:
	s_cmp_gt_i32 s0, 0
	s_mov_b32 s0, 0
	s_cbranch_scc0 .LBB70_1067
; %bb.1066:
	s_wait_loadcnt 0x0
	global_load_i8 v4, v[2:3], off
	s_wait_loadcnt 0x0
	v_bfe_i32 v4, v4, 0, 16
	s_delay_alu instid0(VALU_DEP_1)
	v_ashrrev_i32_e32 v5, 31, v4
	s_branch .LBB70_1068
.LBB70_1067:
	s_mov_b32 s0, -1
                                        ; implicit-def: $vgpr4_vgpr5
.LBB70_1068:
	s_delay_alu instid0(SALU_CYCLE_1)
	s_and_not1_b32 vcc_lo, exec_lo, s0
	s_cbranch_vccnz .LBB70_1070
; %bb.1069:
	global_load_u8 v2, v[2:3], off
	s_mov_b32 s0, 0
	s_wait_loadcnt 0x1
	v_mov_b32_e32 v5, s0
	s_wait_loadcnt 0x0
	v_and_b32_e32 v4, 0xffff, v2
.LBB70_1070:
	s_mov_b32 s34, -1
.LBB70_1071:
	s_delay_alu instid0(SALU_CYCLE_1)
	s_and_not1_b32 vcc_lo, exec_lo, s34
	s_cbranch_vccnz .LBB70_1079
; %bb.1072:
	s_wait_loadcnt 0x0
	v_mul_u64_e32 v[0:1], s[6:7], v[0:1]
	s_wait_xcnt 0x0
	v_mul_lo_u32 v2, v18, s12
	s_and_b32 s34, s13, 0xff
	s_delay_alu instid0(SALU_CYCLE_1) | instskip(NEXT) | instid1(VALU_DEP_1)
	s_cmp_lt_i32 s34, 11
	v_ashrrev_i32_e32 v3, 31, v2
	s_delay_alu instid0(VALU_DEP_1) | instskip(NEXT) | instid1(VALU_DEP_4)
	v_add_nc_u64_e32 v[2:3], s[2:3], v[2:3]
	v_mul_u64_e32 v[0:1], v[0:1], v[4:5]
	s_cbranch_scc1 .LBB70_1080
; %bb.1073:
	s_and_b32 s35, 0xffff, s34
	s_delay_alu instid0(SALU_CYCLE_1)
	s_cmp_gt_i32 s35, 25
	s_cbranch_scc0 .LBB70_1081
; %bb.1074:
	s_cmp_gt_i32 s35, 28
	s_cbranch_scc0 .LBB70_1082
; %bb.1075:
	s_cmp_gt_i32 s35, 43
	s_cbranch_scc0 .LBB70_1083
; %bb.1076:
	s_cmp_gt_i32 s35, 45
	s_cbranch_scc0 .LBB70_1084
; %bb.1077:
	s_mov_b32 s37, 0
	s_mov_b32 s0, -1
	s_cmp_eq_u32 s35, 46
	s_mov_b32 s36, 0
	s_cbranch_scc0 .LBB70_1085
; %bb.1078:
	s_delay_alu instid0(VALU_DEP_1) | instskip(SKIP_3) | instid1(VALU_DEP_2)
	v_xor_b32_e32 v4, v0, v1
	v_cls_i32_e32 v5, v1
	s_mov_b32 s36, -1
	s_mov_b32 s0, 0
	v_ashrrev_i32_e32 v4, 31, v4
	s_delay_alu instid0(VALU_DEP_1) | instskip(NEXT) | instid1(VALU_DEP_1)
	v_add_nc_u32_e32 v4, 32, v4
	v_add_min_u32_e64 v6, v5, -1, v4
	s_delay_alu instid0(VALU_DEP_1) | instskip(NEXT) | instid1(VALU_DEP_1)
	v_lshlrev_b64_e32 v[4:5], v6, v[0:1]
	v_min_u32_e32 v4, 1, v4
	s_delay_alu instid0(VALU_DEP_1) | instskip(NEXT) | instid1(VALU_DEP_1)
	v_dual_sub_nc_u32 v5, 32, v6 :: v_dual_bitop2_b32 v4, v5, v4 bitop3:0x54
	v_cvt_f32_i32_e32 v4, v4
	s_delay_alu instid0(VALU_DEP_1) | instskip(NEXT) | instid1(VALU_DEP_1)
	v_ldexp_f32 v4, v4, v5
	v_bfe_u32 v5, v4, 16, 1
	s_delay_alu instid0(VALU_DEP_1) | instskip(NEXT) | instid1(VALU_DEP_1)
	v_add3_u32 v4, v4, v5, 0x7fff
	v_lshrrev_b32_e32 v4, 16, v4
	global_store_b32 v[2:3], v4, off
	s_branch .LBB70_1085
.LBB70_1079:
	s_mov_b32 s35, 0
	s_mov_b32 s0, s25
	s_branch .LBB70_824
.LBB70_1080:
	s_mov_b32 s35, -1
	s_mov_b32 s36, 0
	s_mov_b32 s0, s25
	s_branch .LBB70_1154
.LBB70_1081:
	s_mov_b32 s37, -1
	s_mov_b32 s36, 0
	s_mov_b32 s0, s25
	s_branch .LBB70_1112
.LBB70_1082:
	s_mov_b32 s37, -1
	s_mov_b32 s36, 0
	s_mov_b32 s0, s25
	s_branch .LBB70_1095
.LBB70_1083:
	s_mov_b32 s37, -1
	s_mov_b32 s36, 0
	s_mov_b32 s0, s25
	s_branch .LBB70_1091
.LBB70_1084:
	s_mov_b32 s37, -1
	s_mov_b32 s36, 0
	s_mov_b32 s0, s25
.LBB70_1085:
	s_and_b32 vcc_lo, exec_lo, s37
	s_cbranch_vccz .LBB70_1090
; %bb.1086:
	s_cmp_eq_u32 s35, 44
	s_mov_b32 s0, -1
	s_cbranch_scc0 .LBB70_1090
; %bb.1087:
	s_wait_xcnt 0x0
	s_delay_alu instid0(VALU_DEP_1) | instskip(SKIP_3) | instid1(VALU_DEP_2)
	v_xor_b32_e32 v4, v0, v1
	v_cls_i32_e32 v5, v1
	s_mov_b32 s36, -1
	s_mov_b32 s37, exec_lo
	v_ashrrev_i32_e32 v4, 31, v4
	s_delay_alu instid0(VALU_DEP_1) | instskip(NEXT) | instid1(VALU_DEP_1)
	v_add_nc_u32_e32 v4, 32, v4
	v_add_min_u32_e64 v6, v5, -1, v4
	s_delay_alu instid0(VALU_DEP_1) | instskip(NEXT) | instid1(VALU_DEP_1)
	v_lshlrev_b64_e32 v[4:5], v6, v[0:1]
	v_min_u32_e32 v4, 1, v4
	s_delay_alu instid0(VALU_DEP_1) | instskip(NEXT) | instid1(VALU_DEP_1)
	v_dual_sub_nc_u32 v5, 32, v6 :: v_dual_bitop2_b32 v4, v5, v4 bitop3:0x54
	v_cvt_f32_i32_e32 v4, v4
	s_delay_alu instid0(VALU_DEP_1) | instskip(SKIP_1) | instid1(VALU_DEP_2)
	v_ldexp_f32 v4, v4, v5
	v_mov_b32_e32 v5, 0xff
	v_bfe_u32 v6, v4, 23, 8
	s_delay_alu instid0(VALU_DEP_1)
	v_cmpx_ne_u32_e32 0xff, v6
	s_cbranch_execz .LBB70_1089
; %bb.1088:
	v_and_b32_e32 v5, 0x400000, v4
	v_and_or_b32 v6, 0x3fffff, v4, v6
	v_lshrrev_b32_e32 v4, 23, v4
	s_delay_alu instid0(VALU_DEP_3) | instskip(NEXT) | instid1(VALU_DEP_3)
	v_cmp_ne_u32_e32 vcc_lo, 0, v5
	v_cmp_ne_u32_e64 s0, 0, v6
	s_and_b32 s0, vcc_lo, s0
	s_delay_alu instid0(SALU_CYCLE_1) | instskip(NEXT) | instid1(VALU_DEP_1)
	v_cndmask_b32_e64 v5, 0, 1, s0
	v_add_nc_u32_e32 v5, v4, v5
.LBB70_1089:
	s_or_b32 exec_lo, exec_lo, s37
	s_mov_b32 s0, 0
	global_store_b8 v[2:3], v5, off
.LBB70_1090:
	s_mov_b32 s37, 0
.LBB70_1091:
	s_delay_alu instid0(SALU_CYCLE_1)
	s_and_b32 vcc_lo, exec_lo, s37
	s_cbranch_vccz .LBB70_1094
; %bb.1092:
	s_cmp_eq_u32 s35, 29
	s_mov_b32 s0, -1
	s_cbranch_scc0 .LBB70_1094
; %bb.1093:
	s_mov_b32 s36, -1
	s_mov_b32 s0, 0
	global_store_b64 v[2:3], v[0:1], off
.LBB70_1094:
	s_mov_b32 s37, 0
.LBB70_1095:
	s_delay_alu instid0(SALU_CYCLE_1)
	s_and_b32 vcc_lo, exec_lo, s37
	s_cbranch_vccz .LBB70_1111
; %bb.1096:
	s_cmp_lt_i32 s35, 27
	s_mov_b32 s36, -1
	s_cbranch_scc1 .LBB70_1102
; %bb.1097:
	s_cmp_gt_i32 s35, 27
	s_cbranch_scc0 .LBB70_1099
; %bb.1098:
	s_mov_b32 s36, 0
	global_store_b32 v[2:3], v0, off
.LBB70_1099:
	s_and_not1_b32 vcc_lo, exec_lo, s36
	s_cbranch_vccnz .LBB70_1101
; %bb.1100:
	global_store_b16 v[2:3], v0, off
.LBB70_1101:
	s_mov_b32 s36, 0
.LBB70_1102:
	s_delay_alu instid0(SALU_CYCLE_1)
	s_and_not1_b32 vcc_lo, exec_lo, s36
	s_cbranch_vccnz .LBB70_1110
; %bb.1103:
	s_wait_xcnt 0x0
	s_delay_alu instid0(VALU_DEP_1) | instskip(SKIP_2) | instid1(VALU_DEP_2)
	v_xor_b32_e32 v4, v0, v1
	v_cls_i32_e32 v5, v1
	s_mov_b32 s36, exec_lo
	v_ashrrev_i32_e32 v4, 31, v4
	s_delay_alu instid0(VALU_DEP_1) | instskip(NEXT) | instid1(VALU_DEP_1)
	v_add_nc_u32_e32 v4, 32, v4
	v_add_min_u32_e64 v6, v5, -1, v4
	s_delay_alu instid0(VALU_DEP_1) | instskip(NEXT) | instid1(VALU_DEP_1)
	v_lshlrev_b64_e32 v[4:5], v6, v[0:1]
	v_min_u32_e32 v4, 1, v4
	s_delay_alu instid0(VALU_DEP_1) | instskip(SKIP_1) | instid1(VALU_DEP_2)
	v_dual_sub_nc_u32 v5, 32, v6 :: v_dual_bitop2_b32 v4, v5, v4 bitop3:0x54
	v_mov_b32_e32 v6, 0x80
	v_cvt_f32_i32_e32 v4, v4
	s_delay_alu instid0(VALU_DEP_1) | instskip(NEXT) | instid1(VALU_DEP_1)
	v_ldexp_f32 v4, v4, v5
	v_and_b32_e32 v5, 0x7fffffff, v4
	s_delay_alu instid0(VALU_DEP_1)
	v_cmpx_gt_u32_e32 0x43800000, v5
	s_cbranch_execz .LBB70_1109
; %bb.1104:
	v_cmp_lt_u32_e32 vcc_lo, 0x3bffffff, v5
	s_mov_b32 s37, 0
                                        ; implicit-def: $vgpr5
	s_and_saveexec_b32 s38, vcc_lo
	s_delay_alu instid0(SALU_CYCLE_1)
	s_xor_b32 s38, exec_lo, s38
	s_cbranch_execz .LBB70_2025
; %bb.1105:
	v_bfe_u32 v5, v4, 20, 1
	s_mov_b32 s37, exec_lo
	s_delay_alu instid0(VALU_DEP_1) | instskip(NEXT) | instid1(VALU_DEP_1)
	v_add3_u32 v5, v4, v5, 0x487ffff
	v_lshrrev_b32_e32 v5, 20, v5
	s_and_not1_saveexec_b32 s38, s38
	s_cbranch_execnz .LBB70_2026
.LBB70_1106:
	s_or_b32 exec_lo, exec_lo, s38
	v_mov_b32_e32 v6, 0
	s_and_saveexec_b32 s38, s37
.LBB70_1107:
	v_lshrrev_b32_e32 v4, 24, v4
	s_delay_alu instid0(VALU_DEP_1)
	v_and_or_b32 v6, 0x80, v4, v5
.LBB70_1108:
	s_or_b32 exec_lo, exec_lo, s38
.LBB70_1109:
	s_delay_alu instid0(SALU_CYCLE_1)
	s_or_b32 exec_lo, exec_lo, s36
	global_store_b8 v[2:3], v6, off
.LBB70_1110:
	s_mov_b32 s36, -1
.LBB70_1111:
	s_mov_b32 s37, 0
.LBB70_1112:
	s_delay_alu instid0(SALU_CYCLE_1)
	s_and_b32 vcc_lo, exec_lo, s37
	s_cbranch_vccz .LBB70_1153
; %bb.1113:
	s_cmp_gt_i32 s35, 22
	s_mov_b32 s37, -1
	s_cbranch_scc0 .LBB70_1145
; %bb.1114:
	s_cmp_lt_i32 s35, 24
	s_mov_b32 s36, -1
	s_cbranch_scc1 .LBB70_1134
; %bb.1115:
	s_cmp_gt_i32 s35, 24
	s_cbranch_scc0 .LBB70_1123
; %bb.1116:
	s_wait_xcnt 0x0
	s_delay_alu instid0(VALU_DEP_1) | instskip(SKIP_2) | instid1(VALU_DEP_2)
	v_xor_b32_e32 v4, v0, v1
	v_cls_i32_e32 v5, v1
	s_mov_b32 s36, exec_lo
	v_ashrrev_i32_e32 v4, 31, v4
	s_delay_alu instid0(VALU_DEP_1) | instskip(NEXT) | instid1(VALU_DEP_1)
	v_add_nc_u32_e32 v4, 32, v4
	v_add_min_u32_e64 v6, v5, -1, v4
	s_delay_alu instid0(VALU_DEP_1) | instskip(NEXT) | instid1(VALU_DEP_1)
	v_lshlrev_b64_e32 v[4:5], v6, v[0:1]
	v_min_u32_e32 v4, 1, v4
	s_delay_alu instid0(VALU_DEP_1) | instskip(SKIP_1) | instid1(VALU_DEP_2)
	v_dual_sub_nc_u32 v5, 32, v6 :: v_dual_bitop2_b32 v4, v5, v4 bitop3:0x54
	v_mov_b32_e32 v6, 0x80
	v_cvt_f32_i32_e32 v4, v4
	s_delay_alu instid0(VALU_DEP_1) | instskip(NEXT) | instid1(VALU_DEP_1)
	v_ldexp_f32 v4, v4, v5
	v_and_b32_e32 v5, 0x7fffffff, v4
	s_delay_alu instid0(VALU_DEP_1)
	v_cmpx_gt_u32_e32 0x47800000, v5
	s_cbranch_execz .LBB70_1122
; %bb.1117:
	v_cmp_lt_u32_e32 vcc_lo, 0x37ffffff, v5
	s_mov_b32 s37, 0
                                        ; implicit-def: $vgpr5
	s_and_saveexec_b32 s38, vcc_lo
	s_delay_alu instid0(SALU_CYCLE_1)
	s_xor_b32 s38, exec_lo, s38
	s_cbranch_execz .LBB70_2174
; %bb.1118:
	v_bfe_u32 v5, v4, 21, 1
	s_mov_b32 s37, exec_lo
	s_delay_alu instid0(VALU_DEP_1) | instskip(NEXT) | instid1(VALU_DEP_1)
	v_add3_u32 v5, v4, v5, 0x88fffff
	v_lshrrev_b32_e32 v5, 21, v5
	s_and_not1_saveexec_b32 s38, s38
	s_cbranch_execnz .LBB70_2175
.LBB70_1119:
	s_or_b32 exec_lo, exec_lo, s38
	v_mov_b32_e32 v6, 0
	s_and_saveexec_b32 s38, s37
.LBB70_1120:
	v_lshrrev_b32_e32 v4, 24, v4
	s_delay_alu instid0(VALU_DEP_1)
	v_and_or_b32 v6, 0x80, v4, v5
.LBB70_1121:
	s_or_b32 exec_lo, exec_lo, s38
.LBB70_1122:
	s_delay_alu instid0(SALU_CYCLE_1)
	s_or_b32 exec_lo, exec_lo, s36
	s_mov_b32 s36, 0
	global_store_b8 v[2:3], v6, off
.LBB70_1123:
	s_and_b32 vcc_lo, exec_lo, s36
	s_cbranch_vccz .LBB70_1133
; %bb.1124:
	s_wait_xcnt 0x0
	s_delay_alu instid0(VALU_DEP_1) | instskip(SKIP_2) | instid1(VALU_DEP_2)
	v_xor_b32_e32 v4, v0, v1
	v_cls_i32_e32 v5, v1
	s_mov_b32 s36, exec_lo
	v_ashrrev_i32_e32 v4, 31, v4
	s_delay_alu instid0(VALU_DEP_1) | instskip(NEXT) | instid1(VALU_DEP_1)
	v_add_nc_u32_e32 v4, 32, v4
	v_add_min_u32_e64 v6, v5, -1, v4
	s_delay_alu instid0(VALU_DEP_1) | instskip(NEXT) | instid1(VALU_DEP_1)
	v_lshlrev_b64_e32 v[4:5], v6, v[0:1]
	v_min_u32_e32 v4, 1, v4
	s_delay_alu instid0(VALU_DEP_1) | instskip(NEXT) | instid1(VALU_DEP_1)
	v_dual_sub_nc_u32 v5, 32, v6 :: v_dual_bitop2_b32 v4, v5, v4 bitop3:0x54
	v_cvt_f32_i32_e32 v4, v4
	s_delay_alu instid0(VALU_DEP_1) | instskip(NEXT) | instid1(VALU_DEP_1)
	v_ldexp_f32 v4, v4, v5
                                        ; implicit-def: $vgpr5
	v_and_b32_e32 v6, 0x7fffffff, v4
	s_delay_alu instid0(VALU_DEP_1)
	v_cmpx_gt_u32_e32 0x43f00000, v6
	s_xor_b32 s36, exec_lo, s36
	s_cbranch_execz .LBB70_1130
; %bb.1125:
	s_mov_b32 s37, exec_lo
                                        ; implicit-def: $vgpr5
	v_cmpx_lt_u32_e32 0x3c7fffff, v6
	s_xor_b32 s37, exec_lo, s37
; %bb.1126:
	v_bfe_u32 v5, v4, 20, 1
	s_delay_alu instid0(VALU_DEP_1) | instskip(NEXT) | instid1(VALU_DEP_1)
	v_add3_u32 v5, v4, v5, 0x407ffff
	v_and_b32_e32 v6, 0xff00000, v5
	v_lshrrev_b32_e32 v5, 20, v5
	s_delay_alu instid0(VALU_DEP_2) | instskip(NEXT) | instid1(VALU_DEP_2)
	v_cmp_ne_u32_e32 vcc_lo, 0x7f00000, v6
	v_cndmask_b32_e32 v5, 0x7e, v5, vcc_lo
; %bb.1127:
	s_and_not1_saveexec_b32 s37, s37
; %bb.1128:
	v_add_f32_e64 v5, 0x46800000, |v4|
; %bb.1129:
	s_or_b32 exec_lo, exec_lo, s37
                                        ; implicit-def: $vgpr6
.LBB70_1130:
	s_and_not1_saveexec_b32 s36, s36
; %bb.1131:
	v_mov_b32_e32 v5, 0x7f
	v_cmp_lt_u32_e32 vcc_lo, 0x7f800000, v6
	s_delay_alu instid0(VALU_DEP_2)
	v_cndmask_b32_e32 v5, 0x7e, v5, vcc_lo
; %bb.1132:
	s_or_b32 exec_lo, exec_lo, s36
	v_lshrrev_b32_e32 v4, 24, v4
	s_delay_alu instid0(VALU_DEP_1)
	v_and_or_b32 v4, 0x80, v4, v5
	global_store_b8 v[2:3], v4, off
.LBB70_1133:
	s_mov_b32 s36, 0
.LBB70_1134:
	s_delay_alu instid0(SALU_CYCLE_1)
	s_and_not1_b32 vcc_lo, exec_lo, s36
	s_cbranch_vccnz .LBB70_1144
; %bb.1135:
	s_wait_xcnt 0x0
	s_delay_alu instid0(VALU_DEP_1) | instskip(SKIP_2) | instid1(VALU_DEP_2)
	v_xor_b32_e32 v4, v0, v1
	v_cls_i32_e32 v5, v1
	s_mov_b32 s36, exec_lo
	v_ashrrev_i32_e32 v4, 31, v4
	s_delay_alu instid0(VALU_DEP_1) | instskip(NEXT) | instid1(VALU_DEP_1)
	v_add_nc_u32_e32 v4, 32, v4
	v_add_min_u32_e64 v6, v5, -1, v4
	s_delay_alu instid0(VALU_DEP_1) | instskip(NEXT) | instid1(VALU_DEP_1)
	v_lshlrev_b64_e32 v[4:5], v6, v[0:1]
	v_min_u32_e32 v4, 1, v4
	s_delay_alu instid0(VALU_DEP_1) | instskip(NEXT) | instid1(VALU_DEP_1)
	v_dual_sub_nc_u32 v5, 32, v6 :: v_dual_bitop2_b32 v4, v5, v4 bitop3:0x54
	v_cvt_f32_i32_e32 v4, v4
	s_delay_alu instid0(VALU_DEP_1) | instskip(NEXT) | instid1(VALU_DEP_1)
	v_ldexp_f32 v4, v4, v5
                                        ; implicit-def: $vgpr5
	v_and_b32_e32 v6, 0x7fffffff, v4
	s_delay_alu instid0(VALU_DEP_1)
	v_cmpx_gt_u32_e32 0x47800000, v6
	s_xor_b32 s36, exec_lo, s36
	s_cbranch_execz .LBB70_1141
; %bb.1136:
	s_mov_b32 s37, exec_lo
                                        ; implicit-def: $vgpr5
	v_cmpx_lt_u32_e32 0x387fffff, v6
	s_xor_b32 s37, exec_lo, s37
; %bb.1137:
	v_bfe_u32 v5, v4, 21, 1
	s_delay_alu instid0(VALU_DEP_1) | instskip(NEXT) | instid1(VALU_DEP_1)
	v_add3_u32 v5, v4, v5, 0x80fffff
	v_lshrrev_b32_e32 v5, 21, v5
; %bb.1138:
	s_and_not1_saveexec_b32 s37, s37
; %bb.1139:
	v_add_f32_e64 v5, 0x43000000, |v4|
; %bb.1140:
	s_or_b32 exec_lo, exec_lo, s37
                                        ; implicit-def: $vgpr6
.LBB70_1141:
	s_and_not1_saveexec_b32 s36, s36
; %bb.1142:
	v_mov_b32_e32 v5, 0x7f
	v_cmp_lt_u32_e32 vcc_lo, 0x7f800000, v6
	s_delay_alu instid0(VALU_DEP_2)
	v_cndmask_b32_e32 v5, 0x7c, v5, vcc_lo
; %bb.1143:
	s_or_b32 exec_lo, exec_lo, s36
	v_lshrrev_b32_e32 v4, 24, v4
	s_delay_alu instid0(VALU_DEP_1)
	v_and_or_b32 v4, 0x80, v4, v5
	global_store_b8 v[2:3], v4, off
.LBB70_1144:
	s_mov_b32 s37, 0
	s_mov_b32 s36, -1
.LBB70_1145:
	s_and_not1_b32 vcc_lo, exec_lo, s37
	s_cbranch_vccnz .LBB70_1153
; %bb.1146:
	s_cmp_gt_i32 s35, 14
	s_mov_b32 s37, -1
	s_cbranch_scc0 .LBB70_1150
; %bb.1147:
	s_cmp_eq_u32 s35, 15
	s_mov_b32 s0, -1
	s_cbranch_scc0 .LBB70_1149
; %bb.1148:
	s_wait_xcnt 0x0
	s_delay_alu instid0(VALU_DEP_1) | instskip(SKIP_3) | instid1(VALU_DEP_2)
	v_xor_b32_e32 v4, v0, v1
	v_cls_i32_e32 v5, v1
	s_mov_b32 s36, -1
	s_mov_b32 s0, 0
	v_ashrrev_i32_e32 v4, 31, v4
	s_delay_alu instid0(VALU_DEP_1) | instskip(NEXT) | instid1(VALU_DEP_1)
	v_add_nc_u32_e32 v4, 32, v4
	v_add_min_u32_e64 v6, v5, -1, v4
	s_delay_alu instid0(VALU_DEP_1) | instskip(NEXT) | instid1(VALU_DEP_1)
	v_lshlrev_b64_e32 v[4:5], v6, v[0:1]
	v_min_u32_e32 v4, 1, v4
	s_delay_alu instid0(VALU_DEP_1) | instskip(NEXT) | instid1(VALU_DEP_1)
	v_dual_sub_nc_u32 v5, 32, v6 :: v_dual_bitop2_b32 v4, v5, v4 bitop3:0x54
	v_cvt_f32_i32_e32 v4, v4
	s_delay_alu instid0(VALU_DEP_1) | instskip(NEXT) | instid1(VALU_DEP_1)
	v_ldexp_f32 v4, v4, v5
	v_bfe_u32 v5, v4, 16, 1
	s_delay_alu instid0(VALU_DEP_1)
	v_add3_u32 v4, v4, v5, 0x7fff
	global_store_d16_hi_b16 v[2:3], v4, off
.LBB70_1149:
	s_mov_b32 s37, 0
.LBB70_1150:
	s_delay_alu instid0(SALU_CYCLE_1)
	s_and_b32 vcc_lo, exec_lo, s37
	s_cbranch_vccz .LBB70_1153
; %bb.1151:
	s_cmp_eq_u32 s35, 11
	s_mov_b32 s0, -1
	s_cbranch_scc0 .LBB70_1153
; %bb.1152:
	s_delay_alu instid0(VALU_DEP_1)
	v_cmp_ne_u64_e32 vcc_lo, 0, v[0:1]
	s_mov_b32 s36, -1
	s_mov_b32 s0, 0
	s_wait_xcnt 0x0
	v_cndmask_b32_e64 v4, 0, 1, vcc_lo
	global_store_b8 v[2:3], v4, off
.LBB70_1153:
	s_mov_b32 s35, 0
.LBB70_1154:
	s_delay_alu instid0(SALU_CYCLE_1)
	s_and_b32 vcc_lo, exec_lo, s35
	s_cbranch_vccz .LBB70_1193
; %bb.1155:
	s_and_b32 s34, 0xffff, s34
	s_mov_b32 s35, -1
	s_cmp_lt_i32 s34, 5
	s_cbranch_scc1 .LBB70_1176
; %bb.1156:
	s_cmp_lt_i32 s34, 8
	s_cbranch_scc1 .LBB70_1166
; %bb.1157:
	;; [unrolled: 3-line block ×3, first 2 shown]
	s_cmp_gt_i32 s34, 9
	s_cbranch_scc0 .LBB70_1160
; %bb.1159:
	s_wait_xcnt 0x0
	s_delay_alu instid0(VALU_DEP_1) | instskip(NEXT) | instid1(VALU_DEP_2)
	v_cvt_f64_i32_e32 v[4:5], v1
	v_cvt_f64_u32_e32 v[6:7], v0
	s_mov_b32 s35, 0
	s_delay_alu instid0(VALU_DEP_2) | instskip(NEXT) | instid1(VALU_DEP_1)
	v_ldexp_f64 v[4:5], v[4:5], 32
	v_dual_add_f64 v[4:5], v[4:5], v[6:7] :: v_dual_mov_b32 v6, 0
	s_delay_alu instid0(VALU_DEP_1)
	v_mov_b32_e32 v7, v6
	global_store_b128 v[2:3], v[4:7], off
.LBB70_1160:
	s_and_not1_b32 vcc_lo, exec_lo, s35
	s_cbranch_vccnz .LBB70_1162
; %bb.1161:
	s_wait_xcnt 0x0
	s_delay_alu instid0(VALU_DEP_1) | instskip(SKIP_1) | instid1(VALU_DEP_2)
	v_xor_b32_e32 v4, v0, v1
	v_cls_i32_e32 v5, v1
	v_ashrrev_i32_e32 v4, 31, v4
	s_delay_alu instid0(VALU_DEP_1) | instskip(NEXT) | instid1(VALU_DEP_1)
	v_add_nc_u32_e32 v4, 32, v4
	v_add_min_u32_e64 v6, v5, -1, v4
	s_delay_alu instid0(VALU_DEP_1) | instskip(NEXT) | instid1(VALU_DEP_1)
	v_lshlrev_b64_e32 v[4:5], v6, v[0:1]
	v_min_u32_e32 v4, 1, v4
	s_delay_alu instid0(VALU_DEP_1) | instskip(NEXT) | instid1(VALU_DEP_1)
	v_dual_sub_nc_u32 v5, 32, v6 :: v_dual_bitop2_b32 v4, v5, v4 bitop3:0x54
	v_cvt_f32_i32_e32 v4, v4
	s_delay_alu instid0(VALU_DEP_1)
	v_ldexp_f32 v4, v4, v5
	v_mov_b32_e32 v5, 0
	global_store_b64 v[2:3], v[4:5], off
.LBB70_1162:
	s_mov_b32 s35, 0
.LBB70_1163:
	s_delay_alu instid0(SALU_CYCLE_1)
	s_and_not1_b32 vcc_lo, exec_lo, s35
	s_cbranch_vccnz .LBB70_1165
; %bb.1164:
	s_wait_xcnt 0x0
	s_delay_alu instid0(VALU_DEP_1) | instskip(SKIP_1) | instid1(VALU_DEP_2)
	v_xor_b32_e32 v4, v0, v1
	v_cls_i32_e32 v5, v1
	v_ashrrev_i32_e32 v4, 31, v4
	s_delay_alu instid0(VALU_DEP_1) | instskip(NEXT) | instid1(VALU_DEP_1)
	v_add_nc_u32_e32 v4, 32, v4
	v_add_min_u32_e64 v6, v5, -1, v4
	s_delay_alu instid0(VALU_DEP_1) | instskip(NEXT) | instid1(VALU_DEP_1)
	v_lshlrev_b64_e32 v[4:5], v6, v[0:1]
	v_min_u32_e32 v4, 1, v4
	s_delay_alu instid0(VALU_DEP_1) | instskip(NEXT) | instid1(VALU_DEP_1)
	v_dual_sub_nc_u32 v5, 32, v6 :: v_dual_bitop2_b32 v4, v5, v4 bitop3:0x54
	v_cvt_f32_i32_e32 v4, v4
	s_delay_alu instid0(VALU_DEP_1) | instskip(NEXT) | instid1(VALU_DEP_1)
	v_ldexp_f32 v4, v4, v5
	v_cvt_f16_f32_e32 v4, v4
	s_delay_alu instid0(VALU_DEP_1)
	v_and_b32_e32 v4, 0xffff, v4
	global_store_b32 v[2:3], v4, off
.LBB70_1165:
	s_mov_b32 s35, 0
.LBB70_1166:
	s_delay_alu instid0(SALU_CYCLE_1)
	s_and_not1_b32 vcc_lo, exec_lo, s35
	s_cbranch_vccnz .LBB70_1175
; %bb.1167:
	s_cmp_lt_i32 s34, 6
	s_mov_b32 s35, -1
	s_cbranch_scc1 .LBB70_1173
; %bb.1168:
	s_cmp_gt_i32 s34, 6
	s_cbranch_scc0 .LBB70_1170
; %bb.1169:
	s_wait_xcnt 0x0
	s_delay_alu instid0(VALU_DEP_1) | instskip(NEXT) | instid1(VALU_DEP_2)
	v_cvt_f64_i32_e32 v[4:5], v1
	v_cvt_f64_u32_e32 v[6:7], v0
	s_mov_b32 s35, 0
	s_delay_alu instid0(VALU_DEP_2) | instskip(NEXT) | instid1(VALU_DEP_1)
	v_ldexp_f64 v[4:5], v[4:5], 32
	v_add_f64_e32 v[4:5], v[4:5], v[6:7]
	global_store_b64 v[2:3], v[4:5], off
.LBB70_1170:
	s_and_not1_b32 vcc_lo, exec_lo, s35
	s_cbranch_vccnz .LBB70_1172
; %bb.1171:
	s_wait_xcnt 0x0
	s_delay_alu instid0(VALU_DEP_1) | instskip(SKIP_1) | instid1(VALU_DEP_2)
	v_xor_b32_e32 v4, v0, v1
	v_cls_i32_e32 v5, v1
	v_ashrrev_i32_e32 v4, 31, v4
	s_delay_alu instid0(VALU_DEP_1) | instskip(NEXT) | instid1(VALU_DEP_1)
	v_add_nc_u32_e32 v4, 32, v4
	v_add_min_u32_e64 v6, v5, -1, v4
	s_delay_alu instid0(VALU_DEP_1) | instskip(NEXT) | instid1(VALU_DEP_1)
	v_lshlrev_b64_e32 v[4:5], v6, v[0:1]
	v_min_u32_e32 v4, 1, v4
	s_delay_alu instid0(VALU_DEP_1) | instskip(NEXT) | instid1(VALU_DEP_1)
	v_dual_sub_nc_u32 v5, 32, v6 :: v_dual_bitop2_b32 v4, v5, v4 bitop3:0x54
	v_cvt_f32_i32_e32 v4, v4
	s_delay_alu instid0(VALU_DEP_1)
	v_ldexp_f32 v4, v4, v5
	global_store_b32 v[2:3], v4, off
.LBB70_1172:
	s_mov_b32 s35, 0
.LBB70_1173:
	s_delay_alu instid0(SALU_CYCLE_1)
	s_and_not1_b32 vcc_lo, exec_lo, s35
	s_cbranch_vccnz .LBB70_1175
; %bb.1174:
	s_wait_xcnt 0x0
	s_delay_alu instid0(VALU_DEP_1) | instskip(SKIP_1) | instid1(VALU_DEP_2)
	v_xor_b32_e32 v4, v0, v1
	v_cls_i32_e32 v5, v1
	v_ashrrev_i32_e32 v4, 31, v4
	s_delay_alu instid0(VALU_DEP_1) | instskip(NEXT) | instid1(VALU_DEP_1)
	v_add_nc_u32_e32 v4, 32, v4
	v_add_min_u32_e64 v6, v5, -1, v4
	s_delay_alu instid0(VALU_DEP_1) | instskip(NEXT) | instid1(VALU_DEP_1)
	v_lshlrev_b64_e32 v[4:5], v6, v[0:1]
	v_min_u32_e32 v4, 1, v4
	s_delay_alu instid0(VALU_DEP_1) | instskip(NEXT) | instid1(VALU_DEP_1)
	v_dual_sub_nc_u32 v5, 32, v6 :: v_dual_bitop2_b32 v4, v5, v4 bitop3:0x54
	v_cvt_f32_i32_e32 v4, v4
	s_delay_alu instid0(VALU_DEP_1) | instskip(NEXT) | instid1(VALU_DEP_1)
	v_ldexp_f32 v4, v4, v5
	v_cvt_f16_f32_e32 v4, v4
	global_store_b16 v[2:3], v4, off
.LBB70_1175:
	s_mov_b32 s35, 0
.LBB70_1176:
	s_delay_alu instid0(SALU_CYCLE_1)
	s_and_not1_b32 vcc_lo, exec_lo, s35
	s_cbranch_vccnz .LBB70_1192
; %bb.1177:
	s_cmp_lt_i32 s34, 2
	s_mov_b32 s35, -1
	s_cbranch_scc1 .LBB70_1187
; %bb.1178:
	s_cmp_lt_i32 s34, 3
	s_cbranch_scc1 .LBB70_1184
; %bb.1179:
	s_cmp_gt_i32 s34, 3
	s_cbranch_scc0 .LBB70_1181
; %bb.1180:
	s_mov_b32 s35, 0
	global_store_b64 v[2:3], v[0:1], off
.LBB70_1181:
	s_and_not1_b32 vcc_lo, exec_lo, s35
	s_cbranch_vccnz .LBB70_1183
; %bb.1182:
	global_store_b32 v[2:3], v0, off
.LBB70_1183:
	s_mov_b32 s35, 0
.LBB70_1184:
	s_delay_alu instid0(SALU_CYCLE_1)
	s_and_not1_b32 vcc_lo, exec_lo, s35
	s_cbranch_vccnz .LBB70_1186
; %bb.1185:
	global_store_b16 v[2:3], v0, off
.LBB70_1186:
	s_mov_b32 s35, 0
.LBB70_1187:
	s_delay_alu instid0(SALU_CYCLE_1)
	s_and_not1_b32 vcc_lo, exec_lo, s35
	s_cbranch_vccnz .LBB70_1192
; %bb.1188:
	s_cmp_gt_i32 s34, 0
	s_mov_b32 s34, -1
	s_cbranch_scc0 .LBB70_1190
; %bb.1189:
	s_mov_b32 s34, 0
	global_store_b8 v[2:3], v0, off
.LBB70_1190:
	s_and_not1_b32 vcc_lo, exec_lo, s34
	s_cbranch_vccnz .LBB70_1192
; %bb.1191:
	global_store_b8 v[2:3], v0, off
.LBB70_1192:
	s_mov_b32 s36, -1
.LBB70_1193:
	s_delay_alu instid0(SALU_CYCLE_1)
	s_and_not1_b32 vcc_lo, exec_lo, s36
	s_cbranch_vccnz .LBB70_1204
; %bb.1194:
	v_add_nc_u32_e32 v18, 0x80, v18
	s_mov_b32 s35, -1
.LBB70_1195:
	s_and_not1_b32 s34, s25, exec_lo
	s_and_b32 s0, s0, exec_lo
	s_and_not1_b32 s36, s26, exec_lo
	s_and_b32 s33, s33, exec_lo
	s_or_b32 s34, s34, s0
	s_or_b32 s33, s36, s33
	s_and_not1_b32 s0, s27, exec_lo
	s_and_b32 s30, s30, exec_lo
	s_and_not1_b32 s36, s24, exec_lo
	s_and_b32 s31, s31, exec_lo
	s_or_b32 s30, s0, s30
	s_or_b32 s0, s36, s31
	s_or_not1_b32 s31, s35, exec_lo
.LBB70_1196:
	s_wait_xcnt 0x0
	s_or_b32 exec_lo, exec_lo, s29
	s_mov_b32 s35, 0
	s_and_saveexec_b32 s29, s31
	s_cbranch_execz .LBB70_1219
; %bb.1197:
	v_cmp_gt_i32_e32 vcc_lo, s19, v18
	s_mov_b32 s31, 0
	s_mov_b32 s35, s0
	s_and_saveexec_b32 s19, vcc_lo
	s_cbranch_execz .LBB70_1218
; %bb.1198:
	s_and_b32 s36, s16, 0xff
	s_delay_alu instid0(SALU_CYCLE_1)
	s_cmp_lt_i32 s36, 23
	s_cbranch_scc1 .LBB70_1202
; %bb.1199:
	s_and_b32 s37, 0xffff, s36
	s_delay_alu instid0(SALU_CYCLE_1)
	s_cmp_gt_i32 s37, 43
	s_cbranch_scc0 .LBB70_1203
; %bb.1200:
	s_cmp_gt_i32 s37, 45
	s_cbranch_scc0 .LBB70_1205
; %bb.1201:
	s_cmp_lg_u32 s37, 46
	s_mov_b32 s38, 0
	s_cselect_b32 s31, -1, 0
	s_and_not1_b32 s35, s0, exec_lo
	s_and_b32 s39, s31, exec_lo
	s_mov_b32 s31, -1
	s_or_b32 s35, s35, s39
	s_branch .LBB70_1206
.LBB70_1202:
	s_mov_b32 s37, -1
	s_mov_b32 s35, s0
	s_branch .LBB70_1212
.LBB70_1203:
	s_mov_b32 s38, -1
	s_mov_b32 s35, s0
	s_branch .LBB70_1209
.LBB70_1204:
	s_mov_b32 s35, 0
	s_branch .LBB70_824
.LBB70_1205:
	s_mov_b32 s38, -1
	s_mov_b32 s35, s0
.LBB70_1206:
	s_and_not1_b32 vcc_lo, exec_lo, s38
	s_cbranch_vccnz .LBB70_1208
; %bb.1207:
	s_cmp_eq_u32 s37, 44
	s_cselect_b32 s31, -1, 0
	s_cmp_lg_u32 s37, 44
	s_cselect_b32 s38, -1, 0
	s_and_not1_b32 s35, s35, exec_lo
	s_and_b32 s38, s38, exec_lo
	s_delay_alu instid0(SALU_CYCLE_1)
	s_or_b32 s35, s35, s38
.LBB70_1208:
	s_mov_b32 s38, 0
.LBB70_1209:
	s_delay_alu instid0(SALU_CYCLE_1)
	s_and_b32 vcc_lo, exec_lo, s38
	s_cbranch_vccz .LBB70_1211
; %bb.1210:
	s_cmp_lt_i32 s37, 30
	s_cselect_b32 s31, -1, 0
	s_cmp_gt_i32 s37, 29
	s_cselect_b32 s37, -1, 0
	s_and_not1_b32 s35, s35, exec_lo
	s_and_b32 s37, s37, exec_lo
	s_delay_alu instid0(SALU_CYCLE_1)
	s_or_b32 s35, s35, s37
.LBB70_1211:
	s_mov_b32 s37, 0
.LBB70_1212:
	s_delay_alu instid0(SALU_CYCLE_1)
	s_and_b32 vcc_lo, exec_lo, s37
	s_cbranch_vccz .LBB70_1217
; %bb.1213:
	s_and_b32 s36, 0xffff, s36
	s_mov_b32 s37, -1
	s_cmp_gt_i32 s36, 14
	s_cbranch_scc0 .LBB70_1215
; %bb.1214:
	s_cmp_eq_u32 s36, 15
	s_cselect_b32 s31, -1, 0
	s_cmp_lg_u32 s36, 15
	s_cselect_b32 s37, -1, 0
	s_and_not1_b32 s35, s35, exec_lo
	s_and_b32 s38, s37, exec_lo
	s_mov_b32 s37, 0
	s_or_b32 s35, s35, s38
.LBB70_1215:
	s_and_not1_b32 vcc_lo, exec_lo, s37
	s_cbranch_vccnz .LBB70_1217
; %bb.1216:
	s_cmp_lt_i32 s36, 12
	s_cselect_b32 s31, -1, 0
	s_cmp_gt_i32 s36, 11
	s_cselect_b32 s36, -1, 0
	s_and_not1_b32 s35, s35, exec_lo
	s_and_b32 s36, s36, exec_lo
	s_delay_alu instid0(SALU_CYCLE_1)
	s_or_b32 s35, s35, s36
.LBB70_1217:
	s_and_not1_b32 s36, s0, exec_lo
	s_and_b32 s35, s35, exec_lo
	s_and_b32 s31, s31, exec_lo
	s_or_b32 s35, s36, s35
.LBB70_1218:
	s_or_b32 exec_lo, exec_lo, s19
	s_delay_alu instid0(SALU_CYCLE_1)
	s_and_not1_b32 s0, s0, exec_lo
	s_and_b32 s19, s35, exec_lo
	s_and_b32 s35, s31, exec_lo
	s_or_b32 s0, s0, s19
.LBB70_1219:
	s_or_b32 exec_lo, exec_lo, s29
	s_delay_alu instid0(SALU_CYCLE_1)
	s_and_not1_b32 s19, s25, exec_lo
	s_and_b32 s25, s34, exec_lo
	s_and_not1_b32 s27, s27, exec_lo
	s_or_b32 s25, s19, s25
	s_and_not1_b32 s19, s26, exec_lo
	s_and_b32 s26, s33, exec_lo
	s_and_b32 s29, s30, exec_lo
	s_or_b32 s26, s19, s26
	s_and_not1_b32 s19, s24, exec_lo
	s_and_b32 s24, s0, exec_lo
	s_or_b32 s27, s27, s29
	s_and_b32 s0, s35, exec_lo
	s_or_b32 s24, s19, s24
.LBB70_1220:
	s_or_b32 exec_lo, exec_lo, s28
	s_delay_alu instid0(SALU_CYCLE_1)
	s_and_not1_b32 s18, s18, exec_lo
	s_and_b32 s19, s25, exec_lo
	s_and_not1_b32 s21, s21, exec_lo
	s_or_b32 s18, s18, s19
	s_and_not1_b32 s19, s20, exec_lo
	s_and_b32 s20, s26, exec_lo
	s_and_b32 s25, s27, exec_lo
	s_or_b32 s20, s19, s20
	s_and_not1_b32 s19, s22, exec_lo
	s_and_b32 s22, s24, exec_lo
	s_or_b32 s21, s21, s25
	s_and_b32 s24, s0, exec_lo
	s_or_b32 s22, s19, s22
.LBB70_1221:
	s_or_b32 exec_lo, exec_lo, s23
	s_mov_b32 s25, 0
	s_mov_b32 s19, 0
	s_and_saveexec_b32 s0, s22
	s_cbranch_execnz .LBB70_1236
.LBB70_1222:
	s_or_b32 exec_lo, exec_lo, s0
	s_mov_b32 s26, 0
	s_mov_b32 s23, 0
                                        ; implicit-def: $sgpr0
                                        ; implicit-def: $vgpr2_vgpr3
                                        ; implicit-def: $vgpr0_vgpr1
	s_and_saveexec_b32 s22, s24
	s_cbranch_execz .LBB70_1230
; %bb.1223:
	s_wait_loadcnt 0x0
	v_mul_lo_u32 v0, v18, s4
	s_and_b32 s0, s14, 0xff
	s_delay_alu instid0(SALU_CYCLE_1) | instskip(NEXT) | instid1(VALU_DEP_1)
	s_cmp_lt_i32 s0, 11
	v_ashrrev_i32_e32 v1, 31, v0
	s_delay_alu instid0(VALU_DEP_1)
	v_add_nc_u64_e32 v[2:3], s[8:9], v[0:1]
	s_cbranch_scc1 .LBB70_1233
; %bb.1224:
	s_and_b32 s23, 0xffff, s0
	s_delay_alu instid0(SALU_CYCLE_1)
	s_cmp_gt_i32 s23, 25
	s_cbranch_scc0 .LBB70_1234
; %bb.1225:
	s_cmp_gt_i32 s23, 28
	s_cbranch_scc0 .LBB70_1235
; %bb.1226:
	;; [unrolled: 3-line block ×4, first 2 shown]
	s_cmp_eq_u32 s23, 46
	s_mov_b32 s27, 0
	s_cbranch_scc0 .LBB70_1239
; %bb.1229:
	global_load_b32 v0, v[2:3], off
	s_mov_b32 s24, 0
	s_mov_b32 s26, -1
	s_wait_loadcnt 0x0
	v_lshlrev_b32_e32 v0, 16, v0
	s_delay_alu instid0(VALU_DEP_1) | instskip(NEXT) | instid1(VALU_DEP_1)
	v_trunc_f32_e32 v0, v0
	v_mul_f32_e64 v1, 0x2f800000, |v0|
	s_delay_alu instid0(VALU_DEP_1) | instskip(NEXT) | instid1(VALU_DEP_1)
	v_floor_f32_e32 v1, v1
	v_fma_f32 v4, 0xcf800000, v1, |v0|
	v_ashrrev_i32_e32 v0, 31, v0
	v_cvt_u32_f32_e32 v5, v1
	s_delay_alu instid0(VALU_DEP_3) | instskip(NEXT) | instid1(VALU_DEP_2)
	v_cvt_u32_f32_e32 v4, v4
	v_dual_mov_b32 v1, v0 :: v_dual_bitop2_b32 v5, v5, v0 bitop3:0x14
	s_delay_alu instid0(VALU_DEP_2) | instskip(NEXT) | instid1(VALU_DEP_1)
	v_xor_b32_e32 v4, v4, v0
	v_sub_nc_u64_e32 v[0:1], v[4:5], v[0:1]
	s_branch .LBB70_1241
.LBB70_1230:
	s_or_b32 exec_lo, exec_lo, s22
	s_and_saveexec_b32 s22, s21
	s_cbranch_execnz .LBB70_1300
.LBB70_1231:
	s_or_b32 exec_lo, exec_lo, s22
	s_and_saveexec_b32 s21, s25
	s_delay_alu instid0(SALU_CYCLE_1)
	s_xor_b32 s21, exec_lo, s21
	s_cbranch_execz .LBB70_1301
.LBB70_1232:
	s_wait_loadcnt 0x0
	global_load_u8 v0, v[2:3], off
	s_mov_b32 s22, 0
	s_or_b32 s23, s23, exec_lo
	v_mov_b32_e32 v1, s22
	s_wait_loadcnt 0x0
	v_cmp_ne_u16_e32 vcc_lo, 0, v0
	v_cndmask_b32_e64 v0, 0, 1, vcc_lo
	s_wait_xcnt 0x0
	s_or_b32 exec_lo, exec_lo, s21
	s_and_saveexec_b32 s21, s26
	s_cbranch_execz .LBB70_1347
	s_branch .LBB70_1302
.LBB70_1233:
	s_mov_b32 s27, -1
	s_mov_b32 s24, s21
                                        ; implicit-def: $vgpr0_vgpr1
	s_branch .LBB70_1299
.LBB70_1234:
	s_mov_b32 s24, s21
                                        ; implicit-def: $vgpr0_vgpr1
	s_cbranch_execnz .LBB70_1268
	s_branch .LBB70_1298
.LBB70_1235:
	s_mov_b32 s27, -1
	s_mov_b32 s24, s21
                                        ; implicit-def: $vgpr0_vgpr1
	s_branch .LBB70_1251
.LBB70_1236:
	s_mov_b32 s19, exec_lo
	s_and_not1_b32 s24, s24, exec_lo
	s_trap 2
	s_branch .LBB70_1222
.LBB70_1237:
	s_mov_b32 s27, -1
	s_mov_b32 s24, s21
                                        ; implicit-def: $vgpr0_vgpr1
	s_branch .LBB70_1246
.LBB70_1238:
	s_mov_b32 s27, -1
	s_mov_b32 s24, s21
	s_branch .LBB70_1240
.LBB70_1239:
	s_mov_b32 s24, -1
.LBB70_1240:
                                        ; implicit-def: $vgpr0_vgpr1
.LBB70_1241:
	s_and_b32 vcc_lo, exec_lo, s27
	s_cbranch_vccz .LBB70_1245
; %bb.1242:
	s_cmp_eq_u32 s23, 44
	s_cbranch_scc0 .LBB70_1244
; %bb.1243:
	global_load_u8 v6, v[2:3], off
	s_mov_b32 s24, 0
	s_mov_b32 s26, -1
	s_wait_loadcnt 0x0
	v_cmp_ne_u32_e32 vcc_lo, 0, v6
	v_lshlrev_b32_e32 v0, 23, v6
	s_delay_alu instid0(VALU_DEP_1) | instskip(NEXT) | instid1(VALU_DEP_1)
	v_trunc_f32_e32 v0, v0
	v_mul_f32_e64 v1, 0x2f800000, |v0|
	s_delay_alu instid0(VALU_DEP_1) | instskip(NEXT) | instid1(VALU_DEP_1)
	v_floor_f32_e32 v1, v1
	v_fma_f32 v4, 0xcf800000, v1, |v0|
	v_ashrrev_i32_e32 v0, 31, v0
	v_cvt_u32_f32_e32 v5, v1
	s_delay_alu instid0(VALU_DEP_3) | instskip(NEXT) | instid1(VALU_DEP_2)
	v_cvt_u32_f32_e32 v4, v4
	v_dual_mov_b32 v1, v0 :: v_dual_bitop2_b32 v5, v5, v0 bitop3:0x14
	s_delay_alu instid0(VALU_DEP_2) | instskip(NEXT) | instid1(VALU_DEP_1)
	v_xor_b32_e32 v4, v4, v0
	v_sub_nc_u64_e32 v[0:1], v[4:5], v[0:1]
	s_delay_alu instid0(VALU_DEP_1)
	v_dual_cndmask_b32 v1, 0, v1 :: v_dual_cndmask_b32 v0, 0, v0
	s_branch .LBB70_1245
.LBB70_1244:
	s_mov_b32 s24, -1
                                        ; implicit-def: $vgpr0_vgpr1
.LBB70_1245:
	s_mov_b32 s27, 0
.LBB70_1246:
	s_delay_alu instid0(SALU_CYCLE_1)
	s_and_b32 vcc_lo, exec_lo, s27
	s_cbranch_vccz .LBB70_1250
; %bb.1247:
	s_cmp_eq_u32 s23, 29
	s_cbranch_scc0 .LBB70_1249
; %bb.1248:
	global_load_b64 v[0:1], v[2:3], off
	s_mov_b32 s24, 0
	s_mov_b32 s26, -1
	s_branch .LBB70_1250
.LBB70_1249:
	s_mov_b32 s24, -1
                                        ; implicit-def: $vgpr0_vgpr1
.LBB70_1250:
	s_mov_b32 s27, 0
.LBB70_1251:
	s_delay_alu instid0(SALU_CYCLE_1)
	s_and_b32 vcc_lo, exec_lo, s27
	s_cbranch_vccz .LBB70_1267
; %bb.1252:
	s_cmp_lt_i32 s23, 27
	s_cbranch_scc1 .LBB70_1255
; %bb.1253:
	s_cmp_gt_i32 s23, 27
	s_cbranch_scc0 .LBB70_1256
; %bb.1254:
	s_wait_loadcnt 0x0
	global_load_b32 v0, v[2:3], off
	v_mov_b32_e32 v1, 0
	s_mov_b32 s26, 0
	s_branch .LBB70_1257
.LBB70_1255:
	s_mov_b32 s26, -1
                                        ; implicit-def: $vgpr0_vgpr1
	s_branch .LBB70_1260
.LBB70_1256:
	s_mov_b32 s26, -1
                                        ; implicit-def: $vgpr0_vgpr1
.LBB70_1257:
	s_delay_alu instid0(SALU_CYCLE_1)
	s_and_not1_b32 vcc_lo, exec_lo, s26
	s_cbranch_vccnz .LBB70_1259
; %bb.1258:
	s_wait_loadcnt 0x0
	global_load_u16 v0, v[2:3], off
	s_mov_b32 s26, 0
	s_delay_alu instid0(SALU_CYCLE_1)
	v_mov_b32_e32 v1, s26
	s_wait_loadcnt 0x0
	v_and_b32_e32 v0, 0xffff, v0
.LBB70_1259:
	s_mov_b32 s26, 0
.LBB70_1260:
	s_delay_alu instid0(SALU_CYCLE_1)
	s_and_not1_b32 vcc_lo, exec_lo, s26
	s_cbranch_vccnz .LBB70_1266
; %bb.1261:
	global_load_u8 v4, v[2:3], off
	s_mov_b32 s27, 0
	s_mov_b32 s26, exec_lo
	s_wait_loadcnt 0x0
	v_cmpx_lt_i16_e32 0x7f, v4
	s_xor_b32 s26, exec_lo, s26
	s_cbranch_execz .LBB70_1277
; %bb.1262:
	v_cmp_ne_u16_e32 vcc_lo, 0x80, v4
	s_and_b32 s27, vcc_lo, exec_lo
	s_and_not1_saveexec_b32 s26, s26
	s_cbranch_execnz .LBB70_1278
.LBB70_1263:
	s_or_b32 exec_lo, exec_lo, s26
	v_mov_b64_e32 v[0:1], 0
	s_and_saveexec_b32 s26, s27
	s_cbranch_execz .LBB70_1265
.LBB70_1264:
	v_and_b32_e32 v0, 0xffff, v4
	s_delay_alu instid0(VALU_DEP_1) | instskip(SKIP_1) | instid1(VALU_DEP_2)
	v_and_b32_e32 v1, 7, v0
	v_bfe_u32 v7, v0, 3, 4
	v_clz_i32_u32_e32 v5, v1
	s_delay_alu instid0(VALU_DEP_2) | instskip(NEXT) | instid1(VALU_DEP_2)
	v_cmp_eq_u32_e32 vcc_lo, 0, v7
	v_min_u32_e32 v5, 32, v5
	s_delay_alu instid0(VALU_DEP_1) | instskip(NEXT) | instid1(VALU_DEP_1)
	v_subrev_nc_u32_e32 v6, 28, v5
	v_dual_lshlrev_b32 v0, v6, v0 :: v_dual_sub_nc_u32 v5, 29, v5
	s_delay_alu instid0(VALU_DEP_1) | instskip(NEXT) | instid1(VALU_DEP_2)
	v_and_b32_e32 v0, 7, v0
	v_dual_cndmask_b32 v5, v7, v5 :: v_dual_lshlrev_b32 v4, 24, v4
	s_delay_alu instid0(VALU_DEP_2) | instskip(NEXT) | instid1(VALU_DEP_2)
	v_cndmask_b32_e32 v0, v1, v0, vcc_lo
	v_and_b32_e32 v1, 0x80000000, v4
	s_delay_alu instid0(VALU_DEP_3) | instskip(NEXT) | instid1(VALU_DEP_3)
	v_lshl_add_u32 v4, v5, 23, 0x3b800000
	v_lshlrev_b32_e32 v0, 20, v0
	s_delay_alu instid0(VALU_DEP_1) | instskip(NEXT) | instid1(VALU_DEP_1)
	v_or3_b32 v0, v1, v4, v0
	v_trunc_f32_e32 v0, v0
	s_delay_alu instid0(VALU_DEP_1) | instskip(NEXT) | instid1(VALU_DEP_1)
	v_mul_f32_e64 v1, 0x2f800000, |v0|
	v_floor_f32_e32 v1, v1
	s_delay_alu instid0(VALU_DEP_1) | instskip(SKIP_2) | instid1(VALU_DEP_3)
	v_fma_f32 v4, 0xcf800000, v1, |v0|
	v_ashrrev_i32_e32 v0, 31, v0
	v_cvt_u32_f32_e32 v5, v1
	v_cvt_u32_f32_e32 v4, v4
	s_delay_alu instid0(VALU_DEP_2) | instskip(NEXT) | instid1(VALU_DEP_2)
	v_dual_mov_b32 v1, v0 :: v_dual_bitop2_b32 v5, v5, v0 bitop3:0x14
	v_xor_b32_e32 v4, v4, v0
	s_delay_alu instid0(VALU_DEP_1)
	v_sub_nc_u64_e32 v[0:1], v[4:5], v[0:1]
.LBB70_1265:
	s_or_b32 exec_lo, exec_lo, s26
.LBB70_1266:
	s_mov_b32 s26, -1
.LBB70_1267:
	s_branch .LBB70_1298
.LBB70_1268:
	s_cmp_gt_i32 s23, 22
	s_cbranch_scc0 .LBB70_1276
; %bb.1269:
	s_cmp_lt_i32 s23, 24
	s_cbranch_scc1 .LBB70_1279
; %bb.1270:
	s_cmp_gt_i32 s23, 24
	s_cbranch_scc0 .LBB70_1280
; %bb.1271:
	global_load_u8 v4, v[2:3], off
	s_mov_b32 s26, 0
	s_mov_b32 s25, exec_lo
	s_wait_loadcnt 0x0
	v_cmpx_lt_i16_e32 0x7f, v4
	s_xor_b32 s25, exec_lo, s25
	s_cbranch_execz .LBB70_1292
; %bb.1272:
	v_cmp_ne_u16_e32 vcc_lo, 0x80, v4
	s_and_b32 s26, vcc_lo, exec_lo
	s_and_not1_saveexec_b32 s25, s25
	s_cbranch_execnz .LBB70_1293
.LBB70_1273:
	s_or_b32 exec_lo, exec_lo, s25
	v_mov_b64_e32 v[0:1], 0
	s_and_saveexec_b32 s25, s26
	s_cbranch_execz .LBB70_1275
.LBB70_1274:
	v_and_b32_e32 v0, 0xffff, v4
	s_delay_alu instid0(VALU_DEP_1) | instskip(SKIP_1) | instid1(VALU_DEP_2)
	v_and_b32_e32 v1, 3, v0
	v_bfe_u32 v7, v0, 2, 5
	v_clz_i32_u32_e32 v5, v1
	s_delay_alu instid0(VALU_DEP_2) | instskip(NEXT) | instid1(VALU_DEP_2)
	v_cmp_eq_u32_e32 vcc_lo, 0, v7
	v_min_u32_e32 v5, 32, v5
	s_delay_alu instid0(VALU_DEP_1) | instskip(NEXT) | instid1(VALU_DEP_1)
	v_subrev_nc_u32_e32 v6, 29, v5
	v_dual_lshlrev_b32 v0, v6, v0 :: v_dual_sub_nc_u32 v5, 30, v5
	s_delay_alu instid0(VALU_DEP_1) | instskip(NEXT) | instid1(VALU_DEP_2)
	v_and_b32_e32 v0, 3, v0
	v_dual_cndmask_b32 v5, v7, v5 :: v_dual_lshlrev_b32 v4, 24, v4
	s_delay_alu instid0(VALU_DEP_2) | instskip(NEXT) | instid1(VALU_DEP_2)
	v_cndmask_b32_e32 v0, v1, v0, vcc_lo
	v_and_b32_e32 v1, 0x80000000, v4
	s_delay_alu instid0(VALU_DEP_3) | instskip(NEXT) | instid1(VALU_DEP_3)
	v_lshl_add_u32 v4, v5, 23, 0x37800000
	v_lshlrev_b32_e32 v0, 21, v0
	s_delay_alu instid0(VALU_DEP_1) | instskip(NEXT) | instid1(VALU_DEP_1)
	v_or3_b32 v0, v1, v4, v0
	v_trunc_f32_e32 v0, v0
	s_delay_alu instid0(VALU_DEP_1) | instskip(NEXT) | instid1(VALU_DEP_1)
	v_mul_f32_e64 v1, 0x2f800000, |v0|
	v_floor_f32_e32 v1, v1
	s_delay_alu instid0(VALU_DEP_1) | instskip(SKIP_2) | instid1(VALU_DEP_3)
	v_fma_f32 v4, 0xcf800000, v1, |v0|
	v_ashrrev_i32_e32 v0, 31, v0
	v_cvt_u32_f32_e32 v5, v1
	v_cvt_u32_f32_e32 v4, v4
	s_delay_alu instid0(VALU_DEP_2) | instskip(NEXT) | instid1(VALU_DEP_2)
	v_dual_mov_b32 v1, v0 :: v_dual_bitop2_b32 v5, v5, v0 bitop3:0x14
	v_xor_b32_e32 v4, v4, v0
	s_delay_alu instid0(VALU_DEP_1)
	v_sub_nc_u64_e32 v[0:1], v[4:5], v[0:1]
.LBB70_1275:
	s_or_b32 exec_lo, exec_lo, s25
	s_mov_b32 s25, 0
	s_branch .LBB70_1281
.LBB70_1276:
	s_mov_b32 s25, -1
                                        ; implicit-def: $vgpr0_vgpr1
	s_branch .LBB70_1287
.LBB70_1277:
	s_and_not1_saveexec_b32 s26, s26
	s_cbranch_execz .LBB70_1263
.LBB70_1278:
	v_cmp_ne_u16_e32 vcc_lo, 0, v4
	s_and_not1_b32 s27, s27, exec_lo
	s_and_b32 s28, vcc_lo, exec_lo
	s_delay_alu instid0(SALU_CYCLE_1)
	s_or_b32 s27, s27, s28
	s_or_b32 exec_lo, exec_lo, s26
	v_mov_b64_e32 v[0:1], 0
	s_and_saveexec_b32 s26, s27
	s_cbranch_execnz .LBB70_1264
	s_branch .LBB70_1265
.LBB70_1279:
	s_mov_b32 s25, -1
                                        ; implicit-def: $vgpr0_vgpr1
	s_branch .LBB70_1284
.LBB70_1280:
	s_mov_b32 s25, -1
                                        ; implicit-def: $vgpr0_vgpr1
.LBB70_1281:
	s_delay_alu instid0(SALU_CYCLE_1)
	s_and_b32 vcc_lo, exec_lo, s25
	s_cbranch_vccz .LBB70_1283
; %bb.1282:
	s_wait_loadcnt 0x0
	global_load_u8 v0, v[2:3], off
	s_wait_loadcnt 0x0
	v_lshlrev_b32_e32 v0, 24, v0
	s_delay_alu instid0(VALU_DEP_1) | instskip(NEXT) | instid1(VALU_DEP_1)
	v_and_b32_e32 v1, 0x7f000000, v0
	v_clz_i32_u32_e32 v4, v1
	v_cmp_ne_u32_e32 vcc_lo, 0, v1
	v_add_nc_u32_e32 v6, 0x1000000, v1
	s_delay_alu instid0(VALU_DEP_3) | instskip(NEXT) | instid1(VALU_DEP_1)
	v_min_u32_e32 v4, 32, v4
	v_sub_nc_u32_e64 v4, v4, 4 clamp
	s_delay_alu instid0(VALU_DEP_1) | instskip(NEXT) | instid1(VALU_DEP_1)
	v_dual_lshlrev_b32 v5, v4, v1 :: v_dual_lshlrev_b32 v4, 23, v4
	v_lshrrev_b32_e32 v5, 4, v5
	s_delay_alu instid0(VALU_DEP_1) | instskip(NEXT) | instid1(VALU_DEP_1)
	v_dual_sub_nc_u32 v4, v5, v4 :: v_dual_ashrrev_i32 v5, 8, v6
	v_add_nc_u32_e32 v4, 0x3c000000, v4
	s_delay_alu instid0(VALU_DEP_1) | instskip(NEXT) | instid1(VALU_DEP_1)
	v_and_or_b32 v4, 0x7f800000, v5, v4
	v_cndmask_b32_e32 v1, 0, v4, vcc_lo
	s_delay_alu instid0(VALU_DEP_1) | instskip(NEXT) | instid1(VALU_DEP_1)
	v_and_or_b32 v0, 0x80000000, v0, v1
	v_trunc_f32_e32 v0, v0
	s_delay_alu instid0(VALU_DEP_1) | instskip(NEXT) | instid1(VALU_DEP_1)
	v_mul_f32_e64 v1, 0x2f800000, |v0|
	v_floor_f32_e32 v1, v1
	s_delay_alu instid0(VALU_DEP_1) | instskip(SKIP_2) | instid1(VALU_DEP_3)
	v_fma_f32 v4, 0xcf800000, v1, |v0|
	v_ashrrev_i32_e32 v0, 31, v0
	v_cvt_u32_f32_e32 v5, v1
	v_cvt_u32_f32_e32 v4, v4
	s_delay_alu instid0(VALU_DEP_2) | instskip(NEXT) | instid1(VALU_DEP_2)
	v_dual_mov_b32 v1, v0 :: v_dual_bitop2_b32 v5, v5, v0 bitop3:0x14
	v_xor_b32_e32 v4, v4, v0
	s_delay_alu instid0(VALU_DEP_1)
	v_sub_nc_u64_e32 v[0:1], v[4:5], v[0:1]
.LBB70_1283:
	s_mov_b32 s25, 0
.LBB70_1284:
	s_delay_alu instid0(SALU_CYCLE_1)
	s_and_not1_b32 vcc_lo, exec_lo, s25
	s_cbranch_vccnz .LBB70_1286
; %bb.1285:
	s_wait_loadcnt 0x0
	global_load_u8 v0, v[2:3], off
	s_wait_loadcnt 0x0
	v_lshlrev_b32_e32 v1, 25, v0
	v_lshlrev_b16 v0, 8, v0
	s_delay_alu instid0(VALU_DEP_1) | instskip(SKIP_1) | instid1(VALU_DEP_2)
	v_and_or_b32 v5, 0x7f00, v0, 0.5
	v_bfe_i32 v0, v0, 0, 16
	v_add_f32_e32 v5, -0.5, v5
	v_lshrrev_b32_e32 v4, 4, v1
	v_cmp_gt_u32_e32 vcc_lo, 0x8000000, v1
	s_delay_alu instid0(VALU_DEP_2) | instskip(NEXT) | instid1(VALU_DEP_1)
	v_or_b32_e32 v4, 0x70000000, v4
	v_mul_f32_e32 v4, 0x7800000, v4
	s_delay_alu instid0(VALU_DEP_1) | instskip(NEXT) | instid1(VALU_DEP_1)
	v_cndmask_b32_e32 v1, v4, v5, vcc_lo
	v_and_or_b32 v0, 0x80000000, v0, v1
	s_delay_alu instid0(VALU_DEP_1) | instskip(NEXT) | instid1(VALU_DEP_1)
	v_trunc_f32_e32 v0, v0
	v_mul_f32_e64 v1, 0x2f800000, |v0|
	s_delay_alu instid0(VALU_DEP_1) | instskip(NEXT) | instid1(VALU_DEP_1)
	v_floor_f32_e32 v1, v1
	v_fma_f32 v4, 0xcf800000, v1, |v0|
	v_ashrrev_i32_e32 v0, 31, v0
	v_cvt_u32_f32_e32 v5, v1
	s_delay_alu instid0(VALU_DEP_3) | instskip(NEXT) | instid1(VALU_DEP_2)
	v_cvt_u32_f32_e32 v4, v4
	v_dual_mov_b32 v1, v0 :: v_dual_bitop2_b32 v5, v5, v0 bitop3:0x14
	s_delay_alu instid0(VALU_DEP_2) | instskip(NEXT) | instid1(VALU_DEP_1)
	v_xor_b32_e32 v4, v4, v0
	v_sub_nc_u64_e32 v[0:1], v[4:5], v[0:1]
.LBB70_1286:
	s_mov_b32 s25, 0
	s_mov_b32 s26, -1
.LBB70_1287:
	s_and_not1_b32 vcc_lo, exec_lo, s25
	s_mov_b32 s25, 0
	s_cbranch_vccnz .LBB70_1298
; %bb.1288:
	s_cmp_gt_i32 s23, 14
	s_cbranch_scc0 .LBB70_1291
; %bb.1289:
	s_cmp_eq_u32 s23, 15
	s_cbranch_scc0 .LBB70_1294
; %bb.1290:
	s_wait_loadcnt 0x0
	global_load_u16 v0, v[2:3], off
	s_mov_b32 s24, 0
	s_mov_b32 s26, -1
	s_wait_loadcnt 0x0
	v_lshlrev_b32_e32 v0, 16, v0
	s_delay_alu instid0(VALU_DEP_1) | instskip(NEXT) | instid1(VALU_DEP_1)
	v_trunc_f32_e32 v0, v0
	v_mul_f32_e64 v1, 0x2f800000, |v0|
	s_delay_alu instid0(VALU_DEP_1) | instskip(NEXT) | instid1(VALU_DEP_1)
	v_floor_f32_e32 v1, v1
	v_fma_f32 v4, 0xcf800000, v1, |v0|
	v_ashrrev_i32_e32 v0, 31, v0
	v_cvt_u32_f32_e32 v5, v1
	s_delay_alu instid0(VALU_DEP_3) | instskip(NEXT) | instid1(VALU_DEP_2)
	v_cvt_u32_f32_e32 v4, v4
	v_dual_mov_b32 v1, v0 :: v_dual_bitop2_b32 v5, v5, v0 bitop3:0x14
	s_delay_alu instid0(VALU_DEP_2) | instskip(NEXT) | instid1(VALU_DEP_1)
	v_xor_b32_e32 v4, v4, v0
	v_sub_nc_u64_e32 v[0:1], v[4:5], v[0:1]
	s_branch .LBB70_1296
.LBB70_1291:
	s_mov_b32 s25, -1
	s_branch .LBB70_1295
.LBB70_1292:
	s_and_not1_saveexec_b32 s25, s25
	s_cbranch_execz .LBB70_1273
.LBB70_1293:
	v_cmp_ne_u16_e32 vcc_lo, 0, v4
	s_and_not1_b32 s26, s26, exec_lo
	s_and_b32 s27, vcc_lo, exec_lo
	s_delay_alu instid0(SALU_CYCLE_1)
	s_or_b32 s26, s26, s27
	s_or_b32 exec_lo, exec_lo, s25
	v_mov_b64_e32 v[0:1], 0
	s_and_saveexec_b32 s25, s26
	s_cbranch_execnz .LBB70_1274
	s_branch .LBB70_1275
.LBB70_1294:
	s_mov_b32 s24, -1
.LBB70_1295:
                                        ; implicit-def: $vgpr0_vgpr1
.LBB70_1296:
	s_and_b32 vcc_lo, exec_lo, s25
	s_mov_b32 s25, 0
	s_cbranch_vccz .LBB70_1298
; %bb.1297:
	s_cmp_lg_u32 s23, 11
	s_mov_b32 s25, -1
	s_cselect_b32 s23, -1, 0
	s_and_not1_b32 s24, s24, exec_lo
	s_and_b32 s23, s23, exec_lo
	s_delay_alu instid0(SALU_CYCLE_1)
	s_or_b32 s24, s24, s23
.LBB70_1298:
	s_mov_b32 s27, 0
.LBB70_1299:
	s_and_not1_b32 s21, s21, exec_lo
	s_and_b32 s24, s24, exec_lo
	s_and_b32 s23, s26, exec_lo
	;; [unrolled: 1-line block ×4, first 2 shown]
	s_or_b32 s21, s21, s24
	s_wait_xcnt 0x0
	s_or_b32 exec_lo, exec_lo, s22
	s_and_saveexec_b32 s22, s21
	s_cbranch_execz .LBB70_1231
.LBB70_1300:
	s_or_b32 s19, s19, exec_lo
	s_and_not1_b32 s25, s25, exec_lo
	s_trap 2
	s_or_b32 exec_lo, exec_lo, s22
	s_and_saveexec_b32 s21, s25
	s_delay_alu instid0(SALU_CYCLE_1)
	s_xor_b32 s21, exec_lo, s21
	s_cbranch_execnz .LBB70_1232
.LBB70_1301:
	s_or_b32 exec_lo, exec_lo, s21
	s_and_saveexec_b32 s21, s26
	s_cbranch_execz .LBB70_1347
.LBB70_1302:
	s_sext_i32_i16 s22, s0
	s_delay_alu instid0(SALU_CYCLE_1)
	s_cmp_lt_i32 s22, 5
	s_cbranch_scc1 .LBB70_1307
; %bb.1303:
	s_cmp_lt_i32 s22, 8
	s_cbranch_scc1 .LBB70_1308
; %bb.1304:
	;; [unrolled: 3-line block ×3, first 2 shown]
	s_cmp_gt_i32 s22, 9
	s_cbranch_scc0 .LBB70_1310
; %bb.1306:
	s_wait_loadcnt 0x0
	global_load_b64 v[0:1], v[2:3], off
	s_mov_b32 s22, 0
	s_wait_loadcnt 0x0
	v_trunc_f64_e32 v[0:1], v[0:1]
	s_delay_alu instid0(VALU_DEP_1) | instskip(NEXT) | instid1(VALU_DEP_1)
	v_ldexp_f64 v[4:5], v[0:1], 0xffffffe0
	v_floor_f64_e32 v[4:5], v[4:5]
	s_delay_alu instid0(VALU_DEP_1) | instskip(SKIP_1) | instid1(VALU_DEP_2)
	v_fmamk_f64 v[6:7], v[4:5], 0xc1f00000, v[0:1]
	v_cvt_i32_f64_e32 v1, v[4:5]
	v_cvt_u32_f64_e32 v0, v[6:7]
	s_branch .LBB70_1311
.LBB70_1307:
                                        ; implicit-def: $vgpr0_vgpr1
	s_branch .LBB70_1328
.LBB70_1308:
                                        ; implicit-def: $vgpr0_vgpr1
	s_branch .LBB70_1317
.LBB70_1309:
	s_mov_b32 s22, -1
                                        ; implicit-def: $vgpr0_vgpr1
	s_branch .LBB70_1314
.LBB70_1310:
	s_mov_b32 s22, -1
                                        ; implicit-def: $vgpr0_vgpr1
.LBB70_1311:
	s_delay_alu instid0(SALU_CYCLE_1)
	s_and_not1_b32 vcc_lo, exec_lo, s22
	s_cbranch_vccnz .LBB70_1313
; %bb.1312:
	s_wait_loadcnt 0x0
	global_load_b32 v0, v[2:3], off
	s_wait_loadcnt 0x0
	v_trunc_f32_e32 v0, v0
	s_delay_alu instid0(VALU_DEP_1) | instskip(NEXT) | instid1(VALU_DEP_1)
	v_mul_f32_e64 v1, 0x2f800000, |v0|
	v_floor_f32_e32 v1, v1
	s_delay_alu instid0(VALU_DEP_1) | instskip(SKIP_2) | instid1(VALU_DEP_3)
	v_fma_f32 v4, 0xcf800000, v1, |v0|
	v_ashrrev_i32_e32 v0, 31, v0
	v_cvt_u32_f32_e32 v5, v1
	v_cvt_u32_f32_e32 v4, v4
	s_delay_alu instid0(VALU_DEP_2) | instskip(NEXT) | instid1(VALU_DEP_2)
	v_dual_mov_b32 v1, v0 :: v_dual_bitop2_b32 v5, v5, v0 bitop3:0x14
	v_xor_b32_e32 v4, v4, v0
	s_delay_alu instid0(VALU_DEP_1)
	v_sub_nc_u64_e32 v[0:1], v[4:5], v[0:1]
.LBB70_1313:
	s_mov_b32 s22, 0
.LBB70_1314:
	s_delay_alu instid0(SALU_CYCLE_1)
	s_and_not1_b32 vcc_lo, exec_lo, s22
	s_cbranch_vccnz .LBB70_1316
; %bb.1315:
	s_wait_loadcnt 0x0
	global_load_b32 v0, v[2:3], off
	s_wait_loadcnt 0x0
	v_cvt_f32_f16_e32 v0, v0
	s_delay_alu instid0(VALU_DEP_1) | instskip(NEXT) | instid1(VALU_DEP_1)
	v_cvt_i32_f32_e32 v0, v0
	v_ashrrev_i32_e32 v1, 31, v0
.LBB70_1316:
	s_cbranch_execnz .LBB70_1327
.LBB70_1317:
	s_sext_i32_i16 s22, s0
	s_delay_alu instid0(SALU_CYCLE_1)
	s_cmp_lt_i32 s22, 6
	s_cbranch_scc1 .LBB70_1320
; %bb.1318:
	s_cmp_gt_i32 s22, 6
	s_cbranch_scc0 .LBB70_1321
; %bb.1319:
	s_wait_loadcnt 0x0
	global_load_b64 v[0:1], v[2:3], off
	s_mov_b32 s22, 0
	s_wait_loadcnt 0x0
	v_trunc_f64_e32 v[0:1], v[0:1]
	s_delay_alu instid0(VALU_DEP_1) | instskip(NEXT) | instid1(VALU_DEP_1)
	v_ldexp_f64 v[4:5], v[0:1], 0xffffffe0
	v_floor_f64_e32 v[4:5], v[4:5]
	s_delay_alu instid0(VALU_DEP_1) | instskip(SKIP_1) | instid1(VALU_DEP_2)
	v_fmamk_f64 v[6:7], v[4:5], 0xc1f00000, v[0:1]
	v_cvt_i32_f64_e32 v1, v[4:5]
	v_cvt_u32_f64_e32 v0, v[6:7]
	s_branch .LBB70_1322
.LBB70_1320:
	s_mov_b32 s22, -1
                                        ; implicit-def: $vgpr0_vgpr1
	s_branch .LBB70_1325
.LBB70_1321:
	s_mov_b32 s22, -1
                                        ; implicit-def: $vgpr0_vgpr1
.LBB70_1322:
	s_delay_alu instid0(SALU_CYCLE_1)
	s_and_not1_b32 vcc_lo, exec_lo, s22
	s_cbranch_vccnz .LBB70_1324
; %bb.1323:
	s_wait_loadcnt 0x0
	global_load_b32 v0, v[2:3], off
	s_wait_loadcnt 0x0
	v_trunc_f32_e32 v0, v0
	s_delay_alu instid0(VALU_DEP_1) | instskip(NEXT) | instid1(VALU_DEP_1)
	v_mul_f32_e64 v1, 0x2f800000, |v0|
	v_floor_f32_e32 v1, v1
	s_delay_alu instid0(VALU_DEP_1) | instskip(SKIP_2) | instid1(VALU_DEP_3)
	v_fma_f32 v4, 0xcf800000, v1, |v0|
	v_ashrrev_i32_e32 v0, 31, v0
	v_cvt_u32_f32_e32 v5, v1
	v_cvt_u32_f32_e32 v4, v4
	s_delay_alu instid0(VALU_DEP_2) | instskip(NEXT) | instid1(VALU_DEP_2)
	v_dual_mov_b32 v1, v0 :: v_dual_bitop2_b32 v5, v5, v0 bitop3:0x14
	v_xor_b32_e32 v4, v4, v0
	s_delay_alu instid0(VALU_DEP_1)
	v_sub_nc_u64_e32 v[0:1], v[4:5], v[0:1]
.LBB70_1324:
	s_mov_b32 s22, 0
.LBB70_1325:
	s_delay_alu instid0(SALU_CYCLE_1)
	s_and_not1_b32 vcc_lo, exec_lo, s22
	s_cbranch_vccnz .LBB70_1327
; %bb.1326:
	s_wait_loadcnt 0x0
	global_load_u16 v0, v[2:3], off
	s_wait_loadcnt 0x0
	v_cvt_f32_f16_e32 v0, v0
	s_delay_alu instid0(VALU_DEP_1) | instskip(NEXT) | instid1(VALU_DEP_1)
	v_cvt_i32_f32_e32 v0, v0
	v_ashrrev_i32_e32 v1, 31, v0
.LBB70_1327:
	s_cbranch_execnz .LBB70_1346
.LBB70_1328:
	s_sext_i32_i16 s22, s0
	s_delay_alu instid0(SALU_CYCLE_1)
	s_cmp_lt_i32 s22, 2
	s_cbranch_scc1 .LBB70_1332
; %bb.1329:
	s_cmp_lt_i32 s22, 3
	s_cbranch_scc1 .LBB70_1333
; %bb.1330:
	s_cmp_gt_i32 s22, 3
	s_cbranch_scc0 .LBB70_1334
; %bb.1331:
	s_wait_loadcnt 0x0
	global_load_b64 v[0:1], v[2:3], off
	s_mov_b32 s22, 0
	s_branch .LBB70_1335
.LBB70_1332:
                                        ; implicit-def: $vgpr0_vgpr1
	s_branch .LBB70_1341
.LBB70_1333:
	s_mov_b32 s22, -1
                                        ; implicit-def: $vgpr0_vgpr1
	s_branch .LBB70_1338
.LBB70_1334:
	s_mov_b32 s22, -1
                                        ; implicit-def: $vgpr0_vgpr1
.LBB70_1335:
	s_delay_alu instid0(SALU_CYCLE_1)
	s_and_not1_b32 vcc_lo, exec_lo, s22
	s_cbranch_vccnz .LBB70_1337
; %bb.1336:
	s_wait_loadcnt 0x0
	global_load_b32 v0, v[2:3], off
	s_wait_loadcnt 0x0
	v_ashrrev_i32_e32 v1, 31, v0
.LBB70_1337:
	s_mov_b32 s22, 0
.LBB70_1338:
	s_delay_alu instid0(SALU_CYCLE_1)
	s_and_not1_b32 vcc_lo, exec_lo, s22
	s_cbranch_vccnz .LBB70_1340
; %bb.1339:
	s_wait_loadcnt 0x0
	global_load_u16 v0, v[2:3], off
	s_wait_loadcnt 0x0
	v_bfe_i32 v0, v0, 0, 16
	s_delay_alu instid0(VALU_DEP_1)
	v_ashrrev_i32_e32 v1, 31, v0
.LBB70_1340:
	s_cbranch_execnz .LBB70_1346
.LBB70_1341:
	s_sext_i32_i16 s0, s0
	s_delay_alu instid0(SALU_CYCLE_1)
	s_cmp_gt_i32 s0, 0
	s_mov_b32 s0, 0
	s_cbranch_scc0 .LBB70_1343
; %bb.1342:
	s_wait_loadcnt 0x0
	global_load_i8 v0, v[2:3], off
	s_wait_loadcnt 0x0
	v_bfe_i32 v0, v0, 0, 16
	s_delay_alu instid0(VALU_DEP_1)
	v_ashrrev_i32_e32 v1, 31, v0
	s_branch .LBB70_1344
.LBB70_1343:
	s_mov_b32 s0, -1
                                        ; implicit-def: $vgpr0_vgpr1
.LBB70_1344:
	s_delay_alu instid0(SALU_CYCLE_1)
	s_and_not1_b32 vcc_lo, exec_lo, s0
	s_cbranch_vccnz .LBB70_1346
; %bb.1345:
	s_wait_loadcnt 0x0
	global_load_u8 v0, v[2:3], off
	s_mov_b32 s0, 0
	s_delay_alu instid0(SALU_CYCLE_1)
	v_mov_b32_e32 v1, s0
	s_wait_loadcnt 0x0
	v_and_b32_e32 v0, 0xffff, v0
.LBB70_1346:
	s_or_b32 s23, s23, exec_lo
.LBB70_1347:
	s_wait_xcnt 0x0
	s_or_b32 exec_lo, exec_lo, s21
	s_mov_b32 s22, 0
	s_mov_b32 s21, 0
	;; [unrolled: 1-line block ×3, first 2 shown]
                                        ; implicit-def: $vgpr2_vgpr3
                                        ; implicit-def: $vgpr6_vgpr7
	s_and_saveexec_b32 s0, s23
	s_cbranch_execz .LBB70_1355
; %bb.1348:
	v_mul_lo_u32 v2, v18, s5
	s_and_b32 s21, 0xffff, s1
	s_delay_alu instid0(SALU_CYCLE_1) | instskip(NEXT) | instid1(VALU_DEP_1)
	s_cmp_lt_i32 s21, 11
	v_ashrrev_i32_e32 v3, 31, v2
	s_delay_alu instid0(VALU_DEP_1)
	v_add_nc_u64_e32 v[2:3], s[10:11], v[2:3]
	s_cbranch_scc1 .LBB70_1358
; %bb.1349:
	s_cmp_gt_i32 s21, 25
	s_mov_b32 s23, 0
	s_cbranch_scc0 .LBB70_1359
; %bb.1350:
	s_cmp_gt_i32 s21, 28
	s_cbranch_scc0 .LBB70_1360
; %bb.1351:
	s_cmp_gt_i32 s21, 43
	;; [unrolled: 3-line block ×3, first 2 shown]
	s_cbranch_scc0 .LBB70_1362
; %bb.1353:
	s_cmp_eq_u32 s21, 46
	s_mov_b32 s25, 0
	s_cbranch_scc0 .LBB70_1363
; %bb.1354:
	s_wait_loadcnt 0x0
	global_load_b32 v4, v[2:3], off
	s_mov_b32 s24, -1
	s_wait_loadcnt 0x0
	v_lshlrev_b32_e32 v4, 16, v4
	s_delay_alu instid0(VALU_DEP_1) | instskip(NEXT) | instid1(VALU_DEP_1)
	v_trunc_f32_e32 v4, v4
	v_mul_f32_e64 v5, 0x2f800000, |v4|
	s_delay_alu instid0(VALU_DEP_1) | instskip(NEXT) | instid1(VALU_DEP_1)
	v_floor_f32_e32 v5, v5
	v_fma_f32 v6, 0xcf800000, v5, |v4|
	v_ashrrev_i32_e32 v4, 31, v4
	v_cvt_u32_f32_e32 v7, v5
	s_delay_alu instid0(VALU_DEP_3) | instskip(NEXT) | instid1(VALU_DEP_2)
	v_cvt_u32_f32_e32 v6, v6
	v_dual_mov_b32 v5, v4 :: v_dual_bitop2_b32 v7, v7, v4 bitop3:0x14
	s_delay_alu instid0(VALU_DEP_2) | instskip(NEXT) | instid1(VALU_DEP_1)
	v_xor_b32_e32 v6, v6, v4
	v_sub_nc_u64_e32 v[6:7], v[6:7], v[4:5]
	s_branch .LBB70_1365
.LBB70_1355:
	s_or_b32 exec_lo, exec_lo, s0
	s_and_saveexec_b32 s0, s20
	s_cbranch_execnz .LBB70_1424
.LBB70_1356:
	s_or_b32 exec_lo, exec_lo, s0
	s_and_saveexec_b32 s0, s22
	s_delay_alu instid0(SALU_CYCLE_1)
	s_xor_b32 s0, exec_lo, s0
	s_cbranch_execz .LBB70_1425
.LBB70_1357:
	s_wait_loadcnt 0x0
	global_load_u8 v4, v[2:3], off
	s_mov_b32 s20, 0
	s_or_b32 s24, s24, exec_lo
	v_mov_b32_e32 v7, s20
	s_wait_loadcnt 0x0
	v_cmp_ne_u16_e32 vcc_lo, 0, v4
	v_cndmask_b32_e64 v6, 0, 1, vcc_lo
	s_wait_xcnt 0x0
	s_or_b32 exec_lo, exec_lo, s0
	s_and_saveexec_b32 s0, s21
	s_cbranch_execz .LBB70_1471
	s_branch .LBB70_1426
.LBB70_1358:
	s_mov_b32 s21, -1
	s_mov_b32 s23, 0
	s_mov_b32 s22, s20
                                        ; implicit-def: $vgpr6_vgpr7
	s_branch .LBB70_1423
.LBB70_1359:
	s_mov_b32 s22, s20
                                        ; implicit-def: $vgpr6_vgpr7
	s_cbranch_execnz .LBB70_1392
	s_branch .LBB70_1422
.LBB70_1360:
	s_mov_b32 s25, -1
	s_mov_b32 s22, s20
                                        ; implicit-def: $vgpr6_vgpr7
	s_branch .LBB70_1375
.LBB70_1361:
	s_mov_b32 s25, -1
	s_mov_b32 s22, s20
                                        ; implicit-def: $vgpr6_vgpr7
	s_branch .LBB70_1370
.LBB70_1362:
	s_mov_b32 s25, -1
	s_mov_b32 s22, s20
	s_branch .LBB70_1364
.LBB70_1363:
	s_mov_b32 s22, -1
.LBB70_1364:
                                        ; implicit-def: $vgpr6_vgpr7
.LBB70_1365:
	s_and_b32 vcc_lo, exec_lo, s25
	s_cbranch_vccz .LBB70_1369
; %bb.1366:
	s_cmp_eq_u32 s21, 44
	s_cbranch_scc0 .LBB70_1368
; %bb.1367:
	global_load_u8 v8, v[2:3], off
	s_mov_b32 s22, 0
	s_mov_b32 s24, -1
	s_wait_loadcnt 0x0
	v_cmp_ne_u32_e32 vcc_lo, 0, v8
	v_lshlrev_b32_e32 v4, 23, v8
	s_delay_alu instid0(VALU_DEP_1) | instskip(NEXT) | instid1(VALU_DEP_1)
	v_trunc_f32_e32 v4, v4
	v_mul_f32_e64 v5, 0x2f800000, |v4|
	s_delay_alu instid0(VALU_DEP_1) | instskip(NEXT) | instid1(VALU_DEP_1)
	v_floor_f32_e32 v5, v5
	v_fma_f32 v6, 0xcf800000, v5, |v4|
	v_ashrrev_i32_e32 v4, 31, v4
	v_cvt_u32_f32_e32 v7, v5
	s_delay_alu instid0(VALU_DEP_3) | instskip(NEXT) | instid1(VALU_DEP_2)
	v_cvt_u32_f32_e32 v6, v6
	v_dual_mov_b32 v5, v4 :: v_dual_bitop2_b32 v7, v7, v4 bitop3:0x14
	s_delay_alu instid0(VALU_DEP_2) | instskip(NEXT) | instid1(VALU_DEP_1)
	v_xor_b32_e32 v6, v6, v4
	v_sub_nc_u64_e32 v[4:5], v[6:7], v[4:5]
	s_delay_alu instid0(VALU_DEP_1)
	v_dual_cndmask_b32 v7, 0, v5 :: v_dual_cndmask_b32 v6, 0, v4
	s_branch .LBB70_1369
.LBB70_1368:
	s_mov_b32 s22, -1
                                        ; implicit-def: $vgpr6_vgpr7
.LBB70_1369:
	s_mov_b32 s25, 0
.LBB70_1370:
	s_delay_alu instid0(SALU_CYCLE_1)
	s_and_b32 vcc_lo, exec_lo, s25
	s_cbranch_vccz .LBB70_1374
; %bb.1371:
	s_cmp_eq_u32 s21, 29
	s_cbranch_scc0 .LBB70_1373
; %bb.1372:
	global_load_b64 v[6:7], v[2:3], off
	s_mov_b32 s22, 0
	s_mov_b32 s24, -1
	s_branch .LBB70_1374
.LBB70_1373:
	s_mov_b32 s22, -1
                                        ; implicit-def: $vgpr6_vgpr7
.LBB70_1374:
	s_mov_b32 s25, 0
.LBB70_1375:
	s_delay_alu instid0(SALU_CYCLE_1)
	s_and_b32 vcc_lo, exec_lo, s25
	s_cbranch_vccz .LBB70_1391
; %bb.1376:
	s_cmp_lt_i32 s21, 27
	s_cbranch_scc1 .LBB70_1379
; %bb.1377:
	s_cmp_gt_i32 s21, 27
	s_cbranch_scc0 .LBB70_1380
; %bb.1378:
	s_wait_loadcnt 0x0
	global_load_b32 v6, v[2:3], off
	v_mov_b32_e32 v7, 0
	s_mov_b32 s24, 0
	s_branch .LBB70_1381
.LBB70_1379:
	s_mov_b32 s24, -1
                                        ; implicit-def: $vgpr6_vgpr7
	s_branch .LBB70_1384
.LBB70_1380:
	s_mov_b32 s24, -1
                                        ; implicit-def: $vgpr6_vgpr7
.LBB70_1381:
	s_delay_alu instid0(SALU_CYCLE_1)
	s_and_not1_b32 vcc_lo, exec_lo, s24
	s_cbranch_vccnz .LBB70_1383
; %bb.1382:
	s_wait_loadcnt 0x0
	global_load_u16 v4, v[2:3], off
	s_mov_b32 s24, 0
	s_delay_alu instid0(SALU_CYCLE_1)
	v_mov_b32_e32 v7, s24
	s_wait_loadcnt 0x0
	v_and_b32_e32 v6, 0xffff, v4
.LBB70_1383:
	s_mov_b32 s24, 0
.LBB70_1384:
	s_delay_alu instid0(SALU_CYCLE_1)
	s_and_not1_b32 vcc_lo, exec_lo, s24
	s_cbranch_vccnz .LBB70_1390
; %bb.1385:
	s_wait_loadcnt 0x0
	global_load_u8 v4, v[2:3], off
	s_mov_b32 s25, 0
	s_mov_b32 s24, exec_lo
	s_wait_loadcnt 0x0
	v_cmpx_lt_i16_e32 0x7f, v4
	s_xor_b32 s24, exec_lo, s24
	s_cbranch_execz .LBB70_1401
; %bb.1386:
	v_cmp_ne_u16_e32 vcc_lo, 0x80, v4
	s_and_b32 s25, vcc_lo, exec_lo
	s_and_not1_saveexec_b32 s24, s24
	s_cbranch_execnz .LBB70_1402
.LBB70_1387:
	s_or_b32 exec_lo, exec_lo, s24
	v_mov_b64_e32 v[6:7], 0
	s_and_saveexec_b32 s24, s25
	s_cbranch_execz .LBB70_1389
.LBB70_1388:
	v_and_b32_e32 v5, 0xffff, v4
	s_delay_alu instid0(VALU_DEP_1) | instskip(SKIP_1) | instid1(VALU_DEP_2)
	v_and_b32_e32 v6, 7, v5
	v_bfe_u32 v9, v5, 3, 4
	v_clz_i32_u32_e32 v7, v6
	s_delay_alu instid0(VALU_DEP_2) | instskip(NEXT) | instid1(VALU_DEP_2)
	v_cmp_eq_u32_e32 vcc_lo, 0, v9
	v_min_u32_e32 v7, 32, v7
	s_delay_alu instid0(VALU_DEP_1) | instskip(NEXT) | instid1(VALU_DEP_1)
	v_subrev_nc_u32_e32 v8, 28, v7
	v_dual_lshlrev_b32 v5, v8, v5 :: v_dual_sub_nc_u32 v7, 29, v7
	s_delay_alu instid0(VALU_DEP_1) | instskip(NEXT) | instid1(VALU_DEP_1)
	v_dual_lshlrev_b32 v4, 24, v4 :: v_dual_bitop2_b32 v5, 7, v5 bitop3:0x40
	v_dual_cndmask_b32 v7, v9, v7, vcc_lo :: v_dual_cndmask_b32 v5, v6, v5, vcc_lo
	s_delay_alu instid0(VALU_DEP_2) | instskip(NEXT) | instid1(VALU_DEP_2)
	v_and_b32_e32 v4, 0x80000000, v4
	v_lshl_add_u32 v6, v7, 23, 0x3b800000
	s_delay_alu instid0(VALU_DEP_3) | instskip(NEXT) | instid1(VALU_DEP_1)
	v_lshlrev_b32_e32 v5, 20, v5
	v_or3_b32 v4, v4, v6, v5
	s_delay_alu instid0(VALU_DEP_1) | instskip(NEXT) | instid1(VALU_DEP_1)
	v_trunc_f32_e32 v4, v4
	v_mul_f32_e64 v5, 0x2f800000, |v4|
	s_delay_alu instid0(VALU_DEP_1) | instskip(NEXT) | instid1(VALU_DEP_1)
	v_floor_f32_e32 v5, v5
	v_fma_f32 v6, 0xcf800000, v5, |v4|
	v_ashrrev_i32_e32 v4, 31, v4
	v_cvt_u32_f32_e32 v7, v5
	s_delay_alu instid0(VALU_DEP_3) | instskip(NEXT) | instid1(VALU_DEP_2)
	v_cvt_u32_f32_e32 v6, v6
	v_dual_mov_b32 v5, v4 :: v_dual_bitop2_b32 v7, v7, v4 bitop3:0x14
	s_delay_alu instid0(VALU_DEP_2) | instskip(NEXT) | instid1(VALU_DEP_1)
	v_xor_b32_e32 v6, v6, v4
	v_sub_nc_u64_e32 v[6:7], v[6:7], v[4:5]
.LBB70_1389:
	s_or_b32 exec_lo, exec_lo, s24
.LBB70_1390:
	s_mov_b32 s24, -1
.LBB70_1391:
	s_branch .LBB70_1422
.LBB70_1392:
	s_cmp_gt_i32 s21, 22
	s_cbranch_scc0 .LBB70_1400
; %bb.1393:
	s_cmp_lt_i32 s21, 24
	s_cbranch_scc1 .LBB70_1403
; %bb.1394:
	s_cmp_gt_i32 s21, 24
	s_cbranch_scc0 .LBB70_1404
; %bb.1395:
	s_wait_loadcnt 0x0
	global_load_u8 v4, v[2:3], off
	s_mov_b32 s24, 0
	s_mov_b32 s23, exec_lo
	s_wait_loadcnt 0x0
	v_cmpx_lt_i16_e32 0x7f, v4
	s_xor_b32 s23, exec_lo, s23
	s_cbranch_execz .LBB70_1416
; %bb.1396:
	v_cmp_ne_u16_e32 vcc_lo, 0x80, v4
	s_and_b32 s24, vcc_lo, exec_lo
	s_and_not1_saveexec_b32 s23, s23
	s_cbranch_execnz .LBB70_1417
.LBB70_1397:
	s_or_b32 exec_lo, exec_lo, s23
	v_mov_b64_e32 v[6:7], 0
	s_and_saveexec_b32 s23, s24
	s_cbranch_execz .LBB70_1399
.LBB70_1398:
	v_and_b32_e32 v5, 0xffff, v4
	s_delay_alu instid0(VALU_DEP_1) | instskip(SKIP_1) | instid1(VALU_DEP_2)
	v_and_b32_e32 v6, 3, v5
	v_bfe_u32 v9, v5, 2, 5
	v_clz_i32_u32_e32 v7, v6
	s_delay_alu instid0(VALU_DEP_2) | instskip(NEXT) | instid1(VALU_DEP_2)
	v_cmp_eq_u32_e32 vcc_lo, 0, v9
	v_min_u32_e32 v7, 32, v7
	s_delay_alu instid0(VALU_DEP_1) | instskip(NEXT) | instid1(VALU_DEP_1)
	v_subrev_nc_u32_e32 v8, 29, v7
	v_dual_lshlrev_b32 v5, v8, v5 :: v_dual_sub_nc_u32 v7, 30, v7
	s_delay_alu instid0(VALU_DEP_1) | instskip(NEXT) | instid1(VALU_DEP_1)
	v_dual_lshlrev_b32 v4, 24, v4 :: v_dual_bitop2_b32 v5, 3, v5 bitop3:0x40
	v_dual_cndmask_b32 v7, v9, v7, vcc_lo :: v_dual_cndmask_b32 v5, v6, v5, vcc_lo
	s_delay_alu instid0(VALU_DEP_2) | instskip(NEXT) | instid1(VALU_DEP_2)
	v_and_b32_e32 v4, 0x80000000, v4
	v_lshl_add_u32 v6, v7, 23, 0x37800000
	s_delay_alu instid0(VALU_DEP_3) | instskip(NEXT) | instid1(VALU_DEP_1)
	v_lshlrev_b32_e32 v5, 21, v5
	v_or3_b32 v4, v4, v6, v5
	s_delay_alu instid0(VALU_DEP_1) | instskip(NEXT) | instid1(VALU_DEP_1)
	v_trunc_f32_e32 v4, v4
	v_mul_f32_e64 v5, 0x2f800000, |v4|
	s_delay_alu instid0(VALU_DEP_1) | instskip(NEXT) | instid1(VALU_DEP_1)
	v_floor_f32_e32 v5, v5
	v_fma_f32 v6, 0xcf800000, v5, |v4|
	v_ashrrev_i32_e32 v4, 31, v4
	v_cvt_u32_f32_e32 v7, v5
	s_delay_alu instid0(VALU_DEP_3) | instskip(NEXT) | instid1(VALU_DEP_2)
	v_cvt_u32_f32_e32 v6, v6
	v_dual_mov_b32 v5, v4 :: v_dual_bitop2_b32 v7, v7, v4 bitop3:0x14
	s_delay_alu instid0(VALU_DEP_2) | instskip(NEXT) | instid1(VALU_DEP_1)
	v_xor_b32_e32 v6, v6, v4
	v_sub_nc_u64_e32 v[6:7], v[6:7], v[4:5]
.LBB70_1399:
	s_or_b32 exec_lo, exec_lo, s23
	s_mov_b32 s23, 0
	s_branch .LBB70_1405
.LBB70_1400:
	s_mov_b32 s23, -1
                                        ; implicit-def: $vgpr6_vgpr7
	s_branch .LBB70_1411
.LBB70_1401:
	s_and_not1_saveexec_b32 s24, s24
	s_cbranch_execz .LBB70_1387
.LBB70_1402:
	v_cmp_ne_u16_e32 vcc_lo, 0, v4
	s_and_not1_b32 s25, s25, exec_lo
	s_and_b32 s26, vcc_lo, exec_lo
	s_delay_alu instid0(SALU_CYCLE_1)
	s_or_b32 s25, s25, s26
	s_or_b32 exec_lo, exec_lo, s24
	v_mov_b64_e32 v[6:7], 0
	s_and_saveexec_b32 s24, s25
	s_cbranch_execnz .LBB70_1388
	s_branch .LBB70_1389
.LBB70_1403:
	s_mov_b32 s23, -1
                                        ; implicit-def: $vgpr6_vgpr7
	s_branch .LBB70_1408
.LBB70_1404:
	s_mov_b32 s23, -1
                                        ; implicit-def: $vgpr6_vgpr7
.LBB70_1405:
	s_delay_alu instid0(SALU_CYCLE_1)
	s_and_b32 vcc_lo, exec_lo, s23
	s_cbranch_vccz .LBB70_1407
; %bb.1406:
	s_wait_loadcnt 0x0
	global_load_u8 v4, v[2:3], off
	s_wait_loadcnt 0x0
	v_lshlrev_b32_e32 v4, 24, v4
	s_delay_alu instid0(VALU_DEP_1) | instskip(NEXT) | instid1(VALU_DEP_1)
	v_and_b32_e32 v5, 0x7f000000, v4
	v_clz_i32_u32_e32 v6, v5
	v_cmp_ne_u32_e32 vcc_lo, 0, v5
	v_add_nc_u32_e32 v8, 0x1000000, v5
	s_delay_alu instid0(VALU_DEP_3) | instskip(NEXT) | instid1(VALU_DEP_1)
	v_min_u32_e32 v6, 32, v6
	v_sub_nc_u32_e64 v6, v6, 4 clamp
	s_delay_alu instid0(VALU_DEP_1) | instskip(NEXT) | instid1(VALU_DEP_1)
	v_dual_lshlrev_b32 v7, v6, v5 :: v_dual_lshlrev_b32 v6, 23, v6
	v_lshrrev_b32_e32 v7, 4, v7
	s_delay_alu instid0(VALU_DEP_1) | instskip(NEXT) | instid1(VALU_DEP_1)
	v_dual_sub_nc_u32 v6, v7, v6 :: v_dual_ashrrev_i32 v7, 8, v8
	v_add_nc_u32_e32 v6, 0x3c000000, v6
	s_delay_alu instid0(VALU_DEP_1) | instskip(NEXT) | instid1(VALU_DEP_1)
	v_and_or_b32 v6, 0x7f800000, v7, v6
	v_cndmask_b32_e32 v5, 0, v6, vcc_lo
	s_delay_alu instid0(VALU_DEP_1) | instskip(NEXT) | instid1(VALU_DEP_1)
	v_and_or_b32 v4, 0x80000000, v4, v5
	v_trunc_f32_e32 v4, v4
	s_delay_alu instid0(VALU_DEP_1) | instskip(NEXT) | instid1(VALU_DEP_1)
	v_mul_f32_e64 v5, 0x2f800000, |v4|
	v_floor_f32_e32 v5, v5
	s_delay_alu instid0(VALU_DEP_1) | instskip(SKIP_2) | instid1(VALU_DEP_3)
	v_fma_f32 v6, 0xcf800000, v5, |v4|
	v_ashrrev_i32_e32 v4, 31, v4
	v_cvt_u32_f32_e32 v7, v5
	v_cvt_u32_f32_e32 v6, v6
	s_delay_alu instid0(VALU_DEP_2) | instskip(NEXT) | instid1(VALU_DEP_2)
	v_dual_mov_b32 v5, v4 :: v_dual_bitop2_b32 v7, v7, v4 bitop3:0x14
	v_xor_b32_e32 v6, v6, v4
	s_delay_alu instid0(VALU_DEP_1)
	v_sub_nc_u64_e32 v[6:7], v[6:7], v[4:5]
.LBB70_1407:
	s_mov_b32 s23, 0
.LBB70_1408:
	s_delay_alu instid0(SALU_CYCLE_1)
	s_and_not1_b32 vcc_lo, exec_lo, s23
	s_cbranch_vccnz .LBB70_1410
; %bb.1409:
	s_wait_loadcnt 0x0
	global_load_u8 v4, v[2:3], off
	s_wait_loadcnt 0x0
	v_lshlrev_b32_e32 v5, 25, v4
	v_lshlrev_b16 v4, 8, v4
	s_delay_alu instid0(VALU_DEP_1) | instskip(SKIP_1) | instid1(VALU_DEP_2)
	v_and_or_b32 v7, 0x7f00, v4, 0.5
	v_bfe_i32 v4, v4, 0, 16
	v_dual_add_f32 v7, -0.5, v7 :: v_dual_lshrrev_b32 v6, 4, v5
	v_cmp_gt_u32_e32 vcc_lo, 0x8000000, v5
	s_delay_alu instid0(VALU_DEP_2) | instskip(NEXT) | instid1(VALU_DEP_1)
	v_or_b32_e32 v6, 0x70000000, v6
	v_mul_f32_e32 v6, 0x7800000, v6
	s_delay_alu instid0(VALU_DEP_1) | instskip(NEXT) | instid1(VALU_DEP_1)
	v_cndmask_b32_e32 v5, v6, v7, vcc_lo
	v_and_or_b32 v4, 0x80000000, v4, v5
	s_delay_alu instid0(VALU_DEP_1) | instskip(NEXT) | instid1(VALU_DEP_1)
	v_trunc_f32_e32 v4, v4
	v_mul_f32_e64 v5, 0x2f800000, |v4|
	s_delay_alu instid0(VALU_DEP_1) | instskip(NEXT) | instid1(VALU_DEP_1)
	v_floor_f32_e32 v5, v5
	v_fma_f32 v6, 0xcf800000, v5, |v4|
	v_ashrrev_i32_e32 v4, 31, v4
	v_cvt_u32_f32_e32 v7, v5
	s_delay_alu instid0(VALU_DEP_3) | instskip(NEXT) | instid1(VALU_DEP_2)
	v_cvt_u32_f32_e32 v6, v6
	v_dual_mov_b32 v5, v4 :: v_dual_bitop2_b32 v7, v7, v4 bitop3:0x14
	s_delay_alu instid0(VALU_DEP_2) | instskip(NEXT) | instid1(VALU_DEP_1)
	v_xor_b32_e32 v6, v6, v4
	v_sub_nc_u64_e32 v[6:7], v[6:7], v[4:5]
.LBB70_1410:
	s_mov_b32 s23, 0
	s_mov_b32 s24, -1
.LBB70_1411:
	s_and_not1_b32 vcc_lo, exec_lo, s23
	s_mov_b32 s23, 0
	s_cbranch_vccnz .LBB70_1422
; %bb.1412:
	s_cmp_gt_i32 s21, 14
	s_cbranch_scc0 .LBB70_1415
; %bb.1413:
	s_cmp_eq_u32 s21, 15
	s_cbranch_scc0 .LBB70_1418
; %bb.1414:
	s_wait_loadcnt 0x0
	global_load_u16 v4, v[2:3], off
	s_mov_b32 s22, 0
	s_mov_b32 s24, -1
	s_wait_loadcnt 0x0
	v_lshlrev_b32_e32 v4, 16, v4
	s_delay_alu instid0(VALU_DEP_1) | instskip(NEXT) | instid1(VALU_DEP_1)
	v_trunc_f32_e32 v4, v4
	v_mul_f32_e64 v5, 0x2f800000, |v4|
	s_delay_alu instid0(VALU_DEP_1) | instskip(NEXT) | instid1(VALU_DEP_1)
	v_floor_f32_e32 v5, v5
	v_fma_f32 v6, 0xcf800000, v5, |v4|
	v_ashrrev_i32_e32 v4, 31, v4
	v_cvt_u32_f32_e32 v7, v5
	s_delay_alu instid0(VALU_DEP_3) | instskip(NEXT) | instid1(VALU_DEP_2)
	v_cvt_u32_f32_e32 v6, v6
	v_dual_mov_b32 v5, v4 :: v_dual_bitop2_b32 v7, v7, v4 bitop3:0x14
	s_delay_alu instid0(VALU_DEP_2) | instskip(NEXT) | instid1(VALU_DEP_1)
	v_xor_b32_e32 v6, v6, v4
	v_sub_nc_u64_e32 v[6:7], v[6:7], v[4:5]
	s_branch .LBB70_1420
.LBB70_1415:
	s_mov_b32 s23, -1
	s_branch .LBB70_1419
.LBB70_1416:
	s_and_not1_saveexec_b32 s23, s23
	s_cbranch_execz .LBB70_1397
.LBB70_1417:
	v_cmp_ne_u16_e32 vcc_lo, 0, v4
	s_and_not1_b32 s24, s24, exec_lo
	s_and_b32 s25, vcc_lo, exec_lo
	s_delay_alu instid0(SALU_CYCLE_1)
	s_or_b32 s24, s24, s25
	s_or_b32 exec_lo, exec_lo, s23
	v_mov_b64_e32 v[6:7], 0
	s_and_saveexec_b32 s23, s24
	s_cbranch_execnz .LBB70_1398
	s_branch .LBB70_1399
.LBB70_1418:
	s_mov_b32 s22, -1
.LBB70_1419:
                                        ; implicit-def: $vgpr6_vgpr7
.LBB70_1420:
	s_and_b32 vcc_lo, exec_lo, s23
	s_mov_b32 s23, 0
	s_cbranch_vccz .LBB70_1422
; %bb.1421:
	s_cmp_lg_u32 s21, 11
	s_mov_b32 s23, -1
	s_cselect_b32 s21, -1, 0
	s_and_not1_b32 s22, s22, exec_lo
	s_and_b32 s21, s21, exec_lo
	s_delay_alu instid0(SALU_CYCLE_1)
	s_or_b32 s22, s22, s21
.LBB70_1422:
	s_mov_b32 s21, 0
.LBB70_1423:
	s_and_not1_b32 s20, s20, exec_lo
	s_and_b32 s25, s22, exec_lo
	s_and_b32 s24, s24, exec_lo
	;; [unrolled: 1-line block ×4, first 2 shown]
	s_or_b32 s20, s20, s25
	s_wait_xcnt 0x0
	s_or_b32 exec_lo, exec_lo, s0
	s_and_saveexec_b32 s0, s20
	s_cbranch_execz .LBB70_1356
.LBB70_1424:
	s_or_b32 s19, s19, exec_lo
	s_and_not1_b32 s22, s22, exec_lo
	s_trap 2
	s_or_b32 exec_lo, exec_lo, s0
	s_and_saveexec_b32 s0, s22
	s_delay_alu instid0(SALU_CYCLE_1)
	s_xor_b32 s0, exec_lo, s0
	s_cbranch_execnz .LBB70_1357
.LBB70_1425:
	s_or_b32 exec_lo, exec_lo, s0
	s_and_saveexec_b32 s0, s21
	s_cbranch_execz .LBB70_1471
.LBB70_1426:
	s_sext_i32_i16 s20, s1
	s_delay_alu instid0(SALU_CYCLE_1)
	s_cmp_lt_i32 s20, 5
	s_cbranch_scc1 .LBB70_1431
; %bb.1427:
	s_cmp_lt_i32 s20, 8
	s_cbranch_scc1 .LBB70_1432
; %bb.1428:
	;; [unrolled: 3-line block ×3, first 2 shown]
	s_cmp_gt_i32 s20, 9
	s_cbranch_scc0 .LBB70_1434
; %bb.1430:
	s_wait_loadcnt 0x0
	global_load_b64 v[4:5], v[2:3], off
	s_mov_b32 s20, 0
	s_wait_loadcnt 0x0
	v_trunc_f64_e32 v[4:5], v[4:5]
	s_delay_alu instid0(VALU_DEP_1) | instskip(NEXT) | instid1(VALU_DEP_1)
	v_ldexp_f64 v[6:7], v[4:5], 0xffffffe0
	v_floor_f64_e32 v[6:7], v[6:7]
	s_delay_alu instid0(VALU_DEP_1) | instskip(SKIP_1) | instid1(VALU_DEP_2)
	v_fmamk_f64 v[4:5], v[6:7], 0xc1f00000, v[4:5]
	v_cvt_i32_f64_e32 v7, v[6:7]
	v_cvt_u32_f64_e32 v6, v[4:5]
	s_branch .LBB70_1435
.LBB70_1431:
                                        ; implicit-def: $vgpr6_vgpr7
	s_branch .LBB70_1452
.LBB70_1432:
                                        ; implicit-def: $vgpr6_vgpr7
	s_branch .LBB70_1441
.LBB70_1433:
	s_mov_b32 s20, -1
                                        ; implicit-def: $vgpr6_vgpr7
	s_branch .LBB70_1438
.LBB70_1434:
	s_mov_b32 s20, -1
                                        ; implicit-def: $vgpr6_vgpr7
.LBB70_1435:
	s_delay_alu instid0(SALU_CYCLE_1)
	s_and_not1_b32 vcc_lo, exec_lo, s20
	s_cbranch_vccnz .LBB70_1437
; %bb.1436:
	s_wait_loadcnt 0x0
	global_load_b32 v4, v[2:3], off
	s_wait_loadcnt 0x0
	v_trunc_f32_e32 v4, v4
	s_delay_alu instid0(VALU_DEP_1) | instskip(NEXT) | instid1(VALU_DEP_1)
	v_mul_f32_e64 v5, 0x2f800000, |v4|
	v_floor_f32_e32 v5, v5
	s_delay_alu instid0(VALU_DEP_1) | instskip(SKIP_2) | instid1(VALU_DEP_3)
	v_fma_f32 v6, 0xcf800000, v5, |v4|
	v_ashrrev_i32_e32 v4, 31, v4
	v_cvt_u32_f32_e32 v7, v5
	v_cvt_u32_f32_e32 v6, v6
	s_delay_alu instid0(VALU_DEP_2) | instskip(NEXT) | instid1(VALU_DEP_2)
	v_dual_mov_b32 v5, v4 :: v_dual_bitop2_b32 v7, v7, v4 bitop3:0x14
	v_xor_b32_e32 v6, v6, v4
	s_delay_alu instid0(VALU_DEP_1)
	v_sub_nc_u64_e32 v[6:7], v[6:7], v[4:5]
.LBB70_1437:
	s_mov_b32 s20, 0
.LBB70_1438:
	s_delay_alu instid0(SALU_CYCLE_1)
	s_and_not1_b32 vcc_lo, exec_lo, s20
	s_cbranch_vccnz .LBB70_1440
; %bb.1439:
	s_wait_loadcnt 0x0
	global_load_b32 v4, v[2:3], off
	s_wait_loadcnt 0x0
	v_cvt_f32_f16_e32 v4, v4
	s_delay_alu instid0(VALU_DEP_1) | instskip(NEXT) | instid1(VALU_DEP_1)
	v_cvt_i32_f32_e32 v6, v4
	v_ashrrev_i32_e32 v7, 31, v6
.LBB70_1440:
	s_cbranch_execnz .LBB70_1451
.LBB70_1441:
	s_sext_i32_i16 s20, s1
	s_delay_alu instid0(SALU_CYCLE_1)
	s_cmp_lt_i32 s20, 6
	s_cbranch_scc1 .LBB70_1444
; %bb.1442:
	s_cmp_gt_i32 s20, 6
	s_cbranch_scc0 .LBB70_1445
; %bb.1443:
	s_wait_loadcnt 0x0
	global_load_b64 v[4:5], v[2:3], off
	s_mov_b32 s20, 0
	s_wait_loadcnt 0x0
	v_trunc_f64_e32 v[4:5], v[4:5]
	s_delay_alu instid0(VALU_DEP_1) | instskip(NEXT) | instid1(VALU_DEP_1)
	v_ldexp_f64 v[6:7], v[4:5], 0xffffffe0
	v_floor_f64_e32 v[6:7], v[6:7]
	s_delay_alu instid0(VALU_DEP_1) | instskip(SKIP_1) | instid1(VALU_DEP_2)
	v_fmamk_f64 v[4:5], v[6:7], 0xc1f00000, v[4:5]
	v_cvt_i32_f64_e32 v7, v[6:7]
	v_cvt_u32_f64_e32 v6, v[4:5]
	s_branch .LBB70_1446
.LBB70_1444:
	s_mov_b32 s20, -1
                                        ; implicit-def: $vgpr6_vgpr7
	s_branch .LBB70_1449
.LBB70_1445:
	s_mov_b32 s20, -1
                                        ; implicit-def: $vgpr6_vgpr7
.LBB70_1446:
	s_delay_alu instid0(SALU_CYCLE_1)
	s_and_not1_b32 vcc_lo, exec_lo, s20
	s_cbranch_vccnz .LBB70_1448
; %bb.1447:
	s_wait_loadcnt 0x0
	global_load_b32 v4, v[2:3], off
	s_wait_loadcnt 0x0
	v_trunc_f32_e32 v4, v4
	s_delay_alu instid0(VALU_DEP_1) | instskip(NEXT) | instid1(VALU_DEP_1)
	v_mul_f32_e64 v5, 0x2f800000, |v4|
	v_floor_f32_e32 v5, v5
	s_delay_alu instid0(VALU_DEP_1) | instskip(SKIP_2) | instid1(VALU_DEP_3)
	v_fma_f32 v6, 0xcf800000, v5, |v4|
	v_ashrrev_i32_e32 v4, 31, v4
	v_cvt_u32_f32_e32 v7, v5
	v_cvt_u32_f32_e32 v6, v6
	s_delay_alu instid0(VALU_DEP_2) | instskip(NEXT) | instid1(VALU_DEP_2)
	v_dual_mov_b32 v5, v4 :: v_dual_bitop2_b32 v7, v7, v4 bitop3:0x14
	v_xor_b32_e32 v6, v6, v4
	s_delay_alu instid0(VALU_DEP_1)
	v_sub_nc_u64_e32 v[6:7], v[6:7], v[4:5]
.LBB70_1448:
	s_mov_b32 s20, 0
.LBB70_1449:
	s_delay_alu instid0(SALU_CYCLE_1)
	s_and_not1_b32 vcc_lo, exec_lo, s20
	s_cbranch_vccnz .LBB70_1451
; %bb.1450:
	s_wait_loadcnt 0x0
	global_load_u16 v4, v[2:3], off
	s_wait_loadcnt 0x0
	v_cvt_f32_f16_e32 v4, v4
	s_delay_alu instid0(VALU_DEP_1) | instskip(NEXT) | instid1(VALU_DEP_1)
	v_cvt_i32_f32_e32 v6, v4
	v_ashrrev_i32_e32 v7, 31, v6
.LBB70_1451:
	s_cbranch_execnz .LBB70_1470
.LBB70_1452:
	s_sext_i32_i16 s20, s1
	s_delay_alu instid0(SALU_CYCLE_1)
	s_cmp_lt_i32 s20, 2
	s_cbranch_scc1 .LBB70_1456
; %bb.1453:
	s_cmp_lt_i32 s20, 3
	s_cbranch_scc1 .LBB70_1457
; %bb.1454:
	s_cmp_gt_i32 s20, 3
	s_cbranch_scc0 .LBB70_1458
; %bb.1455:
	s_wait_loadcnt 0x0
	global_load_b64 v[6:7], v[2:3], off
	s_mov_b32 s20, 0
	s_branch .LBB70_1459
.LBB70_1456:
                                        ; implicit-def: $vgpr6_vgpr7
	s_branch .LBB70_1465
.LBB70_1457:
	s_mov_b32 s20, -1
                                        ; implicit-def: $vgpr6_vgpr7
	s_branch .LBB70_1462
.LBB70_1458:
	s_mov_b32 s20, -1
                                        ; implicit-def: $vgpr6_vgpr7
.LBB70_1459:
	s_delay_alu instid0(SALU_CYCLE_1)
	s_and_not1_b32 vcc_lo, exec_lo, s20
	s_cbranch_vccnz .LBB70_1461
; %bb.1460:
	s_wait_loadcnt 0x0
	global_load_b32 v6, v[2:3], off
	s_wait_loadcnt 0x0
	v_ashrrev_i32_e32 v7, 31, v6
.LBB70_1461:
	s_mov_b32 s20, 0
.LBB70_1462:
	s_delay_alu instid0(SALU_CYCLE_1)
	s_and_not1_b32 vcc_lo, exec_lo, s20
	s_cbranch_vccnz .LBB70_1464
; %bb.1463:
	s_wait_loadcnt 0x0
	global_load_u16 v4, v[2:3], off
	s_wait_loadcnt 0x0
	v_bfe_i32 v6, v4, 0, 16
	s_delay_alu instid0(VALU_DEP_1)
	v_ashrrev_i32_e32 v7, 31, v6
.LBB70_1464:
	s_cbranch_execnz .LBB70_1470
.LBB70_1465:
	s_sext_i32_i16 s20, s1
	s_delay_alu instid0(SALU_CYCLE_1)
	s_cmp_gt_i32 s20, 0
	s_mov_b32 s20, 0
	s_cbranch_scc0 .LBB70_1467
; %bb.1466:
	s_wait_loadcnt 0x0
	global_load_i8 v4, v[2:3], off
	s_wait_loadcnt 0x0
	v_bfe_i32 v6, v4, 0, 16
	s_delay_alu instid0(VALU_DEP_1)
	v_ashrrev_i32_e32 v7, 31, v6
	s_branch .LBB70_1468
.LBB70_1467:
	s_mov_b32 s20, -1
                                        ; implicit-def: $vgpr6_vgpr7
.LBB70_1468:
	s_delay_alu instid0(SALU_CYCLE_1)
	s_and_not1_b32 vcc_lo, exec_lo, s20
	s_cbranch_vccnz .LBB70_1470
; %bb.1469:
	global_load_u8 v2, v[2:3], off
	s_mov_b32 s20, 0
	s_wait_loadcnt 0x1
	v_mov_b32_e32 v7, s20
	s_wait_loadcnt 0x0
	v_and_b32_e32 v6, 0xffff, v2
.LBB70_1470:
	s_or_b32 s24, s24, exec_lo
.LBB70_1471:
	s_wait_xcnt 0x0
	s_or_b32 exec_lo, exec_lo, s0
	s_mov_b32 s0, 0
	s_mov_b32 s22, 0
                                        ; implicit-def: $sgpr20
                                        ; implicit-def: $vgpr4_vgpr5
                                        ; implicit-def: $vgpr2_vgpr3
	s_and_saveexec_b32 s21, s24
	s_cbranch_execz .LBB70_1479
; %bb.1472:
	s_wait_loadcnt 0x0
	v_mul_u64_e32 v[0:1], s[6:7], v[0:1]
	s_and_b32 s20, s13, 0xff
	s_delay_alu instid0(SALU_CYCLE_1) | instskip(NEXT) | instid1(VALU_DEP_1)
	s_cmp_lt_i32 s20, 11
	v_mul_u64_e32 v[2:3], v[0:1], v[6:7]
	v_mul_lo_u32 v0, v18, s12
	s_delay_alu instid0(VALU_DEP_1) | instskip(NEXT) | instid1(VALU_DEP_1)
	v_ashrrev_i32_e32 v1, 31, v0
	v_add_nc_u64_e32 v[4:5], s[2:3], v[0:1]
	s_cbranch_scc1 .LBB70_1482
; %bb.1473:
	s_and_b32 s22, 0xffff, s20
	s_mov_b32 s23, -1
	s_cmp_gt_i32 s22, 25
	s_mov_b32 s0, s18
	s_cbranch_scc0 .LBB70_1510
; %bb.1474:
	s_cmp_gt_i32 s22, 28
	s_mov_b32 s0, s18
	s_cbranch_scc0 .LBB70_1494
; %bb.1475:
	;; [unrolled: 4-line block ×4, first 2 shown]
	s_cmp_eq_u32 s22, 46
	s_mov_b32 s0, -1
	s_cbranch_scc0 .LBB70_1483
; %bb.1478:
	s_delay_alu instid0(VALU_DEP_4) | instskip(SKIP_3) | instid1(VALU_DEP_2)
	v_xor_b32_e32 v0, v2, v3
	v_cls_i32_e32 v1, v3
	s_mov_b32 s0, 0
	s_mov_b32 s23, 0
	v_ashrrev_i32_e32 v0, 31, v0
	s_delay_alu instid0(VALU_DEP_1) | instskip(NEXT) | instid1(VALU_DEP_1)
	v_add_nc_u32_e32 v0, 32, v0
	v_add_min_u32_e64 v6, v1, -1, v0
	s_delay_alu instid0(VALU_DEP_1) | instskip(NEXT) | instid1(VALU_DEP_1)
	v_lshlrev_b64_e32 v[0:1], v6, v[2:3]
	v_min_u32_e32 v0, 1, v0
	s_delay_alu instid0(VALU_DEP_1) | instskip(NEXT) | instid1(VALU_DEP_1)
	v_dual_sub_nc_u32 v1, 32, v6 :: v_dual_bitop2_b32 v0, v1, v0 bitop3:0x54
	v_cvt_f32_i32_e32 v0, v0
	s_delay_alu instid0(VALU_DEP_1) | instskip(NEXT) | instid1(VALU_DEP_1)
	v_ldexp_f32 v0, v0, v1
	v_bfe_u32 v1, v0, 16, 1
	s_delay_alu instid0(VALU_DEP_1) | instskip(NEXT) | instid1(VALU_DEP_1)
	v_add3_u32 v0, v0, v1, 0x7fff
	v_lshrrev_b32_e32 v0, 16, v0
	global_store_b32 v[4:5], v0, off
	s_branch .LBB70_1484
.LBB70_1479:
	s_or_b32 exec_lo, exec_lo, s21
	s_and_saveexec_b32 s21, s18
	s_cbranch_execnz .LBB70_1552
.LBB70_1480:
	s_or_b32 exec_lo, exec_lo, s21
	s_and_saveexec_b32 s18, s0
	s_delay_alu instid0(SALU_CYCLE_1)
	s_xor_b32 s0, exec_lo, s18
	s_cbranch_execz .LBB70_1553
.LBB70_1481:
	s_delay_alu instid0(VALU_DEP_4)
	v_cmp_ne_u64_e32 vcc_lo, 0, v[2:3]
	s_wait_loadcnt 0x0
	v_cndmask_b32_e64 v0, 0, 1, vcc_lo
	global_store_b8 v[4:5], v0, off
	s_wait_xcnt 0x0
	s_or_b32 exec_lo, exec_lo, s0
	s_and_saveexec_b32 s0, s22
	s_delay_alu instid0(SALU_CYCLE_1)
	s_xor_b32 s0, exec_lo, s0
	s_cbranch_execz .LBB70_1591
	s_branch .LBB70_1554
.LBB70_1482:
	s_mov_b32 s24, 0
	s_mov_b32 s23, -1
	s_mov_b32 s0, s18
	s_branch .LBB70_1551
.LBB70_1483:
	s_mov_b32 s23, 0
.LBB70_1484:
	s_delay_alu instid0(SALU_CYCLE_1)
	s_and_b32 vcc_lo, exec_lo, s23
	s_cbranch_vccz .LBB70_1489
; %bb.1485:
	s_cmp_eq_u32 s22, 44
	s_mov_b32 s0, -1
	s_cbranch_scc0 .LBB70_1489
; %bb.1486:
	s_wait_xcnt 0x0
	s_delay_alu instid0(VALU_DEP_4) | instskip(SKIP_2) | instid1(VALU_DEP_2)
	v_xor_b32_e32 v0, v2, v3
	v_cls_i32_e32 v1, v3
	s_mov_b32 s23, exec_lo
	v_ashrrev_i32_e32 v0, 31, v0
	s_delay_alu instid0(VALU_DEP_1) | instskip(NEXT) | instid1(VALU_DEP_1)
	v_add_nc_u32_e32 v0, 32, v0
	v_add_min_u32_e64 v6, v1, -1, v0
	s_delay_alu instid0(VALU_DEP_1) | instskip(NEXT) | instid1(VALU_DEP_1)
	v_lshlrev_b64_e32 v[0:1], v6, v[2:3]
	v_min_u32_e32 v0, 1, v0
	s_delay_alu instid0(VALU_DEP_1) | instskip(NEXT) | instid1(VALU_DEP_1)
	v_dual_sub_nc_u32 v1, 32, v6 :: v_dual_bitop2_b32 v0, v1, v0 bitop3:0x54
	v_cvt_f32_i32_e32 v0, v0
	s_delay_alu instid0(VALU_DEP_1) | instskip(SKIP_1) | instid1(VALU_DEP_2)
	v_ldexp_f32 v0, v0, v1
	v_mov_b32_e32 v1, 0xff
	v_bfe_u32 v6, v0, 23, 8
	s_delay_alu instid0(VALU_DEP_1)
	v_cmpx_ne_u32_e32 0xff, v6
	s_cbranch_execz .LBB70_1488
; %bb.1487:
	v_and_b32_e32 v1, 0x400000, v0
	v_and_or_b32 v6, 0x3fffff, v0, v6
	v_lshrrev_b32_e32 v0, 23, v0
	s_delay_alu instid0(VALU_DEP_3) | instskip(NEXT) | instid1(VALU_DEP_3)
	v_cmp_ne_u32_e32 vcc_lo, 0, v1
	v_cmp_ne_u32_e64 s0, 0, v6
	s_and_b32 s0, vcc_lo, s0
	s_delay_alu instid0(SALU_CYCLE_1) | instskip(NEXT) | instid1(VALU_DEP_1)
	v_cndmask_b32_e64 v1, 0, 1, s0
	v_add_nc_u32_e32 v1, v0, v1
.LBB70_1488:
	s_or_b32 exec_lo, exec_lo, s23
	s_mov_b32 s0, 0
	global_store_b8 v[4:5], v1, off
.LBB70_1489:
	s_mov_b32 s23, 0
.LBB70_1490:
	s_delay_alu instid0(SALU_CYCLE_1)
	s_and_b32 vcc_lo, exec_lo, s23
	s_cbranch_vccz .LBB70_1493
; %bb.1491:
	s_cmp_eq_u32 s22, 29
	s_mov_b32 s0, -1
	s_cbranch_scc0 .LBB70_1493
; %bb.1492:
	s_mov_b32 s0, 0
	global_store_b64 v[4:5], v[2:3], off
.LBB70_1493:
	s_mov_b32 s23, 0
.LBB70_1494:
	s_delay_alu instid0(SALU_CYCLE_1)
	s_and_b32 vcc_lo, exec_lo, s23
	s_cbranch_vccz .LBB70_1509
; %bb.1495:
	s_cmp_lt_i32 s22, 27
	s_mov_b32 s23, -1
	s_cbranch_scc1 .LBB70_1501
; %bb.1496:
	s_cmp_gt_i32 s22, 27
	s_cbranch_scc0 .LBB70_1498
; %bb.1497:
	s_mov_b32 s23, 0
	global_store_b32 v[4:5], v2, off
.LBB70_1498:
	s_and_not1_b32 vcc_lo, exec_lo, s23
	s_cbranch_vccnz .LBB70_1500
; %bb.1499:
	global_store_b16 v[4:5], v2, off
.LBB70_1500:
	s_mov_b32 s23, 0
.LBB70_1501:
	s_delay_alu instid0(SALU_CYCLE_1)
	s_and_not1_b32 vcc_lo, exec_lo, s23
	s_cbranch_vccnz .LBB70_1509
; %bb.1502:
	s_wait_xcnt 0x0
	s_delay_alu instid0(VALU_DEP_4) | instskip(SKIP_2) | instid1(VALU_DEP_2)
	v_xor_b32_e32 v0, v2, v3
	v_cls_i32_e32 v1, v3
	s_mov_b32 s23, exec_lo
	v_ashrrev_i32_e32 v0, 31, v0
	s_delay_alu instid0(VALU_DEP_1) | instskip(NEXT) | instid1(VALU_DEP_1)
	v_add_nc_u32_e32 v0, 32, v0
	v_add_min_u32_e64 v6, v1, -1, v0
	s_delay_alu instid0(VALU_DEP_1) | instskip(NEXT) | instid1(VALU_DEP_1)
	v_lshlrev_b64_e32 v[0:1], v6, v[2:3]
	v_min_u32_e32 v0, 1, v0
	s_delay_alu instid0(VALU_DEP_1) | instskip(SKIP_1) | instid1(VALU_DEP_2)
	v_dual_sub_nc_u32 v1, 32, v6 :: v_dual_bitop2_b32 v0, v1, v0 bitop3:0x54
	v_mov_b32_e32 v6, 0x80
	v_cvt_f32_i32_e32 v0, v0
	s_delay_alu instid0(VALU_DEP_1) | instskip(NEXT) | instid1(VALU_DEP_1)
	v_ldexp_f32 v0, v0, v1
	v_and_b32_e32 v1, 0x7fffffff, v0
	s_delay_alu instid0(VALU_DEP_1)
	v_cmpx_gt_u32_e32 0x43800000, v1
	s_cbranch_execz .LBB70_1508
; %bb.1503:
	v_cmp_lt_u32_e32 vcc_lo, 0x3bffffff, v1
	s_mov_b32 s24, 0
                                        ; implicit-def: $vgpr1
	s_and_saveexec_b32 s25, vcc_lo
	s_delay_alu instid0(SALU_CYCLE_1)
	s_xor_b32 s25, exec_lo, s25
	s_cbranch_execz .LBB70_1623
; %bb.1504:
	v_bfe_u32 v1, v0, 20, 1
	s_mov_b32 s24, exec_lo
	s_delay_alu instid0(VALU_DEP_1) | instskip(NEXT) | instid1(VALU_DEP_1)
	v_add3_u32 v1, v0, v1, 0x487ffff
	v_lshrrev_b32_e32 v1, 20, v1
	s_and_not1_saveexec_b32 s25, s25
	s_cbranch_execnz .LBB70_1624
.LBB70_1505:
	s_or_b32 exec_lo, exec_lo, s25
	v_mov_b32_e32 v6, 0
	s_and_saveexec_b32 s25, s24
.LBB70_1506:
	v_lshrrev_b32_e32 v0, 24, v0
	s_delay_alu instid0(VALU_DEP_1)
	v_and_or_b32 v6, 0x80, v0, v1
.LBB70_1507:
	s_or_b32 exec_lo, exec_lo, s25
.LBB70_1508:
	s_delay_alu instid0(SALU_CYCLE_1)
	s_or_b32 exec_lo, exec_lo, s23
	global_store_b8 v[4:5], v6, off
.LBB70_1509:
	s_mov_b32 s23, 0
.LBB70_1510:
	s_delay_alu instid0(SALU_CYCLE_1)
	s_and_b32 vcc_lo, exec_lo, s23
	s_mov_b32 s23, 0
	s_cbranch_vccz .LBB70_1550
; %bb.1511:
	s_cmp_gt_i32 s22, 22
	s_mov_b32 s24, -1
	s_cbranch_scc0 .LBB70_1543
; %bb.1512:
	s_cmp_lt_i32 s22, 24
	s_cbranch_scc1 .LBB70_1532
; %bb.1513:
	s_cmp_gt_i32 s22, 24
	s_cbranch_scc0 .LBB70_1521
; %bb.1514:
	s_wait_xcnt 0x0
	s_delay_alu instid0(VALU_DEP_4) | instskip(SKIP_2) | instid1(VALU_DEP_2)
	v_xor_b32_e32 v0, v2, v3
	v_cls_i32_e32 v1, v3
	s_mov_b32 s24, exec_lo
	v_ashrrev_i32_e32 v0, 31, v0
	s_delay_alu instid0(VALU_DEP_1) | instskip(NEXT) | instid1(VALU_DEP_1)
	v_add_nc_u32_e32 v0, 32, v0
	v_add_min_u32_e64 v6, v1, -1, v0
	s_delay_alu instid0(VALU_DEP_1) | instskip(NEXT) | instid1(VALU_DEP_1)
	v_lshlrev_b64_e32 v[0:1], v6, v[2:3]
	v_min_u32_e32 v0, 1, v0
	s_delay_alu instid0(VALU_DEP_1) | instskip(SKIP_1) | instid1(VALU_DEP_2)
	v_dual_sub_nc_u32 v1, 32, v6 :: v_dual_bitop2_b32 v0, v1, v0 bitop3:0x54
	v_mov_b32_e32 v6, 0x80
	v_cvt_f32_i32_e32 v0, v0
	s_delay_alu instid0(VALU_DEP_1) | instskip(NEXT) | instid1(VALU_DEP_1)
	v_ldexp_f32 v0, v0, v1
	v_and_b32_e32 v1, 0x7fffffff, v0
	s_delay_alu instid0(VALU_DEP_1)
	v_cmpx_gt_u32_e32 0x47800000, v1
	s_cbranch_execz .LBB70_1520
; %bb.1515:
	v_cmp_lt_u32_e32 vcc_lo, 0x37ffffff, v1
	s_mov_b32 s25, 0
                                        ; implicit-def: $vgpr1
	s_and_saveexec_b32 s26, vcc_lo
	s_delay_alu instid0(SALU_CYCLE_1)
	s_xor_b32 s26, exec_lo, s26
	s_cbranch_execz .LBB70_1626
; %bb.1516:
	v_bfe_u32 v1, v0, 21, 1
	s_mov_b32 s25, exec_lo
	s_delay_alu instid0(VALU_DEP_1) | instskip(NEXT) | instid1(VALU_DEP_1)
	v_add3_u32 v1, v0, v1, 0x88fffff
	v_lshrrev_b32_e32 v1, 21, v1
	s_and_not1_saveexec_b32 s26, s26
	s_cbranch_execnz .LBB70_1627
.LBB70_1517:
	s_or_b32 exec_lo, exec_lo, s26
	v_mov_b32_e32 v6, 0
	s_and_saveexec_b32 s26, s25
.LBB70_1518:
	v_lshrrev_b32_e32 v0, 24, v0
	s_delay_alu instid0(VALU_DEP_1)
	v_and_or_b32 v6, 0x80, v0, v1
.LBB70_1519:
	s_or_b32 exec_lo, exec_lo, s26
.LBB70_1520:
	s_delay_alu instid0(SALU_CYCLE_1)
	s_or_b32 exec_lo, exec_lo, s24
	s_mov_b32 s24, 0
	global_store_b8 v[4:5], v6, off
.LBB70_1521:
	s_and_b32 vcc_lo, exec_lo, s24
	s_cbranch_vccz .LBB70_1531
; %bb.1522:
	s_wait_xcnt 0x0
	s_delay_alu instid0(VALU_DEP_4) | instskip(SKIP_2) | instid1(VALU_DEP_2)
	v_xor_b32_e32 v0, v2, v3
	v_cls_i32_e32 v1, v3
	s_mov_b32 s24, exec_lo
	v_ashrrev_i32_e32 v0, 31, v0
	s_delay_alu instid0(VALU_DEP_1) | instskip(NEXT) | instid1(VALU_DEP_1)
	v_add_nc_u32_e32 v0, 32, v0
	v_add_min_u32_e64 v6, v1, -1, v0
	s_delay_alu instid0(VALU_DEP_1) | instskip(NEXT) | instid1(VALU_DEP_1)
	v_lshlrev_b64_e32 v[0:1], v6, v[2:3]
	v_min_u32_e32 v0, 1, v0
	s_delay_alu instid0(VALU_DEP_1) | instskip(NEXT) | instid1(VALU_DEP_1)
	v_dual_sub_nc_u32 v1, 32, v6 :: v_dual_bitop2_b32 v0, v1, v0 bitop3:0x54
	v_cvt_f32_i32_e32 v0, v0
	s_delay_alu instid0(VALU_DEP_1) | instskip(NEXT) | instid1(VALU_DEP_1)
	v_ldexp_f32 v0, v0, v1
                                        ; implicit-def: $vgpr1
	v_and_b32_e32 v6, 0x7fffffff, v0
	s_delay_alu instid0(VALU_DEP_1)
	v_cmpx_gt_u32_e32 0x43f00000, v6
	s_xor_b32 s24, exec_lo, s24
	s_cbranch_execz .LBB70_1528
; %bb.1523:
	s_mov_b32 s25, exec_lo
                                        ; implicit-def: $vgpr1
	v_cmpx_lt_u32_e32 0x3c7fffff, v6
	s_xor_b32 s25, exec_lo, s25
; %bb.1524:
	v_bfe_u32 v1, v0, 20, 1
	s_delay_alu instid0(VALU_DEP_1) | instskip(NEXT) | instid1(VALU_DEP_1)
	v_add3_u32 v1, v0, v1, 0x407ffff
	v_and_b32_e32 v6, 0xff00000, v1
	v_lshrrev_b32_e32 v1, 20, v1
	s_delay_alu instid0(VALU_DEP_2) | instskip(NEXT) | instid1(VALU_DEP_2)
	v_cmp_ne_u32_e32 vcc_lo, 0x7f00000, v6
	v_cndmask_b32_e32 v1, 0x7e, v1, vcc_lo
; %bb.1525:
	s_and_not1_saveexec_b32 s25, s25
; %bb.1526:
	v_add_f32_e64 v1, 0x46800000, |v0|
; %bb.1527:
	s_or_b32 exec_lo, exec_lo, s25
                                        ; implicit-def: $vgpr6
.LBB70_1528:
	s_and_not1_saveexec_b32 s24, s24
; %bb.1529:
	v_mov_b32_e32 v1, 0x7f
	v_cmp_lt_u32_e32 vcc_lo, 0x7f800000, v6
	s_delay_alu instid0(VALU_DEP_2)
	v_cndmask_b32_e32 v1, 0x7e, v1, vcc_lo
; %bb.1530:
	s_or_b32 exec_lo, exec_lo, s24
	v_lshrrev_b32_e32 v0, 24, v0
	s_delay_alu instid0(VALU_DEP_1)
	v_and_or_b32 v0, 0x80, v0, v1
	global_store_b8 v[4:5], v0, off
.LBB70_1531:
	s_mov_b32 s24, 0
.LBB70_1532:
	s_delay_alu instid0(SALU_CYCLE_1)
	s_and_not1_b32 vcc_lo, exec_lo, s24
	s_cbranch_vccnz .LBB70_1542
; %bb.1533:
	s_wait_xcnt 0x0
	s_delay_alu instid0(VALU_DEP_4) | instskip(SKIP_2) | instid1(VALU_DEP_2)
	v_xor_b32_e32 v0, v2, v3
	v_cls_i32_e32 v1, v3
	s_mov_b32 s24, exec_lo
	v_ashrrev_i32_e32 v0, 31, v0
	s_delay_alu instid0(VALU_DEP_1) | instskip(NEXT) | instid1(VALU_DEP_1)
	v_add_nc_u32_e32 v0, 32, v0
	v_add_min_u32_e64 v6, v1, -1, v0
	s_delay_alu instid0(VALU_DEP_1) | instskip(NEXT) | instid1(VALU_DEP_1)
	v_lshlrev_b64_e32 v[0:1], v6, v[2:3]
	v_min_u32_e32 v0, 1, v0
	s_delay_alu instid0(VALU_DEP_1) | instskip(NEXT) | instid1(VALU_DEP_1)
	v_dual_sub_nc_u32 v1, 32, v6 :: v_dual_bitop2_b32 v0, v1, v0 bitop3:0x54
	v_cvt_f32_i32_e32 v0, v0
	s_delay_alu instid0(VALU_DEP_1) | instskip(NEXT) | instid1(VALU_DEP_1)
	v_ldexp_f32 v0, v0, v1
                                        ; implicit-def: $vgpr1
	v_and_b32_e32 v6, 0x7fffffff, v0
	s_delay_alu instid0(VALU_DEP_1)
	v_cmpx_gt_u32_e32 0x47800000, v6
	s_xor_b32 s24, exec_lo, s24
	s_cbranch_execz .LBB70_1539
; %bb.1534:
	s_mov_b32 s25, exec_lo
                                        ; implicit-def: $vgpr1
	v_cmpx_lt_u32_e32 0x387fffff, v6
	s_xor_b32 s25, exec_lo, s25
; %bb.1535:
	v_bfe_u32 v1, v0, 21, 1
	s_delay_alu instid0(VALU_DEP_1) | instskip(NEXT) | instid1(VALU_DEP_1)
	v_add3_u32 v1, v0, v1, 0x80fffff
	v_lshrrev_b32_e32 v1, 21, v1
; %bb.1536:
	s_and_not1_saveexec_b32 s25, s25
; %bb.1537:
	v_add_f32_e64 v1, 0x43000000, |v0|
; %bb.1538:
	s_or_b32 exec_lo, exec_lo, s25
                                        ; implicit-def: $vgpr6
.LBB70_1539:
	s_and_not1_saveexec_b32 s24, s24
; %bb.1540:
	v_mov_b32_e32 v1, 0x7f
	v_cmp_lt_u32_e32 vcc_lo, 0x7f800000, v6
	s_delay_alu instid0(VALU_DEP_2)
	v_cndmask_b32_e32 v1, 0x7c, v1, vcc_lo
; %bb.1541:
	s_or_b32 exec_lo, exec_lo, s24
	v_lshrrev_b32_e32 v0, 24, v0
	s_delay_alu instid0(VALU_DEP_1)
	v_and_or_b32 v0, 0x80, v0, v1
	global_store_b8 v[4:5], v0, off
.LBB70_1542:
	s_mov_b32 s24, 0
.LBB70_1543:
	s_delay_alu instid0(SALU_CYCLE_1)
	s_and_not1_b32 vcc_lo, exec_lo, s24
	s_mov_b32 s24, 0
	s_cbranch_vccnz .LBB70_1551
; %bb.1544:
	s_cmp_gt_i32 s22, 14
	s_mov_b32 s24, -1
	s_cbranch_scc0 .LBB70_1548
; %bb.1545:
	s_cmp_eq_u32 s22, 15
	s_mov_b32 s0, -1
	s_cbranch_scc0 .LBB70_1547
; %bb.1546:
	s_wait_xcnt 0x0
	s_delay_alu instid0(VALU_DEP_4) | instskip(SKIP_2) | instid1(VALU_DEP_2)
	v_xor_b32_e32 v0, v2, v3
	v_cls_i32_e32 v1, v3
	s_mov_b32 s0, 0
	v_ashrrev_i32_e32 v0, 31, v0
	s_delay_alu instid0(VALU_DEP_1) | instskip(NEXT) | instid1(VALU_DEP_1)
	v_add_nc_u32_e32 v0, 32, v0
	v_add_min_u32_e64 v6, v1, -1, v0
	s_delay_alu instid0(VALU_DEP_1) | instskip(NEXT) | instid1(VALU_DEP_1)
	v_lshlrev_b64_e32 v[0:1], v6, v[2:3]
	v_min_u32_e32 v0, 1, v0
	s_delay_alu instid0(VALU_DEP_1) | instskip(NEXT) | instid1(VALU_DEP_1)
	v_dual_sub_nc_u32 v1, 32, v6 :: v_dual_bitop2_b32 v0, v1, v0 bitop3:0x54
	v_cvt_f32_i32_e32 v0, v0
	s_delay_alu instid0(VALU_DEP_1) | instskip(NEXT) | instid1(VALU_DEP_1)
	v_ldexp_f32 v0, v0, v1
	v_bfe_u32 v1, v0, 16, 1
	s_delay_alu instid0(VALU_DEP_1)
	v_add3_u32 v0, v0, v1, 0x7fff
	global_store_d16_hi_b16 v[4:5], v0, off
.LBB70_1547:
	s_mov_b32 s24, 0
.LBB70_1548:
	s_delay_alu instid0(SALU_CYCLE_1)
	s_and_b32 vcc_lo, exec_lo, s24
	s_mov_b32 s24, 0
	s_cbranch_vccz .LBB70_1551
; %bb.1549:
	s_cmp_lg_u32 s22, 11
	s_mov_b32 s24, -1
	s_cselect_b32 s22, -1, 0
	s_and_not1_b32 s0, s0, exec_lo
	s_and_b32 s22, s22, exec_lo
	s_delay_alu instid0(SALU_CYCLE_1)
	s_or_b32 s0, s0, s22
	s_branch .LBB70_1551
.LBB70_1550:
	s_mov_b32 s24, 0
.LBB70_1551:
	s_and_b32 s22, s23, exec_lo
	s_and_not1_b32 s18, s18, exec_lo
	s_and_b32 s23, s0, exec_lo
	s_and_b32 s0, s24, exec_lo
	s_or_b32 s18, s18, s23
	s_wait_xcnt 0x0
	s_or_b32 exec_lo, exec_lo, s21
	s_and_saveexec_b32 s21, s18
	s_cbranch_execz .LBB70_1480
.LBB70_1552:
	s_or_b32 s19, s19, exec_lo
	s_and_not1_b32 s0, s0, exec_lo
	s_trap 2
	s_or_b32 exec_lo, exec_lo, s21
	s_and_saveexec_b32 s18, s0
	s_delay_alu instid0(SALU_CYCLE_1)
	s_xor_b32 s0, exec_lo, s18
	s_cbranch_execnz .LBB70_1481
.LBB70_1553:
	s_or_b32 exec_lo, exec_lo, s0
	s_and_saveexec_b32 s0, s22
	s_delay_alu instid0(SALU_CYCLE_1)
	s_xor_b32 s0, exec_lo, s0
	s_cbranch_execz .LBB70_1591
.LBB70_1554:
	s_sext_i32_i16 s21, s20
	s_mov_b32 s18, -1
	s_cmp_lt_i32 s21, 5
	s_cbranch_scc1 .LBB70_1575
; %bb.1555:
	s_cmp_lt_i32 s21, 8
	s_cbranch_scc1 .LBB70_1565
; %bb.1556:
	;; [unrolled: 3-line block ×3, first 2 shown]
	s_cmp_gt_i32 s21, 9
	s_cbranch_scc0 .LBB70_1559
; %bb.1558:
	s_wait_loadcnt 0x0
	v_cvt_f64_i32_e32 v[0:1], v3
	v_cvt_f64_u32_e32 v[6:7], v2
	s_mov_b32 s18, 0
	v_mov_b32_e32 v8, 0
	s_delay_alu instid0(VALU_DEP_1) | instskip(NEXT) | instid1(VALU_DEP_4)
	v_mov_b32_e32 v9, v8
	v_ldexp_f64 v[0:1], v[0:1], 32
	s_delay_alu instid0(VALU_DEP_1)
	v_add_f64_e32 v[6:7], v[0:1], v[6:7]
	global_store_b128 v[4:5], v[6:9], off
.LBB70_1559:
	s_and_not1_b32 vcc_lo, exec_lo, s18
	s_cbranch_vccnz .LBB70_1561
; %bb.1560:
	s_wait_loadcnt 0x0
	v_xor_b32_e32 v0, v2, v3
	v_cls_i32_e32 v1, v3
	s_delay_alu instid0(VALU_DEP_2) | instskip(NEXT) | instid1(VALU_DEP_1)
	v_ashrrev_i32_e32 v0, 31, v0
	v_add_nc_u32_e32 v0, 32, v0
	s_wait_xcnt 0x0
	s_delay_alu instid0(VALU_DEP_1) | instskip(NEXT) | instid1(VALU_DEP_1)
	v_add_min_u32_e64 v6, v1, -1, v0
	v_lshlrev_b64_e32 v[0:1], v6, v[2:3]
	s_delay_alu instid0(VALU_DEP_1) | instskip(NEXT) | instid1(VALU_DEP_1)
	v_min_u32_e32 v0, 1, v0
	v_dual_sub_nc_u32 v1, 32, v6 :: v_dual_bitop2_b32 v0, v1, v0 bitop3:0x54
	s_delay_alu instid0(VALU_DEP_1) | instskip(NEXT) | instid1(VALU_DEP_1)
	v_cvt_f32_i32_e32 v0, v0
	v_ldexp_f32 v0, v0, v1
	v_mov_b32_e32 v1, 0
	global_store_b64 v[4:5], v[0:1], off
.LBB70_1561:
	s_mov_b32 s18, 0
.LBB70_1562:
	s_delay_alu instid0(SALU_CYCLE_1)
	s_and_not1_b32 vcc_lo, exec_lo, s18
	s_cbranch_vccnz .LBB70_1564
; %bb.1563:
	s_wait_loadcnt 0x0
	v_xor_b32_e32 v0, v2, v3
	v_cls_i32_e32 v1, v3
	s_delay_alu instid0(VALU_DEP_2) | instskip(NEXT) | instid1(VALU_DEP_1)
	v_ashrrev_i32_e32 v0, 31, v0
	v_add_nc_u32_e32 v0, 32, v0
	s_delay_alu instid0(VALU_DEP_1) | instskip(NEXT) | instid1(VALU_DEP_1)
	v_add_min_u32_e64 v6, v1, -1, v0
	v_lshlrev_b64_e32 v[0:1], v6, v[2:3]
	s_delay_alu instid0(VALU_DEP_1) | instskip(NEXT) | instid1(VALU_DEP_1)
	v_min_u32_e32 v0, 1, v0
	v_dual_sub_nc_u32 v1, 32, v6 :: v_dual_bitop2_b32 v0, v1, v0 bitop3:0x54
	s_delay_alu instid0(VALU_DEP_1) | instskip(NEXT) | instid1(VALU_DEP_1)
	v_cvt_f32_i32_e32 v0, v0
	v_ldexp_f32 v0, v0, v1
	s_delay_alu instid0(VALU_DEP_1) | instskip(NEXT) | instid1(VALU_DEP_1)
	v_cvt_f16_f32_e32 v0, v0
	v_and_b32_e32 v0, 0xffff, v0
	global_store_b32 v[4:5], v0, off
.LBB70_1564:
	s_mov_b32 s18, 0
.LBB70_1565:
	s_delay_alu instid0(SALU_CYCLE_1)
	s_and_not1_b32 vcc_lo, exec_lo, s18
	s_cbranch_vccnz .LBB70_1574
; %bb.1566:
	s_sext_i32_i16 s21, s20
	s_mov_b32 s18, -1
	s_cmp_lt_i32 s21, 6
	s_cbranch_scc1 .LBB70_1572
; %bb.1567:
	s_cmp_gt_i32 s21, 6
	s_cbranch_scc0 .LBB70_1569
; %bb.1568:
	s_wait_loadcnt 0x0
	v_cvt_f64_i32_e32 v[0:1], v3
	v_cvt_f64_u32_e32 v[6:7], v2
	s_mov_b32 s18, 0
	s_delay_alu instid0(VALU_DEP_2) | instskip(NEXT) | instid1(VALU_DEP_1)
	v_ldexp_f64 v[0:1], v[0:1], 32
	v_add_f64_e32 v[0:1], v[0:1], v[6:7]
	global_store_b64 v[4:5], v[0:1], off
.LBB70_1569:
	s_and_not1_b32 vcc_lo, exec_lo, s18
	s_cbranch_vccnz .LBB70_1571
; %bb.1570:
	s_wait_loadcnt 0x0
	v_xor_b32_e32 v0, v2, v3
	v_cls_i32_e32 v1, v3
	s_delay_alu instid0(VALU_DEP_2) | instskip(NEXT) | instid1(VALU_DEP_1)
	v_ashrrev_i32_e32 v0, 31, v0
	v_add_nc_u32_e32 v0, 32, v0
	s_delay_alu instid0(VALU_DEP_1) | instskip(NEXT) | instid1(VALU_DEP_1)
	v_add_min_u32_e64 v6, v1, -1, v0
	v_lshlrev_b64_e32 v[0:1], v6, v[2:3]
	s_delay_alu instid0(VALU_DEP_1) | instskip(NEXT) | instid1(VALU_DEP_1)
	v_min_u32_e32 v0, 1, v0
	v_dual_sub_nc_u32 v1, 32, v6 :: v_dual_bitop2_b32 v0, v1, v0 bitop3:0x54
	s_delay_alu instid0(VALU_DEP_1) | instskip(NEXT) | instid1(VALU_DEP_1)
	v_cvt_f32_i32_e32 v0, v0
	v_ldexp_f32 v0, v0, v1
	global_store_b32 v[4:5], v0, off
.LBB70_1571:
	s_mov_b32 s18, 0
.LBB70_1572:
	s_delay_alu instid0(SALU_CYCLE_1)
	s_and_not1_b32 vcc_lo, exec_lo, s18
	s_cbranch_vccnz .LBB70_1574
; %bb.1573:
	s_wait_loadcnt 0x0
	v_xor_b32_e32 v0, v2, v3
	v_cls_i32_e32 v1, v3
	s_delay_alu instid0(VALU_DEP_2) | instskip(NEXT) | instid1(VALU_DEP_1)
	v_ashrrev_i32_e32 v0, 31, v0
	v_add_nc_u32_e32 v0, 32, v0
	s_delay_alu instid0(VALU_DEP_1) | instskip(NEXT) | instid1(VALU_DEP_1)
	v_add_min_u32_e64 v6, v1, -1, v0
	v_lshlrev_b64_e32 v[0:1], v6, v[2:3]
	s_delay_alu instid0(VALU_DEP_1) | instskip(NEXT) | instid1(VALU_DEP_1)
	v_min_u32_e32 v0, 1, v0
	v_dual_sub_nc_u32 v1, 32, v6 :: v_dual_bitop2_b32 v0, v1, v0 bitop3:0x54
	s_delay_alu instid0(VALU_DEP_1) | instskip(NEXT) | instid1(VALU_DEP_1)
	v_cvt_f32_i32_e32 v0, v0
	v_ldexp_f32 v0, v0, v1
	s_delay_alu instid0(VALU_DEP_1)
	v_cvt_f16_f32_e32 v0, v0
	global_store_b16 v[4:5], v0, off
.LBB70_1574:
	s_mov_b32 s18, 0
.LBB70_1575:
	s_delay_alu instid0(SALU_CYCLE_1)
	s_and_not1_b32 vcc_lo, exec_lo, s18
	s_cbranch_vccnz .LBB70_1591
; %bb.1576:
	s_sext_i32_i16 s21, s20
	s_mov_b32 s18, -1
	s_cmp_lt_i32 s21, 2
	s_cbranch_scc1 .LBB70_1586
; %bb.1577:
	s_cmp_lt_i32 s21, 3
	s_cbranch_scc1 .LBB70_1583
; %bb.1578:
	s_cmp_gt_i32 s21, 3
	s_cbranch_scc0 .LBB70_1580
; %bb.1579:
	s_mov_b32 s18, 0
	s_wait_loadcnt 0x0
	global_store_b64 v[4:5], v[2:3], off
.LBB70_1580:
	s_and_not1_b32 vcc_lo, exec_lo, s18
	s_cbranch_vccnz .LBB70_1582
; %bb.1581:
	s_wait_loadcnt 0x0
	global_store_b32 v[4:5], v2, off
.LBB70_1582:
	s_mov_b32 s18, 0
.LBB70_1583:
	s_delay_alu instid0(SALU_CYCLE_1)
	s_and_not1_b32 vcc_lo, exec_lo, s18
	s_cbranch_vccnz .LBB70_1585
; %bb.1584:
	s_wait_loadcnt 0x0
	global_store_b16 v[4:5], v2, off
.LBB70_1585:
	s_mov_b32 s18, 0
.LBB70_1586:
	s_delay_alu instid0(SALU_CYCLE_1)
	s_and_not1_b32 vcc_lo, exec_lo, s18
	s_cbranch_vccnz .LBB70_1591
; %bb.1587:
	s_sext_i32_i16 s18, s20
	s_delay_alu instid0(SALU_CYCLE_1)
	s_cmp_gt_i32 s18, 0
	s_mov_b32 s18, -1
	s_cbranch_scc0 .LBB70_1589
; %bb.1588:
	s_mov_b32 s18, 0
	s_wait_loadcnt 0x0
	global_store_b8 v[4:5], v2, off
.LBB70_1589:
	s_and_not1_b32 vcc_lo, exec_lo, s18
	s_cbranch_vccnz .LBB70_1591
; %bb.1590:
	s_wait_loadcnt 0x0
	global_store_b8 v[4:5], v2, off
.LBB70_1591:
	s_wait_xcnt 0x0
	s_or_b32 exec_lo, exec_lo, s0
	s_delay_alu instid0(SALU_CYCLE_1)
	s_and_b32 s18, s19, exec_lo
                                        ; implicit-def: $vgpr18
.LBB70_1592:
	s_or_saveexec_b32 s17, s17
	s_mov_b32 s0, 0
                                        ; implicit-def: $sgpr19
                                        ; implicit-def: $vgpr0_vgpr1
                                        ; implicit-def: $vgpr2_vgpr3
	s_xor_b32 exec_lo, exec_lo, s17
	s_cbranch_execz .LBB70_3128
; %bb.1593:
	s_and_b32 s16, s16, 0xff
	s_delay_alu instid0(SALU_CYCLE_1)
	s_cmp_lt_i32 s16, 23
	s_cbranch_scc1 .LBB70_1597
; %bb.1594:
	s_and_b32 s19, 0xffff, s16
	s_delay_alu instid0(SALU_CYCLE_1)
	s_cmp_gt_i32 s19, 43
	s_cbranch_scc0 .LBB70_1598
; %bb.1595:
	s_cmp_gt_i32 s19, 45
	s_cbranch_scc0 .LBB70_1599
; %bb.1596:
	s_cmp_lg_u32 s19, 46
	s_mov_b32 s0, -1
	s_cselect_b32 s15, -1, 0
	s_cbranch_execz .LBB70_1600
	s_branch .LBB70_1601
.LBB70_1597:
	s_cbranch_execnz .LBB70_1604
	s_branch .LBB70_1608
.LBB70_1598:
	s_cbranch_execnz .LBB70_1602
	s_branch .LBB70_1603
.LBB70_1599:
.LBB70_1600:
	s_cmp_eq_u32 s19, 44
	s_cselect_b32 s0, -1, 0
	s_cmp_lg_u32 s19, 44
	s_cselect_b32 s15, -1, 0
.LBB70_1601:
	s_branch .LBB70_1603
.LBB70_1602:
	s_cmp_lt_i32 s19, 30
	s_cselect_b32 s0, -1, 0
	s_cmp_gt_i32 s19, 29
	s_cselect_b32 s15, -1, 0
.LBB70_1603:
	s_branch .LBB70_1608
.LBB70_1604:
	s_and_b32 s19, 0xffff, s16
	s_mov_b32 s20, -1
	s_cmp_gt_i32 s19, 14
	s_cbranch_scc0 .LBB70_1606
; %bb.1605:
	s_cmp_eq_u32 s19, 15
	s_mov_b32 s20, 0
	s_cselect_b32 s0, -1, 0
	s_cmp_lg_u32 s19, 15
	s_cselect_b32 s15, -1, 0
.LBB70_1606:
	s_and_not1_b32 vcc_lo, exec_lo, s20
	s_cbranch_vccnz .LBB70_1608
; %bb.1607:
	s_cmp_lt_i32 s19, 12
	s_cselect_b32 s0, -1, 0
	s_cmp_gt_i32 s19, 11
	s_cselect_b32 s15, -1, 0
.LBB70_1608:
	s_delay_alu instid0(SALU_CYCLE_1)
	s_and_b32 vcc_lo, exec_lo, s15
	s_mov_b32 s15, s18
	s_cbranch_vccnz .LBB70_1621
; %bb.1609:
	s_and_not1_b32 vcc_lo, exec_lo, s0
	s_cbranch_vccnz .LBB70_3126
.LBB70_1610:
	s_wait_loadcnt 0x0
	v_mul_lo_u32 v4, s4, v18
	s_and_b32 s14, s14, 0xff
	s_delay_alu instid0(SALU_CYCLE_1) | instskip(NEXT) | instid1(VALU_DEP_1)
	s_cmp_lt_i32 s14, 11
	v_ashrrev_i32_e32 v5, 31, v4
	s_delay_alu instid0(VALU_DEP_1)
	v_add_nc_u64_e32 v[2:3], s[8:9], v[4:5]
	s_cbranch_scc1 .LBB70_1617
; %bb.1611:
	s_and_b32 s0, 0xffff, s14
	s_mov_b32 s20, 0
	s_cmp_gt_i32 s0, 25
	s_cbranch_scc0 .LBB70_1619
; %bb.1612:
	s_cmp_gt_i32 s0, 28
	s_cbranch_scc0 .LBB70_1620
; %bb.1613:
	;; [unrolled: 3-line block ×4, first 2 shown]
	s_cmp_eq_u32 s0, 46
	s_mov_b32 s22, 0
	s_cbranch_scc0 .LBB70_1628
; %bb.1616:
	global_load_b32 v0, v[2:3], off
	s_mov_b32 s19, 0
	s_mov_b32 s21, -1
	s_wait_loadcnt 0x0
	v_lshlrev_b32_e32 v0, 16, v0
	s_delay_alu instid0(VALU_DEP_1) | instskip(NEXT) | instid1(VALU_DEP_1)
	v_trunc_f32_e32 v0, v0
	v_mul_f32_e64 v1, 0x2f800000, |v0|
	s_delay_alu instid0(VALU_DEP_1) | instskip(NEXT) | instid1(VALU_DEP_1)
	v_floor_f32_e32 v1, v1
	v_fma_f32 v5, 0xcf800000, v1, |v0|
	v_ashrrev_i32_e32 v0, 31, v0
	v_cvt_u32_f32_e32 v6, v1
	s_delay_alu instid0(VALU_DEP_3) | instskip(NEXT) | instid1(VALU_DEP_2)
	v_cvt_u32_f32_e32 v5, v5
	v_dual_mov_b32 v1, v0 :: v_dual_bitop2_b32 v7, v6, v0 bitop3:0x14
	s_delay_alu instid0(VALU_DEP_2) | instskip(NEXT) | instid1(VALU_DEP_1)
	v_xor_b32_e32 v6, v5, v0
	v_sub_nc_u64_e32 v[0:1], v[6:7], v[0:1]
	s_branch .LBB70_1630
.LBB70_1617:
	s_mov_b32 s21, 0
                                        ; implicit-def: $vgpr0_vgpr1
	s_cbranch_execnz .LBB70_1691
.LBB70_1618:
	s_and_not1_b32 vcc_lo, exec_lo, s21
	s_cbranch_vccz .LBB70_1738
	s_branch .LBB70_3126
.LBB70_1619:
	s_mov_b32 s21, 0
	s_mov_b32 s19, 0
                                        ; implicit-def: $vgpr0_vgpr1
	s_cbranch_execnz .LBB70_1657
	s_branch .LBB70_1687
.LBB70_1620:
	s_mov_b32 s22, -1
	s_mov_b32 s21, 0
	s_mov_b32 s19, 0
                                        ; implicit-def: $vgpr0_vgpr1
	s_branch .LBB70_1640
.LBB70_1621:
	s_or_b32 s15, s18, exec_lo
	s_trap 2
	s_cbranch_execz .LBB70_1610
	s_branch .LBB70_3126
.LBB70_1622:
	s_mov_b32 s22, -1
	s_mov_b32 s21, 0
	s_mov_b32 s19, 0
                                        ; implicit-def: $vgpr0_vgpr1
	s_branch .LBB70_1635
.LBB70_1623:
	s_and_not1_saveexec_b32 s25, s25
	s_cbranch_execz .LBB70_1505
.LBB70_1624:
	v_add_f32_e64 v1, 0x46000000, |v0|
	s_and_not1_b32 s24, s24, exec_lo
	s_delay_alu instid0(VALU_DEP_1) | instskip(NEXT) | instid1(VALU_DEP_1)
	v_and_b32_e32 v1, 0xff, v1
	v_cmp_ne_u32_e32 vcc_lo, 0, v1
	s_and_b32 s26, vcc_lo, exec_lo
	s_delay_alu instid0(SALU_CYCLE_1)
	s_or_b32 s24, s24, s26
	s_or_b32 exec_lo, exec_lo, s25
	v_mov_b32_e32 v6, 0
	s_and_saveexec_b32 s25, s24
	s_cbranch_execnz .LBB70_1506
	s_branch .LBB70_1507
.LBB70_1625:
	s_mov_b32 s22, -1
	s_mov_b32 s21, 0
	s_mov_b32 s19, 0
	s_branch .LBB70_1629
.LBB70_1626:
	s_and_not1_saveexec_b32 s26, s26
	s_cbranch_execz .LBB70_1517
.LBB70_1627:
	v_add_f32_e64 v1, 0x42800000, |v0|
	s_and_not1_b32 s25, s25, exec_lo
	s_delay_alu instid0(VALU_DEP_1) | instskip(NEXT) | instid1(VALU_DEP_1)
	v_and_b32_e32 v1, 0xff, v1
	v_cmp_ne_u32_e32 vcc_lo, 0, v1
	s_and_b32 s27, vcc_lo, exec_lo
	s_delay_alu instid0(SALU_CYCLE_1)
	s_or_b32 s25, s25, s27
	s_or_b32 exec_lo, exec_lo, s26
	v_mov_b32_e32 v6, 0
	s_and_saveexec_b32 s26, s25
	s_cbranch_execnz .LBB70_1518
	s_branch .LBB70_1519
.LBB70_1628:
	s_mov_b32 s19, -1
	s_mov_b32 s21, 0
.LBB70_1629:
                                        ; implicit-def: $vgpr0_vgpr1
.LBB70_1630:
	s_and_b32 vcc_lo, exec_lo, s22
	s_cbranch_vccz .LBB70_1634
; %bb.1631:
	s_cmp_eq_u32 s0, 44
	s_cbranch_scc0 .LBB70_1633
; %bb.1632:
	global_load_u8 v5, v[2:3], off
	s_mov_b32 s19, 0
	s_mov_b32 s21, -1
	s_wait_loadcnt 0x0
	v_lshlrev_b32_e32 v0, 23, v5
	v_cmp_ne_u32_e32 vcc_lo, 0, v5
	s_delay_alu instid0(VALU_DEP_2) | instskip(NEXT) | instid1(VALU_DEP_1)
	v_trunc_f32_e32 v0, v0
	v_mul_f32_e64 v1, 0x2f800000, |v0|
	s_delay_alu instid0(VALU_DEP_1) | instskip(NEXT) | instid1(VALU_DEP_1)
	v_floor_f32_e32 v1, v1
	v_fma_f32 v6, 0xcf800000, v1, |v0|
	v_ashrrev_i32_e32 v0, 31, v0
	v_cvt_u32_f32_e32 v7, v1
	s_delay_alu instid0(VALU_DEP_3) | instskip(NEXT) | instid1(VALU_DEP_2)
	v_cvt_u32_f32_e32 v6, v6
	v_dual_mov_b32 v1, v0 :: v_dual_bitop2_b32 v7, v7, v0 bitop3:0x14
	s_delay_alu instid0(VALU_DEP_2) | instskip(NEXT) | instid1(VALU_DEP_1)
	v_xor_b32_e32 v6, v6, v0
	v_sub_nc_u64_e32 v[0:1], v[6:7], v[0:1]
	s_delay_alu instid0(VALU_DEP_1)
	v_dual_cndmask_b32 v1, 0, v1 :: v_dual_cndmask_b32 v0, 0, v0
	s_branch .LBB70_1634
.LBB70_1633:
	s_mov_b32 s19, -1
                                        ; implicit-def: $vgpr0_vgpr1
.LBB70_1634:
	s_mov_b32 s22, 0
.LBB70_1635:
	s_delay_alu instid0(SALU_CYCLE_1)
	s_and_b32 vcc_lo, exec_lo, s22
	s_cbranch_vccz .LBB70_1639
; %bb.1636:
	s_cmp_eq_u32 s0, 29
	s_cbranch_scc0 .LBB70_1638
; %bb.1637:
	global_load_b64 v[0:1], v[2:3], off
	s_mov_b32 s19, 0
	s_mov_b32 s21, -1
	s_branch .LBB70_1639
.LBB70_1638:
	s_mov_b32 s19, -1
                                        ; implicit-def: $vgpr0_vgpr1
.LBB70_1639:
	s_mov_b32 s22, 0
.LBB70_1640:
	s_delay_alu instid0(SALU_CYCLE_1)
	s_and_b32 vcc_lo, exec_lo, s22
	s_cbranch_vccz .LBB70_1656
; %bb.1641:
	s_cmp_lt_i32 s0, 27
	s_cbranch_scc1 .LBB70_1644
; %bb.1642:
	s_cmp_gt_i32 s0, 27
	s_cbranch_scc0 .LBB70_1645
; %bb.1643:
	s_wait_loadcnt 0x0
	global_load_b32 v0, v[2:3], off
	v_mov_b32_e32 v1, 0
	s_mov_b32 s21, 0
	s_branch .LBB70_1646
.LBB70_1644:
	s_mov_b32 s21, -1
                                        ; implicit-def: $vgpr0_vgpr1
	s_branch .LBB70_1649
.LBB70_1645:
	s_mov_b32 s21, -1
                                        ; implicit-def: $vgpr0_vgpr1
.LBB70_1646:
	s_delay_alu instid0(SALU_CYCLE_1)
	s_and_not1_b32 vcc_lo, exec_lo, s21
	s_cbranch_vccnz .LBB70_1648
; %bb.1647:
	s_wait_loadcnt 0x0
	global_load_u16 v0, v[2:3], off
	s_mov_b32 s21, 0
	s_delay_alu instid0(SALU_CYCLE_1)
	v_mov_b32_e32 v1, s21
	s_wait_loadcnt 0x0
	v_and_b32_e32 v0, 0xffff, v0
.LBB70_1648:
	s_mov_b32 s21, 0
.LBB70_1649:
	s_delay_alu instid0(SALU_CYCLE_1)
	s_and_not1_b32 vcc_lo, exec_lo, s21
	s_cbranch_vccnz .LBB70_1655
; %bb.1650:
	global_load_u8 v5, v[2:3], off
	s_mov_b32 s22, 0
	s_mov_b32 s21, exec_lo
	s_wait_loadcnt 0x0
	v_cmpx_lt_i16_e32 0x7f, v5
	s_xor_b32 s21, exec_lo, s21
	s_cbranch_execz .LBB70_1666
; %bb.1651:
	v_cmp_ne_u16_e32 vcc_lo, 0x80, v5
	s_and_b32 s22, vcc_lo, exec_lo
	s_and_not1_saveexec_b32 s21, s21
	s_cbranch_execnz .LBB70_1667
.LBB70_1652:
	s_or_b32 exec_lo, exec_lo, s21
	v_mov_b64_e32 v[0:1], 0
	s_and_saveexec_b32 s21, s22
	s_cbranch_execz .LBB70_1654
.LBB70_1653:
	v_and_b32_e32 v0, 0xffff, v5
	s_delay_alu instid0(VALU_DEP_1) | instskip(SKIP_1) | instid1(VALU_DEP_2)
	v_and_b32_e32 v1, 7, v0
	v_bfe_u32 v8, v0, 3, 4
	v_clz_i32_u32_e32 v6, v1
	s_delay_alu instid0(VALU_DEP_2) | instskip(NEXT) | instid1(VALU_DEP_2)
	v_cmp_eq_u32_e32 vcc_lo, 0, v8
	v_min_u32_e32 v6, 32, v6
	s_delay_alu instid0(VALU_DEP_1) | instskip(NEXT) | instid1(VALU_DEP_1)
	v_subrev_nc_u32_e32 v7, 28, v6
	v_dual_lshlrev_b32 v0, v7, v0 :: v_dual_sub_nc_u32 v6, 29, v6
	s_delay_alu instid0(VALU_DEP_1) | instskip(NEXT) | instid1(VALU_DEP_1)
	v_dual_lshlrev_b32 v5, 24, v5 :: v_dual_bitop2_b32 v0, 7, v0 bitop3:0x40
	v_dual_cndmask_b32 v6, v8, v6, vcc_lo :: v_dual_cndmask_b32 v0, v1, v0, vcc_lo
	s_delay_alu instid0(VALU_DEP_2) | instskip(NEXT) | instid1(VALU_DEP_2)
	v_and_b32_e32 v1, 0x80000000, v5
	v_lshl_add_u32 v5, v6, 23, 0x3b800000
	s_delay_alu instid0(VALU_DEP_3) | instskip(NEXT) | instid1(VALU_DEP_1)
	v_lshlrev_b32_e32 v0, 20, v0
	v_or3_b32 v0, v1, v5, v0
	s_delay_alu instid0(VALU_DEP_1) | instskip(NEXT) | instid1(VALU_DEP_1)
	v_trunc_f32_e32 v0, v0
	v_mul_f32_e64 v1, 0x2f800000, |v0|
	s_delay_alu instid0(VALU_DEP_1) | instskip(NEXT) | instid1(VALU_DEP_1)
	v_floor_f32_e32 v1, v1
	v_fma_f32 v5, 0xcf800000, v1, |v0|
	v_ashrrev_i32_e32 v0, 31, v0
	v_cvt_u32_f32_e32 v6, v1
	s_delay_alu instid0(VALU_DEP_3) | instskip(NEXT) | instid1(VALU_DEP_2)
	v_cvt_u32_f32_e32 v5, v5
	v_dual_mov_b32 v1, v0 :: v_dual_bitop2_b32 v7, v6, v0 bitop3:0x14
	s_delay_alu instid0(VALU_DEP_2) | instskip(NEXT) | instid1(VALU_DEP_1)
	v_xor_b32_e32 v6, v5, v0
	v_sub_nc_u64_e32 v[0:1], v[6:7], v[0:1]
.LBB70_1654:
	s_or_b32 exec_lo, exec_lo, s21
.LBB70_1655:
	s_mov_b32 s21, -1
.LBB70_1656:
	s_branch .LBB70_1687
.LBB70_1657:
	s_cmp_gt_i32 s0, 22
	s_cbranch_scc0 .LBB70_1665
; %bb.1658:
	s_cmp_lt_i32 s0, 24
	s_cbranch_scc1 .LBB70_1668
; %bb.1659:
	s_cmp_gt_i32 s0, 24
	s_cbranch_scc0 .LBB70_1669
; %bb.1660:
	global_load_u8 v5, v[2:3], off
	s_mov_b32 s21, 0
	s_mov_b32 s20, exec_lo
	s_wait_loadcnt 0x0
	v_cmpx_lt_i16_e32 0x7f, v5
	s_xor_b32 s20, exec_lo, s20
	s_cbranch_execz .LBB70_1681
; %bb.1661:
	v_cmp_ne_u16_e32 vcc_lo, 0x80, v5
	s_and_b32 s21, vcc_lo, exec_lo
	s_and_not1_saveexec_b32 s20, s20
	s_cbranch_execnz .LBB70_1682
.LBB70_1662:
	s_or_b32 exec_lo, exec_lo, s20
	v_mov_b64_e32 v[0:1], 0
	s_and_saveexec_b32 s20, s21
	s_cbranch_execz .LBB70_1664
.LBB70_1663:
	v_and_b32_e32 v0, 0xffff, v5
	s_delay_alu instid0(VALU_DEP_1) | instskip(SKIP_1) | instid1(VALU_DEP_2)
	v_and_b32_e32 v1, 3, v0
	v_bfe_u32 v8, v0, 2, 5
	v_clz_i32_u32_e32 v6, v1
	s_delay_alu instid0(VALU_DEP_2) | instskip(NEXT) | instid1(VALU_DEP_2)
	v_cmp_eq_u32_e32 vcc_lo, 0, v8
	v_min_u32_e32 v6, 32, v6
	s_delay_alu instid0(VALU_DEP_1) | instskip(NEXT) | instid1(VALU_DEP_1)
	v_subrev_nc_u32_e32 v7, 29, v6
	v_dual_lshlrev_b32 v0, v7, v0 :: v_dual_sub_nc_u32 v6, 30, v6
	s_delay_alu instid0(VALU_DEP_1) | instskip(NEXT) | instid1(VALU_DEP_1)
	v_dual_lshlrev_b32 v5, 24, v5 :: v_dual_bitop2_b32 v0, 3, v0 bitop3:0x40
	v_dual_cndmask_b32 v6, v8, v6, vcc_lo :: v_dual_cndmask_b32 v0, v1, v0, vcc_lo
	s_delay_alu instid0(VALU_DEP_2) | instskip(NEXT) | instid1(VALU_DEP_2)
	v_and_b32_e32 v1, 0x80000000, v5
	v_lshl_add_u32 v5, v6, 23, 0x37800000
	s_delay_alu instid0(VALU_DEP_3) | instskip(NEXT) | instid1(VALU_DEP_1)
	v_lshlrev_b32_e32 v0, 21, v0
	v_or3_b32 v0, v1, v5, v0
	s_delay_alu instid0(VALU_DEP_1) | instskip(NEXT) | instid1(VALU_DEP_1)
	v_trunc_f32_e32 v0, v0
	v_mul_f32_e64 v1, 0x2f800000, |v0|
	s_delay_alu instid0(VALU_DEP_1) | instskip(NEXT) | instid1(VALU_DEP_1)
	v_floor_f32_e32 v1, v1
	v_fma_f32 v5, 0xcf800000, v1, |v0|
	v_ashrrev_i32_e32 v0, 31, v0
	v_cvt_u32_f32_e32 v6, v1
	s_delay_alu instid0(VALU_DEP_3) | instskip(NEXT) | instid1(VALU_DEP_2)
	v_cvt_u32_f32_e32 v5, v5
	v_dual_mov_b32 v1, v0 :: v_dual_bitop2_b32 v7, v6, v0 bitop3:0x14
	s_delay_alu instid0(VALU_DEP_2) | instskip(NEXT) | instid1(VALU_DEP_1)
	v_xor_b32_e32 v6, v5, v0
	v_sub_nc_u64_e32 v[0:1], v[6:7], v[0:1]
.LBB70_1664:
	s_or_b32 exec_lo, exec_lo, s20
	s_mov_b32 s20, 0
	s_branch .LBB70_1670
.LBB70_1665:
	s_mov_b32 s20, -1
                                        ; implicit-def: $vgpr0_vgpr1
	s_branch .LBB70_1676
.LBB70_1666:
	s_and_not1_saveexec_b32 s21, s21
	s_cbranch_execz .LBB70_1652
.LBB70_1667:
	v_cmp_ne_u16_e32 vcc_lo, 0, v5
	s_and_not1_b32 s22, s22, exec_lo
	s_and_b32 s23, vcc_lo, exec_lo
	s_delay_alu instid0(SALU_CYCLE_1)
	s_or_b32 s22, s22, s23
	s_or_b32 exec_lo, exec_lo, s21
	v_mov_b64_e32 v[0:1], 0
	s_and_saveexec_b32 s21, s22
	s_cbranch_execnz .LBB70_1653
	s_branch .LBB70_1654
.LBB70_1668:
	s_mov_b32 s20, -1
                                        ; implicit-def: $vgpr0_vgpr1
	s_branch .LBB70_1673
.LBB70_1669:
	s_mov_b32 s20, -1
                                        ; implicit-def: $vgpr0_vgpr1
.LBB70_1670:
	s_delay_alu instid0(SALU_CYCLE_1)
	s_and_b32 vcc_lo, exec_lo, s20
	s_cbranch_vccz .LBB70_1672
; %bb.1671:
	s_wait_loadcnt 0x0
	global_load_u8 v0, v[2:3], off
	s_wait_loadcnt 0x0
	v_lshlrev_b32_e32 v0, 24, v0
	s_delay_alu instid0(VALU_DEP_1) | instskip(NEXT) | instid1(VALU_DEP_1)
	v_and_b32_e32 v1, 0x7f000000, v0
	v_clz_i32_u32_e32 v5, v1
	v_add_nc_u32_e32 v7, 0x1000000, v1
	v_cmp_ne_u32_e32 vcc_lo, 0, v1
	s_delay_alu instid0(VALU_DEP_3) | instskip(NEXT) | instid1(VALU_DEP_1)
	v_min_u32_e32 v5, 32, v5
	v_sub_nc_u32_e64 v5, v5, 4 clamp
	s_delay_alu instid0(VALU_DEP_1) | instskip(NEXT) | instid1(VALU_DEP_1)
	v_lshlrev_b32_e32 v6, v5, v1
	v_dual_lshlrev_b32 v5, 23, v5 :: v_dual_lshrrev_b32 v6, 4, v6
	s_delay_alu instid0(VALU_DEP_1) | instskip(NEXT) | instid1(VALU_DEP_1)
	v_dual_sub_nc_u32 v5, v6, v5 :: v_dual_ashrrev_i32 v6, 8, v7
	v_add_nc_u32_e32 v5, 0x3c000000, v5
	s_delay_alu instid0(VALU_DEP_1) | instskip(NEXT) | instid1(VALU_DEP_1)
	v_and_or_b32 v5, 0x7f800000, v6, v5
	v_cndmask_b32_e32 v1, 0, v5, vcc_lo
	s_delay_alu instid0(VALU_DEP_1) | instskip(NEXT) | instid1(VALU_DEP_1)
	v_and_or_b32 v0, 0x80000000, v0, v1
	v_trunc_f32_e32 v0, v0
	s_delay_alu instid0(VALU_DEP_1) | instskip(NEXT) | instid1(VALU_DEP_1)
	v_mul_f32_e64 v1, 0x2f800000, |v0|
	v_floor_f32_e32 v1, v1
	s_delay_alu instid0(VALU_DEP_1) | instskip(SKIP_2) | instid1(VALU_DEP_3)
	v_fma_f32 v5, 0xcf800000, v1, |v0|
	v_ashrrev_i32_e32 v0, 31, v0
	v_cvt_u32_f32_e32 v6, v1
	v_cvt_u32_f32_e32 v5, v5
	s_delay_alu instid0(VALU_DEP_2) | instskip(NEXT) | instid1(VALU_DEP_2)
	v_dual_mov_b32 v1, v0 :: v_dual_bitop2_b32 v7, v6, v0 bitop3:0x14
	v_xor_b32_e32 v6, v5, v0
	s_delay_alu instid0(VALU_DEP_1)
	v_sub_nc_u64_e32 v[0:1], v[6:7], v[0:1]
.LBB70_1672:
	s_mov_b32 s20, 0
.LBB70_1673:
	s_delay_alu instid0(SALU_CYCLE_1)
	s_and_not1_b32 vcc_lo, exec_lo, s20
	s_cbranch_vccnz .LBB70_1675
; %bb.1674:
	s_wait_loadcnt 0x0
	global_load_u8 v0, v[2:3], off
	s_wait_loadcnt 0x0
	v_lshlrev_b32_e32 v1, 25, v0
	v_lshlrev_b16 v0, 8, v0
	s_delay_alu instid0(VALU_DEP_1) | instskip(SKIP_1) | instid1(VALU_DEP_2)
	v_and_or_b32 v6, 0x7f00, v0, 0.5
	v_bfe_i32 v0, v0, 0, 16
	v_dual_add_f32 v6, -0.5, v6 :: v_dual_lshrrev_b32 v5, 4, v1
	v_cmp_gt_u32_e32 vcc_lo, 0x8000000, v1
	s_delay_alu instid0(VALU_DEP_2) | instskip(NEXT) | instid1(VALU_DEP_1)
	v_or_b32_e32 v5, 0x70000000, v5
	v_mul_f32_e32 v5, 0x7800000, v5
	s_delay_alu instid0(VALU_DEP_1) | instskip(NEXT) | instid1(VALU_DEP_1)
	v_cndmask_b32_e32 v1, v5, v6, vcc_lo
	v_and_or_b32 v0, 0x80000000, v0, v1
	s_delay_alu instid0(VALU_DEP_1) | instskip(NEXT) | instid1(VALU_DEP_1)
	v_trunc_f32_e32 v0, v0
	v_mul_f32_e64 v1, 0x2f800000, |v0|
	s_delay_alu instid0(VALU_DEP_1) | instskip(NEXT) | instid1(VALU_DEP_1)
	v_floor_f32_e32 v1, v1
	v_fma_f32 v5, 0xcf800000, v1, |v0|
	v_ashrrev_i32_e32 v0, 31, v0
	v_cvt_u32_f32_e32 v6, v1
	s_delay_alu instid0(VALU_DEP_3) | instskip(NEXT) | instid1(VALU_DEP_2)
	v_cvt_u32_f32_e32 v5, v5
	v_dual_mov_b32 v1, v0 :: v_dual_bitop2_b32 v7, v6, v0 bitop3:0x14
	s_delay_alu instid0(VALU_DEP_2) | instskip(NEXT) | instid1(VALU_DEP_1)
	v_xor_b32_e32 v6, v5, v0
	v_sub_nc_u64_e32 v[0:1], v[6:7], v[0:1]
.LBB70_1675:
	s_mov_b32 s20, 0
	s_mov_b32 s21, -1
.LBB70_1676:
	s_and_not1_b32 vcc_lo, exec_lo, s20
	s_mov_b32 s20, 0
	s_cbranch_vccnz .LBB70_1687
; %bb.1677:
	s_cmp_gt_i32 s0, 14
	s_cbranch_scc0 .LBB70_1680
; %bb.1678:
	s_cmp_eq_u32 s0, 15
	s_cbranch_scc0 .LBB70_1683
; %bb.1679:
	s_wait_loadcnt 0x0
	global_load_u16 v0, v[2:3], off
	s_mov_b32 s19, 0
	s_mov_b32 s21, -1
	s_wait_loadcnt 0x0
	v_lshlrev_b32_e32 v0, 16, v0
	s_delay_alu instid0(VALU_DEP_1) | instskip(NEXT) | instid1(VALU_DEP_1)
	v_trunc_f32_e32 v0, v0
	v_mul_f32_e64 v1, 0x2f800000, |v0|
	s_delay_alu instid0(VALU_DEP_1) | instskip(NEXT) | instid1(VALU_DEP_1)
	v_floor_f32_e32 v1, v1
	v_fma_f32 v5, 0xcf800000, v1, |v0|
	v_ashrrev_i32_e32 v0, 31, v0
	v_cvt_u32_f32_e32 v6, v1
	s_delay_alu instid0(VALU_DEP_3) | instskip(NEXT) | instid1(VALU_DEP_2)
	v_cvt_u32_f32_e32 v5, v5
	v_dual_mov_b32 v1, v0 :: v_dual_bitop2_b32 v7, v6, v0 bitop3:0x14
	s_delay_alu instid0(VALU_DEP_2) | instskip(NEXT) | instid1(VALU_DEP_1)
	v_xor_b32_e32 v6, v5, v0
	v_sub_nc_u64_e32 v[0:1], v[6:7], v[0:1]
	s_branch .LBB70_1685
.LBB70_1680:
	s_mov_b32 s20, -1
	s_branch .LBB70_1684
.LBB70_1681:
	s_and_not1_saveexec_b32 s20, s20
	s_cbranch_execz .LBB70_1662
.LBB70_1682:
	v_cmp_ne_u16_e32 vcc_lo, 0, v5
	s_and_not1_b32 s21, s21, exec_lo
	s_and_b32 s22, vcc_lo, exec_lo
	s_delay_alu instid0(SALU_CYCLE_1)
	s_or_b32 s21, s21, s22
	s_or_b32 exec_lo, exec_lo, s20
	v_mov_b64_e32 v[0:1], 0
	s_and_saveexec_b32 s20, s21
	s_cbranch_execnz .LBB70_1663
	s_branch .LBB70_1664
.LBB70_1683:
	s_mov_b32 s19, -1
.LBB70_1684:
                                        ; implicit-def: $vgpr0_vgpr1
.LBB70_1685:
	s_and_b32 vcc_lo, exec_lo, s20
	s_mov_b32 s20, 0
	s_cbranch_vccz .LBB70_1687
; %bb.1686:
	s_cmp_lg_u32 s0, 11
	s_mov_b32 s20, -1
	s_cselect_b32 s19, -1, 0
.LBB70_1687:
	s_delay_alu instid0(SALU_CYCLE_1)
	s_and_b32 vcc_lo, exec_lo, s19
	s_cbranch_vccnz .LBB70_1750
; %bb.1688:
	s_and_not1_b32 vcc_lo, exec_lo, s20
	s_cbranch_vccnz .LBB70_1690
.LBB70_1689:
	s_wait_loadcnt 0x0
	global_load_u8 v0, v[2:3], off
	s_mov_b32 s0, 0
	s_mov_b32 s21, -1
	v_mov_b32_e32 v1, s0
	s_wait_loadcnt 0x0
	v_cmp_ne_u16_e32 vcc_lo, 0, v0
	v_cndmask_b32_e64 v0, 0, 1, vcc_lo
.LBB70_1690:
	s_branch .LBB70_1618
.LBB70_1691:
	s_and_b32 s0, 0xffff, s14
	s_delay_alu instid0(SALU_CYCLE_1)
	s_cmp_lt_i32 s0, 5
	s_cbranch_scc1 .LBB70_1696
; %bb.1692:
	s_cmp_lt_i32 s0, 8
	s_cbranch_scc1 .LBB70_1697
; %bb.1693:
	;; [unrolled: 3-line block ×3, first 2 shown]
	s_cmp_gt_i32 s0, 9
	s_cbranch_scc0 .LBB70_1699
; %bb.1695:
	s_wait_loadcnt 0x0
	global_load_b64 v[0:1], v[2:3], off
	s_mov_b32 s19, 0
	s_wait_loadcnt 0x0
	v_trunc_f64_e32 v[0:1], v[0:1]
	s_delay_alu instid0(VALU_DEP_1) | instskip(NEXT) | instid1(VALU_DEP_1)
	v_ldexp_f64 v[6:7], v[0:1], 0xffffffe0
	v_floor_f64_e32 v[6:7], v[6:7]
	s_delay_alu instid0(VALU_DEP_1) | instskip(SKIP_1) | instid1(VALU_DEP_2)
	v_fmamk_f64 v[8:9], v[6:7], 0xc1f00000, v[0:1]
	v_cvt_i32_f64_e32 v1, v[6:7]
	v_cvt_u32_f64_e32 v0, v[8:9]
	s_branch .LBB70_1700
.LBB70_1696:
                                        ; implicit-def: $vgpr0_vgpr1
	s_branch .LBB70_1718
.LBB70_1697:
	s_mov_b32 s19, -1
                                        ; implicit-def: $vgpr0_vgpr1
	s_branch .LBB70_1706
.LBB70_1698:
	s_mov_b32 s19, -1
                                        ; implicit-def: $vgpr0_vgpr1
	s_branch .LBB70_1703
.LBB70_1699:
	s_mov_b32 s19, -1
                                        ; implicit-def: $vgpr0_vgpr1
.LBB70_1700:
	s_delay_alu instid0(SALU_CYCLE_1)
	s_and_not1_b32 vcc_lo, exec_lo, s19
	s_cbranch_vccnz .LBB70_1702
; %bb.1701:
	s_wait_loadcnt 0x0
	global_load_b32 v0, v[2:3], off
	s_wait_loadcnt 0x0
	v_trunc_f32_e32 v0, v0
	s_delay_alu instid0(VALU_DEP_1) | instskip(NEXT) | instid1(VALU_DEP_1)
	v_mul_f32_e64 v1, 0x2f800000, |v0|
	v_floor_f32_e32 v1, v1
	s_delay_alu instid0(VALU_DEP_1) | instskip(SKIP_2) | instid1(VALU_DEP_3)
	v_fma_f32 v5, 0xcf800000, v1, |v0|
	v_ashrrev_i32_e32 v0, 31, v0
	v_cvt_u32_f32_e32 v6, v1
	v_cvt_u32_f32_e32 v5, v5
	s_delay_alu instid0(VALU_DEP_2) | instskip(NEXT) | instid1(VALU_DEP_2)
	v_dual_mov_b32 v1, v0 :: v_dual_bitop2_b32 v7, v6, v0 bitop3:0x14
	v_xor_b32_e32 v6, v5, v0
	s_delay_alu instid0(VALU_DEP_1)
	v_sub_nc_u64_e32 v[0:1], v[6:7], v[0:1]
.LBB70_1702:
	s_mov_b32 s19, 0
.LBB70_1703:
	s_delay_alu instid0(SALU_CYCLE_1)
	s_and_not1_b32 vcc_lo, exec_lo, s19
	s_cbranch_vccnz .LBB70_1705
; %bb.1704:
	s_wait_loadcnt 0x0
	global_load_b32 v0, v[2:3], off
	s_wait_loadcnt 0x0
	v_cvt_f32_f16_e32 v0, v0
	s_delay_alu instid0(VALU_DEP_1) | instskip(NEXT) | instid1(VALU_DEP_1)
	v_cvt_i32_f32_e32 v0, v0
	v_ashrrev_i32_e32 v1, 31, v0
.LBB70_1705:
	s_mov_b32 s19, 0
.LBB70_1706:
	s_delay_alu instid0(SALU_CYCLE_1)
	s_and_not1_b32 vcc_lo, exec_lo, s19
	s_cbranch_vccnz .LBB70_1717
; %bb.1707:
	s_cmp_lt_i32 s0, 6
	s_cbranch_scc1 .LBB70_1710
; %bb.1708:
	s_cmp_gt_i32 s0, 6
	s_cbranch_scc0 .LBB70_1711
; %bb.1709:
	s_wait_loadcnt 0x0
	global_load_b64 v[0:1], v[2:3], off
	s_mov_b32 s19, 0
	s_wait_loadcnt 0x0
	v_trunc_f64_e32 v[0:1], v[0:1]
	s_delay_alu instid0(VALU_DEP_1) | instskip(NEXT) | instid1(VALU_DEP_1)
	v_ldexp_f64 v[6:7], v[0:1], 0xffffffe0
	v_floor_f64_e32 v[6:7], v[6:7]
	s_delay_alu instid0(VALU_DEP_1) | instskip(SKIP_1) | instid1(VALU_DEP_2)
	v_fmamk_f64 v[8:9], v[6:7], 0xc1f00000, v[0:1]
	v_cvt_i32_f64_e32 v1, v[6:7]
	v_cvt_u32_f64_e32 v0, v[8:9]
	s_branch .LBB70_1712
.LBB70_1710:
	s_mov_b32 s19, -1
                                        ; implicit-def: $vgpr0_vgpr1
	s_branch .LBB70_1715
.LBB70_1711:
	s_mov_b32 s19, -1
                                        ; implicit-def: $vgpr0_vgpr1
.LBB70_1712:
	s_delay_alu instid0(SALU_CYCLE_1)
	s_and_not1_b32 vcc_lo, exec_lo, s19
	s_cbranch_vccnz .LBB70_1714
; %bb.1713:
	s_wait_loadcnt 0x0
	global_load_b32 v0, v[2:3], off
	s_wait_loadcnt 0x0
	v_trunc_f32_e32 v0, v0
	s_delay_alu instid0(VALU_DEP_1) | instskip(NEXT) | instid1(VALU_DEP_1)
	v_mul_f32_e64 v1, 0x2f800000, |v0|
	v_floor_f32_e32 v1, v1
	s_delay_alu instid0(VALU_DEP_1) | instskip(SKIP_2) | instid1(VALU_DEP_3)
	v_fma_f32 v5, 0xcf800000, v1, |v0|
	v_ashrrev_i32_e32 v0, 31, v0
	v_cvt_u32_f32_e32 v6, v1
	v_cvt_u32_f32_e32 v5, v5
	s_delay_alu instid0(VALU_DEP_2) | instskip(NEXT) | instid1(VALU_DEP_2)
	v_dual_mov_b32 v1, v0 :: v_dual_bitop2_b32 v7, v6, v0 bitop3:0x14
	v_xor_b32_e32 v6, v5, v0
	s_delay_alu instid0(VALU_DEP_1)
	v_sub_nc_u64_e32 v[0:1], v[6:7], v[0:1]
.LBB70_1714:
	s_mov_b32 s19, 0
.LBB70_1715:
	s_delay_alu instid0(SALU_CYCLE_1)
	s_and_not1_b32 vcc_lo, exec_lo, s19
	s_cbranch_vccnz .LBB70_1717
; %bb.1716:
	s_wait_loadcnt 0x0
	global_load_u16 v0, v[2:3], off
	s_wait_loadcnt 0x0
	v_cvt_f32_f16_e32 v0, v0
	s_delay_alu instid0(VALU_DEP_1) | instskip(NEXT) | instid1(VALU_DEP_1)
	v_cvt_i32_f32_e32 v0, v0
	v_ashrrev_i32_e32 v1, 31, v0
.LBB70_1717:
	s_cbranch_execnz .LBB70_1737
.LBB70_1718:
	s_cmp_lt_i32 s0, 2
	s_cbranch_scc1 .LBB70_1722
; %bb.1719:
	s_cmp_lt_i32 s0, 3
	s_cbranch_scc1 .LBB70_1723
; %bb.1720:
	s_cmp_gt_i32 s0, 3
	s_cbranch_scc0 .LBB70_1724
; %bb.1721:
	s_wait_loadcnt 0x0
	global_load_b64 v[0:1], v[2:3], off
	s_mov_b32 s19, 0
	s_branch .LBB70_1725
.LBB70_1722:
	s_mov_b32 s19, -1
                                        ; implicit-def: $vgpr0_vgpr1
	s_branch .LBB70_1731
.LBB70_1723:
	s_mov_b32 s19, -1
                                        ; implicit-def: $vgpr0_vgpr1
	s_branch .LBB70_1728
.LBB70_1724:
	s_mov_b32 s19, -1
                                        ; implicit-def: $vgpr0_vgpr1
.LBB70_1725:
	s_delay_alu instid0(SALU_CYCLE_1)
	s_and_not1_b32 vcc_lo, exec_lo, s19
	s_cbranch_vccnz .LBB70_1727
; %bb.1726:
	s_wait_loadcnt 0x0
	global_load_b32 v0, v[2:3], off
	s_wait_loadcnt 0x0
	v_ashrrev_i32_e32 v1, 31, v0
.LBB70_1727:
	s_mov_b32 s19, 0
.LBB70_1728:
	s_delay_alu instid0(SALU_CYCLE_1)
	s_and_not1_b32 vcc_lo, exec_lo, s19
	s_cbranch_vccnz .LBB70_1730
; %bb.1729:
	s_wait_loadcnt 0x0
	global_load_u16 v0, v[2:3], off
	s_wait_loadcnt 0x0
	v_bfe_i32 v0, v0, 0, 16
	s_delay_alu instid0(VALU_DEP_1)
	v_ashrrev_i32_e32 v1, 31, v0
.LBB70_1730:
	s_mov_b32 s19, 0
.LBB70_1731:
	s_delay_alu instid0(SALU_CYCLE_1)
	s_and_not1_b32 vcc_lo, exec_lo, s19
	s_cbranch_vccnz .LBB70_1737
; %bb.1732:
	s_cmp_gt_i32 s0, 0
	s_mov_b32 s0, 0
	s_cbranch_scc0 .LBB70_1734
; %bb.1733:
	s_wait_loadcnt 0x0
	global_load_i8 v0, v[2:3], off
	s_wait_loadcnt 0x0
	v_bfe_i32 v0, v0, 0, 16
	s_delay_alu instid0(VALU_DEP_1)
	v_ashrrev_i32_e32 v1, 31, v0
	s_branch .LBB70_1735
.LBB70_1734:
	s_mov_b32 s0, -1
                                        ; implicit-def: $vgpr0_vgpr1
.LBB70_1735:
	s_delay_alu instid0(SALU_CYCLE_1)
	s_and_not1_b32 vcc_lo, exec_lo, s0
	s_cbranch_vccnz .LBB70_1737
; %bb.1736:
	s_wait_loadcnt 0x0
	global_load_u8 v0, v[2:3], off
	s_mov_b32 s0, 0
	s_delay_alu instid0(SALU_CYCLE_1)
	v_mov_b32_e32 v1, s0
	s_wait_loadcnt 0x0
	v_and_b32_e32 v0, 0xffff, v0
.LBB70_1737:
.LBB70_1738:
	v_mul_lo_u32 v6, s5, v18
	s_and_b32 s0, 0xffff, s1
	s_delay_alu instid0(SALU_CYCLE_1) | instskip(NEXT) | instid1(VALU_DEP_1)
	s_cmp_lt_i32 s0, 11
	v_ashrrev_i32_e32 v7, 31, v6
	s_delay_alu instid0(VALU_DEP_1)
	v_add_nc_u64_e32 v[8:9], s[10:11], v[6:7]
	s_cbranch_scc1 .LBB70_1745
; %bb.1739:
	s_cmp_gt_i32 s0, 25
	s_mov_b32 s19, 0
	s_cbranch_scc0 .LBB70_1747
; %bb.1740:
	s_cmp_gt_i32 s0, 28
	s_cbranch_scc0 .LBB70_1748
; %bb.1741:
	s_cmp_gt_i32 s0, 43
	s_cbranch_scc0 .LBB70_1749
; %bb.1742:
	s_cmp_gt_i32 s0, 45
	s_cbranch_scc0 .LBB70_1751
; %bb.1743:
	s_cmp_eq_u32 s0, 46
	s_mov_b32 s21, 0
	s_cbranch_scc0 .LBB70_1752
; %bb.1744:
	global_load_b32 v2, v[8:9], off
	s_mov_b32 s1, 0
	s_mov_b32 s20, -1
	s_wait_loadcnt 0x0
	v_lshlrev_b32_e32 v2, 16, v2
	s_delay_alu instid0(VALU_DEP_1) | instskip(NEXT) | instid1(VALU_DEP_1)
	v_trunc_f32_e32 v2, v2
	v_mul_f32_e64 v3, 0x2f800000, |v2|
	s_delay_alu instid0(VALU_DEP_1) | instskip(NEXT) | instid1(VALU_DEP_1)
	v_floor_f32_e32 v3, v3
	v_fma_f32 v5, 0xcf800000, v3, |v2|
	v_ashrrev_i32_e32 v2, 31, v2
	v_cvt_u32_f32_e32 v7, v3
	s_delay_alu instid0(VALU_DEP_3) | instskip(NEXT) | instid1(VALU_DEP_2)
	v_cvt_u32_f32_e32 v5, v5
	v_dual_mov_b32 v3, v2 :: v_dual_bitop2_b32 v11, v7, v2 bitop3:0x14
	s_delay_alu instid0(VALU_DEP_2) | instskip(NEXT) | instid1(VALU_DEP_1)
	v_xor_b32_e32 v10, v5, v2
	v_sub_nc_u64_e32 v[2:3], v[10:11], v[2:3]
	s_branch .LBB70_1754
.LBB70_1745:
	s_mov_b32 s20, 0
                                        ; implicit-def: $vgpr2_vgpr3
	s_cbranch_execnz .LBB70_1816
.LBB70_1746:
	s_and_not1_b32 vcc_lo, exec_lo, s20
	s_cbranch_vccz .LBB70_1864
	s_branch .LBB70_3126
.LBB70_1747:
	s_mov_b32 s21, -1
	s_mov_b32 s20, 0
	s_mov_b32 s1, 0
                                        ; implicit-def: $vgpr2_vgpr3
	s_branch .LBB70_1781
.LBB70_1748:
	s_mov_b32 s21, -1
	s_mov_b32 s20, 0
	s_mov_b32 s1, 0
                                        ; implicit-def: $vgpr2_vgpr3
	s_branch .LBB70_1764
.LBB70_1749:
	s_mov_b32 s21, -1
	s_mov_b32 s20, 0
	s_mov_b32 s1, 0
                                        ; implicit-def: $vgpr2_vgpr3
	s_branch .LBB70_1759
.LBB70_1750:
	s_or_b32 s15, s15, exec_lo
	s_trap 2
	s_cbranch_execz .LBB70_1689
	s_branch .LBB70_1690
.LBB70_1751:
	s_mov_b32 s21, -1
	s_mov_b32 s20, 0
	s_mov_b32 s1, 0
	s_branch .LBB70_1753
.LBB70_1752:
	s_mov_b32 s1, -1
	s_mov_b32 s20, 0
.LBB70_1753:
                                        ; implicit-def: $vgpr2_vgpr3
.LBB70_1754:
	s_and_b32 vcc_lo, exec_lo, s21
	s_cbranch_vccz .LBB70_1758
; %bb.1755:
	s_cmp_eq_u32 s0, 44
	s_cbranch_scc0 .LBB70_1757
; %bb.1756:
	global_load_u8 v5, v[8:9], off
	s_mov_b32 s1, 0
	s_mov_b32 s20, -1
	s_wait_loadcnt 0x0
	v_cmp_ne_u32_e32 vcc_lo, 0, v5
	s_wait_xcnt 0x1
	v_lshlrev_b32_e32 v2, 23, v5
	s_delay_alu instid0(VALU_DEP_1) | instskip(NEXT) | instid1(VALU_DEP_1)
	v_trunc_f32_e32 v2, v2
	v_mul_f32_e64 v3, 0x2f800000, |v2|
	s_delay_alu instid0(VALU_DEP_1) | instskip(NEXT) | instid1(VALU_DEP_1)
	v_floor_f32_e32 v3, v3
	v_fma_f32 v7, 0xcf800000, v3, |v2|
	v_ashrrev_i32_e32 v2, 31, v2
	v_cvt_u32_f32_e32 v10, v3
	s_delay_alu instid0(VALU_DEP_3) | instskip(NEXT) | instid1(VALU_DEP_3)
	v_cvt_u32_f32_e32 v7, v7
	v_mov_b32_e32 v3, v2
	s_delay_alu instid0(VALU_DEP_3) | instskip(NEXT) | instid1(VALU_DEP_3)
	v_xor_b32_e32 v11, v10, v2
	v_xor_b32_e32 v10, v7, v2
	s_delay_alu instid0(VALU_DEP_1) | instskip(NEXT) | instid1(VALU_DEP_1)
	v_sub_nc_u64_e32 v[2:3], v[10:11], v[2:3]
	v_dual_cndmask_b32 v3, 0, v3 :: v_dual_cndmask_b32 v2, 0, v2
	s_branch .LBB70_1758
.LBB70_1757:
	s_mov_b32 s1, -1
                                        ; implicit-def: $vgpr2_vgpr3
.LBB70_1758:
	s_mov_b32 s21, 0
.LBB70_1759:
	s_delay_alu instid0(SALU_CYCLE_1)
	s_and_b32 vcc_lo, exec_lo, s21
	s_cbranch_vccz .LBB70_1763
; %bb.1760:
	s_cmp_eq_u32 s0, 29
	s_cbranch_scc0 .LBB70_1762
; %bb.1761:
	global_load_b64 v[2:3], v[8:9], off
	s_mov_b32 s1, 0
	s_mov_b32 s20, -1
	s_branch .LBB70_1763
.LBB70_1762:
	s_mov_b32 s1, -1
                                        ; implicit-def: $vgpr2_vgpr3
.LBB70_1763:
	s_mov_b32 s21, 0
.LBB70_1764:
	s_delay_alu instid0(SALU_CYCLE_1)
	s_and_b32 vcc_lo, exec_lo, s21
	s_cbranch_vccz .LBB70_1780
; %bb.1765:
	s_cmp_lt_i32 s0, 27
	s_cbranch_scc1 .LBB70_1768
; %bb.1766:
	s_cmp_gt_i32 s0, 27
	s_cbranch_scc0 .LBB70_1769
; %bb.1767:
	s_wait_loadcnt 0x0
	global_load_b32 v2, v[8:9], off
	v_mov_b32_e32 v3, 0
	s_mov_b32 s20, 0
	s_branch .LBB70_1770
.LBB70_1768:
	s_mov_b32 s20, -1
                                        ; implicit-def: $vgpr2_vgpr3
	s_branch .LBB70_1773
.LBB70_1769:
	s_mov_b32 s20, -1
                                        ; implicit-def: $vgpr2_vgpr3
.LBB70_1770:
	s_delay_alu instid0(SALU_CYCLE_1)
	s_and_not1_b32 vcc_lo, exec_lo, s20
	s_cbranch_vccnz .LBB70_1772
; %bb.1771:
	s_wait_loadcnt 0x0
	global_load_u16 v2, v[8:9], off
	s_mov_b32 s20, 0
	s_delay_alu instid0(SALU_CYCLE_1)
	v_mov_b32_e32 v3, s20
	s_wait_loadcnt 0x0
	v_and_b32_e32 v2, 0xffff, v2
.LBB70_1772:
	s_mov_b32 s20, 0
.LBB70_1773:
	s_delay_alu instid0(SALU_CYCLE_1)
	s_and_not1_b32 vcc_lo, exec_lo, s20
	s_cbranch_vccnz .LBB70_1779
; %bb.1774:
	global_load_u8 v5, v[8:9], off
	s_mov_b32 s21, 0
	s_mov_b32 s20, exec_lo
	s_wait_loadcnt 0x0
	v_cmpx_lt_i16_e32 0x7f, v5
	s_xor_b32 s20, exec_lo, s20
	s_cbranch_execz .LBB70_1791
; %bb.1775:
	v_cmp_ne_u16_e32 vcc_lo, 0x80, v5
	s_and_b32 s21, vcc_lo, exec_lo
	s_and_not1_saveexec_b32 s20, s20
	s_cbranch_execnz .LBB70_1792
.LBB70_1776:
	s_or_b32 exec_lo, exec_lo, s20
	v_mov_b64_e32 v[2:3], 0
	s_and_saveexec_b32 s20, s21
	s_cbranch_execz .LBB70_1778
.LBB70_1777:
	v_and_b32_e32 v2, 0xffff, v5
	s_delay_alu instid0(VALU_DEP_1) | instskip(SKIP_1) | instid1(VALU_DEP_2)
	v_and_b32_e32 v3, 7, v2
	v_bfe_u32 v11, v2, 3, 4
	v_clz_i32_u32_e32 v7, v3
	s_delay_alu instid0(VALU_DEP_2) | instskip(NEXT) | instid1(VALU_DEP_2)
	v_cmp_eq_u32_e32 vcc_lo, 0, v11
	v_min_u32_e32 v7, 32, v7
	s_delay_alu instid0(VALU_DEP_1) | instskip(NEXT) | instid1(VALU_DEP_1)
	v_subrev_nc_u32_e32 v10, 28, v7
	v_dual_lshlrev_b32 v2, v10, v2 :: v_dual_sub_nc_u32 v7, 29, v7
	s_delay_alu instid0(VALU_DEP_1) | instskip(NEXT) | instid1(VALU_DEP_2)
	v_dual_lshlrev_b32 v5, 24, v5 :: v_dual_bitop2_b32 v2, 7, v2 bitop3:0x40
	v_cndmask_b32_e32 v7, v11, v7, vcc_lo
	s_delay_alu instid0(VALU_DEP_2) | instskip(NEXT) | instid1(VALU_DEP_3)
	v_cndmask_b32_e32 v2, v3, v2, vcc_lo
	v_and_b32_e32 v3, 0x80000000, v5
	s_delay_alu instid0(VALU_DEP_3) | instskip(NEXT) | instid1(VALU_DEP_3)
	v_lshl_add_u32 v5, v7, 23, 0x3b800000
	v_lshlrev_b32_e32 v2, 20, v2
	s_delay_alu instid0(VALU_DEP_1) | instskip(NEXT) | instid1(VALU_DEP_1)
	v_or3_b32 v2, v3, v5, v2
	v_trunc_f32_e32 v2, v2
	s_delay_alu instid0(VALU_DEP_1) | instskip(NEXT) | instid1(VALU_DEP_1)
	v_mul_f32_e64 v3, 0x2f800000, |v2|
	v_floor_f32_e32 v3, v3
	s_delay_alu instid0(VALU_DEP_1) | instskip(SKIP_2) | instid1(VALU_DEP_3)
	v_fma_f32 v5, 0xcf800000, v3, |v2|
	v_ashrrev_i32_e32 v2, 31, v2
	v_cvt_u32_f32_e32 v7, v3
	v_cvt_u32_f32_e32 v5, v5
	s_delay_alu instid0(VALU_DEP_2) | instskip(NEXT) | instid1(VALU_DEP_2)
	v_dual_mov_b32 v3, v2 :: v_dual_bitop2_b32 v11, v7, v2 bitop3:0x14
	v_xor_b32_e32 v10, v5, v2
	s_delay_alu instid0(VALU_DEP_1)
	v_sub_nc_u64_e32 v[2:3], v[10:11], v[2:3]
.LBB70_1778:
	s_or_b32 exec_lo, exec_lo, s20
.LBB70_1779:
	s_mov_b32 s20, -1
.LBB70_1780:
	s_mov_b32 s21, 0
.LBB70_1781:
	s_delay_alu instid0(SALU_CYCLE_1)
	s_and_b32 vcc_lo, exec_lo, s21
	s_cbranch_vccz .LBB70_1812
; %bb.1782:
	s_cmp_gt_i32 s0, 22
	s_cbranch_scc0 .LBB70_1790
; %bb.1783:
	s_cmp_lt_i32 s0, 24
	s_cbranch_scc1 .LBB70_1793
; %bb.1784:
	s_cmp_gt_i32 s0, 24
	s_cbranch_scc0 .LBB70_1794
; %bb.1785:
	global_load_u8 v5, v[8:9], off
	s_mov_b32 s20, 0
	s_mov_b32 s19, exec_lo
	s_wait_loadcnt 0x0
	v_cmpx_lt_i16_e32 0x7f, v5
	s_xor_b32 s19, exec_lo, s19
	s_cbranch_execz .LBB70_1806
; %bb.1786:
	v_cmp_ne_u16_e32 vcc_lo, 0x80, v5
	s_and_b32 s20, vcc_lo, exec_lo
	s_and_not1_saveexec_b32 s19, s19
	s_cbranch_execnz .LBB70_1807
.LBB70_1787:
	s_or_b32 exec_lo, exec_lo, s19
	v_mov_b64_e32 v[2:3], 0
	s_and_saveexec_b32 s19, s20
	s_cbranch_execz .LBB70_1789
.LBB70_1788:
	v_and_b32_e32 v2, 0xffff, v5
	s_delay_alu instid0(VALU_DEP_1) | instskip(SKIP_1) | instid1(VALU_DEP_2)
	v_and_b32_e32 v3, 3, v2
	v_bfe_u32 v11, v2, 2, 5
	v_clz_i32_u32_e32 v7, v3
	s_delay_alu instid0(VALU_DEP_2) | instskip(NEXT) | instid1(VALU_DEP_2)
	v_cmp_eq_u32_e32 vcc_lo, 0, v11
	v_min_u32_e32 v7, 32, v7
	s_delay_alu instid0(VALU_DEP_1) | instskip(NEXT) | instid1(VALU_DEP_1)
	v_subrev_nc_u32_e32 v10, 29, v7
	v_dual_lshlrev_b32 v2, v10, v2 :: v_dual_sub_nc_u32 v7, 30, v7
	s_delay_alu instid0(VALU_DEP_1) | instskip(NEXT) | instid1(VALU_DEP_2)
	v_dual_lshlrev_b32 v5, 24, v5 :: v_dual_bitop2_b32 v2, 3, v2 bitop3:0x40
	v_cndmask_b32_e32 v7, v11, v7, vcc_lo
	s_delay_alu instid0(VALU_DEP_2) | instskip(NEXT) | instid1(VALU_DEP_3)
	v_cndmask_b32_e32 v2, v3, v2, vcc_lo
	v_and_b32_e32 v3, 0x80000000, v5
	s_delay_alu instid0(VALU_DEP_3) | instskip(NEXT) | instid1(VALU_DEP_3)
	v_lshl_add_u32 v5, v7, 23, 0x37800000
	v_lshlrev_b32_e32 v2, 21, v2
	s_delay_alu instid0(VALU_DEP_1) | instskip(NEXT) | instid1(VALU_DEP_1)
	v_or3_b32 v2, v3, v5, v2
	v_trunc_f32_e32 v2, v2
	s_delay_alu instid0(VALU_DEP_1) | instskip(NEXT) | instid1(VALU_DEP_1)
	v_mul_f32_e64 v3, 0x2f800000, |v2|
	v_floor_f32_e32 v3, v3
	s_delay_alu instid0(VALU_DEP_1) | instskip(SKIP_2) | instid1(VALU_DEP_3)
	v_fma_f32 v5, 0xcf800000, v3, |v2|
	v_ashrrev_i32_e32 v2, 31, v2
	v_cvt_u32_f32_e32 v7, v3
	v_cvt_u32_f32_e32 v5, v5
	s_delay_alu instid0(VALU_DEP_2) | instskip(NEXT) | instid1(VALU_DEP_2)
	v_dual_mov_b32 v3, v2 :: v_dual_bitop2_b32 v11, v7, v2 bitop3:0x14
	v_xor_b32_e32 v10, v5, v2
	s_delay_alu instid0(VALU_DEP_1)
	v_sub_nc_u64_e32 v[2:3], v[10:11], v[2:3]
.LBB70_1789:
	s_or_b32 exec_lo, exec_lo, s19
	s_mov_b32 s19, 0
	s_branch .LBB70_1795
.LBB70_1790:
	s_mov_b32 s19, -1
                                        ; implicit-def: $vgpr2_vgpr3
	s_branch .LBB70_1801
.LBB70_1791:
	s_and_not1_saveexec_b32 s20, s20
	s_cbranch_execz .LBB70_1776
.LBB70_1792:
	v_cmp_ne_u16_e32 vcc_lo, 0, v5
	s_and_not1_b32 s21, s21, exec_lo
	s_and_b32 s22, vcc_lo, exec_lo
	s_delay_alu instid0(SALU_CYCLE_1)
	s_or_b32 s21, s21, s22
	s_or_b32 exec_lo, exec_lo, s20
	v_mov_b64_e32 v[2:3], 0
	s_and_saveexec_b32 s20, s21
	s_cbranch_execnz .LBB70_1777
	s_branch .LBB70_1778
.LBB70_1793:
	s_mov_b32 s19, -1
                                        ; implicit-def: $vgpr2_vgpr3
	s_branch .LBB70_1798
.LBB70_1794:
	s_mov_b32 s19, -1
                                        ; implicit-def: $vgpr2_vgpr3
.LBB70_1795:
	s_delay_alu instid0(SALU_CYCLE_1)
	s_and_b32 vcc_lo, exec_lo, s19
	s_cbranch_vccz .LBB70_1797
; %bb.1796:
	s_wait_loadcnt 0x0
	global_load_u8 v2, v[8:9], off
	s_wait_loadcnt 0x0
	v_lshlrev_b32_e32 v2, 24, v2
	s_delay_alu instid0(VALU_DEP_1) | instskip(NEXT) | instid1(VALU_DEP_1)
	v_and_b32_e32 v3, 0x7f000000, v2
	v_clz_i32_u32_e32 v5, v3
	v_cmp_ne_u32_e32 vcc_lo, 0, v3
	v_add_nc_u32_e32 v10, 0x1000000, v3
	s_delay_alu instid0(VALU_DEP_3) | instskip(NEXT) | instid1(VALU_DEP_1)
	v_min_u32_e32 v5, 32, v5
	v_sub_nc_u32_e64 v5, v5, 4 clamp
	s_delay_alu instid0(VALU_DEP_1) | instskip(NEXT) | instid1(VALU_DEP_1)
	v_dual_lshlrev_b32 v7, v5, v3 :: v_dual_lshlrev_b32 v5, 23, v5
	v_lshrrev_b32_e32 v7, 4, v7
	s_delay_alu instid0(VALU_DEP_1) | instskip(NEXT) | instid1(VALU_DEP_1)
	v_dual_sub_nc_u32 v5, v7, v5 :: v_dual_ashrrev_i32 v7, 8, v10
	v_add_nc_u32_e32 v5, 0x3c000000, v5
	s_delay_alu instid0(VALU_DEP_1) | instskip(NEXT) | instid1(VALU_DEP_1)
	v_and_or_b32 v5, 0x7f800000, v7, v5
	v_cndmask_b32_e32 v3, 0, v5, vcc_lo
	s_delay_alu instid0(VALU_DEP_1) | instskip(NEXT) | instid1(VALU_DEP_1)
	v_and_or_b32 v2, 0x80000000, v2, v3
	v_trunc_f32_e32 v2, v2
	s_delay_alu instid0(VALU_DEP_1) | instskip(NEXT) | instid1(VALU_DEP_1)
	v_mul_f32_e64 v3, 0x2f800000, |v2|
	v_floor_f32_e32 v3, v3
	s_delay_alu instid0(VALU_DEP_1) | instskip(SKIP_2) | instid1(VALU_DEP_3)
	v_fma_f32 v5, 0xcf800000, v3, |v2|
	v_ashrrev_i32_e32 v2, 31, v2
	v_cvt_u32_f32_e32 v7, v3
	v_cvt_u32_f32_e32 v5, v5
	s_delay_alu instid0(VALU_DEP_2) | instskip(NEXT) | instid1(VALU_DEP_2)
	v_dual_mov_b32 v3, v2 :: v_dual_bitop2_b32 v11, v7, v2 bitop3:0x14
	v_xor_b32_e32 v10, v5, v2
	s_delay_alu instid0(VALU_DEP_1)
	v_sub_nc_u64_e32 v[2:3], v[10:11], v[2:3]
.LBB70_1797:
	s_mov_b32 s19, 0
.LBB70_1798:
	s_delay_alu instid0(SALU_CYCLE_1)
	s_and_not1_b32 vcc_lo, exec_lo, s19
	s_cbranch_vccnz .LBB70_1800
; %bb.1799:
	s_wait_loadcnt 0x0
	global_load_u8 v2, v[8:9], off
	s_wait_loadcnt 0x0
	v_lshlrev_b32_e32 v3, 25, v2
	v_lshlrev_b16 v2, 8, v2
	s_delay_alu instid0(VALU_DEP_1) | instskip(SKIP_1) | instid1(VALU_DEP_2)
	v_and_or_b32 v7, 0x7f00, v2, 0.5
	v_bfe_i32 v2, v2, 0, 16
	v_add_f32_e32 v7, -0.5, v7
	v_lshrrev_b32_e32 v5, 4, v3
	v_cmp_gt_u32_e32 vcc_lo, 0x8000000, v3
	s_delay_alu instid0(VALU_DEP_2) | instskip(NEXT) | instid1(VALU_DEP_1)
	v_or_b32_e32 v5, 0x70000000, v5
	v_mul_f32_e32 v5, 0x7800000, v5
	s_delay_alu instid0(VALU_DEP_1) | instskip(NEXT) | instid1(VALU_DEP_1)
	v_cndmask_b32_e32 v3, v5, v7, vcc_lo
	v_and_or_b32 v2, 0x80000000, v2, v3
	s_delay_alu instid0(VALU_DEP_1) | instskip(NEXT) | instid1(VALU_DEP_1)
	v_trunc_f32_e32 v2, v2
	v_mul_f32_e64 v3, 0x2f800000, |v2|
	s_delay_alu instid0(VALU_DEP_1) | instskip(NEXT) | instid1(VALU_DEP_1)
	v_floor_f32_e32 v3, v3
	v_fma_f32 v5, 0xcf800000, v3, |v2|
	v_ashrrev_i32_e32 v2, 31, v2
	v_cvt_u32_f32_e32 v7, v3
	s_delay_alu instid0(VALU_DEP_3) | instskip(NEXT) | instid1(VALU_DEP_2)
	v_cvt_u32_f32_e32 v5, v5
	v_dual_mov_b32 v3, v2 :: v_dual_bitop2_b32 v11, v7, v2 bitop3:0x14
	s_delay_alu instid0(VALU_DEP_2) | instskip(NEXT) | instid1(VALU_DEP_1)
	v_xor_b32_e32 v10, v5, v2
	v_sub_nc_u64_e32 v[2:3], v[10:11], v[2:3]
.LBB70_1800:
	s_mov_b32 s19, 0
	s_mov_b32 s20, -1
.LBB70_1801:
	s_and_not1_b32 vcc_lo, exec_lo, s19
	s_mov_b32 s19, 0
	s_cbranch_vccnz .LBB70_1812
; %bb.1802:
	s_cmp_gt_i32 s0, 14
	s_cbranch_scc0 .LBB70_1805
; %bb.1803:
	s_cmp_eq_u32 s0, 15
	s_cbranch_scc0 .LBB70_1808
; %bb.1804:
	s_wait_loadcnt 0x0
	global_load_u16 v2, v[8:9], off
	s_mov_b32 s1, 0
	s_mov_b32 s20, -1
	s_wait_loadcnt 0x0
	v_lshlrev_b32_e32 v2, 16, v2
	s_delay_alu instid0(VALU_DEP_1) | instskip(NEXT) | instid1(VALU_DEP_1)
	v_trunc_f32_e32 v2, v2
	v_mul_f32_e64 v3, 0x2f800000, |v2|
	s_delay_alu instid0(VALU_DEP_1) | instskip(NEXT) | instid1(VALU_DEP_1)
	v_floor_f32_e32 v3, v3
	v_fma_f32 v5, 0xcf800000, v3, |v2|
	v_ashrrev_i32_e32 v2, 31, v2
	v_cvt_u32_f32_e32 v7, v3
	s_delay_alu instid0(VALU_DEP_3) | instskip(NEXT) | instid1(VALU_DEP_2)
	v_cvt_u32_f32_e32 v5, v5
	v_dual_mov_b32 v3, v2 :: v_dual_bitop2_b32 v11, v7, v2 bitop3:0x14
	s_delay_alu instid0(VALU_DEP_2) | instskip(NEXT) | instid1(VALU_DEP_1)
	v_xor_b32_e32 v10, v5, v2
	v_sub_nc_u64_e32 v[2:3], v[10:11], v[2:3]
	s_branch .LBB70_1810
.LBB70_1805:
	s_mov_b32 s19, -1
	s_branch .LBB70_1809
.LBB70_1806:
	s_and_not1_saveexec_b32 s19, s19
	s_cbranch_execz .LBB70_1787
.LBB70_1807:
	v_cmp_ne_u16_e32 vcc_lo, 0, v5
	s_and_not1_b32 s20, s20, exec_lo
	s_and_b32 s21, vcc_lo, exec_lo
	s_delay_alu instid0(SALU_CYCLE_1)
	s_or_b32 s20, s20, s21
	s_or_b32 exec_lo, exec_lo, s19
	v_mov_b64_e32 v[2:3], 0
	s_and_saveexec_b32 s19, s20
	s_cbranch_execnz .LBB70_1788
	s_branch .LBB70_1789
.LBB70_1808:
	s_mov_b32 s1, -1
.LBB70_1809:
                                        ; implicit-def: $vgpr2_vgpr3
.LBB70_1810:
	s_and_b32 vcc_lo, exec_lo, s19
	s_mov_b32 s19, 0
	s_cbranch_vccz .LBB70_1812
; %bb.1811:
	s_cmp_lg_u32 s0, 11
	s_mov_b32 s19, -1
	s_cselect_b32 s1, -1, 0
.LBB70_1812:
	s_delay_alu instid0(SALU_CYCLE_1)
	s_and_b32 vcc_lo, exec_lo, s1
	s_cbranch_vccnz .LBB70_1894
; %bb.1813:
	s_and_not1_b32 vcc_lo, exec_lo, s19
	s_cbranch_vccnz .LBB70_1815
.LBB70_1814:
	s_wait_loadcnt 0x0
	global_load_u8 v2, v[8:9], off
	s_mov_b32 s1, 0
	s_mov_b32 s20, -1
	v_mov_b32_e32 v3, s1
	s_wait_loadcnt 0x0
	v_cmp_ne_u16_e32 vcc_lo, 0, v2
	v_cndmask_b32_e64 v2, 0, 1, vcc_lo
.LBB70_1815:
	s_branch .LBB70_1746
.LBB70_1816:
	s_cmp_lt_i32 s0, 5
	s_cbranch_scc1 .LBB70_1821
; %bb.1817:
	s_cmp_lt_i32 s0, 8
	s_cbranch_scc1 .LBB70_1822
; %bb.1818:
	;; [unrolled: 3-line block ×3, first 2 shown]
	s_cmp_gt_i32 s0, 9
	s_cbranch_scc0 .LBB70_1824
; %bb.1820:
	s_wait_loadcnt 0x0
	global_load_b64 v[2:3], v[8:9], off
	s_mov_b32 s1, 0
	s_wait_loadcnt 0x0
	v_trunc_f64_e32 v[2:3], v[2:3]
	s_delay_alu instid0(VALU_DEP_1) | instskip(NEXT) | instid1(VALU_DEP_1)
	v_ldexp_f64 v[10:11], v[2:3], 0xffffffe0
	v_floor_f64_e32 v[10:11], v[10:11]
	s_delay_alu instid0(VALU_DEP_1) | instskip(SKIP_1) | instid1(VALU_DEP_2)
	v_fmamk_f64 v[12:13], v[10:11], 0xc1f00000, v[2:3]
	v_cvt_i32_f64_e32 v3, v[10:11]
	v_cvt_u32_f64_e32 v2, v[12:13]
	s_branch .LBB70_1825
.LBB70_1821:
	s_mov_b32 s1, -1
                                        ; implicit-def: $vgpr2_vgpr3
	s_branch .LBB70_1843
.LBB70_1822:
	s_mov_b32 s1, -1
                                        ; implicit-def: $vgpr2_vgpr3
	s_branch .LBB70_1831
.LBB70_1823:
	s_mov_b32 s1, -1
                                        ; implicit-def: $vgpr2_vgpr3
	s_branch .LBB70_1828
.LBB70_1824:
	s_mov_b32 s1, -1
                                        ; implicit-def: $vgpr2_vgpr3
.LBB70_1825:
	s_delay_alu instid0(SALU_CYCLE_1)
	s_and_not1_b32 vcc_lo, exec_lo, s1
	s_cbranch_vccnz .LBB70_1827
; %bb.1826:
	s_wait_loadcnt 0x0
	global_load_b32 v2, v[8:9], off
	s_wait_loadcnt 0x0
	v_trunc_f32_e32 v2, v2
	s_delay_alu instid0(VALU_DEP_1) | instskip(NEXT) | instid1(VALU_DEP_1)
	v_mul_f32_e64 v3, 0x2f800000, |v2|
	v_floor_f32_e32 v3, v3
	s_delay_alu instid0(VALU_DEP_1) | instskip(SKIP_2) | instid1(VALU_DEP_3)
	v_fma_f32 v5, 0xcf800000, v3, |v2|
	v_ashrrev_i32_e32 v2, 31, v2
	v_cvt_u32_f32_e32 v7, v3
	v_cvt_u32_f32_e32 v5, v5
	s_delay_alu instid0(VALU_DEP_2) | instskip(NEXT) | instid1(VALU_DEP_2)
	v_dual_mov_b32 v3, v2 :: v_dual_bitop2_b32 v11, v7, v2 bitop3:0x14
	v_xor_b32_e32 v10, v5, v2
	s_delay_alu instid0(VALU_DEP_1)
	v_sub_nc_u64_e32 v[2:3], v[10:11], v[2:3]
.LBB70_1827:
	s_mov_b32 s1, 0
.LBB70_1828:
	s_delay_alu instid0(SALU_CYCLE_1)
	s_and_not1_b32 vcc_lo, exec_lo, s1
	s_cbranch_vccnz .LBB70_1830
; %bb.1829:
	s_wait_loadcnt 0x0
	global_load_b32 v2, v[8:9], off
	s_wait_loadcnt 0x0
	v_cvt_f32_f16_e32 v2, v2
	s_delay_alu instid0(VALU_DEP_1) | instskip(NEXT) | instid1(VALU_DEP_1)
	v_cvt_i32_f32_e32 v2, v2
	v_ashrrev_i32_e32 v3, 31, v2
.LBB70_1830:
	s_mov_b32 s1, 0
.LBB70_1831:
	s_delay_alu instid0(SALU_CYCLE_1)
	s_and_not1_b32 vcc_lo, exec_lo, s1
	s_cbranch_vccnz .LBB70_1842
; %bb.1832:
	s_cmp_lt_i32 s0, 6
	s_cbranch_scc1 .LBB70_1835
; %bb.1833:
	s_cmp_gt_i32 s0, 6
	s_cbranch_scc0 .LBB70_1836
; %bb.1834:
	s_wait_loadcnt 0x0
	global_load_b64 v[2:3], v[8:9], off
	s_mov_b32 s1, 0
	s_wait_loadcnt 0x0
	v_trunc_f64_e32 v[2:3], v[2:3]
	s_delay_alu instid0(VALU_DEP_1) | instskip(NEXT) | instid1(VALU_DEP_1)
	v_ldexp_f64 v[10:11], v[2:3], 0xffffffe0
	v_floor_f64_e32 v[10:11], v[10:11]
	s_delay_alu instid0(VALU_DEP_1) | instskip(SKIP_1) | instid1(VALU_DEP_2)
	v_fmamk_f64 v[12:13], v[10:11], 0xc1f00000, v[2:3]
	v_cvt_i32_f64_e32 v3, v[10:11]
	v_cvt_u32_f64_e32 v2, v[12:13]
	s_branch .LBB70_1837
.LBB70_1835:
	s_mov_b32 s1, -1
                                        ; implicit-def: $vgpr2_vgpr3
	s_branch .LBB70_1840
.LBB70_1836:
	s_mov_b32 s1, -1
                                        ; implicit-def: $vgpr2_vgpr3
.LBB70_1837:
	s_delay_alu instid0(SALU_CYCLE_1)
	s_and_not1_b32 vcc_lo, exec_lo, s1
	s_cbranch_vccnz .LBB70_1839
; %bb.1838:
	s_wait_loadcnt 0x0
	global_load_b32 v2, v[8:9], off
	s_wait_loadcnt 0x0
	v_trunc_f32_e32 v2, v2
	s_delay_alu instid0(VALU_DEP_1) | instskip(NEXT) | instid1(VALU_DEP_1)
	v_mul_f32_e64 v3, 0x2f800000, |v2|
	v_floor_f32_e32 v3, v3
	s_delay_alu instid0(VALU_DEP_1) | instskip(SKIP_2) | instid1(VALU_DEP_3)
	v_fma_f32 v5, 0xcf800000, v3, |v2|
	v_ashrrev_i32_e32 v2, 31, v2
	v_cvt_u32_f32_e32 v7, v3
	v_cvt_u32_f32_e32 v5, v5
	s_delay_alu instid0(VALU_DEP_2) | instskip(NEXT) | instid1(VALU_DEP_2)
	v_dual_mov_b32 v3, v2 :: v_dual_bitop2_b32 v11, v7, v2 bitop3:0x14
	v_xor_b32_e32 v10, v5, v2
	s_delay_alu instid0(VALU_DEP_1)
	v_sub_nc_u64_e32 v[2:3], v[10:11], v[2:3]
.LBB70_1839:
	s_mov_b32 s1, 0
.LBB70_1840:
	s_delay_alu instid0(SALU_CYCLE_1)
	s_and_not1_b32 vcc_lo, exec_lo, s1
	s_cbranch_vccnz .LBB70_1842
; %bb.1841:
	s_wait_loadcnt 0x0
	global_load_u16 v2, v[8:9], off
	s_wait_loadcnt 0x0
	v_cvt_f32_f16_e32 v2, v2
	s_delay_alu instid0(VALU_DEP_1) | instskip(NEXT) | instid1(VALU_DEP_1)
	v_cvt_i32_f32_e32 v2, v2
	v_ashrrev_i32_e32 v3, 31, v2
.LBB70_1842:
	s_mov_b32 s1, 0
.LBB70_1843:
	s_delay_alu instid0(SALU_CYCLE_1)
	s_and_not1_b32 vcc_lo, exec_lo, s1
	s_cbranch_vccnz .LBB70_1863
; %bb.1844:
	s_cmp_lt_i32 s0, 2
	s_cbranch_scc1 .LBB70_1848
; %bb.1845:
	s_cmp_lt_i32 s0, 3
	s_cbranch_scc1 .LBB70_1849
; %bb.1846:
	s_cmp_gt_i32 s0, 3
	s_cbranch_scc0 .LBB70_1850
; %bb.1847:
	s_wait_loadcnt 0x0
	global_load_b64 v[2:3], v[8:9], off
	s_mov_b32 s1, 0
	s_branch .LBB70_1851
.LBB70_1848:
	s_mov_b32 s1, -1
                                        ; implicit-def: $vgpr2_vgpr3
	s_branch .LBB70_1857
.LBB70_1849:
	s_mov_b32 s1, -1
                                        ; implicit-def: $vgpr2_vgpr3
	s_branch .LBB70_1854
.LBB70_1850:
	s_mov_b32 s1, -1
                                        ; implicit-def: $vgpr2_vgpr3
.LBB70_1851:
	s_delay_alu instid0(SALU_CYCLE_1)
	s_and_not1_b32 vcc_lo, exec_lo, s1
	s_cbranch_vccnz .LBB70_1853
; %bb.1852:
	s_wait_loadcnt 0x0
	global_load_b32 v2, v[8:9], off
	s_wait_loadcnt 0x0
	v_ashrrev_i32_e32 v3, 31, v2
.LBB70_1853:
	s_mov_b32 s1, 0
.LBB70_1854:
	s_delay_alu instid0(SALU_CYCLE_1)
	s_and_not1_b32 vcc_lo, exec_lo, s1
	s_cbranch_vccnz .LBB70_1856
; %bb.1855:
	s_wait_loadcnt 0x0
	global_load_u16 v2, v[8:9], off
	s_wait_loadcnt 0x0
	v_bfe_i32 v2, v2, 0, 16
	s_delay_alu instid0(VALU_DEP_1)
	v_ashrrev_i32_e32 v3, 31, v2
.LBB70_1856:
	s_mov_b32 s1, 0
.LBB70_1857:
	s_delay_alu instid0(SALU_CYCLE_1)
	s_and_not1_b32 vcc_lo, exec_lo, s1
	s_cbranch_vccnz .LBB70_1863
; %bb.1858:
	s_cmp_gt_i32 s0, 0
	s_mov_b32 s1, 0
	s_cbranch_scc0 .LBB70_1860
; %bb.1859:
	s_wait_loadcnt 0x0
	global_load_i8 v2, v[8:9], off
	s_wait_loadcnt 0x0
	v_bfe_i32 v2, v2, 0, 16
	s_delay_alu instid0(VALU_DEP_1)
	v_ashrrev_i32_e32 v3, 31, v2
	s_branch .LBB70_1861
.LBB70_1860:
	s_mov_b32 s1, -1
                                        ; implicit-def: $vgpr2_vgpr3
.LBB70_1861:
	s_delay_alu instid0(SALU_CYCLE_1)
	s_and_not1_b32 vcc_lo, exec_lo, s1
	s_cbranch_vccnz .LBB70_1863
; %bb.1862:
	s_wait_loadcnt 0x0
	global_load_u8 v2, v[8:9], off
	s_mov_b32 s1, 0
	s_delay_alu instid0(SALU_CYCLE_1)
	v_mov_b32_e32 v3, s1
	s_wait_loadcnt 0x0
	v_and_b32_e32 v2, 0xffff, v2
.LBB70_1863:
.LBB70_1864:
	s_cmp_lt_i32 s16, 23
	s_cbranch_scc1 .LBB70_1868
; %bb.1865:
	s_and_b32 s20, 0xffff, s16
	s_delay_alu instid0(SALU_CYCLE_1)
	s_cmp_gt_i32 s20, 43
	s_cbranch_scc0 .LBB70_1869
; %bb.1866:
	s_cmp_gt_i32 s20, 45
	s_cbranch_scc0 .LBB70_1870
; %bb.1867:
	s_cmp_lg_u32 s20, 46
	s_mov_b32 s21, 0
	s_mov_b32 s1, -1
	s_cselect_b32 s19, -1, 0
	s_branch .LBB70_1871
.LBB70_1868:
	s_mov_b32 s20, -1
	s_mov_b32 s1, 0
	s_mov_b32 s19, 0
	s_branch .LBB70_1877
.LBB70_1869:
	s_mov_b32 s21, -1
	s_mov_b32 s1, 0
	s_mov_b32 s19, 0
	s_branch .LBB70_1874
.LBB70_1870:
	s_mov_b32 s21, -1
	s_mov_b32 s1, 0
	s_mov_b32 s19, 0
.LBB70_1871:
	s_and_not1_b32 vcc_lo, exec_lo, s21
	s_cbranch_vccnz .LBB70_1873
; %bb.1872:
	s_cmp_eq_u32 s20, 44
	s_cselect_b32 s1, -1, 0
	s_cmp_lg_u32 s20, 44
	s_cselect_b32 s19, -1, 0
.LBB70_1873:
	s_mov_b32 s21, 0
.LBB70_1874:
	s_delay_alu instid0(SALU_CYCLE_1)
	s_and_b32 vcc_lo, exec_lo, s21
	s_cbranch_vccz .LBB70_1876
; %bb.1875:
	s_cmp_lt_i32 s20, 30
	s_cselect_b32 s1, -1, 0
	s_cmp_gt_i32 s20, 29
	s_cselect_b32 s19, -1, 0
.LBB70_1876:
	s_mov_b32 s20, 0
.LBB70_1877:
	s_delay_alu instid0(SALU_CYCLE_1)
	s_and_b32 vcc_lo, exec_lo, s20
	s_cbranch_vccz .LBB70_1882
; %bb.1878:
	s_and_b32 s20, 0xffff, s16
	s_mov_b32 s21, -1
	s_cmp_gt_i32 s20, 14
	s_cbranch_scc0 .LBB70_1880
; %bb.1879:
	s_cmp_eq_u32 s20, 15
	s_mov_b32 s21, 0
	s_cselect_b32 s1, -1, 0
	s_cmp_lg_u32 s20, 15
	s_cselect_b32 s19, -1, 0
.LBB70_1880:
	s_and_not1_b32 vcc_lo, exec_lo, s21
	s_cbranch_vccnz .LBB70_1882
; %bb.1881:
	s_cmp_lt_i32 s20, 12
	s_cselect_b32 s1, -1, 0
	s_cmp_gt_i32 s20, 11
	s_cselect_b32 s19, -1, 0
.LBB70_1882:
	s_delay_alu instid0(SALU_CYCLE_1)
	s_and_b32 vcc_lo, exec_lo, s19
	s_cbranch_vccnz .LBB70_1895
; %bb.1883:
	s_and_not1_b32 vcc_lo, exec_lo, s1
	s_cbranch_vccnz .LBB70_3126
.LBB70_1884:
	s_lshl_b32 s1, s4, 7
	s_cmp_lt_i32 s14, 11
	s_wait_xcnt 0x0
	v_add_nc_u32_e32 v8, s1, v4
	s_delay_alu instid0(VALU_DEP_1) | instskip(NEXT) | instid1(VALU_DEP_1)
	v_ashrrev_i32_e32 v9, 31, v8
	v_add_nc_u64_e32 v[10:11], s[8:9], v[8:9]
	s_cbranch_scc1 .LBB70_1891
; %bb.1885:
	s_and_b32 s4, 0xffff, s14
	s_mov_b32 s20, 0
	s_cmp_gt_i32 s4, 25
	s_cbranch_scc0 .LBB70_1892
; %bb.1886:
	s_cmp_gt_i32 s4, 28
	s_cbranch_scc0 .LBB70_1893
; %bb.1887:
	;; [unrolled: 3-line block ×4, first 2 shown]
	s_cmp_eq_u32 s4, 46
	s_mov_b32 s22, 0
	s_cbranch_scc0 .LBB70_1898
; %bb.1890:
	global_load_b32 v4, v[10:11], off
	s_mov_b32 s19, 0
	s_mov_b32 s21, -1
	s_wait_loadcnt 0x0
	v_lshlrev_b32_e32 v4, 16, v4
	s_delay_alu instid0(VALU_DEP_1) | instskip(NEXT) | instid1(VALU_DEP_1)
	v_trunc_f32_e32 v4, v4
	v_mul_f32_e64 v5, 0x2f800000, |v4|
	s_delay_alu instid0(VALU_DEP_1) | instskip(NEXT) | instid1(VALU_DEP_1)
	v_floor_f32_e32 v5, v5
	v_fma_f32 v7, 0xcf800000, v5, |v4|
	v_ashrrev_i32_e32 v4, 31, v4
	v_cvt_u32_f32_e32 v9, v5
	s_delay_alu instid0(VALU_DEP_3) | instskip(NEXT) | instid1(VALU_DEP_2)
	v_cvt_u32_f32_e32 v7, v7
	v_dual_mov_b32 v5, v4 :: v_dual_bitop2_b32 v13, v9, v4 bitop3:0x14
	s_delay_alu instid0(VALU_DEP_2) | instskip(NEXT) | instid1(VALU_DEP_1)
	v_xor_b32_e32 v12, v7, v4
	v_sub_nc_u64_e32 v[4:5], v[12:13], v[4:5]
	s_branch .LBB70_1900
.LBB70_1891:
	s_mov_b32 s4, -1
	s_mov_b32 s21, 0
                                        ; implicit-def: $vgpr4_vgpr5
	s_branch .LBB70_1962
.LBB70_1892:
	s_mov_b32 s22, -1
	s_mov_b32 s21, 0
	s_mov_b32 s19, 0
                                        ; implicit-def: $vgpr4_vgpr5
	s_branch .LBB70_1927
.LBB70_1893:
	s_mov_b32 s22, -1
	s_mov_b32 s21, 0
	s_mov_b32 s19, 0
                                        ; implicit-def: $vgpr4_vgpr5
	s_branch .LBB70_1910
.LBB70_1894:
	s_or_b32 s15, s15, exec_lo
	s_trap 2
	s_cbranch_execz .LBB70_1814
	s_branch .LBB70_1815
.LBB70_1895:
	s_or_b32 s15, s15, exec_lo
	s_trap 2
	s_cbranch_execz .LBB70_1884
	s_branch .LBB70_3126
.LBB70_1896:
	s_mov_b32 s22, -1
	s_mov_b32 s21, 0
	s_mov_b32 s19, 0
                                        ; implicit-def: $vgpr4_vgpr5
	s_branch .LBB70_1905
.LBB70_1897:
	s_mov_b32 s22, -1
	s_mov_b32 s21, 0
	s_mov_b32 s19, 0
	s_branch .LBB70_1899
.LBB70_1898:
	s_mov_b32 s19, -1
	s_mov_b32 s21, 0
.LBB70_1899:
                                        ; implicit-def: $vgpr4_vgpr5
.LBB70_1900:
	s_and_b32 vcc_lo, exec_lo, s22
	s_cbranch_vccz .LBB70_1904
; %bb.1901:
	s_cmp_eq_u32 s4, 44
	s_cbranch_scc0 .LBB70_1903
; %bb.1902:
	global_load_u8 v7, v[10:11], off
	s_mov_b32 s19, 0
	s_mov_b32 s21, -1
	s_wait_loadcnt 0x0
	v_cmp_ne_u32_e32 vcc_lo, 0, v7
	v_lshlrev_b32_e32 v4, 23, v7
	s_delay_alu instid0(VALU_DEP_1) | instskip(NEXT) | instid1(VALU_DEP_1)
	v_trunc_f32_e32 v4, v4
	v_mul_f32_e64 v5, 0x2f800000, |v4|
	s_delay_alu instid0(VALU_DEP_1) | instskip(NEXT) | instid1(VALU_DEP_1)
	v_floor_f32_e32 v5, v5
	v_fma_f32 v9, 0xcf800000, v5, |v4|
	v_ashrrev_i32_e32 v4, 31, v4
	v_cvt_u32_f32_e32 v12, v5
	s_delay_alu instid0(VALU_DEP_3) | instskip(NEXT) | instid1(VALU_DEP_3)
	v_cvt_u32_f32_e32 v9, v9
	v_mov_b32_e32 v5, v4
	s_delay_alu instid0(VALU_DEP_3) | instskip(NEXT) | instid1(VALU_DEP_3)
	v_xor_b32_e32 v13, v12, v4
	v_xor_b32_e32 v12, v9, v4
	s_delay_alu instid0(VALU_DEP_1) | instskip(NEXT) | instid1(VALU_DEP_1)
	v_sub_nc_u64_e32 v[4:5], v[12:13], v[4:5]
	v_dual_cndmask_b32 v5, 0, v5 :: v_dual_cndmask_b32 v4, 0, v4
	s_branch .LBB70_1904
.LBB70_1903:
	s_mov_b32 s19, -1
                                        ; implicit-def: $vgpr4_vgpr5
.LBB70_1904:
	s_mov_b32 s22, 0
.LBB70_1905:
	s_delay_alu instid0(SALU_CYCLE_1)
	s_and_b32 vcc_lo, exec_lo, s22
	s_cbranch_vccz .LBB70_1909
; %bb.1906:
	s_cmp_eq_u32 s4, 29
	s_cbranch_scc0 .LBB70_1908
; %bb.1907:
	global_load_b64 v[4:5], v[10:11], off
	s_mov_b32 s19, 0
	s_mov_b32 s21, -1
	s_branch .LBB70_1909
.LBB70_1908:
	s_mov_b32 s19, -1
                                        ; implicit-def: $vgpr4_vgpr5
.LBB70_1909:
	s_mov_b32 s22, 0
.LBB70_1910:
	s_delay_alu instid0(SALU_CYCLE_1)
	s_and_b32 vcc_lo, exec_lo, s22
	s_cbranch_vccz .LBB70_1926
; %bb.1911:
	s_cmp_lt_i32 s4, 27
	s_cbranch_scc1 .LBB70_1914
; %bb.1912:
	s_cmp_gt_i32 s4, 27
	s_cbranch_scc0 .LBB70_1915
; %bb.1913:
	s_wait_loadcnt 0x0
	global_load_b32 v4, v[10:11], off
	v_mov_b32_e32 v5, 0
	s_mov_b32 s21, 0
	s_branch .LBB70_1916
.LBB70_1914:
	s_mov_b32 s21, -1
                                        ; implicit-def: $vgpr4_vgpr5
	s_branch .LBB70_1919
.LBB70_1915:
	s_mov_b32 s21, -1
                                        ; implicit-def: $vgpr4_vgpr5
.LBB70_1916:
	s_delay_alu instid0(SALU_CYCLE_1)
	s_and_not1_b32 vcc_lo, exec_lo, s21
	s_cbranch_vccnz .LBB70_1918
; %bb.1917:
	s_wait_loadcnt 0x0
	global_load_u16 v4, v[10:11], off
	s_mov_b32 s21, 0
	s_delay_alu instid0(SALU_CYCLE_1)
	v_mov_b32_e32 v5, s21
	s_wait_loadcnt 0x0
	v_and_b32_e32 v4, 0xffff, v4
.LBB70_1918:
	s_mov_b32 s21, 0
.LBB70_1919:
	s_delay_alu instid0(SALU_CYCLE_1)
	s_and_not1_b32 vcc_lo, exec_lo, s21
	s_cbranch_vccnz .LBB70_1925
; %bb.1920:
	global_load_u8 v7, v[10:11], off
	s_mov_b32 s22, 0
	s_mov_b32 s21, exec_lo
	s_wait_loadcnt 0x0
	v_cmpx_lt_i16_e32 0x7f, v7
	s_xor_b32 s21, exec_lo, s21
	s_cbranch_execz .LBB70_1937
; %bb.1921:
	v_cmp_ne_u16_e32 vcc_lo, 0x80, v7
	s_and_b32 s22, vcc_lo, exec_lo
	s_and_not1_saveexec_b32 s21, s21
	s_cbranch_execnz .LBB70_1938
.LBB70_1922:
	s_or_b32 exec_lo, exec_lo, s21
	v_mov_b64_e32 v[4:5], 0
	s_and_saveexec_b32 s21, s22
	s_cbranch_execz .LBB70_1924
.LBB70_1923:
	v_and_b32_e32 v4, 0xffff, v7
	s_delay_alu instid0(VALU_DEP_1) | instskip(SKIP_1) | instid1(VALU_DEP_2)
	v_and_b32_e32 v5, 7, v4
	v_bfe_u32 v13, v4, 3, 4
	v_clz_i32_u32_e32 v9, v5
	s_delay_alu instid0(VALU_DEP_2) | instskip(NEXT) | instid1(VALU_DEP_2)
	v_cmp_eq_u32_e32 vcc_lo, 0, v13
	v_min_u32_e32 v9, 32, v9
	s_delay_alu instid0(VALU_DEP_1) | instskip(NEXT) | instid1(VALU_DEP_1)
	v_subrev_nc_u32_e32 v12, 28, v9
	v_dual_lshlrev_b32 v4, v12, v4 :: v_dual_sub_nc_u32 v9, 29, v9
	s_delay_alu instid0(VALU_DEP_1) | instskip(NEXT) | instid1(VALU_DEP_2)
	v_dual_lshlrev_b32 v7, 24, v7 :: v_dual_bitop2_b32 v4, 7, v4 bitop3:0x40
	v_cndmask_b32_e32 v9, v13, v9, vcc_lo
	s_delay_alu instid0(VALU_DEP_2) | instskip(NEXT) | instid1(VALU_DEP_3)
	v_cndmask_b32_e32 v4, v5, v4, vcc_lo
	v_and_b32_e32 v5, 0x80000000, v7
	s_delay_alu instid0(VALU_DEP_3) | instskip(NEXT) | instid1(VALU_DEP_3)
	v_lshl_add_u32 v7, v9, 23, 0x3b800000
	v_lshlrev_b32_e32 v4, 20, v4
	s_delay_alu instid0(VALU_DEP_1) | instskip(NEXT) | instid1(VALU_DEP_1)
	v_or3_b32 v4, v5, v7, v4
	v_trunc_f32_e32 v4, v4
	s_delay_alu instid0(VALU_DEP_1) | instskip(NEXT) | instid1(VALU_DEP_1)
	v_mul_f32_e64 v5, 0x2f800000, |v4|
	v_floor_f32_e32 v5, v5
	s_delay_alu instid0(VALU_DEP_1) | instskip(SKIP_2) | instid1(VALU_DEP_3)
	v_fma_f32 v7, 0xcf800000, v5, |v4|
	v_ashrrev_i32_e32 v4, 31, v4
	v_cvt_u32_f32_e32 v9, v5
	v_cvt_u32_f32_e32 v7, v7
	s_delay_alu instid0(VALU_DEP_2) | instskip(NEXT) | instid1(VALU_DEP_2)
	v_dual_mov_b32 v5, v4 :: v_dual_bitop2_b32 v13, v9, v4 bitop3:0x14
	v_xor_b32_e32 v12, v7, v4
	s_delay_alu instid0(VALU_DEP_1)
	v_sub_nc_u64_e32 v[4:5], v[12:13], v[4:5]
.LBB70_1924:
	s_or_b32 exec_lo, exec_lo, s21
.LBB70_1925:
	s_mov_b32 s21, -1
.LBB70_1926:
	s_mov_b32 s22, 0
.LBB70_1927:
	s_delay_alu instid0(SALU_CYCLE_1)
	s_and_b32 vcc_lo, exec_lo, s22
	s_cbranch_vccz .LBB70_1958
; %bb.1928:
	s_cmp_gt_i32 s4, 22
	s_cbranch_scc0 .LBB70_1936
; %bb.1929:
	s_cmp_lt_i32 s4, 24
	s_cbranch_scc1 .LBB70_1939
; %bb.1930:
	s_cmp_gt_i32 s4, 24
	s_cbranch_scc0 .LBB70_1940
; %bb.1931:
	global_load_u8 v7, v[10:11], off
	s_mov_b32 s21, 0
	s_mov_b32 s20, exec_lo
	s_wait_loadcnt 0x0
	v_cmpx_lt_i16_e32 0x7f, v7
	s_xor_b32 s20, exec_lo, s20
	s_cbranch_execz .LBB70_1952
; %bb.1932:
	v_cmp_ne_u16_e32 vcc_lo, 0x80, v7
	s_and_b32 s21, vcc_lo, exec_lo
	s_and_not1_saveexec_b32 s20, s20
	s_cbranch_execnz .LBB70_1953
.LBB70_1933:
	s_or_b32 exec_lo, exec_lo, s20
	v_mov_b64_e32 v[4:5], 0
	s_and_saveexec_b32 s20, s21
	s_cbranch_execz .LBB70_1935
.LBB70_1934:
	v_and_b32_e32 v4, 0xffff, v7
	s_delay_alu instid0(VALU_DEP_1) | instskip(SKIP_1) | instid1(VALU_DEP_2)
	v_and_b32_e32 v5, 3, v4
	v_bfe_u32 v13, v4, 2, 5
	v_clz_i32_u32_e32 v9, v5
	s_delay_alu instid0(VALU_DEP_2) | instskip(NEXT) | instid1(VALU_DEP_2)
	v_cmp_eq_u32_e32 vcc_lo, 0, v13
	v_min_u32_e32 v9, 32, v9
	s_delay_alu instid0(VALU_DEP_1) | instskip(NEXT) | instid1(VALU_DEP_1)
	v_subrev_nc_u32_e32 v12, 29, v9
	v_dual_lshlrev_b32 v4, v12, v4 :: v_dual_sub_nc_u32 v9, 30, v9
	s_delay_alu instid0(VALU_DEP_1) | instskip(NEXT) | instid1(VALU_DEP_2)
	v_dual_lshlrev_b32 v7, 24, v7 :: v_dual_bitop2_b32 v4, 3, v4 bitop3:0x40
	v_cndmask_b32_e32 v9, v13, v9, vcc_lo
	s_delay_alu instid0(VALU_DEP_2) | instskip(NEXT) | instid1(VALU_DEP_3)
	v_cndmask_b32_e32 v4, v5, v4, vcc_lo
	v_and_b32_e32 v5, 0x80000000, v7
	s_delay_alu instid0(VALU_DEP_3) | instskip(NEXT) | instid1(VALU_DEP_3)
	v_lshl_add_u32 v7, v9, 23, 0x37800000
	v_lshlrev_b32_e32 v4, 21, v4
	s_delay_alu instid0(VALU_DEP_1) | instskip(NEXT) | instid1(VALU_DEP_1)
	v_or3_b32 v4, v5, v7, v4
	v_trunc_f32_e32 v4, v4
	s_delay_alu instid0(VALU_DEP_1) | instskip(NEXT) | instid1(VALU_DEP_1)
	v_mul_f32_e64 v5, 0x2f800000, |v4|
	v_floor_f32_e32 v5, v5
	s_delay_alu instid0(VALU_DEP_1) | instskip(SKIP_2) | instid1(VALU_DEP_3)
	v_fma_f32 v7, 0xcf800000, v5, |v4|
	v_ashrrev_i32_e32 v4, 31, v4
	v_cvt_u32_f32_e32 v9, v5
	v_cvt_u32_f32_e32 v7, v7
	s_delay_alu instid0(VALU_DEP_2) | instskip(NEXT) | instid1(VALU_DEP_2)
	v_dual_mov_b32 v5, v4 :: v_dual_bitop2_b32 v13, v9, v4 bitop3:0x14
	v_xor_b32_e32 v12, v7, v4
	s_delay_alu instid0(VALU_DEP_1)
	v_sub_nc_u64_e32 v[4:5], v[12:13], v[4:5]
.LBB70_1935:
	s_or_b32 exec_lo, exec_lo, s20
	s_mov_b32 s20, 0
	s_branch .LBB70_1941
.LBB70_1936:
	s_mov_b32 s20, -1
                                        ; implicit-def: $vgpr4_vgpr5
	s_branch .LBB70_1947
.LBB70_1937:
	s_and_not1_saveexec_b32 s21, s21
	s_cbranch_execz .LBB70_1922
.LBB70_1938:
	v_cmp_ne_u16_e32 vcc_lo, 0, v7
	s_and_not1_b32 s22, s22, exec_lo
	s_and_b32 s23, vcc_lo, exec_lo
	s_delay_alu instid0(SALU_CYCLE_1)
	s_or_b32 s22, s22, s23
	s_or_b32 exec_lo, exec_lo, s21
	v_mov_b64_e32 v[4:5], 0
	s_and_saveexec_b32 s21, s22
	s_cbranch_execnz .LBB70_1923
	s_branch .LBB70_1924
.LBB70_1939:
	s_mov_b32 s20, -1
                                        ; implicit-def: $vgpr4_vgpr5
	s_branch .LBB70_1944
.LBB70_1940:
	s_mov_b32 s20, -1
                                        ; implicit-def: $vgpr4_vgpr5
.LBB70_1941:
	s_delay_alu instid0(SALU_CYCLE_1)
	s_and_b32 vcc_lo, exec_lo, s20
	s_cbranch_vccz .LBB70_1943
; %bb.1942:
	s_wait_loadcnt 0x0
	global_load_u8 v4, v[10:11], off
	s_wait_loadcnt 0x0
	v_lshlrev_b32_e32 v4, 24, v4
	s_delay_alu instid0(VALU_DEP_1) | instskip(NEXT) | instid1(VALU_DEP_1)
	v_and_b32_e32 v5, 0x7f000000, v4
	v_clz_i32_u32_e32 v7, v5
	v_cmp_ne_u32_e32 vcc_lo, 0, v5
	v_add_nc_u32_e32 v12, 0x1000000, v5
	s_delay_alu instid0(VALU_DEP_3) | instskip(NEXT) | instid1(VALU_DEP_1)
	v_min_u32_e32 v7, 32, v7
	v_sub_nc_u32_e64 v7, v7, 4 clamp
	s_delay_alu instid0(VALU_DEP_1) | instskip(NEXT) | instid1(VALU_DEP_1)
	v_dual_lshlrev_b32 v9, v7, v5 :: v_dual_lshlrev_b32 v7, 23, v7
	v_lshrrev_b32_e32 v9, 4, v9
	s_delay_alu instid0(VALU_DEP_1) | instskip(NEXT) | instid1(VALU_DEP_1)
	v_dual_sub_nc_u32 v7, v9, v7 :: v_dual_ashrrev_i32 v9, 8, v12
	v_add_nc_u32_e32 v7, 0x3c000000, v7
	s_delay_alu instid0(VALU_DEP_1) | instskip(NEXT) | instid1(VALU_DEP_1)
	v_and_or_b32 v7, 0x7f800000, v9, v7
	v_cndmask_b32_e32 v5, 0, v7, vcc_lo
	s_delay_alu instid0(VALU_DEP_1) | instskip(NEXT) | instid1(VALU_DEP_1)
	v_and_or_b32 v4, 0x80000000, v4, v5
	v_trunc_f32_e32 v4, v4
	s_delay_alu instid0(VALU_DEP_1) | instskip(NEXT) | instid1(VALU_DEP_1)
	v_mul_f32_e64 v5, 0x2f800000, |v4|
	v_floor_f32_e32 v5, v5
	s_delay_alu instid0(VALU_DEP_1) | instskip(SKIP_2) | instid1(VALU_DEP_3)
	v_fma_f32 v7, 0xcf800000, v5, |v4|
	v_ashrrev_i32_e32 v4, 31, v4
	v_cvt_u32_f32_e32 v9, v5
	v_cvt_u32_f32_e32 v7, v7
	s_delay_alu instid0(VALU_DEP_2) | instskip(NEXT) | instid1(VALU_DEP_2)
	v_dual_mov_b32 v5, v4 :: v_dual_bitop2_b32 v13, v9, v4 bitop3:0x14
	v_xor_b32_e32 v12, v7, v4
	s_delay_alu instid0(VALU_DEP_1)
	v_sub_nc_u64_e32 v[4:5], v[12:13], v[4:5]
.LBB70_1943:
	s_mov_b32 s20, 0
.LBB70_1944:
	s_delay_alu instid0(SALU_CYCLE_1)
	s_and_not1_b32 vcc_lo, exec_lo, s20
	s_cbranch_vccnz .LBB70_1946
; %bb.1945:
	s_wait_loadcnt 0x0
	global_load_u8 v4, v[10:11], off
	s_wait_loadcnt 0x0
	v_lshlrev_b32_e32 v5, 25, v4
	v_lshlrev_b16 v4, 8, v4
	s_delay_alu instid0(VALU_DEP_1) | instskip(SKIP_1) | instid1(VALU_DEP_2)
	v_and_or_b32 v9, 0x7f00, v4, 0.5
	v_bfe_i32 v4, v4, 0, 16
	v_add_f32_e32 v9, -0.5, v9
	v_lshrrev_b32_e32 v7, 4, v5
	v_cmp_gt_u32_e32 vcc_lo, 0x8000000, v5
	s_delay_alu instid0(VALU_DEP_2) | instskip(NEXT) | instid1(VALU_DEP_1)
	v_or_b32_e32 v7, 0x70000000, v7
	v_mul_f32_e32 v7, 0x7800000, v7
	s_delay_alu instid0(VALU_DEP_1) | instskip(NEXT) | instid1(VALU_DEP_1)
	v_cndmask_b32_e32 v5, v7, v9, vcc_lo
	v_and_or_b32 v4, 0x80000000, v4, v5
	s_delay_alu instid0(VALU_DEP_1) | instskip(NEXT) | instid1(VALU_DEP_1)
	v_trunc_f32_e32 v4, v4
	v_mul_f32_e64 v5, 0x2f800000, |v4|
	s_delay_alu instid0(VALU_DEP_1) | instskip(NEXT) | instid1(VALU_DEP_1)
	v_floor_f32_e32 v5, v5
	v_fma_f32 v7, 0xcf800000, v5, |v4|
	v_ashrrev_i32_e32 v4, 31, v4
	v_cvt_u32_f32_e32 v9, v5
	s_delay_alu instid0(VALU_DEP_3) | instskip(NEXT) | instid1(VALU_DEP_2)
	v_cvt_u32_f32_e32 v7, v7
	v_dual_mov_b32 v5, v4 :: v_dual_bitop2_b32 v13, v9, v4 bitop3:0x14
	s_delay_alu instid0(VALU_DEP_2) | instskip(NEXT) | instid1(VALU_DEP_1)
	v_xor_b32_e32 v12, v7, v4
	v_sub_nc_u64_e32 v[4:5], v[12:13], v[4:5]
.LBB70_1946:
	s_mov_b32 s20, 0
	s_mov_b32 s21, -1
.LBB70_1947:
	s_and_not1_b32 vcc_lo, exec_lo, s20
	s_mov_b32 s20, 0
	s_cbranch_vccnz .LBB70_1958
; %bb.1948:
	s_cmp_gt_i32 s4, 14
	s_cbranch_scc0 .LBB70_1951
; %bb.1949:
	s_cmp_eq_u32 s4, 15
	s_cbranch_scc0 .LBB70_1954
; %bb.1950:
	s_wait_loadcnt 0x0
	global_load_u16 v4, v[10:11], off
	s_mov_b32 s19, 0
	s_mov_b32 s21, -1
	s_wait_loadcnt 0x0
	v_lshlrev_b32_e32 v4, 16, v4
	s_delay_alu instid0(VALU_DEP_1) | instskip(NEXT) | instid1(VALU_DEP_1)
	v_trunc_f32_e32 v4, v4
	v_mul_f32_e64 v5, 0x2f800000, |v4|
	s_delay_alu instid0(VALU_DEP_1) | instskip(NEXT) | instid1(VALU_DEP_1)
	v_floor_f32_e32 v5, v5
	v_fma_f32 v7, 0xcf800000, v5, |v4|
	v_ashrrev_i32_e32 v4, 31, v4
	v_cvt_u32_f32_e32 v9, v5
	s_delay_alu instid0(VALU_DEP_3) | instskip(NEXT) | instid1(VALU_DEP_2)
	v_cvt_u32_f32_e32 v7, v7
	v_dual_mov_b32 v5, v4 :: v_dual_bitop2_b32 v13, v9, v4 bitop3:0x14
	s_delay_alu instid0(VALU_DEP_2) | instskip(NEXT) | instid1(VALU_DEP_1)
	v_xor_b32_e32 v12, v7, v4
	v_sub_nc_u64_e32 v[4:5], v[12:13], v[4:5]
	s_branch .LBB70_1956
.LBB70_1951:
	s_mov_b32 s20, -1
	s_branch .LBB70_1955
.LBB70_1952:
	s_and_not1_saveexec_b32 s20, s20
	s_cbranch_execz .LBB70_1933
.LBB70_1953:
	v_cmp_ne_u16_e32 vcc_lo, 0, v7
	s_and_not1_b32 s21, s21, exec_lo
	s_and_b32 s22, vcc_lo, exec_lo
	s_delay_alu instid0(SALU_CYCLE_1)
	s_or_b32 s21, s21, s22
	s_or_b32 exec_lo, exec_lo, s20
	v_mov_b64_e32 v[4:5], 0
	s_and_saveexec_b32 s20, s21
	s_cbranch_execnz .LBB70_1934
	s_branch .LBB70_1935
.LBB70_1954:
	s_mov_b32 s19, -1
.LBB70_1955:
                                        ; implicit-def: $vgpr4_vgpr5
.LBB70_1956:
	s_and_b32 vcc_lo, exec_lo, s20
	s_mov_b32 s20, 0
	s_cbranch_vccz .LBB70_1958
; %bb.1957:
	s_cmp_lg_u32 s4, 11
	s_mov_b32 s20, -1
	s_cselect_b32 s19, -1, 0
.LBB70_1958:
	s_delay_alu instid0(SALU_CYCLE_1)
	s_and_b32 vcc_lo, exec_lo, s19
	s_cbranch_vccnz .LBB70_2023
; %bb.1959:
	s_and_not1_b32 vcc_lo, exec_lo, s20
	s_cbranch_vccnz .LBB70_1961
.LBB70_1960:
	s_wait_loadcnt 0x0
	global_load_u8 v4, v[10:11], off
	s_mov_b32 s4, 0
	s_mov_b32 s21, -1
	v_mov_b32_e32 v5, s4
	s_wait_loadcnt 0x0
	v_cmp_ne_u16_e32 vcc_lo, 0, v4
	v_cndmask_b32_e64 v4, 0, 1, vcc_lo
.LBB70_1961:
	s_mov_b32 s4, 0
.LBB70_1962:
	s_delay_alu instid0(SALU_CYCLE_1)
	s_and_b32 vcc_lo, exec_lo, s4
	s_cbranch_vccz .LBB70_2011
; %bb.1963:
	s_and_b32 s4, 0xffff, s14
	s_delay_alu instid0(SALU_CYCLE_1)
	s_cmp_lt_i32 s4, 5
	s_cbranch_scc1 .LBB70_1968
; %bb.1964:
	s_cmp_lt_i32 s4, 8
	s_cbranch_scc1 .LBB70_1969
; %bb.1965:
	;; [unrolled: 3-line block ×3, first 2 shown]
	s_cmp_gt_i32 s4, 9
	s_cbranch_scc0 .LBB70_1971
; %bb.1967:
	s_wait_loadcnt 0x0
	global_load_b64 v[4:5], v[10:11], off
	s_mov_b32 s19, 0
	s_wait_loadcnt 0x0
	v_trunc_f64_e32 v[4:5], v[4:5]
	s_delay_alu instid0(VALU_DEP_1) | instskip(NEXT) | instid1(VALU_DEP_1)
	v_ldexp_f64 v[12:13], v[4:5], 0xffffffe0
	v_floor_f64_e32 v[12:13], v[12:13]
	s_delay_alu instid0(VALU_DEP_1) | instskip(SKIP_1) | instid1(VALU_DEP_2)
	v_fmamk_f64 v[14:15], v[12:13], 0xc1f00000, v[4:5]
	v_cvt_i32_f64_e32 v5, v[12:13]
	v_cvt_u32_f64_e32 v4, v[14:15]
	s_branch .LBB70_1972
.LBB70_1968:
	s_mov_b32 s19, -1
                                        ; implicit-def: $vgpr4_vgpr5
	s_branch .LBB70_1990
.LBB70_1969:
	s_mov_b32 s19, -1
                                        ; implicit-def: $vgpr4_vgpr5
	s_branch .LBB70_1978
.LBB70_1970:
	s_mov_b32 s19, -1
                                        ; implicit-def: $vgpr4_vgpr5
	s_branch .LBB70_1975
.LBB70_1971:
	s_mov_b32 s19, -1
                                        ; implicit-def: $vgpr4_vgpr5
.LBB70_1972:
	s_delay_alu instid0(SALU_CYCLE_1)
	s_and_not1_b32 vcc_lo, exec_lo, s19
	s_cbranch_vccnz .LBB70_1974
; %bb.1973:
	s_wait_loadcnt 0x0
	global_load_b32 v4, v[10:11], off
	s_wait_loadcnt 0x0
	v_trunc_f32_e32 v4, v4
	s_delay_alu instid0(VALU_DEP_1) | instskip(NEXT) | instid1(VALU_DEP_1)
	v_mul_f32_e64 v5, 0x2f800000, |v4|
	v_floor_f32_e32 v5, v5
	s_delay_alu instid0(VALU_DEP_1) | instskip(SKIP_2) | instid1(VALU_DEP_3)
	v_fma_f32 v7, 0xcf800000, v5, |v4|
	v_ashrrev_i32_e32 v4, 31, v4
	v_cvt_u32_f32_e32 v9, v5
	v_cvt_u32_f32_e32 v7, v7
	s_delay_alu instid0(VALU_DEP_2) | instskip(NEXT) | instid1(VALU_DEP_2)
	v_dual_mov_b32 v5, v4 :: v_dual_bitop2_b32 v13, v9, v4 bitop3:0x14
	v_xor_b32_e32 v12, v7, v4
	s_delay_alu instid0(VALU_DEP_1)
	v_sub_nc_u64_e32 v[4:5], v[12:13], v[4:5]
.LBB70_1974:
	s_mov_b32 s19, 0
.LBB70_1975:
	s_delay_alu instid0(SALU_CYCLE_1)
	s_and_not1_b32 vcc_lo, exec_lo, s19
	s_cbranch_vccnz .LBB70_1977
; %bb.1976:
	s_wait_loadcnt 0x0
	global_load_b32 v4, v[10:11], off
	s_wait_loadcnt 0x0
	v_cvt_f32_f16_e32 v4, v4
	s_delay_alu instid0(VALU_DEP_1) | instskip(NEXT) | instid1(VALU_DEP_1)
	v_cvt_i32_f32_e32 v4, v4
	v_ashrrev_i32_e32 v5, 31, v4
.LBB70_1977:
	s_mov_b32 s19, 0
.LBB70_1978:
	s_delay_alu instid0(SALU_CYCLE_1)
	s_and_not1_b32 vcc_lo, exec_lo, s19
	s_cbranch_vccnz .LBB70_1989
; %bb.1979:
	s_cmp_lt_i32 s4, 6
	s_cbranch_scc1 .LBB70_1982
; %bb.1980:
	s_cmp_gt_i32 s4, 6
	s_cbranch_scc0 .LBB70_1983
; %bb.1981:
	s_wait_loadcnt 0x0
	global_load_b64 v[4:5], v[10:11], off
	s_mov_b32 s19, 0
	s_wait_loadcnt 0x0
	v_trunc_f64_e32 v[4:5], v[4:5]
	s_delay_alu instid0(VALU_DEP_1) | instskip(NEXT) | instid1(VALU_DEP_1)
	v_ldexp_f64 v[12:13], v[4:5], 0xffffffe0
	v_floor_f64_e32 v[12:13], v[12:13]
	s_delay_alu instid0(VALU_DEP_1) | instskip(SKIP_1) | instid1(VALU_DEP_2)
	v_fmamk_f64 v[14:15], v[12:13], 0xc1f00000, v[4:5]
	v_cvt_i32_f64_e32 v5, v[12:13]
	v_cvt_u32_f64_e32 v4, v[14:15]
	s_branch .LBB70_1984
.LBB70_1982:
	s_mov_b32 s19, -1
                                        ; implicit-def: $vgpr4_vgpr5
	s_branch .LBB70_1987
.LBB70_1983:
	s_mov_b32 s19, -1
                                        ; implicit-def: $vgpr4_vgpr5
.LBB70_1984:
	s_delay_alu instid0(SALU_CYCLE_1)
	s_and_not1_b32 vcc_lo, exec_lo, s19
	s_cbranch_vccnz .LBB70_1986
; %bb.1985:
	s_wait_loadcnt 0x0
	global_load_b32 v4, v[10:11], off
	s_wait_loadcnt 0x0
	v_trunc_f32_e32 v4, v4
	s_delay_alu instid0(VALU_DEP_1) | instskip(NEXT) | instid1(VALU_DEP_1)
	v_mul_f32_e64 v5, 0x2f800000, |v4|
	v_floor_f32_e32 v5, v5
	s_delay_alu instid0(VALU_DEP_1) | instskip(SKIP_2) | instid1(VALU_DEP_3)
	v_fma_f32 v7, 0xcf800000, v5, |v4|
	v_ashrrev_i32_e32 v4, 31, v4
	v_cvt_u32_f32_e32 v9, v5
	v_cvt_u32_f32_e32 v7, v7
	s_delay_alu instid0(VALU_DEP_2) | instskip(NEXT) | instid1(VALU_DEP_2)
	v_dual_mov_b32 v5, v4 :: v_dual_bitop2_b32 v13, v9, v4 bitop3:0x14
	v_xor_b32_e32 v12, v7, v4
	s_delay_alu instid0(VALU_DEP_1)
	v_sub_nc_u64_e32 v[4:5], v[12:13], v[4:5]
.LBB70_1986:
	s_mov_b32 s19, 0
.LBB70_1987:
	s_delay_alu instid0(SALU_CYCLE_1)
	s_and_not1_b32 vcc_lo, exec_lo, s19
	s_cbranch_vccnz .LBB70_1989
; %bb.1988:
	s_wait_loadcnt 0x0
	global_load_u16 v4, v[10:11], off
	s_wait_loadcnt 0x0
	v_cvt_f32_f16_e32 v4, v4
	s_delay_alu instid0(VALU_DEP_1) | instskip(NEXT) | instid1(VALU_DEP_1)
	v_cvt_i32_f32_e32 v4, v4
	v_ashrrev_i32_e32 v5, 31, v4
.LBB70_1989:
	s_mov_b32 s19, 0
.LBB70_1990:
	s_delay_alu instid0(SALU_CYCLE_1)
	s_and_not1_b32 vcc_lo, exec_lo, s19
	s_cbranch_vccnz .LBB70_2010
; %bb.1991:
	s_cmp_lt_i32 s4, 2
	s_cbranch_scc1 .LBB70_1995
; %bb.1992:
	s_cmp_lt_i32 s4, 3
	s_cbranch_scc1 .LBB70_1996
; %bb.1993:
	s_cmp_gt_i32 s4, 3
	s_cbranch_scc0 .LBB70_1997
; %bb.1994:
	s_wait_loadcnt 0x0
	global_load_b64 v[4:5], v[10:11], off
	s_mov_b32 s19, 0
	s_branch .LBB70_1998
.LBB70_1995:
	s_mov_b32 s19, -1
                                        ; implicit-def: $vgpr4_vgpr5
	s_branch .LBB70_2004
.LBB70_1996:
	s_mov_b32 s19, -1
                                        ; implicit-def: $vgpr4_vgpr5
	s_branch .LBB70_2001
.LBB70_1997:
	s_mov_b32 s19, -1
                                        ; implicit-def: $vgpr4_vgpr5
.LBB70_1998:
	s_delay_alu instid0(SALU_CYCLE_1)
	s_and_not1_b32 vcc_lo, exec_lo, s19
	s_cbranch_vccnz .LBB70_2000
; %bb.1999:
	s_wait_loadcnt 0x0
	global_load_b32 v4, v[10:11], off
	s_wait_loadcnt 0x0
	v_ashrrev_i32_e32 v5, 31, v4
.LBB70_2000:
	s_mov_b32 s19, 0
.LBB70_2001:
	s_delay_alu instid0(SALU_CYCLE_1)
	s_and_not1_b32 vcc_lo, exec_lo, s19
	s_cbranch_vccnz .LBB70_2003
; %bb.2002:
	s_wait_loadcnt 0x0
	global_load_u16 v4, v[10:11], off
	s_wait_loadcnt 0x0
	v_bfe_i32 v4, v4, 0, 16
	s_delay_alu instid0(VALU_DEP_1)
	v_ashrrev_i32_e32 v5, 31, v4
.LBB70_2003:
	s_mov_b32 s19, 0
.LBB70_2004:
	s_delay_alu instid0(SALU_CYCLE_1)
	s_and_not1_b32 vcc_lo, exec_lo, s19
	s_cbranch_vccnz .LBB70_2010
; %bb.2005:
	s_cmp_gt_i32 s4, 0
	s_mov_b32 s4, 0
	s_cbranch_scc0 .LBB70_2007
; %bb.2006:
	s_wait_loadcnt 0x0
	global_load_i8 v4, v[10:11], off
	s_wait_loadcnt 0x0
	v_bfe_i32 v4, v4, 0, 16
	s_delay_alu instid0(VALU_DEP_1)
	v_ashrrev_i32_e32 v5, 31, v4
	s_branch .LBB70_2008
.LBB70_2007:
	s_mov_b32 s4, -1
                                        ; implicit-def: $vgpr4_vgpr5
.LBB70_2008:
	s_delay_alu instid0(SALU_CYCLE_1)
	s_and_not1_b32 vcc_lo, exec_lo, s4
	s_cbranch_vccnz .LBB70_2010
; %bb.2009:
	s_wait_loadcnt 0x0
	global_load_u8 v4, v[10:11], off
	s_mov_b32 s4, 0
	s_delay_alu instid0(SALU_CYCLE_1)
	v_mov_b32_e32 v5, s4
	s_wait_loadcnt 0x0
	v_and_b32_e32 v4, 0xffff, v4
.LBB70_2010:
	s_mov_b32 s21, -1
.LBB70_2011:
	s_delay_alu instid0(SALU_CYCLE_1)
	s_and_not1_b32 vcc_lo, exec_lo, s21
	s_cbranch_vccnz .LBB70_3126
; %bb.2012:
	s_lshl_b32 s4, s5, 7
	s_cmp_lt_i32 s0, 11
	s_wait_xcnt 0x0
	v_add_nc_u32_e32 v10, s4, v6
	s_delay_alu instid0(VALU_DEP_1) | instskip(NEXT) | instid1(VALU_DEP_1)
	v_ashrrev_i32_e32 v11, 31, v10
	v_add_nc_u64_e32 v[12:13], s[10:11], v[10:11]
	s_cbranch_scc1 .LBB70_2019
; %bb.2013:
	s_cmp_gt_i32 s0, 25
	s_mov_b32 s19, 0
	s_cbranch_scc0 .LBB70_2020
; %bb.2014:
	s_cmp_gt_i32 s0, 28
	s_cbranch_scc0 .LBB70_2021
; %bb.2015:
	s_cmp_gt_i32 s0, 43
	;; [unrolled: 3-line block ×3, first 2 shown]
	s_cbranch_scc0 .LBB70_2024
; %bb.2017:
	s_cmp_eq_u32 s0, 46
	s_mov_b32 s21, 0
	s_cbranch_scc0 .LBB70_2027
; %bb.2018:
	global_load_b32 v6, v[12:13], off
	s_mov_b32 s5, 0
	s_mov_b32 s20, -1
	s_wait_loadcnt 0x0
	v_lshlrev_b32_e32 v6, 16, v6
	s_delay_alu instid0(VALU_DEP_1) | instskip(NEXT) | instid1(VALU_DEP_1)
	v_trunc_f32_e32 v6, v6
	v_mul_f32_e64 v7, 0x2f800000, |v6|
	s_delay_alu instid0(VALU_DEP_1) | instskip(NEXT) | instid1(VALU_DEP_1)
	v_floor_f32_e32 v7, v7
	v_fma_f32 v9, 0xcf800000, v7, |v6|
	v_ashrrev_i32_e32 v6, 31, v6
	v_cvt_u32_f32_e32 v11, v7
	s_delay_alu instid0(VALU_DEP_3) | instskip(NEXT) | instid1(VALU_DEP_2)
	v_cvt_u32_f32_e32 v9, v9
	v_dual_mov_b32 v7, v6 :: v_dual_bitop2_b32 v15, v11, v6 bitop3:0x14
	s_delay_alu instid0(VALU_DEP_2) | instskip(NEXT) | instid1(VALU_DEP_1)
	v_xor_b32_e32 v14, v9, v6
	v_sub_nc_u64_e32 v[6:7], v[14:15], v[6:7]
	s_branch .LBB70_2029
.LBB70_2019:
	s_mov_b32 s5, -1
	s_mov_b32 s20, 0
                                        ; implicit-def: $vgpr6_vgpr7
	s_branch .LBB70_2091
.LBB70_2020:
	s_mov_b32 s21, -1
	s_mov_b32 s20, 0
	s_mov_b32 s5, 0
                                        ; implicit-def: $vgpr6_vgpr7
	s_branch .LBB70_2056
.LBB70_2021:
	s_mov_b32 s21, -1
	s_mov_b32 s20, 0
	s_mov_b32 s5, 0
                                        ; implicit-def: $vgpr6_vgpr7
	s_branch .LBB70_2039
.LBB70_2022:
	s_mov_b32 s21, -1
	s_mov_b32 s20, 0
	s_mov_b32 s5, 0
                                        ; implicit-def: $vgpr6_vgpr7
	s_branch .LBB70_2034
.LBB70_2023:
	s_or_b32 s15, s15, exec_lo
	s_trap 2
	s_cbranch_execz .LBB70_1960
	s_branch .LBB70_1961
.LBB70_2024:
	s_mov_b32 s21, -1
	s_mov_b32 s20, 0
	s_mov_b32 s5, 0
	s_branch .LBB70_2028
.LBB70_2025:
	s_and_not1_saveexec_b32 s38, s38
	s_cbranch_execz .LBB70_1106
.LBB70_2026:
	v_add_f32_e64 v5, 0x46000000, |v4|
	s_and_not1_b32 s37, s37, exec_lo
	s_delay_alu instid0(VALU_DEP_1) | instskip(NEXT) | instid1(VALU_DEP_1)
	v_and_b32_e32 v5, 0xff, v5
	v_cmp_ne_u32_e32 vcc_lo, 0, v5
	s_and_b32 s39, vcc_lo, exec_lo
	s_delay_alu instid0(SALU_CYCLE_1)
	s_or_b32 s37, s37, s39
	s_or_b32 exec_lo, exec_lo, s38
	v_mov_b32_e32 v6, 0
	s_and_saveexec_b32 s38, s37
	s_cbranch_execnz .LBB70_1107
	s_branch .LBB70_1108
.LBB70_2027:
	s_mov_b32 s5, -1
	s_mov_b32 s20, 0
.LBB70_2028:
                                        ; implicit-def: $vgpr6_vgpr7
.LBB70_2029:
	s_and_b32 vcc_lo, exec_lo, s21
	s_cbranch_vccz .LBB70_2033
; %bb.2030:
	s_cmp_eq_u32 s0, 44
	s_cbranch_scc0 .LBB70_2032
; %bb.2031:
	global_load_u8 v9, v[12:13], off
	s_mov_b32 s5, 0
	s_mov_b32 s20, -1
	s_wait_loadcnt 0x0
	v_cmp_ne_u32_e32 vcc_lo, 0, v9
	v_lshlrev_b32_e32 v6, 23, v9
	s_delay_alu instid0(VALU_DEP_1) | instskip(NEXT) | instid1(VALU_DEP_1)
	v_trunc_f32_e32 v6, v6
	v_mul_f32_e64 v7, 0x2f800000, |v6|
	s_delay_alu instid0(VALU_DEP_1) | instskip(NEXT) | instid1(VALU_DEP_1)
	v_floor_f32_e32 v7, v7
	v_fma_f32 v11, 0xcf800000, v7, |v6|
	v_ashrrev_i32_e32 v6, 31, v6
	v_cvt_u32_f32_e32 v14, v7
	s_delay_alu instid0(VALU_DEP_3) | instskip(NEXT) | instid1(VALU_DEP_3)
	v_cvt_u32_f32_e32 v11, v11
	v_mov_b32_e32 v7, v6
	s_delay_alu instid0(VALU_DEP_3) | instskip(NEXT) | instid1(VALU_DEP_3)
	v_xor_b32_e32 v15, v14, v6
	v_xor_b32_e32 v14, v11, v6
	s_delay_alu instid0(VALU_DEP_1) | instskip(NEXT) | instid1(VALU_DEP_1)
	v_sub_nc_u64_e32 v[6:7], v[14:15], v[6:7]
	v_dual_cndmask_b32 v7, 0, v7 :: v_dual_cndmask_b32 v6, 0, v6
	s_branch .LBB70_2033
.LBB70_2032:
	s_mov_b32 s5, -1
                                        ; implicit-def: $vgpr6_vgpr7
.LBB70_2033:
	s_mov_b32 s21, 0
.LBB70_2034:
	s_delay_alu instid0(SALU_CYCLE_1)
	s_and_b32 vcc_lo, exec_lo, s21
	s_cbranch_vccz .LBB70_2038
; %bb.2035:
	s_cmp_eq_u32 s0, 29
	s_cbranch_scc0 .LBB70_2037
; %bb.2036:
	global_load_b64 v[6:7], v[12:13], off
	s_mov_b32 s5, 0
	s_mov_b32 s20, -1
	s_branch .LBB70_2038
.LBB70_2037:
	s_mov_b32 s5, -1
                                        ; implicit-def: $vgpr6_vgpr7
.LBB70_2038:
	s_mov_b32 s21, 0
.LBB70_2039:
	s_delay_alu instid0(SALU_CYCLE_1)
	s_and_b32 vcc_lo, exec_lo, s21
	s_cbranch_vccz .LBB70_2055
; %bb.2040:
	s_cmp_lt_i32 s0, 27
	s_cbranch_scc1 .LBB70_2043
; %bb.2041:
	s_cmp_gt_i32 s0, 27
	s_cbranch_scc0 .LBB70_2044
; %bb.2042:
	s_wait_loadcnt 0x0
	global_load_b32 v6, v[12:13], off
	v_mov_b32_e32 v7, 0
	s_mov_b32 s20, 0
	s_branch .LBB70_2045
.LBB70_2043:
	s_mov_b32 s20, -1
                                        ; implicit-def: $vgpr6_vgpr7
	s_branch .LBB70_2048
.LBB70_2044:
	s_mov_b32 s20, -1
                                        ; implicit-def: $vgpr6_vgpr7
.LBB70_2045:
	s_delay_alu instid0(SALU_CYCLE_1)
	s_and_not1_b32 vcc_lo, exec_lo, s20
	s_cbranch_vccnz .LBB70_2047
; %bb.2046:
	s_wait_loadcnt 0x0
	global_load_u16 v6, v[12:13], off
	s_mov_b32 s20, 0
	s_delay_alu instid0(SALU_CYCLE_1)
	v_mov_b32_e32 v7, s20
	s_wait_loadcnt 0x0
	v_and_b32_e32 v6, 0xffff, v6
.LBB70_2047:
	s_mov_b32 s20, 0
.LBB70_2048:
	s_delay_alu instid0(SALU_CYCLE_1)
	s_and_not1_b32 vcc_lo, exec_lo, s20
	s_cbranch_vccnz .LBB70_2054
; %bb.2049:
	global_load_u8 v9, v[12:13], off
	s_mov_b32 s21, 0
	s_mov_b32 s20, exec_lo
	s_wait_loadcnt 0x0
	v_cmpx_lt_i16_e32 0x7f, v9
	s_xor_b32 s20, exec_lo, s20
	s_cbranch_execz .LBB70_2066
; %bb.2050:
	v_cmp_ne_u16_e32 vcc_lo, 0x80, v9
	s_and_b32 s21, vcc_lo, exec_lo
	s_and_not1_saveexec_b32 s20, s20
	s_cbranch_execnz .LBB70_2067
.LBB70_2051:
	s_or_b32 exec_lo, exec_lo, s20
	v_mov_b64_e32 v[6:7], 0
	s_and_saveexec_b32 s20, s21
	s_cbranch_execz .LBB70_2053
.LBB70_2052:
	v_and_b32_e32 v6, 0xffff, v9
	s_delay_alu instid0(VALU_DEP_1) | instskip(SKIP_1) | instid1(VALU_DEP_2)
	v_and_b32_e32 v7, 7, v6
	v_bfe_u32 v15, v6, 3, 4
	v_clz_i32_u32_e32 v11, v7
	s_delay_alu instid0(VALU_DEP_2) | instskip(NEXT) | instid1(VALU_DEP_2)
	v_cmp_eq_u32_e32 vcc_lo, 0, v15
	v_min_u32_e32 v11, 32, v11
	s_delay_alu instid0(VALU_DEP_1) | instskip(NEXT) | instid1(VALU_DEP_1)
	v_subrev_nc_u32_e32 v14, 28, v11
	v_dual_lshlrev_b32 v6, v14, v6 :: v_dual_sub_nc_u32 v11, 29, v11
	s_delay_alu instid0(VALU_DEP_1) | instskip(NEXT) | instid1(VALU_DEP_2)
	v_dual_lshlrev_b32 v9, 24, v9 :: v_dual_bitop2_b32 v6, 7, v6 bitop3:0x40
	v_cndmask_b32_e32 v11, v15, v11, vcc_lo
	s_delay_alu instid0(VALU_DEP_2) | instskip(NEXT) | instid1(VALU_DEP_3)
	v_cndmask_b32_e32 v6, v7, v6, vcc_lo
	v_and_b32_e32 v7, 0x80000000, v9
	s_delay_alu instid0(VALU_DEP_3) | instskip(NEXT) | instid1(VALU_DEP_3)
	v_lshl_add_u32 v9, v11, 23, 0x3b800000
	v_lshlrev_b32_e32 v6, 20, v6
	s_delay_alu instid0(VALU_DEP_1) | instskip(NEXT) | instid1(VALU_DEP_1)
	v_or3_b32 v6, v7, v9, v6
	v_trunc_f32_e32 v6, v6
	s_delay_alu instid0(VALU_DEP_1) | instskip(NEXT) | instid1(VALU_DEP_1)
	v_mul_f32_e64 v7, 0x2f800000, |v6|
	v_floor_f32_e32 v7, v7
	s_delay_alu instid0(VALU_DEP_1) | instskip(SKIP_2) | instid1(VALU_DEP_3)
	v_fma_f32 v9, 0xcf800000, v7, |v6|
	v_ashrrev_i32_e32 v6, 31, v6
	v_cvt_u32_f32_e32 v11, v7
	v_cvt_u32_f32_e32 v9, v9
	s_delay_alu instid0(VALU_DEP_2) | instskip(NEXT) | instid1(VALU_DEP_2)
	v_dual_mov_b32 v7, v6 :: v_dual_bitop2_b32 v15, v11, v6 bitop3:0x14
	v_xor_b32_e32 v14, v9, v6
	s_delay_alu instid0(VALU_DEP_1)
	v_sub_nc_u64_e32 v[6:7], v[14:15], v[6:7]
.LBB70_2053:
	s_or_b32 exec_lo, exec_lo, s20
.LBB70_2054:
	s_mov_b32 s20, -1
.LBB70_2055:
	s_mov_b32 s21, 0
.LBB70_2056:
	s_delay_alu instid0(SALU_CYCLE_1)
	s_and_b32 vcc_lo, exec_lo, s21
	s_cbranch_vccz .LBB70_2087
; %bb.2057:
	s_cmp_gt_i32 s0, 22
	s_cbranch_scc0 .LBB70_2065
; %bb.2058:
	s_cmp_lt_i32 s0, 24
	s_cbranch_scc1 .LBB70_2068
; %bb.2059:
	s_cmp_gt_i32 s0, 24
	s_cbranch_scc0 .LBB70_2069
; %bb.2060:
	global_load_u8 v9, v[12:13], off
	s_mov_b32 s20, 0
	s_mov_b32 s19, exec_lo
	s_wait_loadcnt 0x0
	v_cmpx_lt_i16_e32 0x7f, v9
	s_xor_b32 s19, exec_lo, s19
	s_cbranch_execz .LBB70_2081
; %bb.2061:
	v_cmp_ne_u16_e32 vcc_lo, 0x80, v9
	s_and_b32 s20, vcc_lo, exec_lo
	s_and_not1_saveexec_b32 s19, s19
	s_cbranch_execnz .LBB70_2082
.LBB70_2062:
	s_or_b32 exec_lo, exec_lo, s19
	v_mov_b64_e32 v[6:7], 0
	s_and_saveexec_b32 s19, s20
	s_cbranch_execz .LBB70_2064
.LBB70_2063:
	v_and_b32_e32 v6, 0xffff, v9
	s_delay_alu instid0(VALU_DEP_1) | instskip(SKIP_1) | instid1(VALU_DEP_2)
	v_and_b32_e32 v7, 3, v6
	v_bfe_u32 v15, v6, 2, 5
	v_clz_i32_u32_e32 v11, v7
	s_delay_alu instid0(VALU_DEP_2) | instskip(NEXT) | instid1(VALU_DEP_2)
	v_cmp_eq_u32_e32 vcc_lo, 0, v15
	v_min_u32_e32 v11, 32, v11
	s_delay_alu instid0(VALU_DEP_1) | instskip(NEXT) | instid1(VALU_DEP_1)
	v_subrev_nc_u32_e32 v14, 29, v11
	v_dual_lshlrev_b32 v6, v14, v6 :: v_dual_sub_nc_u32 v11, 30, v11
	s_delay_alu instid0(VALU_DEP_1) | instskip(NEXT) | instid1(VALU_DEP_2)
	v_dual_lshlrev_b32 v9, 24, v9 :: v_dual_bitop2_b32 v6, 3, v6 bitop3:0x40
	v_cndmask_b32_e32 v11, v15, v11, vcc_lo
	s_delay_alu instid0(VALU_DEP_2) | instskip(NEXT) | instid1(VALU_DEP_3)
	v_cndmask_b32_e32 v6, v7, v6, vcc_lo
	v_and_b32_e32 v7, 0x80000000, v9
	s_delay_alu instid0(VALU_DEP_3) | instskip(NEXT) | instid1(VALU_DEP_3)
	v_lshl_add_u32 v9, v11, 23, 0x37800000
	v_lshlrev_b32_e32 v6, 21, v6
	s_delay_alu instid0(VALU_DEP_1) | instskip(NEXT) | instid1(VALU_DEP_1)
	v_or3_b32 v6, v7, v9, v6
	v_trunc_f32_e32 v6, v6
	s_delay_alu instid0(VALU_DEP_1) | instskip(NEXT) | instid1(VALU_DEP_1)
	v_mul_f32_e64 v7, 0x2f800000, |v6|
	v_floor_f32_e32 v7, v7
	s_delay_alu instid0(VALU_DEP_1) | instskip(SKIP_2) | instid1(VALU_DEP_3)
	v_fma_f32 v9, 0xcf800000, v7, |v6|
	v_ashrrev_i32_e32 v6, 31, v6
	v_cvt_u32_f32_e32 v11, v7
	v_cvt_u32_f32_e32 v9, v9
	s_delay_alu instid0(VALU_DEP_2) | instskip(NEXT) | instid1(VALU_DEP_2)
	v_dual_mov_b32 v7, v6 :: v_dual_bitop2_b32 v15, v11, v6 bitop3:0x14
	v_xor_b32_e32 v14, v9, v6
	s_delay_alu instid0(VALU_DEP_1)
	v_sub_nc_u64_e32 v[6:7], v[14:15], v[6:7]
.LBB70_2064:
	s_or_b32 exec_lo, exec_lo, s19
	s_mov_b32 s19, 0
	s_branch .LBB70_2070
.LBB70_2065:
	s_mov_b32 s19, -1
                                        ; implicit-def: $vgpr6_vgpr7
	s_branch .LBB70_2076
.LBB70_2066:
	s_and_not1_saveexec_b32 s20, s20
	s_cbranch_execz .LBB70_2051
.LBB70_2067:
	v_cmp_ne_u16_e32 vcc_lo, 0, v9
	s_and_not1_b32 s21, s21, exec_lo
	s_and_b32 s22, vcc_lo, exec_lo
	s_delay_alu instid0(SALU_CYCLE_1)
	s_or_b32 s21, s21, s22
	s_or_b32 exec_lo, exec_lo, s20
	v_mov_b64_e32 v[6:7], 0
	s_and_saveexec_b32 s20, s21
	s_cbranch_execnz .LBB70_2052
	s_branch .LBB70_2053
.LBB70_2068:
	s_mov_b32 s19, -1
                                        ; implicit-def: $vgpr6_vgpr7
	s_branch .LBB70_2073
.LBB70_2069:
	s_mov_b32 s19, -1
                                        ; implicit-def: $vgpr6_vgpr7
.LBB70_2070:
	s_delay_alu instid0(SALU_CYCLE_1)
	s_and_b32 vcc_lo, exec_lo, s19
	s_cbranch_vccz .LBB70_2072
; %bb.2071:
	s_wait_loadcnt 0x0
	global_load_u8 v6, v[12:13], off
	s_wait_loadcnt 0x0
	v_lshlrev_b32_e32 v6, 24, v6
	s_delay_alu instid0(VALU_DEP_1) | instskip(NEXT) | instid1(VALU_DEP_1)
	v_and_b32_e32 v7, 0x7f000000, v6
	v_clz_i32_u32_e32 v9, v7
	v_cmp_ne_u32_e32 vcc_lo, 0, v7
	v_add_nc_u32_e32 v14, 0x1000000, v7
	s_delay_alu instid0(VALU_DEP_3) | instskip(NEXT) | instid1(VALU_DEP_1)
	v_min_u32_e32 v9, 32, v9
	v_sub_nc_u32_e64 v9, v9, 4 clamp
	s_delay_alu instid0(VALU_DEP_1) | instskip(NEXT) | instid1(VALU_DEP_1)
	v_dual_lshlrev_b32 v11, v9, v7 :: v_dual_lshlrev_b32 v9, 23, v9
	v_lshrrev_b32_e32 v11, 4, v11
	s_delay_alu instid0(VALU_DEP_1) | instskip(NEXT) | instid1(VALU_DEP_1)
	v_dual_sub_nc_u32 v9, v11, v9 :: v_dual_ashrrev_i32 v11, 8, v14
	v_add_nc_u32_e32 v9, 0x3c000000, v9
	s_delay_alu instid0(VALU_DEP_1) | instskip(NEXT) | instid1(VALU_DEP_1)
	v_and_or_b32 v9, 0x7f800000, v11, v9
	v_cndmask_b32_e32 v7, 0, v9, vcc_lo
	s_delay_alu instid0(VALU_DEP_1) | instskip(NEXT) | instid1(VALU_DEP_1)
	v_and_or_b32 v6, 0x80000000, v6, v7
	v_trunc_f32_e32 v6, v6
	s_delay_alu instid0(VALU_DEP_1) | instskip(NEXT) | instid1(VALU_DEP_1)
	v_mul_f32_e64 v7, 0x2f800000, |v6|
	v_floor_f32_e32 v7, v7
	s_delay_alu instid0(VALU_DEP_1) | instskip(SKIP_2) | instid1(VALU_DEP_3)
	v_fma_f32 v9, 0xcf800000, v7, |v6|
	v_ashrrev_i32_e32 v6, 31, v6
	v_cvt_u32_f32_e32 v11, v7
	v_cvt_u32_f32_e32 v9, v9
	s_delay_alu instid0(VALU_DEP_2) | instskip(NEXT) | instid1(VALU_DEP_2)
	v_dual_mov_b32 v7, v6 :: v_dual_bitop2_b32 v15, v11, v6 bitop3:0x14
	v_xor_b32_e32 v14, v9, v6
	s_delay_alu instid0(VALU_DEP_1)
	v_sub_nc_u64_e32 v[6:7], v[14:15], v[6:7]
.LBB70_2072:
	s_mov_b32 s19, 0
.LBB70_2073:
	s_delay_alu instid0(SALU_CYCLE_1)
	s_and_not1_b32 vcc_lo, exec_lo, s19
	s_cbranch_vccnz .LBB70_2075
; %bb.2074:
	s_wait_loadcnt 0x0
	global_load_u8 v6, v[12:13], off
	s_wait_loadcnt 0x0
	v_lshlrev_b32_e32 v7, 25, v6
	v_lshlrev_b16 v6, 8, v6
	s_delay_alu instid0(VALU_DEP_1) | instskip(SKIP_1) | instid1(VALU_DEP_2)
	v_and_or_b32 v11, 0x7f00, v6, 0.5
	v_bfe_i32 v6, v6, 0, 16
	v_add_f32_e32 v11, -0.5, v11
	v_lshrrev_b32_e32 v9, 4, v7
	v_cmp_gt_u32_e32 vcc_lo, 0x8000000, v7
	s_delay_alu instid0(VALU_DEP_2) | instskip(NEXT) | instid1(VALU_DEP_1)
	v_or_b32_e32 v9, 0x70000000, v9
	v_mul_f32_e32 v9, 0x7800000, v9
	s_delay_alu instid0(VALU_DEP_1) | instskip(NEXT) | instid1(VALU_DEP_1)
	v_cndmask_b32_e32 v7, v9, v11, vcc_lo
	v_and_or_b32 v6, 0x80000000, v6, v7
	s_delay_alu instid0(VALU_DEP_1) | instskip(NEXT) | instid1(VALU_DEP_1)
	v_trunc_f32_e32 v6, v6
	v_mul_f32_e64 v7, 0x2f800000, |v6|
	s_delay_alu instid0(VALU_DEP_1) | instskip(NEXT) | instid1(VALU_DEP_1)
	v_floor_f32_e32 v7, v7
	v_fma_f32 v9, 0xcf800000, v7, |v6|
	v_ashrrev_i32_e32 v6, 31, v6
	v_cvt_u32_f32_e32 v11, v7
	s_delay_alu instid0(VALU_DEP_3) | instskip(NEXT) | instid1(VALU_DEP_2)
	v_cvt_u32_f32_e32 v9, v9
	v_dual_mov_b32 v7, v6 :: v_dual_bitop2_b32 v15, v11, v6 bitop3:0x14
	s_delay_alu instid0(VALU_DEP_2) | instskip(NEXT) | instid1(VALU_DEP_1)
	v_xor_b32_e32 v14, v9, v6
	v_sub_nc_u64_e32 v[6:7], v[14:15], v[6:7]
.LBB70_2075:
	s_mov_b32 s19, 0
	s_mov_b32 s20, -1
.LBB70_2076:
	s_and_not1_b32 vcc_lo, exec_lo, s19
	s_mov_b32 s19, 0
	s_cbranch_vccnz .LBB70_2087
; %bb.2077:
	s_cmp_gt_i32 s0, 14
	s_cbranch_scc0 .LBB70_2080
; %bb.2078:
	s_cmp_eq_u32 s0, 15
	s_cbranch_scc0 .LBB70_2083
; %bb.2079:
	s_wait_loadcnt 0x0
	global_load_u16 v6, v[12:13], off
	s_mov_b32 s5, 0
	s_mov_b32 s20, -1
	s_wait_loadcnt 0x0
	v_lshlrev_b32_e32 v6, 16, v6
	s_delay_alu instid0(VALU_DEP_1) | instskip(NEXT) | instid1(VALU_DEP_1)
	v_trunc_f32_e32 v6, v6
	v_mul_f32_e64 v7, 0x2f800000, |v6|
	s_delay_alu instid0(VALU_DEP_1) | instskip(NEXT) | instid1(VALU_DEP_1)
	v_floor_f32_e32 v7, v7
	v_fma_f32 v9, 0xcf800000, v7, |v6|
	v_ashrrev_i32_e32 v6, 31, v6
	v_cvt_u32_f32_e32 v11, v7
	s_delay_alu instid0(VALU_DEP_3) | instskip(NEXT) | instid1(VALU_DEP_2)
	v_cvt_u32_f32_e32 v9, v9
	v_dual_mov_b32 v7, v6 :: v_dual_bitop2_b32 v15, v11, v6 bitop3:0x14
	s_delay_alu instid0(VALU_DEP_2) | instskip(NEXT) | instid1(VALU_DEP_1)
	v_xor_b32_e32 v14, v9, v6
	v_sub_nc_u64_e32 v[6:7], v[14:15], v[6:7]
	s_branch .LBB70_2085
.LBB70_2080:
	s_mov_b32 s19, -1
	s_branch .LBB70_2084
.LBB70_2081:
	s_and_not1_saveexec_b32 s19, s19
	s_cbranch_execz .LBB70_2062
.LBB70_2082:
	v_cmp_ne_u16_e32 vcc_lo, 0, v9
	s_and_not1_b32 s20, s20, exec_lo
	s_and_b32 s21, vcc_lo, exec_lo
	s_delay_alu instid0(SALU_CYCLE_1)
	s_or_b32 s20, s20, s21
	s_or_b32 exec_lo, exec_lo, s19
	v_mov_b64_e32 v[6:7], 0
	s_and_saveexec_b32 s19, s20
	s_cbranch_execnz .LBB70_2063
	s_branch .LBB70_2064
.LBB70_2083:
	s_mov_b32 s5, -1
.LBB70_2084:
                                        ; implicit-def: $vgpr6_vgpr7
.LBB70_2085:
	s_and_b32 vcc_lo, exec_lo, s19
	s_mov_b32 s19, 0
	s_cbranch_vccz .LBB70_2087
; %bb.2086:
	s_cmp_lg_u32 s0, 11
	s_mov_b32 s19, -1
	s_cselect_b32 s5, -1, 0
.LBB70_2087:
	s_delay_alu instid0(SALU_CYCLE_1)
	s_and_b32 vcc_lo, exec_lo, s5
	s_cbranch_vccnz .LBB70_2171
; %bb.2088:
	s_and_not1_b32 vcc_lo, exec_lo, s19
	s_cbranch_vccnz .LBB70_2090
.LBB70_2089:
	s_wait_loadcnt 0x0
	global_load_u8 v6, v[12:13], off
	s_mov_b32 s5, 0
	s_mov_b32 s20, -1
	v_mov_b32_e32 v7, s5
	s_wait_loadcnt 0x0
	v_cmp_ne_u16_e32 vcc_lo, 0, v6
	v_cndmask_b32_e64 v6, 0, 1, vcc_lo
.LBB70_2090:
	s_mov_b32 s5, 0
.LBB70_2091:
	s_delay_alu instid0(SALU_CYCLE_1)
	s_and_b32 vcc_lo, exec_lo, s5
	s_cbranch_vccz .LBB70_2140
; %bb.2092:
	s_cmp_lt_i32 s0, 5
	s_cbranch_scc1 .LBB70_2097
; %bb.2093:
	s_cmp_lt_i32 s0, 8
	s_cbranch_scc1 .LBB70_2098
	;; [unrolled: 3-line block ×3, first 2 shown]
; %bb.2095:
	s_cmp_gt_i32 s0, 9
	s_cbranch_scc0 .LBB70_2100
; %bb.2096:
	s_wait_loadcnt 0x0
	global_load_b64 v[6:7], v[12:13], off
	s_mov_b32 s5, 0
	s_wait_loadcnt 0x0
	v_trunc_f64_e32 v[6:7], v[6:7]
	s_delay_alu instid0(VALU_DEP_1) | instskip(NEXT) | instid1(VALU_DEP_1)
	v_ldexp_f64 v[14:15], v[6:7], 0xffffffe0
	v_floor_f64_e32 v[14:15], v[14:15]
	s_delay_alu instid0(VALU_DEP_1) | instskip(SKIP_1) | instid1(VALU_DEP_2)
	v_fmamk_f64 v[16:17], v[14:15], 0xc1f00000, v[6:7]
	v_cvt_i32_f64_e32 v7, v[14:15]
	v_cvt_u32_f64_e32 v6, v[16:17]
	s_branch .LBB70_2101
.LBB70_2097:
	s_mov_b32 s5, -1
                                        ; implicit-def: $vgpr6_vgpr7
	s_branch .LBB70_2119
.LBB70_2098:
	s_mov_b32 s5, -1
                                        ; implicit-def: $vgpr6_vgpr7
	s_branch .LBB70_2107
.LBB70_2099:
	s_mov_b32 s5, -1
                                        ; implicit-def: $vgpr6_vgpr7
	s_branch .LBB70_2104
.LBB70_2100:
	s_mov_b32 s5, -1
                                        ; implicit-def: $vgpr6_vgpr7
.LBB70_2101:
	s_delay_alu instid0(SALU_CYCLE_1)
	s_and_not1_b32 vcc_lo, exec_lo, s5
	s_cbranch_vccnz .LBB70_2103
; %bb.2102:
	s_wait_loadcnt 0x0
	global_load_b32 v6, v[12:13], off
	s_wait_loadcnt 0x0
	v_trunc_f32_e32 v6, v6
	s_delay_alu instid0(VALU_DEP_1) | instskip(NEXT) | instid1(VALU_DEP_1)
	v_mul_f32_e64 v7, 0x2f800000, |v6|
	v_floor_f32_e32 v7, v7
	s_delay_alu instid0(VALU_DEP_1) | instskip(SKIP_2) | instid1(VALU_DEP_3)
	v_fma_f32 v9, 0xcf800000, v7, |v6|
	v_ashrrev_i32_e32 v6, 31, v6
	v_cvt_u32_f32_e32 v11, v7
	v_cvt_u32_f32_e32 v9, v9
	s_delay_alu instid0(VALU_DEP_2) | instskip(NEXT) | instid1(VALU_DEP_2)
	v_dual_mov_b32 v7, v6 :: v_dual_bitop2_b32 v15, v11, v6 bitop3:0x14
	v_xor_b32_e32 v14, v9, v6
	s_delay_alu instid0(VALU_DEP_1)
	v_sub_nc_u64_e32 v[6:7], v[14:15], v[6:7]
.LBB70_2103:
	s_mov_b32 s5, 0
.LBB70_2104:
	s_delay_alu instid0(SALU_CYCLE_1)
	s_and_not1_b32 vcc_lo, exec_lo, s5
	s_cbranch_vccnz .LBB70_2106
; %bb.2105:
	s_wait_loadcnt 0x0
	global_load_b32 v6, v[12:13], off
	s_wait_loadcnt 0x0
	v_cvt_f32_f16_e32 v6, v6
	s_delay_alu instid0(VALU_DEP_1) | instskip(NEXT) | instid1(VALU_DEP_1)
	v_cvt_i32_f32_e32 v6, v6
	v_ashrrev_i32_e32 v7, 31, v6
.LBB70_2106:
	s_mov_b32 s5, 0
.LBB70_2107:
	s_delay_alu instid0(SALU_CYCLE_1)
	s_and_not1_b32 vcc_lo, exec_lo, s5
	s_cbranch_vccnz .LBB70_2118
; %bb.2108:
	s_cmp_lt_i32 s0, 6
	s_cbranch_scc1 .LBB70_2111
; %bb.2109:
	s_cmp_gt_i32 s0, 6
	s_cbranch_scc0 .LBB70_2112
; %bb.2110:
	s_wait_loadcnt 0x0
	global_load_b64 v[6:7], v[12:13], off
	s_mov_b32 s5, 0
	s_wait_loadcnt 0x0
	v_trunc_f64_e32 v[6:7], v[6:7]
	s_delay_alu instid0(VALU_DEP_1) | instskip(NEXT) | instid1(VALU_DEP_1)
	v_ldexp_f64 v[14:15], v[6:7], 0xffffffe0
	v_floor_f64_e32 v[14:15], v[14:15]
	s_delay_alu instid0(VALU_DEP_1) | instskip(SKIP_1) | instid1(VALU_DEP_2)
	v_fmamk_f64 v[16:17], v[14:15], 0xc1f00000, v[6:7]
	v_cvt_i32_f64_e32 v7, v[14:15]
	v_cvt_u32_f64_e32 v6, v[16:17]
	s_branch .LBB70_2113
.LBB70_2111:
	s_mov_b32 s5, -1
                                        ; implicit-def: $vgpr6_vgpr7
	s_branch .LBB70_2116
.LBB70_2112:
	s_mov_b32 s5, -1
                                        ; implicit-def: $vgpr6_vgpr7
.LBB70_2113:
	s_delay_alu instid0(SALU_CYCLE_1)
	s_and_not1_b32 vcc_lo, exec_lo, s5
	s_cbranch_vccnz .LBB70_2115
; %bb.2114:
	s_wait_loadcnt 0x0
	global_load_b32 v6, v[12:13], off
	s_wait_loadcnt 0x0
	v_trunc_f32_e32 v6, v6
	s_delay_alu instid0(VALU_DEP_1) | instskip(NEXT) | instid1(VALU_DEP_1)
	v_mul_f32_e64 v7, 0x2f800000, |v6|
	v_floor_f32_e32 v7, v7
	s_delay_alu instid0(VALU_DEP_1) | instskip(SKIP_2) | instid1(VALU_DEP_3)
	v_fma_f32 v9, 0xcf800000, v7, |v6|
	v_ashrrev_i32_e32 v6, 31, v6
	v_cvt_u32_f32_e32 v11, v7
	v_cvt_u32_f32_e32 v9, v9
	s_delay_alu instid0(VALU_DEP_2) | instskip(NEXT) | instid1(VALU_DEP_2)
	v_dual_mov_b32 v7, v6 :: v_dual_bitop2_b32 v15, v11, v6 bitop3:0x14
	v_xor_b32_e32 v14, v9, v6
	s_delay_alu instid0(VALU_DEP_1)
	v_sub_nc_u64_e32 v[6:7], v[14:15], v[6:7]
.LBB70_2115:
	s_mov_b32 s5, 0
.LBB70_2116:
	s_delay_alu instid0(SALU_CYCLE_1)
	s_and_not1_b32 vcc_lo, exec_lo, s5
	s_cbranch_vccnz .LBB70_2118
; %bb.2117:
	s_wait_loadcnt 0x0
	global_load_u16 v6, v[12:13], off
	s_wait_loadcnt 0x0
	v_cvt_f32_f16_e32 v6, v6
	s_delay_alu instid0(VALU_DEP_1) | instskip(NEXT) | instid1(VALU_DEP_1)
	v_cvt_i32_f32_e32 v6, v6
	v_ashrrev_i32_e32 v7, 31, v6
.LBB70_2118:
	s_mov_b32 s5, 0
.LBB70_2119:
	s_delay_alu instid0(SALU_CYCLE_1)
	s_and_not1_b32 vcc_lo, exec_lo, s5
	s_cbranch_vccnz .LBB70_2139
; %bb.2120:
	s_cmp_lt_i32 s0, 2
	s_cbranch_scc1 .LBB70_2124
; %bb.2121:
	s_cmp_lt_i32 s0, 3
	s_cbranch_scc1 .LBB70_2125
; %bb.2122:
	s_cmp_gt_i32 s0, 3
	s_cbranch_scc0 .LBB70_2126
; %bb.2123:
	s_wait_loadcnt 0x0
	global_load_b64 v[6:7], v[12:13], off
	s_mov_b32 s5, 0
	s_branch .LBB70_2127
.LBB70_2124:
	s_mov_b32 s5, -1
                                        ; implicit-def: $vgpr6_vgpr7
	s_branch .LBB70_2133
.LBB70_2125:
	s_mov_b32 s5, -1
                                        ; implicit-def: $vgpr6_vgpr7
	s_branch .LBB70_2130
.LBB70_2126:
	s_mov_b32 s5, -1
                                        ; implicit-def: $vgpr6_vgpr7
.LBB70_2127:
	s_delay_alu instid0(SALU_CYCLE_1)
	s_and_not1_b32 vcc_lo, exec_lo, s5
	s_cbranch_vccnz .LBB70_2129
; %bb.2128:
	s_wait_loadcnt 0x0
	global_load_b32 v6, v[12:13], off
	s_wait_loadcnt 0x0
	v_ashrrev_i32_e32 v7, 31, v6
.LBB70_2129:
	s_mov_b32 s5, 0
.LBB70_2130:
	s_delay_alu instid0(SALU_CYCLE_1)
	s_and_not1_b32 vcc_lo, exec_lo, s5
	s_cbranch_vccnz .LBB70_2132
; %bb.2131:
	s_wait_loadcnt 0x0
	global_load_u16 v6, v[12:13], off
	s_wait_loadcnt 0x0
	v_bfe_i32 v6, v6, 0, 16
	s_delay_alu instid0(VALU_DEP_1)
	v_ashrrev_i32_e32 v7, 31, v6
.LBB70_2132:
	s_mov_b32 s5, 0
.LBB70_2133:
	s_delay_alu instid0(SALU_CYCLE_1)
	s_and_not1_b32 vcc_lo, exec_lo, s5
	s_cbranch_vccnz .LBB70_2139
; %bb.2134:
	s_cmp_gt_i32 s0, 0
	s_mov_b32 s5, 0
	s_cbranch_scc0 .LBB70_2136
; %bb.2135:
	s_wait_loadcnt 0x0
	global_load_i8 v6, v[12:13], off
	s_wait_loadcnt 0x0
	v_bfe_i32 v6, v6, 0, 16
	s_delay_alu instid0(VALU_DEP_1)
	v_ashrrev_i32_e32 v7, 31, v6
	s_branch .LBB70_2137
.LBB70_2136:
	s_mov_b32 s5, -1
                                        ; implicit-def: $vgpr6_vgpr7
.LBB70_2137:
	s_delay_alu instid0(SALU_CYCLE_1)
	s_and_not1_b32 vcc_lo, exec_lo, s5
	s_cbranch_vccnz .LBB70_2139
; %bb.2138:
	s_wait_loadcnt 0x0
	global_load_u8 v6, v[12:13], off
	s_mov_b32 s5, 0
	s_delay_alu instid0(SALU_CYCLE_1)
	v_mov_b32_e32 v7, s5
	s_wait_loadcnt 0x0
	v_and_b32_e32 v6, 0xffff, v6
.LBB70_2139:
	s_mov_b32 s20, -1
.LBB70_2140:
	s_delay_alu instid0(SALU_CYCLE_1)
	s_and_not1_b32 vcc_lo, exec_lo, s20
	s_cbranch_vccnz .LBB70_3126
; %bb.2141:
	s_cmp_lt_i32 s16, 23
	s_cbranch_scc1 .LBB70_2145
; %bb.2142:
	s_and_b32 s20, 0xffff, s16
	s_delay_alu instid0(SALU_CYCLE_1)
	s_cmp_gt_i32 s20, 43
	s_cbranch_scc0 .LBB70_2146
; %bb.2143:
	s_cmp_gt_i32 s20, 45
	s_cbranch_scc0 .LBB70_2147
; %bb.2144:
	s_cmp_lg_u32 s20, 46
	s_mov_b32 s21, 0
	s_mov_b32 s5, -1
	s_cselect_b32 s19, -1, 0
	s_branch .LBB70_2148
.LBB70_2145:
	s_mov_b32 s20, -1
	s_mov_b32 s5, 0
	s_mov_b32 s19, 0
	s_branch .LBB70_2154
.LBB70_2146:
	s_mov_b32 s21, -1
	s_mov_b32 s5, 0
	s_mov_b32 s19, 0
	s_branch .LBB70_2151
.LBB70_2147:
	s_mov_b32 s21, -1
	s_mov_b32 s5, 0
	s_mov_b32 s19, 0
.LBB70_2148:
	s_and_not1_b32 vcc_lo, exec_lo, s21
	s_cbranch_vccnz .LBB70_2150
; %bb.2149:
	s_cmp_eq_u32 s20, 44
	s_cselect_b32 s5, -1, 0
	s_cmp_lg_u32 s20, 44
	s_cselect_b32 s19, -1, 0
.LBB70_2150:
	s_mov_b32 s21, 0
.LBB70_2151:
	s_delay_alu instid0(SALU_CYCLE_1)
	s_and_b32 vcc_lo, exec_lo, s21
	s_cbranch_vccz .LBB70_2153
; %bb.2152:
	s_cmp_lt_i32 s20, 30
	s_cselect_b32 s5, -1, 0
	s_cmp_gt_i32 s20, 29
	s_cselect_b32 s19, -1, 0
.LBB70_2153:
	s_mov_b32 s20, 0
.LBB70_2154:
	s_delay_alu instid0(SALU_CYCLE_1)
	s_and_b32 vcc_lo, exec_lo, s20
	s_cbranch_vccz .LBB70_2159
; %bb.2155:
	s_and_b32 s20, 0xffff, s16
	s_mov_b32 s21, -1
	s_cmp_gt_i32 s20, 14
	s_cbranch_scc0 .LBB70_2157
; %bb.2156:
	s_cmp_eq_u32 s20, 15
	s_mov_b32 s21, 0
	s_cselect_b32 s5, -1, 0
	s_cmp_lg_u32 s20, 15
	s_cselect_b32 s19, -1, 0
.LBB70_2157:
	s_and_not1_b32 vcc_lo, exec_lo, s21
	s_cbranch_vccnz .LBB70_2159
; %bb.2158:
	s_cmp_lt_i32 s20, 12
	s_cselect_b32 s5, -1, 0
	s_cmp_gt_i32 s20, 11
	s_cselect_b32 s19, -1, 0
.LBB70_2159:
	s_delay_alu instid0(SALU_CYCLE_1)
	s_and_b32 vcc_lo, exec_lo, s19
	s_cbranch_vccnz .LBB70_2172
; %bb.2160:
	s_and_not1_b32 vcc_lo, exec_lo, s5
	s_cbranch_vccnz .LBB70_3126
.LBB70_2161:
	s_wait_xcnt 0x0
	v_add_nc_u32_e32 v12, s1, v8
	s_cmp_lt_i32 s14, 11
	s_delay_alu instid0(VALU_DEP_1) | instskip(NEXT) | instid1(VALU_DEP_1)
	v_ashrrev_i32_e32 v13, 31, v12
	v_add_nc_u64_e32 v[14:15], s[8:9], v[12:13]
	s_cbranch_scc1 .LBB70_2168
; %bb.2162:
	s_and_b32 s5, 0xffff, s14
	s_mov_b32 s20, 0
	s_cmp_gt_i32 s5, 25
	s_cbranch_scc0 .LBB70_2169
; %bb.2163:
	s_cmp_gt_i32 s5, 28
	s_cbranch_scc0 .LBB70_2170
; %bb.2164:
	;; [unrolled: 3-line block ×4, first 2 shown]
	s_cmp_eq_u32 s5, 46
	s_mov_b32 s22, 0
	s_cbranch_scc0 .LBB70_2177
; %bb.2167:
	global_load_b32 v8, v[14:15], off
	s_mov_b32 s19, 0
	s_mov_b32 s21, -1
	s_wait_loadcnt 0x0
	v_lshlrev_b32_e32 v8, 16, v8
	s_delay_alu instid0(VALU_DEP_1) | instskip(NEXT) | instid1(VALU_DEP_1)
	v_trunc_f32_e32 v8, v8
	v_mul_f32_e64 v9, 0x2f800000, |v8|
	s_delay_alu instid0(VALU_DEP_1) | instskip(NEXT) | instid1(VALU_DEP_1)
	v_floor_f32_e32 v9, v9
	v_fma_f32 v11, 0xcf800000, v9, |v8|
	v_ashrrev_i32_e32 v8, 31, v8
	v_cvt_u32_f32_e32 v13, v9
	s_delay_alu instid0(VALU_DEP_3) | instskip(NEXT) | instid1(VALU_DEP_2)
	v_cvt_u32_f32_e32 v11, v11
	v_dual_mov_b32 v9, v8 :: v_dual_bitop2_b32 v17, v13, v8 bitop3:0x14
	s_delay_alu instid0(VALU_DEP_2) | instskip(NEXT) | instid1(VALU_DEP_1)
	v_xor_b32_e32 v16, v11, v8
	v_sub_nc_u64_e32 v[8:9], v[16:17], v[8:9]
	s_branch .LBB70_2179
.LBB70_2168:
	s_mov_b32 s5, -1
	s_mov_b32 s21, 0
                                        ; implicit-def: $vgpr8_vgpr9
	s_branch .LBB70_2241
.LBB70_2169:
	s_mov_b32 s22, -1
	s_mov_b32 s21, 0
	s_mov_b32 s19, 0
                                        ; implicit-def: $vgpr8_vgpr9
	s_branch .LBB70_2206
.LBB70_2170:
	s_mov_b32 s22, -1
	s_mov_b32 s21, 0
	s_mov_b32 s19, 0
                                        ; implicit-def: $vgpr8_vgpr9
	s_branch .LBB70_2189
.LBB70_2171:
	s_or_b32 s15, s15, exec_lo
	s_trap 2
	s_cbranch_execz .LBB70_2089
	s_branch .LBB70_2090
.LBB70_2172:
	s_or_b32 s15, s15, exec_lo
	s_trap 2
	s_cbranch_execz .LBB70_2161
	s_branch .LBB70_3126
.LBB70_2173:
	s_mov_b32 s22, -1
	s_mov_b32 s21, 0
	s_mov_b32 s19, 0
                                        ; implicit-def: $vgpr8_vgpr9
	s_branch .LBB70_2184
.LBB70_2174:
	s_and_not1_saveexec_b32 s38, s38
	s_cbranch_execz .LBB70_1119
.LBB70_2175:
	v_add_f32_e64 v5, 0x42800000, |v4|
	s_and_not1_b32 s37, s37, exec_lo
	s_delay_alu instid0(VALU_DEP_1) | instskip(NEXT) | instid1(VALU_DEP_1)
	v_and_b32_e32 v5, 0xff, v5
	v_cmp_ne_u32_e32 vcc_lo, 0, v5
	s_and_b32 s39, vcc_lo, exec_lo
	s_delay_alu instid0(SALU_CYCLE_1)
	s_or_b32 s37, s37, s39
	s_or_b32 exec_lo, exec_lo, s38
	v_mov_b32_e32 v6, 0
	s_and_saveexec_b32 s38, s37
	s_cbranch_execnz .LBB70_1120
	s_branch .LBB70_1121
.LBB70_2176:
	s_mov_b32 s22, -1
	s_mov_b32 s21, 0
	s_mov_b32 s19, 0
	s_branch .LBB70_2178
.LBB70_2177:
	s_mov_b32 s19, -1
	s_mov_b32 s21, 0
.LBB70_2178:
                                        ; implicit-def: $vgpr8_vgpr9
.LBB70_2179:
	s_and_b32 vcc_lo, exec_lo, s22
	s_cbranch_vccz .LBB70_2183
; %bb.2180:
	s_cmp_eq_u32 s5, 44
	s_cbranch_scc0 .LBB70_2182
; %bb.2181:
	global_load_u8 v11, v[14:15], off
	s_mov_b32 s19, 0
	s_mov_b32 s21, -1
	s_wait_loadcnt 0x0
	v_cmp_ne_u32_e32 vcc_lo, 0, v11
	v_lshlrev_b32_e32 v8, 23, v11
	s_delay_alu instid0(VALU_DEP_1) | instskip(NEXT) | instid1(VALU_DEP_1)
	v_trunc_f32_e32 v8, v8
	v_mul_f32_e64 v9, 0x2f800000, |v8|
	s_delay_alu instid0(VALU_DEP_1) | instskip(NEXT) | instid1(VALU_DEP_1)
	v_floor_f32_e32 v9, v9
	v_fma_f32 v13, 0xcf800000, v9, |v8|
	v_ashrrev_i32_e32 v8, 31, v8
	v_cvt_u32_f32_e32 v16, v9
	s_delay_alu instid0(VALU_DEP_3) | instskip(NEXT) | instid1(VALU_DEP_3)
	v_cvt_u32_f32_e32 v13, v13
	v_mov_b32_e32 v9, v8
	s_delay_alu instid0(VALU_DEP_3) | instskip(NEXT) | instid1(VALU_DEP_3)
	v_xor_b32_e32 v17, v16, v8
	v_xor_b32_e32 v16, v13, v8
	s_delay_alu instid0(VALU_DEP_1) | instskip(NEXT) | instid1(VALU_DEP_1)
	v_sub_nc_u64_e32 v[8:9], v[16:17], v[8:9]
	v_dual_cndmask_b32 v9, 0, v9 :: v_dual_cndmask_b32 v8, 0, v8
	s_branch .LBB70_2183
.LBB70_2182:
	s_mov_b32 s19, -1
                                        ; implicit-def: $vgpr8_vgpr9
.LBB70_2183:
	s_mov_b32 s22, 0
.LBB70_2184:
	s_delay_alu instid0(SALU_CYCLE_1)
	s_and_b32 vcc_lo, exec_lo, s22
	s_cbranch_vccz .LBB70_2188
; %bb.2185:
	s_cmp_eq_u32 s5, 29
	s_cbranch_scc0 .LBB70_2187
; %bb.2186:
	global_load_b64 v[8:9], v[14:15], off
	s_mov_b32 s19, 0
	s_mov_b32 s21, -1
	s_branch .LBB70_2188
.LBB70_2187:
	s_mov_b32 s19, -1
                                        ; implicit-def: $vgpr8_vgpr9
.LBB70_2188:
	s_mov_b32 s22, 0
.LBB70_2189:
	s_delay_alu instid0(SALU_CYCLE_1)
	s_and_b32 vcc_lo, exec_lo, s22
	s_cbranch_vccz .LBB70_2205
; %bb.2190:
	s_cmp_lt_i32 s5, 27
	s_cbranch_scc1 .LBB70_2193
; %bb.2191:
	s_cmp_gt_i32 s5, 27
	s_cbranch_scc0 .LBB70_2194
; %bb.2192:
	s_wait_loadcnt 0x0
	global_load_b32 v8, v[14:15], off
	v_mov_b32_e32 v9, 0
	s_mov_b32 s21, 0
	s_branch .LBB70_2195
.LBB70_2193:
	s_mov_b32 s21, -1
                                        ; implicit-def: $vgpr8_vgpr9
	s_branch .LBB70_2198
.LBB70_2194:
	s_mov_b32 s21, -1
                                        ; implicit-def: $vgpr8_vgpr9
.LBB70_2195:
	s_delay_alu instid0(SALU_CYCLE_1)
	s_and_not1_b32 vcc_lo, exec_lo, s21
	s_cbranch_vccnz .LBB70_2197
; %bb.2196:
	s_wait_loadcnt 0x0
	global_load_u16 v8, v[14:15], off
	s_mov_b32 s21, 0
	s_delay_alu instid0(SALU_CYCLE_1)
	v_mov_b32_e32 v9, s21
	s_wait_loadcnt 0x0
	v_and_b32_e32 v8, 0xffff, v8
.LBB70_2197:
	s_mov_b32 s21, 0
.LBB70_2198:
	s_delay_alu instid0(SALU_CYCLE_1)
	s_and_not1_b32 vcc_lo, exec_lo, s21
	s_cbranch_vccnz .LBB70_2204
; %bb.2199:
	global_load_u8 v11, v[14:15], off
	s_mov_b32 s22, 0
	s_mov_b32 s21, exec_lo
	s_wait_loadcnt 0x0
	v_cmpx_lt_i16_e32 0x7f, v11
	s_xor_b32 s21, exec_lo, s21
	s_cbranch_execz .LBB70_2216
; %bb.2200:
	v_cmp_ne_u16_e32 vcc_lo, 0x80, v11
	s_and_b32 s22, vcc_lo, exec_lo
	s_and_not1_saveexec_b32 s21, s21
	s_cbranch_execnz .LBB70_2217
.LBB70_2201:
	s_or_b32 exec_lo, exec_lo, s21
	v_mov_b64_e32 v[8:9], 0
	s_and_saveexec_b32 s21, s22
	s_cbranch_execz .LBB70_2203
.LBB70_2202:
	v_and_b32_e32 v8, 0xffff, v11
	s_delay_alu instid0(VALU_DEP_1) | instskip(SKIP_1) | instid1(VALU_DEP_2)
	v_and_b32_e32 v9, 7, v8
	v_bfe_u32 v17, v8, 3, 4
	v_clz_i32_u32_e32 v13, v9
	s_delay_alu instid0(VALU_DEP_2) | instskip(NEXT) | instid1(VALU_DEP_2)
	v_cmp_eq_u32_e32 vcc_lo, 0, v17
	v_min_u32_e32 v13, 32, v13
	s_delay_alu instid0(VALU_DEP_1) | instskip(NEXT) | instid1(VALU_DEP_1)
	v_subrev_nc_u32_e32 v16, 28, v13
	v_dual_lshlrev_b32 v8, v16, v8 :: v_dual_sub_nc_u32 v13, 29, v13
	s_delay_alu instid0(VALU_DEP_1) | instskip(NEXT) | instid1(VALU_DEP_2)
	v_dual_lshlrev_b32 v11, 24, v11 :: v_dual_bitop2_b32 v8, 7, v8 bitop3:0x40
	v_cndmask_b32_e32 v13, v17, v13, vcc_lo
	s_delay_alu instid0(VALU_DEP_2) | instskip(NEXT) | instid1(VALU_DEP_3)
	v_cndmask_b32_e32 v8, v9, v8, vcc_lo
	v_and_b32_e32 v9, 0x80000000, v11
	s_delay_alu instid0(VALU_DEP_3) | instskip(NEXT) | instid1(VALU_DEP_3)
	v_lshl_add_u32 v11, v13, 23, 0x3b800000
	v_lshlrev_b32_e32 v8, 20, v8
	s_delay_alu instid0(VALU_DEP_1) | instskip(NEXT) | instid1(VALU_DEP_1)
	v_or3_b32 v8, v9, v11, v8
	v_trunc_f32_e32 v8, v8
	s_delay_alu instid0(VALU_DEP_1) | instskip(NEXT) | instid1(VALU_DEP_1)
	v_mul_f32_e64 v9, 0x2f800000, |v8|
	v_floor_f32_e32 v9, v9
	s_delay_alu instid0(VALU_DEP_1) | instskip(SKIP_2) | instid1(VALU_DEP_3)
	v_fma_f32 v11, 0xcf800000, v9, |v8|
	v_ashrrev_i32_e32 v8, 31, v8
	v_cvt_u32_f32_e32 v13, v9
	v_cvt_u32_f32_e32 v11, v11
	s_delay_alu instid0(VALU_DEP_2) | instskip(NEXT) | instid1(VALU_DEP_2)
	v_dual_mov_b32 v9, v8 :: v_dual_bitop2_b32 v17, v13, v8 bitop3:0x14
	v_xor_b32_e32 v16, v11, v8
	s_delay_alu instid0(VALU_DEP_1)
	v_sub_nc_u64_e32 v[8:9], v[16:17], v[8:9]
.LBB70_2203:
	s_or_b32 exec_lo, exec_lo, s21
.LBB70_2204:
	s_mov_b32 s21, -1
.LBB70_2205:
	s_mov_b32 s22, 0
.LBB70_2206:
	s_delay_alu instid0(SALU_CYCLE_1)
	s_and_b32 vcc_lo, exec_lo, s22
	s_cbranch_vccz .LBB70_2237
; %bb.2207:
	s_cmp_gt_i32 s5, 22
	s_cbranch_scc0 .LBB70_2215
; %bb.2208:
	s_cmp_lt_i32 s5, 24
	s_cbranch_scc1 .LBB70_2218
; %bb.2209:
	s_cmp_gt_i32 s5, 24
	s_cbranch_scc0 .LBB70_2219
; %bb.2210:
	global_load_u8 v11, v[14:15], off
	s_mov_b32 s21, 0
	s_mov_b32 s20, exec_lo
	s_wait_loadcnt 0x0
	v_cmpx_lt_i16_e32 0x7f, v11
	s_xor_b32 s20, exec_lo, s20
	s_cbranch_execz .LBB70_2231
; %bb.2211:
	v_cmp_ne_u16_e32 vcc_lo, 0x80, v11
	s_and_b32 s21, vcc_lo, exec_lo
	s_and_not1_saveexec_b32 s20, s20
	s_cbranch_execnz .LBB70_2232
.LBB70_2212:
	s_or_b32 exec_lo, exec_lo, s20
	v_mov_b64_e32 v[8:9], 0
	s_and_saveexec_b32 s20, s21
	s_cbranch_execz .LBB70_2214
.LBB70_2213:
	v_and_b32_e32 v8, 0xffff, v11
	s_delay_alu instid0(VALU_DEP_1) | instskip(SKIP_1) | instid1(VALU_DEP_2)
	v_and_b32_e32 v9, 3, v8
	v_bfe_u32 v17, v8, 2, 5
	v_clz_i32_u32_e32 v13, v9
	s_delay_alu instid0(VALU_DEP_2) | instskip(NEXT) | instid1(VALU_DEP_2)
	v_cmp_eq_u32_e32 vcc_lo, 0, v17
	v_min_u32_e32 v13, 32, v13
	s_delay_alu instid0(VALU_DEP_1) | instskip(NEXT) | instid1(VALU_DEP_1)
	v_subrev_nc_u32_e32 v16, 29, v13
	v_dual_lshlrev_b32 v8, v16, v8 :: v_dual_sub_nc_u32 v13, 30, v13
	s_delay_alu instid0(VALU_DEP_1) | instskip(NEXT) | instid1(VALU_DEP_2)
	v_dual_lshlrev_b32 v11, 24, v11 :: v_dual_bitop2_b32 v8, 3, v8 bitop3:0x40
	v_cndmask_b32_e32 v13, v17, v13, vcc_lo
	s_delay_alu instid0(VALU_DEP_2) | instskip(NEXT) | instid1(VALU_DEP_3)
	v_cndmask_b32_e32 v8, v9, v8, vcc_lo
	v_and_b32_e32 v9, 0x80000000, v11
	s_delay_alu instid0(VALU_DEP_3) | instskip(NEXT) | instid1(VALU_DEP_3)
	v_lshl_add_u32 v11, v13, 23, 0x37800000
	v_lshlrev_b32_e32 v8, 21, v8
	s_delay_alu instid0(VALU_DEP_1) | instskip(NEXT) | instid1(VALU_DEP_1)
	v_or3_b32 v8, v9, v11, v8
	v_trunc_f32_e32 v8, v8
	s_delay_alu instid0(VALU_DEP_1) | instskip(NEXT) | instid1(VALU_DEP_1)
	v_mul_f32_e64 v9, 0x2f800000, |v8|
	v_floor_f32_e32 v9, v9
	s_delay_alu instid0(VALU_DEP_1) | instskip(SKIP_2) | instid1(VALU_DEP_3)
	v_fma_f32 v11, 0xcf800000, v9, |v8|
	v_ashrrev_i32_e32 v8, 31, v8
	v_cvt_u32_f32_e32 v13, v9
	v_cvt_u32_f32_e32 v11, v11
	s_delay_alu instid0(VALU_DEP_2) | instskip(NEXT) | instid1(VALU_DEP_2)
	v_dual_mov_b32 v9, v8 :: v_dual_bitop2_b32 v17, v13, v8 bitop3:0x14
	v_xor_b32_e32 v16, v11, v8
	s_delay_alu instid0(VALU_DEP_1)
	v_sub_nc_u64_e32 v[8:9], v[16:17], v[8:9]
.LBB70_2214:
	s_or_b32 exec_lo, exec_lo, s20
	s_mov_b32 s20, 0
	s_branch .LBB70_2220
.LBB70_2215:
	s_mov_b32 s20, -1
                                        ; implicit-def: $vgpr8_vgpr9
	s_branch .LBB70_2226
.LBB70_2216:
	s_and_not1_saveexec_b32 s21, s21
	s_cbranch_execz .LBB70_2201
.LBB70_2217:
	v_cmp_ne_u16_e32 vcc_lo, 0, v11
	s_and_not1_b32 s22, s22, exec_lo
	s_and_b32 s23, vcc_lo, exec_lo
	s_delay_alu instid0(SALU_CYCLE_1)
	s_or_b32 s22, s22, s23
	s_or_b32 exec_lo, exec_lo, s21
	v_mov_b64_e32 v[8:9], 0
	s_and_saveexec_b32 s21, s22
	s_cbranch_execnz .LBB70_2202
	s_branch .LBB70_2203
.LBB70_2218:
	s_mov_b32 s20, -1
                                        ; implicit-def: $vgpr8_vgpr9
	s_branch .LBB70_2223
.LBB70_2219:
	s_mov_b32 s20, -1
                                        ; implicit-def: $vgpr8_vgpr9
.LBB70_2220:
	s_delay_alu instid0(SALU_CYCLE_1)
	s_and_b32 vcc_lo, exec_lo, s20
	s_cbranch_vccz .LBB70_2222
; %bb.2221:
	s_wait_loadcnt 0x0
	global_load_u8 v8, v[14:15], off
	s_wait_loadcnt 0x0
	v_lshlrev_b32_e32 v8, 24, v8
	s_delay_alu instid0(VALU_DEP_1) | instskip(NEXT) | instid1(VALU_DEP_1)
	v_and_b32_e32 v9, 0x7f000000, v8
	v_clz_i32_u32_e32 v11, v9
	v_cmp_ne_u32_e32 vcc_lo, 0, v9
	v_add_nc_u32_e32 v16, 0x1000000, v9
	s_delay_alu instid0(VALU_DEP_3) | instskip(NEXT) | instid1(VALU_DEP_1)
	v_min_u32_e32 v11, 32, v11
	v_sub_nc_u32_e64 v11, v11, 4 clamp
	s_delay_alu instid0(VALU_DEP_1) | instskip(NEXT) | instid1(VALU_DEP_1)
	v_dual_lshlrev_b32 v13, v11, v9 :: v_dual_lshlrev_b32 v11, 23, v11
	v_lshrrev_b32_e32 v13, 4, v13
	s_delay_alu instid0(VALU_DEP_1) | instskip(NEXT) | instid1(VALU_DEP_1)
	v_dual_sub_nc_u32 v11, v13, v11 :: v_dual_ashrrev_i32 v13, 8, v16
	v_add_nc_u32_e32 v11, 0x3c000000, v11
	s_delay_alu instid0(VALU_DEP_1) | instskip(NEXT) | instid1(VALU_DEP_1)
	v_and_or_b32 v11, 0x7f800000, v13, v11
	v_cndmask_b32_e32 v9, 0, v11, vcc_lo
	s_delay_alu instid0(VALU_DEP_1) | instskip(NEXT) | instid1(VALU_DEP_1)
	v_and_or_b32 v8, 0x80000000, v8, v9
	v_trunc_f32_e32 v8, v8
	s_delay_alu instid0(VALU_DEP_1) | instskip(NEXT) | instid1(VALU_DEP_1)
	v_mul_f32_e64 v9, 0x2f800000, |v8|
	v_floor_f32_e32 v9, v9
	s_delay_alu instid0(VALU_DEP_1) | instskip(SKIP_2) | instid1(VALU_DEP_3)
	v_fma_f32 v11, 0xcf800000, v9, |v8|
	v_ashrrev_i32_e32 v8, 31, v8
	v_cvt_u32_f32_e32 v13, v9
	v_cvt_u32_f32_e32 v11, v11
	s_delay_alu instid0(VALU_DEP_2) | instskip(NEXT) | instid1(VALU_DEP_2)
	v_dual_mov_b32 v9, v8 :: v_dual_bitop2_b32 v17, v13, v8 bitop3:0x14
	v_xor_b32_e32 v16, v11, v8
	s_delay_alu instid0(VALU_DEP_1)
	v_sub_nc_u64_e32 v[8:9], v[16:17], v[8:9]
.LBB70_2222:
	s_mov_b32 s20, 0
.LBB70_2223:
	s_delay_alu instid0(SALU_CYCLE_1)
	s_and_not1_b32 vcc_lo, exec_lo, s20
	s_cbranch_vccnz .LBB70_2225
; %bb.2224:
	s_wait_loadcnt 0x0
	global_load_u8 v8, v[14:15], off
	s_wait_loadcnt 0x0
	v_lshlrev_b32_e32 v9, 25, v8
	v_lshlrev_b16 v8, 8, v8
	s_delay_alu instid0(VALU_DEP_1) | instskip(SKIP_1) | instid1(VALU_DEP_2)
	v_and_or_b32 v13, 0x7f00, v8, 0.5
	v_bfe_i32 v8, v8, 0, 16
	v_add_f32_e32 v13, -0.5, v13
	v_lshrrev_b32_e32 v11, 4, v9
	v_cmp_gt_u32_e32 vcc_lo, 0x8000000, v9
	s_delay_alu instid0(VALU_DEP_2) | instskip(NEXT) | instid1(VALU_DEP_1)
	v_or_b32_e32 v11, 0x70000000, v11
	v_mul_f32_e32 v11, 0x7800000, v11
	s_delay_alu instid0(VALU_DEP_1) | instskip(NEXT) | instid1(VALU_DEP_1)
	v_cndmask_b32_e32 v9, v11, v13, vcc_lo
	v_and_or_b32 v8, 0x80000000, v8, v9
	s_delay_alu instid0(VALU_DEP_1) | instskip(NEXT) | instid1(VALU_DEP_1)
	v_trunc_f32_e32 v8, v8
	v_mul_f32_e64 v9, 0x2f800000, |v8|
	s_delay_alu instid0(VALU_DEP_1) | instskip(NEXT) | instid1(VALU_DEP_1)
	v_floor_f32_e32 v9, v9
	v_fma_f32 v11, 0xcf800000, v9, |v8|
	v_ashrrev_i32_e32 v8, 31, v8
	v_cvt_u32_f32_e32 v13, v9
	s_delay_alu instid0(VALU_DEP_3) | instskip(NEXT) | instid1(VALU_DEP_2)
	v_cvt_u32_f32_e32 v11, v11
	v_dual_mov_b32 v9, v8 :: v_dual_bitop2_b32 v17, v13, v8 bitop3:0x14
	s_delay_alu instid0(VALU_DEP_2) | instskip(NEXT) | instid1(VALU_DEP_1)
	v_xor_b32_e32 v16, v11, v8
	v_sub_nc_u64_e32 v[8:9], v[16:17], v[8:9]
.LBB70_2225:
	s_mov_b32 s20, 0
	s_mov_b32 s21, -1
.LBB70_2226:
	s_and_not1_b32 vcc_lo, exec_lo, s20
	s_mov_b32 s20, 0
	s_cbranch_vccnz .LBB70_2237
; %bb.2227:
	s_cmp_gt_i32 s5, 14
	s_cbranch_scc0 .LBB70_2230
; %bb.2228:
	s_cmp_eq_u32 s5, 15
	s_cbranch_scc0 .LBB70_2233
; %bb.2229:
	s_wait_loadcnt 0x0
	global_load_u16 v8, v[14:15], off
	s_mov_b32 s19, 0
	s_mov_b32 s21, -1
	s_wait_loadcnt 0x0
	v_lshlrev_b32_e32 v8, 16, v8
	s_delay_alu instid0(VALU_DEP_1) | instskip(NEXT) | instid1(VALU_DEP_1)
	v_trunc_f32_e32 v8, v8
	v_mul_f32_e64 v9, 0x2f800000, |v8|
	s_delay_alu instid0(VALU_DEP_1) | instskip(NEXT) | instid1(VALU_DEP_1)
	v_floor_f32_e32 v9, v9
	v_fma_f32 v11, 0xcf800000, v9, |v8|
	v_ashrrev_i32_e32 v8, 31, v8
	v_cvt_u32_f32_e32 v13, v9
	s_delay_alu instid0(VALU_DEP_3) | instskip(NEXT) | instid1(VALU_DEP_2)
	v_cvt_u32_f32_e32 v11, v11
	v_dual_mov_b32 v9, v8 :: v_dual_bitop2_b32 v17, v13, v8 bitop3:0x14
	s_delay_alu instid0(VALU_DEP_2) | instskip(NEXT) | instid1(VALU_DEP_1)
	v_xor_b32_e32 v16, v11, v8
	v_sub_nc_u64_e32 v[8:9], v[16:17], v[8:9]
	s_branch .LBB70_2235
.LBB70_2230:
	s_mov_b32 s20, -1
	s_branch .LBB70_2234
.LBB70_2231:
	s_and_not1_saveexec_b32 s20, s20
	s_cbranch_execz .LBB70_2212
.LBB70_2232:
	v_cmp_ne_u16_e32 vcc_lo, 0, v11
	s_and_not1_b32 s21, s21, exec_lo
	s_and_b32 s22, vcc_lo, exec_lo
	s_delay_alu instid0(SALU_CYCLE_1)
	s_or_b32 s21, s21, s22
	s_or_b32 exec_lo, exec_lo, s20
	v_mov_b64_e32 v[8:9], 0
	s_and_saveexec_b32 s20, s21
	s_cbranch_execnz .LBB70_2213
	s_branch .LBB70_2214
.LBB70_2233:
	s_mov_b32 s19, -1
.LBB70_2234:
                                        ; implicit-def: $vgpr8_vgpr9
.LBB70_2235:
	s_and_b32 vcc_lo, exec_lo, s20
	s_mov_b32 s20, 0
	s_cbranch_vccz .LBB70_2237
; %bb.2236:
	s_cmp_lg_u32 s5, 11
	s_mov_b32 s20, -1
	s_cselect_b32 s19, -1, 0
.LBB70_2237:
	s_delay_alu instid0(SALU_CYCLE_1)
	s_and_b32 vcc_lo, exec_lo, s19
	s_cbranch_vccnz .LBB70_2302
; %bb.2238:
	s_and_not1_b32 vcc_lo, exec_lo, s20
	s_cbranch_vccnz .LBB70_2240
.LBB70_2239:
	s_wait_loadcnt 0x0
	global_load_u8 v8, v[14:15], off
	s_mov_b32 s5, 0
	s_mov_b32 s21, -1
	v_mov_b32_e32 v9, s5
	s_wait_loadcnt 0x0
	v_cmp_ne_u16_e32 vcc_lo, 0, v8
	v_cndmask_b32_e64 v8, 0, 1, vcc_lo
.LBB70_2240:
	s_mov_b32 s5, 0
.LBB70_2241:
	s_delay_alu instid0(SALU_CYCLE_1)
	s_and_b32 vcc_lo, exec_lo, s5
	s_cbranch_vccz .LBB70_2290
; %bb.2242:
	s_and_b32 s5, 0xffff, s14
	s_delay_alu instid0(SALU_CYCLE_1)
	s_cmp_lt_i32 s5, 5
	s_cbranch_scc1 .LBB70_2247
; %bb.2243:
	s_cmp_lt_i32 s5, 8
	s_cbranch_scc1 .LBB70_2248
; %bb.2244:
	;; [unrolled: 3-line block ×3, first 2 shown]
	s_cmp_gt_i32 s5, 9
	s_cbranch_scc0 .LBB70_2250
; %bb.2246:
	s_wait_loadcnt 0x0
	global_load_b64 v[8:9], v[14:15], off
	s_mov_b32 s19, 0
	s_wait_loadcnt 0x0
	v_trunc_f64_e32 v[8:9], v[8:9]
	s_delay_alu instid0(VALU_DEP_1) | instskip(NEXT) | instid1(VALU_DEP_1)
	v_ldexp_f64 v[16:17], v[8:9], 0xffffffe0
	v_floor_f64_e32 v[16:17], v[16:17]
	s_delay_alu instid0(VALU_DEP_1) | instskip(SKIP_1) | instid1(VALU_DEP_2)
	v_fmamk_f64 v[20:21], v[16:17], 0xc1f00000, v[8:9]
	v_cvt_i32_f64_e32 v9, v[16:17]
	v_cvt_u32_f64_e32 v8, v[20:21]
	s_branch .LBB70_2251
.LBB70_2247:
	s_mov_b32 s19, -1
                                        ; implicit-def: $vgpr8_vgpr9
	s_branch .LBB70_2269
.LBB70_2248:
	s_mov_b32 s19, -1
                                        ; implicit-def: $vgpr8_vgpr9
	s_branch .LBB70_2257
.LBB70_2249:
	s_mov_b32 s19, -1
                                        ; implicit-def: $vgpr8_vgpr9
	s_branch .LBB70_2254
.LBB70_2250:
	s_mov_b32 s19, -1
                                        ; implicit-def: $vgpr8_vgpr9
.LBB70_2251:
	s_delay_alu instid0(SALU_CYCLE_1)
	s_and_not1_b32 vcc_lo, exec_lo, s19
	s_cbranch_vccnz .LBB70_2253
; %bb.2252:
	s_wait_loadcnt 0x0
	global_load_b32 v8, v[14:15], off
	s_wait_loadcnt 0x0
	v_trunc_f32_e32 v8, v8
	s_delay_alu instid0(VALU_DEP_1) | instskip(NEXT) | instid1(VALU_DEP_1)
	v_mul_f32_e64 v9, 0x2f800000, |v8|
	v_floor_f32_e32 v9, v9
	s_delay_alu instid0(VALU_DEP_1) | instskip(SKIP_2) | instid1(VALU_DEP_3)
	v_fma_f32 v11, 0xcf800000, v9, |v8|
	v_ashrrev_i32_e32 v8, 31, v8
	v_cvt_u32_f32_e32 v13, v9
	v_cvt_u32_f32_e32 v11, v11
	s_delay_alu instid0(VALU_DEP_2) | instskip(NEXT) | instid1(VALU_DEP_2)
	v_dual_mov_b32 v9, v8 :: v_dual_bitop2_b32 v17, v13, v8 bitop3:0x14
	v_xor_b32_e32 v16, v11, v8
	s_delay_alu instid0(VALU_DEP_1)
	v_sub_nc_u64_e32 v[8:9], v[16:17], v[8:9]
.LBB70_2253:
	s_mov_b32 s19, 0
.LBB70_2254:
	s_delay_alu instid0(SALU_CYCLE_1)
	s_and_not1_b32 vcc_lo, exec_lo, s19
	s_cbranch_vccnz .LBB70_2256
; %bb.2255:
	s_wait_loadcnt 0x0
	global_load_b32 v8, v[14:15], off
	s_wait_loadcnt 0x0
	v_cvt_f32_f16_e32 v8, v8
	s_delay_alu instid0(VALU_DEP_1) | instskip(NEXT) | instid1(VALU_DEP_1)
	v_cvt_i32_f32_e32 v8, v8
	v_ashrrev_i32_e32 v9, 31, v8
.LBB70_2256:
	s_mov_b32 s19, 0
.LBB70_2257:
	s_delay_alu instid0(SALU_CYCLE_1)
	s_and_not1_b32 vcc_lo, exec_lo, s19
	s_cbranch_vccnz .LBB70_2268
; %bb.2258:
	s_cmp_lt_i32 s5, 6
	s_cbranch_scc1 .LBB70_2261
; %bb.2259:
	s_cmp_gt_i32 s5, 6
	s_cbranch_scc0 .LBB70_2262
; %bb.2260:
	s_wait_loadcnt 0x0
	global_load_b64 v[8:9], v[14:15], off
	s_mov_b32 s19, 0
	s_wait_loadcnt 0x0
	v_trunc_f64_e32 v[8:9], v[8:9]
	s_delay_alu instid0(VALU_DEP_1) | instskip(NEXT) | instid1(VALU_DEP_1)
	v_ldexp_f64 v[16:17], v[8:9], 0xffffffe0
	v_floor_f64_e32 v[16:17], v[16:17]
	s_delay_alu instid0(VALU_DEP_1) | instskip(SKIP_1) | instid1(VALU_DEP_2)
	v_fmamk_f64 v[20:21], v[16:17], 0xc1f00000, v[8:9]
	v_cvt_i32_f64_e32 v9, v[16:17]
	v_cvt_u32_f64_e32 v8, v[20:21]
	s_branch .LBB70_2263
.LBB70_2261:
	s_mov_b32 s19, -1
                                        ; implicit-def: $vgpr8_vgpr9
	s_branch .LBB70_2266
.LBB70_2262:
	s_mov_b32 s19, -1
                                        ; implicit-def: $vgpr8_vgpr9
.LBB70_2263:
	s_delay_alu instid0(SALU_CYCLE_1)
	s_and_not1_b32 vcc_lo, exec_lo, s19
	s_cbranch_vccnz .LBB70_2265
; %bb.2264:
	s_wait_loadcnt 0x0
	global_load_b32 v8, v[14:15], off
	s_wait_loadcnt 0x0
	v_trunc_f32_e32 v8, v8
	s_delay_alu instid0(VALU_DEP_1) | instskip(NEXT) | instid1(VALU_DEP_1)
	v_mul_f32_e64 v9, 0x2f800000, |v8|
	v_floor_f32_e32 v9, v9
	s_delay_alu instid0(VALU_DEP_1) | instskip(SKIP_2) | instid1(VALU_DEP_3)
	v_fma_f32 v11, 0xcf800000, v9, |v8|
	v_ashrrev_i32_e32 v8, 31, v8
	v_cvt_u32_f32_e32 v13, v9
	v_cvt_u32_f32_e32 v11, v11
	s_delay_alu instid0(VALU_DEP_2) | instskip(NEXT) | instid1(VALU_DEP_2)
	v_dual_mov_b32 v9, v8 :: v_dual_bitop2_b32 v17, v13, v8 bitop3:0x14
	v_xor_b32_e32 v16, v11, v8
	s_delay_alu instid0(VALU_DEP_1)
	v_sub_nc_u64_e32 v[8:9], v[16:17], v[8:9]
.LBB70_2265:
	s_mov_b32 s19, 0
.LBB70_2266:
	s_delay_alu instid0(SALU_CYCLE_1)
	s_and_not1_b32 vcc_lo, exec_lo, s19
	s_cbranch_vccnz .LBB70_2268
; %bb.2267:
	s_wait_loadcnt 0x0
	global_load_u16 v8, v[14:15], off
	s_wait_loadcnt 0x0
	v_cvt_f32_f16_e32 v8, v8
	s_delay_alu instid0(VALU_DEP_1) | instskip(NEXT) | instid1(VALU_DEP_1)
	v_cvt_i32_f32_e32 v8, v8
	v_ashrrev_i32_e32 v9, 31, v8
.LBB70_2268:
	s_mov_b32 s19, 0
.LBB70_2269:
	s_delay_alu instid0(SALU_CYCLE_1)
	s_and_not1_b32 vcc_lo, exec_lo, s19
	s_cbranch_vccnz .LBB70_2289
; %bb.2270:
	s_cmp_lt_i32 s5, 2
	s_cbranch_scc1 .LBB70_2274
; %bb.2271:
	s_cmp_lt_i32 s5, 3
	s_cbranch_scc1 .LBB70_2275
; %bb.2272:
	s_cmp_gt_i32 s5, 3
	s_cbranch_scc0 .LBB70_2276
; %bb.2273:
	s_wait_loadcnt 0x0
	global_load_b64 v[8:9], v[14:15], off
	s_mov_b32 s19, 0
	s_branch .LBB70_2277
.LBB70_2274:
	s_mov_b32 s19, -1
                                        ; implicit-def: $vgpr8_vgpr9
	s_branch .LBB70_2283
.LBB70_2275:
	s_mov_b32 s19, -1
                                        ; implicit-def: $vgpr8_vgpr9
	s_branch .LBB70_2280
.LBB70_2276:
	s_mov_b32 s19, -1
                                        ; implicit-def: $vgpr8_vgpr9
.LBB70_2277:
	s_delay_alu instid0(SALU_CYCLE_1)
	s_and_not1_b32 vcc_lo, exec_lo, s19
	s_cbranch_vccnz .LBB70_2279
; %bb.2278:
	s_wait_loadcnt 0x0
	global_load_b32 v8, v[14:15], off
	s_wait_loadcnt 0x0
	v_ashrrev_i32_e32 v9, 31, v8
.LBB70_2279:
	s_mov_b32 s19, 0
.LBB70_2280:
	s_delay_alu instid0(SALU_CYCLE_1)
	s_and_not1_b32 vcc_lo, exec_lo, s19
	s_cbranch_vccnz .LBB70_2282
; %bb.2281:
	s_wait_loadcnt 0x0
	global_load_u16 v8, v[14:15], off
	s_wait_loadcnt 0x0
	v_bfe_i32 v8, v8, 0, 16
	s_delay_alu instid0(VALU_DEP_1)
	v_ashrrev_i32_e32 v9, 31, v8
.LBB70_2282:
	s_mov_b32 s19, 0
.LBB70_2283:
	s_delay_alu instid0(SALU_CYCLE_1)
	s_and_not1_b32 vcc_lo, exec_lo, s19
	s_cbranch_vccnz .LBB70_2289
; %bb.2284:
	s_cmp_gt_i32 s5, 0
	s_mov_b32 s5, 0
	s_cbranch_scc0 .LBB70_2286
; %bb.2285:
	s_wait_loadcnt 0x0
	global_load_i8 v8, v[14:15], off
	s_wait_loadcnt 0x0
	v_bfe_i32 v8, v8, 0, 16
	s_delay_alu instid0(VALU_DEP_1)
	v_ashrrev_i32_e32 v9, 31, v8
	s_branch .LBB70_2287
.LBB70_2286:
	s_mov_b32 s5, -1
                                        ; implicit-def: $vgpr8_vgpr9
.LBB70_2287:
	s_delay_alu instid0(SALU_CYCLE_1)
	s_and_not1_b32 vcc_lo, exec_lo, s5
	s_cbranch_vccnz .LBB70_2289
; %bb.2288:
	s_wait_loadcnt 0x0
	global_load_u8 v8, v[14:15], off
	s_mov_b32 s5, 0
	s_delay_alu instid0(SALU_CYCLE_1)
	v_mov_b32_e32 v9, s5
	s_wait_loadcnt 0x0
	v_and_b32_e32 v8, 0xffff, v8
.LBB70_2289:
	s_mov_b32 s21, -1
.LBB70_2290:
	s_delay_alu instid0(SALU_CYCLE_1)
	s_and_not1_b32 vcc_lo, exec_lo, s21
	s_cbranch_vccnz .LBB70_3126
; %bb.2291:
	s_wait_xcnt 0x0
	v_add_nc_u32_e32 v14, s4, v10
	s_cmp_lt_i32 s0, 11
	s_delay_alu instid0(VALU_DEP_1) | instskip(NEXT) | instid1(VALU_DEP_1)
	v_ashrrev_i32_e32 v15, 31, v14
	v_add_nc_u64_e32 v[16:17], s[10:11], v[14:15]
	s_cbranch_scc1 .LBB70_2298
; %bb.2292:
	s_cmp_gt_i32 s0, 25
	s_mov_b32 s19, 0
	s_cbranch_scc0 .LBB70_2299
; %bb.2293:
	s_cmp_gt_i32 s0, 28
	s_cbranch_scc0 .LBB70_2300
; %bb.2294:
	s_cmp_gt_i32 s0, 43
	;; [unrolled: 3-line block ×3, first 2 shown]
	s_cbranch_scc0 .LBB70_2303
; %bb.2296:
	s_cmp_eq_u32 s0, 46
	s_mov_b32 s21, 0
	s_cbranch_scc0 .LBB70_2304
; %bb.2297:
	global_load_b32 v10, v[16:17], off
	s_mov_b32 s5, 0
	s_mov_b32 s20, -1
	s_wait_loadcnt 0x0
	v_lshlrev_b32_e32 v10, 16, v10
	s_delay_alu instid0(VALU_DEP_1) | instskip(NEXT) | instid1(VALU_DEP_1)
	v_trunc_f32_e32 v10, v10
	v_mul_f32_e64 v11, 0x2f800000, |v10|
	s_delay_alu instid0(VALU_DEP_1) | instskip(NEXT) | instid1(VALU_DEP_1)
	v_floor_f32_e32 v11, v11
	v_fma_f32 v13, 0xcf800000, v11, |v10|
	v_ashrrev_i32_e32 v10, 31, v10
	v_cvt_u32_f32_e32 v15, v11
	s_delay_alu instid0(VALU_DEP_3) | instskip(NEXT) | instid1(VALU_DEP_2)
	v_cvt_u32_f32_e32 v13, v13
	v_dual_mov_b32 v11, v10 :: v_dual_bitop2_b32 v21, v15, v10 bitop3:0x14
	s_delay_alu instid0(VALU_DEP_2) | instskip(NEXT) | instid1(VALU_DEP_1)
	v_xor_b32_e32 v20, v13, v10
	v_sub_nc_u64_e32 v[10:11], v[20:21], v[10:11]
	s_branch .LBB70_2306
.LBB70_2298:
	s_mov_b32 s5, -1
	s_mov_b32 s20, 0
                                        ; implicit-def: $vgpr10_vgpr11
	s_branch .LBB70_2368
.LBB70_2299:
	s_mov_b32 s21, -1
	s_mov_b32 s20, 0
	s_mov_b32 s5, 0
                                        ; implicit-def: $vgpr10_vgpr11
	s_branch .LBB70_2333
.LBB70_2300:
	s_mov_b32 s21, -1
	s_mov_b32 s20, 0
	s_mov_b32 s5, 0
                                        ; implicit-def: $vgpr10_vgpr11
	s_branch .LBB70_2316
.LBB70_2301:
	s_mov_b32 s21, -1
	s_mov_b32 s20, 0
	s_mov_b32 s5, 0
                                        ; implicit-def: $vgpr10_vgpr11
	s_branch .LBB70_2311
.LBB70_2302:
	s_or_b32 s15, s15, exec_lo
	s_trap 2
	s_cbranch_execz .LBB70_2239
	s_branch .LBB70_2240
.LBB70_2303:
	s_mov_b32 s21, -1
	s_mov_b32 s20, 0
	s_mov_b32 s5, 0
	s_branch .LBB70_2305
.LBB70_2304:
	s_mov_b32 s5, -1
	s_mov_b32 s20, 0
.LBB70_2305:
                                        ; implicit-def: $vgpr10_vgpr11
.LBB70_2306:
	s_and_b32 vcc_lo, exec_lo, s21
	s_cbranch_vccz .LBB70_2310
; %bb.2307:
	s_cmp_eq_u32 s0, 44
	s_cbranch_scc0 .LBB70_2309
; %bb.2308:
	global_load_u8 v13, v[16:17], off
	s_mov_b32 s5, 0
	s_mov_b32 s20, -1
	s_wait_loadcnt 0x0
	v_cmp_ne_u32_e32 vcc_lo, 0, v13
	v_lshlrev_b32_e32 v10, 23, v13
	s_delay_alu instid0(VALU_DEP_1) | instskip(NEXT) | instid1(VALU_DEP_1)
	v_trunc_f32_e32 v10, v10
	v_mul_f32_e64 v11, 0x2f800000, |v10|
	s_delay_alu instid0(VALU_DEP_1) | instskip(NEXT) | instid1(VALU_DEP_1)
	v_floor_f32_e32 v11, v11
	v_fma_f32 v15, 0xcf800000, v11, |v10|
	v_ashrrev_i32_e32 v10, 31, v10
	v_cvt_u32_f32_e32 v19, v11
	s_delay_alu instid0(VALU_DEP_3) | instskip(NEXT) | instid1(VALU_DEP_2)
	v_cvt_u32_f32_e32 v15, v15
	v_dual_mov_b32 v11, v10 :: v_dual_bitop2_b32 v21, v19, v10 bitop3:0x14
	s_delay_alu instid0(VALU_DEP_2) | instskip(NEXT) | instid1(VALU_DEP_1)
	v_xor_b32_e32 v20, v15, v10
	v_sub_nc_u64_e32 v[10:11], v[20:21], v[10:11]
	s_delay_alu instid0(VALU_DEP_1)
	v_dual_cndmask_b32 v11, 0, v11 :: v_dual_cndmask_b32 v10, 0, v10
	s_branch .LBB70_2310
.LBB70_2309:
	s_mov_b32 s5, -1
                                        ; implicit-def: $vgpr10_vgpr11
.LBB70_2310:
	s_mov_b32 s21, 0
.LBB70_2311:
	s_delay_alu instid0(SALU_CYCLE_1)
	s_and_b32 vcc_lo, exec_lo, s21
	s_cbranch_vccz .LBB70_2315
; %bb.2312:
	s_cmp_eq_u32 s0, 29
	s_cbranch_scc0 .LBB70_2314
; %bb.2313:
	global_load_b64 v[10:11], v[16:17], off
	s_mov_b32 s5, 0
	s_mov_b32 s20, -1
	s_branch .LBB70_2315
.LBB70_2314:
	s_mov_b32 s5, -1
                                        ; implicit-def: $vgpr10_vgpr11
.LBB70_2315:
	s_mov_b32 s21, 0
.LBB70_2316:
	s_delay_alu instid0(SALU_CYCLE_1)
	s_and_b32 vcc_lo, exec_lo, s21
	s_cbranch_vccz .LBB70_2332
; %bb.2317:
	s_cmp_lt_i32 s0, 27
	s_cbranch_scc1 .LBB70_2320
; %bb.2318:
	s_cmp_gt_i32 s0, 27
	s_cbranch_scc0 .LBB70_2321
; %bb.2319:
	s_wait_loadcnt 0x0
	global_load_b32 v10, v[16:17], off
	v_mov_b32_e32 v11, 0
	s_mov_b32 s20, 0
	s_branch .LBB70_2322
.LBB70_2320:
	s_mov_b32 s20, -1
                                        ; implicit-def: $vgpr10_vgpr11
	s_branch .LBB70_2325
.LBB70_2321:
	s_mov_b32 s20, -1
                                        ; implicit-def: $vgpr10_vgpr11
.LBB70_2322:
	s_delay_alu instid0(SALU_CYCLE_1)
	s_and_not1_b32 vcc_lo, exec_lo, s20
	s_cbranch_vccnz .LBB70_2324
; %bb.2323:
	s_wait_loadcnt 0x0
	global_load_u16 v10, v[16:17], off
	s_mov_b32 s20, 0
	s_delay_alu instid0(SALU_CYCLE_1)
	v_mov_b32_e32 v11, s20
	s_wait_loadcnt 0x0
	v_and_b32_e32 v10, 0xffff, v10
.LBB70_2324:
	s_mov_b32 s20, 0
.LBB70_2325:
	s_delay_alu instid0(SALU_CYCLE_1)
	s_and_not1_b32 vcc_lo, exec_lo, s20
	s_cbranch_vccnz .LBB70_2331
; %bb.2326:
	global_load_u8 v13, v[16:17], off
	s_mov_b32 s21, 0
	s_mov_b32 s20, exec_lo
	s_wait_loadcnt 0x0
	v_cmpx_lt_i16_e32 0x7f, v13
	s_xor_b32 s20, exec_lo, s20
	s_cbranch_execz .LBB70_2343
; %bb.2327:
	v_cmp_ne_u16_e32 vcc_lo, 0x80, v13
	s_and_b32 s21, vcc_lo, exec_lo
	s_and_not1_saveexec_b32 s20, s20
	s_cbranch_execnz .LBB70_2344
.LBB70_2328:
	s_or_b32 exec_lo, exec_lo, s20
	v_mov_b64_e32 v[10:11], 0
	s_and_saveexec_b32 s20, s21
	s_cbranch_execz .LBB70_2330
.LBB70_2329:
	v_and_b32_e32 v10, 0xffff, v13
	s_delay_alu instid0(VALU_DEP_1) | instskip(SKIP_1) | instid1(VALU_DEP_2)
	v_and_b32_e32 v11, 7, v10
	v_bfe_u32 v20, v10, 3, 4
	v_clz_i32_u32_e32 v15, v11
	s_delay_alu instid0(VALU_DEP_2) | instskip(NEXT) | instid1(VALU_DEP_2)
	v_cmp_eq_u32_e32 vcc_lo, 0, v20
	v_min_u32_e32 v15, 32, v15
	s_delay_alu instid0(VALU_DEP_1) | instskip(NEXT) | instid1(VALU_DEP_1)
	v_subrev_nc_u32_e32 v19, 28, v15
	v_dual_lshlrev_b32 v10, v19, v10 :: v_dual_sub_nc_u32 v15, 29, v15
	s_delay_alu instid0(VALU_DEP_1) | instskip(NEXT) | instid1(VALU_DEP_1)
	v_dual_lshlrev_b32 v13, 24, v13 :: v_dual_bitop2_b32 v10, 7, v10 bitop3:0x40
	v_dual_cndmask_b32 v15, v20, v15 :: v_dual_cndmask_b32 v10, v11, v10
	s_delay_alu instid0(VALU_DEP_2) | instskip(NEXT) | instid1(VALU_DEP_2)
	v_and_b32_e32 v11, 0x80000000, v13
	v_lshl_add_u32 v13, v15, 23, 0x3b800000
	s_delay_alu instid0(VALU_DEP_3) | instskip(NEXT) | instid1(VALU_DEP_1)
	v_lshlrev_b32_e32 v10, 20, v10
	v_or3_b32 v10, v11, v13, v10
	s_delay_alu instid0(VALU_DEP_1) | instskip(NEXT) | instid1(VALU_DEP_1)
	v_trunc_f32_e32 v10, v10
	v_mul_f32_e64 v11, 0x2f800000, |v10|
	s_delay_alu instid0(VALU_DEP_1) | instskip(NEXT) | instid1(VALU_DEP_1)
	v_floor_f32_e32 v11, v11
	v_fma_f32 v13, 0xcf800000, v11, |v10|
	v_ashrrev_i32_e32 v10, 31, v10
	v_cvt_u32_f32_e32 v15, v11
	s_delay_alu instid0(VALU_DEP_3) | instskip(NEXT) | instid1(VALU_DEP_2)
	v_cvt_u32_f32_e32 v13, v13
	v_dual_mov_b32 v11, v10 :: v_dual_bitop2_b32 v21, v15, v10 bitop3:0x14
	s_delay_alu instid0(VALU_DEP_2) | instskip(NEXT) | instid1(VALU_DEP_1)
	v_xor_b32_e32 v20, v13, v10
	v_sub_nc_u64_e32 v[10:11], v[20:21], v[10:11]
.LBB70_2330:
	s_or_b32 exec_lo, exec_lo, s20
.LBB70_2331:
	s_mov_b32 s20, -1
.LBB70_2332:
	s_mov_b32 s21, 0
.LBB70_2333:
	s_delay_alu instid0(SALU_CYCLE_1)
	s_and_b32 vcc_lo, exec_lo, s21
	s_cbranch_vccz .LBB70_2364
; %bb.2334:
	s_cmp_gt_i32 s0, 22
	s_cbranch_scc0 .LBB70_2342
; %bb.2335:
	s_cmp_lt_i32 s0, 24
	s_cbranch_scc1 .LBB70_2345
; %bb.2336:
	s_cmp_gt_i32 s0, 24
	s_cbranch_scc0 .LBB70_2346
; %bb.2337:
	global_load_u8 v13, v[16:17], off
	s_mov_b32 s20, 0
	s_mov_b32 s19, exec_lo
	s_wait_loadcnt 0x0
	v_cmpx_lt_i16_e32 0x7f, v13
	s_xor_b32 s19, exec_lo, s19
	s_cbranch_execz .LBB70_2358
; %bb.2338:
	v_cmp_ne_u16_e32 vcc_lo, 0x80, v13
	s_and_b32 s20, vcc_lo, exec_lo
	s_and_not1_saveexec_b32 s19, s19
	s_cbranch_execnz .LBB70_2359
.LBB70_2339:
	s_or_b32 exec_lo, exec_lo, s19
	v_mov_b64_e32 v[10:11], 0
	s_and_saveexec_b32 s19, s20
	s_cbranch_execz .LBB70_2341
.LBB70_2340:
	v_and_b32_e32 v10, 0xffff, v13
	s_delay_alu instid0(VALU_DEP_1) | instskip(SKIP_1) | instid1(VALU_DEP_2)
	v_and_b32_e32 v11, 3, v10
	v_bfe_u32 v20, v10, 2, 5
	v_clz_i32_u32_e32 v15, v11
	s_delay_alu instid0(VALU_DEP_2) | instskip(NEXT) | instid1(VALU_DEP_2)
	v_cmp_eq_u32_e32 vcc_lo, 0, v20
	v_min_u32_e32 v15, 32, v15
	s_delay_alu instid0(VALU_DEP_1) | instskip(NEXT) | instid1(VALU_DEP_1)
	v_subrev_nc_u32_e32 v19, 29, v15
	v_dual_lshlrev_b32 v10, v19, v10 :: v_dual_sub_nc_u32 v15, 30, v15
	s_delay_alu instid0(VALU_DEP_1) | instskip(NEXT) | instid1(VALU_DEP_1)
	v_dual_lshlrev_b32 v13, 24, v13 :: v_dual_bitop2_b32 v10, 3, v10 bitop3:0x40
	v_dual_cndmask_b32 v15, v20, v15 :: v_dual_cndmask_b32 v10, v11, v10
	s_delay_alu instid0(VALU_DEP_2) | instskip(NEXT) | instid1(VALU_DEP_2)
	v_and_b32_e32 v11, 0x80000000, v13
	v_lshl_add_u32 v13, v15, 23, 0x37800000
	s_delay_alu instid0(VALU_DEP_3) | instskip(NEXT) | instid1(VALU_DEP_1)
	v_lshlrev_b32_e32 v10, 21, v10
	v_or3_b32 v10, v11, v13, v10
	s_delay_alu instid0(VALU_DEP_1) | instskip(NEXT) | instid1(VALU_DEP_1)
	v_trunc_f32_e32 v10, v10
	v_mul_f32_e64 v11, 0x2f800000, |v10|
	s_delay_alu instid0(VALU_DEP_1) | instskip(NEXT) | instid1(VALU_DEP_1)
	v_floor_f32_e32 v11, v11
	v_fma_f32 v13, 0xcf800000, v11, |v10|
	v_ashrrev_i32_e32 v10, 31, v10
	v_cvt_u32_f32_e32 v15, v11
	s_delay_alu instid0(VALU_DEP_3) | instskip(NEXT) | instid1(VALU_DEP_2)
	v_cvt_u32_f32_e32 v13, v13
	v_dual_mov_b32 v11, v10 :: v_dual_bitop2_b32 v21, v15, v10 bitop3:0x14
	s_delay_alu instid0(VALU_DEP_2) | instskip(NEXT) | instid1(VALU_DEP_1)
	v_xor_b32_e32 v20, v13, v10
	v_sub_nc_u64_e32 v[10:11], v[20:21], v[10:11]
.LBB70_2341:
	s_or_b32 exec_lo, exec_lo, s19
	s_mov_b32 s19, 0
	s_branch .LBB70_2347
.LBB70_2342:
	s_mov_b32 s19, -1
                                        ; implicit-def: $vgpr10_vgpr11
	s_branch .LBB70_2353
.LBB70_2343:
	s_and_not1_saveexec_b32 s20, s20
	s_cbranch_execz .LBB70_2328
.LBB70_2344:
	v_cmp_ne_u16_e32 vcc_lo, 0, v13
	s_and_not1_b32 s21, s21, exec_lo
	s_and_b32 s22, vcc_lo, exec_lo
	s_delay_alu instid0(SALU_CYCLE_1)
	s_or_b32 s21, s21, s22
	s_or_b32 exec_lo, exec_lo, s20
	v_mov_b64_e32 v[10:11], 0
	s_and_saveexec_b32 s20, s21
	s_cbranch_execnz .LBB70_2329
	s_branch .LBB70_2330
.LBB70_2345:
	s_mov_b32 s19, -1
                                        ; implicit-def: $vgpr10_vgpr11
	s_branch .LBB70_2350
.LBB70_2346:
	s_mov_b32 s19, -1
                                        ; implicit-def: $vgpr10_vgpr11
.LBB70_2347:
	s_delay_alu instid0(SALU_CYCLE_1)
	s_and_b32 vcc_lo, exec_lo, s19
	s_cbranch_vccz .LBB70_2349
; %bb.2348:
	s_wait_loadcnt 0x0
	global_load_u8 v10, v[16:17], off
	s_wait_loadcnt 0x0
	v_lshlrev_b32_e32 v10, 24, v10
	s_delay_alu instid0(VALU_DEP_1) | instskip(NEXT) | instid1(VALU_DEP_1)
	v_and_b32_e32 v11, 0x7f000000, v10
	v_clz_i32_u32_e32 v13, v11
	v_add_nc_u32_e32 v19, 0x1000000, v11
	v_cmp_ne_u32_e32 vcc_lo, 0, v11
	s_delay_alu instid0(VALU_DEP_3) | instskip(NEXT) | instid1(VALU_DEP_1)
	v_min_u32_e32 v13, 32, v13
	v_sub_nc_u32_e64 v13, v13, 4 clamp
	s_delay_alu instid0(VALU_DEP_1) | instskip(NEXT) | instid1(VALU_DEP_1)
	v_dual_lshlrev_b32 v15, v13, v11 :: v_dual_lshlrev_b32 v13, 23, v13
	v_lshrrev_b32_e32 v15, 4, v15
	s_delay_alu instid0(VALU_DEP_1) | instskip(NEXT) | instid1(VALU_DEP_1)
	v_dual_sub_nc_u32 v13, v15, v13 :: v_dual_ashrrev_i32 v15, 8, v19
	v_add_nc_u32_e32 v13, 0x3c000000, v13
	s_delay_alu instid0(VALU_DEP_1) | instskip(NEXT) | instid1(VALU_DEP_1)
	v_and_or_b32 v13, 0x7f800000, v15, v13
	v_cndmask_b32_e32 v11, 0, v13, vcc_lo
	s_delay_alu instid0(VALU_DEP_1) | instskip(NEXT) | instid1(VALU_DEP_1)
	v_and_or_b32 v10, 0x80000000, v10, v11
	v_trunc_f32_e32 v10, v10
	s_delay_alu instid0(VALU_DEP_1) | instskip(NEXT) | instid1(VALU_DEP_1)
	v_mul_f32_e64 v11, 0x2f800000, |v10|
	v_floor_f32_e32 v11, v11
	s_delay_alu instid0(VALU_DEP_1) | instskip(SKIP_2) | instid1(VALU_DEP_3)
	v_fma_f32 v13, 0xcf800000, v11, |v10|
	v_ashrrev_i32_e32 v10, 31, v10
	v_cvt_u32_f32_e32 v15, v11
	v_cvt_u32_f32_e32 v13, v13
	s_delay_alu instid0(VALU_DEP_2) | instskip(NEXT) | instid1(VALU_DEP_2)
	v_dual_mov_b32 v11, v10 :: v_dual_bitop2_b32 v21, v15, v10 bitop3:0x14
	v_xor_b32_e32 v20, v13, v10
	s_delay_alu instid0(VALU_DEP_1)
	v_sub_nc_u64_e32 v[10:11], v[20:21], v[10:11]
.LBB70_2349:
	s_mov_b32 s19, 0
.LBB70_2350:
	s_delay_alu instid0(SALU_CYCLE_1)
	s_and_not1_b32 vcc_lo, exec_lo, s19
	s_cbranch_vccnz .LBB70_2352
; %bb.2351:
	s_wait_loadcnt 0x0
	global_load_u8 v10, v[16:17], off
	s_wait_loadcnt 0x0
	v_lshlrev_b32_e32 v11, 25, v10
	v_lshlrev_b16 v10, 8, v10
	s_delay_alu instid0(VALU_DEP_1) | instskip(SKIP_1) | instid1(VALU_DEP_2)
	v_and_or_b32 v15, 0x7f00, v10, 0.5
	v_bfe_i32 v10, v10, 0, 16
	v_add_f32_e32 v15, -0.5, v15
	v_lshrrev_b32_e32 v13, 4, v11
	v_cmp_gt_u32_e32 vcc_lo, 0x8000000, v11
	s_delay_alu instid0(VALU_DEP_2) | instskip(NEXT) | instid1(VALU_DEP_1)
	v_or_b32_e32 v13, 0x70000000, v13
	v_mul_f32_e32 v13, 0x7800000, v13
	s_delay_alu instid0(VALU_DEP_1) | instskip(NEXT) | instid1(VALU_DEP_1)
	v_cndmask_b32_e32 v11, v13, v15, vcc_lo
	v_and_or_b32 v10, 0x80000000, v10, v11
	s_delay_alu instid0(VALU_DEP_1) | instskip(NEXT) | instid1(VALU_DEP_1)
	v_trunc_f32_e32 v10, v10
	v_mul_f32_e64 v11, 0x2f800000, |v10|
	s_delay_alu instid0(VALU_DEP_1) | instskip(NEXT) | instid1(VALU_DEP_1)
	v_floor_f32_e32 v11, v11
	v_fma_f32 v13, 0xcf800000, v11, |v10|
	v_ashrrev_i32_e32 v10, 31, v10
	v_cvt_u32_f32_e32 v15, v11
	s_delay_alu instid0(VALU_DEP_3) | instskip(NEXT) | instid1(VALU_DEP_2)
	v_cvt_u32_f32_e32 v13, v13
	v_dual_mov_b32 v11, v10 :: v_dual_bitop2_b32 v21, v15, v10 bitop3:0x14
	s_delay_alu instid0(VALU_DEP_2) | instskip(NEXT) | instid1(VALU_DEP_1)
	v_xor_b32_e32 v20, v13, v10
	v_sub_nc_u64_e32 v[10:11], v[20:21], v[10:11]
.LBB70_2352:
	s_mov_b32 s19, 0
	s_mov_b32 s20, -1
.LBB70_2353:
	s_and_not1_b32 vcc_lo, exec_lo, s19
	s_mov_b32 s19, 0
	s_cbranch_vccnz .LBB70_2364
; %bb.2354:
	s_cmp_gt_i32 s0, 14
	s_cbranch_scc0 .LBB70_2357
; %bb.2355:
	s_cmp_eq_u32 s0, 15
	s_cbranch_scc0 .LBB70_2360
; %bb.2356:
	s_wait_loadcnt 0x0
	global_load_u16 v10, v[16:17], off
	s_mov_b32 s5, 0
	s_mov_b32 s20, -1
	s_wait_loadcnt 0x0
	v_lshlrev_b32_e32 v10, 16, v10
	s_delay_alu instid0(VALU_DEP_1) | instskip(NEXT) | instid1(VALU_DEP_1)
	v_trunc_f32_e32 v10, v10
	v_mul_f32_e64 v11, 0x2f800000, |v10|
	s_delay_alu instid0(VALU_DEP_1) | instskip(NEXT) | instid1(VALU_DEP_1)
	v_floor_f32_e32 v11, v11
	v_fma_f32 v13, 0xcf800000, v11, |v10|
	v_ashrrev_i32_e32 v10, 31, v10
	v_cvt_u32_f32_e32 v15, v11
	s_delay_alu instid0(VALU_DEP_3) | instskip(NEXT) | instid1(VALU_DEP_2)
	v_cvt_u32_f32_e32 v13, v13
	v_dual_mov_b32 v11, v10 :: v_dual_bitop2_b32 v21, v15, v10 bitop3:0x14
	s_delay_alu instid0(VALU_DEP_2) | instskip(NEXT) | instid1(VALU_DEP_1)
	v_xor_b32_e32 v20, v13, v10
	v_sub_nc_u64_e32 v[10:11], v[20:21], v[10:11]
	s_branch .LBB70_2362
.LBB70_2357:
	s_mov_b32 s19, -1
	s_branch .LBB70_2361
.LBB70_2358:
	s_and_not1_saveexec_b32 s19, s19
	s_cbranch_execz .LBB70_2339
.LBB70_2359:
	v_cmp_ne_u16_e32 vcc_lo, 0, v13
	s_and_not1_b32 s20, s20, exec_lo
	s_and_b32 s21, vcc_lo, exec_lo
	s_delay_alu instid0(SALU_CYCLE_1)
	s_or_b32 s20, s20, s21
	s_or_b32 exec_lo, exec_lo, s19
	v_mov_b64_e32 v[10:11], 0
	s_and_saveexec_b32 s19, s20
	s_cbranch_execnz .LBB70_2340
	s_branch .LBB70_2341
.LBB70_2360:
	s_mov_b32 s5, -1
.LBB70_2361:
                                        ; implicit-def: $vgpr10_vgpr11
.LBB70_2362:
	s_and_b32 vcc_lo, exec_lo, s19
	s_mov_b32 s19, 0
	s_cbranch_vccz .LBB70_2364
; %bb.2363:
	s_cmp_lg_u32 s0, 11
	s_mov_b32 s19, -1
	s_cselect_b32 s5, -1, 0
.LBB70_2364:
	s_delay_alu instid0(SALU_CYCLE_1)
	s_and_b32 vcc_lo, exec_lo, s5
	s_cbranch_vccnz .LBB70_2448
; %bb.2365:
	s_and_not1_b32 vcc_lo, exec_lo, s19
	s_cbranch_vccnz .LBB70_2367
.LBB70_2366:
	s_wait_loadcnt 0x0
	global_load_u8 v10, v[16:17], off
	s_mov_b32 s5, 0
	s_mov_b32 s20, -1
	v_mov_b32_e32 v11, s5
	s_wait_loadcnt 0x0
	v_cmp_ne_u16_e32 vcc_lo, 0, v10
	v_cndmask_b32_e64 v10, 0, 1, vcc_lo
.LBB70_2367:
	s_mov_b32 s5, 0
.LBB70_2368:
	s_delay_alu instid0(SALU_CYCLE_1)
	s_and_b32 vcc_lo, exec_lo, s5
	s_cbranch_vccz .LBB70_2417
; %bb.2369:
	s_cmp_lt_i32 s0, 5
	s_cbranch_scc1 .LBB70_2374
; %bb.2370:
	s_cmp_lt_i32 s0, 8
	s_cbranch_scc1 .LBB70_2375
	;; [unrolled: 3-line block ×3, first 2 shown]
; %bb.2372:
	s_cmp_gt_i32 s0, 9
	s_cbranch_scc0 .LBB70_2377
; %bb.2373:
	s_wait_loadcnt 0x0
	global_load_b64 v[10:11], v[16:17], off
	s_mov_b32 s5, 0
	s_wait_loadcnt 0x0
	v_trunc_f64_e32 v[10:11], v[10:11]
	s_delay_alu instid0(VALU_DEP_1) | instskip(NEXT) | instid1(VALU_DEP_1)
	v_ldexp_f64 v[20:21], v[10:11], 0xffffffe0
	v_floor_f64_e32 v[20:21], v[20:21]
	s_delay_alu instid0(VALU_DEP_1) | instskip(SKIP_1) | instid1(VALU_DEP_2)
	v_fmamk_f64 v[22:23], v[20:21], 0xc1f00000, v[10:11]
	v_cvt_i32_f64_e32 v11, v[20:21]
	v_cvt_u32_f64_e32 v10, v[22:23]
	s_branch .LBB70_2378
.LBB70_2374:
	s_mov_b32 s5, -1
                                        ; implicit-def: $vgpr10_vgpr11
	s_branch .LBB70_2396
.LBB70_2375:
	s_mov_b32 s5, -1
                                        ; implicit-def: $vgpr10_vgpr11
	s_branch .LBB70_2384
.LBB70_2376:
	s_mov_b32 s5, -1
                                        ; implicit-def: $vgpr10_vgpr11
	s_branch .LBB70_2381
.LBB70_2377:
	s_mov_b32 s5, -1
                                        ; implicit-def: $vgpr10_vgpr11
.LBB70_2378:
	s_delay_alu instid0(SALU_CYCLE_1)
	s_and_not1_b32 vcc_lo, exec_lo, s5
	s_cbranch_vccnz .LBB70_2380
; %bb.2379:
	s_wait_loadcnt 0x0
	global_load_b32 v10, v[16:17], off
	s_wait_loadcnt 0x0
	v_trunc_f32_e32 v10, v10
	s_delay_alu instid0(VALU_DEP_1) | instskip(NEXT) | instid1(VALU_DEP_1)
	v_mul_f32_e64 v11, 0x2f800000, |v10|
	v_floor_f32_e32 v11, v11
	s_delay_alu instid0(VALU_DEP_1) | instskip(SKIP_2) | instid1(VALU_DEP_3)
	v_fma_f32 v13, 0xcf800000, v11, |v10|
	v_ashrrev_i32_e32 v10, 31, v10
	v_cvt_u32_f32_e32 v15, v11
	v_cvt_u32_f32_e32 v13, v13
	s_delay_alu instid0(VALU_DEP_2) | instskip(NEXT) | instid1(VALU_DEP_2)
	v_dual_mov_b32 v11, v10 :: v_dual_bitop2_b32 v21, v15, v10 bitop3:0x14
	v_xor_b32_e32 v20, v13, v10
	s_delay_alu instid0(VALU_DEP_1)
	v_sub_nc_u64_e32 v[10:11], v[20:21], v[10:11]
.LBB70_2380:
	s_mov_b32 s5, 0
.LBB70_2381:
	s_delay_alu instid0(SALU_CYCLE_1)
	s_and_not1_b32 vcc_lo, exec_lo, s5
	s_cbranch_vccnz .LBB70_2383
; %bb.2382:
	s_wait_loadcnt 0x0
	global_load_b32 v10, v[16:17], off
	s_wait_loadcnt 0x0
	v_cvt_f32_f16_e32 v10, v10
	s_delay_alu instid0(VALU_DEP_1) | instskip(NEXT) | instid1(VALU_DEP_1)
	v_cvt_i32_f32_e32 v10, v10
	v_ashrrev_i32_e32 v11, 31, v10
.LBB70_2383:
	s_mov_b32 s5, 0
.LBB70_2384:
	s_delay_alu instid0(SALU_CYCLE_1)
	s_and_not1_b32 vcc_lo, exec_lo, s5
	s_cbranch_vccnz .LBB70_2395
; %bb.2385:
	s_cmp_lt_i32 s0, 6
	s_cbranch_scc1 .LBB70_2388
; %bb.2386:
	s_cmp_gt_i32 s0, 6
	s_cbranch_scc0 .LBB70_2389
; %bb.2387:
	s_wait_loadcnt 0x0
	global_load_b64 v[10:11], v[16:17], off
	s_mov_b32 s5, 0
	s_wait_loadcnt 0x0
	v_trunc_f64_e32 v[10:11], v[10:11]
	s_delay_alu instid0(VALU_DEP_1) | instskip(NEXT) | instid1(VALU_DEP_1)
	v_ldexp_f64 v[20:21], v[10:11], 0xffffffe0
	v_floor_f64_e32 v[20:21], v[20:21]
	s_delay_alu instid0(VALU_DEP_1) | instskip(SKIP_1) | instid1(VALU_DEP_2)
	v_fmamk_f64 v[22:23], v[20:21], 0xc1f00000, v[10:11]
	v_cvt_i32_f64_e32 v11, v[20:21]
	v_cvt_u32_f64_e32 v10, v[22:23]
	s_branch .LBB70_2390
.LBB70_2388:
	s_mov_b32 s5, -1
                                        ; implicit-def: $vgpr10_vgpr11
	s_branch .LBB70_2393
.LBB70_2389:
	s_mov_b32 s5, -1
                                        ; implicit-def: $vgpr10_vgpr11
.LBB70_2390:
	s_delay_alu instid0(SALU_CYCLE_1)
	s_and_not1_b32 vcc_lo, exec_lo, s5
	s_cbranch_vccnz .LBB70_2392
; %bb.2391:
	s_wait_loadcnt 0x0
	global_load_b32 v10, v[16:17], off
	s_wait_loadcnt 0x0
	v_trunc_f32_e32 v10, v10
	s_delay_alu instid0(VALU_DEP_1) | instskip(NEXT) | instid1(VALU_DEP_1)
	v_mul_f32_e64 v11, 0x2f800000, |v10|
	v_floor_f32_e32 v11, v11
	s_delay_alu instid0(VALU_DEP_1) | instskip(SKIP_2) | instid1(VALU_DEP_3)
	v_fma_f32 v13, 0xcf800000, v11, |v10|
	v_ashrrev_i32_e32 v10, 31, v10
	v_cvt_u32_f32_e32 v15, v11
	v_cvt_u32_f32_e32 v13, v13
	s_delay_alu instid0(VALU_DEP_2) | instskip(NEXT) | instid1(VALU_DEP_2)
	v_dual_mov_b32 v11, v10 :: v_dual_bitop2_b32 v21, v15, v10 bitop3:0x14
	v_xor_b32_e32 v20, v13, v10
	s_delay_alu instid0(VALU_DEP_1)
	v_sub_nc_u64_e32 v[10:11], v[20:21], v[10:11]
.LBB70_2392:
	s_mov_b32 s5, 0
.LBB70_2393:
	s_delay_alu instid0(SALU_CYCLE_1)
	s_and_not1_b32 vcc_lo, exec_lo, s5
	s_cbranch_vccnz .LBB70_2395
; %bb.2394:
	s_wait_loadcnt 0x0
	global_load_u16 v10, v[16:17], off
	s_wait_loadcnt 0x0
	v_cvt_f32_f16_e32 v10, v10
	s_delay_alu instid0(VALU_DEP_1) | instskip(NEXT) | instid1(VALU_DEP_1)
	v_cvt_i32_f32_e32 v10, v10
	v_ashrrev_i32_e32 v11, 31, v10
.LBB70_2395:
	s_mov_b32 s5, 0
.LBB70_2396:
	s_delay_alu instid0(SALU_CYCLE_1)
	s_and_not1_b32 vcc_lo, exec_lo, s5
	s_cbranch_vccnz .LBB70_2416
; %bb.2397:
	s_cmp_lt_i32 s0, 2
	s_cbranch_scc1 .LBB70_2401
; %bb.2398:
	s_cmp_lt_i32 s0, 3
	s_cbranch_scc1 .LBB70_2402
; %bb.2399:
	s_cmp_gt_i32 s0, 3
	s_cbranch_scc0 .LBB70_2403
; %bb.2400:
	s_wait_loadcnt 0x0
	global_load_b64 v[10:11], v[16:17], off
	s_mov_b32 s5, 0
	s_branch .LBB70_2404
.LBB70_2401:
	s_mov_b32 s5, -1
                                        ; implicit-def: $vgpr10_vgpr11
	s_branch .LBB70_2410
.LBB70_2402:
	s_mov_b32 s5, -1
                                        ; implicit-def: $vgpr10_vgpr11
	s_branch .LBB70_2407
.LBB70_2403:
	s_mov_b32 s5, -1
                                        ; implicit-def: $vgpr10_vgpr11
.LBB70_2404:
	s_delay_alu instid0(SALU_CYCLE_1)
	s_and_not1_b32 vcc_lo, exec_lo, s5
	s_cbranch_vccnz .LBB70_2406
; %bb.2405:
	s_wait_loadcnt 0x0
	global_load_b32 v10, v[16:17], off
	s_wait_loadcnt 0x0
	v_ashrrev_i32_e32 v11, 31, v10
.LBB70_2406:
	s_mov_b32 s5, 0
.LBB70_2407:
	s_delay_alu instid0(SALU_CYCLE_1)
	s_and_not1_b32 vcc_lo, exec_lo, s5
	s_cbranch_vccnz .LBB70_2409
; %bb.2408:
	s_wait_loadcnt 0x0
	global_load_u16 v10, v[16:17], off
	s_wait_loadcnt 0x0
	v_bfe_i32 v10, v10, 0, 16
	s_delay_alu instid0(VALU_DEP_1)
	v_ashrrev_i32_e32 v11, 31, v10
.LBB70_2409:
	s_mov_b32 s5, 0
.LBB70_2410:
	s_delay_alu instid0(SALU_CYCLE_1)
	s_and_not1_b32 vcc_lo, exec_lo, s5
	s_cbranch_vccnz .LBB70_2416
; %bb.2411:
	s_cmp_gt_i32 s0, 0
	s_mov_b32 s5, 0
	s_cbranch_scc0 .LBB70_2413
; %bb.2412:
	s_wait_loadcnt 0x0
	global_load_i8 v10, v[16:17], off
	s_wait_loadcnt 0x0
	v_bfe_i32 v10, v10, 0, 16
	s_delay_alu instid0(VALU_DEP_1)
	v_ashrrev_i32_e32 v11, 31, v10
	s_branch .LBB70_2414
.LBB70_2413:
	s_mov_b32 s5, -1
                                        ; implicit-def: $vgpr10_vgpr11
.LBB70_2414:
	s_delay_alu instid0(SALU_CYCLE_1)
	s_and_not1_b32 vcc_lo, exec_lo, s5
	s_cbranch_vccnz .LBB70_2416
; %bb.2415:
	s_wait_loadcnt 0x0
	global_load_u8 v10, v[16:17], off
	s_mov_b32 s5, 0
	s_delay_alu instid0(SALU_CYCLE_1)
	v_mov_b32_e32 v11, s5
	s_wait_loadcnt 0x0
	v_and_b32_e32 v10, 0xffff, v10
.LBB70_2416:
	s_mov_b32 s20, -1
.LBB70_2417:
	s_delay_alu instid0(SALU_CYCLE_1)
	s_and_not1_b32 vcc_lo, exec_lo, s20
	s_cbranch_vccnz .LBB70_3126
; %bb.2418:
	s_cmp_lt_i32 s16, 23
	s_cbranch_scc1 .LBB70_2422
; %bb.2419:
	s_and_b32 s20, 0xffff, s16
	s_delay_alu instid0(SALU_CYCLE_1)
	s_cmp_gt_i32 s20, 43
	s_cbranch_scc0 .LBB70_2423
; %bb.2420:
	s_cmp_gt_i32 s20, 45
	s_cbranch_scc0 .LBB70_2424
; %bb.2421:
	s_cmp_lg_u32 s20, 46
	s_mov_b32 s21, 0
	s_mov_b32 s5, -1
	s_cselect_b32 s19, -1, 0
	s_branch .LBB70_2425
.LBB70_2422:
	s_mov_b32 s20, -1
	s_mov_b32 s5, 0
	s_mov_b32 s19, 0
	s_branch .LBB70_2431
.LBB70_2423:
	s_mov_b32 s21, -1
	s_mov_b32 s5, 0
	s_mov_b32 s19, 0
	s_branch .LBB70_2428
.LBB70_2424:
	s_mov_b32 s21, -1
	s_mov_b32 s5, 0
	s_mov_b32 s19, 0
.LBB70_2425:
	s_and_not1_b32 vcc_lo, exec_lo, s21
	s_cbranch_vccnz .LBB70_2427
; %bb.2426:
	s_cmp_eq_u32 s20, 44
	s_cselect_b32 s5, -1, 0
	s_cmp_lg_u32 s20, 44
	s_cselect_b32 s19, -1, 0
.LBB70_2427:
	s_mov_b32 s21, 0
.LBB70_2428:
	s_delay_alu instid0(SALU_CYCLE_1)
	s_and_b32 vcc_lo, exec_lo, s21
	s_cbranch_vccz .LBB70_2430
; %bb.2429:
	s_cmp_lt_i32 s20, 30
	s_cselect_b32 s5, -1, 0
	s_cmp_gt_i32 s20, 29
	s_cselect_b32 s19, -1, 0
.LBB70_2430:
	s_mov_b32 s20, 0
.LBB70_2431:
	s_delay_alu instid0(SALU_CYCLE_1)
	s_and_b32 vcc_lo, exec_lo, s20
	s_cbranch_vccz .LBB70_2436
; %bb.2432:
	s_and_b32 s16, 0xffff, s16
	s_mov_b32 s20, -1
	s_cmp_gt_i32 s16, 14
	s_cbranch_scc0 .LBB70_2434
; %bb.2433:
	s_cmp_eq_u32 s16, 15
	s_mov_b32 s20, 0
	s_cselect_b32 s5, -1, 0
	s_cmp_lg_u32 s16, 15
	s_cselect_b32 s19, -1, 0
.LBB70_2434:
	s_and_not1_b32 vcc_lo, exec_lo, s20
	s_cbranch_vccnz .LBB70_2436
; %bb.2435:
	s_cmp_lt_i32 s16, 12
	s_cselect_b32 s5, -1, 0
	s_cmp_gt_i32 s16, 11
	s_cselect_b32 s19, -1, 0
.LBB70_2436:
	s_delay_alu instid0(SALU_CYCLE_1)
	s_and_b32 vcc_lo, exec_lo, s19
	s_cbranch_vccnz .LBB70_2449
; %bb.2437:
	s_and_not1_b32 vcc_lo, exec_lo, s5
	s_cbranch_vccnz .LBB70_3126
.LBB70_2438:
	v_add_nc_u32_e32 v12, s1, v12
	s_cmp_lt_i32 s14, 11
	s_delay_alu instid0(VALU_DEP_1) | instskip(SKIP_1) | instid1(VALU_DEP_1)
	v_ashrrev_i32_e32 v13, 31, v12
	s_wait_xcnt 0x0
	v_add_nc_u64_e32 v[16:17], s[8:9], v[12:13]
	s_cbranch_scc1 .LBB70_2445
; %bb.2439:
	s_and_b32 s1, 0xffff, s14
	s_mov_b32 s8, 0
	s_cmp_gt_i32 s1, 25
	s_cbranch_scc0 .LBB70_2446
; %bb.2440:
	s_cmp_gt_i32 s1, 28
	s_cbranch_scc0 .LBB70_2447
; %bb.2441:
	;; [unrolled: 3-line block ×4, first 2 shown]
	s_cmp_eq_u32 s1, 46
	s_mov_b32 s16, 0
	s_cbranch_scc0 .LBB70_2452
; %bb.2444:
	global_load_b32 v12, v[16:17], off
	s_mov_b32 s5, 0
	s_mov_b32 s9, -1
	s_wait_loadcnt 0x0
	v_lshlrev_b32_e32 v12, 16, v12
	s_delay_alu instid0(VALU_DEP_1) | instskip(NEXT) | instid1(VALU_DEP_1)
	v_trunc_f32_e32 v12, v12
	v_mul_f32_e64 v13, 0x2f800000, |v12|
	s_delay_alu instid0(VALU_DEP_1) | instskip(NEXT) | instid1(VALU_DEP_1)
	v_floor_f32_e32 v13, v13
	v_fma_f32 v15, 0xcf800000, v13, |v12|
	v_ashrrev_i32_e32 v12, 31, v12
	v_cvt_u32_f32_e32 v19, v13
	s_delay_alu instid0(VALU_DEP_3) | instskip(NEXT) | instid1(VALU_DEP_2)
	v_cvt_u32_f32_e32 v15, v15
	v_dual_mov_b32 v13, v12 :: v_dual_bitop2_b32 v21, v19, v12 bitop3:0x14
	s_delay_alu instid0(VALU_DEP_2) | instskip(NEXT) | instid1(VALU_DEP_1)
	v_xor_b32_e32 v20, v15, v12
	v_sub_nc_u64_e32 v[12:13], v[20:21], v[12:13]
	s_branch .LBB70_2454
.LBB70_2445:
	s_mov_b32 s1, -1
	s_mov_b32 s9, 0
                                        ; implicit-def: $vgpr12_vgpr13
	s_branch .LBB70_2516
.LBB70_2446:
	s_mov_b32 s16, -1
	s_mov_b32 s9, 0
	s_mov_b32 s5, 0
                                        ; implicit-def: $vgpr12_vgpr13
	s_branch .LBB70_2481
.LBB70_2447:
	s_mov_b32 s16, -1
	s_mov_b32 s9, 0
	s_mov_b32 s5, 0
                                        ; implicit-def: $vgpr12_vgpr13
	s_branch .LBB70_2464
.LBB70_2448:
	s_or_b32 s15, s15, exec_lo
	s_trap 2
	s_cbranch_execz .LBB70_2366
	s_branch .LBB70_2367
.LBB70_2449:
	s_or_b32 s15, s15, exec_lo
	s_trap 2
	s_cbranch_execz .LBB70_2438
	s_branch .LBB70_3126
.LBB70_2450:
	s_mov_b32 s16, -1
	s_mov_b32 s9, 0
	s_mov_b32 s5, 0
                                        ; implicit-def: $vgpr12_vgpr13
	s_branch .LBB70_2459
.LBB70_2451:
	s_mov_b32 s16, -1
	s_mov_b32 s9, 0
	s_mov_b32 s5, 0
	s_branch .LBB70_2453
.LBB70_2452:
	s_mov_b32 s5, -1
	s_mov_b32 s9, 0
.LBB70_2453:
                                        ; implicit-def: $vgpr12_vgpr13
.LBB70_2454:
	s_and_b32 vcc_lo, exec_lo, s16
	s_cbranch_vccz .LBB70_2458
; %bb.2455:
	s_cmp_eq_u32 s1, 44
	s_cbranch_scc0 .LBB70_2457
; %bb.2456:
	global_load_u8 v15, v[16:17], off
	s_mov_b32 s5, 0
	s_mov_b32 s9, -1
	s_wait_loadcnt 0x0
	v_cmp_ne_u32_e32 vcc_lo, 0, v15
	v_lshlrev_b32_e32 v12, 23, v15
	s_delay_alu instid0(VALU_DEP_1) | instskip(NEXT) | instid1(VALU_DEP_1)
	v_trunc_f32_e32 v12, v12
	v_mul_f32_e64 v13, 0x2f800000, |v12|
	s_delay_alu instid0(VALU_DEP_1) | instskip(NEXT) | instid1(VALU_DEP_1)
	v_floor_f32_e32 v13, v13
	v_fma_f32 v19, 0xcf800000, v13, |v12|
	v_ashrrev_i32_e32 v12, 31, v12
	v_cvt_u32_f32_e32 v20, v13
	s_delay_alu instid0(VALU_DEP_3) | instskip(NEXT) | instid1(VALU_DEP_3)
	v_cvt_u32_f32_e32 v19, v19
	v_mov_b32_e32 v13, v12
	s_delay_alu instid0(VALU_DEP_3) | instskip(NEXT) | instid1(VALU_DEP_3)
	v_xor_b32_e32 v21, v20, v12
	v_xor_b32_e32 v20, v19, v12
	s_delay_alu instid0(VALU_DEP_1) | instskip(NEXT) | instid1(VALU_DEP_1)
	v_sub_nc_u64_e32 v[12:13], v[20:21], v[12:13]
	v_dual_cndmask_b32 v13, 0, v13 :: v_dual_cndmask_b32 v12, 0, v12
	s_branch .LBB70_2458
.LBB70_2457:
	s_mov_b32 s5, -1
                                        ; implicit-def: $vgpr12_vgpr13
.LBB70_2458:
	s_mov_b32 s16, 0
.LBB70_2459:
	s_delay_alu instid0(SALU_CYCLE_1)
	s_and_b32 vcc_lo, exec_lo, s16
	s_cbranch_vccz .LBB70_2463
; %bb.2460:
	s_cmp_eq_u32 s1, 29
	s_cbranch_scc0 .LBB70_2462
; %bb.2461:
	global_load_b64 v[12:13], v[16:17], off
	s_mov_b32 s5, 0
	s_mov_b32 s9, -1
	s_branch .LBB70_2463
.LBB70_2462:
	s_mov_b32 s5, -1
                                        ; implicit-def: $vgpr12_vgpr13
.LBB70_2463:
	s_mov_b32 s16, 0
.LBB70_2464:
	s_delay_alu instid0(SALU_CYCLE_1)
	s_and_b32 vcc_lo, exec_lo, s16
	s_cbranch_vccz .LBB70_2480
; %bb.2465:
	s_cmp_lt_i32 s1, 27
	s_cbranch_scc1 .LBB70_2468
; %bb.2466:
	s_cmp_gt_i32 s1, 27
	s_cbranch_scc0 .LBB70_2469
; %bb.2467:
	s_wait_loadcnt 0x0
	global_load_b32 v12, v[16:17], off
	v_mov_b32_e32 v13, 0
	s_mov_b32 s9, 0
	s_branch .LBB70_2470
.LBB70_2468:
	s_mov_b32 s9, -1
                                        ; implicit-def: $vgpr12_vgpr13
	s_branch .LBB70_2473
.LBB70_2469:
	s_mov_b32 s9, -1
                                        ; implicit-def: $vgpr12_vgpr13
.LBB70_2470:
	s_delay_alu instid0(SALU_CYCLE_1)
	s_and_not1_b32 vcc_lo, exec_lo, s9
	s_cbranch_vccnz .LBB70_2472
; %bb.2471:
	s_wait_loadcnt 0x0
	global_load_u16 v12, v[16:17], off
	s_mov_b32 s9, 0
	s_delay_alu instid0(SALU_CYCLE_1)
	v_mov_b32_e32 v13, s9
	s_wait_loadcnt 0x0
	v_and_b32_e32 v12, 0xffff, v12
.LBB70_2472:
	s_mov_b32 s9, 0
.LBB70_2473:
	s_delay_alu instid0(SALU_CYCLE_1)
	s_and_not1_b32 vcc_lo, exec_lo, s9
	s_cbranch_vccnz .LBB70_2479
; %bb.2474:
	global_load_u8 v15, v[16:17], off
	s_mov_b32 s16, 0
	s_mov_b32 s9, exec_lo
	s_wait_loadcnt 0x0
	v_cmpx_lt_i16_e32 0x7f, v15
	s_xor_b32 s9, exec_lo, s9
	s_cbranch_execz .LBB70_2491
; %bb.2475:
	v_cmp_ne_u16_e32 vcc_lo, 0x80, v15
	s_and_b32 s16, vcc_lo, exec_lo
	s_and_not1_saveexec_b32 s9, s9
	s_cbranch_execnz .LBB70_2492
.LBB70_2476:
	s_or_b32 exec_lo, exec_lo, s9
	v_mov_b64_e32 v[12:13], 0
	s_and_saveexec_b32 s9, s16
	s_cbranch_execz .LBB70_2478
.LBB70_2477:
	v_and_b32_e32 v12, 0xffff, v15
	s_delay_alu instid0(VALU_DEP_1) | instskip(SKIP_1) | instid1(VALU_DEP_2)
	v_and_b32_e32 v13, 7, v12
	v_bfe_u32 v21, v12, 3, 4
	v_clz_i32_u32_e32 v19, v13
	s_delay_alu instid0(VALU_DEP_2) | instskip(NEXT) | instid1(VALU_DEP_2)
	v_cmp_eq_u32_e32 vcc_lo, 0, v21
	v_min_u32_e32 v19, 32, v19
	s_delay_alu instid0(VALU_DEP_1) | instskip(NEXT) | instid1(VALU_DEP_1)
	v_subrev_nc_u32_e32 v20, 28, v19
	v_dual_lshlrev_b32 v12, v20, v12 :: v_dual_sub_nc_u32 v19, 29, v19
	s_delay_alu instid0(VALU_DEP_1) | instskip(NEXT) | instid1(VALU_DEP_1)
	v_dual_lshlrev_b32 v15, 24, v15 :: v_dual_bitop2_b32 v12, 7, v12 bitop3:0x40
	v_cndmask_b32_e32 v12, v13, v12, vcc_lo
	s_delay_alu instid0(VALU_DEP_3) | instskip(NEXT) | instid1(VALU_DEP_3)
	v_cndmask_b32_e32 v19, v21, v19, vcc_lo
	v_and_b32_e32 v13, 0x80000000, v15
	s_delay_alu instid0(VALU_DEP_3) | instskip(NEXT) | instid1(VALU_DEP_3)
	v_lshlrev_b32_e32 v12, 20, v12
	v_lshl_add_u32 v15, v19, 23, 0x3b800000
	s_delay_alu instid0(VALU_DEP_1) | instskip(NEXT) | instid1(VALU_DEP_1)
	v_or3_b32 v12, v13, v15, v12
	v_trunc_f32_e32 v12, v12
	s_delay_alu instid0(VALU_DEP_1) | instskip(NEXT) | instid1(VALU_DEP_1)
	v_mul_f32_e64 v13, 0x2f800000, |v12|
	v_floor_f32_e32 v13, v13
	s_delay_alu instid0(VALU_DEP_1) | instskip(SKIP_2) | instid1(VALU_DEP_3)
	v_fma_f32 v15, 0xcf800000, v13, |v12|
	v_ashrrev_i32_e32 v12, 31, v12
	v_cvt_u32_f32_e32 v19, v13
	v_cvt_u32_f32_e32 v15, v15
	s_delay_alu instid0(VALU_DEP_2) | instskip(NEXT) | instid1(VALU_DEP_2)
	v_dual_mov_b32 v13, v12 :: v_dual_bitop2_b32 v21, v19, v12 bitop3:0x14
	v_xor_b32_e32 v20, v15, v12
	s_delay_alu instid0(VALU_DEP_1)
	v_sub_nc_u64_e32 v[12:13], v[20:21], v[12:13]
.LBB70_2478:
	s_or_b32 exec_lo, exec_lo, s9
.LBB70_2479:
	s_mov_b32 s9, -1
.LBB70_2480:
	s_mov_b32 s16, 0
.LBB70_2481:
	s_delay_alu instid0(SALU_CYCLE_1)
	s_and_b32 vcc_lo, exec_lo, s16
	s_cbranch_vccz .LBB70_2512
; %bb.2482:
	s_cmp_gt_i32 s1, 22
	s_cbranch_scc0 .LBB70_2490
; %bb.2483:
	s_cmp_lt_i32 s1, 24
	s_cbranch_scc1 .LBB70_2493
; %bb.2484:
	s_cmp_gt_i32 s1, 24
	s_cbranch_scc0 .LBB70_2494
; %bb.2485:
	global_load_u8 v15, v[16:17], off
	s_mov_b32 s9, 0
	s_mov_b32 s8, exec_lo
	s_wait_loadcnt 0x0
	v_cmpx_lt_i16_e32 0x7f, v15
	s_xor_b32 s8, exec_lo, s8
	s_cbranch_execz .LBB70_2506
; %bb.2486:
	v_cmp_ne_u16_e32 vcc_lo, 0x80, v15
	s_and_b32 s9, vcc_lo, exec_lo
	s_and_not1_saveexec_b32 s8, s8
	s_cbranch_execnz .LBB70_2507
.LBB70_2487:
	s_or_b32 exec_lo, exec_lo, s8
	v_mov_b64_e32 v[12:13], 0
	s_and_saveexec_b32 s8, s9
	s_cbranch_execz .LBB70_2489
.LBB70_2488:
	v_and_b32_e32 v12, 0xffff, v15
	s_delay_alu instid0(VALU_DEP_1) | instskip(SKIP_1) | instid1(VALU_DEP_2)
	v_and_b32_e32 v13, 3, v12
	v_bfe_u32 v21, v12, 2, 5
	v_clz_i32_u32_e32 v19, v13
	s_delay_alu instid0(VALU_DEP_2) | instskip(NEXT) | instid1(VALU_DEP_2)
	v_cmp_eq_u32_e32 vcc_lo, 0, v21
	v_min_u32_e32 v19, 32, v19
	s_delay_alu instid0(VALU_DEP_1) | instskip(NEXT) | instid1(VALU_DEP_1)
	v_subrev_nc_u32_e32 v20, 29, v19
	v_dual_lshlrev_b32 v12, v20, v12 :: v_dual_sub_nc_u32 v19, 30, v19
	s_delay_alu instid0(VALU_DEP_1) | instskip(NEXT) | instid1(VALU_DEP_1)
	v_dual_lshlrev_b32 v15, 24, v15 :: v_dual_bitop2_b32 v12, 3, v12 bitop3:0x40
	v_cndmask_b32_e32 v12, v13, v12, vcc_lo
	s_delay_alu instid0(VALU_DEP_3) | instskip(NEXT) | instid1(VALU_DEP_3)
	v_cndmask_b32_e32 v19, v21, v19, vcc_lo
	v_and_b32_e32 v13, 0x80000000, v15
	s_delay_alu instid0(VALU_DEP_3) | instskip(NEXT) | instid1(VALU_DEP_3)
	v_lshlrev_b32_e32 v12, 21, v12
	v_lshl_add_u32 v15, v19, 23, 0x37800000
	s_delay_alu instid0(VALU_DEP_1) | instskip(NEXT) | instid1(VALU_DEP_1)
	v_or3_b32 v12, v13, v15, v12
	v_trunc_f32_e32 v12, v12
	s_delay_alu instid0(VALU_DEP_1) | instskip(NEXT) | instid1(VALU_DEP_1)
	v_mul_f32_e64 v13, 0x2f800000, |v12|
	v_floor_f32_e32 v13, v13
	s_delay_alu instid0(VALU_DEP_1) | instskip(SKIP_2) | instid1(VALU_DEP_3)
	v_fma_f32 v15, 0xcf800000, v13, |v12|
	v_ashrrev_i32_e32 v12, 31, v12
	v_cvt_u32_f32_e32 v19, v13
	v_cvt_u32_f32_e32 v15, v15
	s_delay_alu instid0(VALU_DEP_2) | instskip(NEXT) | instid1(VALU_DEP_2)
	v_dual_mov_b32 v13, v12 :: v_dual_bitop2_b32 v21, v19, v12 bitop3:0x14
	v_xor_b32_e32 v20, v15, v12
	s_delay_alu instid0(VALU_DEP_1)
	v_sub_nc_u64_e32 v[12:13], v[20:21], v[12:13]
.LBB70_2489:
	s_or_b32 exec_lo, exec_lo, s8
	s_mov_b32 s8, 0
	s_branch .LBB70_2495
.LBB70_2490:
	s_mov_b32 s8, -1
                                        ; implicit-def: $vgpr12_vgpr13
	s_branch .LBB70_2501
.LBB70_2491:
	s_and_not1_saveexec_b32 s9, s9
	s_cbranch_execz .LBB70_2476
.LBB70_2492:
	v_cmp_ne_u16_e32 vcc_lo, 0, v15
	s_and_not1_b32 s16, s16, exec_lo
	s_and_b32 s19, vcc_lo, exec_lo
	s_delay_alu instid0(SALU_CYCLE_1)
	s_or_b32 s16, s16, s19
	s_or_b32 exec_lo, exec_lo, s9
	v_mov_b64_e32 v[12:13], 0
	s_and_saveexec_b32 s9, s16
	s_cbranch_execnz .LBB70_2477
	s_branch .LBB70_2478
.LBB70_2493:
	s_mov_b32 s8, -1
                                        ; implicit-def: $vgpr12_vgpr13
	s_branch .LBB70_2498
.LBB70_2494:
	s_mov_b32 s8, -1
                                        ; implicit-def: $vgpr12_vgpr13
.LBB70_2495:
	s_delay_alu instid0(SALU_CYCLE_1)
	s_and_b32 vcc_lo, exec_lo, s8
	s_cbranch_vccz .LBB70_2497
; %bb.2496:
	s_wait_loadcnt 0x0
	global_load_u8 v12, v[16:17], off
	s_wait_loadcnt 0x0
	v_lshlrev_b32_e32 v12, 24, v12
	s_delay_alu instid0(VALU_DEP_1) | instskip(NEXT) | instid1(VALU_DEP_1)
	v_and_b32_e32 v13, 0x7f000000, v12
	v_clz_i32_u32_e32 v15, v13
	v_cmp_ne_u32_e32 vcc_lo, 0, v13
	v_add_nc_u32_e32 v20, 0x1000000, v13
	s_delay_alu instid0(VALU_DEP_3) | instskip(NEXT) | instid1(VALU_DEP_1)
	v_min_u32_e32 v15, 32, v15
	v_sub_nc_u32_e64 v15, v15, 4 clamp
	s_delay_alu instid0(VALU_DEP_1) | instskip(NEXT) | instid1(VALU_DEP_1)
	v_dual_lshlrev_b32 v19, v15, v13 :: v_dual_lshlrev_b32 v15, 23, v15
	v_lshrrev_b32_e32 v19, 4, v19
	s_delay_alu instid0(VALU_DEP_1) | instskip(NEXT) | instid1(VALU_DEP_1)
	v_dual_sub_nc_u32 v15, v19, v15 :: v_dual_ashrrev_i32 v19, 8, v20
	v_add_nc_u32_e32 v15, 0x3c000000, v15
	s_delay_alu instid0(VALU_DEP_1) | instskip(NEXT) | instid1(VALU_DEP_1)
	v_and_or_b32 v15, 0x7f800000, v19, v15
	v_cndmask_b32_e32 v13, 0, v15, vcc_lo
	s_delay_alu instid0(VALU_DEP_1) | instskip(NEXT) | instid1(VALU_DEP_1)
	v_and_or_b32 v12, 0x80000000, v12, v13
	v_trunc_f32_e32 v12, v12
	s_delay_alu instid0(VALU_DEP_1) | instskip(NEXT) | instid1(VALU_DEP_1)
	v_mul_f32_e64 v13, 0x2f800000, |v12|
	v_floor_f32_e32 v13, v13
	s_delay_alu instid0(VALU_DEP_1) | instskip(SKIP_2) | instid1(VALU_DEP_3)
	v_fma_f32 v15, 0xcf800000, v13, |v12|
	v_ashrrev_i32_e32 v12, 31, v12
	v_cvt_u32_f32_e32 v19, v13
	v_cvt_u32_f32_e32 v15, v15
	s_delay_alu instid0(VALU_DEP_2) | instskip(NEXT) | instid1(VALU_DEP_2)
	v_dual_mov_b32 v13, v12 :: v_dual_bitop2_b32 v21, v19, v12 bitop3:0x14
	v_xor_b32_e32 v20, v15, v12
	s_delay_alu instid0(VALU_DEP_1)
	v_sub_nc_u64_e32 v[12:13], v[20:21], v[12:13]
.LBB70_2497:
	s_mov_b32 s8, 0
.LBB70_2498:
	s_delay_alu instid0(SALU_CYCLE_1)
	s_and_not1_b32 vcc_lo, exec_lo, s8
	s_cbranch_vccnz .LBB70_2500
; %bb.2499:
	s_wait_loadcnt 0x0
	global_load_u8 v12, v[16:17], off
	s_wait_loadcnt 0x0
	v_lshlrev_b32_e32 v13, 25, v12
	v_lshlrev_b16 v12, 8, v12
	s_delay_alu instid0(VALU_DEP_1) | instskip(SKIP_1) | instid1(VALU_DEP_2)
	v_and_or_b32 v19, 0x7f00, v12, 0.5
	v_bfe_i32 v12, v12, 0, 16
	v_dual_add_f32 v19, -0.5, v19 :: v_dual_lshrrev_b32 v15, 4, v13
	v_cmp_gt_u32_e32 vcc_lo, 0x8000000, v13
	s_delay_alu instid0(VALU_DEP_2) | instskip(NEXT) | instid1(VALU_DEP_1)
	v_or_b32_e32 v15, 0x70000000, v15
	v_mul_f32_e32 v15, 0x7800000, v15
	s_delay_alu instid0(VALU_DEP_1) | instskip(NEXT) | instid1(VALU_DEP_1)
	v_cndmask_b32_e32 v13, v15, v19, vcc_lo
	v_and_or_b32 v12, 0x80000000, v12, v13
	s_delay_alu instid0(VALU_DEP_1) | instskip(NEXT) | instid1(VALU_DEP_1)
	v_trunc_f32_e32 v12, v12
	v_mul_f32_e64 v13, 0x2f800000, |v12|
	s_delay_alu instid0(VALU_DEP_1) | instskip(NEXT) | instid1(VALU_DEP_1)
	v_floor_f32_e32 v13, v13
	v_fma_f32 v15, 0xcf800000, v13, |v12|
	v_ashrrev_i32_e32 v12, 31, v12
	v_cvt_u32_f32_e32 v19, v13
	s_delay_alu instid0(VALU_DEP_3) | instskip(NEXT) | instid1(VALU_DEP_2)
	v_cvt_u32_f32_e32 v15, v15
	v_dual_mov_b32 v13, v12 :: v_dual_bitop2_b32 v21, v19, v12 bitop3:0x14
	s_delay_alu instid0(VALU_DEP_2) | instskip(NEXT) | instid1(VALU_DEP_1)
	v_xor_b32_e32 v20, v15, v12
	v_sub_nc_u64_e32 v[12:13], v[20:21], v[12:13]
.LBB70_2500:
	s_mov_b32 s8, 0
	s_mov_b32 s9, -1
.LBB70_2501:
	s_and_not1_b32 vcc_lo, exec_lo, s8
	s_mov_b32 s8, 0
	s_cbranch_vccnz .LBB70_2512
; %bb.2502:
	s_cmp_gt_i32 s1, 14
	s_cbranch_scc0 .LBB70_2505
; %bb.2503:
	s_cmp_eq_u32 s1, 15
	s_cbranch_scc0 .LBB70_2508
; %bb.2504:
	s_wait_loadcnt 0x0
	global_load_u16 v12, v[16:17], off
	s_mov_b32 s5, 0
	s_mov_b32 s9, -1
	s_wait_loadcnt 0x0
	v_lshlrev_b32_e32 v12, 16, v12
	s_delay_alu instid0(VALU_DEP_1) | instskip(NEXT) | instid1(VALU_DEP_1)
	v_trunc_f32_e32 v12, v12
	v_mul_f32_e64 v13, 0x2f800000, |v12|
	s_delay_alu instid0(VALU_DEP_1) | instskip(NEXT) | instid1(VALU_DEP_1)
	v_floor_f32_e32 v13, v13
	v_fma_f32 v15, 0xcf800000, v13, |v12|
	v_ashrrev_i32_e32 v12, 31, v12
	v_cvt_u32_f32_e32 v19, v13
	s_delay_alu instid0(VALU_DEP_3) | instskip(NEXT) | instid1(VALU_DEP_2)
	v_cvt_u32_f32_e32 v15, v15
	v_dual_mov_b32 v13, v12 :: v_dual_bitop2_b32 v21, v19, v12 bitop3:0x14
	s_delay_alu instid0(VALU_DEP_2) | instskip(NEXT) | instid1(VALU_DEP_1)
	v_xor_b32_e32 v20, v15, v12
	v_sub_nc_u64_e32 v[12:13], v[20:21], v[12:13]
	s_branch .LBB70_2510
.LBB70_2505:
	s_mov_b32 s8, -1
	s_branch .LBB70_2509
.LBB70_2506:
	s_and_not1_saveexec_b32 s8, s8
	s_cbranch_execz .LBB70_2487
.LBB70_2507:
	v_cmp_ne_u16_e32 vcc_lo, 0, v15
	s_and_not1_b32 s9, s9, exec_lo
	s_and_b32 s16, vcc_lo, exec_lo
	s_delay_alu instid0(SALU_CYCLE_1)
	s_or_b32 s9, s9, s16
	s_or_b32 exec_lo, exec_lo, s8
	v_mov_b64_e32 v[12:13], 0
	s_and_saveexec_b32 s8, s9
	s_cbranch_execnz .LBB70_2488
	s_branch .LBB70_2489
.LBB70_2508:
	s_mov_b32 s5, -1
.LBB70_2509:
                                        ; implicit-def: $vgpr12_vgpr13
.LBB70_2510:
	s_and_b32 vcc_lo, exec_lo, s8
	s_mov_b32 s8, 0
	s_cbranch_vccz .LBB70_2512
; %bb.2511:
	s_cmp_lg_u32 s1, 11
	s_mov_b32 s8, -1
	s_cselect_b32 s5, -1, 0
.LBB70_2512:
	s_delay_alu instid0(SALU_CYCLE_1)
	s_and_b32 vcc_lo, exec_lo, s5
	s_cbranch_vccnz .LBB70_2577
; %bb.2513:
	s_and_not1_b32 vcc_lo, exec_lo, s8
	s_cbranch_vccnz .LBB70_2515
.LBB70_2514:
	s_wait_loadcnt 0x0
	global_load_u8 v12, v[16:17], off
	s_mov_b32 s1, 0
	s_mov_b32 s9, -1
	v_mov_b32_e32 v13, s1
	s_wait_loadcnt 0x0
	v_cmp_ne_u16_e32 vcc_lo, 0, v12
	v_cndmask_b32_e64 v12, 0, 1, vcc_lo
.LBB70_2515:
	s_mov_b32 s1, 0
.LBB70_2516:
	s_delay_alu instid0(SALU_CYCLE_1)
	s_and_b32 vcc_lo, exec_lo, s1
	s_cbranch_vccz .LBB70_2565
; %bb.2517:
	s_and_b32 s1, 0xffff, s14
	s_delay_alu instid0(SALU_CYCLE_1)
	s_cmp_lt_i32 s1, 5
	s_cbranch_scc1 .LBB70_2522
; %bb.2518:
	s_cmp_lt_i32 s1, 8
	s_cbranch_scc1 .LBB70_2523
; %bb.2519:
	;; [unrolled: 3-line block ×3, first 2 shown]
	s_cmp_gt_i32 s1, 9
	s_cbranch_scc0 .LBB70_2525
; %bb.2521:
	s_wait_loadcnt 0x0
	global_load_b64 v[12:13], v[16:17], off
	s_mov_b32 s5, 0
	s_wait_loadcnt 0x0
	v_trunc_f64_e32 v[12:13], v[12:13]
	s_delay_alu instid0(VALU_DEP_1) | instskip(NEXT) | instid1(VALU_DEP_1)
	v_ldexp_f64 v[20:21], v[12:13], 0xffffffe0
	v_floor_f64_e32 v[20:21], v[20:21]
	s_delay_alu instid0(VALU_DEP_1) | instskip(SKIP_1) | instid1(VALU_DEP_2)
	v_fmamk_f64 v[22:23], v[20:21], 0xc1f00000, v[12:13]
	v_cvt_i32_f64_e32 v13, v[20:21]
	v_cvt_u32_f64_e32 v12, v[22:23]
	s_branch .LBB70_2526
.LBB70_2522:
	s_mov_b32 s5, -1
                                        ; implicit-def: $vgpr12_vgpr13
	s_branch .LBB70_2544
.LBB70_2523:
	s_mov_b32 s5, -1
                                        ; implicit-def: $vgpr12_vgpr13
	s_branch .LBB70_2532
.LBB70_2524:
	s_mov_b32 s5, -1
                                        ; implicit-def: $vgpr12_vgpr13
	s_branch .LBB70_2529
.LBB70_2525:
	s_mov_b32 s5, -1
                                        ; implicit-def: $vgpr12_vgpr13
.LBB70_2526:
	s_delay_alu instid0(SALU_CYCLE_1)
	s_and_not1_b32 vcc_lo, exec_lo, s5
	s_cbranch_vccnz .LBB70_2528
; %bb.2527:
	s_wait_loadcnt 0x0
	global_load_b32 v12, v[16:17], off
	s_wait_loadcnt 0x0
	v_trunc_f32_e32 v12, v12
	s_delay_alu instid0(VALU_DEP_1) | instskip(NEXT) | instid1(VALU_DEP_1)
	v_mul_f32_e64 v13, 0x2f800000, |v12|
	v_floor_f32_e32 v13, v13
	s_delay_alu instid0(VALU_DEP_1) | instskip(SKIP_2) | instid1(VALU_DEP_3)
	v_fma_f32 v15, 0xcf800000, v13, |v12|
	v_ashrrev_i32_e32 v12, 31, v12
	v_cvt_u32_f32_e32 v19, v13
	v_cvt_u32_f32_e32 v15, v15
	s_delay_alu instid0(VALU_DEP_2) | instskip(NEXT) | instid1(VALU_DEP_2)
	v_dual_mov_b32 v13, v12 :: v_dual_bitop2_b32 v21, v19, v12 bitop3:0x14
	v_xor_b32_e32 v20, v15, v12
	s_delay_alu instid0(VALU_DEP_1)
	v_sub_nc_u64_e32 v[12:13], v[20:21], v[12:13]
.LBB70_2528:
	s_mov_b32 s5, 0
.LBB70_2529:
	s_delay_alu instid0(SALU_CYCLE_1)
	s_and_not1_b32 vcc_lo, exec_lo, s5
	s_cbranch_vccnz .LBB70_2531
; %bb.2530:
	s_wait_loadcnt 0x0
	global_load_b32 v12, v[16:17], off
	s_wait_loadcnt 0x0
	v_cvt_f32_f16_e32 v12, v12
	s_delay_alu instid0(VALU_DEP_1) | instskip(NEXT) | instid1(VALU_DEP_1)
	v_cvt_i32_f32_e32 v12, v12
	v_ashrrev_i32_e32 v13, 31, v12
.LBB70_2531:
	s_mov_b32 s5, 0
.LBB70_2532:
	s_delay_alu instid0(SALU_CYCLE_1)
	s_and_not1_b32 vcc_lo, exec_lo, s5
	s_cbranch_vccnz .LBB70_2543
; %bb.2533:
	s_cmp_lt_i32 s1, 6
	s_cbranch_scc1 .LBB70_2536
; %bb.2534:
	s_cmp_gt_i32 s1, 6
	s_cbranch_scc0 .LBB70_2537
; %bb.2535:
	s_wait_loadcnt 0x0
	global_load_b64 v[12:13], v[16:17], off
	s_mov_b32 s5, 0
	s_wait_loadcnt 0x0
	v_trunc_f64_e32 v[12:13], v[12:13]
	s_delay_alu instid0(VALU_DEP_1) | instskip(NEXT) | instid1(VALU_DEP_1)
	v_ldexp_f64 v[20:21], v[12:13], 0xffffffe0
	v_floor_f64_e32 v[20:21], v[20:21]
	s_delay_alu instid0(VALU_DEP_1) | instskip(SKIP_1) | instid1(VALU_DEP_2)
	v_fmamk_f64 v[22:23], v[20:21], 0xc1f00000, v[12:13]
	v_cvt_i32_f64_e32 v13, v[20:21]
	v_cvt_u32_f64_e32 v12, v[22:23]
	s_branch .LBB70_2538
.LBB70_2536:
	s_mov_b32 s5, -1
                                        ; implicit-def: $vgpr12_vgpr13
	s_branch .LBB70_2541
.LBB70_2537:
	s_mov_b32 s5, -1
                                        ; implicit-def: $vgpr12_vgpr13
.LBB70_2538:
	s_delay_alu instid0(SALU_CYCLE_1)
	s_and_not1_b32 vcc_lo, exec_lo, s5
	s_cbranch_vccnz .LBB70_2540
; %bb.2539:
	s_wait_loadcnt 0x0
	global_load_b32 v12, v[16:17], off
	s_wait_loadcnt 0x0
	v_trunc_f32_e32 v12, v12
	s_delay_alu instid0(VALU_DEP_1) | instskip(NEXT) | instid1(VALU_DEP_1)
	v_mul_f32_e64 v13, 0x2f800000, |v12|
	v_floor_f32_e32 v13, v13
	s_delay_alu instid0(VALU_DEP_1) | instskip(SKIP_2) | instid1(VALU_DEP_3)
	v_fma_f32 v15, 0xcf800000, v13, |v12|
	v_ashrrev_i32_e32 v12, 31, v12
	v_cvt_u32_f32_e32 v19, v13
	v_cvt_u32_f32_e32 v15, v15
	s_delay_alu instid0(VALU_DEP_2) | instskip(NEXT) | instid1(VALU_DEP_2)
	v_dual_mov_b32 v13, v12 :: v_dual_bitop2_b32 v21, v19, v12 bitop3:0x14
	v_xor_b32_e32 v20, v15, v12
	s_delay_alu instid0(VALU_DEP_1)
	v_sub_nc_u64_e32 v[12:13], v[20:21], v[12:13]
.LBB70_2540:
	s_mov_b32 s5, 0
.LBB70_2541:
	s_delay_alu instid0(SALU_CYCLE_1)
	s_and_not1_b32 vcc_lo, exec_lo, s5
	s_cbranch_vccnz .LBB70_2543
; %bb.2542:
	s_wait_loadcnt 0x0
	global_load_u16 v12, v[16:17], off
	s_wait_loadcnt 0x0
	v_cvt_f32_f16_e32 v12, v12
	s_delay_alu instid0(VALU_DEP_1) | instskip(NEXT) | instid1(VALU_DEP_1)
	v_cvt_i32_f32_e32 v12, v12
	v_ashrrev_i32_e32 v13, 31, v12
.LBB70_2543:
	s_mov_b32 s5, 0
.LBB70_2544:
	s_delay_alu instid0(SALU_CYCLE_1)
	s_and_not1_b32 vcc_lo, exec_lo, s5
	s_cbranch_vccnz .LBB70_2564
; %bb.2545:
	s_cmp_lt_i32 s1, 2
	s_cbranch_scc1 .LBB70_2549
; %bb.2546:
	s_cmp_lt_i32 s1, 3
	s_cbranch_scc1 .LBB70_2550
; %bb.2547:
	s_cmp_gt_i32 s1, 3
	s_cbranch_scc0 .LBB70_2551
; %bb.2548:
	s_wait_loadcnt 0x0
	global_load_b64 v[12:13], v[16:17], off
	s_mov_b32 s5, 0
	s_branch .LBB70_2552
.LBB70_2549:
	s_mov_b32 s5, -1
                                        ; implicit-def: $vgpr12_vgpr13
	s_branch .LBB70_2558
.LBB70_2550:
	s_mov_b32 s5, -1
                                        ; implicit-def: $vgpr12_vgpr13
	s_branch .LBB70_2555
.LBB70_2551:
	s_mov_b32 s5, -1
                                        ; implicit-def: $vgpr12_vgpr13
.LBB70_2552:
	s_delay_alu instid0(SALU_CYCLE_1)
	s_and_not1_b32 vcc_lo, exec_lo, s5
	s_cbranch_vccnz .LBB70_2554
; %bb.2553:
	s_wait_loadcnt 0x0
	global_load_b32 v12, v[16:17], off
	s_wait_loadcnt 0x0
	v_ashrrev_i32_e32 v13, 31, v12
.LBB70_2554:
	s_mov_b32 s5, 0
.LBB70_2555:
	s_delay_alu instid0(SALU_CYCLE_1)
	s_and_not1_b32 vcc_lo, exec_lo, s5
	s_cbranch_vccnz .LBB70_2557
; %bb.2556:
	s_wait_loadcnt 0x0
	global_load_u16 v12, v[16:17], off
	s_wait_loadcnt 0x0
	v_bfe_i32 v12, v12, 0, 16
	s_delay_alu instid0(VALU_DEP_1)
	v_ashrrev_i32_e32 v13, 31, v12
.LBB70_2557:
	s_mov_b32 s5, 0
.LBB70_2558:
	s_delay_alu instid0(SALU_CYCLE_1)
	s_and_not1_b32 vcc_lo, exec_lo, s5
	s_cbranch_vccnz .LBB70_2564
; %bb.2559:
	s_cmp_gt_i32 s1, 0
	s_mov_b32 s1, 0
	s_cbranch_scc0 .LBB70_2561
; %bb.2560:
	s_wait_loadcnt 0x0
	global_load_i8 v12, v[16:17], off
	s_wait_loadcnt 0x0
	v_bfe_i32 v12, v12, 0, 16
	s_delay_alu instid0(VALU_DEP_1)
	v_ashrrev_i32_e32 v13, 31, v12
	s_branch .LBB70_2562
.LBB70_2561:
	s_mov_b32 s1, -1
                                        ; implicit-def: $vgpr12_vgpr13
.LBB70_2562:
	s_delay_alu instid0(SALU_CYCLE_1)
	s_and_not1_b32 vcc_lo, exec_lo, s1
	s_cbranch_vccnz .LBB70_2564
; %bb.2563:
	s_wait_loadcnt 0x0
	global_load_u8 v12, v[16:17], off
	s_mov_b32 s1, 0
	s_delay_alu instid0(SALU_CYCLE_1)
	v_mov_b32_e32 v13, s1
	s_wait_loadcnt 0x0
	v_and_b32_e32 v12, 0xffff, v12
.LBB70_2564:
	s_mov_b32 s9, -1
.LBB70_2565:
	s_delay_alu instid0(SALU_CYCLE_1)
	s_and_not1_b32 vcc_lo, exec_lo, s9
	s_cbranch_vccnz .LBB70_3126
; %bb.2566:
	v_add_nc_u32_e32 v14, s4, v14
	s_cmp_lt_i32 s0, 11
	s_delay_alu instid0(VALU_DEP_1) | instskip(SKIP_1) | instid1(VALU_DEP_1)
	v_ashrrev_i32_e32 v15, 31, v14
	s_wait_xcnt 0x0
	v_add_nc_u64_e32 v[16:17], s[10:11], v[14:15]
	s_cbranch_scc1 .LBB70_2573
; %bb.2567:
	s_cmp_gt_i32 s0, 25
	s_mov_b32 s4, 0
	s_cbranch_scc0 .LBB70_2574
; %bb.2568:
	s_cmp_gt_i32 s0, 28
	s_cbranch_scc0 .LBB70_2575
; %bb.2569:
	s_cmp_gt_i32 s0, 43
	;; [unrolled: 3-line block ×3, first 2 shown]
	s_cbranch_scc0 .LBB70_2578
; %bb.2571:
	s_cmp_eq_u32 s0, 46
	s_mov_b32 s8, 0
	s_cbranch_scc0 .LBB70_2579
; %bb.2572:
	global_load_b32 v14, v[16:17], off
	s_mov_b32 s1, 0
	s_mov_b32 s5, -1
	s_wait_loadcnt 0x0
	v_lshlrev_b32_e32 v14, 16, v14
	s_delay_alu instid0(VALU_DEP_1) | instskip(NEXT) | instid1(VALU_DEP_1)
	v_trunc_f32_e32 v14, v14
	v_mul_f32_e64 v15, 0x2f800000, |v14|
	s_delay_alu instid0(VALU_DEP_1) | instskip(NEXT) | instid1(VALU_DEP_1)
	v_floor_f32_e32 v15, v15
	v_fma_f32 v19, 0xcf800000, v15, |v14|
	v_ashrrev_i32_e32 v14, 31, v14
	v_cvt_u32_f32_e32 v20, v15
	s_delay_alu instid0(VALU_DEP_3) | instskip(NEXT) | instid1(VALU_DEP_2)
	v_cvt_u32_f32_e32 v19, v19
	v_dual_mov_b32 v15, v14 :: v_dual_bitop2_b32 v21, v20, v14 bitop3:0x14
	s_delay_alu instid0(VALU_DEP_2) | instskip(NEXT) | instid1(VALU_DEP_1)
	v_xor_b32_e32 v20, v19, v14
	v_sub_nc_u64_e32 v[14:15], v[20:21], v[14:15]
	s_branch .LBB70_2581
.LBB70_2573:
	s_mov_b32 s1, -1
	s_mov_b32 s5, 0
                                        ; implicit-def: $vgpr14_vgpr15
	s_branch .LBB70_2643
.LBB70_2574:
	s_mov_b32 s8, -1
	s_mov_b32 s5, 0
	s_mov_b32 s1, 0
                                        ; implicit-def: $vgpr14_vgpr15
	s_branch .LBB70_2608
.LBB70_2575:
	s_mov_b32 s8, -1
	s_mov_b32 s5, 0
	s_mov_b32 s1, 0
                                        ; implicit-def: $vgpr14_vgpr15
	s_branch .LBB70_2591
.LBB70_2576:
	s_mov_b32 s8, -1
	s_mov_b32 s5, 0
	s_mov_b32 s1, 0
                                        ; implicit-def: $vgpr14_vgpr15
	s_branch .LBB70_2586
.LBB70_2577:
	s_or_b32 s15, s15, exec_lo
	s_trap 2
	s_cbranch_execz .LBB70_2514
	s_branch .LBB70_2515
.LBB70_2578:
	s_mov_b32 s8, -1
	s_mov_b32 s5, 0
	s_mov_b32 s1, 0
	s_branch .LBB70_2580
.LBB70_2579:
	s_mov_b32 s1, -1
	s_mov_b32 s5, 0
.LBB70_2580:
                                        ; implicit-def: $vgpr14_vgpr15
.LBB70_2581:
	s_and_b32 vcc_lo, exec_lo, s8
	s_cbranch_vccz .LBB70_2585
; %bb.2582:
	s_cmp_eq_u32 s0, 44
	s_cbranch_scc0 .LBB70_2584
; %bb.2583:
	global_load_u8 v19, v[16:17], off
	s_mov_b32 s1, 0
	s_mov_b32 s5, -1
	s_wait_loadcnt 0x0
	v_lshlrev_b32_e32 v14, 23, v19
	v_cmp_ne_u32_e32 vcc_lo, 0, v19
	s_delay_alu instid0(VALU_DEP_2) | instskip(NEXT) | instid1(VALU_DEP_1)
	v_trunc_f32_e32 v14, v14
	v_mul_f32_e64 v15, 0x2f800000, |v14|
	s_delay_alu instid0(VALU_DEP_1) | instskip(NEXT) | instid1(VALU_DEP_1)
	v_floor_f32_e32 v15, v15
	v_fma_f32 v20, 0xcf800000, v15, |v14|
	v_ashrrev_i32_e32 v14, 31, v14
	v_cvt_u32_f32_e32 v21, v15
	s_delay_alu instid0(VALU_DEP_3) | instskip(NEXT) | instid1(VALU_DEP_2)
	v_cvt_u32_f32_e32 v20, v20
	v_dual_mov_b32 v15, v14 :: v_dual_bitop2_b32 v21, v21, v14 bitop3:0x14
	s_delay_alu instid0(VALU_DEP_2) | instskip(NEXT) | instid1(VALU_DEP_1)
	v_xor_b32_e32 v20, v20, v14
	v_sub_nc_u64_e32 v[14:15], v[20:21], v[14:15]
	s_delay_alu instid0(VALU_DEP_1)
	v_dual_cndmask_b32 v15, 0, v15 :: v_dual_cndmask_b32 v14, 0, v14
	s_branch .LBB70_2585
.LBB70_2584:
	s_mov_b32 s1, -1
                                        ; implicit-def: $vgpr14_vgpr15
.LBB70_2585:
	s_mov_b32 s8, 0
.LBB70_2586:
	s_delay_alu instid0(SALU_CYCLE_1)
	s_and_b32 vcc_lo, exec_lo, s8
	s_cbranch_vccz .LBB70_2590
; %bb.2587:
	s_cmp_eq_u32 s0, 29
	s_cbranch_scc0 .LBB70_2589
; %bb.2588:
	global_load_b64 v[14:15], v[16:17], off
	s_mov_b32 s1, 0
	s_mov_b32 s5, -1
	s_branch .LBB70_2590
.LBB70_2589:
	s_mov_b32 s1, -1
                                        ; implicit-def: $vgpr14_vgpr15
.LBB70_2590:
	s_mov_b32 s8, 0
.LBB70_2591:
	s_delay_alu instid0(SALU_CYCLE_1)
	s_and_b32 vcc_lo, exec_lo, s8
	s_cbranch_vccz .LBB70_2607
; %bb.2592:
	s_cmp_lt_i32 s0, 27
	s_cbranch_scc1 .LBB70_2595
; %bb.2593:
	s_cmp_gt_i32 s0, 27
	s_cbranch_scc0 .LBB70_2596
; %bb.2594:
	s_wait_loadcnt 0x0
	global_load_b32 v14, v[16:17], off
	v_mov_b32_e32 v15, 0
	s_mov_b32 s5, 0
	s_branch .LBB70_2597
.LBB70_2595:
	s_mov_b32 s5, -1
                                        ; implicit-def: $vgpr14_vgpr15
	s_branch .LBB70_2600
.LBB70_2596:
	s_mov_b32 s5, -1
                                        ; implicit-def: $vgpr14_vgpr15
.LBB70_2597:
	s_delay_alu instid0(SALU_CYCLE_1)
	s_and_not1_b32 vcc_lo, exec_lo, s5
	s_cbranch_vccnz .LBB70_2599
; %bb.2598:
	s_wait_loadcnt 0x0
	global_load_u16 v14, v[16:17], off
	s_mov_b32 s5, 0
	s_delay_alu instid0(SALU_CYCLE_1)
	v_mov_b32_e32 v15, s5
	s_wait_loadcnt 0x0
	v_and_b32_e32 v14, 0xffff, v14
.LBB70_2599:
	s_mov_b32 s5, 0
.LBB70_2600:
	s_delay_alu instid0(SALU_CYCLE_1)
	s_and_not1_b32 vcc_lo, exec_lo, s5
	s_cbranch_vccnz .LBB70_2606
; %bb.2601:
	global_load_u8 v19, v[16:17], off
	s_mov_b32 s8, 0
	s_mov_b32 s5, exec_lo
	s_wait_loadcnt 0x0
	v_cmpx_lt_i16_e32 0x7f, v19
	s_xor_b32 s5, exec_lo, s5
	s_cbranch_execz .LBB70_2618
; %bb.2602:
	v_cmp_ne_u16_e32 vcc_lo, 0x80, v19
	s_and_b32 s8, vcc_lo, exec_lo
	s_and_not1_saveexec_b32 s5, s5
	s_cbranch_execnz .LBB70_2619
.LBB70_2603:
	s_or_b32 exec_lo, exec_lo, s5
	v_mov_b64_e32 v[14:15], 0
	s_and_saveexec_b32 s5, s8
	s_cbranch_execz .LBB70_2605
.LBB70_2604:
	v_and_b32_e32 v14, 0xffff, v19
	s_delay_alu instid0(VALU_DEP_1) | instskip(SKIP_1) | instid1(VALU_DEP_2)
	v_and_b32_e32 v15, 7, v14
	v_bfe_u32 v22, v14, 3, 4
	v_clz_i32_u32_e32 v20, v15
	s_delay_alu instid0(VALU_DEP_2) | instskip(NEXT) | instid1(VALU_DEP_2)
	v_cmp_eq_u32_e32 vcc_lo, 0, v22
	v_min_u32_e32 v20, 32, v20
	s_delay_alu instid0(VALU_DEP_1) | instskip(NEXT) | instid1(VALU_DEP_1)
	v_subrev_nc_u32_e32 v21, 28, v20
	v_dual_lshlrev_b32 v14, v21, v14 :: v_dual_sub_nc_u32 v20, 29, v20
	s_delay_alu instid0(VALU_DEP_1) | instskip(NEXT) | instid1(VALU_DEP_1)
	v_dual_lshlrev_b32 v19, 24, v19 :: v_dual_bitop2_b32 v14, 7, v14 bitop3:0x40
	v_dual_cndmask_b32 v20, v22, v20, vcc_lo :: v_dual_cndmask_b32 v14, v15, v14, vcc_lo
	s_delay_alu instid0(VALU_DEP_2) | instskip(NEXT) | instid1(VALU_DEP_2)
	v_and_b32_e32 v15, 0x80000000, v19
	v_lshl_add_u32 v19, v20, 23, 0x3b800000
	s_delay_alu instid0(VALU_DEP_3) | instskip(NEXT) | instid1(VALU_DEP_1)
	v_lshlrev_b32_e32 v14, 20, v14
	v_or3_b32 v14, v15, v19, v14
	s_delay_alu instid0(VALU_DEP_1) | instskip(NEXT) | instid1(VALU_DEP_1)
	v_trunc_f32_e32 v14, v14
	v_mul_f32_e64 v15, 0x2f800000, |v14|
	s_delay_alu instid0(VALU_DEP_1) | instskip(NEXT) | instid1(VALU_DEP_1)
	v_floor_f32_e32 v15, v15
	v_fma_f32 v19, 0xcf800000, v15, |v14|
	v_ashrrev_i32_e32 v14, 31, v14
	v_cvt_u32_f32_e32 v20, v15
	s_delay_alu instid0(VALU_DEP_3) | instskip(NEXT) | instid1(VALU_DEP_2)
	v_cvt_u32_f32_e32 v19, v19
	v_dual_mov_b32 v15, v14 :: v_dual_bitop2_b32 v21, v20, v14 bitop3:0x14
	s_delay_alu instid0(VALU_DEP_2) | instskip(NEXT) | instid1(VALU_DEP_1)
	v_xor_b32_e32 v20, v19, v14
	v_sub_nc_u64_e32 v[14:15], v[20:21], v[14:15]
.LBB70_2605:
	s_or_b32 exec_lo, exec_lo, s5
.LBB70_2606:
	s_mov_b32 s5, -1
.LBB70_2607:
	s_mov_b32 s8, 0
.LBB70_2608:
	s_delay_alu instid0(SALU_CYCLE_1)
	s_and_b32 vcc_lo, exec_lo, s8
	s_cbranch_vccz .LBB70_2639
; %bb.2609:
	s_cmp_gt_i32 s0, 22
	s_cbranch_scc0 .LBB70_2617
; %bb.2610:
	s_cmp_lt_i32 s0, 24
	s_cbranch_scc1 .LBB70_2620
; %bb.2611:
	s_cmp_gt_i32 s0, 24
	s_cbranch_scc0 .LBB70_2621
; %bb.2612:
	global_load_u8 v19, v[16:17], off
	s_mov_b32 s5, 0
	s_mov_b32 s4, exec_lo
	s_wait_loadcnt 0x0
	v_cmpx_lt_i16_e32 0x7f, v19
	s_xor_b32 s4, exec_lo, s4
	s_cbranch_execz .LBB70_2633
; %bb.2613:
	v_cmp_ne_u16_e32 vcc_lo, 0x80, v19
	s_and_b32 s5, vcc_lo, exec_lo
	s_and_not1_saveexec_b32 s4, s4
	s_cbranch_execnz .LBB70_2634
.LBB70_2614:
	s_or_b32 exec_lo, exec_lo, s4
	v_mov_b64_e32 v[14:15], 0
	s_and_saveexec_b32 s4, s5
	s_cbranch_execz .LBB70_2616
.LBB70_2615:
	v_and_b32_e32 v14, 0xffff, v19
	s_delay_alu instid0(VALU_DEP_1) | instskip(SKIP_1) | instid1(VALU_DEP_2)
	v_and_b32_e32 v15, 3, v14
	v_bfe_u32 v22, v14, 2, 5
	v_clz_i32_u32_e32 v20, v15
	s_delay_alu instid0(VALU_DEP_2) | instskip(NEXT) | instid1(VALU_DEP_2)
	v_cmp_eq_u32_e32 vcc_lo, 0, v22
	v_min_u32_e32 v20, 32, v20
	s_delay_alu instid0(VALU_DEP_1) | instskip(NEXT) | instid1(VALU_DEP_1)
	v_subrev_nc_u32_e32 v21, 29, v20
	v_dual_lshlrev_b32 v14, v21, v14 :: v_dual_sub_nc_u32 v20, 30, v20
	s_delay_alu instid0(VALU_DEP_1) | instskip(NEXT) | instid1(VALU_DEP_1)
	v_dual_lshlrev_b32 v19, 24, v19 :: v_dual_bitop2_b32 v14, 3, v14 bitop3:0x40
	v_dual_cndmask_b32 v20, v22, v20, vcc_lo :: v_dual_cndmask_b32 v14, v15, v14, vcc_lo
	s_delay_alu instid0(VALU_DEP_2) | instskip(NEXT) | instid1(VALU_DEP_2)
	v_and_b32_e32 v15, 0x80000000, v19
	v_lshl_add_u32 v19, v20, 23, 0x37800000
	s_delay_alu instid0(VALU_DEP_3) | instskip(NEXT) | instid1(VALU_DEP_1)
	v_lshlrev_b32_e32 v14, 21, v14
	v_or3_b32 v14, v15, v19, v14
	s_delay_alu instid0(VALU_DEP_1) | instskip(NEXT) | instid1(VALU_DEP_1)
	v_trunc_f32_e32 v14, v14
	v_mul_f32_e64 v15, 0x2f800000, |v14|
	s_delay_alu instid0(VALU_DEP_1) | instskip(NEXT) | instid1(VALU_DEP_1)
	v_floor_f32_e32 v15, v15
	v_fma_f32 v19, 0xcf800000, v15, |v14|
	v_ashrrev_i32_e32 v14, 31, v14
	v_cvt_u32_f32_e32 v20, v15
	s_delay_alu instid0(VALU_DEP_3) | instskip(NEXT) | instid1(VALU_DEP_2)
	v_cvt_u32_f32_e32 v19, v19
	v_dual_mov_b32 v15, v14 :: v_dual_bitop2_b32 v21, v20, v14 bitop3:0x14
	s_delay_alu instid0(VALU_DEP_2) | instskip(NEXT) | instid1(VALU_DEP_1)
	v_xor_b32_e32 v20, v19, v14
	v_sub_nc_u64_e32 v[14:15], v[20:21], v[14:15]
.LBB70_2616:
	s_or_b32 exec_lo, exec_lo, s4
	s_mov_b32 s4, 0
	s_branch .LBB70_2622
.LBB70_2617:
	s_mov_b32 s4, -1
                                        ; implicit-def: $vgpr14_vgpr15
	s_branch .LBB70_2628
.LBB70_2618:
	s_and_not1_saveexec_b32 s5, s5
	s_cbranch_execz .LBB70_2603
.LBB70_2619:
	v_cmp_ne_u16_e32 vcc_lo, 0, v19
	s_and_not1_b32 s8, s8, exec_lo
	s_and_b32 s9, vcc_lo, exec_lo
	s_delay_alu instid0(SALU_CYCLE_1)
	s_or_b32 s8, s8, s9
	s_or_b32 exec_lo, exec_lo, s5
	v_mov_b64_e32 v[14:15], 0
	s_and_saveexec_b32 s5, s8
	s_cbranch_execnz .LBB70_2604
	s_branch .LBB70_2605
.LBB70_2620:
	s_mov_b32 s4, -1
                                        ; implicit-def: $vgpr14_vgpr15
	s_branch .LBB70_2625
.LBB70_2621:
	s_mov_b32 s4, -1
                                        ; implicit-def: $vgpr14_vgpr15
.LBB70_2622:
	s_delay_alu instid0(SALU_CYCLE_1)
	s_and_b32 vcc_lo, exec_lo, s4
	s_cbranch_vccz .LBB70_2624
; %bb.2623:
	s_wait_loadcnt 0x0
	global_load_u8 v14, v[16:17], off
	s_wait_loadcnt 0x0
	v_lshlrev_b32_e32 v14, 24, v14
	s_delay_alu instid0(VALU_DEP_1) | instskip(NEXT) | instid1(VALU_DEP_1)
	v_and_b32_e32 v15, 0x7f000000, v14
	v_clz_i32_u32_e32 v19, v15
	v_add_nc_u32_e32 v21, 0x1000000, v15
	v_cmp_ne_u32_e32 vcc_lo, 0, v15
	s_delay_alu instid0(VALU_DEP_3) | instskip(NEXT) | instid1(VALU_DEP_1)
	v_min_u32_e32 v19, 32, v19
	v_sub_nc_u32_e64 v19, v19, 4 clamp
	s_delay_alu instid0(VALU_DEP_1) | instskip(NEXT) | instid1(VALU_DEP_1)
	v_lshlrev_b32_e32 v20, v19, v15
	v_dual_lshlrev_b32 v19, 23, v19 :: v_dual_lshrrev_b32 v20, 4, v20
	s_delay_alu instid0(VALU_DEP_1) | instskip(NEXT) | instid1(VALU_DEP_1)
	v_dual_sub_nc_u32 v19, v20, v19 :: v_dual_ashrrev_i32 v20, 8, v21
	v_add_nc_u32_e32 v19, 0x3c000000, v19
	s_delay_alu instid0(VALU_DEP_1) | instskip(NEXT) | instid1(VALU_DEP_1)
	v_and_or_b32 v19, 0x7f800000, v20, v19
	v_cndmask_b32_e32 v15, 0, v19, vcc_lo
	s_delay_alu instid0(VALU_DEP_1) | instskip(NEXT) | instid1(VALU_DEP_1)
	v_and_or_b32 v14, 0x80000000, v14, v15
	v_trunc_f32_e32 v14, v14
	s_delay_alu instid0(VALU_DEP_1) | instskip(NEXT) | instid1(VALU_DEP_1)
	v_mul_f32_e64 v15, 0x2f800000, |v14|
	v_floor_f32_e32 v15, v15
	s_delay_alu instid0(VALU_DEP_1) | instskip(SKIP_2) | instid1(VALU_DEP_3)
	v_fma_f32 v19, 0xcf800000, v15, |v14|
	v_ashrrev_i32_e32 v14, 31, v14
	v_cvt_u32_f32_e32 v20, v15
	v_cvt_u32_f32_e32 v19, v19
	s_delay_alu instid0(VALU_DEP_2) | instskip(NEXT) | instid1(VALU_DEP_2)
	v_dual_mov_b32 v15, v14 :: v_dual_bitop2_b32 v21, v20, v14 bitop3:0x14
	v_xor_b32_e32 v20, v19, v14
	s_delay_alu instid0(VALU_DEP_1)
	v_sub_nc_u64_e32 v[14:15], v[20:21], v[14:15]
.LBB70_2624:
	s_mov_b32 s4, 0
.LBB70_2625:
	s_delay_alu instid0(SALU_CYCLE_1)
	s_and_not1_b32 vcc_lo, exec_lo, s4
	s_cbranch_vccnz .LBB70_2627
; %bb.2626:
	s_wait_loadcnt 0x0
	global_load_u8 v14, v[16:17], off
	s_wait_loadcnt 0x0
	v_lshlrev_b32_e32 v15, 25, v14
	v_lshlrev_b16 v14, 8, v14
	s_delay_alu instid0(VALU_DEP_1) | instskip(SKIP_1) | instid1(VALU_DEP_2)
	v_and_or_b32 v20, 0x7f00, v14, 0.5
	v_bfe_i32 v14, v14, 0, 16
	v_dual_add_f32 v20, -0.5, v20 :: v_dual_lshrrev_b32 v19, 4, v15
	v_cmp_gt_u32_e32 vcc_lo, 0x8000000, v15
	s_delay_alu instid0(VALU_DEP_2) | instskip(NEXT) | instid1(VALU_DEP_1)
	v_or_b32_e32 v19, 0x70000000, v19
	v_mul_f32_e32 v19, 0x7800000, v19
	s_delay_alu instid0(VALU_DEP_1) | instskip(NEXT) | instid1(VALU_DEP_1)
	v_cndmask_b32_e32 v15, v19, v20, vcc_lo
	v_and_or_b32 v14, 0x80000000, v14, v15
	s_delay_alu instid0(VALU_DEP_1) | instskip(NEXT) | instid1(VALU_DEP_1)
	v_trunc_f32_e32 v14, v14
	v_mul_f32_e64 v15, 0x2f800000, |v14|
	s_delay_alu instid0(VALU_DEP_1) | instskip(NEXT) | instid1(VALU_DEP_1)
	v_floor_f32_e32 v15, v15
	v_fma_f32 v19, 0xcf800000, v15, |v14|
	v_ashrrev_i32_e32 v14, 31, v14
	v_cvt_u32_f32_e32 v20, v15
	s_delay_alu instid0(VALU_DEP_3) | instskip(NEXT) | instid1(VALU_DEP_2)
	v_cvt_u32_f32_e32 v19, v19
	v_dual_mov_b32 v15, v14 :: v_dual_bitop2_b32 v21, v20, v14 bitop3:0x14
	s_delay_alu instid0(VALU_DEP_2) | instskip(NEXT) | instid1(VALU_DEP_1)
	v_xor_b32_e32 v20, v19, v14
	v_sub_nc_u64_e32 v[14:15], v[20:21], v[14:15]
.LBB70_2627:
	s_mov_b32 s4, 0
	s_mov_b32 s5, -1
.LBB70_2628:
	s_and_not1_b32 vcc_lo, exec_lo, s4
	s_mov_b32 s4, 0
	s_cbranch_vccnz .LBB70_2639
; %bb.2629:
	s_cmp_gt_i32 s0, 14
	s_cbranch_scc0 .LBB70_2632
; %bb.2630:
	s_cmp_eq_u32 s0, 15
	s_cbranch_scc0 .LBB70_2635
; %bb.2631:
	s_wait_loadcnt 0x0
	global_load_u16 v14, v[16:17], off
	s_mov_b32 s1, 0
	s_mov_b32 s5, -1
	s_wait_loadcnt 0x0
	v_lshlrev_b32_e32 v14, 16, v14
	s_delay_alu instid0(VALU_DEP_1) | instskip(NEXT) | instid1(VALU_DEP_1)
	v_trunc_f32_e32 v14, v14
	v_mul_f32_e64 v15, 0x2f800000, |v14|
	s_delay_alu instid0(VALU_DEP_1) | instskip(NEXT) | instid1(VALU_DEP_1)
	v_floor_f32_e32 v15, v15
	v_fma_f32 v19, 0xcf800000, v15, |v14|
	v_ashrrev_i32_e32 v14, 31, v14
	v_cvt_u32_f32_e32 v20, v15
	s_delay_alu instid0(VALU_DEP_3) | instskip(NEXT) | instid1(VALU_DEP_2)
	v_cvt_u32_f32_e32 v19, v19
	v_dual_mov_b32 v15, v14 :: v_dual_bitop2_b32 v21, v20, v14 bitop3:0x14
	s_delay_alu instid0(VALU_DEP_2) | instskip(NEXT) | instid1(VALU_DEP_1)
	v_xor_b32_e32 v20, v19, v14
	v_sub_nc_u64_e32 v[14:15], v[20:21], v[14:15]
	s_branch .LBB70_2637
.LBB70_2632:
	s_mov_b32 s4, -1
	s_branch .LBB70_2636
.LBB70_2633:
	s_and_not1_saveexec_b32 s4, s4
	s_cbranch_execz .LBB70_2614
.LBB70_2634:
	v_cmp_ne_u16_e32 vcc_lo, 0, v19
	s_and_not1_b32 s5, s5, exec_lo
	s_and_b32 s8, vcc_lo, exec_lo
	s_delay_alu instid0(SALU_CYCLE_1)
	s_or_b32 s5, s5, s8
	s_or_b32 exec_lo, exec_lo, s4
	v_mov_b64_e32 v[14:15], 0
	s_and_saveexec_b32 s4, s5
	s_cbranch_execnz .LBB70_2615
	s_branch .LBB70_2616
.LBB70_2635:
	s_mov_b32 s1, -1
.LBB70_2636:
                                        ; implicit-def: $vgpr14_vgpr15
.LBB70_2637:
	s_and_b32 vcc_lo, exec_lo, s4
	s_mov_b32 s4, 0
	s_cbranch_vccz .LBB70_2639
; %bb.2638:
	s_cmp_lg_u32 s0, 11
	s_mov_b32 s4, -1
	s_cselect_b32 s1, -1, 0
.LBB70_2639:
	s_delay_alu instid0(SALU_CYCLE_1)
	s_and_b32 vcc_lo, exec_lo, s1
	s_cbranch_vccnz .LBB70_3172
; %bb.2640:
	s_and_not1_b32 vcc_lo, exec_lo, s4
	s_cbranch_vccnz .LBB70_2642
.LBB70_2641:
	s_wait_loadcnt 0x0
	global_load_u8 v14, v[16:17], off
	s_mov_b32 s1, 0
	s_mov_b32 s5, -1
	v_mov_b32_e32 v15, s1
	s_wait_loadcnt 0x0
	v_cmp_ne_u16_e32 vcc_lo, 0, v14
	v_cndmask_b32_e64 v14, 0, 1, vcc_lo
.LBB70_2642:
	s_mov_b32 s1, 0
.LBB70_2643:
	s_delay_alu instid0(SALU_CYCLE_1)
	s_and_b32 vcc_lo, exec_lo, s1
	s_cbranch_vccz .LBB70_2692
; %bb.2644:
	s_cmp_lt_i32 s0, 5
	s_cbranch_scc1 .LBB70_2649
; %bb.2645:
	s_cmp_lt_i32 s0, 8
	s_cbranch_scc1 .LBB70_2650
	;; [unrolled: 3-line block ×3, first 2 shown]
; %bb.2647:
	s_cmp_gt_i32 s0, 9
	s_cbranch_scc0 .LBB70_2652
; %bb.2648:
	s_wait_loadcnt 0x0
	global_load_b64 v[14:15], v[16:17], off
	s_mov_b32 s1, 0
	s_wait_loadcnt 0x0
	v_trunc_f64_e32 v[14:15], v[14:15]
	s_delay_alu instid0(VALU_DEP_1) | instskip(NEXT) | instid1(VALU_DEP_1)
	v_ldexp_f64 v[20:21], v[14:15], 0xffffffe0
	v_floor_f64_e32 v[20:21], v[20:21]
	s_delay_alu instid0(VALU_DEP_1) | instskip(SKIP_1) | instid1(VALU_DEP_2)
	v_fmamk_f64 v[22:23], v[20:21], 0xc1f00000, v[14:15]
	v_cvt_i32_f64_e32 v15, v[20:21]
	v_cvt_u32_f64_e32 v14, v[22:23]
	s_branch .LBB70_2653
.LBB70_2649:
	s_mov_b32 s1, -1
                                        ; implicit-def: $vgpr14_vgpr15
	s_branch .LBB70_2671
.LBB70_2650:
	s_mov_b32 s1, -1
                                        ; implicit-def: $vgpr14_vgpr15
	s_branch .LBB70_2659
.LBB70_2651:
	s_mov_b32 s1, -1
                                        ; implicit-def: $vgpr14_vgpr15
	s_branch .LBB70_2656
.LBB70_2652:
	s_mov_b32 s1, -1
                                        ; implicit-def: $vgpr14_vgpr15
.LBB70_2653:
	s_delay_alu instid0(SALU_CYCLE_1)
	s_and_not1_b32 vcc_lo, exec_lo, s1
	s_cbranch_vccnz .LBB70_2655
; %bb.2654:
	s_wait_loadcnt 0x0
	global_load_b32 v14, v[16:17], off
	s_wait_loadcnt 0x0
	v_trunc_f32_e32 v14, v14
	s_delay_alu instid0(VALU_DEP_1) | instskip(NEXT) | instid1(VALU_DEP_1)
	v_mul_f32_e64 v15, 0x2f800000, |v14|
	v_floor_f32_e32 v15, v15
	s_delay_alu instid0(VALU_DEP_1) | instskip(SKIP_2) | instid1(VALU_DEP_3)
	v_fma_f32 v19, 0xcf800000, v15, |v14|
	v_ashrrev_i32_e32 v14, 31, v14
	v_cvt_u32_f32_e32 v20, v15
	v_cvt_u32_f32_e32 v19, v19
	s_delay_alu instid0(VALU_DEP_2) | instskip(NEXT) | instid1(VALU_DEP_2)
	v_dual_mov_b32 v15, v14 :: v_dual_bitop2_b32 v21, v20, v14 bitop3:0x14
	v_xor_b32_e32 v20, v19, v14
	s_delay_alu instid0(VALU_DEP_1)
	v_sub_nc_u64_e32 v[14:15], v[20:21], v[14:15]
.LBB70_2655:
	s_mov_b32 s1, 0
.LBB70_2656:
	s_delay_alu instid0(SALU_CYCLE_1)
	s_and_not1_b32 vcc_lo, exec_lo, s1
	s_cbranch_vccnz .LBB70_2658
; %bb.2657:
	s_wait_loadcnt 0x0
	global_load_b32 v14, v[16:17], off
	s_wait_loadcnt 0x0
	v_cvt_f32_f16_e32 v14, v14
	s_delay_alu instid0(VALU_DEP_1) | instskip(NEXT) | instid1(VALU_DEP_1)
	v_cvt_i32_f32_e32 v14, v14
	v_ashrrev_i32_e32 v15, 31, v14
.LBB70_2658:
	s_mov_b32 s1, 0
.LBB70_2659:
	s_delay_alu instid0(SALU_CYCLE_1)
	s_and_not1_b32 vcc_lo, exec_lo, s1
	s_cbranch_vccnz .LBB70_2670
; %bb.2660:
	s_cmp_lt_i32 s0, 6
	s_cbranch_scc1 .LBB70_2663
; %bb.2661:
	s_cmp_gt_i32 s0, 6
	s_cbranch_scc0 .LBB70_2664
; %bb.2662:
	s_wait_loadcnt 0x0
	global_load_b64 v[14:15], v[16:17], off
	s_mov_b32 s1, 0
	s_wait_loadcnt 0x0
	v_trunc_f64_e32 v[14:15], v[14:15]
	s_delay_alu instid0(VALU_DEP_1) | instskip(NEXT) | instid1(VALU_DEP_1)
	v_ldexp_f64 v[20:21], v[14:15], 0xffffffe0
	v_floor_f64_e32 v[20:21], v[20:21]
	s_delay_alu instid0(VALU_DEP_1) | instskip(SKIP_1) | instid1(VALU_DEP_2)
	v_fmamk_f64 v[22:23], v[20:21], 0xc1f00000, v[14:15]
	v_cvt_i32_f64_e32 v15, v[20:21]
	v_cvt_u32_f64_e32 v14, v[22:23]
	s_branch .LBB70_2665
.LBB70_2663:
	s_mov_b32 s1, -1
                                        ; implicit-def: $vgpr14_vgpr15
	s_branch .LBB70_2668
.LBB70_2664:
	s_mov_b32 s1, -1
                                        ; implicit-def: $vgpr14_vgpr15
.LBB70_2665:
	s_delay_alu instid0(SALU_CYCLE_1)
	s_and_not1_b32 vcc_lo, exec_lo, s1
	s_cbranch_vccnz .LBB70_2667
; %bb.2666:
	s_wait_loadcnt 0x0
	global_load_b32 v14, v[16:17], off
	s_wait_loadcnt 0x0
	v_trunc_f32_e32 v14, v14
	s_delay_alu instid0(VALU_DEP_1) | instskip(NEXT) | instid1(VALU_DEP_1)
	v_mul_f32_e64 v15, 0x2f800000, |v14|
	v_floor_f32_e32 v15, v15
	s_delay_alu instid0(VALU_DEP_1) | instskip(SKIP_2) | instid1(VALU_DEP_3)
	v_fma_f32 v19, 0xcf800000, v15, |v14|
	v_ashrrev_i32_e32 v14, 31, v14
	v_cvt_u32_f32_e32 v20, v15
	v_cvt_u32_f32_e32 v19, v19
	s_delay_alu instid0(VALU_DEP_2) | instskip(NEXT) | instid1(VALU_DEP_2)
	v_dual_mov_b32 v15, v14 :: v_dual_bitop2_b32 v21, v20, v14 bitop3:0x14
	v_xor_b32_e32 v20, v19, v14
	s_delay_alu instid0(VALU_DEP_1)
	v_sub_nc_u64_e32 v[14:15], v[20:21], v[14:15]
.LBB70_2667:
	s_mov_b32 s1, 0
.LBB70_2668:
	s_delay_alu instid0(SALU_CYCLE_1)
	s_and_not1_b32 vcc_lo, exec_lo, s1
	s_cbranch_vccnz .LBB70_2670
; %bb.2669:
	s_wait_loadcnt 0x0
	global_load_u16 v14, v[16:17], off
	s_wait_loadcnt 0x0
	v_cvt_f32_f16_e32 v14, v14
	s_delay_alu instid0(VALU_DEP_1) | instskip(NEXT) | instid1(VALU_DEP_1)
	v_cvt_i32_f32_e32 v14, v14
	v_ashrrev_i32_e32 v15, 31, v14
.LBB70_2670:
	s_mov_b32 s1, 0
.LBB70_2671:
	s_delay_alu instid0(SALU_CYCLE_1)
	s_and_not1_b32 vcc_lo, exec_lo, s1
	s_cbranch_vccnz .LBB70_2691
; %bb.2672:
	s_cmp_lt_i32 s0, 2
	s_cbranch_scc1 .LBB70_2676
; %bb.2673:
	s_cmp_lt_i32 s0, 3
	s_cbranch_scc1 .LBB70_2677
; %bb.2674:
	s_cmp_gt_i32 s0, 3
	s_cbranch_scc0 .LBB70_2678
; %bb.2675:
	s_wait_loadcnt 0x0
	global_load_b64 v[14:15], v[16:17], off
	s_mov_b32 s1, 0
	s_branch .LBB70_2679
.LBB70_2676:
	s_mov_b32 s1, -1
                                        ; implicit-def: $vgpr14_vgpr15
	s_branch .LBB70_2685
.LBB70_2677:
	s_mov_b32 s1, -1
                                        ; implicit-def: $vgpr14_vgpr15
	s_branch .LBB70_2682
.LBB70_2678:
	s_mov_b32 s1, -1
                                        ; implicit-def: $vgpr14_vgpr15
.LBB70_2679:
	s_delay_alu instid0(SALU_CYCLE_1)
	s_and_not1_b32 vcc_lo, exec_lo, s1
	s_cbranch_vccnz .LBB70_2681
; %bb.2680:
	s_wait_loadcnt 0x0
	global_load_b32 v14, v[16:17], off
	s_wait_loadcnt 0x0
	v_ashrrev_i32_e32 v15, 31, v14
.LBB70_2681:
	s_mov_b32 s1, 0
.LBB70_2682:
	s_delay_alu instid0(SALU_CYCLE_1)
	s_and_not1_b32 vcc_lo, exec_lo, s1
	s_cbranch_vccnz .LBB70_2684
; %bb.2683:
	s_wait_loadcnt 0x0
	global_load_u16 v14, v[16:17], off
	s_wait_loadcnt 0x0
	v_bfe_i32 v14, v14, 0, 16
	s_delay_alu instid0(VALU_DEP_1)
	v_ashrrev_i32_e32 v15, 31, v14
.LBB70_2684:
	s_mov_b32 s1, 0
.LBB70_2685:
	s_delay_alu instid0(SALU_CYCLE_1)
	s_and_not1_b32 vcc_lo, exec_lo, s1
	s_cbranch_vccnz .LBB70_2691
; %bb.2686:
	s_cmp_gt_i32 s0, 0
	s_mov_b32 s0, 0
	s_cbranch_scc0 .LBB70_2688
; %bb.2687:
	s_wait_loadcnt 0x0
	global_load_i8 v14, v[16:17], off
	s_wait_loadcnt 0x0
	v_bfe_i32 v14, v14, 0, 16
	s_delay_alu instid0(VALU_DEP_1)
	v_ashrrev_i32_e32 v15, 31, v14
	s_branch .LBB70_2689
.LBB70_2688:
	s_mov_b32 s0, -1
                                        ; implicit-def: $vgpr14_vgpr15
.LBB70_2689:
	s_delay_alu instid0(SALU_CYCLE_1)
	s_and_not1_b32 vcc_lo, exec_lo, s0
	s_cbranch_vccnz .LBB70_2691
; %bb.2690:
	s_wait_loadcnt 0x0
	global_load_u8 v14, v[16:17], off
	s_mov_b32 s0, 0
	s_delay_alu instid0(SALU_CYCLE_1)
	v_mov_b32_e32 v15, s0
	s_wait_loadcnt 0x0
	v_and_b32_e32 v14, 0xffff, v14
.LBB70_2691:
	s_mov_b32 s5, -1
.LBB70_2692:
	s_delay_alu instid0(SALU_CYCLE_1)
	s_and_not1_b32 vcc_lo, exec_lo, s5
	s_cbranch_vccnz .LBB70_3126
; %bb.2693:
	s_wait_loadcnt 0x0
	v_mul_u64_e32 v[0:1], s[6:7], v[0:1]
	s_and_b32 s19, s13, 0xff
	s_delay_alu instid0(SALU_CYCLE_1) | instskip(NEXT) | instid1(VALU_DEP_1)
	s_cmp_lt_i32 s19, 11
	v_mul_u64_e32 v[2:3], v[0:1], v[2:3]
	v_mul_lo_u32 v0, s12, v18
	s_delay_alu instid0(VALU_DEP_1) | instskip(SKIP_1) | instid1(VALU_DEP_1)
	v_ashrrev_i32_e32 v1, 31, v0
	s_wait_xcnt 0x0
	v_add_nc_u64_e32 v[16:17], s[2:3], v[0:1]
	s_cbranch_scc1 .LBB70_2771
; %bb.2694:
	s_and_b32 s1, 0xffff, s19
	s_mov_b32 s8, -1
	s_mov_b32 s4, 0
	s_cmp_gt_i32 s1, 25
	s_mov_b32 s5, 0
	s_mov_b32 s0, 0
	s_cbranch_scc0 .LBB70_2727
; %bb.2695:
	s_cmp_gt_i32 s1, 28
	s_cbranch_scc0 .LBB70_2710
; %bb.2696:
	s_cmp_gt_i32 s1, 43
	;; [unrolled: 3-line block ×3, first 2 shown]
	s_cbranch_scc0 .LBB70_2700
; %bb.2698:
	s_mov_b32 s0, -1
	s_mov_b32 s8, 0
	s_cmp_eq_u32 s1, 46
	s_cbranch_scc0 .LBB70_2700
; %bb.2699:
	s_delay_alu instid0(VALU_DEP_4) | instskip(SKIP_3) | instid1(VALU_DEP_2)
	v_xor_b32_e32 v1, v2, v3
	v_cls_i32_e32 v18, v3
	s_mov_b32 s5, -1
	s_mov_b32 s0, 0
	v_ashrrev_i32_e32 v1, 31, v1
	s_delay_alu instid0(VALU_DEP_1) | instskip(NEXT) | instid1(VALU_DEP_1)
	v_add_nc_u32_e32 v1, 32, v1
	v_add_min_u32_e64 v1, v18, -1, v1
	s_delay_alu instid0(VALU_DEP_1) | instskip(SKIP_1) | instid1(VALU_DEP_2)
	v_lshlrev_b64_e32 v[18:19], v1, v[2:3]
	v_sub_nc_u32_e32 v1, 32, v1
	v_min_u32_e32 v18, 1, v18
	s_delay_alu instid0(VALU_DEP_1) | instskip(NEXT) | instid1(VALU_DEP_1)
	v_or_b32_e32 v18, v19, v18
	v_cvt_f32_i32_e32 v18, v18
	s_delay_alu instid0(VALU_DEP_1) | instskip(NEXT) | instid1(VALU_DEP_1)
	v_ldexp_f32 v1, v18, v1
	v_bfe_u32 v18, v1, 16, 1
	s_delay_alu instid0(VALU_DEP_1) | instskip(NEXT) | instid1(VALU_DEP_1)
	v_add3_u32 v1, v1, v18, 0x7fff
	v_lshrrev_b32_e32 v1, 16, v1
	global_store_b32 v[16:17], v1, off
.LBB70_2700:
	s_and_b32 vcc_lo, exec_lo, s8
	s_cbranch_vccz .LBB70_2705
; %bb.2701:
	s_cmp_eq_u32 s1, 44
	s_mov_b32 s0, -1
	s_cbranch_scc0 .LBB70_2705
; %bb.2702:
	s_wait_xcnt 0x0
	s_delay_alu instid0(VALU_DEP_4) | instskip(SKIP_3) | instid1(VALU_DEP_2)
	v_xor_b32_e32 v1, v2, v3
	v_cls_i32_e32 v18, v3
	s_mov_b32 s5, -1
	s_mov_b32 s8, exec_lo
	v_ashrrev_i32_e32 v1, 31, v1
	s_delay_alu instid0(VALU_DEP_1) | instskip(NEXT) | instid1(VALU_DEP_1)
	v_add_nc_u32_e32 v1, 32, v1
	v_add_min_u32_e64 v1, v18, -1, v1
	s_delay_alu instid0(VALU_DEP_1) | instskip(SKIP_1) | instid1(VALU_DEP_2)
	v_lshlrev_b64_e32 v[18:19], v1, v[2:3]
	v_sub_nc_u32_e32 v1, 32, v1
	v_min_u32_e32 v18, 1, v18
	s_delay_alu instid0(VALU_DEP_1) | instskip(NEXT) | instid1(VALU_DEP_1)
	v_or_b32_e32 v18, v19, v18
	v_cvt_f32_i32_e32 v18, v18
	s_delay_alu instid0(VALU_DEP_1) | instskip(SKIP_1) | instid1(VALU_DEP_2)
	v_ldexp_f32 v1, v18, v1
	v_mov_b32_e32 v18, 0xff
	v_bfe_u32 v19, v1, 23, 8
	s_delay_alu instid0(VALU_DEP_1)
	v_cmpx_ne_u32_e32 0xff, v19
	s_cbranch_execz .LBB70_2704
; %bb.2703:
	v_and_b32_e32 v18, 0x400000, v1
	v_and_or_b32 v19, 0x3fffff, v1, v19
	v_lshrrev_b32_e32 v1, 23, v1
	s_delay_alu instid0(VALU_DEP_3) | instskip(NEXT) | instid1(VALU_DEP_3)
	v_cmp_ne_u32_e32 vcc_lo, 0, v18
	v_cmp_ne_u32_e64 s0, 0, v19
	s_and_b32 s0, vcc_lo, s0
	s_delay_alu instid0(SALU_CYCLE_1) | instskip(NEXT) | instid1(VALU_DEP_1)
	v_cndmask_b32_e64 v18, 0, 1, s0
	v_add_nc_u32_e32 v18, v1, v18
.LBB70_2704:
	s_or_b32 exec_lo, exec_lo, s8
	s_mov_b32 s0, 0
	global_store_b8 v[16:17], v18, off
.LBB70_2705:
	s_mov_b32 s8, 0
.LBB70_2706:
	s_delay_alu instid0(SALU_CYCLE_1)
	s_and_b32 vcc_lo, exec_lo, s8
	s_cbranch_vccz .LBB70_2709
; %bb.2707:
	s_cmp_eq_u32 s1, 29
	s_mov_b32 s0, -1
	s_cbranch_scc0 .LBB70_2709
; %bb.2708:
	s_mov_b32 s0, 0
	s_mov_b32 s5, -1
	global_store_b64 v[16:17], v[2:3], off
.LBB70_2709:
	s_mov_b32 s8, 0
.LBB70_2710:
	s_delay_alu instid0(SALU_CYCLE_1)
	s_and_b32 vcc_lo, exec_lo, s8
	s_cbranch_vccz .LBB70_2726
; %bb.2711:
	s_cmp_lt_i32 s1, 27
	s_mov_b32 s5, -1
	s_cbranch_scc1 .LBB70_2717
; %bb.2712:
	s_cmp_gt_i32 s1, 27
	s_cbranch_scc0 .LBB70_2714
; %bb.2713:
	s_mov_b32 s5, 0
	global_store_b32 v[16:17], v2, off
.LBB70_2714:
	s_and_not1_b32 vcc_lo, exec_lo, s5
	s_cbranch_vccnz .LBB70_2716
; %bb.2715:
	global_store_b16 v[16:17], v2, off
.LBB70_2716:
	s_mov_b32 s5, 0
.LBB70_2717:
	s_delay_alu instid0(SALU_CYCLE_1)
	s_and_not1_b32 vcc_lo, exec_lo, s5
	s_cbranch_vccnz .LBB70_2725
; %bb.2718:
	s_wait_xcnt 0x0
	s_delay_alu instid0(VALU_DEP_4) | instskip(SKIP_2) | instid1(VALU_DEP_2)
	v_xor_b32_e32 v1, v2, v3
	v_cls_i32_e32 v18, v3
	s_mov_b32 s5, exec_lo
	v_ashrrev_i32_e32 v1, 31, v1
	s_delay_alu instid0(VALU_DEP_1) | instskip(NEXT) | instid1(VALU_DEP_1)
	v_add_nc_u32_e32 v1, 32, v1
	v_add_min_u32_e64 v1, v18, -1, v1
	s_delay_alu instid0(VALU_DEP_1) | instskip(SKIP_1) | instid1(VALU_DEP_2)
	v_lshlrev_b64_e32 v[18:19], v1, v[2:3]
	v_sub_nc_u32_e32 v1, 32, v1
	v_min_u32_e32 v18, 1, v18
	s_delay_alu instid0(VALU_DEP_1) | instskip(SKIP_1) | instid1(VALU_DEP_2)
	v_or_b32_e32 v18, v19, v18
	v_mov_b32_e32 v19, 0x80
	v_cvt_f32_i32_e32 v18, v18
	s_delay_alu instid0(VALU_DEP_1) | instskip(NEXT) | instid1(VALU_DEP_1)
	v_ldexp_f32 v1, v18, v1
	v_and_b32_e32 v18, 0x7fffffff, v1
	s_delay_alu instid0(VALU_DEP_1)
	v_cmpx_gt_u32_e32 0x43800000, v18
	s_cbranch_execz .LBB70_2724
; %bb.2719:
	v_cmp_lt_u32_e32 vcc_lo, 0x3bffffff, v18
	s_mov_b32 s8, 0
                                        ; implicit-def: $vgpr18
	s_and_saveexec_b32 s9, vcc_lo
	s_delay_alu instid0(SALU_CYCLE_1)
	s_xor_b32 s9, exec_lo, s9
	s_cbranch_execz .LBB70_3173
; %bb.2720:
	v_bfe_u32 v18, v1, 20, 1
	s_mov_b32 s8, exec_lo
	s_delay_alu instid0(VALU_DEP_1) | instskip(NEXT) | instid1(VALU_DEP_1)
	v_add3_u32 v18, v1, v18, 0x487ffff
	v_lshrrev_b32_e32 v18, 20, v18
	s_and_not1_saveexec_b32 s9, s9
	s_cbranch_execnz .LBB70_3174
.LBB70_2721:
	s_or_b32 exec_lo, exec_lo, s9
	v_mov_b32_e32 v19, 0
	s_and_saveexec_b32 s9, s8
.LBB70_2722:
	v_lshrrev_b32_e32 v1, 24, v1
	s_delay_alu instid0(VALU_DEP_1)
	v_and_or_b32 v19, 0x80, v1, v18
.LBB70_2723:
	s_or_b32 exec_lo, exec_lo, s9
.LBB70_2724:
	s_delay_alu instid0(SALU_CYCLE_1)
	s_or_b32 exec_lo, exec_lo, s5
	global_store_b8 v[16:17], v19, off
.LBB70_2725:
	s_mov_b32 s5, -1
.LBB70_2726:
	s_mov_b32 s8, 0
.LBB70_2727:
	s_delay_alu instid0(SALU_CYCLE_1)
	s_and_b32 vcc_lo, exec_lo, s8
	s_cbranch_vccz .LBB70_2767
; %bb.2728:
	s_cmp_gt_i32 s1, 22
	s_mov_b32 s4, -1
	s_cbranch_scc0 .LBB70_2760
; %bb.2729:
	s_cmp_lt_i32 s1, 24
	s_cbranch_scc1 .LBB70_2749
; %bb.2730:
	s_cmp_gt_i32 s1, 24
	s_cbranch_scc0 .LBB70_2738
; %bb.2731:
	s_wait_xcnt 0x0
	s_delay_alu instid0(VALU_DEP_4) | instskip(SKIP_2) | instid1(VALU_DEP_2)
	v_xor_b32_e32 v1, v2, v3
	v_cls_i32_e32 v18, v3
	s_mov_b32 s4, exec_lo
	v_ashrrev_i32_e32 v1, 31, v1
	s_delay_alu instid0(VALU_DEP_1) | instskip(NEXT) | instid1(VALU_DEP_1)
	v_add_nc_u32_e32 v1, 32, v1
	v_add_min_u32_e64 v1, v18, -1, v1
	s_delay_alu instid0(VALU_DEP_1) | instskip(SKIP_1) | instid1(VALU_DEP_2)
	v_lshlrev_b64_e32 v[18:19], v1, v[2:3]
	v_sub_nc_u32_e32 v1, 32, v1
	v_min_u32_e32 v18, 1, v18
	s_delay_alu instid0(VALU_DEP_1) | instskip(SKIP_1) | instid1(VALU_DEP_2)
	v_or_b32_e32 v18, v19, v18
	v_mov_b32_e32 v19, 0x80
	v_cvt_f32_i32_e32 v18, v18
	s_delay_alu instid0(VALU_DEP_1) | instskip(NEXT) | instid1(VALU_DEP_1)
	v_ldexp_f32 v1, v18, v1
	v_and_b32_e32 v18, 0x7fffffff, v1
	s_delay_alu instid0(VALU_DEP_1)
	v_cmpx_gt_u32_e32 0x47800000, v18
	s_cbranch_execz .LBB70_2737
; %bb.2732:
	v_cmp_lt_u32_e32 vcc_lo, 0x37ffffff, v18
	s_mov_b32 s5, 0
                                        ; implicit-def: $vgpr18
	s_and_saveexec_b32 s8, vcc_lo
	s_delay_alu instid0(SALU_CYCLE_1)
	s_xor_b32 s8, exec_lo, s8
	s_cbranch_execz .LBB70_3176
; %bb.2733:
	v_bfe_u32 v18, v1, 21, 1
	s_mov_b32 s5, exec_lo
	s_delay_alu instid0(VALU_DEP_1) | instskip(NEXT) | instid1(VALU_DEP_1)
	v_add3_u32 v18, v1, v18, 0x88fffff
	v_lshrrev_b32_e32 v18, 21, v18
	s_and_not1_saveexec_b32 s8, s8
	s_cbranch_execnz .LBB70_3177
.LBB70_2734:
	s_or_b32 exec_lo, exec_lo, s8
	v_mov_b32_e32 v19, 0
	s_and_saveexec_b32 s8, s5
.LBB70_2735:
	v_lshrrev_b32_e32 v1, 24, v1
	s_delay_alu instid0(VALU_DEP_1)
	v_and_or_b32 v19, 0x80, v1, v18
.LBB70_2736:
	s_or_b32 exec_lo, exec_lo, s8
.LBB70_2737:
	s_delay_alu instid0(SALU_CYCLE_1)
	s_or_b32 exec_lo, exec_lo, s4
	s_mov_b32 s4, 0
	global_store_b8 v[16:17], v19, off
.LBB70_2738:
	s_and_b32 vcc_lo, exec_lo, s4
	s_cbranch_vccz .LBB70_2748
; %bb.2739:
	s_wait_xcnt 0x0
	s_delay_alu instid0(VALU_DEP_4) | instskip(SKIP_2) | instid1(VALU_DEP_2)
	v_xor_b32_e32 v1, v2, v3
	v_cls_i32_e32 v18, v3
	s_mov_b32 s4, exec_lo
	v_ashrrev_i32_e32 v1, 31, v1
	s_delay_alu instid0(VALU_DEP_1) | instskip(NEXT) | instid1(VALU_DEP_1)
	v_add_nc_u32_e32 v1, 32, v1
	v_add_min_u32_e64 v1, v18, -1, v1
	s_delay_alu instid0(VALU_DEP_1) | instskip(SKIP_1) | instid1(VALU_DEP_2)
	v_lshlrev_b64_e32 v[18:19], v1, v[2:3]
	v_sub_nc_u32_e32 v1, 32, v1
	v_min_u32_e32 v18, 1, v18
	s_delay_alu instid0(VALU_DEP_1) | instskip(NEXT) | instid1(VALU_DEP_1)
	v_or_b32_e32 v18, v19, v18
	v_cvt_f32_i32_e32 v18, v18
	s_delay_alu instid0(VALU_DEP_1) | instskip(NEXT) | instid1(VALU_DEP_1)
	v_ldexp_f32 v1, v18, v1
                                        ; implicit-def: $vgpr18
	v_and_b32_e32 v19, 0x7fffffff, v1
	s_delay_alu instid0(VALU_DEP_1)
	v_cmpx_gt_u32_e32 0x43f00000, v19
	s_xor_b32 s4, exec_lo, s4
	s_cbranch_execz .LBB70_2745
; %bb.2740:
	s_mov_b32 s5, exec_lo
                                        ; implicit-def: $vgpr18
	v_cmpx_lt_u32_e32 0x3c7fffff, v19
	s_xor_b32 s5, exec_lo, s5
; %bb.2741:
	v_bfe_u32 v18, v1, 20, 1
	s_delay_alu instid0(VALU_DEP_1) | instskip(NEXT) | instid1(VALU_DEP_1)
	v_add3_u32 v18, v1, v18, 0x407ffff
	v_and_b32_e32 v19, 0xff00000, v18
	v_lshrrev_b32_e32 v18, 20, v18
	s_delay_alu instid0(VALU_DEP_2) | instskip(NEXT) | instid1(VALU_DEP_2)
	v_cmp_ne_u32_e32 vcc_lo, 0x7f00000, v19
	v_cndmask_b32_e32 v18, 0x7e, v18, vcc_lo
; %bb.2742:
	s_and_not1_saveexec_b32 s5, s5
; %bb.2743:
	v_add_f32_e64 v18, 0x46800000, |v1|
; %bb.2744:
	s_or_b32 exec_lo, exec_lo, s5
                                        ; implicit-def: $vgpr19
.LBB70_2745:
	s_and_not1_saveexec_b32 s4, s4
; %bb.2746:
	v_mov_b32_e32 v18, 0x7f
	v_cmp_lt_u32_e32 vcc_lo, 0x7f800000, v19
	s_delay_alu instid0(VALU_DEP_2)
	v_cndmask_b32_e32 v18, 0x7e, v18, vcc_lo
; %bb.2747:
	s_or_b32 exec_lo, exec_lo, s4
	v_lshrrev_b32_e32 v1, 24, v1
	s_delay_alu instid0(VALU_DEP_1)
	v_and_or_b32 v1, 0x80, v1, v18
	global_store_b8 v[16:17], v1, off
.LBB70_2748:
	s_mov_b32 s4, 0
.LBB70_2749:
	s_delay_alu instid0(SALU_CYCLE_1)
	s_and_not1_b32 vcc_lo, exec_lo, s4
	s_cbranch_vccnz .LBB70_2759
; %bb.2750:
	s_wait_xcnt 0x0
	s_delay_alu instid0(VALU_DEP_4) | instskip(SKIP_2) | instid1(VALU_DEP_2)
	v_xor_b32_e32 v1, v2, v3
	v_cls_i32_e32 v18, v3
	s_mov_b32 s4, exec_lo
	v_ashrrev_i32_e32 v1, 31, v1
	s_delay_alu instid0(VALU_DEP_1) | instskip(NEXT) | instid1(VALU_DEP_1)
	v_add_nc_u32_e32 v1, 32, v1
	v_add_min_u32_e64 v1, v18, -1, v1
	s_delay_alu instid0(VALU_DEP_1) | instskip(SKIP_1) | instid1(VALU_DEP_2)
	v_lshlrev_b64_e32 v[18:19], v1, v[2:3]
	v_sub_nc_u32_e32 v1, 32, v1
	v_min_u32_e32 v18, 1, v18
	s_delay_alu instid0(VALU_DEP_1) | instskip(NEXT) | instid1(VALU_DEP_1)
	v_or_b32_e32 v18, v19, v18
	v_cvt_f32_i32_e32 v18, v18
	s_delay_alu instid0(VALU_DEP_1) | instskip(NEXT) | instid1(VALU_DEP_1)
	v_ldexp_f32 v1, v18, v1
                                        ; implicit-def: $vgpr18
	v_and_b32_e32 v19, 0x7fffffff, v1
	s_delay_alu instid0(VALU_DEP_1)
	v_cmpx_gt_u32_e32 0x47800000, v19
	s_xor_b32 s4, exec_lo, s4
	s_cbranch_execz .LBB70_2756
; %bb.2751:
	s_mov_b32 s5, exec_lo
                                        ; implicit-def: $vgpr18
	v_cmpx_lt_u32_e32 0x387fffff, v19
	s_xor_b32 s5, exec_lo, s5
; %bb.2752:
	v_bfe_u32 v18, v1, 21, 1
	s_delay_alu instid0(VALU_DEP_1) | instskip(NEXT) | instid1(VALU_DEP_1)
	v_add3_u32 v18, v1, v18, 0x80fffff
	v_lshrrev_b32_e32 v18, 21, v18
; %bb.2753:
	s_and_not1_saveexec_b32 s5, s5
; %bb.2754:
	v_add_f32_e64 v18, 0x43000000, |v1|
; %bb.2755:
	s_or_b32 exec_lo, exec_lo, s5
                                        ; implicit-def: $vgpr19
.LBB70_2756:
	s_and_not1_saveexec_b32 s4, s4
; %bb.2757:
	v_mov_b32_e32 v18, 0x7f
	v_cmp_lt_u32_e32 vcc_lo, 0x7f800000, v19
	s_delay_alu instid0(VALU_DEP_2)
	v_cndmask_b32_e32 v18, 0x7c, v18, vcc_lo
; %bb.2758:
	s_or_b32 exec_lo, exec_lo, s4
	v_lshrrev_b32_e32 v1, 24, v1
	s_delay_alu instid0(VALU_DEP_1)
	v_and_or_b32 v1, 0x80, v1, v18
	global_store_b8 v[16:17], v1, off
.LBB70_2759:
	s_mov_b32 s4, 0
	s_mov_b32 s5, -1
.LBB70_2760:
	s_and_not1_b32 vcc_lo, exec_lo, s4
	s_mov_b32 s4, 0
	s_cbranch_vccnz .LBB70_2767
; %bb.2761:
	s_cmp_gt_i32 s1, 14
	s_mov_b32 s4, -1
	s_cbranch_scc0 .LBB70_2765
; %bb.2762:
	s_cmp_eq_u32 s1, 15
	s_mov_b32 s0, -1
	s_cbranch_scc0 .LBB70_2764
; %bb.2763:
	s_wait_xcnt 0x0
	s_delay_alu instid0(VALU_DEP_4) | instskip(SKIP_3) | instid1(VALU_DEP_2)
	v_xor_b32_e32 v1, v2, v3
	v_cls_i32_e32 v18, v3
	s_mov_b32 s5, -1
	s_mov_b32 s0, 0
	v_ashrrev_i32_e32 v1, 31, v1
	s_delay_alu instid0(VALU_DEP_1) | instskip(NEXT) | instid1(VALU_DEP_1)
	v_add_nc_u32_e32 v1, 32, v1
	v_add_min_u32_e64 v1, v18, -1, v1
	s_delay_alu instid0(VALU_DEP_1) | instskip(SKIP_1) | instid1(VALU_DEP_2)
	v_lshlrev_b64_e32 v[18:19], v1, v[2:3]
	v_sub_nc_u32_e32 v1, 32, v1
	v_min_u32_e32 v18, 1, v18
	s_delay_alu instid0(VALU_DEP_1) | instskip(NEXT) | instid1(VALU_DEP_1)
	v_or_b32_e32 v18, v19, v18
	v_cvt_f32_i32_e32 v18, v18
	s_delay_alu instid0(VALU_DEP_1) | instskip(NEXT) | instid1(VALU_DEP_1)
	v_ldexp_f32 v1, v18, v1
	v_bfe_u32 v18, v1, 16, 1
	s_delay_alu instid0(VALU_DEP_1)
	v_add3_u32 v1, v1, v18, 0x7fff
	global_store_d16_hi_b16 v[16:17], v1, off
.LBB70_2764:
	s_mov_b32 s4, 0
.LBB70_2765:
	s_delay_alu instid0(SALU_CYCLE_1)
	s_and_b32 vcc_lo, exec_lo, s4
	s_mov_b32 s4, 0
	s_cbranch_vccz .LBB70_2767
; %bb.2766:
	s_cmp_lg_u32 s1, 11
	s_mov_b32 s4, -1
	s_cselect_b32 s0, -1, 0
.LBB70_2767:
	s_delay_alu instid0(SALU_CYCLE_1)
	s_and_b32 vcc_lo, exec_lo, s0
	s_cbranch_vccnz .LBB70_3175
; %bb.2768:
	s_and_not1_b32 vcc_lo, exec_lo, s4
	s_cbranch_vccnz .LBB70_2770
.LBB70_2769:
	s_delay_alu instid0(VALU_DEP_4)
	v_cmp_ne_u64_e32 vcc_lo, 0, v[2:3]
	s_mov_b32 s5, -1
	s_wait_xcnt 0x0
	v_cndmask_b32_e64 v1, 0, 1, vcc_lo
	global_store_b8 v[16:17], v1, off
.LBB70_2770:
	s_mov_b32 s0, 0
	s_branch .LBB70_2772
.LBB70_2771:
	s_mov_b32 s0, -1
	s_mov_b32 s5, 0
.LBB70_2772:
	s_and_b32 vcc_lo, exec_lo, s0
	s_cbranch_vccz .LBB70_2811
; %bb.2773:
	s_and_b32 s0, 0xffff, s19
	s_mov_b32 s1, -1
	s_cmp_lt_i32 s0, 5
	s_cbranch_scc1 .LBB70_2794
; %bb.2774:
	s_cmp_lt_i32 s0, 8
	s_cbranch_scc1 .LBB70_2784
; %bb.2775:
	;; [unrolled: 3-line block ×3, first 2 shown]
	s_cmp_gt_i32 s0, 9
	s_cbranch_scc0 .LBB70_2778
; %bb.2777:
	s_wait_xcnt 0x0
	s_delay_alu instid0(VALU_DEP_4) | instskip(SKIP_2) | instid1(VALU_DEP_2)
	v_cvt_f64_i32_e32 v[18:19], v3
	v_cvt_f64_u32_e32 v[20:21], v2
	s_mov_b32 s1, 0
	v_ldexp_f64 v[18:19], v[18:19], 32
	s_delay_alu instid0(VALU_DEP_1) | instskip(NEXT) | instid1(VALU_DEP_1)
	v_dual_add_f64 v[18:19], v[18:19], v[20:21] :: v_dual_mov_b32 v20, 0
	v_mov_b32_e32 v21, v20
	global_store_b128 v[16:17], v[18:21], off
.LBB70_2778:
	s_and_not1_b32 vcc_lo, exec_lo, s1
	s_cbranch_vccnz .LBB70_2780
; %bb.2779:
	s_wait_xcnt 0x0
	s_delay_alu instid0(VALU_DEP_4) | instskip(SKIP_1) | instid1(VALU_DEP_2)
	v_xor_b32_e32 v1, v2, v3
	v_cls_i32_e32 v18, v3
	v_ashrrev_i32_e32 v1, 31, v1
	s_delay_alu instid0(VALU_DEP_1) | instskip(NEXT) | instid1(VALU_DEP_1)
	v_add_nc_u32_e32 v1, 32, v1
	v_add_min_u32_e64 v1, v18, -1, v1
	s_delay_alu instid0(VALU_DEP_1) | instskip(SKIP_1) | instid1(VALU_DEP_2)
	v_lshlrev_b64_e32 v[18:19], v1, v[2:3]
	v_sub_nc_u32_e32 v1, 32, v1
	v_min_u32_e32 v18, 1, v18
	s_delay_alu instid0(VALU_DEP_1) | instskip(NEXT) | instid1(VALU_DEP_1)
	v_dual_mov_b32 v19, 0 :: v_dual_bitop2_b32 v18, v19, v18 bitop3:0x54
	v_cvt_f32_i32_e32 v18, v18
	s_delay_alu instid0(VALU_DEP_1)
	v_ldexp_f32 v18, v18, v1
	global_store_b64 v[16:17], v[18:19], off
.LBB70_2780:
	s_mov_b32 s1, 0
.LBB70_2781:
	s_delay_alu instid0(SALU_CYCLE_1)
	s_and_not1_b32 vcc_lo, exec_lo, s1
	s_cbranch_vccnz .LBB70_2783
; %bb.2782:
	s_wait_xcnt 0x0
	s_delay_alu instid0(VALU_DEP_4) | instskip(SKIP_1) | instid1(VALU_DEP_2)
	v_xor_b32_e32 v1, v2, v3
	v_cls_i32_e32 v18, v3
	v_ashrrev_i32_e32 v1, 31, v1
	s_delay_alu instid0(VALU_DEP_1) | instskip(NEXT) | instid1(VALU_DEP_1)
	v_add_nc_u32_e32 v1, 32, v1
	v_add_min_u32_e64 v1, v18, -1, v1
	s_delay_alu instid0(VALU_DEP_1) | instskip(SKIP_1) | instid1(VALU_DEP_2)
	v_lshlrev_b64_e32 v[18:19], v1, v[2:3]
	v_sub_nc_u32_e32 v1, 32, v1
	v_min_u32_e32 v18, 1, v18
	s_delay_alu instid0(VALU_DEP_1) | instskip(NEXT) | instid1(VALU_DEP_1)
	v_or_b32_e32 v18, v19, v18
	v_cvt_f32_i32_e32 v18, v18
	s_delay_alu instid0(VALU_DEP_1) | instskip(NEXT) | instid1(VALU_DEP_1)
	v_ldexp_f32 v1, v18, v1
	v_cvt_f16_f32_e32 v1, v1
	s_delay_alu instid0(VALU_DEP_1)
	v_and_b32_e32 v1, 0xffff, v1
	global_store_b32 v[16:17], v1, off
.LBB70_2783:
	s_mov_b32 s1, 0
.LBB70_2784:
	s_delay_alu instid0(SALU_CYCLE_1)
	s_and_not1_b32 vcc_lo, exec_lo, s1
	s_cbranch_vccnz .LBB70_2793
; %bb.2785:
	s_cmp_lt_i32 s0, 6
	s_mov_b32 s1, -1
	s_cbranch_scc1 .LBB70_2791
; %bb.2786:
	s_cmp_gt_i32 s0, 6
	s_cbranch_scc0 .LBB70_2788
; %bb.2787:
	s_wait_xcnt 0x0
	s_delay_alu instid0(VALU_DEP_4) | instskip(SKIP_2) | instid1(VALU_DEP_2)
	v_cvt_f64_i32_e32 v[18:19], v3
	v_cvt_f64_u32_e32 v[20:21], v2
	s_mov_b32 s1, 0
	v_ldexp_f64 v[18:19], v[18:19], 32
	s_delay_alu instid0(VALU_DEP_1)
	v_add_f64_e32 v[18:19], v[18:19], v[20:21]
	global_store_b64 v[16:17], v[18:19], off
.LBB70_2788:
	s_and_not1_b32 vcc_lo, exec_lo, s1
	s_cbranch_vccnz .LBB70_2790
; %bb.2789:
	s_wait_xcnt 0x0
	s_delay_alu instid0(VALU_DEP_4) | instskip(SKIP_1) | instid1(VALU_DEP_2)
	v_xor_b32_e32 v1, v2, v3
	v_cls_i32_e32 v18, v3
	v_ashrrev_i32_e32 v1, 31, v1
	s_delay_alu instid0(VALU_DEP_1) | instskip(NEXT) | instid1(VALU_DEP_1)
	v_add_nc_u32_e32 v1, 32, v1
	v_add_min_u32_e64 v1, v18, -1, v1
	s_delay_alu instid0(VALU_DEP_1) | instskip(SKIP_1) | instid1(VALU_DEP_2)
	v_lshlrev_b64_e32 v[18:19], v1, v[2:3]
	v_sub_nc_u32_e32 v1, 32, v1
	v_min_u32_e32 v18, 1, v18
	s_delay_alu instid0(VALU_DEP_1) | instskip(NEXT) | instid1(VALU_DEP_1)
	v_or_b32_e32 v18, v19, v18
	v_cvt_f32_i32_e32 v18, v18
	s_delay_alu instid0(VALU_DEP_1)
	v_ldexp_f32 v1, v18, v1
	global_store_b32 v[16:17], v1, off
.LBB70_2790:
	s_mov_b32 s1, 0
.LBB70_2791:
	s_delay_alu instid0(SALU_CYCLE_1)
	s_and_not1_b32 vcc_lo, exec_lo, s1
	s_cbranch_vccnz .LBB70_2793
; %bb.2792:
	s_wait_xcnt 0x0
	s_delay_alu instid0(VALU_DEP_4) | instskip(SKIP_1) | instid1(VALU_DEP_2)
	v_xor_b32_e32 v1, v2, v3
	v_cls_i32_e32 v18, v3
	v_ashrrev_i32_e32 v1, 31, v1
	s_delay_alu instid0(VALU_DEP_1) | instskip(NEXT) | instid1(VALU_DEP_1)
	v_add_nc_u32_e32 v1, 32, v1
	v_add_min_u32_e64 v1, v18, -1, v1
	s_delay_alu instid0(VALU_DEP_1) | instskip(SKIP_1) | instid1(VALU_DEP_2)
	v_lshlrev_b64_e32 v[18:19], v1, v[2:3]
	v_sub_nc_u32_e32 v1, 32, v1
	v_min_u32_e32 v18, 1, v18
	s_delay_alu instid0(VALU_DEP_1) | instskip(NEXT) | instid1(VALU_DEP_1)
	v_or_b32_e32 v18, v19, v18
	v_cvt_f32_i32_e32 v18, v18
	s_delay_alu instid0(VALU_DEP_1) | instskip(NEXT) | instid1(VALU_DEP_1)
	v_ldexp_f32 v1, v18, v1
	v_cvt_f16_f32_e32 v1, v1
	global_store_b16 v[16:17], v1, off
.LBB70_2793:
	s_mov_b32 s1, 0
.LBB70_2794:
	s_delay_alu instid0(SALU_CYCLE_1)
	s_and_not1_b32 vcc_lo, exec_lo, s1
	s_cbranch_vccnz .LBB70_2810
; %bb.2795:
	s_cmp_lt_i32 s0, 2
	s_mov_b32 s1, -1
	s_cbranch_scc1 .LBB70_2805
; %bb.2796:
	s_cmp_lt_i32 s0, 3
	s_cbranch_scc1 .LBB70_2802
; %bb.2797:
	s_cmp_gt_i32 s0, 3
	s_cbranch_scc0 .LBB70_2799
; %bb.2798:
	s_mov_b32 s1, 0
	global_store_b64 v[16:17], v[2:3], off
.LBB70_2799:
	s_and_not1_b32 vcc_lo, exec_lo, s1
	s_cbranch_vccnz .LBB70_2801
; %bb.2800:
	global_store_b32 v[16:17], v2, off
.LBB70_2801:
	s_mov_b32 s1, 0
.LBB70_2802:
	s_delay_alu instid0(SALU_CYCLE_1)
	s_and_not1_b32 vcc_lo, exec_lo, s1
	s_cbranch_vccnz .LBB70_2804
; %bb.2803:
	global_store_b16 v[16:17], v2, off
.LBB70_2804:
	s_mov_b32 s1, 0
.LBB70_2805:
	s_delay_alu instid0(SALU_CYCLE_1)
	s_and_not1_b32 vcc_lo, exec_lo, s1
	s_cbranch_vccnz .LBB70_2810
; %bb.2806:
	s_cmp_gt_i32 s0, 0
	s_mov_b32 s0, -1
	s_cbranch_scc0 .LBB70_2808
; %bb.2807:
	s_mov_b32 s0, 0
	global_store_b8 v[16:17], v2, off
.LBB70_2808:
	s_and_not1_b32 vcc_lo, exec_lo, s0
	s_cbranch_vccnz .LBB70_2810
; %bb.2809:
	global_store_b8 v[16:17], v2, off
.LBB70_2810:
	s_mov_b32 s5, -1
.LBB70_2811:
	s_delay_alu instid0(SALU_CYCLE_1)
	s_and_not1_b32 vcc_lo, exec_lo, s5
	s_cbranch_vccnz .LBB70_3126
; %bb.2812:
	s_wait_xcnt 0x0
	v_mul_u64_e32 v[2:3], s[6:7], v[4:5]
	s_lshl_b32 s1, s12, 7
	s_cmp_lt_i32 s19, 11
	v_add_nc_u32_e32 v0, s1, v0
	s_delay_alu instid0(VALU_DEP_1) | instskip(NEXT) | instid1(VALU_DEP_1)
	v_ashrrev_i32_e32 v1, 31, v0
	v_add_nc_u64_e32 v[4:5], s[2:3], v[0:1]
	s_delay_alu instid0(VALU_DEP_4)
	v_mul_u64_e32 v[2:3], v[2:3], v[6:7]
	s_cbranch_scc1 .LBB70_2890
; %bb.2813:
	s_and_b32 s4, 0xffff, s19
	s_mov_b32 s9, -1
	s_mov_b32 s5, 0
	s_cmp_gt_i32 s4, 25
	s_mov_b32 s8, 0
	s_mov_b32 s0, 0
	s_cbranch_scc0 .LBB70_2846
; %bb.2814:
	s_cmp_gt_i32 s4, 28
	s_cbranch_scc0 .LBB70_2829
; %bb.2815:
	s_cmp_gt_i32 s4, 43
	;; [unrolled: 3-line block ×3, first 2 shown]
	s_cbranch_scc0 .LBB70_2819
; %bb.2817:
	s_mov_b32 s0, -1
	s_mov_b32 s9, 0
	s_cmp_eq_u32 s4, 46
	s_cbranch_scc0 .LBB70_2819
; %bb.2818:
	s_delay_alu instid0(VALU_DEP_1) | instskip(SKIP_3) | instid1(VALU_DEP_2)
	v_xor_b32_e32 v1, v2, v3
	v_cls_i32_e32 v6, v3
	s_mov_b32 s8, -1
	s_mov_b32 s0, 0
	v_ashrrev_i32_e32 v1, 31, v1
	s_delay_alu instid0(VALU_DEP_1) | instskip(NEXT) | instid1(VALU_DEP_1)
	v_add_nc_u32_e32 v1, 32, v1
	v_add_min_u32_e64 v1, v6, -1, v1
	s_delay_alu instid0(VALU_DEP_1) | instskip(SKIP_1) | instid1(VALU_DEP_2)
	v_lshlrev_b64_e32 v[6:7], v1, v[2:3]
	v_sub_nc_u32_e32 v1, 32, v1
	v_min_u32_e32 v6, 1, v6
	s_delay_alu instid0(VALU_DEP_1) | instskip(NEXT) | instid1(VALU_DEP_1)
	v_or_b32_e32 v6, v7, v6
	v_cvt_f32_i32_e32 v6, v6
	s_delay_alu instid0(VALU_DEP_1) | instskip(NEXT) | instid1(VALU_DEP_1)
	v_ldexp_f32 v1, v6, v1
	v_bfe_u32 v6, v1, 16, 1
	s_delay_alu instid0(VALU_DEP_1) | instskip(NEXT) | instid1(VALU_DEP_1)
	v_add3_u32 v1, v1, v6, 0x7fff
	v_lshrrev_b32_e32 v1, 16, v1
	global_store_b32 v[4:5], v1, off
.LBB70_2819:
	s_and_b32 vcc_lo, exec_lo, s9
	s_cbranch_vccz .LBB70_2824
; %bb.2820:
	s_cmp_eq_u32 s4, 44
	s_mov_b32 s0, -1
	s_cbranch_scc0 .LBB70_2824
; %bb.2821:
	s_wait_xcnt 0x0
	s_delay_alu instid0(VALU_DEP_1) | instskip(SKIP_3) | instid1(VALU_DEP_2)
	v_xor_b32_e32 v1, v2, v3
	v_cls_i32_e32 v6, v3
	s_mov_b32 s8, -1
	s_mov_b32 s9, exec_lo
	v_ashrrev_i32_e32 v1, 31, v1
	s_delay_alu instid0(VALU_DEP_1) | instskip(NEXT) | instid1(VALU_DEP_1)
	v_add_nc_u32_e32 v1, 32, v1
	v_add_min_u32_e64 v1, v6, -1, v1
	s_delay_alu instid0(VALU_DEP_1) | instskip(SKIP_1) | instid1(VALU_DEP_2)
	v_lshlrev_b64_e32 v[6:7], v1, v[2:3]
	v_sub_nc_u32_e32 v1, 32, v1
	v_min_u32_e32 v6, 1, v6
	s_delay_alu instid0(VALU_DEP_1) | instskip(NEXT) | instid1(VALU_DEP_1)
	v_or_b32_e32 v6, v7, v6
	v_cvt_f32_i32_e32 v6, v6
	s_delay_alu instid0(VALU_DEP_1) | instskip(SKIP_1) | instid1(VALU_DEP_2)
	v_ldexp_f32 v1, v6, v1
	v_mov_b32_e32 v6, 0xff
	v_bfe_u32 v7, v1, 23, 8
	s_delay_alu instid0(VALU_DEP_1)
	v_cmpx_ne_u32_e32 0xff, v7
	s_cbranch_execz .LBB70_2823
; %bb.2822:
	v_and_b32_e32 v6, 0x400000, v1
	v_and_or_b32 v7, 0x3fffff, v1, v7
	v_lshrrev_b32_e32 v1, 23, v1
	s_delay_alu instid0(VALU_DEP_3) | instskip(NEXT) | instid1(VALU_DEP_3)
	v_cmp_ne_u32_e32 vcc_lo, 0, v6
	v_cmp_ne_u32_e64 s0, 0, v7
	s_and_b32 s0, vcc_lo, s0
	s_delay_alu instid0(SALU_CYCLE_1) | instskip(NEXT) | instid1(VALU_DEP_1)
	v_cndmask_b32_e64 v6, 0, 1, s0
	v_add_nc_u32_e32 v6, v1, v6
.LBB70_2823:
	s_or_b32 exec_lo, exec_lo, s9
	s_mov_b32 s0, 0
	global_store_b8 v[4:5], v6, off
.LBB70_2824:
	s_mov_b32 s9, 0
.LBB70_2825:
	s_delay_alu instid0(SALU_CYCLE_1)
	s_and_b32 vcc_lo, exec_lo, s9
	s_cbranch_vccz .LBB70_2828
; %bb.2826:
	s_cmp_eq_u32 s4, 29
	s_mov_b32 s0, -1
	s_cbranch_scc0 .LBB70_2828
; %bb.2827:
	s_mov_b32 s0, 0
	s_mov_b32 s8, -1
	global_store_b64 v[4:5], v[2:3], off
.LBB70_2828:
	s_mov_b32 s9, 0
.LBB70_2829:
	s_delay_alu instid0(SALU_CYCLE_1)
	s_and_b32 vcc_lo, exec_lo, s9
	s_cbranch_vccz .LBB70_2845
; %bb.2830:
	s_cmp_lt_i32 s4, 27
	s_mov_b32 s8, -1
	s_cbranch_scc1 .LBB70_2836
; %bb.2831:
	s_cmp_gt_i32 s4, 27
	s_cbranch_scc0 .LBB70_2833
; %bb.2832:
	s_mov_b32 s8, 0
	global_store_b32 v[4:5], v2, off
.LBB70_2833:
	s_and_not1_b32 vcc_lo, exec_lo, s8
	s_cbranch_vccnz .LBB70_2835
; %bb.2834:
	global_store_b16 v[4:5], v2, off
.LBB70_2835:
	s_mov_b32 s8, 0
.LBB70_2836:
	s_delay_alu instid0(SALU_CYCLE_1)
	s_and_not1_b32 vcc_lo, exec_lo, s8
	s_cbranch_vccnz .LBB70_2844
; %bb.2837:
	s_wait_xcnt 0x0
	s_delay_alu instid0(VALU_DEP_1) | instskip(SKIP_2) | instid1(VALU_DEP_2)
	v_xor_b32_e32 v1, v2, v3
	v_cls_i32_e32 v6, v3
	s_mov_b32 s8, exec_lo
	v_ashrrev_i32_e32 v1, 31, v1
	s_delay_alu instid0(VALU_DEP_1) | instskip(NEXT) | instid1(VALU_DEP_1)
	v_add_nc_u32_e32 v1, 32, v1
	v_add_min_u32_e64 v1, v6, -1, v1
	s_delay_alu instid0(VALU_DEP_1) | instskip(SKIP_1) | instid1(VALU_DEP_2)
	v_lshlrev_b64_e32 v[6:7], v1, v[2:3]
	v_sub_nc_u32_e32 v1, 32, v1
	v_min_u32_e32 v6, 1, v6
	s_delay_alu instid0(VALU_DEP_1) | instskip(SKIP_1) | instid1(VALU_DEP_2)
	v_or_b32_e32 v6, v7, v6
	v_mov_b32_e32 v7, 0x80
	v_cvt_f32_i32_e32 v6, v6
	s_delay_alu instid0(VALU_DEP_1) | instskip(NEXT) | instid1(VALU_DEP_1)
	v_ldexp_f32 v1, v6, v1
	v_and_b32_e32 v6, 0x7fffffff, v1
	s_delay_alu instid0(VALU_DEP_1)
	v_cmpx_gt_u32_e32 0x43800000, v6
	s_cbranch_execz .LBB70_2843
; %bb.2838:
	v_cmp_lt_u32_e32 vcc_lo, 0x3bffffff, v6
	s_mov_b32 s9, 0
                                        ; implicit-def: $vgpr6
	s_and_saveexec_b32 s10, vcc_lo
	s_delay_alu instid0(SALU_CYCLE_1)
	s_xor_b32 s10, exec_lo, s10
	s_cbranch_execz .LBB70_3178
; %bb.2839:
	v_bfe_u32 v6, v1, 20, 1
	s_mov_b32 s9, exec_lo
	s_delay_alu instid0(VALU_DEP_1) | instskip(NEXT) | instid1(VALU_DEP_1)
	v_add3_u32 v6, v1, v6, 0x487ffff
	v_lshrrev_b32_e32 v6, 20, v6
	s_and_not1_saveexec_b32 s10, s10
	s_cbranch_execnz .LBB70_3179
.LBB70_2840:
	s_or_b32 exec_lo, exec_lo, s10
	v_mov_b32_e32 v7, 0
	s_and_saveexec_b32 s10, s9
.LBB70_2841:
	v_lshrrev_b32_e32 v1, 24, v1
	s_delay_alu instid0(VALU_DEP_1)
	v_and_or_b32 v7, 0x80, v1, v6
.LBB70_2842:
	s_or_b32 exec_lo, exec_lo, s10
.LBB70_2843:
	s_delay_alu instid0(SALU_CYCLE_1)
	s_or_b32 exec_lo, exec_lo, s8
	global_store_b8 v[4:5], v7, off
.LBB70_2844:
	s_mov_b32 s8, -1
.LBB70_2845:
	s_mov_b32 s9, 0
.LBB70_2846:
	s_delay_alu instid0(SALU_CYCLE_1)
	s_and_b32 vcc_lo, exec_lo, s9
	s_cbranch_vccz .LBB70_2886
; %bb.2847:
	s_cmp_gt_i32 s4, 22
	s_mov_b32 s5, -1
	s_cbranch_scc0 .LBB70_2879
; %bb.2848:
	s_cmp_lt_i32 s4, 24
	s_cbranch_scc1 .LBB70_2868
; %bb.2849:
	s_cmp_gt_i32 s4, 24
	s_cbranch_scc0 .LBB70_2857
; %bb.2850:
	s_wait_xcnt 0x0
	s_delay_alu instid0(VALU_DEP_1) | instskip(SKIP_2) | instid1(VALU_DEP_2)
	v_xor_b32_e32 v1, v2, v3
	v_cls_i32_e32 v6, v3
	s_mov_b32 s5, exec_lo
	v_ashrrev_i32_e32 v1, 31, v1
	s_delay_alu instid0(VALU_DEP_1) | instskip(NEXT) | instid1(VALU_DEP_1)
	v_add_nc_u32_e32 v1, 32, v1
	v_add_min_u32_e64 v1, v6, -1, v1
	s_delay_alu instid0(VALU_DEP_1) | instskip(SKIP_1) | instid1(VALU_DEP_2)
	v_lshlrev_b64_e32 v[6:7], v1, v[2:3]
	v_sub_nc_u32_e32 v1, 32, v1
	v_min_u32_e32 v6, 1, v6
	s_delay_alu instid0(VALU_DEP_1) | instskip(SKIP_1) | instid1(VALU_DEP_2)
	v_or_b32_e32 v6, v7, v6
	v_mov_b32_e32 v7, 0x80
	v_cvt_f32_i32_e32 v6, v6
	s_delay_alu instid0(VALU_DEP_1) | instskip(NEXT) | instid1(VALU_DEP_1)
	v_ldexp_f32 v1, v6, v1
	v_and_b32_e32 v6, 0x7fffffff, v1
	s_delay_alu instid0(VALU_DEP_1)
	v_cmpx_gt_u32_e32 0x47800000, v6
	s_cbranch_execz .LBB70_2856
; %bb.2851:
	v_cmp_lt_u32_e32 vcc_lo, 0x37ffffff, v6
	s_mov_b32 s8, 0
                                        ; implicit-def: $vgpr6
	s_and_saveexec_b32 s9, vcc_lo
	s_delay_alu instid0(SALU_CYCLE_1)
	s_xor_b32 s9, exec_lo, s9
	s_cbranch_execz .LBB70_3181
; %bb.2852:
	v_bfe_u32 v6, v1, 21, 1
	s_mov_b32 s8, exec_lo
	s_delay_alu instid0(VALU_DEP_1) | instskip(NEXT) | instid1(VALU_DEP_1)
	v_add3_u32 v6, v1, v6, 0x88fffff
	v_lshrrev_b32_e32 v6, 21, v6
	s_and_not1_saveexec_b32 s9, s9
	s_cbranch_execnz .LBB70_3182
.LBB70_2853:
	s_or_b32 exec_lo, exec_lo, s9
	v_mov_b32_e32 v7, 0
	s_and_saveexec_b32 s9, s8
.LBB70_2854:
	v_lshrrev_b32_e32 v1, 24, v1
	s_delay_alu instid0(VALU_DEP_1)
	v_and_or_b32 v7, 0x80, v1, v6
.LBB70_2855:
	s_or_b32 exec_lo, exec_lo, s9
.LBB70_2856:
	s_delay_alu instid0(SALU_CYCLE_1)
	s_or_b32 exec_lo, exec_lo, s5
	s_mov_b32 s5, 0
	global_store_b8 v[4:5], v7, off
.LBB70_2857:
	s_and_b32 vcc_lo, exec_lo, s5
	s_cbranch_vccz .LBB70_2867
; %bb.2858:
	s_wait_xcnt 0x0
	s_delay_alu instid0(VALU_DEP_1) | instskip(SKIP_2) | instid1(VALU_DEP_2)
	v_xor_b32_e32 v1, v2, v3
	v_cls_i32_e32 v6, v3
	s_mov_b32 s5, exec_lo
	v_ashrrev_i32_e32 v1, 31, v1
	s_delay_alu instid0(VALU_DEP_1) | instskip(NEXT) | instid1(VALU_DEP_1)
	v_add_nc_u32_e32 v1, 32, v1
	v_add_min_u32_e64 v1, v6, -1, v1
	s_delay_alu instid0(VALU_DEP_1) | instskip(SKIP_1) | instid1(VALU_DEP_2)
	v_lshlrev_b64_e32 v[6:7], v1, v[2:3]
	v_sub_nc_u32_e32 v1, 32, v1
	v_min_u32_e32 v6, 1, v6
	s_delay_alu instid0(VALU_DEP_1) | instskip(NEXT) | instid1(VALU_DEP_1)
	v_or_b32_e32 v6, v7, v6
	v_cvt_f32_i32_e32 v6, v6
	s_delay_alu instid0(VALU_DEP_1) | instskip(NEXT) | instid1(VALU_DEP_1)
	v_ldexp_f32 v1, v6, v1
                                        ; implicit-def: $vgpr6
	v_and_b32_e32 v7, 0x7fffffff, v1
	s_delay_alu instid0(VALU_DEP_1)
	v_cmpx_gt_u32_e32 0x43f00000, v7
	s_xor_b32 s5, exec_lo, s5
	s_cbranch_execz .LBB70_2864
; %bb.2859:
	s_mov_b32 s8, exec_lo
                                        ; implicit-def: $vgpr6
	v_cmpx_lt_u32_e32 0x3c7fffff, v7
	s_xor_b32 s8, exec_lo, s8
; %bb.2860:
	v_bfe_u32 v6, v1, 20, 1
	s_delay_alu instid0(VALU_DEP_1) | instskip(NEXT) | instid1(VALU_DEP_1)
	v_add3_u32 v6, v1, v6, 0x407ffff
	v_and_b32_e32 v7, 0xff00000, v6
	v_lshrrev_b32_e32 v6, 20, v6
	s_delay_alu instid0(VALU_DEP_2) | instskip(NEXT) | instid1(VALU_DEP_2)
	v_cmp_ne_u32_e32 vcc_lo, 0x7f00000, v7
	v_cndmask_b32_e32 v6, 0x7e, v6, vcc_lo
; %bb.2861:
	s_and_not1_saveexec_b32 s8, s8
; %bb.2862:
	v_add_f32_e64 v6, 0x46800000, |v1|
; %bb.2863:
	s_or_b32 exec_lo, exec_lo, s8
                                        ; implicit-def: $vgpr7
.LBB70_2864:
	s_and_not1_saveexec_b32 s5, s5
; %bb.2865:
	v_mov_b32_e32 v6, 0x7f
	v_cmp_lt_u32_e32 vcc_lo, 0x7f800000, v7
	s_delay_alu instid0(VALU_DEP_2)
	v_cndmask_b32_e32 v6, 0x7e, v6, vcc_lo
; %bb.2866:
	s_or_b32 exec_lo, exec_lo, s5
	v_lshrrev_b32_e32 v1, 24, v1
	s_delay_alu instid0(VALU_DEP_1)
	v_and_or_b32 v1, 0x80, v1, v6
	global_store_b8 v[4:5], v1, off
.LBB70_2867:
	s_mov_b32 s5, 0
.LBB70_2868:
	s_delay_alu instid0(SALU_CYCLE_1)
	s_and_not1_b32 vcc_lo, exec_lo, s5
	s_cbranch_vccnz .LBB70_2878
; %bb.2869:
	s_wait_xcnt 0x0
	s_delay_alu instid0(VALU_DEP_1) | instskip(SKIP_2) | instid1(VALU_DEP_2)
	v_xor_b32_e32 v1, v2, v3
	v_cls_i32_e32 v6, v3
	s_mov_b32 s5, exec_lo
	v_ashrrev_i32_e32 v1, 31, v1
	s_delay_alu instid0(VALU_DEP_1) | instskip(NEXT) | instid1(VALU_DEP_1)
	v_add_nc_u32_e32 v1, 32, v1
	v_add_min_u32_e64 v1, v6, -1, v1
	s_delay_alu instid0(VALU_DEP_1) | instskip(SKIP_1) | instid1(VALU_DEP_2)
	v_lshlrev_b64_e32 v[6:7], v1, v[2:3]
	v_sub_nc_u32_e32 v1, 32, v1
	v_min_u32_e32 v6, 1, v6
	s_delay_alu instid0(VALU_DEP_1) | instskip(NEXT) | instid1(VALU_DEP_1)
	v_or_b32_e32 v6, v7, v6
	v_cvt_f32_i32_e32 v6, v6
	s_delay_alu instid0(VALU_DEP_1) | instskip(NEXT) | instid1(VALU_DEP_1)
	v_ldexp_f32 v1, v6, v1
                                        ; implicit-def: $vgpr6
	v_and_b32_e32 v7, 0x7fffffff, v1
	s_delay_alu instid0(VALU_DEP_1)
	v_cmpx_gt_u32_e32 0x47800000, v7
	s_xor_b32 s5, exec_lo, s5
	s_cbranch_execz .LBB70_2875
; %bb.2870:
	s_mov_b32 s8, exec_lo
                                        ; implicit-def: $vgpr6
	v_cmpx_lt_u32_e32 0x387fffff, v7
	s_xor_b32 s8, exec_lo, s8
; %bb.2871:
	v_bfe_u32 v6, v1, 21, 1
	s_delay_alu instid0(VALU_DEP_1) | instskip(NEXT) | instid1(VALU_DEP_1)
	v_add3_u32 v6, v1, v6, 0x80fffff
	v_lshrrev_b32_e32 v6, 21, v6
; %bb.2872:
	s_and_not1_saveexec_b32 s8, s8
; %bb.2873:
	v_add_f32_e64 v6, 0x43000000, |v1|
; %bb.2874:
	s_or_b32 exec_lo, exec_lo, s8
                                        ; implicit-def: $vgpr7
.LBB70_2875:
	s_and_not1_saveexec_b32 s5, s5
; %bb.2876:
	v_mov_b32_e32 v6, 0x7f
	v_cmp_lt_u32_e32 vcc_lo, 0x7f800000, v7
	s_delay_alu instid0(VALU_DEP_2)
	v_cndmask_b32_e32 v6, 0x7c, v6, vcc_lo
; %bb.2877:
	s_or_b32 exec_lo, exec_lo, s5
	v_lshrrev_b32_e32 v1, 24, v1
	s_delay_alu instid0(VALU_DEP_1)
	v_and_or_b32 v1, 0x80, v1, v6
	global_store_b8 v[4:5], v1, off
.LBB70_2878:
	s_mov_b32 s5, 0
	s_mov_b32 s8, -1
.LBB70_2879:
	s_and_not1_b32 vcc_lo, exec_lo, s5
	s_mov_b32 s5, 0
	s_cbranch_vccnz .LBB70_2886
; %bb.2880:
	s_cmp_gt_i32 s4, 14
	s_mov_b32 s5, -1
	s_cbranch_scc0 .LBB70_2884
; %bb.2881:
	s_cmp_eq_u32 s4, 15
	s_mov_b32 s0, -1
	s_cbranch_scc0 .LBB70_2883
; %bb.2882:
	s_wait_xcnt 0x0
	s_delay_alu instid0(VALU_DEP_1) | instskip(SKIP_3) | instid1(VALU_DEP_2)
	v_xor_b32_e32 v1, v2, v3
	v_cls_i32_e32 v6, v3
	s_mov_b32 s8, -1
	s_mov_b32 s0, 0
	v_ashrrev_i32_e32 v1, 31, v1
	s_delay_alu instid0(VALU_DEP_1) | instskip(NEXT) | instid1(VALU_DEP_1)
	v_add_nc_u32_e32 v1, 32, v1
	v_add_min_u32_e64 v1, v6, -1, v1
	s_delay_alu instid0(VALU_DEP_1) | instskip(SKIP_1) | instid1(VALU_DEP_2)
	v_lshlrev_b64_e32 v[6:7], v1, v[2:3]
	v_sub_nc_u32_e32 v1, 32, v1
	v_min_u32_e32 v6, 1, v6
	s_delay_alu instid0(VALU_DEP_1) | instskip(NEXT) | instid1(VALU_DEP_1)
	v_or_b32_e32 v6, v7, v6
	v_cvt_f32_i32_e32 v6, v6
	s_delay_alu instid0(VALU_DEP_1) | instskip(NEXT) | instid1(VALU_DEP_1)
	v_ldexp_f32 v1, v6, v1
	v_bfe_u32 v6, v1, 16, 1
	s_delay_alu instid0(VALU_DEP_1)
	v_add3_u32 v1, v1, v6, 0x7fff
	global_store_d16_hi_b16 v[4:5], v1, off
.LBB70_2883:
	s_mov_b32 s5, 0
.LBB70_2884:
	s_delay_alu instid0(SALU_CYCLE_1)
	s_and_b32 vcc_lo, exec_lo, s5
	s_mov_b32 s5, 0
	s_cbranch_vccz .LBB70_2886
; %bb.2885:
	s_cmp_lg_u32 s4, 11
	s_mov_b32 s5, -1
	s_cselect_b32 s0, -1, 0
.LBB70_2886:
	s_delay_alu instid0(SALU_CYCLE_1)
	s_and_b32 vcc_lo, exec_lo, s0
	s_cbranch_vccnz .LBB70_3180
; %bb.2887:
	s_and_not1_b32 vcc_lo, exec_lo, s5
	s_cbranch_vccnz .LBB70_2889
.LBB70_2888:
	s_delay_alu instid0(VALU_DEP_1)
	v_cmp_ne_u64_e32 vcc_lo, 0, v[2:3]
	s_mov_b32 s8, -1
	s_wait_xcnt 0x0
	v_cndmask_b32_e64 v1, 0, 1, vcc_lo
	global_store_b8 v[4:5], v1, off
.LBB70_2889:
	s_mov_b32 s0, 0
	s_branch .LBB70_2891
.LBB70_2890:
	s_mov_b32 s0, -1
	s_mov_b32 s8, 0
.LBB70_2891:
	s_and_b32 vcc_lo, exec_lo, s0
	s_cbranch_vccz .LBB70_2930
; %bb.2892:
	s_and_b32 s0, 0xffff, s19
	s_mov_b32 s4, -1
	s_cmp_lt_i32 s0, 5
	s_cbranch_scc1 .LBB70_2913
; %bb.2893:
	s_cmp_lt_i32 s0, 8
	s_cbranch_scc1 .LBB70_2903
; %bb.2894:
	;; [unrolled: 3-line block ×3, first 2 shown]
	s_cmp_gt_i32 s0, 9
	s_cbranch_scc0 .LBB70_2897
; %bb.2896:
	s_wait_xcnt 0x0
	s_delay_alu instid0(VALU_DEP_1) | instskip(NEXT) | instid1(VALU_DEP_2)
	v_cvt_f64_i32_e32 v[6:7], v3
	v_cvt_f64_u32_e32 v[16:17], v2
	s_mov_b32 s4, 0
	v_mov_b32_e32 v18, 0
	s_delay_alu instid0(VALU_DEP_1) | instskip(NEXT) | instid1(VALU_DEP_4)
	v_mov_b32_e32 v19, v18
	v_ldexp_f64 v[6:7], v[6:7], 32
	s_delay_alu instid0(VALU_DEP_1)
	v_add_f64_e32 v[16:17], v[6:7], v[16:17]
	global_store_b128 v[4:5], v[16:19], off
.LBB70_2897:
	s_and_not1_b32 vcc_lo, exec_lo, s4
	s_cbranch_vccnz .LBB70_2899
; %bb.2898:
	s_wait_xcnt 0x0
	s_delay_alu instid0(VALU_DEP_1) | instskip(SKIP_1) | instid1(VALU_DEP_2)
	v_xor_b32_e32 v1, v2, v3
	v_cls_i32_e32 v6, v3
	v_ashrrev_i32_e32 v1, 31, v1
	s_delay_alu instid0(VALU_DEP_1) | instskip(NEXT) | instid1(VALU_DEP_1)
	v_add_nc_u32_e32 v1, 32, v1
	v_add_min_u32_e64 v1, v6, -1, v1
	s_delay_alu instid0(VALU_DEP_1) | instskip(SKIP_1) | instid1(VALU_DEP_2)
	v_lshlrev_b64_e32 v[6:7], v1, v[2:3]
	v_sub_nc_u32_e32 v1, 32, v1
	v_min_u32_e32 v6, 1, v6
	s_delay_alu instid0(VALU_DEP_1) | instskip(NEXT) | instid1(VALU_DEP_1)
	v_dual_mov_b32 v7, 0 :: v_dual_bitop2_b32 v6, v7, v6 bitop3:0x54
	v_cvt_f32_i32_e32 v6, v6
	s_delay_alu instid0(VALU_DEP_1)
	v_ldexp_f32 v6, v6, v1
	global_store_b64 v[4:5], v[6:7], off
.LBB70_2899:
	s_mov_b32 s4, 0
.LBB70_2900:
	s_delay_alu instid0(SALU_CYCLE_1)
	s_and_not1_b32 vcc_lo, exec_lo, s4
	s_cbranch_vccnz .LBB70_2902
; %bb.2901:
	s_wait_xcnt 0x0
	s_delay_alu instid0(VALU_DEP_1) | instskip(SKIP_1) | instid1(VALU_DEP_2)
	v_xor_b32_e32 v1, v2, v3
	v_cls_i32_e32 v6, v3
	v_ashrrev_i32_e32 v1, 31, v1
	s_delay_alu instid0(VALU_DEP_1) | instskip(NEXT) | instid1(VALU_DEP_1)
	v_add_nc_u32_e32 v1, 32, v1
	v_add_min_u32_e64 v1, v6, -1, v1
	s_delay_alu instid0(VALU_DEP_1) | instskip(SKIP_1) | instid1(VALU_DEP_2)
	v_lshlrev_b64_e32 v[6:7], v1, v[2:3]
	v_sub_nc_u32_e32 v1, 32, v1
	v_min_u32_e32 v6, 1, v6
	s_delay_alu instid0(VALU_DEP_1) | instskip(NEXT) | instid1(VALU_DEP_1)
	v_or_b32_e32 v6, v7, v6
	v_cvt_f32_i32_e32 v6, v6
	s_delay_alu instid0(VALU_DEP_1) | instskip(NEXT) | instid1(VALU_DEP_1)
	v_ldexp_f32 v1, v6, v1
	v_cvt_f16_f32_e32 v1, v1
	s_delay_alu instid0(VALU_DEP_1)
	v_and_b32_e32 v1, 0xffff, v1
	global_store_b32 v[4:5], v1, off
.LBB70_2902:
	s_mov_b32 s4, 0
.LBB70_2903:
	s_delay_alu instid0(SALU_CYCLE_1)
	s_and_not1_b32 vcc_lo, exec_lo, s4
	s_cbranch_vccnz .LBB70_2912
; %bb.2904:
	s_cmp_lt_i32 s0, 6
	s_mov_b32 s4, -1
	s_cbranch_scc1 .LBB70_2910
; %bb.2905:
	s_cmp_gt_i32 s0, 6
	s_cbranch_scc0 .LBB70_2907
; %bb.2906:
	s_wait_xcnt 0x0
	s_delay_alu instid0(VALU_DEP_1) | instskip(NEXT) | instid1(VALU_DEP_2)
	v_cvt_f64_i32_e32 v[6:7], v3
	v_cvt_f64_u32_e32 v[16:17], v2
	s_mov_b32 s4, 0
	s_delay_alu instid0(VALU_DEP_2) | instskip(NEXT) | instid1(VALU_DEP_1)
	v_ldexp_f64 v[6:7], v[6:7], 32
	v_add_f64_e32 v[6:7], v[6:7], v[16:17]
	global_store_b64 v[4:5], v[6:7], off
.LBB70_2907:
	s_and_not1_b32 vcc_lo, exec_lo, s4
	s_cbranch_vccnz .LBB70_2909
; %bb.2908:
	s_wait_xcnt 0x0
	s_delay_alu instid0(VALU_DEP_1) | instskip(SKIP_1) | instid1(VALU_DEP_2)
	v_xor_b32_e32 v1, v2, v3
	v_cls_i32_e32 v6, v3
	v_ashrrev_i32_e32 v1, 31, v1
	s_delay_alu instid0(VALU_DEP_1) | instskip(NEXT) | instid1(VALU_DEP_1)
	v_add_nc_u32_e32 v1, 32, v1
	v_add_min_u32_e64 v1, v6, -1, v1
	s_delay_alu instid0(VALU_DEP_1) | instskip(SKIP_1) | instid1(VALU_DEP_2)
	v_lshlrev_b64_e32 v[6:7], v1, v[2:3]
	v_sub_nc_u32_e32 v1, 32, v1
	v_min_u32_e32 v6, 1, v6
	s_delay_alu instid0(VALU_DEP_1) | instskip(NEXT) | instid1(VALU_DEP_1)
	v_or_b32_e32 v6, v7, v6
	v_cvt_f32_i32_e32 v6, v6
	s_delay_alu instid0(VALU_DEP_1)
	v_ldexp_f32 v1, v6, v1
	global_store_b32 v[4:5], v1, off
.LBB70_2909:
	s_mov_b32 s4, 0
.LBB70_2910:
	s_delay_alu instid0(SALU_CYCLE_1)
	s_and_not1_b32 vcc_lo, exec_lo, s4
	s_cbranch_vccnz .LBB70_2912
; %bb.2911:
	s_wait_xcnt 0x0
	s_delay_alu instid0(VALU_DEP_1) | instskip(SKIP_1) | instid1(VALU_DEP_2)
	v_xor_b32_e32 v1, v2, v3
	v_cls_i32_e32 v6, v3
	v_ashrrev_i32_e32 v1, 31, v1
	s_delay_alu instid0(VALU_DEP_1) | instskip(NEXT) | instid1(VALU_DEP_1)
	v_add_nc_u32_e32 v1, 32, v1
	v_add_min_u32_e64 v1, v6, -1, v1
	s_delay_alu instid0(VALU_DEP_1) | instskip(SKIP_1) | instid1(VALU_DEP_2)
	v_lshlrev_b64_e32 v[6:7], v1, v[2:3]
	v_sub_nc_u32_e32 v1, 32, v1
	v_min_u32_e32 v6, 1, v6
	s_delay_alu instid0(VALU_DEP_1) | instskip(NEXT) | instid1(VALU_DEP_1)
	v_or_b32_e32 v6, v7, v6
	v_cvt_f32_i32_e32 v6, v6
	s_delay_alu instid0(VALU_DEP_1) | instskip(NEXT) | instid1(VALU_DEP_1)
	v_ldexp_f32 v1, v6, v1
	v_cvt_f16_f32_e32 v1, v1
	global_store_b16 v[4:5], v1, off
.LBB70_2912:
	s_mov_b32 s4, 0
.LBB70_2913:
	s_delay_alu instid0(SALU_CYCLE_1)
	s_and_not1_b32 vcc_lo, exec_lo, s4
	s_cbranch_vccnz .LBB70_2929
; %bb.2914:
	s_cmp_lt_i32 s0, 2
	s_mov_b32 s4, -1
	s_cbranch_scc1 .LBB70_2924
; %bb.2915:
	s_cmp_lt_i32 s0, 3
	s_cbranch_scc1 .LBB70_2921
; %bb.2916:
	s_cmp_gt_i32 s0, 3
	s_cbranch_scc0 .LBB70_2918
; %bb.2917:
	s_mov_b32 s4, 0
	global_store_b64 v[4:5], v[2:3], off
.LBB70_2918:
	s_and_not1_b32 vcc_lo, exec_lo, s4
	s_cbranch_vccnz .LBB70_2920
; %bb.2919:
	global_store_b32 v[4:5], v2, off
.LBB70_2920:
	s_mov_b32 s4, 0
.LBB70_2921:
	s_delay_alu instid0(SALU_CYCLE_1)
	s_and_not1_b32 vcc_lo, exec_lo, s4
	s_cbranch_vccnz .LBB70_2923
; %bb.2922:
	global_store_b16 v[4:5], v2, off
.LBB70_2923:
	s_mov_b32 s4, 0
.LBB70_2924:
	s_delay_alu instid0(SALU_CYCLE_1)
	s_and_not1_b32 vcc_lo, exec_lo, s4
	s_cbranch_vccnz .LBB70_2929
; %bb.2925:
	s_cmp_gt_i32 s0, 0
	s_mov_b32 s0, -1
	s_cbranch_scc0 .LBB70_2927
; %bb.2926:
	s_mov_b32 s0, 0
	global_store_b8 v[4:5], v2, off
.LBB70_2927:
	s_and_not1_b32 vcc_lo, exec_lo, s0
	s_cbranch_vccnz .LBB70_2929
; %bb.2928:
	global_store_b8 v[4:5], v2, off
.LBB70_2929:
	s_mov_b32 s8, -1
.LBB70_2930:
	s_delay_alu instid0(SALU_CYCLE_1)
	s_and_not1_b32 vcc_lo, exec_lo, s8
	s_cbranch_vccnz .LBB70_3126
; %bb.2931:
	s_wait_xcnt 0x0
	v_mul_u64_e32 v[2:3], s[6:7], v[8:9]
	v_add_nc_u32_e32 v0, s1, v0
	s_cmp_lt_i32 s19, 11
	s_delay_alu instid0(VALU_DEP_1) | instskip(NEXT) | instid1(VALU_DEP_1)
	v_ashrrev_i32_e32 v1, 31, v0
	v_add_nc_u64_e32 v[4:5], s[2:3], v[0:1]
	s_delay_alu instid0(VALU_DEP_4)
	v_mul_u64_e32 v[2:3], v[2:3], v[10:11]
	s_cbranch_scc1 .LBB70_3009
; %bb.2932:
	s_and_b32 s4, 0xffff, s19
	s_mov_b32 s9, -1
	s_mov_b32 s5, 0
	s_cmp_gt_i32 s4, 25
	s_mov_b32 s8, 0
	s_mov_b32 s0, 0
	s_cbranch_scc0 .LBB70_2965
; %bb.2933:
	s_cmp_gt_i32 s4, 28
	s_cbranch_scc0 .LBB70_2948
; %bb.2934:
	s_cmp_gt_i32 s4, 43
	;; [unrolled: 3-line block ×3, first 2 shown]
	s_cbranch_scc0 .LBB70_2938
; %bb.2936:
	s_mov_b32 s0, -1
	s_mov_b32 s9, 0
	s_cmp_eq_u32 s4, 46
	s_cbranch_scc0 .LBB70_2938
; %bb.2937:
	s_delay_alu instid0(VALU_DEP_1) | instskip(SKIP_3) | instid1(VALU_DEP_2)
	v_xor_b32_e32 v1, v2, v3
	v_cls_i32_e32 v6, v3
	s_mov_b32 s8, -1
	s_mov_b32 s0, 0
	v_ashrrev_i32_e32 v1, 31, v1
	s_delay_alu instid0(VALU_DEP_1) | instskip(NEXT) | instid1(VALU_DEP_1)
	v_add_nc_u32_e32 v1, 32, v1
	v_add_min_u32_e64 v1, v6, -1, v1
	s_delay_alu instid0(VALU_DEP_1) | instskip(SKIP_1) | instid1(VALU_DEP_2)
	v_lshlrev_b64_e32 v[6:7], v1, v[2:3]
	v_sub_nc_u32_e32 v1, 32, v1
	v_min_u32_e32 v6, 1, v6
	s_delay_alu instid0(VALU_DEP_1) | instskip(NEXT) | instid1(VALU_DEP_1)
	v_or_b32_e32 v6, v7, v6
	v_cvt_f32_i32_e32 v6, v6
	s_delay_alu instid0(VALU_DEP_1) | instskip(NEXT) | instid1(VALU_DEP_1)
	v_ldexp_f32 v1, v6, v1
	v_bfe_u32 v6, v1, 16, 1
	s_delay_alu instid0(VALU_DEP_1) | instskip(NEXT) | instid1(VALU_DEP_1)
	v_add3_u32 v1, v1, v6, 0x7fff
	v_lshrrev_b32_e32 v1, 16, v1
	global_store_b32 v[4:5], v1, off
.LBB70_2938:
	s_and_b32 vcc_lo, exec_lo, s9
	s_cbranch_vccz .LBB70_2943
; %bb.2939:
	s_cmp_eq_u32 s4, 44
	s_mov_b32 s0, -1
	s_cbranch_scc0 .LBB70_2943
; %bb.2940:
	s_wait_xcnt 0x0
	s_delay_alu instid0(VALU_DEP_1) | instskip(SKIP_3) | instid1(VALU_DEP_2)
	v_xor_b32_e32 v1, v2, v3
	v_cls_i32_e32 v6, v3
	s_mov_b32 s8, -1
	s_mov_b32 s9, exec_lo
	v_ashrrev_i32_e32 v1, 31, v1
	s_delay_alu instid0(VALU_DEP_1) | instskip(NEXT) | instid1(VALU_DEP_1)
	v_add_nc_u32_e32 v1, 32, v1
	v_add_min_u32_e64 v1, v6, -1, v1
	s_delay_alu instid0(VALU_DEP_1) | instskip(SKIP_1) | instid1(VALU_DEP_2)
	v_lshlrev_b64_e32 v[6:7], v1, v[2:3]
	v_sub_nc_u32_e32 v1, 32, v1
	v_min_u32_e32 v6, 1, v6
	s_delay_alu instid0(VALU_DEP_1) | instskip(NEXT) | instid1(VALU_DEP_1)
	v_or_b32_e32 v6, v7, v6
	v_cvt_f32_i32_e32 v6, v6
	s_delay_alu instid0(VALU_DEP_1) | instskip(SKIP_1) | instid1(VALU_DEP_2)
	v_ldexp_f32 v1, v6, v1
	v_mov_b32_e32 v6, 0xff
	v_bfe_u32 v7, v1, 23, 8
	s_delay_alu instid0(VALU_DEP_1)
	v_cmpx_ne_u32_e32 0xff, v7
	s_cbranch_execz .LBB70_2942
; %bb.2941:
	v_and_b32_e32 v6, 0x400000, v1
	v_and_or_b32 v7, 0x3fffff, v1, v7
	v_lshrrev_b32_e32 v1, 23, v1
	s_delay_alu instid0(VALU_DEP_3) | instskip(NEXT) | instid1(VALU_DEP_3)
	v_cmp_ne_u32_e32 vcc_lo, 0, v6
	v_cmp_ne_u32_e64 s0, 0, v7
	s_and_b32 s0, vcc_lo, s0
	s_delay_alu instid0(SALU_CYCLE_1) | instskip(NEXT) | instid1(VALU_DEP_1)
	v_cndmask_b32_e64 v6, 0, 1, s0
	v_add_nc_u32_e32 v6, v1, v6
.LBB70_2942:
	s_or_b32 exec_lo, exec_lo, s9
	s_mov_b32 s0, 0
	global_store_b8 v[4:5], v6, off
.LBB70_2943:
	s_mov_b32 s9, 0
.LBB70_2944:
	s_delay_alu instid0(SALU_CYCLE_1)
	s_and_b32 vcc_lo, exec_lo, s9
	s_cbranch_vccz .LBB70_2947
; %bb.2945:
	s_cmp_eq_u32 s4, 29
	s_mov_b32 s0, -1
	s_cbranch_scc0 .LBB70_2947
; %bb.2946:
	s_mov_b32 s0, 0
	s_mov_b32 s8, -1
	global_store_b64 v[4:5], v[2:3], off
.LBB70_2947:
	s_mov_b32 s9, 0
.LBB70_2948:
	s_delay_alu instid0(SALU_CYCLE_1)
	s_and_b32 vcc_lo, exec_lo, s9
	s_cbranch_vccz .LBB70_2964
; %bb.2949:
	s_cmp_lt_i32 s4, 27
	s_mov_b32 s8, -1
	s_cbranch_scc1 .LBB70_2955
; %bb.2950:
	s_cmp_gt_i32 s4, 27
	s_cbranch_scc0 .LBB70_2952
; %bb.2951:
	s_mov_b32 s8, 0
	global_store_b32 v[4:5], v2, off
.LBB70_2952:
	s_and_not1_b32 vcc_lo, exec_lo, s8
	s_cbranch_vccnz .LBB70_2954
; %bb.2953:
	global_store_b16 v[4:5], v2, off
.LBB70_2954:
	s_mov_b32 s8, 0
.LBB70_2955:
	s_delay_alu instid0(SALU_CYCLE_1)
	s_and_not1_b32 vcc_lo, exec_lo, s8
	s_cbranch_vccnz .LBB70_2963
; %bb.2956:
	s_wait_xcnt 0x0
	s_delay_alu instid0(VALU_DEP_1) | instskip(SKIP_2) | instid1(VALU_DEP_2)
	v_xor_b32_e32 v1, v2, v3
	v_cls_i32_e32 v6, v3
	s_mov_b32 s8, exec_lo
	v_ashrrev_i32_e32 v1, 31, v1
	s_delay_alu instid0(VALU_DEP_1) | instskip(NEXT) | instid1(VALU_DEP_1)
	v_add_nc_u32_e32 v1, 32, v1
	v_add_min_u32_e64 v1, v6, -1, v1
	s_delay_alu instid0(VALU_DEP_1) | instskip(SKIP_1) | instid1(VALU_DEP_2)
	v_lshlrev_b64_e32 v[6:7], v1, v[2:3]
	v_sub_nc_u32_e32 v1, 32, v1
	v_min_u32_e32 v6, 1, v6
	s_delay_alu instid0(VALU_DEP_1) | instskip(SKIP_1) | instid1(VALU_DEP_2)
	v_or_b32_e32 v6, v7, v6
	v_mov_b32_e32 v7, 0x80
	v_cvt_f32_i32_e32 v6, v6
	s_delay_alu instid0(VALU_DEP_1) | instskip(NEXT) | instid1(VALU_DEP_1)
	v_ldexp_f32 v1, v6, v1
	v_and_b32_e32 v6, 0x7fffffff, v1
	s_delay_alu instid0(VALU_DEP_1)
	v_cmpx_gt_u32_e32 0x43800000, v6
	s_cbranch_execz .LBB70_2962
; %bb.2957:
	v_cmp_lt_u32_e32 vcc_lo, 0x3bffffff, v6
	s_mov_b32 s9, 0
                                        ; implicit-def: $vgpr6
	s_and_saveexec_b32 s10, vcc_lo
	s_delay_alu instid0(SALU_CYCLE_1)
	s_xor_b32 s10, exec_lo, s10
	s_cbranch_execz .LBB70_3183
; %bb.2958:
	v_bfe_u32 v6, v1, 20, 1
	s_mov_b32 s9, exec_lo
	s_delay_alu instid0(VALU_DEP_1) | instskip(NEXT) | instid1(VALU_DEP_1)
	v_add3_u32 v6, v1, v6, 0x487ffff
	v_lshrrev_b32_e32 v6, 20, v6
	s_and_not1_saveexec_b32 s10, s10
	s_cbranch_execnz .LBB70_3184
.LBB70_2959:
	s_or_b32 exec_lo, exec_lo, s10
	v_mov_b32_e32 v7, 0
	s_and_saveexec_b32 s10, s9
.LBB70_2960:
	v_lshrrev_b32_e32 v1, 24, v1
	s_delay_alu instid0(VALU_DEP_1)
	v_and_or_b32 v7, 0x80, v1, v6
.LBB70_2961:
	s_or_b32 exec_lo, exec_lo, s10
.LBB70_2962:
	s_delay_alu instid0(SALU_CYCLE_1)
	s_or_b32 exec_lo, exec_lo, s8
	global_store_b8 v[4:5], v7, off
.LBB70_2963:
	s_mov_b32 s8, -1
.LBB70_2964:
	s_mov_b32 s9, 0
.LBB70_2965:
	s_delay_alu instid0(SALU_CYCLE_1)
	s_and_b32 vcc_lo, exec_lo, s9
	s_cbranch_vccz .LBB70_3005
; %bb.2966:
	s_cmp_gt_i32 s4, 22
	s_mov_b32 s5, -1
	s_cbranch_scc0 .LBB70_2998
; %bb.2967:
	s_cmp_lt_i32 s4, 24
	s_cbranch_scc1 .LBB70_2987
; %bb.2968:
	s_cmp_gt_i32 s4, 24
	s_cbranch_scc0 .LBB70_2976
; %bb.2969:
	s_wait_xcnt 0x0
	s_delay_alu instid0(VALU_DEP_1) | instskip(SKIP_2) | instid1(VALU_DEP_2)
	v_xor_b32_e32 v1, v2, v3
	v_cls_i32_e32 v6, v3
	s_mov_b32 s5, exec_lo
	v_ashrrev_i32_e32 v1, 31, v1
	s_delay_alu instid0(VALU_DEP_1) | instskip(NEXT) | instid1(VALU_DEP_1)
	v_add_nc_u32_e32 v1, 32, v1
	v_add_min_u32_e64 v1, v6, -1, v1
	s_delay_alu instid0(VALU_DEP_1) | instskip(SKIP_1) | instid1(VALU_DEP_2)
	v_lshlrev_b64_e32 v[6:7], v1, v[2:3]
	v_sub_nc_u32_e32 v1, 32, v1
	v_min_u32_e32 v6, 1, v6
	s_delay_alu instid0(VALU_DEP_1) | instskip(SKIP_1) | instid1(VALU_DEP_2)
	v_or_b32_e32 v6, v7, v6
	v_mov_b32_e32 v7, 0x80
	v_cvt_f32_i32_e32 v6, v6
	s_delay_alu instid0(VALU_DEP_1) | instskip(NEXT) | instid1(VALU_DEP_1)
	v_ldexp_f32 v1, v6, v1
	v_and_b32_e32 v6, 0x7fffffff, v1
	s_delay_alu instid0(VALU_DEP_1)
	v_cmpx_gt_u32_e32 0x47800000, v6
	s_cbranch_execz .LBB70_2975
; %bb.2970:
	v_cmp_lt_u32_e32 vcc_lo, 0x37ffffff, v6
	s_mov_b32 s8, 0
                                        ; implicit-def: $vgpr6
	s_and_saveexec_b32 s9, vcc_lo
	s_delay_alu instid0(SALU_CYCLE_1)
	s_xor_b32 s9, exec_lo, s9
	s_cbranch_execz .LBB70_3186
; %bb.2971:
	v_bfe_u32 v6, v1, 21, 1
	s_mov_b32 s8, exec_lo
	s_delay_alu instid0(VALU_DEP_1) | instskip(NEXT) | instid1(VALU_DEP_1)
	v_add3_u32 v6, v1, v6, 0x88fffff
	v_lshrrev_b32_e32 v6, 21, v6
	s_and_not1_saveexec_b32 s9, s9
	s_cbranch_execnz .LBB70_3187
.LBB70_2972:
	s_or_b32 exec_lo, exec_lo, s9
	v_mov_b32_e32 v7, 0
	s_and_saveexec_b32 s9, s8
.LBB70_2973:
	v_lshrrev_b32_e32 v1, 24, v1
	s_delay_alu instid0(VALU_DEP_1)
	v_and_or_b32 v7, 0x80, v1, v6
.LBB70_2974:
	s_or_b32 exec_lo, exec_lo, s9
.LBB70_2975:
	s_delay_alu instid0(SALU_CYCLE_1)
	s_or_b32 exec_lo, exec_lo, s5
	s_mov_b32 s5, 0
	global_store_b8 v[4:5], v7, off
.LBB70_2976:
	s_and_b32 vcc_lo, exec_lo, s5
	s_cbranch_vccz .LBB70_2986
; %bb.2977:
	s_wait_xcnt 0x0
	s_delay_alu instid0(VALU_DEP_1) | instskip(SKIP_2) | instid1(VALU_DEP_2)
	v_xor_b32_e32 v1, v2, v3
	v_cls_i32_e32 v6, v3
	s_mov_b32 s5, exec_lo
	v_ashrrev_i32_e32 v1, 31, v1
	s_delay_alu instid0(VALU_DEP_1) | instskip(NEXT) | instid1(VALU_DEP_1)
	v_add_nc_u32_e32 v1, 32, v1
	v_add_min_u32_e64 v1, v6, -1, v1
	s_delay_alu instid0(VALU_DEP_1) | instskip(SKIP_1) | instid1(VALU_DEP_2)
	v_lshlrev_b64_e32 v[6:7], v1, v[2:3]
	v_sub_nc_u32_e32 v1, 32, v1
	v_min_u32_e32 v6, 1, v6
	s_delay_alu instid0(VALU_DEP_1) | instskip(NEXT) | instid1(VALU_DEP_1)
	v_or_b32_e32 v6, v7, v6
	v_cvt_f32_i32_e32 v6, v6
	s_delay_alu instid0(VALU_DEP_1) | instskip(NEXT) | instid1(VALU_DEP_1)
	v_ldexp_f32 v1, v6, v1
                                        ; implicit-def: $vgpr6
	v_and_b32_e32 v7, 0x7fffffff, v1
	s_delay_alu instid0(VALU_DEP_1)
	v_cmpx_gt_u32_e32 0x43f00000, v7
	s_xor_b32 s5, exec_lo, s5
	s_cbranch_execz .LBB70_2983
; %bb.2978:
	s_mov_b32 s8, exec_lo
                                        ; implicit-def: $vgpr6
	v_cmpx_lt_u32_e32 0x3c7fffff, v7
	s_xor_b32 s8, exec_lo, s8
; %bb.2979:
	v_bfe_u32 v6, v1, 20, 1
	s_delay_alu instid0(VALU_DEP_1) | instskip(NEXT) | instid1(VALU_DEP_1)
	v_add3_u32 v6, v1, v6, 0x407ffff
	v_and_b32_e32 v7, 0xff00000, v6
	v_lshrrev_b32_e32 v6, 20, v6
	s_delay_alu instid0(VALU_DEP_2) | instskip(NEXT) | instid1(VALU_DEP_2)
	v_cmp_ne_u32_e32 vcc_lo, 0x7f00000, v7
	v_cndmask_b32_e32 v6, 0x7e, v6, vcc_lo
; %bb.2980:
	s_and_not1_saveexec_b32 s8, s8
; %bb.2981:
	v_add_f32_e64 v6, 0x46800000, |v1|
; %bb.2982:
	s_or_b32 exec_lo, exec_lo, s8
                                        ; implicit-def: $vgpr7
.LBB70_2983:
	s_and_not1_saveexec_b32 s5, s5
; %bb.2984:
	v_mov_b32_e32 v6, 0x7f
	v_cmp_lt_u32_e32 vcc_lo, 0x7f800000, v7
	s_delay_alu instid0(VALU_DEP_2)
	v_cndmask_b32_e32 v6, 0x7e, v6, vcc_lo
; %bb.2985:
	s_or_b32 exec_lo, exec_lo, s5
	v_lshrrev_b32_e32 v1, 24, v1
	s_delay_alu instid0(VALU_DEP_1)
	v_and_or_b32 v1, 0x80, v1, v6
	global_store_b8 v[4:5], v1, off
.LBB70_2986:
	s_mov_b32 s5, 0
.LBB70_2987:
	s_delay_alu instid0(SALU_CYCLE_1)
	s_and_not1_b32 vcc_lo, exec_lo, s5
	s_cbranch_vccnz .LBB70_2997
; %bb.2988:
	s_wait_xcnt 0x0
	s_delay_alu instid0(VALU_DEP_1) | instskip(SKIP_2) | instid1(VALU_DEP_2)
	v_xor_b32_e32 v1, v2, v3
	v_cls_i32_e32 v6, v3
	s_mov_b32 s5, exec_lo
	v_ashrrev_i32_e32 v1, 31, v1
	s_delay_alu instid0(VALU_DEP_1) | instskip(NEXT) | instid1(VALU_DEP_1)
	v_add_nc_u32_e32 v1, 32, v1
	v_add_min_u32_e64 v1, v6, -1, v1
	s_delay_alu instid0(VALU_DEP_1) | instskip(SKIP_1) | instid1(VALU_DEP_2)
	v_lshlrev_b64_e32 v[6:7], v1, v[2:3]
	v_sub_nc_u32_e32 v1, 32, v1
	v_min_u32_e32 v6, 1, v6
	s_delay_alu instid0(VALU_DEP_1) | instskip(NEXT) | instid1(VALU_DEP_1)
	v_or_b32_e32 v6, v7, v6
	v_cvt_f32_i32_e32 v6, v6
	s_delay_alu instid0(VALU_DEP_1) | instskip(NEXT) | instid1(VALU_DEP_1)
	v_ldexp_f32 v1, v6, v1
                                        ; implicit-def: $vgpr6
	v_and_b32_e32 v7, 0x7fffffff, v1
	s_delay_alu instid0(VALU_DEP_1)
	v_cmpx_gt_u32_e32 0x47800000, v7
	s_xor_b32 s5, exec_lo, s5
	s_cbranch_execz .LBB70_2994
; %bb.2989:
	s_mov_b32 s8, exec_lo
                                        ; implicit-def: $vgpr6
	v_cmpx_lt_u32_e32 0x387fffff, v7
	s_xor_b32 s8, exec_lo, s8
; %bb.2990:
	v_bfe_u32 v6, v1, 21, 1
	s_delay_alu instid0(VALU_DEP_1) | instskip(NEXT) | instid1(VALU_DEP_1)
	v_add3_u32 v6, v1, v6, 0x80fffff
	v_lshrrev_b32_e32 v6, 21, v6
; %bb.2991:
	s_and_not1_saveexec_b32 s8, s8
; %bb.2992:
	v_add_f32_e64 v6, 0x43000000, |v1|
; %bb.2993:
	s_or_b32 exec_lo, exec_lo, s8
                                        ; implicit-def: $vgpr7
.LBB70_2994:
	s_and_not1_saveexec_b32 s5, s5
; %bb.2995:
	v_mov_b32_e32 v6, 0x7f
	v_cmp_lt_u32_e32 vcc_lo, 0x7f800000, v7
	s_delay_alu instid0(VALU_DEP_2)
	v_cndmask_b32_e32 v6, 0x7c, v6, vcc_lo
; %bb.2996:
	s_or_b32 exec_lo, exec_lo, s5
	v_lshrrev_b32_e32 v1, 24, v1
	s_delay_alu instid0(VALU_DEP_1)
	v_and_or_b32 v1, 0x80, v1, v6
	global_store_b8 v[4:5], v1, off
.LBB70_2997:
	s_mov_b32 s5, 0
	s_mov_b32 s8, -1
.LBB70_2998:
	s_and_not1_b32 vcc_lo, exec_lo, s5
	s_mov_b32 s5, 0
	s_cbranch_vccnz .LBB70_3005
; %bb.2999:
	s_cmp_gt_i32 s4, 14
	s_mov_b32 s5, -1
	s_cbranch_scc0 .LBB70_3003
; %bb.3000:
	s_cmp_eq_u32 s4, 15
	s_mov_b32 s0, -1
	s_cbranch_scc0 .LBB70_3002
; %bb.3001:
	s_wait_xcnt 0x0
	s_delay_alu instid0(VALU_DEP_1) | instskip(SKIP_3) | instid1(VALU_DEP_2)
	v_xor_b32_e32 v1, v2, v3
	v_cls_i32_e32 v6, v3
	s_mov_b32 s8, -1
	s_mov_b32 s0, 0
	v_ashrrev_i32_e32 v1, 31, v1
	s_delay_alu instid0(VALU_DEP_1) | instskip(NEXT) | instid1(VALU_DEP_1)
	v_add_nc_u32_e32 v1, 32, v1
	v_add_min_u32_e64 v1, v6, -1, v1
	s_delay_alu instid0(VALU_DEP_1) | instskip(SKIP_1) | instid1(VALU_DEP_2)
	v_lshlrev_b64_e32 v[6:7], v1, v[2:3]
	v_sub_nc_u32_e32 v1, 32, v1
	v_min_u32_e32 v6, 1, v6
	s_delay_alu instid0(VALU_DEP_1) | instskip(NEXT) | instid1(VALU_DEP_1)
	v_or_b32_e32 v6, v7, v6
	v_cvt_f32_i32_e32 v6, v6
	s_delay_alu instid0(VALU_DEP_1) | instskip(NEXT) | instid1(VALU_DEP_1)
	v_ldexp_f32 v1, v6, v1
	v_bfe_u32 v6, v1, 16, 1
	s_delay_alu instid0(VALU_DEP_1)
	v_add3_u32 v1, v1, v6, 0x7fff
	global_store_d16_hi_b16 v[4:5], v1, off
.LBB70_3002:
	s_mov_b32 s5, 0
.LBB70_3003:
	s_delay_alu instid0(SALU_CYCLE_1)
	s_and_b32 vcc_lo, exec_lo, s5
	s_mov_b32 s5, 0
	s_cbranch_vccz .LBB70_3005
; %bb.3004:
	s_cmp_lg_u32 s4, 11
	s_mov_b32 s5, -1
	s_cselect_b32 s0, -1, 0
.LBB70_3005:
	s_delay_alu instid0(SALU_CYCLE_1)
	s_and_b32 vcc_lo, exec_lo, s0
	s_cbranch_vccnz .LBB70_3185
; %bb.3006:
	s_and_not1_b32 vcc_lo, exec_lo, s5
	s_cbranch_vccnz .LBB70_3008
.LBB70_3007:
	s_delay_alu instid0(VALU_DEP_1)
	v_cmp_ne_u64_e32 vcc_lo, 0, v[2:3]
	s_mov_b32 s8, -1
	s_wait_xcnt 0x0
	v_cndmask_b32_e64 v1, 0, 1, vcc_lo
	global_store_b8 v[4:5], v1, off
.LBB70_3008:
	s_mov_b32 s0, 0
	s_branch .LBB70_3010
.LBB70_3009:
	s_mov_b32 s0, -1
	s_mov_b32 s8, 0
.LBB70_3010:
	s_and_b32 vcc_lo, exec_lo, s0
	s_cbranch_vccz .LBB70_3049
; %bb.3011:
	s_and_b32 s0, 0xffff, s19
	s_mov_b32 s4, -1
	s_cmp_lt_i32 s0, 5
	s_cbranch_scc1 .LBB70_3032
; %bb.3012:
	s_cmp_lt_i32 s0, 8
	s_cbranch_scc1 .LBB70_3022
; %bb.3013:
	;; [unrolled: 3-line block ×3, first 2 shown]
	s_cmp_gt_i32 s0, 9
	s_cbranch_scc0 .LBB70_3016
; %bb.3015:
	s_wait_xcnt 0x0
	s_delay_alu instid0(VALU_DEP_1) | instskip(NEXT) | instid1(VALU_DEP_2)
	v_cvt_f64_i32_e32 v[6:7], v3
	v_cvt_f64_u32_e32 v[8:9], v2
	s_mov_b32 s4, 0
	s_delay_alu instid0(VALU_DEP_2) | instskip(NEXT) | instid1(VALU_DEP_1)
	v_ldexp_f64 v[6:7], v[6:7], 32
	v_dual_add_f64 v[6:7], v[6:7], v[8:9] :: v_dual_mov_b32 v8, 0
	s_delay_alu instid0(VALU_DEP_1)
	v_mov_b32_e32 v9, v8
	global_store_b128 v[4:5], v[6:9], off
.LBB70_3016:
	s_and_not1_b32 vcc_lo, exec_lo, s4
	s_cbranch_vccnz .LBB70_3018
; %bb.3017:
	s_wait_xcnt 0x0
	s_delay_alu instid0(VALU_DEP_1) | instskip(SKIP_1) | instid1(VALU_DEP_2)
	v_xor_b32_e32 v1, v2, v3
	v_cls_i32_e32 v6, v3
	v_ashrrev_i32_e32 v1, 31, v1
	s_delay_alu instid0(VALU_DEP_1) | instskip(NEXT) | instid1(VALU_DEP_1)
	v_add_nc_u32_e32 v1, 32, v1
	v_add_min_u32_e64 v1, v6, -1, v1
	s_delay_alu instid0(VALU_DEP_1) | instskip(SKIP_1) | instid1(VALU_DEP_2)
	v_lshlrev_b64_e32 v[6:7], v1, v[2:3]
	v_sub_nc_u32_e32 v1, 32, v1
	v_min_u32_e32 v6, 1, v6
	s_delay_alu instid0(VALU_DEP_1) | instskip(NEXT) | instid1(VALU_DEP_1)
	v_dual_mov_b32 v7, 0 :: v_dual_bitop2_b32 v6, v7, v6 bitop3:0x54
	v_cvt_f32_i32_e32 v6, v6
	s_delay_alu instid0(VALU_DEP_1)
	v_ldexp_f32 v6, v6, v1
	global_store_b64 v[4:5], v[6:7], off
.LBB70_3018:
	s_mov_b32 s4, 0
.LBB70_3019:
	s_delay_alu instid0(SALU_CYCLE_1)
	s_and_not1_b32 vcc_lo, exec_lo, s4
	s_cbranch_vccnz .LBB70_3021
; %bb.3020:
	s_wait_xcnt 0x0
	s_delay_alu instid0(VALU_DEP_1) | instskip(SKIP_1) | instid1(VALU_DEP_2)
	v_xor_b32_e32 v1, v2, v3
	v_cls_i32_e32 v6, v3
	v_ashrrev_i32_e32 v1, 31, v1
	s_delay_alu instid0(VALU_DEP_1) | instskip(NEXT) | instid1(VALU_DEP_1)
	v_add_nc_u32_e32 v1, 32, v1
	v_add_min_u32_e64 v1, v6, -1, v1
	s_delay_alu instid0(VALU_DEP_1) | instskip(SKIP_1) | instid1(VALU_DEP_2)
	v_lshlrev_b64_e32 v[6:7], v1, v[2:3]
	v_sub_nc_u32_e32 v1, 32, v1
	v_min_u32_e32 v6, 1, v6
	s_delay_alu instid0(VALU_DEP_1) | instskip(NEXT) | instid1(VALU_DEP_1)
	v_or_b32_e32 v6, v7, v6
	v_cvt_f32_i32_e32 v6, v6
	s_delay_alu instid0(VALU_DEP_1) | instskip(NEXT) | instid1(VALU_DEP_1)
	v_ldexp_f32 v1, v6, v1
	v_cvt_f16_f32_e32 v1, v1
	s_delay_alu instid0(VALU_DEP_1)
	v_and_b32_e32 v1, 0xffff, v1
	global_store_b32 v[4:5], v1, off
.LBB70_3021:
	s_mov_b32 s4, 0
.LBB70_3022:
	s_delay_alu instid0(SALU_CYCLE_1)
	s_and_not1_b32 vcc_lo, exec_lo, s4
	s_cbranch_vccnz .LBB70_3031
; %bb.3023:
	s_cmp_lt_i32 s0, 6
	s_mov_b32 s4, -1
	s_cbranch_scc1 .LBB70_3029
; %bb.3024:
	s_cmp_gt_i32 s0, 6
	s_cbranch_scc0 .LBB70_3026
; %bb.3025:
	s_wait_xcnt 0x0
	s_delay_alu instid0(VALU_DEP_1) | instskip(NEXT) | instid1(VALU_DEP_2)
	v_cvt_f64_i32_e32 v[6:7], v3
	v_cvt_f64_u32_e32 v[8:9], v2
	s_mov_b32 s4, 0
	s_delay_alu instid0(VALU_DEP_2) | instskip(NEXT) | instid1(VALU_DEP_1)
	v_ldexp_f64 v[6:7], v[6:7], 32
	v_add_f64_e32 v[6:7], v[6:7], v[8:9]
	global_store_b64 v[4:5], v[6:7], off
.LBB70_3026:
	s_and_not1_b32 vcc_lo, exec_lo, s4
	s_cbranch_vccnz .LBB70_3028
; %bb.3027:
	s_wait_xcnt 0x0
	s_delay_alu instid0(VALU_DEP_1) | instskip(SKIP_1) | instid1(VALU_DEP_2)
	v_xor_b32_e32 v1, v2, v3
	v_cls_i32_e32 v6, v3
	v_ashrrev_i32_e32 v1, 31, v1
	s_delay_alu instid0(VALU_DEP_1) | instskip(NEXT) | instid1(VALU_DEP_1)
	v_add_nc_u32_e32 v1, 32, v1
	v_add_min_u32_e64 v1, v6, -1, v1
	s_delay_alu instid0(VALU_DEP_1) | instskip(SKIP_1) | instid1(VALU_DEP_2)
	v_lshlrev_b64_e32 v[6:7], v1, v[2:3]
	v_sub_nc_u32_e32 v1, 32, v1
	v_min_u32_e32 v6, 1, v6
	s_delay_alu instid0(VALU_DEP_1) | instskip(NEXT) | instid1(VALU_DEP_1)
	v_or_b32_e32 v6, v7, v6
	v_cvt_f32_i32_e32 v6, v6
	s_delay_alu instid0(VALU_DEP_1)
	v_ldexp_f32 v1, v6, v1
	global_store_b32 v[4:5], v1, off
.LBB70_3028:
	s_mov_b32 s4, 0
.LBB70_3029:
	s_delay_alu instid0(SALU_CYCLE_1)
	s_and_not1_b32 vcc_lo, exec_lo, s4
	s_cbranch_vccnz .LBB70_3031
; %bb.3030:
	s_wait_xcnt 0x0
	s_delay_alu instid0(VALU_DEP_1) | instskip(SKIP_1) | instid1(VALU_DEP_2)
	v_xor_b32_e32 v1, v2, v3
	v_cls_i32_e32 v6, v3
	v_ashrrev_i32_e32 v1, 31, v1
	s_delay_alu instid0(VALU_DEP_1) | instskip(NEXT) | instid1(VALU_DEP_1)
	v_add_nc_u32_e32 v1, 32, v1
	v_add_min_u32_e64 v1, v6, -1, v1
	s_delay_alu instid0(VALU_DEP_1) | instskip(SKIP_1) | instid1(VALU_DEP_2)
	v_lshlrev_b64_e32 v[6:7], v1, v[2:3]
	v_sub_nc_u32_e32 v1, 32, v1
	v_min_u32_e32 v6, 1, v6
	s_delay_alu instid0(VALU_DEP_1) | instskip(NEXT) | instid1(VALU_DEP_1)
	v_or_b32_e32 v6, v7, v6
	v_cvt_f32_i32_e32 v6, v6
	s_delay_alu instid0(VALU_DEP_1) | instskip(NEXT) | instid1(VALU_DEP_1)
	v_ldexp_f32 v1, v6, v1
	v_cvt_f16_f32_e32 v1, v1
	global_store_b16 v[4:5], v1, off
.LBB70_3031:
	s_mov_b32 s4, 0
.LBB70_3032:
	s_delay_alu instid0(SALU_CYCLE_1)
	s_and_not1_b32 vcc_lo, exec_lo, s4
	s_cbranch_vccnz .LBB70_3048
; %bb.3033:
	s_cmp_lt_i32 s0, 2
	s_mov_b32 s4, -1
	s_cbranch_scc1 .LBB70_3043
; %bb.3034:
	s_cmp_lt_i32 s0, 3
	s_cbranch_scc1 .LBB70_3040
; %bb.3035:
	s_cmp_gt_i32 s0, 3
	s_cbranch_scc0 .LBB70_3037
; %bb.3036:
	s_mov_b32 s4, 0
	global_store_b64 v[4:5], v[2:3], off
.LBB70_3037:
	s_and_not1_b32 vcc_lo, exec_lo, s4
	s_cbranch_vccnz .LBB70_3039
; %bb.3038:
	global_store_b32 v[4:5], v2, off
.LBB70_3039:
	s_mov_b32 s4, 0
.LBB70_3040:
	s_delay_alu instid0(SALU_CYCLE_1)
	s_and_not1_b32 vcc_lo, exec_lo, s4
	s_cbranch_vccnz .LBB70_3042
; %bb.3041:
	global_store_b16 v[4:5], v2, off
.LBB70_3042:
	s_mov_b32 s4, 0
.LBB70_3043:
	s_delay_alu instid0(SALU_CYCLE_1)
	s_and_not1_b32 vcc_lo, exec_lo, s4
	s_cbranch_vccnz .LBB70_3048
; %bb.3044:
	s_cmp_gt_i32 s0, 0
	s_mov_b32 s0, -1
	s_cbranch_scc0 .LBB70_3046
; %bb.3045:
	s_mov_b32 s0, 0
	global_store_b8 v[4:5], v2, off
.LBB70_3046:
	s_and_not1_b32 vcc_lo, exec_lo, s0
	s_cbranch_vccnz .LBB70_3048
; %bb.3047:
	global_store_b8 v[4:5], v2, off
.LBB70_3048:
	s_mov_b32 s8, -1
.LBB70_3049:
	s_delay_alu instid0(SALU_CYCLE_1)
	s_and_not1_b32 vcc_lo, exec_lo, s8
	s_cbranch_vccnz .LBB70_3126
; %bb.3050:
	s_wait_xcnt 0x0
	v_mul_u64_e32 v[2:3], s[6:7], v[12:13]
	v_add_nc_u32_e32 v0, s1, v0
	s_cmp_lt_i32 s19, 11
	s_delay_alu instid0(VALU_DEP_1) | instskip(NEXT) | instid1(VALU_DEP_1)
	v_ashrrev_i32_e32 v1, 31, v0
	v_add_nc_u64_e32 v[0:1], s[2:3], v[0:1]
	s_delay_alu instid0(VALU_DEP_4)
	v_mul_u64_e32 v[2:3], v[2:3], v[14:15]
	s_cbranch_scc1 .LBB70_3171
; %bb.3051:
	s_and_b32 s1, 0xffff, s19
	s_mov_b32 s3, -1
	s_mov_b32 s2, 0
	s_cmp_gt_i32 s1, 25
	s_mov_b32 s0, 0
	s_cbranch_scc0 .LBB70_3084
; %bb.3052:
	s_cmp_gt_i32 s1, 28
	s_cbranch_scc0 .LBB70_3068
; %bb.3053:
	s_cmp_gt_i32 s1, 43
	;; [unrolled: 3-line block ×3, first 2 shown]
	s_cbranch_scc0 .LBB70_3058
; %bb.3055:
	s_cmp_eq_u32 s1, 46
	s_mov_b32 s0, -1
	s_cbranch_scc0 .LBB70_3057
; %bb.3056:
	s_delay_alu instid0(VALU_DEP_1) | instskip(SKIP_2) | instid1(VALU_DEP_2)
	v_xor_b32_e32 v4, v2, v3
	v_cls_i32_e32 v5, v3
	s_mov_b32 s0, 0
	v_ashrrev_i32_e32 v4, 31, v4
	s_delay_alu instid0(VALU_DEP_1) | instskip(NEXT) | instid1(VALU_DEP_1)
	v_add_nc_u32_e32 v4, 32, v4
	v_add_min_u32_e64 v6, v5, -1, v4
	s_delay_alu instid0(VALU_DEP_1) | instskip(NEXT) | instid1(VALU_DEP_1)
	v_lshlrev_b64_e32 v[4:5], v6, v[2:3]
	v_min_u32_e32 v4, 1, v4
	s_delay_alu instid0(VALU_DEP_1) | instskip(NEXT) | instid1(VALU_DEP_1)
	v_dual_sub_nc_u32 v5, 32, v6 :: v_dual_bitop2_b32 v4, v5, v4 bitop3:0x54
	v_cvt_f32_i32_e32 v4, v4
	s_delay_alu instid0(VALU_DEP_1) | instskip(NEXT) | instid1(VALU_DEP_1)
	v_ldexp_f32 v4, v4, v5
	v_bfe_u32 v5, v4, 16, 1
	s_delay_alu instid0(VALU_DEP_1) | instskip(NEXT) | instid1(VALU_DEP_1)
	v_add3_u32 v4, v4, v5, 0x7fff
	v_lshrrev_b32_e32 v4, 16, v4
	global_store_b32 v[0:1], v4, off
.LBB70_3057:
	s_mov_b32 s3, 0
.LBB70_3058:
	s_delay_alu instid0(SALU_CYCLE_1)
	s_and_b32 vcc_lo, exec_lo, s3
	s_cbranch_vccz .LBB70_3063
; %bb.3059:
	s_cmp_eq_u32 s1, 44
	s_mov_b32 s0, -1
	s_cbranch_scc0 .LBB70_3063
; %bb.3060:
	s_wait_xcnt 0x0
	s_delay_alu instid0(VALU_DEP_1) | instskip(SKIP_2) | instid1(VALU_DEP_2)
	v_xor_b32_e32 v4, v2, v3
	v_cls_i32_e32 v5, v3
	s_mov_b32 s3, exec_lo
	v_ashrrev_i32_e32 v4, 31, v4
	s_delay_alu instid0(VALU_DEP_1) | instskip(NEXT) | instid1(VALU_DEP_1)
	v_add_nc_u32_e32 v4, 32, v4
	v_add_min_u32_e64 v6, v5, -1, v4
	s_delay_alu instid0(VALU_DEP_1) | instskip(NEXT) | instid1(VALU_DEP_1)
	v_lshlrev_b64_e32 v[4:5], v6, v[2:3]
	v_min_u32_e32 v4, 1, v4
	s_delay_alu instid0(VALU_DEP_1) | instskip(NEXT) | instid1(VALU_DEP_1)
	v_dual_sub_nc_u32 v5, 32, v6 :: v_dual_bitop2_b32 v4, v5, v4 bitop3:0x54
	v_cvt_f32_i32_e32 v4, v4
	s_delay_alu instid0(VALU_DEP_1) | instskip(SKIP_1) | instid1(VALU_DEP_2)
	v_ldexp_f32 v4, v4, v5
	v_mov_b32_e32 v5, 0xff
	v_bfe_u32 v6, v4, 23, 8
	s_delay_alu instid0(VALU_DEP_1)
	v_cmpx_ne_u32_e32 0xff, v6
	s_cbranch_execz .LBB70_3062
; %bb.3061:
	v_and_b32_e32 v5, 0x400000, v4
	v_and_or_b32 v6, 0x3fffff, v4, v6
	v_lshrrev_b32_e32 v4, 23, v4
	s_delay_alu instid0(VALU_DEP_3) | instskip(NEXT) | instid1(VALU_DEP_3)
	v_cmp_ne_u32_e32 vcc_lo, 0, v5
	v_cmp_ne_u32_e64 s0, 0, v6
	s_and_b32 s0, vcc_lo, s0
	s_delay_alu instid0(SALU_CYCLE_1) | instskip(NEXT) | instid1(VALU_DEP_1)
	v_cndmask_b32_e64 v5, 0, 1, s0
	v_add_nc_u32_e32 v5, v4, v5
.LBB70_3062:
	s_or_b32 exec_lo, exec_lo, s3
	s_mov_b32 s0, 0
	global_store_b8 v[0:1], v5, off
.LBB70_3063:
	s_mov_b32 s3, 0
.LBB70_3064:
	s_delay_alu instid0(SALU_CYCLE_1)
	s_and_b32 vcc_lo, exec_lo, s3
	s_cbranch_vccz .LBB70_3067
; %bb.3065:
	s_cmp_eq_u32 s1, 29
	s_mov_b32 s0, -1
	s_cbranch_scc0 .LBB70_3067
; %bb.3066:
	s_mov_b32 s0, 0
	global_store_b64 v[0:1], v[2:3], off
.LBB70_3067:
	s_mov_b32 s3, 0
.LBB70_3068:
	s_delay_alu instid0(SALU_CYCLE_1)
	s_and_b32 vcc_lo, exec_lo, s3
	s_cbranch_vccz .LBB70_3083
; %bb.3069:
	s_cmp_lt_i32 s1, 27
	s_mov_b32 s3, -1
	s_cbranch_scc1 .LBB70_3075
; %bb.3070:
	s_cmp_gt_i32 s1, 27
	s_cbranch_scc0 .LBB70_3072
; %bb.3071:
	s_mov_b32 s3, 0
	global_store_b32 v[0:1], v2, off
.LBB70_3072:
	s_and_not1_b32 vcc_lo, exec_lo, s3
	s_cbranch_vccnz .LBB70_3074
; %bb.3073:
	global_store_b16 v[0:1], v2, off
.LBB70_3074:
	s_mov_b32 s3, 0
.LBB70_3075:
	s_delay_alu instid0(SALU_CYCLE_1)
	s_and_not1_b32 vcc_lo, exec_lo, s3
	s_cbranch_vccnz .LBB70_3083
; %bb.3076:
	s_wait_xcnt 0x0
	s_delay_alu instid0(VALU_DEP_1) | instskip(SKIP_2) | instid1(VALU_DEP_2)
	v_xor_b32_e32 v4, v2, v3
	v_cls_i32_e32 v5, v3
	s_mov_b32 s3, exec_lo
	v_ashrrev_i32_e32 v4, 31, v4
	s_delay_alu instid0(VALU_DEP_1) | instskip(NEXT) | instid1(VALU_DEP_1)
	v_add_nc_u32_e32 v4, 32, v4
	v_add_min_u32_e64 v6, v5, -1, v4
	s_delay_alu instid0(VALU_DEP_1) | instskip(NEXT) | instid1(VALU_DEP_1)
	v_lshlrev_b64_e32 v[4:5], v6, v[2:3]
	v_min_u32_e32 v4, 1, v4
	s_delay_alu instid0(VALU_DEP_1) | instskip(SKIP_1) | instid1(VALU_DEP_2)
	v_dual_sub_nc_u32 v5, 32, v6 :: v_dual_bitop2_b32 v4, v5, v4 bitop3:0x54
	v_mov_b32_e32 v6, 0x80
	v_cvt_f32_i32_e32 v4, v4
	s_delay_alu instid0(VALU_DEP_1) | instskip(NEXT) | instid1(VALU_DEP_1)
	v_ldexp_f32 v4, v4, v5
	v_and_b32_e32 v5, 0x7fffffff, v4
	s_delay_alu instid0(VALU_DEP_1)
	v_cmpx_gt_u32_e32 0x43800000, v5
	s_cbranch_execz .LBB70_3082
; %bb.3077:
	v_cmp_lt_u32_e32 vcc_lo, 0x3bffffff, v5
	s_mov_b32 s4, 0
                                        ; implicit-def: $vgpr5
	s_and_saveexec_b32 s5, vcc_lo
	s_delay_alu instid0(SALU_CYCLE_1)
	s_xor_b32 s5, exec_lo, s5
	s_cbranch_execz .LBB70_3188
; %bb.3078:
	v_bfe_u32 v5, v4, 20, 1
	s_mov_b32 s4, exec_lo
	s_delay_alu instid0(VALU_DEP_1) | instskip(NEXT) | instid1(VALU_DEP_1)
	v_add3_u32 v5, v4, v5, 0x487ffff
	v_lshrrev_b32_e32 v5, 20, v5
	s_and_not1_saveexec_b32 s5, s5
	s_cbranch_execnz .LBB70_3189
.LBB70_3079:
	s_or_b32 exec_lo, exec_lo, s5
	v_mov_b32_e32 v6, 0
	s_and_saveexec_b32 s5, s4
.LBB70_3080:
	v_lshrrev_b32_e32 v4, 24, v4
	s_delay_alu instid0(VALU_DEP_1)
	v_and_or_b32 v6, 0x80, v4, v5
.LBB70_3081:
	s_or_b32 exec_lo, exec_lo, s5
.LBB70_3082:
	s_delay_alu instid0(SALU_CYCLE_1)
	s_or_b32 exec_lo, exec_lo, s3
	global_store_b8 v[0:1], v6, off
.LBB70_3083:
	s_mov_b32 s3, 0
.LBB70_3084:
	s_delay_alu instid0(SALU_CYCLE_1)
	s_and_b32 vcc_lo, exec_lo, s3
	s_cbranch_vccz .LBB70_3124
; %bb.3085:
	s_cmp_gt_i32 s1, 22
	s_mov_b32 s2, -1
	s_cbranch_scc0 .LBB70_3117
; %bb.3086:
	s_cmp_lt_i32 s1, 24
	s_cbranch_scc1 .LBB70_3106
; %bb.3087:
	s_cmp_gt_i32 s1, 24
	s_cbranch_scc0 .LBB70_3095
; %bb.3088:
	s_wait_xcnt 0x0
	s_delay_alu instid0(VALU_DEP_1) | instskip(SKIP_2) | instid1(VALU_DEP_2)
	v_xor_b32_e32 v4, v2, v3
	v_cls_i32_e32 v5, v3
	s_mov_b32 s2, exec_lo
	v_ashrrev_i32_e32 v4, 31, v4
	s_delay_alu instid0(VALU_DEP_1) | instskip(NEXT) | instid1(VALU_DEP_1)
	v_add_nc_u32_e32 v4, 32, v4
	v_add_min_u32_e64 v6, v5, -1, v4
	s_delay_alu instid0(VALU_DEP_1) | instskip(NEXT) | instid1(VALU_DEP_1)
	v_lshlrev_b64_e32 v[4:5], v6, v[2:3]
	v_min_u32_e32 v4, 1, v4
	s_delay_alu instid0(VALU_DEP_1) | instskip(SKIP_1) | instid1(VALU_DEP_2)
	v_dual_sub_nc_u32 v5, 32, v6 :: v_dual_bitop2_b32 v4, v5, v4 bitop3:0x54
	v_mov_b32_e32 v6, 0x80
	v_cvt_f32_i32_e32 v4, v4
	s_delay_alu instid0(VALU_DEP_1) | instskip(NEXT) | instid1(VALU_DEP_1)
	v_ldexp_f32 v4, v4, v5
	v_and_b32_e32 v5, 0x7fffffff, v4
	s_delay_alu instid0(VALU_DEP_1)
	v_cmpx_gt_u32_e32 0x47800000, v5
	s_cbranch_execz .LBB70_3094
; %bb.3089:
	v_cmp_lt_u32_e32 vcc_lo, 0x37ffffff, v5
	s_mov_b32 s3, 0
                                        ; implicit-def: $vgpr5
	s_and_saveexec_b32 s4, vcc_lo
	s_delay_alu instid0(SALU_CYCLE_1)
	s_xor_b32 s4, exec_lo, s4
	s_cbranch_execz .LBB70_3191
; %bb.3090:
	v_bfe_u32 v5, v4, 21, 1
	s_mov_b32 s3, exec_lo
	s_delay_alu instid0(VALU_DEP_1) | instskip(NEXT) | instid1(VALU_DEP_1)
	v_add3_u32 v5, v4, v5, 0x88fffff
	v_lshrrev_b32_e32 v5, 21, v5
	s_and_not1_saveexec_b32 s4, s4
	s_cbranch_execnz .LBB70_3192
.LBB70_3091:
	s_or_b32 exec_lo, exec_lo, s4
	v_mov_b32_e32 v6, 0
	s_and_saveexec_b32 s4, s3
.LBB70_3092:
	v_lshrrev_b32_e32 v4, 24, v4
	s_delay_alu instid0(VALU_DEP_1)
	v_and_or_b32 v6, 0x80, v4, v5
.LBB70_3093:
	s_or_b32 exec_lo, exec_lo, s4
.LBB70_3094:
	s_delay_alu instid0(SALU_CYCLE_1)
	s_or_b32 exec_lo, exec_lo, s2
	s_mov_b32 s2, 0
	global_store_b8 v[0:1], v6, off
.LBB70_3095:
	s_and_b32 vcc_lo, exec_lo, s2
	s_cbranch_vccz .LBB70_3105
; %bb.3096:
	s_wait_xcnt 0x0
	s_delay_alu instid0(VALU_DEP_1) | instskip(SKIP_2) | instid1(VALU_DEP_2)
	v_xor_b32_e32 v4, v2, v3
	v_cls_i32_e32 v5, v3
	s_mov_b32 s2, exec_lo
	v_ashrrev_i32_e32 v4, 31, v4
	s_delay_alu instid0(VALU_DEP_1) | instskip(NEXT) | instid1(VALU_DEP_1)
	v_add_nc_u32_e32 v4, 32, v4
	v_add_min_u32_e64 v6, v5, -1, v4
	s_delay_alu instid0(VALU_DEP_1) | instskip(NEXT) | instid1(VALU_DEP_1)
	v_lshlrev_b64_e32 v[4:5], v6, v[2:3]
	v_min_u32_e32 v4, 1, v4
	s_delay_alu instid0(VALU_DEP_1) | instskip(NEXT) | instid1(VALU_DEP_1)
	v_dual_sub_nc_u32 v5, 32, v6 :: v_dual_bitop2_b32 v4, v5, v4 bitop3:0x54
	v_cvt_f32_i32_e32 v4, v4
	s_delay_alu instid0(VALU_DEP_1) | instskip(NEXT) | instid1(VALU_DEP_1)
	v_ldexp_f32 v4, v4, v5
                                        ; implicit-def: $vgpr5
	v_and_b32_e32 v6, 0x7fffffff, v4
	s_delay_alu instid0(VALU_DEP_1)
	v_cmpx_gt_u32_e32 0x43f00000, v6
	s_xor_b32 s2, exec_lo, s2
	s_cbranch_execz .LBB70_3102
; %bb.3097:
	s_mov_b32 s3, exec_lo
                                        ; implicit-def: $vgpr5
	v_cmpx_lt_u32_e32 0x3c7fffff, v6
	s_xor_b32 s3, exec_lo, s3
; %bb.3098:
	v_bfe_u32 v5, v4, 20, 1
	s_delay_alu instid0(VALU_DEP_1) | instskip(NEXT) | instid1(VALU_DEP_1)
	v_add3_u32 v5, v4, v5, 0x407ffff
	v_and_b32_e32 v6, 0xff00000, v5
	v_lshrrev_b32_e32 v5, 20, v5
	s_delay_alu instid0(VALU_DEP_2) | instskip(NEXT) | instid1(VALU_DEP_2)
	v_cmp_ne_u32_e32 vcc_lo, 0x7f00000, v6
	v_cndmask_b32_e32 v5, 0x7e, v5, vcc_lo
; %bb.3099:
	s_and_not1_saveexec_b32 s3, s3
; %bb.3100:
	v_add_f32_e64 v5, 0x46800000, |v4|
; %bb.3101:
	s_or_b32 exec_lo, exec_lo, s3
                                        ; implicit-def: $vgpr6
.LBB70_3102:
	s_and_not1_saveexec_b32 s2, s2
; %bb.3103:
	v_mov_b32_e32 v5, 0x7f
	v_cmp_lt_u32_e32 vcc_lo, 0x7f800000, v6
	s_delay_alu instid0(VALU_DEP_2)
	v_cndmask_b32_e32 v5, 0x7e, v5, vcc_lo
; %bb.3104:
	s_or_b32 exec_lo, exec_lo, s2
	v_lshrrev_b32_e32 v4, 24, v4
	s_delay_alu instid0(VALU_DEP_1)
	v_and_or_b32 v4, 0x80, v4, v5
	global_store_b8 v[0:1], v4, off
.LBB70_3105:
	s_mov_b32 s2, 0
.LBB70_3106:
	s_delay_alu instid0(SALU_CYCLE_1)
	s_and_not1_b32 vcc_lo, exec_lo, s2
	s_cbranch_vccnz .LBB70_3116
; %bb.3107:
	s_wait_xcnt 0x0
	s_delay_alu instid0(VALU_DEP_1) | instskip(SKIP_2) | instid1(VALU_DEP_2)
	v_xor_b32_e32 v4, v2, v3
	v_cls_i32_e32 v5, v3
	s_mov_b32 s2, exec_lo
	v_ashrrev_i32_e32 v4, 31, v4
	s_delay_alu instid0(VALU_DEP_1) | instskip(NEXT) | instid1(VALU_DEP_1)
	v_add_nc_u32_e32 v4, 32, v4
	v_add_min_u32_e64 v6, v5, -1, v4
	s_delay_alu instid0(VALU_DEP_1) | instskip(NEXT) | instid1(VALU_DEP_1)
	v_lshlrev_b64_e32 v[4:5], v6, v[2:3]
	v_min_u32_e32 v4, 1, v4
	s_delay_alu instid0(VALU_DEP_1) | instskip(NEXT) | instid1(VALU_DEP_1)
	v_dual_sub_nc_u32 v5, 32, v6 :: v_dual_bitop2_b32 v4, v5, v4 bitop3:0x54
	v_cvt_f32_i32_e32 v4, v4
	s_delay_alu instid0(VALU_DEP_1) | instskip(NEXT) | instid1(VALU_DEP_1)
	v_ldexp_f32 v4, v4, v5
                                        ; implicit-def: $vgpr5
	v_and_b32_e32 v6, 0x7fffffff, v4
	s_delay_alu instid0(VALU_DEP_1)
	v_cmpx_gt_u32_e32 0x47800000, v6
	s_xor_b32 s2, exec_lo, s2
	s_cbranch_execz .LBB70_3113
; %bb.3108:
	s_mov_b32 s3, exec_lo
                                        ; implicit-def: $vgpr5
	v_cmpx_lt_u32_e32 0x387fffff, v6
	s_xor_b32 s3, exec_lo, s3
; %bb.3109:
	v_bfe_u32 v5, v4, 21, 1
	s_delay_alu instid0(VALU_DEP_1) | instskip(NEXT) | instid1(VALU_DEP_1)
	v_add3_u32 v5, v4, v5, 0x80fffff
	v_lshrrev_b32_e32 v5, 21, v5
; %bb.3110:
	s_and_not1_saveexec_b32 s3, s3
; %bb.3111:
	v_add_f32_e64 v5, 0x43000000, |v4|
; %bb.3112:
	s_or_b32 exec_lo, exec_lo, s3
                                        ; implicit-def: $vgpr6
.LBB70_3113:
	s_and_not1_saveexec_b32 s2, s2
; %bb.3114:
	v_mov_b32_e32 v5, 0x7f
	v_cmp_lt_u32_e32 vcc_lo, 0x7f800000, v6
	s_delay_alu instid0(VALU_DEP_2)
	v_cndmask_b32_e32 v5, 0x7c, v5, vcc_lo
; %bb.3115:
	s_or_b32 exec_lo, exec_lo, s2
	v_lshrrev_b32_e32 v4, 24, v4
	s_delay_alu instid0(VALU_DEP_1)
	v_and_or_b32 v4, 0x80, v4, v5
	global_store_b8 v[0:1], v4, off
.LBB70_3116:
	s_mov_b32 s2, 0
.LBB70_3117:
	s_delay_alu instid0(SALU_CYCLE_1)
	s_and_not1_b32 vcc_lo, exec_lo, s2
	s_mov_b32 s2, 0
	s_cbranch_vccnz .LBB70_3124
; %bb.3118:
	s_cmp_gt_i32 s1, 14
	s_mov_b32 s2, -1
	s_cbranch_scc0 .LBB70_3122
; %bb.3119:
	s_cmp_eq_u32 s1, 15
	s_mov_b32 s0, -1
	s_cbranch_scc0 .LBB70_3121
; %bb.3120:
	s_wait_xcnt 0x0
	s_delay_alu instid0(VALU_DEP_1) | instskip(SKIP_2) | instid1(VALU_DEP_2)
	v_xor_b32_e32 v4, v2, v3
	v_cls_i32_e32 v5, v3
	s_mov_b32 s0, 0
	v_ashrrev_i32_e32 v4, 31, v4
	s_delay_alu instid0(VALU_DEP_1) | instskip(NEXT) | instid1(VALU_DEP_1)
	v_add_nc_u32_e32 v4, 32, v4
	v_add_min_u32_e64 v6, v5, -1, v4
	s_delay_alu instid0(VALU_DEP_1) | instskip(NEXT) | instid1(VALU_DEP_1)
	v_lshlrev_b64_e32 v[4:5], v6, v[2:3]
	v_min_u32_e32 v4, 1, v4
	s_delay_alu instid0(VALU_DEP_1) | instskip(NEXT) | instid1(VALU_DEP_1)
	v_dual_sub_nc_u32 v5, 32, v6 :: v_dual_bitop2_b32 v4, v5, v4 bitop3:0x54
	v_cvt_f32_i32_e32 v4, v4
	s_delay_alu instid0(VALU_DEP_1) | instskip(NEXT) | instid1(VALU_DEP_1)
	v_ldexp_f32 v4, v4, v5
	v_bfe_u32 v5, v4, 16, 1
	s_delay_alu instid0(VALU_DEP_1)
	v_add3_u32 v4, v4, v5, 0x7fff
	global_store_d16_hi_b16 v[0:1], v4, off
.LBB70_3121:
	s_mov_b32 s2, 0
.LBB70_3122:
	s_delay_alu instid0(SALU_CYCLE_1)
	s_and_b32 vcc_lo, exec_lo, s2
	s_mov_b32 s2, 0
	s_cbranch_vccz .LBB70_3124
; %bb.3123:
	s_cmp_lg_u32 s1, 11
	s_mov_b32 s2, -1
	s_cselect_b32 s0, -1, 0
.LBB70_3124:
	s_delay_alu instid0(SALU_CYCLE_1)
	s_and_b32 vcc_lo, exec_lo, s0
	s_cbranch_vccnz .LBB70_3190
.LBB70_3125:
	s_mov_b32 s0, 0
	s_branch .LBB70_3127
.LBB70_3126:
	s_mov_b32 s0, 0
	s_mov_b32 s2, 0
                                        ; implicit-def: $sgpr19
                                        ; implicit-def: $vgpr0_vgpr1
                                        ; implicit-def: $vgpr2_vgpr3
.LBB70_3127:
	s_and_not1_b32 s1, s18, exec_lo
	s_and_b32 s3, s15, exec_lo
	s_and_b32 s0, s0, exec_lo
	;; [unrolled: 1-line block ×3, first 2 shown]
	s_or_b32 s18, s1, s3
.LBB70_3128:
	s_wait_xcnt 0x0
	s_or_b32 exec_lo, exec_lo, s17
	s_and_saveexec_b32 s1, s18
	s_cbranch_execz .LBB70_3131
; %bb.3129:
	; divergent unreachable
	s_or_b32 exec_lo, exec_lo, s1
	s_and_saveexec_b32 s1, s15
	s_delay_alu instid0(SALU_CYCLE_1)
	s_xor_b32 s1, exec_lo, s1
	s_cbranch_execnz .LBB70_3132
.LBB70_3130:
	s_or_b32 exec_lo, exec_lo, s1
	s_and_saveexec_b32 s1, s0
	s_cbranch_execnz .LBB70_3133
	s_branch .LBB70_3170
.LBB70_3131:
	s_or_b32 exec_lo, exec_lo, s1
	s_and_saveexec_b32 s1, s15
	s_delay_alu instid0(SALU_CYCLE_1)
	s_xor_b32 s1, exec_lo, s1
	s_cbranch_execz .LBB70_3130
.LBB70_3132:
	s_wait_loadcnt 0x0
	s_delay_alu instid0(VALU_DEP_1)
	v_cmp_ne_u64_e32 vcc_lo, 0, v[2:3]
	v_cndmask_b32_e64 v4, 0, 1, vcc_lo
	global_store_b8 v[0:1], v4, off
	s_wait_xcnt 0x0
	s_or_b32 exec_lo, exec_lo, s1
	s_and_saveexec_b32 s1, s0
	s_cbranch_execz .LBB70_3170
.LBB70_3133:
	s_sext_i32_i16 s1, s19
	s_mov_b32 s0, -1
	s_cmp_lt_i32 s1, 5
	s_cbranch_scc1 .LBB70_3154
; %bb.3134:
	s_cmp_lt_i32 s1, 8
	s_cbranch_scc1 .LBB70_3144
; %bb.3135:
	;; [unrolled: 3-line block ×3, first 2 shown]
	s_cmp_gt_i32 s1, 9
	s_cbranch_scc0 .LBB70_3138
; %bb.3137:
	s_wait_loadcnt 0x0
	v_cvt_f64_i32_e32 v[4:5], v3
	v_cvt_f64_u32_e32 v[6:7], v2
	s_mov_b32 s0, 0
	s_delay_alu instid0(VALU_DEP_2) | instskip(NEXT) | instid1(VALU_DEP_1)
	v_ldexp_f64 v[4:5], v[4:5], 32
	v_dual_add_f64 v[4:5], v[4:5], v[6:7] :: v_dual_mov_b32 v6, 0
	s_delay_alu instid0(VALU_DEP_1)
	v_mov_b32_e32 v7, v6
	global_store_b128 v[0:1], v[4:7], off
.LBB70_3138:
	s_and_not1_b32 vcc_lo, exec_lo, s0
	s_cbranch_vccnz .LBB70_3140
; %bb.3139:
	s_wait_loadcnt 0x0
	v_xor_b32_e32 v4, v2, v3
	v_cls_i32_e32 v5, v3
	s_delay_alu instid0(VALU_DEP_2) | instskip(NEXT) | instid1(VALU_DEP_1)
	v_ashrrev_i32_e32 v4, 31, v4
	v_add_nc_u32_e32 v4, 32, v4
	s_delay_alu instid0(VALU_DEP_1) | instskip(NEXT) | instid1(VALU_DEP_1)
	v_add_min_u32_e64 v6, v5, -1, v4
	v_lshlrev_b64_e32 v[4:5], v6, v[2:3]
	s_delay_alu instid0(VALU_DEP_1) | instskip(NEXT) | instid1(VALU_DEP_1)
	v_min_u32_e32 v4, 1, v4
	v_dual_sub_nc_u32 v5, 32, v6 :: v_dual_bitop2_b32 v4, v5, v4 bitop3:0x54
	s_delay_alu instid0(VALU_DEP_1) | instskip(NEXT) | instid1(VALU_DEP_1)
	v_cvt_f32_i32_e32 v4, v4
	v_ldexp_f32 v4, v4, v5
	v_mov_b32_e32 v5, 0
	global_store_b64 v[0:1], v[4:5], off
.LBB70_3140:
	s_mov_b32 s0, 0
.LBB70_3141:
	s_delay_alu instid0(SALU_CYCLE_1)
	s_and_not1_b32 vcc_lo, exec_lo, s0
	s_cbranch_vccnz .LBB70_3143
; %bb.3142:
	s_wait_loadcnt 0x0
	v_xor_b32_e32 v4, v2, v3
	v_cls_i32_e32 v5, v3
	s_delay_alu instid0(VALU_DEP_2) | instskip(NEXT) | instid1(VALU_DEP_1)
	v_ashrrev_i32_e32 v4, 31, v4
	v_add_nc_u32_e32 v4, 32, v4
	s_delay_alu instid0(VALU_DEP_1) | instskip(NEXT) | instid1(VALU_DEP_1)
	v_add_min_u32_e64 v6, v5, -1, v4
	v_lshlrev_b64_e32 v[4:5], v6, v[2:3]
	s_delay_alu instid0(VALU_DEP_1) | instskip(NEXT) | instid1(VALU_DEP_1)
	v_min_u32_e32 v4, 1, v4
	v_dual_sub_nc_u32 v5, 32, v6 :: v_dual_bitop2_b32 v4, v5, v4 bitop3:0x54
	s_delay_alu instid0(VALU_DEP_1) | instskip(NEXT) | instid1(VALU_DEP_1)
	v_cvt_f32_i32_e32 v4, v4
	v_ldexp_f32 v4, v4, v5
	s_delay_alu instid0(VALU_DEP_1) | instskip(NEXT) | instid1(VALU_DEP_1)
	v_cvt_f16_f32_e32 v4, v4
	v_and_b32_e32 v4, 0xffff, v4
	global_store_b32 v[0:1], v4, off
.LBB70_3143:
	s_mov_b32 s0, 0
.LBB70_3144:
	s_delay_alu instid0(SALU_CYCLE_1)
	s_and_not1_b32 vcc_lo, exec_lo, s0
	s_cbranch_vccnz .LBB70_3153
; %bb.3145:
	s_sext_i32_i16 s1, s19
	s_mov_b32 s0, -1
	s_cmp_lt_i32 s1, 6
	s_cbranch_scc1 .LBB70_3151
; %bb.3146:
	s_cmp_gt_i32 s1, 6
	s_cbranch_scc0 .LBB70_3148
; %bb.3147:
	s_wait_loadcnt 0x0
	v_cvt_f64_i32_e32 v[4:5], v3
	v_cvt_f64_u32_e32 v[6:7], v2
	s_mov_b32 s0, 0
	s_delay_alu instid0(VALU_DEP_2) | instskip(NEXT) | instid1(VALU_DEP_1)
	v_ldexp_f64 v[4:5], v[4:5], 32
	v_add_f64_e32 v[4:5], v[4:5], v[6:7]
	global_store_b64 v[0:1], v[4:5], off
.LBB70_3148:
	s_and_not1_b32 vcc_lo, exec_lo, s0
	s_cbranch_vccnz .LBB70_3150
; %bb.3149:
	s_wait_loadcnt 0x0
	v_xor_b32_e32 v4, v2, v3
	v_cls_i32_e32 v5, v3
	s_delay_alu instid0(VALU_DEP_2) | instskip(NEXT) | instid1(VALU_DEP_1)
	v_ashrrev_i32_e32 v4, 31, v4
	v_add_nc_u32_e32 v4, 32, v4
	s_delay_alu instid0(VALU_DEP_1) | instskip(NEXT) | instid1(VALU_DEP_1)
	v_add_min_u32_e64 v6, v5, -1, v4
	v_lshlrev_b64_e32 v[4:5], v6, v[2:3]
	s_delay_alu instid0(VALU_DEP_1) | instskip(NEXT) | instid1(VALU_DEP_1)
	v_min_u32_e32 v4, 1, v4
	v_dual_sub_nc_u32 v5, 32, v6 :: v_dual_bitop2_b32 v4, v5, v4 bitop3:0x54
	s_delay_alu instid0(VALU_DEP_1) | instskip(NEXT) | instid1(VALU_DEP_1)
	v_cvt_f32_i32_e32 v4, v4
	v_ldexp_f32 v4, v4, v5
	global_store_b32 v[0:1], v4, off
.LBB70_3150:
	s_mov_b32 s0, 0
.LBB70_3151:
	s_delay_alu instid0(SALU_CYCLE_1)
	s_and_not1_b32 vcc_lo, exec_lo, s0
	s_cbranch_vccnz .LBB70_3153
; %bb.3152:
	s_wait_loadcnt 0x0
	v_xor_b32_e32 v4, v2, v3
	v_cls_i32_e32 v5, v3
	s_delay_alu instid0(VALU_DEP_2) | instskip(NEXT) | instid1(VALU_DEP_1)
	v_ashrrev_i32_e32 v4, 31, v4
	v_add_nc_u32_e32 v4, 32, v4
	s_delay_alu instid0(VALU_DEP_1) | instskip(NEXT) | instid1(VALU_DEP_1)
	v_add_min_u32_e64 v6, v5, -1, v4
	v_lshlrev_b64_e32 v[4:5], v6, v[2:3]
	s_delay_alu instid0(VALU_DEP_1) | instskip(NEXT) | instid1(VALU_DEP_1)
	v_min_u32_e32 v4, 1, v4
	v_dual_sub_nc_u32 v5, 32, v6 :: v_dual_bitop2_b32 v4, v5, v4 bitop3:0x54
	s_delay_alu instid0(VALU_DEP_1) | instskip(NEXT) | instid1(VALU_DEP_1)
	v_cvt_f32_i32_e32 v4, v4
	v_ldexp_f32 v4, v4, v5
	s_delay_alu instid0(VALU_DEP_1)
	v_cvt_f16_f32_e32 v4, v4
	global_store_b16 v[0:1], v4, off
.LBB70_3153:
	s_mov_b32 s0, 0
.LBB70_3154:
	s_delay_alu instid0(SALU_CYCLE_1)
	s_and_not1_b32 vcc_lo, exec_lo, s0
	s_cbranch_vccnz .LBB70_3170
; %bb.3155:
	s_sext_i32_i16 s1, s19
	s_mov_b32 s0, -1
	s_cmp_lt_i32 s1, 2
	s_cbranch_scc1 .LBB70_3165
; %bb.3156:
	s_cmp_lt_i32 s1, 3
	s_cbranch_scc1 .LBB70_3162
; %bb.3157:
	s_cmp_gt_i32 s1, 3
	s_cbranch_scc0 .LBB70_3159
; %bb.3158:
	s_mov_b32 s0, 0
	s_wait_loadcnt 0x0
	global_store_b64 v[0:1], v[2:3], off
.LBB70_3159:
	s_and_not1_b32 vcc_lo, exec_lo, s0
	s_cbranch_vccnz .LBB70_3161
; %bb.3160:
	s_wait_loadcnt 0x0
	global_store_b32 v[0:1], v2, off
.LBB70_3161:
	s_mov_b32 s0, 0
.LBB70_3162:
	s_delay_alu instid0(SALU_CYCLE_1)
	s_and_not1_b32 vcc_lo, exec_lo, s0
	s_cbranch_vccnz .LBB70_3164
; %bb.3163:
	s_wait_loadcnt 0x0
	global_store_b16 v[0:1], v2, off
.LBB70_3164:
	s_mov_b32 s0, 0
.LBB70_3165:
	s_delay_alu instid0(SALU_CYCLE_1)
	s_and_not1_b32 vcc_lo, exec_lo, s0
	s_cbranch_vccnz .LBB70_3170
; %bb.3166:
	s_sext_i32_i16 s0, s19
	s_delay_alu instid0(SALU_CYCLE_1)
	s_cmp_gt_i32 s0, 0
	s_mov_b32 s0, -1
	s_cbranch_scc0 .LBB70_3168
; %bb.3167:
	s_mov_b32 s0, 0
	s_wait_loadcnt 0x0
	global_store_b8 v[0:1], v2, off
.LBB70_3168:
	s_and_not1_b32 vcc_lo, exec_lo, s0
	s_cbranch_vccnz .LBB70_3170
; %bb.3169:
	s_wait_loadcnt 0x0
	global_store_b8 v[0:1], v2, off
	s_endpgm
.LBB70_3170:
	s_endpgm
.LBB70_3171:
	s_mov_b32 s2, 0
	s_mov_b32 s0, -1
	s_branch .LBB70_3127
.LBB70_3172:
	s_or_b32 s15, s15, exec_lo
	s_trap 2
	s_cbranch_execz .LBB70_2641
	s_branch .LBB70_2642
.LBB70_3173:
	s_and_not1_saveexec_b32 s9, s9
	s_cbranch_execz .LBB70_2721
.LBB70_3174:
	v_add_f32_e64 v18, 0x46000000, |v1|
	s_and_not1_b32 s8, s8, exec_lo
	s_delay_alu instid0(VALU_DEP_1) | instskip(NEXT) | instid1(VALU_DEP_1)
	v_and_b32_e32 v18, 0xff, v18
	v_cmp_ne_u32_e32 vcc_lo, 0, v18
	s_and_b32 s10, vcc_lo, exec_lo
	s_delay_alu instid0(SALU_CYCLE_1)
	s_or_b32 s8, s8, s10
	s_or_b32 exec_lo, exec_lo, s9
	v_mov_b32_e32 v19, 0
	s_and_saveexec_b32 s9, s8
	s_cbranch_execnz .LBB70_2722
	s_branch .LBB70_2723
.LBB70_3175:
	s_or_b32 s15, s15, exec_lo
	s_trap 2
	s_cbranch_execz .LBB70_2769
	s_branch .LBB70_2770
.LBB70_3176:
	s_and_not1_saveexec_b32 s8, s8
	s_cbranch_execz .LBB70_2734
.LBB70_3177:
	v_add_f32_e64 v18, 0x42800000, |v1|
	s_and_not1_b32 s5, s5, exec_lo
	s_delay_alu instid0(VALU_DEP_1) | instskip(NEXT) | instid1(VALU_DEP_1)
	v_and_b32_e32 v18, 0xff, v18
	v_cmp_ne_u32_e32 vcc_lo, 0, v18
	s_and_b32 s9, vcc_lo, exec_lo
	s_delay_alu instid0(SALU_CYCLE_1)
	s_or_b32 s5, s5, s9
	s_or_b32 exec_lo, exec_lo, s8
	v_mov_b32_e32 v19, 0
	s_and_saveexec_b32 s8, s5
	s_cbranch_execnz .LBB70_2735
	s_branch .LBB70_2736
.LBB70_3178:
	s_and_not1_saveexec_b32 s10, s10
	s_cbranch_execz .LBB70_2840
.LBB70_3179:
	v_add_f32_e64 v6, 0x46000000, |v1|
	s_and_not1_b32 s9, s9, exec_lo
	s_delay_alu instid0(VALU_DEP_1) | instskip(NEXT) | instid1(VALU_DEP_1)
	v_and_b32_e32 v6, 0xff, v6
	v_cmp_ne_u32_e32 vcc_lo, 0, v6
	s_and_b32 s11, vcc_lo, exec_lo
	s_delay_alu instid0(SALU_CYCLE_1)
	s_or_b32 s9, s9, s11
	s_or_b32 exec_lo, exec_lo, s10
	v_mov_b32_e32 v7, 0
	s_and_saveexec_b32 s10, s9
	s_cbranch_execnz .LBB70_2841
	s_branch .LBB70_2842
.LBB70_3180:
	s_or_b32 s15, s15, exec_lo
	s_trap 2
	s_cbranch_execz .LBB70_2888
	s_branch .LBB70_2889
.LBB70_3181:
	s_and_not1_saveexec_b32 s9, s9
	s_cbranch_execz .LBB70_2853
.LBB70_3182:
	v_add_f32_e64 v6, 0x42800000, |v1|
	s_and_not1_b32 s8, s8, exec_lo
	s_delay_alu instid0(VALU_DEP_1) | instskip(NEXT) | instid1(VALU_DEP_1)
	v_and_b32_e32 v6, 0xff, v6
	v_cmp_ne_u32_e32 vcc_lo, 0, v6
	s_and_b32 s10, vcc_lo, exec_lo
	s_delay_alu instid0(SALU_CYCLE_1)
	s_or_b32 s8, s8, s10
	s_or_b32 exec_lo, exec_lo, s9
	v_mov_b32_e32 v7, 0
	s_and_saveexec_b32 s9, s8
	s_cbranch_execnz .LBB70_2854
	s_branch .LBB70_2855
.LBB70_3183:
	s_and_not1_saveexec_b32 s10, s10
	s_cbranch_execz .LBB70_2959
.LBB70_3184:
	v_add_f32_e64 v6, 0x46000000, |v1|
	s_and_not1_b32 s9, s9, exec_lo
	s_delay_alu instid0(VALU_DEP_1) | instskip(NEXT) | instid1(VALU_DEP_1)
	v_and_b32_e32 v6, 0xff, v6
	v_cmp_ne_u32_e32 vcc_lo, 0, v6
	s_and_b32 s11, vcc_lo, exec_lo
	s_delay_alu instid0(SALU_CYCLE_1)
	s_or_b32 s9, s9, s11
	s_or_b32 exec_lo, exec_lo, s10
	v_mov_b32_e32 v7, 0
	s_and_saveexec_b32 s10, s9
	s_cbranch_execnz .LBB70_2960
	s_branch .LBB70_2961
.LBB70_3185:
	s_or_b32 s15, s15, exec_lo
	s_trap 2
	s_cbranch_execz .LBB70_3007
	s_branch .LBB70_3008
.LBB70_3186:
	s_and_not1_saveexec_b32 s9, s9
	s_cbranch_execz .LBB70_2972
.LBB70_3187:
	v_add_f32_e64 v6, 0x42800000, |v1|
	s_and_not1_b32 s8, s8, exec_lo
	s_delay_alu instid0(VALU_DEP_1) | instskip(NEXT) | instid1(VALU_DEP_1)
	v_and_b32_e32 v6, 0xff, v6
	v_cmp_ne_u32_e32 vcc_lo, 0, v6
	s_and_b32 s10, vcc_lo, exec_lo
	s_delay_alu instid0(SALU_CYCLE_1)
	s_or_b32 s8, s8, s10
	s_or_b32 exec_lo, exec_lo, s9
	v_mov_b32_e32 v7, 0
	s_and_saveexec_b32 s9, s8
	s_cbranch_execnz .LBB70_2973
	s_branch .LBB70_2974
.LBB70_3188:
	s_and_not1_saveexec_b32 s5, s5
	s_cbranch_execz .LBB70_3079
.LBB70_3189:
	v_add_f32_e64 v5, 0x46000000, |v4|
	s_and_not1_b32 s4, s4, exec_lo
	s_delay_alu instid0(VALU_DEP_1) | instskip(NEXT) | instid1(VALU_DEP_1)
	v_and_b32_e32 v5, 0xff, v5
	v_cmp_ne_u32_e32 vcc_lo, 0, v5
	s_and_b32 s6, vcc_lo, exec_lo
	s_delay_alu instid0(SALU_CYCLE_1)
	s_or_b32 s4, s4, s6
	s_or_b32 exec_lo, exec_lo, s5
	v_mov_b32_e32 v6, 0
	s_and_saveexec_b32 s5, s4
	s_cbranch_execnz .LBB70_3080
	s_branch .LBB70_3081
.LBB70_3190:
	s_mov_b32 s2, 0
	s_or_b32 s15, s15, exec_lo
	s_trap 2
	s_branch .LBB70_3125
.LBB70_3191:
	s_and_not1_saveexec_b32 s4, s4
	s_cbranch_execz .LBB70_3091
.LBB70_3192:
	v_add_f32_e64 v5, 0x42800000, |v4|
	s_and_not1_b32 s3, s3, exec_lo
	s_delay_alu instid0(VALU_DEP_1) | instskip(NEXT) | instid1(VALU_DEP_1)
	v_and_b32_e32 v5, 0xff, v5
	v_cmp_ne_u32_e32 vcc_lo, 0, v5
	s_and_b32 s5, vcc_lo, exec_lo
	s_delay_alu instid0(SALU_CYCLE_1)
	s_or_b32 s3, s3, s5
	s_or_b32 exec_lo, exec_lo, s4
	v_mov_b32_e32 v6, 0
	s_and_saveexec_b32 s4, s3
	s_cbranch_execnz .LBB70_3092
	s_branch .LBB70_3093
	.section	.rodata,"a",@progbits
	.p2align	6, 0x0
	.amdhsa_kernel _ZN2at6native32elementwise_kernel_manual_unrollILi128ELi4EZNS0_15gpu_kernel_implIZZZNS0_12_GLOBAL__N_116addr_kernel_cudaERNS_14TensorIteratorERKN3c106ScalarES9_ENKUlvE_clEvENKUlvE2_clEvEUllllE_EEvRNS_18TensorIteratorBaseERKT_EUlibE_EEviT1_
		.amdhsa_group_segment_fixed_size 0
		.amdhsa_private_segment_fixed_size 0
		.amdhsa_kernarg_size 72
		.amdhsa_user_sgpr_count 2
		.amdhsa_user_sgpr_dispatch_ptr 0
		.amdhsa_user_sgpr_queue_ptr 0
		.amdhsa_user_sgpr_kernarg_segment_ptr 1
		.amdhsa_user_sgpr_dispatch_id 0
		.amdhsa_user_sgpr_kernarg_preload_length 0
		.amdhsa_user_sgpr_kernarg_preload_offset 0
		.amdhsa_user_sgpr_private_segment_size 0
		.amdhsa_wavefront_size32 1
		.amdhsa_uses_dynamic_stack 0
		.amdhsa_enable_private_segment 0
		.amdhsa_system_sgpr_workgroup_id_x 1
		.amdhsa_system_sgpr_workgroup_id_y 0
		.amdhsa_system_sgpr_workgroup_id_z 0
		.amdhsa_system_sgpr_workgroup_info 0
		.amdhsa_system_vgpr_workitem_id 0
		.amdhsa_next_free_vgpr 24
		.amdhsa_next_free_sgpr 40
		.amdhsa_named_barrier_count 0
		.amdhsa_reserve_vcc 1
		.amdhsa_float_round_mode_32 0
		.amdhsa_float_round_mode_16_64 0
		.amdhsa_float_denorm_mode_32 3
		.amdhsa_float_denorm_mode_16_64 3
		.amdhsa_fp16_overflow 0
		.amdhsa_memory_ordered 1
		.amdhsa_forward_progress 1
		.amdhsa_inst_pref_size 255
		.amdhsa_round_robin_scheduling 0
		.amdhsa_exception_fp_ieee_invalid_op 0
		.amdhsa_exception_fp_denorm_src 0
		.amdhsa_exception_fp_ieee_div_zero 0
		.amdhsa_exception_fp_ieee_overflow 0
		.amdhsa_exception_fp_ieee_underflow 0
		.amdhsa_exception_fp_ieee_inexact 0
		.amdhsa_exception_int_div_zero 0
	.end_amdhsa_kernel
	.section	.text._ZN2at6native32elementwise_kernel_manual_unrollILi128ELi4EZNS0_15gpu_kernel_implIZZZNS0_12_GLOBAL__N_116addr_kernel_cudaERNS_14TensorIteratorERKN3c106ScalarES9_ENKUlvE_clEvENKUlvE2_clEvEUllllE_EEvRNS_18TensorIteratorBaseERKT_EUlibE_EEviT1_,"axG",@progbits,_ZN2at6native32elementwise_kernel_manual_unrollILi128ELi4EZNS0_15gpu_kernel_implIZZZNS0_12_GLOBAL__N_116addr_kernel_cudaERNS_14TensorIteratorERKN3c106ScalarES9_ENKUlvE_clEvENKUlvE2_clEvEUllllE_EEvRNS_18TensorIteratorBaseERKT_EUlibE_EEviT1_,comdat
.Lfunc_end70:
	.size	_ZN2at6native32elementwise_kernel_manual_unrollILi128ELi4EZNS0_15gpu_kernel_implIZZZNS0_12_GLOBAL__N_116addr_kernel_cudaERNS_14TensorIteratorERKN3c106ScalarES9_ENKUlvE_clEvENKUlvE2_clEvEUllllE_EEvRNS_18TensorIteratorBaseERKT_EUlibE_EEviT1_, .Lfunc_end70-_ZN2at6native32elementwise_kernel_manual_unrollILi128ELi4EZNS0_15gpu_kernel_implIZZZNS0_12_GLOBAL__N_116addr_kernel_cudaERNS_14TensorIteratorERKN3c106ScalarES9_ENKUlvE_clEvENKUlvE2_clEvEUllllE_EEvRNS_18TensorIteratorBaseERKT_EUlibE_EEviT1_
                                        ; -- End function
	.set _ZN2at6native32elementwise_kernel_manual_unrollILi128ELi4EZNS0_15gpu_kernel_implIZZZNS0_12_GLOBAL__N_116addr_kernel_cudaERNS_14TensorIteratorERKN3c106ScalarES9_ENKUlvE_clEvENKUlvE2_clEvEUllllE_EEvRNS_18TensorIteratorBaseERKT_EUlibE_EEviT1_.num_vgpr, 24
	.set _ZN2at6native32elementwise_kernel_manual_unrollILi128ELi4EZNS0_15gpu_kernel_implIZZZNS0_12_GLOBAL__N_116addr_kernel_cudaERNS_14TensorIteratorERKN3c106ScalarES9_ENKUlvE_clEvENKUlvE2_clEvEUllllE_EEvRNS_18TensorIteratorBaseERKT_EUlibE_EEviT1_.num_agpr, 0
	.set _ZN2at6native32elementwise_kernel_manual_unrollILi128ELi4EZNS0_15gpu_kernel_implIZZZNS0_12_GLOBAL__N_116addr_kernel_cudaERNS_14TensorIteratorERKN3c106ScalarES9_ENKUlvE_clEvENKUlvE2_clEvEUllllE_EEvRNS_18TensorIteratorBaseERKT_EUlibE_EEviT1_.numbered_sgpr, 40
	.set _ZN2at6native32elementwise_kernel_manual_unrollILi128ELi4EZNS0_15gpu_kernel_implIZZZNS0_12_GLOBAL__N_116addr_kernel_cudaERNS_14TensorIteratorERKN3c106ScalarES9_ENKUlvE_clEvENKUlvE2_clEvEUllllE_EEvRNS_18TensorIteratorBaseERKT_EUlibE_EEviT1_.num_named_barrier, 0
	.set _ZN2at6native32elementwise_kernel_manual_unrollILi128ELi4EZNS0_15gpu_kernel_implIZZZNS0_12_GLOBAL__N_116addr_kernel_cudaERNS_14TensorIteratorERKN3c106ScalarES9_ENKUlvE_clEvENKUlvE2_clEvEUllllE_EEvRNS_18TensorIteratorBaseERKT_EUlibE_EEviT1_.private_seg_size, 0
	.set _ZN2at6native32elementwise_kernel_manual_unrollILi128ELi4EZNS0_15gpu_kernel_implIZZZNS0_12_GLOBAL__N_116addr_kernel_cudaERNS_14TensorIteratorERKN3c106ScalarES9_ENKUlvE_clEvENKUlvE2_clEvEUllllE_EEvRNS_18TensorIteratorBaseERKT_EUlibE_EEviT1_.uses_vcc, 1
	.set _ZN2at6native32elementwise_kernel_manual_unrollILi128ELi4EZNS0_15gpu_kernel_implIZZZNS0_12_GLOBAL__N_116addr_kernel_cudaERNS_14TensorIteratorERKN3c106ScalarES9_ENKUlvE_clEvENKUlvE2_clEvEUllllE_EEvRNS_18TensorIteratorBaseERKT_EUlibE_EEviT1_.uses_flat_scratch, 0
	.set _ZN2at6native32elementwise_kernel_manual_unrollILi128ELi4EZNS0_15gpu_kernel_implIZZZNS0_12_GLOBAL__N_116addr_kernel_cudaERNS_14TensorIteratorERKN3c106ScalarES9_ENKUlvE_clEvENKUlvE2_clEvEUllllE_EEvRNS_18TensorIteratorBaseERKT_EUlibE_EEviT1_.has_dyn_sized_stack, 0
	.set _ZN2at6native32elementwise_kernel_manual_unrollILi128ELi4EZNS0_15gpu_kernel_implIZZZNS0_12_GLOBAL__N_116addr_kernel_cudaERNS_14TensorIteratorERKN3c106ScalarES9_ENKUlvE_clEvENKUlvE2_clEvEUllllE_EEvRNS_18TensorIteratorBaseERKT_EUlibE_EEviT1_.has_recursion, 0
	.set _ZN2at6native32elementwise_kernel_manual_unrollILi128ELi4EZNS0_15gpu_kernel_implIZZZNS0_12_GLOBAL__N_116addr_kernel_cudaERNS_14TensorIteratorERKN3c106ScalarES9_ENKUlvE_clEvENKUlvE2_clEvEUllllE_EEvRNS_18TensorIteratorBaseERKT_EUlibE_EEviT1_.has_indirect_call, 0
	.section	.AMDGPU.csdata,"",@progbits
; Kernel info:
; codeLenInByte = 74548
; TotalNumSgprs: 42
; NumVgprs: 24
; ScratchSize: 0
; MemoryBound: 1
; FloatMode: 240
; IeeeMode: 1
; LDSByteSize: 0 bytes/workgroup (compile time only)
; SGPRBlocks: 0
; VGPRBlocks: 1
; NumSGPRsForWavesPerEU: 42
; NumVGPRsForWavesPerEU: 24
; NamedBarCnt: 0
; Occupancy: 16
; WaveLimiterHint : 0
; COMPUTE_PGM_RSRC2:SCRATCH_EN: 0
; COMPUTE_PGM_RSRC2:USER_SGPR: 2
; COMPUTE_PGM_RSRC2:TRAP_HANDLER: 0
; COMPUTE_PGM_RSRC2:TGID_X_EN: 1
; COMPUTE_PGM_RSRC2:TGID_Y_EN: 0
; COMPUTE_PGM_RSRC2:TGID_Z_EN: 0
; COMPUTE_PGM_RSRC2:TIDIG_COMP_CNT: 0
	.section	.text._ZN2at6native32elementwise_kernel_manual_unrollILi128ELi4EZNS0_15gpu_kernel_implIZZZNS0_12_GLOBAL__N_116addr_kernel_cudaERNS_14TensorIteratorERKN3c106ScalarES9_ENKUlvE_clEvENKUlvE2_clEvEUllllE_EEvRNS_18TensorIteratorBaseERKT_EUlibE0_EEviT1_,"axG",@progbits,_ZN2at6native32elementwise_kernel_manual_unrollILi128ELi4EZNS0_15gpu_kernel_implIZZZNS0_12_GLOBAL__N_116addr_kernel_cudaERNS_14TensorIteratorERKN3c106ScalarES9_ENKUlvE_clEvENKUlvE2_clEvEUllllE_EEvRNS_18TensorIteratorBaseERKT_EUlibE0_EEviT1_,comdat
	.globl	_ZN2at6native32elementwise_kernel_manual_unrollILi128ELi4EZNS0_15gpu_kernel_implIZZZNS0_12_GLOBAL__N_116addr_kernel_cudaERNS_14TensorIteratorERKN3c106ScalarES9_ENKUlvE_clEvENKUlvE2_clEvEUllllE_EEvRNS_18TensorIteratorBaseERKT_EUlibE0_EEviT1_ ; -- Begin function _ZN2at6native32elementwise_kernel_manual_unrollILi128ELi4EZNS0_15gpu_kernel_implIZZZNS0_12_GLOBAL__N_116addr_kernel_cudaERNS_14TensorIteratorERKN3c106ScalarES9_ENKUlvE_clEvENKUlvE2_clEvEUllllE_EEvRNS_18TensorIteratorBaseERKT_EUlibE0_EEviT1_
	.p2align	8
	.type	_ZN2at6native32elementwise_kernel_manual_unrollILi128ELi4EZNS0_15gpu_kernel_implIZZZNS0_12_GLOBAL__N_116addr_kernel_cudaERNS_14TensorIteratorERKN3c106ScalarES9_ENKUlvE_clEvENKUlvE2_clEvEUllllE_EEvRNS_18TensorIteratorBaseERKT_EUlibE0_EEviT1_,@function
_ZN2at6native32elementwise_kernel_manual_unrollILi128ELi4EZNS0_15gpu_kernel_implIZZZNS0_12_GLOBAL__N_116addr_kernel_cudaERNS_14TensorIteratorERKN3c106ScalarES9_ENKUlvE_clEvENKUlvE2_clEvEUllllE_EEvRNS_18TensorIteratorBaseERKT_EUlibE0_EEviT1_: ; @_ZN2at6native32elementwise_kernel_manual_unrollILi128ELi4EZNS0_15gpu_kernel_implIZZZNS0_12_GLOBAL__N_116addr_kernel_cudaERNS_14TensorIteratorERKN3c106ScalarES9_ENKUlvE_clEvENKUlvE2_clEvEUllllE_EEvRNS_18TensorIteratorBaseERKT_EUlibE0_EEviT1_
; %bb.0:
	s_clause 0x1
	s_load_b32 s15, s[0:1], 0x8
	s_load_b32 s41, s[0:1], 0x0
	s_bfe_u32 s2, ttmp6, 0x4000c
	s_and_b32 s3, ttmp6, 15
	s_add_co_i32 s2, s2, 1
	s_getreg_b32 s4, hwreg(HW_REG_IB_STS2, 6, 4)
	s_mul_i32 s2, ttmp9, s2
	s_mov_b32 s33, 0
	s_add_co_i32 s3, s3, s2
	s_cmp_eq_u32 s4, 0
	s_mov_b32 s28, -1
	s_cselect_b32 s2, ttmp9, s3
	s_mov_b32 s7, 0
	v_lshl_or_b32 v0, s2, 9, v0
	s_add_nc_u64 s[2:3], s[0:1], 8
	s_wait_xcnt 0x0
	s_mov_b32 s0, exec_lo
	s_delay_alu instid0(VALU_DEP_1) | instskip(SKIP_2) | instid1(SALU_CYCLE_1)
	v_or_b32_e32 v1, 0x180, v0
	s_wait_kmcnt 0x0
	s_add_co_i32 s19, s15, -1
	s_cmp_gt_u32 s19, 1
	s_cselect_b32 s34, -1, 0
	v_cmpx_le_i32_e64 s41, v1
	s_xor_b32 s35, exec_lo, s0
	s_cbranch_execz .LBB71_1638
; %bb.1:
	s_clause 0x7
	s_load_b128 s[8:11], s[2:3], 0x4
	s_load_b64 s[0:1], s[2:3], 0x14
	s_load_b96 s[12:14], s[2:3], 0x1e8
	s_load_b32 s38, s[2:3], 0xc4
	s_load_b96 s[16:18], s[2:3], 0xcc
	s_load_b64 s[24:25], s[2:3], 0xdc
	s_load_b64 s[20:21], s[2:3], 0x1c8
	s_load_b128 s[4:7], s[2:3], 0x1d8
	s_cmp_lg_u32 s15, 0
	s_mov_b32 s23, 0
	s_cselect_b32 s42, -1, 0
	s_min_u32 s40, s19, 15
	s_cmp_gt_u32 s15, 1
	s_mov_b32 s27, s23
	s_cselect_b32 s39, -1, 0
	s_mov_b32 s46, s23
	s_mov_b32 s45, s23
	;; [unrolled: 1-line block ×4, first 2 shown]
	s_mov_b32 s47, exec_lo
	s_wait_kmcnt 0x0
	s_mov_b32 s22, s9
	s_mov_b32 s26, s0
	s_lshr_b32 s36, s14, 16
	s_lshr_b32 s37, s14, 8
	s_lshr_b32 s9, s14, 24
	v_cmpx_gt_i32_e64 s41, v0
	s_cbranch_execz .LBB71_405
; %bb.2:
	s_and_not1_b32 vcc_lo, exec_lo, s34
	s_cbranch_vccnz .LBB71_8
; %bb.3:
	s_and_not1_b32 vcc_lo, exec_lo, s42
	s_cbranch_vccnz .LBB71_9
; %bb.4:
	v_dual_mov_b32 v2, 0 :: v_dual_mov_b32 v1, v0
	v_dual_mov_b32 v4, 0 :: v_dual_mov_b32 v6, 0
	s_add_co_i32 s0, s40, 1
	s_mov_b64 s[28:29], 0xffffffffffffffe0
	s_and_b32 s0, s0, 30
	s_add_nc_u64 s[28:29], s[2:3], s[28:29]
	s_mov_b64 s[30:31], s[2:3]
.LBB71_5:                               ; =>This Inner Loop Header: Depth=1
	s_clause 0x1
	s_load_b128 s[48:51], s[30:31], 0x4
	s_load_b64 s[52:53], s[30:31], 0x14
	s_clause 0x1
	s_load_b32 s43, s[28:29], 0xe4
	s_load_b96 s[44:46], s[28:29], 0xec
	s_add_co_i32 s0, s0, -2
	s_wait_xcnt 0x0
	s_add_nc_u64 s[30:31], s[30:31], 24
	s_cmp_lg_u32 s0, 0
	s_wait_kmcnt 0x0
	v_mul_hi_u32 v3, s49, v1
	s_delay_alu instid0(VALU_DEP_1) | instskip(NEXT) | instid1(VALU_DEP_1)
	v_add_nc_u32_e32 v3, v1, v3
	v_lshrrev_b32_e32 v3, s50, v3
	s_delay_alu instid0(VALU_DEP_1) | instskip(SKIP_4) | instid1(VALU_DEP_1)
	v_mul_hi_u32 v5, s52, v3
	v_mul_lo_u32 v7, v3, s48
	s_load_b64 s[48:49], s[28:29], 0xfc
	s_wait_xcnt 0x0
	s_add_nc_u64 s[28:29], s[28:29], 32
	v_dual_add_nc_u32 v5, v3, v5 :: v_dual_sub_nc_u32 v7, v1, v7
	s_delay_alu instid0(VALU_DEP_1) | instskip(NEXT) | instid1(VALU_DEP_2)
	v_lshrrev_b32_e32 v1, s53, v5
	v_mad_u32 v2, v7, s43, v2
	v_mad_u32 v6, v7, s45, v6
	;; [unrolled: 1-line block ×3, first 2 shown]
	s_delay_alu instid0(VALU_DEP_4) | instskip(NEXT) | instid1(VALU_DEP_1)
	v_mul_lo_u32 v5, v1, s51
	v_sub_nc_u32_e32 v3, v3, v5
	s_delay_alu instid0(VALU_DEP_1)
	v_mad_u32 v2, v3, s46, v2
	s_wait_kmcnt 0x0
	v_mad_u32 v6, v3, s49, v6
	v_mad_u32 v4, v3, s48, v4
	s_cbranch_scc1 .LBB71_5
; %bb.6:
	s_bitcmp1_b32 s40, 0
	s_cselect_b32 s0, -1, 0
	s_delay_alu instid0(SALU_CYCLE_1)
	s_and_b32 vcc_lo, exec_lo, s0
	s_cbranch_vccnz .LBB71_10
; %bb.7:
	s_load_b96 s[44:46], s[30:31], 0x4
	s_load_b32 s0, s[28:29], 0xe4
	s_wait_xcnt 0x0
	s_load_b64 s[30:31], s[28:29], 0xec
	s_wait_kmcnt 0x0
	v_mul_hi_u32 v3, s45, v1
	s_delay_alu instid0(VALU_DEP_1) | instskip(NEXT) | instid1(VALU_DEP_1)
	v_add_nc_u32_e32 v3, v1, v3
	v_lshrrev_b32_e32 v3, s46, v3
	s_delay_alu instid0(VALU_DEP_1) | instskip(NEXT) | instid1(VALU_DEP_1)
	v_mul_lo_u32 v3, v3, s44
	v_sub_nc_u32_e32 v1, v1, v3
	s_delay_alu instid0(VALU_DEP_1)
	v_mad_u32 v2, v1, s0, v2
	v_mad_u32 v4, v1, s30, v4
	;; [unrolled: 1-line block ×3, first 2 shown]
	s_cbranch_execz .LBB71_11
	s_branch .LBB71_13
.LBB71_8:
                                        ; implicit-def: $vgpr6
                                        ; implicit-def: $vgpr4
                                        ; implicit-def: $vgpr2
	s_branch .LBB71_11
.LBB71_9:
	v_dual_mov_b32 v6, 0 :: v_dual_mov_b32 v4, 0
	v_mov_b32_e32 v2, 0
.LBB71_10:
	s_cbranch_execnz .LBB71_13
.LBB71_11:
	v_mov_b32_e32 v1, 0
	s_and_not1_b32 vcc_lo, exec_lo, s39
	s_delay_alu instid0(VALU_DEP_1) | instskip(NEXT) | instid1(VALU_DEP_1)
	v_mul_u64_e32 v[2:3], s[22:23], v[0:1]
	v_add_nc_u32_e32 v2, v0, v3
	s_delay_alu instid0(VALU_DEP_1) | instskip(NEXT) | instid1(VALU_DEP_1)
	v_lshrrev_b32_e32 v8, s10, v2
	v_mul_lo_u32 v2, v8, s8
	s_delay_alu instid0(VALU_DEP_1) | instskip(NEXT) | instid1(VALU_DEP_1)
	v_sub_nc_u32_e32 v3, v0, v2
	v_mul_lo_u32 v2, v3, s38
	v_mul_lo_u32 v6, v3, s17
	;; [unrolled: 1-line block ×3, first 2 shown]
	s_cbranch_vccnz .LBB71_13
; %bb.12:
	v_mov_b32_e32 v9, v1
	s_delay_alu instid0(VALU_DEP_1) | instskip(NEXT) | instid1(VALU_DEP_1)
	v_mul_u64_e32 v[10:11], s[26:27], v[8:9]
	v_add_nc_u32_e32 v1, v8, v11
	s_delay_alu instid0(VALU_DEP_1) | instskip(NEXT) | instid1(VALU_DEP_1)
	v_lshrrev_b32_e32 v1, s1, v1
	v_mul_lo_u32 v1, v1, s11
	s_delay_alu instid0(VALU_DEP_1) | instskip(NEXT) | instid1(VALU_DEP_1)
	v_sub_nc_u32_e32 v1, v8, v1
	v_mad_u32 v2, v1, s18, v2
	v_mad_u32 v4, v1, s24, v4
	;; [unrolled: 1-line block ×3, first 2 shown]
.LBB71_13:
	s_and_b32 s28, s37, 0xff
	s_delay_alu instid0(SALU_CYCLE_1)
	s_cmp_lt_i32 s28, 23
	s_cbranch_scc1 .LBB71_17
; %bb.14:
	s_and_b32 s30, 0xffff, s28
	s_delay_alu instid0(SALU_CYCLE_1)
	s_cmp_gt_i32 s30, 43
	s_cbranch_scc0 .LBB71_18
; %bb.15:
	s_cmp_gt_i32 s30, 45
	s_cbranch_scc0 .LBB71_19
; %bb.16:
	s_cmp_eq_u32 s30, 46
	s_mov_b32 s31, 0
	s_mov_b32 s29, -1
	s_cselect_b32 s0, -1, 0
	s_branch .LBB71_20
.LBB71_17:
	s_mov_b32 s29, 0
	s_mov_b32 s0, 0
	s_cbranch_execnz .LBB71_25
	s_branch .LBB71_29
.LBB71_18:
	s_mov_b32 s29, 0
	s_mov_b32 s0, 0
	s_cbranch_execnz .LBB71_23
	s_branch .LBB71_24
.LBB71_19:
	s_mov_b32 s31, -1
	s_mov_b32 s29, 0
	s_mov_b32 s0, 0
.LBB71_20:
	s_and_not1_b32 vcc_lo, exec_lo, s31
	s_cbranch_vccnz .LBB71_22
; %bb.21:
	s_cmp_eq_u32 s30, 44
	s_cselect_b32 s0, -1, 0
	s_cmp_lg_u32 s30, 44
	s_cselect_b32 s29, -1, 0
.LBB71_22:
	s_branch .LBB71_24
.LBB71_23:
	s_cmp_lt_i32 s30, 30
	s_cselect_b32 s0, -1, 0
	s_cmp_gt_i32 s30, 29
	s_cselect_b32 s29, -1, 0
.LBB71_24:
	s_branch .LBB71_29
.LBB71_25:
	s_and_b32 s28, 0xffff, s28
	s_mov_b32 s30, -1
	s_cmp_gt_i32 s28, 14
	s_cbranch_scc0 .LBB71_27
; %bb.26:
	s_cmp_eq_u32 s28, 15
	s_mov_b32 s30, 0
	s_cselect_b32 s0, -1, 0
	s_cmp_lg_u32 s28, 15
	s_cselect_b32 s29, -1, 0
.LBB71_27:
	s_and_not1_b32 vcc_lo, exec_lo, s30
	s_cbranch_vccnz .LBB71_29
; %bb.28:
	s_cmp_lt_i32 s28, 12
	s_cselect_b32 s0, -1, 0
	s_cmp_gt_i32 s28, 11
	s_cselect_b32 s29, -1, 0
.LBB71_29:
	s_and_b32 vcc_lo, exec_lo, s0
	s_cbranch_vccz .LBB71_37
; %bb.30:
	v_mov_b32_e32 v5, 0
	s_and_b32 s0, s36, 0xff
	s_delay_alu instid0(SALU_CYCLE_1) | instskip(NEXT) | instid1(VALU_DEP_1)
	s_cmp_lt_i32 s0, 11
	v_add_nc_u64_e32 v[8:9], s[4:5], v[4:5]
	s_cbranch_scc1 .LBB71_39
; %bb.31:
	s_and_b32 s29, 0xffff, s0
	s_delay_alu instid0(SALU_CYCLE_1)
	s_cmp_gt_i32 s29, 25
	s_cbranch_scc0 .LBB71_40
; %bb.32:
	s_cmp_gt_i32 s29, 28
	s_cbranch_scc0 .LBB71_41
; %bb.33:
	;; [unrolled: 3-line block ×4, first 2 shown]
	s_cmp_eq_u32 s29, 46
	s_mov_b32 s31, 0
	s_cbranch_scc0 .LBB71_44
; %bb.36:
	global_load_b32 v1, v[8:9], off
	s_mov_b32 s30, -1
	s_mov_b32 s28, 0
	s_wait_loadcnt 0x0
	v_lshlrev_b32_e32 v1, 16, v1
	s_delay_alu instid0(VALU_DEP_1) | instskip(NEXT) | instid1(VALU_DEP_1)
	v_trunc_f32_e32 v1, v1
	v_mul_f32_e64 v3, 0x2f800000, |v1|
	v_ashrrev_i32_e32 v4, 31, v1
	s_delay_alu instid0(VALU_DEP_2) | instskip(NEXT) | instid1(VALU_DEP_1)
	v_floor_f32_e32 v3, v3
	v_fma_f32 v5, 0xcf800000, v3, |v1|
	v_cvt_u32_f32_e32 v1, v3
	s_delay_alu instid0(VALU_DEP_2) | instskip(NEXT) | instid1(VALU_DEP_2)
	v_cvt_u32_f32_e32 v3, v5
	v_dual_mov_b32 v5, v4 :: v_dual_bitop2_b32 v11, v1, v4 bitop3:0x14
	s_delay_alu instid0(VALU_DEP_2) | instskip(NEXT) | instid1(VALU_DEP_1)
	v_xor_b32_e32 v10, v3, v4
	v_sub_nc_u64_e32 v[4:5], v[10:11], v[4:5]
	s_branch .LBB71_46
.LBB71_37:
	s_mov_b32 s0, 0
	s_mov_b32 s30, 0
	;; [unrolled: 1-line block ×3, first 2 shown]
.LBB71_38:
	s_mov_b32 s31, 0
                                        ; implicit-def: $vgpr0
	s_branch .LBB71_404
.LBB71_39:
	s_mov_b32 s28, 0
	s_mov_b32 s30, 0
                                        ; implicit-def: $vgpr4_vgpr5
	s_cbranch_execnz .LBB71_107
	s_branch .LBB71_155
.LBB71_40:
	s_mov_b32 s31, -1
	s_mov_b32 s28, 0
	s_mov_b32 s30, 0
                                        ; implicit-def: $vgpr4_vgpr5
	s_branch .LBB71_73
.LBB71_41:
	s_mov_b32 s31, -1
	s_mov_b32 s28, 0
	s_mov_b32 s30, 0
                                        ; implicit-def: $vgpr4_vgpr5
	s_branch .LBB71_56
.LBB71_42:
	s_mov_b32 s31, -1
	s_mov_b32 s28, 0
	s_mov_b32 s30, 0
                                        ; implicit-def: $vgpr4_vgpr5
	s_branch .LBB71_51
.LBB71_43:
	s_mov_b32 s31, -1
	s_mov_b32 s28, 0
	s_branch .LBB71_45
.LBB71_44:
	s_mov_b32 s28, -1
.LBB71_45:
	s_mov_b32 s30, 0
                                        ; implicit-def: $vgpr4_vgpr5
.LBB71_46:
	s_and_b32 vcc_lo, exec_lo, s31
	s_cbranch_vccz .LBB71_50
; %bb.47:
	s_cmp_eq_u32 s29, 44
	s_cbranch_scc0 .LBB71_49
; %bb.48:
	global_load_u8 v1, v[8:9], off
	s_mov_b32 s28, 0
	s_mov_b32 s30, -1
	s_wait_loadcnt 0x0
	v_lshlrev_b32_e32 v3, 23, v1
	v_cmp_ne_u32_e32 vcc_lo, 0, v1
	s_delay_alu instid0(VALU_DEP_2) | instskip(NEXT) | instid1(VALU_DEP_1)
	v_trunc_f32_e32 v3, v3
	v_mul_f32_e64 v4, 0x2f800000, |v3|
	s_delay_alu instid0(VALU_DEP_1) | instskip(SKIP_1) | instid1(VALU_DEP_2)
	v_floor_f32_e32 v5, v4
	v_ashrrev_i32_e32 v4, 31, v3
	v_fma_f32 v7, 0xcf800000, v5, |v3|
	v_cvt_u32_f32_e32 v3, v5
	s_delay_alu instid0(VALU_DEP_3) | instskip(NEXT) | instid1(VALU_DEP_3)
	v_mov_b32_e32 v5, v4
	v_cvt_u32_f32_e32 v7, v7
	s_delay_alu instid0(VALU_DEP_3) | instskip(NEXT) | instid1(VALU_DEP_2)
	v_xor_b32_e32 v11, v3, v4
	v_xor_b32_e32 v10, v7, v4
	s_delay_alu instid0(VALU_DEP_1) | instskip(NEXT) | instid1(VALU_DEP_1)
	v_sub_nc_u64_e32 v[4:5], v[10:11], v[4:5]
	v_dual_cndmask_b32 v5, 0, v5 :: v_dual_cndmask_b32 v4, 0, v4
	s_branch .LBB71_50
.LBB71_49:
	s_mov_b32 s28, -1
                                        ; implicit-def: $vgpr4_vgpr5
.LBB71_50:
	s_mov_b32 s31, 0
.LBB71_51:
	s_delay_alu instid0(SALU_CYCLE_1)
	s_and_b32 vcc_lo, exec_lo, s31
	s_cbranch_vccz .LBB71_55
; %bb.52:
	s_cmp_eq_u32 s29, 29
	s_cbranch_scc0 .LBB71_54
; %bb.53:
	global_load_b64 v[4:5], v[8:9], off
	s_mov_b32 s30, -1
	s_mov_b32 s28, 0
	s_branch .LBB71_55
.LBB71_54:
	s_mov_b32 s28, -1
                                        ; implicit-def: $vgpr4_vgpr5
.LBB71_55:
	s_mov_b32 s31, 0
.LBB71_56:
	s_delay_alu instid0(SALU_CYCLE_1)
	s_and_b32 vcc_lo, exec_lo, s31
	s_cbranch_vccz .LBB71_72
; %bb.57:
	s_cmp_lt_i32 s29, 27
	s_cbranch_scc1 .LBB71_60
; %bb.58:
	s_cmp_gt_i32 s29, 27
	s_cbranch_scc0 .LBB71_61
; %bb.59:
	s_wait_loadcnt 0x0
	global_load_b32 v4, v[8:9], off
	v_mov_b32_e32 v5, 0
	s_mov_b32 s30, 0
	s_branch .LBB71_62
.LBB71_60:
	s_mov_b32 s30, -1
                                        ; implicit-def: $vgpr4_vgpr5
	s_branch .LBB71_65
.LBB71_61:
	s_mov_b32 s30, -1
                                        ; implicit-def: $vgpr4_vgpr5
.LBB71_62:
	s_delay_alu instid0(SALU_CYCLE_1)
	s_and_not1_b32 vcc_lo, exec_lo, s30
	s_cbranch_vccnz .LBB71_64
; %bb.63:
	global_load_u16 v1, v[8:9], off
	s_mov_b32 s30, 0
	s_wait_loadcnt 0x1
	v_mov_b32_e32 v5, s30
	s_wait_loadcnt 0x0
	v_and_b32_e32 v4, 0xffff, v1
.LBB71_64:
	s_mov_b32 s30, 0
.LBB71_65:
	s_delay_alu instid0(SALU_CYCLE_1)
	s_and_not1_b32 vcc_lo, exec_lo, s30
	s_cbranch_vccnz .LBB71_71
; %bb.66:
	global_load_u8 v1, v[8:9], off
	s_mov_b32 s31, 0
	s_mov_b32 s30, exec_lo
	s_wait_loadcnt 0x0
	v_cmpx_lt_i16_e32 0x7f, v1
	s_xor_b32 s30, exec_lo, s30
	s_cbranch_execz .LBB71_83
; %bb.67:
	v_cmp_ne_u16_e32 vcc_lo, 0x80, v1
	s_and_b32 s31, vcc_lo, exec_lo
	s_and_not1_saveexec_b32 s30, s30
	s_cbranch_execnz .LBB71_84
.LBB71_68:
	s_or_b32 exec_lo, exec_lo, s30
	v_mov_b64_e32 v[4:5], 0
	s_and_saveexec_b32 s30, s31
	s_cbranch_execz .LBB71_70
.LBB71_69:
	v_and_b32_e32 v3, 0xffff, v1
	s_delay_alu instid0(VALU_DEP_1) | instskip(SKIP_1) | instid1(VALU_DEP_2)
	v_and_b32_e32 v4, 7, v3
	v_bfe_u32 v10, v3, 3, 4
	v_clz_i32_u32_e32 v5, v4
	s_delay_alu instid0(VALU_DEP_2) | instskip(NEXT) | instid1(VALU_DEP_2)
	v_cmp_eq_u32_e32 vcc_lo, 0, v10
	v_min_u32_e32 v5, 32, v5
	s_delay_alu instid0(VALU_DEP_1) | instskip(NEXT) | instid1(VALU_DEP_1)
	v_subrev_nc_u32_e32 v7, 28, v5
	v_dual_lshlrev_b32 v3, v7, v3 :: v_dual_sub_nc_u32 v5, 29, v5
	s_delay_alu instid0(VALU_DEP_1) | instskip(NEXT) | instid1(VALU_DEP_1)
	v_dual_lshlrev_b32 v1, 24, v1 :: v_dual_bitop2_b32 v3, 7, v3 bitop3:0x40
	v_dual_cndmask_b32 v3, v4, v3, vcc_lo :: v_dual_cndmask_b32 v5, v10, v5, vcc_lo
	s_delay_alu instid0(VALU_DEP_2) | instskip(NEXT) | instid1(VALU_DEP_2)
	v_and_b32_e32 v1, 0x80000000, v1
	v_lshlrev_b32_e32 v3, 20, v3
	s_delay_alu instid0(VALU_DEP_3) | instskip(NEXT) | instid1(VALU_DEP_1)
	v_lshl_add_u32 v4, v5, 23, 0x3b800000
	v_or3_b32 v1, v1, v4, v3
	s_delay_alu instid0(VALU_DEP_1) | instskip(NEXT) | instid1(VALU_DEP_1)
	v_trunc_f32_e32 v1, v1
	v_mul_f32_e64 v3, 0x2f800000, |v1|
	v_ashrrev_i32_e32 v4, 31, v1
	s_delay_alu instid0(VALU_DEP_2) | instskip(NEXT) | instid1(VALU_DEP_1)
	v_floor_f32_e32 v3, v3
	v_fma_f32 v5, 0xcf800000, v3, |v1|
	v_cvt_u32_f32_e32 v1, v3
	s_delay_alu instid0(VALU_DEP_2) | instskip(NEXT) | instid1(VALU_DEP_2)
	v_cvt_u32_f32_e32 v3, v5
	v_dual_mov_b32 v5, v4 :: v_dual_bitop2_b32 v11, v1, v4 bitop3:0x14
	s_delay_alu instid0(VALU_DEP_2) | instskip(NEXT) | instid1(VALU_DEP_1)
	v_xor_b32_e32 v10, v3, v4
	v_sub_nc_u64_e32 v[4:5], v[10:11], v[4:5]
.LBB71_70:
	s_or_b32 exec_lo, exec_lo, s30
.LBB71_71:
	s_mov_b32 s30, -1
.LBB71_72:
	s_mov_b32 s31, 0
.LBB71_73:
	s_delay_alu instid0(SALU_CYCLE_1)
	s_and_b32 vcc_lo, exec_lo, s31
	s_cbranch_vccz .LBB71_106
; %bb.74:
	s_cmp_gt_i32 s29, 22
	s_cbranch_scc0 .LBB71_82
; %bb.75:
	s_cmp_lt_i32 s29, 24
	s_cbranch_scc1 .LBB71_85
; %bb.76:
	s_cmp_gt_i32 s29, 24
	s_cbranch_scc0 .LBB71_86
; %bb.77:
	global_load_u8 v1, v[8:9], off
	s_mov_b32 s31, 0
	s_mov_b32 s30, exec_lo
	s_wait_loadcnt 0x0
	v_cmpx_lt_i16_e32 0x7f, v1
	s_xor_b32 s30, exec_lo, s30
	s_cbranch_execz .LBB71_98
; %bb.78:
	v_cmp_ne_u16_e32 vcc_lo, 0x80, v1
	s_and_b32 s31, vcc_lo, exec_lo
	s_and_not1_saveexec_b32 s30, s30
	s_cbranch_execnz .LBB71_99
.LBB71_79:
	s_or_b32 exec_lo, exec_lo, s30
	v_mov_b64_e32 v[4:5], 0
	s_and_saveexec_b32 s30, s31
	s_cbranch_execz .LBB71_81
.LBB71_80:
	v_and_b32_e32 v3, 0xffff, v1
	s_delay_alu instid0(VALU_DEP_1) | instskip(SKIP_1) | instid1(VALU_DEP_2)
	v_and_b32_e32 v4, 3, v3
	v_bfe_u32 v10, v3, 2, 5
	v_clz_i32_u32_e32 v5, v4
	s_delay_alu instid0(VALU_DEP_2) | instskip(NEXT) | instid1(VALU_DEP_2)
	v_cmp_eq_u32_e32 vcc_lo, 0, v10
	v_min_u32_e32 v5, 32, v5
	s_delay_alu instid0(VALU_DEP_1) | instskip(NEXT) | instid1(VALU_DEP_1)
	v_subrev_nc_u32_e32 v7, 29, v5
	v_dual_lshlrev_b32 v3, v7, v3 :: v_dual_sub_nc_u32 v5, 30, v5
	s_delay_alu instid0(VALU_DEP_1) | instskip(NEXT) | instid1(VALU_DEP_1)
	v_dual_lshlrev_b32 v1, 24, v1 :: v_dual_bitop2_b32 v3, 3, v3 bitop3:0x40
	v_dual_cndmask_b32 v3, v4, v3, vcc_lo :: v_dual_cndmask_b32 v5, v10, v5, vcc_lo
	s_delay_alu instid0(VALU_DEP_2) | instskip(NEXT) | instid1(VALU_DEP_2)
	v_and_b32_e32 v1, 0x80000000, v1
	v_lshlrev_b32_e32 v3, 21, v3
	s_delay_alu instid0(VALU_DEP_3) | instskip(NEXT) | instid1(VALU_DEP_1)
	v_lshl_add_u32 v4, v5, 23, 0x37800000
	v_or3_b32 v1, v1, v4, v3
	s_delay_alu instid0(VALU_DEP_1) | instskip(NEXT) | instid1(VALU_DEP_1)
	v_trunc_f32_e32 v1, v1
	v_mul_f32_e64 v3, 0x2f800000, |v1|
	v_ashrrev_i32_e32 v4, 31, v1
	s_delay_alu instid0(VALU_DEP_2) | instskip(NEXT) | instid1(VALU_DEP_1)
	v_floor_f32_e32 v3, v3
	v_fma_f32 v5, 0xcf800000, v3, |v1|
	v_cvt_u32_f32_e32 v1, v3
	s_delay_alu instid0(VALU_DEP_2) | instskip(NEXT) | instid1(VALU_DEP_2)
	v_cvt_u32_f32_e32 v3, v5
	v_dual_mov_b32 v5, v4 :: v_dual_bitop2_b32 v11, v1, v4 bitop3:0x14
	s_delay_alu instid0(VALU_DEP_2) | instskip(NEXT) | instid1(VALU_DEP_1)
	v_xor_b32_e32 v10, v3, v4
	v_sub_nc_u64_e32 v[4:5], v[10:11], v[4:5]
.LBB71_81:
	s_or_b32 exec_lo, exec_lo, s30
	s_mov_b32 s30, 0
	s_branch .LBB71_87
.LBB71_82:
	s_mov_b32 s31, -1
                                        ; implicit-def: $vgpr4_vgpr5
	s_branch .LBB71_93
.LBB71_83:
	s_and_not1_saveexec_b32 s30, s30
	s_cbranch_execz .LBB71_68
.LBB71_84:
	v_cmp_ne_u16_e32 vcc_lo, 0, v1
	s_and_not1_b32 s31, s31, exec_lo
	s_and_b32 s43, vcc_lo, exec_lo
	s_delay_alu instid0(SALU_CYCLE_1)
	s_or_b32 s31, s31, s43
	s_or_b32 exec_lo, exec_lo, s30
	v_mov_b64_e32 v[4:5], 0
	s_and_saveexec_b32 s30, s31
	s_cbranch_execnz .LBB71_69
	s_branch .LBB71_70
.LBB71_85:
	s_mov_b32 s30, -1
                                        ; implicit-def: $vgpr4_vgpr5
	s_branch .LBB71_90
.LBB71_86:
	s_mov_b32 s30, -1
                                        ; implicit-def: $vgpr4_vgpr5
.LBB71_87:
	s_delay_alu instid0(SALU_CYCLE_1)
	s_and_b32 vcc_lo, exec_lo, s30
	s_cbranch_vccz .LBB71_89
; %bb.88:
	global_load_u8 v1, v[8:9], off
	s_wait_loadcnt 0x0
	v_lshlrev_b32_e32 v1, 24, v1
	s_delay_alu instid0(VALU_DEP_1) | instskip(NEXT) | instid1(VALU_DEP_1)
	v_and_b32_e32 v3, 0x7f000000, v1
	v_clz_i32_u32_e32 v4, v3
	v_add_nc_u32_e32 v7, 0x1000000, v3
	v_cmp_ne_u32_e32 vcc_lo, 0, v3
	s_delay_alu instid0(VALU_DEP_3) | instskip(NEXT) | instid1(VALU_DEP_1)
	v_min_u32_e32 v4, 32, v4
	v_sub_nc_u32_e64 v4, v4, 4 clamp
	s_delay_alu instid0(VALU_DEP_1) | instskip(NEXT) | instid1(VALU_DEP_1)
	v_dual_lshlrev_b32 v5, v4, v3 :: v_dual_lshlrev_b32 v4, 23, v4
	v_lshrrev_b32_e32 v5, 4, v5
	s_delay_alu instid0(VALU_DEP_1) | instskip(NEXT) | instid1(VALU_DEP_1)
	v_dual_sub_nc_u32 v4, v5, v4 :: v_dual_ashrrev_i32 v5, 8, v7
	v_add_nc_u32_e32 v4, 0x3c000000, v4
	s_delay_alu instid0(VALU_DEP_1) | instskip(NEXT) | instid1(VALU_DEP_1)
	v_and_or_b32 v4, 0x7f800000, v5, v4
	v_cndmask_b32_e32 v3, 0, v4, vcc_lo
	s_delay_alu instid0(VALU_DEP_1) | instskip(NEXT) | instid1(VALU_DEP_1)
	v_and_or_b32 v1, 0x80000000, v1, v3
	v_trunc_f32_e32 v1, v1
	s_delay_alu instid0(VALU_DEP_1) | instskip(SKIP_1) | instid1(VALU_DEP_2)
	v_mul_f32_e64 v3, 0x2f800000, |v1|
	v_ashrrev_i32_e32 v4, 31, v1
	v_floor_f32_e32 v3, v3
	s_delay_alu instid0(VALU_DEP_1) | instskip(SKIP_1) | instid1(VALU_DEP_2)
	v_fma_f32 v5, 0xcf800000, v3, |v1|
	v_cvt_u32_f32_e32 v1, v3
	v_cvt_u32_f32_e32 v3, v5
	s_delay_alu instid0(VALU_DEP_2) | instskip(NEXT) | instid1(VALU_DEP_2)
	v_dual_mov_b32 v5, v4 :: v_dual_bitop2_b32 v11, v1, v4 bitop3:0x14
	v_xor_b32_e32 v10, v3, v4
	s_delay_alu instid0(VALU_DEP_1)
	v_sub_nc_u64_e32 v[4:5], v[10:11], v[4:5]
.LBB71_89:
	s_mov_b32 s30, 0
.LBB71_90:
	s_delay_alu instid0(SALU_CYCLE_1)
	s_and_not1_b32 vcc_lo, exec_lo, s30
	s_cbranch_vccnz .LBB71_92
; %bb.91:
	global_load_u8 v1, v[8:9], off
	s_wait_loadcnt 0x0
	v_lshlrev_b32_e32 v3, 25, v1
	v_lshlrev_b16 v1, 8, v1
	s_delay_alu instid0(VALU_DEP_1) | instskip(NEXT) | instid1(VALU_DEP_3)
	v_and_or_b32 v5, 0x7f00, v1, 0.5
	v_lshrrev_b32_e32 v4, 4, v3
	v_bfe_i32 v1, v1, 0, 16
	s_delay_alu instid0(VALU_DEP_3) | instskip(NEXT) | instid1(VALU_DEP_3)
	v_add_f32_e32 v5, -0.5, v5
	v_or_b32_e32 v4, 0x70000000, v4
	s_delay_alu instid0(VALU_DEP_1) | instskip(SKIP_1) | instid1(VALU_DEP_2)
	v_mul_f32_e32 v4, 0x7800000, v4
	v_cmp_gt_u32_e32 vcc_lo, 0x8000000, v3
	v_cndmask_b32_e32 v3, v4, v5, vcc_lo
	s_delay_alu instid0(VALU_DEP_1) | instskip(NEXT) | instid1(VALU_DEP_1)
	v_and_or_b32 v1, 0x80000000, v1, v3
	v_trunc_f32_e32 v1, v1
	s_delay_alu instid0(VALU_DEP_1) | instskip(SKIP_1) | instid1(VALU_DEP_2)
	v_mul_f32_e64 v3, 0x2f800000, |v1|
	v_ashrrev_i32_e32 v4, 31, v1
	v_floor_f32_e32 v3, v3
	s_delay_alu instid0(VALU_DEP_1) | instskip(SKIP_1) | instid1(VALU_DEP_2)
	v_fma_f32 v5, 0xcf800000, v3, |v1|
	v_cvt_u32_f32_e32 v1, v3
	v_cvt_u32_f32_e32 v3, v5
	s_delay_alu instid0(VALU_DEP_2) | instskip(NEXT) | instid1(VALU_DEP_2)
	v_dual_mov_b32 v5, v4 :: v_dual_bitop2_b32 v11, v1, v4 bitop3:0x14
	v_xor_b32_e32 v10, v3, v4
	s_delay_alu instid0(VALU_DEP_1)
	v_sub_nc_u64_e32 v[4:5], v[10:11], v[4:5]
.LBB71_92:
	s_mov_b32 s31, 0
	s_mov_b32 s30, -1
.LBB71_93:
	s_and_not1_b32 vcc_lo, exec_lo, s31
	s_cbranch_vccnz .LBB71_106
; %bb.94:
	s_cmp_gt_i32 s29, 14
	s_cbranch_scc0 .LBB71_97
; %bb.95:
	s_cmp_eq_u32 s29, 15
	s_cbranch_scc0 .LBB71_100
; %bb.96:
	global_load_u16 v1, v[8:9], off
	s_mov_b32 s30, -1
	s_mov_b32 s28, 0
	s_wait_loadcnt 0x0
	v_lshlrev_b32_e32 v1, 16, v1
	s_delay_alu instid0(VALU_DEP_1) | instskip(NEXT) | instid1(VALU_DEP_1)
	v_trunc_f32_e32 v1, v1
	v_mul_f32_e64 v3, 0x2f800000, |v1|
	v_ashrrev_i32_e32 v4, 31, v1
	s_delay_alu instid0(VALU_DEP_2) | instskip(NEXT) | instid1(VALU_DEP_1)
	v_floor_f32_e32 v3, v3
	v_fma_f32 v5, 0xcf800000, v3, |v1|
	v_cvt_u32_f32_e32 v1, v3
	s_delay_alu instid0(VALU_DEP_2) | instskip(NEXT) | instid1(VALU_DEP_2)
	v_cvt_u32_f32_e32 v3, v5
	v_dual_mov_b32 v5, v4 :: v_dual_bitop2_b32 v11, v1, v4 bitop3:0x14
	s_delay_alu instid0(VALU_DEP_2) | instskip(NEXT) | instid1(VALU_DEP_1)
	v_xor_b32_e32 v10, v3, v4
	v_sub_nc_u64_e32 v[4:5], v[10:11], v[4:5]
	s_branch .LBB71_101
.LBB71_97:
	s_mov_b32 s31, -1
                                        ; implicit-def: $vgpr4_vgpr5
	s_branch .LBB71_102
.LBB71_98:
	s_and_not1_saveexec_b32 s30, s30
	s_cbranch_execz .LBB71_79
.LBB71_99:
	v_cmp_ne_u16_e32 vcc_lo, 0, v1
	s_and_not1_b32 s31, s31, exec_lo
	s_and_b32 s43, vcc_lo, exec_lo
	s_delay_alu instid0(SALU_CYCLE_1)
	s_or_b32 s31, s31, s43
	s_or_b32 exec_lo, exec_lo, s30
	v_mov_b64_e32 v[4:5], 0
	s_and_saveexec_b32 s30, s31
	s_cbranch_execnz .LBB71_80
	s_branch .LBB71_81
.LBB71_100:
	s_mov_b32 s28, -1
                                        ; implicit-def: $vgpr4_vgpr5
.LBB71_101:
	s_mov_b32 s31, 0
.LBB71_102:
	s_delay_alu instid0(SALU_CYCLE_1)
	s_and_b32 vcc_lo, exec_lo, s31
	s_cbranch_vccz .LBB71_106
; %bb.103:
	s_cmp_eq_u32 s29, 11
	s_cbranch_scc0 .LBB71_105
; %bb.104:
	global_load_u8 v1, v[8:9], off
	s_mov_b32 s28, 0
	s_mov_b32 s30, -1
	s_wait_loadcnt 0x1
	v_mov_b32_e32 v5, s28
	s_wait_loadcnt 0x0
	v_cmp_ne_u16_e32 vcc_lo, 0, v1
	v_cndmask_b32_e64 v4, 0, 1, vcc_lo
	s_branch .LBB71_106
.LBB71_105:
	s_mov_b32 s28, -1
                                        ; implicit-def: $vgpr4_vgpr5
.LBB71_106:
	s_branch .LBB71_155
.LBB71_107:
	s_and_b32 s0, 0xffff, s0
	s_delay_alu instid0(SALU_CYCLE_1)
	s_cmp_lt_i32 s0, 5
	s_cbranch_scc1 .LBB71_112
; %bb.108:
	s_cmp_lt_i32 s0, 8
	s_cbranch_scc1 .LBB71_113
; %bb.109:
	;; [unrolled: 3-line block ×3, first 2 shown]
	s_cmp_gt_i32 s0, 9
	s_cbranch_scc0 .LBB71_115
; %bb.111:
	s_wait_loadcnt 0x0
	global_load_b64 v[4:5], v[8:9], off
	s_mov_b32 s29, 0
	s_wait_loadcnt 0x0
	v_trunc_f64_e32 v[4:5], v[4:5]
	s_delay_alu instid0(VALU_DEP_1) | instskip(NEXT) | instid1(VALU_DEP_1)
	v_ldexp_f64 v[10:11], v[4:5], 0xffffffe0
	v_floor_f64_e32 v[10:11], v[10:11]
	s_delay_alu instid0(VALU_DEP_1) | instskip(SKIP_1) | instid1(VALU_DEP_2)
	v_fmamk_f64 v[12:13], v[10:11], 0xc1f00000, v[4:5]
	v_cvt_i32_f64_e32 v5, v[10:11]
	v_cvt_u32_f64_e32 v4, v[12:13]
	s_branch .LBB71_116
.LBB71_112:
	s_mov_b32 s29, -1
                                        ; implicit-def: $vgpr4_vgpr5
	s_branch .LBB71_134
.LBB71_113:
	s_mov_b32 s29, -1
                                        ; implicit-def: $vgpr4_vgpr5
	s_branch .LBB71_122
.LBB71_114:
	s_mov_b32 s29, -1
                                        ; implicit-def: $vgpr4_vgpr5
	s_branch .LBB71_119
.LBB71_115:
	s_mov_b32 s29, -1
                                        ; implicit-def: $vgpr4_vgpr5
.LBB71_116:
	s_delay_alu instid0(SALU_CYCLE_1)
	s_and_not1_b32 vcc_lo, exec_lo, s29
	s_cbranch_vccnz .LBB71_118
; %bb.117:
	global_load_b32 v1, v[8:9], off
	s_wait_loadcnt 0x0
	v_trunc_f32_e32 v1, v1
	s_delay_alu instid0(VALU_DEP_1) | instskip(SKIP_1) | instid1(VALU_DEP_2)
	v_mul_f32_e64 v3, 0x2f800000, |v1|
	v_ashrrev_i32_e32 v4, 31, v1
	v_floor_f32_e32 v3, v3
	s_delay_alu instid0(VALU_DEP_1) | instskip(SKIP_1) | instid1(VALU_DEP_2)
	v_fma_f32 v5, 0xcf800000, v3, |v1|
	v_cvt_u32_f32_e32 v1, v3
	v_cvt_u32_f32_e32 v3, v5
	s_delay_alu instid0(VALU_DEP_2) | instskip(NEXT) | instid1(VALU_DEP_2)
	v_dual_mov_b32 v5, v4 :: v_dual_bitop2_b32 v11, v1, v4 bitop3:0x14
	v_xor_b32_e32 v10, v3, v4
	s_delay_alu instid0(VALU_DEP_1)
	v_sub_nc_u64_e32 v[4:5], v[10:11], v[4:5]
.LBB71_118:
	s_mov_b32 s29, 0
.LBB71_119:
	s_delay_alu instid0(SALU_CYCLE_1)
	s_and_not1_b32 vcc_lo, exec_lo, s29
	s_cbranch_vccnz .LBB71_121
; %bb.120:
	global_load_b32 v1, v[8:9], off
	s_wait_loadcnt 0x0
	v_cvt_f32_f16_e32 v1, v1
	s_delay_alu instid0(VALU_DEP_1) | instskip(NEXT) | instid1(VALU_DEP_1)
	v_cvt_i32_f32_e32 v4, v1
	v_ashrrev_i32_e32 v5, 31, v4
.LBB71_121:
	s_mov_b32 s29, 0
.LBB71_122:
	s_delay_alu instid0(SALU_CYCLE_1)
	s_and_not1_b32 vcc_lo, exec_lo, s29
	s_cbranch_vccnz .LBB71_133
; %bb.123:
	s_cmp_lt_i32 s0, 6
	s_cbranch_scc1 .LBB71_126
; %bb.124:
	s_cmp_gt_i32 s0, 6
	s_cbranch_scc0 .LBB71_127
; %bb.125:
	s_wait_loadcnt 0x0
	global_load_b64 v[4:5], v[8:9], off
	s_mov_b32 s29, 0
	s_wait_loadcnt 0x0
	v_trunc_f64_e32 v[4:5], v[4:5]
	s_delay_alu instid0(VALU_DEP_1) | instskip(NEXT) | instid1(VALU_DEP_1)
	v_ldexp_f64 v[10:11], v[4:5], 0xffffffe0
	v_floor_f64_e32 v[10:11], v[10:11]
	s_delay_alu instid0(VALU_DEP_1) | instskip(SKIP_1) | instid1(VALU_DEP_2)
	v_fmamk_f64 v[12:13], v[10:11], 0xc1f00000, v[4:5]
	v_cvt_i32_f64_e32 v5, v[10:11]
	v_cvt_u32_f64_e32 v4, v[12:13]
	s_branch .LBB71_128
.LBB71_126:
	s_mov_b32 s29, -1
                                        ; implicit-def: $vgpr4_vgpr5
	s_branch .LBB71_131
.LBB71_127:
	s_mov_b32 s29, -1
                                        ; implicit-def: $vgpr4_vgpr5
.LBB71_128:
	s_delay_alu instid0(SALU_CYCLE_1)
	s_and_not1_b32 vcc_lo, exec_lo, s29
	s_cbranch_vccnz .LBB71_130
; %bb.129:
	global_load_b32 v1, v[8:9], off
	s_wait_loadcnt 0x0
	v_trunc_f32_e32 v1, v1
	s_delay_alu instid0(VALU_DEP_1) | instskip(SKIP_1) | instid1(VALU_DEP_2)
	v_mul_f32_e64 v3, 0x2f800000, |v1|
	v_ashrrev_i32_e32 v4, 31, v1
	v_floor_f32_e32 v3, v3
	s_delay_alu instid0(VALU_DEP_1) | instskip(SKIP_1) | instid1(VALU_DEP_2)
	v_fma_f32 v5, 0xcf800000, v3, |v1|
	v_cvt_u32_f32_e32 v1, v3
	v_cvt_u32_f32_e32 v3, v5
	s_delay_alu instid0(VALU_DEP_2) | instskip(NEXT) | instid1(VALU_DEP_2)
	v_dual_mov_b32 v5, v4 :: v_dual_bitop2_b32 v11, v1, v4 bitop3:0x14
	v_xor_b32_e32 v10, v3, v4
	s_delay_alu instid0(VALU_DEP_1)
	v_sub_nc_u64_e32 v[4:5], v[10:11], v[4:5]
.LBB71_130:
	s_mov_b32 s29, 0
.LBB71_131:
	s_delay_alu instid0(SALU_CYCLE_1)
	s_and_not1_b32 vcc_lo, exec_lo, s29
	s_cbranch_vccnz .LBB71_133
; %bb.132:
	global_load_u16 v1, v[8:9], off
	s_wait_loadcnt 0x0
	v_cvt_f32_f16_e32 v1, v1
	s_delay_alu instid0(VALU_DEP_1) | instskip(NEXT) | instid1(VALU_DEP_1)
	v_cvt_i32_f32_e32 v4, v1
	v_ashrrev_i32_e32 v5, 31, v4
.LBB71_133:
	s_mov_b32 s29, 0
.LBB71_134:
	s_delay_alu instid0(SALU_CYCLE_1)
	s_and_not1_b32 vcc_lo, exec_lo, s29
	s_cbranch_vccnz .LBB71_154
; %bb.135:
	s_cmp_lt_i32 s0, 2
	s_cbranch_scc1 .LBB71_139
; %bb.136:
	s_cmp_lt_i32 s0, 3
	s_cbranch_scc1 .LBB71_140
; %bb.137:
	s_cmp_gt_i32 s0, 3
	s_cbranch_scc0 .LBB71_141
; %bb.138:
	s_wait_loadcnt 0x0
	global_load_b64 v[4:5], v[8:9], off
	s_mov_b32 s29, 0
	s_branch .LBB71_142
.LBB71_139:
	s_mov_b32 s29, -1
                                        ; implicit-def: $vgpr4_vgpr5
	s_branch .LBB71_148
.LBB71_140:
	s_mov_b32 s29, -1
                                        ; implicit-def: $vgpr4_vgpr5
	s_branch .LBB71_145
.LBB71_141:
	s_mov_b32 s29, -1
                                        ; implicit-def: $vgpr4_vgpr5
.LBB71_142:
	s_delay_alu instid0(SALU_CYCLE_1)
	s_and_not1_b32 vcc_lo, exec_lo, s29
	s_cbranch_vccnz .LBB71_144
; %bb.143:
	s_wait_loadcnt 0x0
	global_load_b32 v4, v[8:9], off
	s_wait_loadcnt 0x0
	v_ashrrev_i32_e32 v5, 31, v4
.LBB71_144:
	s_mov_b32 s29, 0
.LBB71_145:
	s_delay_alu instid0(SALU_CYCLE_1)
	s_and_not1_b32 vcc_lo, exec_lo, s29
	s_cbranch_vccnz .LBB71_147
; %bb.146:
	global_load_u16 v1, v[8:9], off
	s_wait_loadcnt 0x0
	v_bfe_i32 v4, v1, 0, 16
	s_delay_alu instid0(VALU_DEP_1)
	v_ashrrev_i32_e32 v5, 31, v4
.LBB71_147:
	s_mov_b32 s29, 0
.LBB71_148:
	s_delay_alu instid0(SALU_CYCLE_1)
	s_and_not1_b32 vcc_lo, exec_lo, s29
	s_cbranch_vccnz .LBB71_154
; %bb.149:
	s_cmp_gt_i32 s0, 0
	s_mov_b32 s0, 0
	s_cbranch_scc0 .LBB71_151
; %bb.150:
	global_load_i8 v1, v[8:9], off
	s_wait_loadcnt 0x0
	v_bfe_i32 v4, v1, 0, 16
	s_delay_alu instid0(VALU_DEP_1)
	v_ashrrev_i32_e32 v5, 31, v4
	s_branch .LBB71_152
.LBB71_151:
	s_mov_b32 s0, -1
                                        ; implicit-def: $vgpr4_vgpr5
.LBB71_152:
	s_delay_alu instid0(SALU_CYCLE_1)
	s_and_not1_b32 vcc_lo, exec_lo, s0
	s_cbranch_vccnz .LBB71_154
; %bb.153:
	global_load_u8 v1, v[8:9], off
	s_mov_b32 s0, 0
	s_wait_loadcnt 0x1
	v_mov_b32_e32 v5, s0
	s_wait_loadcnt 0x0
	v_and_b32_e32 v4, 0xffff, v1
.LBB71_154:
	s_mov_b32 s30, -1
.LBB71_155:
	s_mov_b32 s29, 0
	s_mov_b32 s0, 0
	s_and_not1_b32 vcc_lo, exec_lo, s30
	s_mov_b32 s30, 0
	s_mov_b32 s31, 0
	s_cbranch_vccnz .LBB71_404
; %bb.156:
	v_mov_b32_e32 v7, 0
	s_and_b32 s0, 0xffff, s9
	s_delay_alu instid0(SALU_CYCLE_1) | instskip(NEXT) | instid1(VALU_DEP_1)
	s_cmp_lt_i32 s0, 11
	v_add_nc_u64_e32 v[6:7], s[6:7], v[6:7]
	s_cbranch_scc1 .LBB71_163
; %bb.157:
	s_cmp_gt_i32 s0, 25
	s_cbranch_scc0 .LBB71_164
; %bb.158:
	s_cmp_gt_i32 s0, 28
	s_cbranch_scc0 .LBB71_165
; %bb.159:
	s_cmp_gt_i32 s0, 43
	s_cbranch_scc0 .LBB71_166
; %bb.160:
	s_cmp_gt_i32 s0, 45
	s_cbranch_scc0 .LBB71_167
; %bb.161:
	s_cmp_eq_u32 s0, 46
	s_mov_b32 s43, 0
	s_cbranch_scc0 .LBB71_168
; %bb.162:
	global_load_b32 v1, v[6:7], off
	s_mov_b32 s31, -1
	s_wait_loadcnt 0x0
	v_lshlrev_b32_e32 v1, 16, v1
	s_delay_alu instid0(VALU_DEP_1) | instskip(NEXT) | instid1(VALU_DEP_1)
	v_trunc_f32_e32 v1, v1
	v_mul_f32_e64 v3, 0x2f800000, |v1|
	v_ashrrev_i32_e32 v8, 31, v1
	s_delay_alu instid0(VALU_DEP_2) | instskip(NEXT) | instid1(VALU_DEP_1)
	v_floor_f32_e32 v3, v3
	v_fma_f32 v9, 0xcf800000, v3, |v1|
	v_cvt_u32_f32_e32 v1, v3
	s_delay_alu instid0(VALU_DEP_2) | instskip(NEXT) | instid1(VALU_DEP_2)
	v_cvt_u32_f32_e32 v3, v9
	v_dual_mov_b32 v9, v8 :: v_dual_bitop2_b32 v11, v1, v8 bitop3:0x14
	s_delay_alu instid0(VALU_DEP_2) | instskip(NEXT) | instid1(VALU_DEP_1)
	v_xor_b32_e32 v10, v3, v8
	v_sub_nc_u64_e32 v[8:9], v[10:11], v[8:9]
	s_branch .LBB71_170
.LBB71_163:
	s_mov_b32 s43, -1
                                        ; implicit-def: $vgpr8_vgpr9
	s_branch .LBB71_231
.LBB71_164:
	s_mov_b32 s43, -1
                                        ; implicit-def: $vgpr8_vgpr9
	s_branch .LBB71_197
.LBB71_165:
	s_mov_b32 s43, -1
                                        ; implicit-def: $vgpr8_vgpr9
	s_branch .LBB71_180
.LBB71_166:
	s_mov_b32 s43, -1
                                        ; implicit-def: $vgpr8_vgpr9
	s_branch .LBB71_175
.LBB71_167:
	s_mov_b32 s43, -1
	s_branch .LBB71_169
.LBB71_168:
	s_mov_b32 s30, -1
.LBB71_169:
                                        ; implicit-def: $vgpr8_vgpr9
.LBB71_170:
	s_and_b32 vcc_lo, exec_lo, s43
	s_cbranch_vccz .LBB71_174
; %bb.171:
	s_cmp_eq_u32 s0, 44
	s_cbranch_scc0 .LBB71_173
; %bb.172:
	global_load_u8 v1, v[6:7], off
	s_mov_b32 s30, 0
	s_mov_b32 s31, -1
	s_wait_loadcnt 0x0
	v_lshlrev_b32_e32 v3, 23, v1
	v_cmp_ne_u32_e32 vcc_lo, 0, v1
	s_delay_alu instid0(VALU_DEP_2) | instskip(NEXT) | instid1(VALU_DEP_1)
	v_trunc_f32_e32 v3, v3
	v_mul_f32_e64 v8, 0x2f800000, |v3|
	s_delay_alu instid0(VALU_DEP_1) | instskip(SKIP_1) | instid1(VALU_DEP_2)
	v_floor_f32_e32 v9, v8
	v_ashrrev_i32_e32 v8, 31, v3
	v_fma_f32 v10, 0xcf800000, v9, |v3|
	v_cvt_u32_f32_e32 v3, v9
	s_delay_alu instid0(VALU_DEP_3) | instskip(NEXT) | instid1(VALU_DEP_3)
	v_mov_b32_e32 v9, v8
	v_cvt_u32_f32_e32 v10, v10
	s_delay_alu instid0(VALU_DEP_3) | instskip(NEXT) | instid1(VALU_DEP_2)
	v_xor_b32_e32 v11, v3, v8
	v_xor_b32_e32 v10, v10, v8
	s_delay_alu instid0(VALU_DEP_1) | instskip(NEXT) | instid1(VALU_DEP_1)
	v_sub_nc_u64_e32 v[8:9], v[10:11], v[8:9]
	v_dual_cndmask_b32 v9, 0, v9 :: v_dual_cndmask_b32 v8, 0, v8
	s_branch .LBB71_174
.LBB71_173:
	s_mov_b32 s30, -1
                                        ; implicit-def: $vgpr8_vgpr9
.LBB71_174:
	s_mov_b32 s43, 0
.LBB71_175:
	s_delay_alu instid0(SALU_CYCLE_1)
	s_and_b32 vcc_lo, exec_lo, s43
	s_cbranch_vccz .LBB71_179
; %bb.176:
	s_cmp_eq_u32 s0, 29
	s_cbranch_scc0 .LBB71_178
; %bb.177:
	global_load_b64 v[8:9], v[6:7], off
	s_mov_b32 s31, -1
	s_mov_b32 s30, 0
	s_branch .LBB71_179
.LBB71_178:
	s_mov_b32 s30, -1
                                        ; implicit-def: $vgpr8_vgpr9
.LBB71_179:
	s_mov_b32 s43, 0
.LBB71_180:
	s_delay_alu instid0(SALU_CYCLE_1)
	s_and_b32 vcc_lo, exec_lo, s43
	s_cbranch_vccz .LBB71_196
; %bb.181:
	s_cmp_lt_i32 s0, 27
	s_cbranch_scc1 .LBB71_184
; %bb.182:
	s_cmp_gt_i32 s0, 27
	s_cbranch_scc0 .LBB71_185
; %bb.183:
	s_wait_loadcnt 0x0
	global_load_b32 v8, v[6:7], off
	v_mov_b32_e32 v9, 0
	s_mov_b32 s31, 0
	s_branch .LBB71_186
.LBB71_184:
	s_mov_b32 s31, -1
                                        ; implicit-def: $vgpr8_vgpr9
	s_branch .LBB71_189
.LBB71_185:
	s_mov_b32 s31, -1
                                        ; implicit-def: $vgpr8_vgpr9
.LBB71_186:
	s_delay_alu instid0(SALU_CYCLE_1)
	s_and_not1_b32 vcc_lo, exec_lo, s31
	s_cbranch_vccnz .LBB71_188
; %bb.187:
	global_load_u16 v1, v[6:7], off
	s_mov_b32 s31, 0
	s_wait_loadcnt 0x1
	s_wait_xcnt 0x1
	v_mov_b32_e32 v9, s31
	s_wait_loadcnt 0x0
	v_and_b32_e32 v8, 0xffff, v1
.LBB71_188:
	s_mov_b32 s31, 0
.LBB71_189:
	s_delay_alu instid0(SALU_CYCLE_1)
	s_and_not1_b32 vcc_lo, exec_lo, s31
	s_cbranch_vccnz .LBB71_195
; %bb.190:
	global_load_u8 v1, v[6:7], off
	s_mov_b32 s43, 0
	s_mov_b32 s31, exec_lo
	s_wait_loadcnt 0x0
	v_cmpx_lt_i16_e32 0x7f, v1
	s_xor_b32 s31, exec_lo, s31
	s_cbranch_execz .LBB71_207
; %bb.191:
	v_cmp_ne_u16_e32 vcc_lo, 0x80, v1
	s_and_b32 s43, vcc_lo, exec_lo
	s_and_not1_saveexec_b32 s31, s31
	s_cbranch_execnz .LBB71_208
.LBB71_192:
	s_or_b32 exec_lo, exec_lo, s31
	v_mov_b64_e32 v[8:9], 0
	s_and_saveexec_b32 s31, s43
	s_cbranch_execz .LBB71_194
.LBB71_193:
	v_and_b32_e32 v3, 0xffff, v1
	s_delay_alu instid0(VALU_DEP_1) | instskip(SKIP_1) | instid1(VALU_DEP_2)
	v_and_b32_e32 v8, 7, v3
	v_bfe_u32 v11, v3, 3, 4
	v_clz_i32_u32_e32 v9, v8
	s_delay_alu instid0(VALU_DEP_2) | instskip(NEXT) | instid1(VALU_DEP_2)
	v_cmp_eq_u32_e32 vcc_lo, 0, v11
	v_min_u32_e32 v9, 32, v9
	s_delay_alu instid0(VALU_DEP_1) | instskip(NEXT) | instid1(VALU_DEP_1)
	v_subrev_nc_u32_e32 v10, 28, v9
	v_dual_lshlrev_b32 v3, v10, v3 :: v_dual_sub_nc_u32 v9, 29, v9
	s_delay_alu instid0(VALU_DEP_1) | instskip(NEXT) | instid1(VALU_DEP_1)
	v_dual_lshlrev_b32 v1, 24, v1 :: v_dual_bitop2_b32 v3, 7, v3 bitop3:0x40
	v_dual_cndmask_b32 v3, v8, v3, vcc_lo :: v_dual_cndmask_b32 v9, v11, v9, vcc_lo
	s_delay_alu instid0(VALU_DEP_2) | instskip(NEXT) | instid1(VALU_DEP_2)
	v_and_b32_e32 v1, 0x80000000, v1
	v_lshlrev_b32_e32 v3, 20, v3
	s_delay_alu instid0(VALU_DEP_3) | instskip(NEXT) | instid1(VALU_DEP_1)
	v_lshl_add_u32 v8, v9, 23, 0x3b800000
	v_or3_b32 v1, v1, v8, v3
	s_delay_alu instid0(VALU_DEP_1) | instskip(NEXT) | instid1(VALU_DEP_1)
	v_trunc_f32_e32 v1, v1
	v_mul_f32_e64 v3, 0x2f800000, |v1|
	v_ashrrev_i32_e32 v8, 31, v1
	s_delay_alu instid0(VALU_DEP_2) | instskip(NEXT) | instid1(VALU_DEP_1)
	v_floor_f32_e32 v3, v3
	v_fma_f32 v9, 0xcf800000, v3, |v1|
	v_cvt_u32_f32_e32 v1, v3
	s_delay_alu instid0(VALU_DEP_2) | instskip(NEXT) | instid1(VALU_DEP_2)
	v_cvt_u32_f32_e32 v3, v9
	v_dual_mov_b32 v9, v8 :: v_dual_bitop2_b32 v11, v1, v8 bitop3:0x14
	s_delay_alu instid0(VALU_DEP_2) | instskip(NEXT) | instid1(VALU_DEP_1)
	v_xor_b32_e32 v10, v3, v8
	v_sub_nc_u64_e32 v[8:9], v[10:11], v[8:9]
.LBB71_194:
	s_or_b32 exec_lo, exec_lo, s31
.LBB71_195:
	s_mov_b32 s31, -1
.LBB71_196:
	s_mov_b32 s43, 0
.LBB71_197:
	s_delay_alu instid0(SALU_CYCLE_1)
	s_and_b32 vcc_lo, exec_lo, s43
	s_cbranch_vccz .LBB71_230
; %bb.198:
	s_cmp_gt_i32 s0, 22
	s_cbranch_scc0 .LBB71_206
; %bb.199:
	s_cmp_lt_i32 s0, 24
	s_cbranch_scc1 .LBB71_209
; %bb.200:
	s_cmp_gt_i32 s0, 24
	s_cbranch_scc0 .LBB71_210
; %bb.201:
	global_load_u8 v1, v[6:7], off
	s_mov_b32 s43, 0
	s_mov_b32 s31, exec_lo
	s_wait_loadcnt 0x0
	v_cmpx_lt_i16_e32 0x7f, v1
	s_xor_b32 s31, exec_lo, s31
	s_cbranch_execz .LBB71_222
; %bb.202:
	v_cmp_ne_u16_e32 vcc_lo, 0x80, v1
	s_and_b32 s43, vcc_lo, exec_lo
	s_and_not1_saveexec_b32 s31, s31
	s_cbranch_execnz .LBB71_223
.LBB71_203:
	s_or_b32 exec_lo, exec_lo, s31
	v_mov_b64_e32 v[8:9], 0
	s_and_saveexec_b32 s31, s43
	s_cbranch_execz .LBB71_205
.LBB71_204:
	v_and_b32_e32 v3, 0xffff, v1
	s_delay_alu instid0(VALU_DEP_1) | instskip(SKIP_1) | instid1(VALU_DEP_2)
	v_and_b32_e32 v8, 3, v3
	v_bfe_u32 v11, v3, 2, 5
	v_clz_i32_u32_e32 v9, v8
	s_delay_alu instid0(VALU_DEP_2) | instskip(NEXT) | instid1(VALU_DEP_2)
	v_cmp_eq_u32_e32 vcc_lo, 0, v11
	v_min_u32_e32 v9, 32, v9
	s_delay_alu instid0(VALU_DEP_1) | instskip(NEXT) | instid1(VALU_DEP_1)
	v_subrev_nc_u32_e32 v10, 29, v9
	v_dual_lshlrev_b32 v3, v10, v3 :: v_dual_sub_nc_u32 v9, 30, v9
	s_delay_alu instid0(VALU_DEP_1) | instskip(NEXT) | instid1(VALU_DEP_1)
	v_dual_lshlrev_b32 v1, 24, v1 :: v_dual_bitop2_b32 v3, 3, v3 bitop3:0x40
	v_dual_cndmask_b32 v3, v8, v3, vcc_lo :: v_dual_cndmask_b32 v9, v11, v9, vcc_lo
	s_delay_alu instid0(VALU_DEP_2) | instskip(NEXT) | instid1(VALU_DEP_2)
	v_and_b32_e32 v1, 0x80000000, v1
	v_lshlrev_b32_e32 v3, 21, v3
	s_delay_alu instid0(VALU_DEP_3) | instskip(NEXT) | instid1(VALU_DEP_1)
	v_lshl_add_u32 v8, v9, 23, 0x37800000
	v_or3_b32 v1, v1, v8, v3
	s_delay_alu instid0(VALU_DEP_1) | instskip(NEXT) | instid1(VALU_DEP_1)
	v_trunc_f32_e32 v1, v1
	v_mul_f32_e64 v3, 0x2f800000, |v1|
	v_ashrrev_i32_e32 v8, 31, v1
	s_delay_alu instid0(VALU_DEP_2) | instskip(NEXT) | instid1(VALU_DEP_1)
	v_floor_f32_e32 v3, v3
	v_fma_f32 v9, 0xcf800000, v3, |v1|
	v_cvt_u32_f32_e32 v1, v3
	s_delay_alu instid0(VALU_DEP_2) | instskip(NEXT) | instid1(VALU_DEP_2)
	v_cvt_u32_f32_e32 v3, v9
	v_dual_mov_b32 v9, v8 :: v_dual_bitop2_b32 v11, v1, v8 bitop3:0x14
	s_delay_alu instid0(VALU_DEP_2) | instskip(NEXT) | instid1(VALU_DEP_1)
	v_xor_b32_e32 v10, v3, v8
	v_sub_nc_u64_e32 v[8:9], v[10:11], v[8:9]
.LBB71_205:
	s_or_b32 exec_lo, exec_lo, s31
	s_mov_b32 s31, 0
	s_branch .LBB71_211
.LBB71_206:
	s_mov_b32 s43, -1
                                        ; implicit-def: $vgpr8_vgpr9
	s_branch .LBB71_217
.LBB71_207:
	s_and_not1_saveexec_b32 s31, s31
	s_cbranch_execz .LBB71_192
.LBB71_208:
	v_cmp_ne_u16_e32 vcc_lo, 0, v1
	s_and_not1_b32 s43, s43, exec_lo
	s_and_b32 s44, vcc_lo, exec_lo
	s_delay_alu instid0(SALU_CYCLE_1)
	s_or_b32 s43, s43, s44
	s_or_b32 exec_lo, exec_lo, s31
	v_mov_b64_e32 v[8:9], 0
	s_and_saveexec_b32 s31, s43
	s_cbranch_execnz .LBB71_193
	s_branch .LBB71_194
.LBB71_209:
	s_mov_b32 s31, -1
                                        ; implicit-def: $vgpr8_vgpr9
	s_branch .LBB71_214
.LBB71_210:
	s_mov_b32 s31, -1
                                        ; implicit-def: $vgpr8_vgpr9
.LBB71_211:
	s_delay_alu instid0(SALU_CYCLE_1)
	s_and_b32 vcc_lo, exec_lo, s31
	s_cbranch_vccz .LBB71_213
; %bb.212:
	global_load_u8 v1, v[6:7], off
	s_wait_loadcnt 0x0
	v_lshlrev_b32_e32 v1, 24, v1
	s_delay_alu instid0(VALU_DEP_1) | instskip(NEXT) | instid1(VALU_DEP_1)
	v_and_b32_e32 v3, 0x7f000000, v1
	v_clz_i32_u32_e32 v8, v3
	v_cmp_ne_u32_e32 vcc_lo, 0, v3
	v_add_nc_u32_e32 v10, 0x1000000, v3
	s_delay_alu instid0(VALU_DEP_3) | instskip(NEXT) | instid1(VALU_DEP_1)
	v_min_u32_e32 v8, 32, v8
	v_sub_nc_u32_e64 v8, v8, 4 clamp
	s_delay_alu instid0(VALU_DEP_1) | instskip(NEXT) | instid1(VALU_DEP_1)
	v_dual_lshlrev_b32 v9, v8, v3 :: v_dual_lshlrev_b32 v8, 23, v8
	v_lshrrev_b32_e32 v9, 4, v9
	s_delay_alu instid0(VALU_DEP_1) | instskip(NEXT) | instid1(VALU_DEP_1)
	v_dual_sub_nc_u32 v8, v9, v8 :: v_dual_ashrrev_i32 v9, 8, v10
	v_add_nc_u32_e32 v8, 0x3c000000, v8
	s_delay_alu instid0(VALU_DEP_1) | instskip(NEXT) | instid1(VALU_DEP_1)
	v_and_or_b32 v8, 0x7f800000, v9, v8
	v_cndmask_b32_e32 v3, 0, v8, vcc_lo
	s_delay_alu instid0(VALU_DEP_1) | instskip(NEXT) | instid1(VALU_DEP_1)
	v_and_or_b32 v1, 0x80000000, v1, v3
	v_trunc_f32_e32 v1, v1
	s_delay_alu instid0(VALU_DEP_1) | instskip(SKIP_1) | instid1(VALU_DEP_2)
	v_mul_f32_e64 v3, 0x2f800000, |v1|
	v_ashrrev_i32_e32 v8, 31, v1
	v_floor_f32_e32 v3, v3
	s_delay_alu instid0(VALU_DEP_1) | instskip(SKIP_1) | instid1(VALU_DEP_2)
	v_fma_f32 v9, 0xcf800000, v3, |v1|
	v_cvt_u32_f32_e32 v1, v3
	v_cvt_u32_f32_e32 v3, v9
	s_delay_alu instid0(VALU_DEP_2) | instskip(NEXT) | instid1(VALU_DEP_2)
	v_dual_mov_b32 v9, v8 :: v_dual_bitop2_b32 v11, v1, v8 bitop3:0x14
	v_xor_b32_e32 v10, v3, v8
	s_delay_alu instid0(VALU_DEP_1)
	v_sub_nc_u64_e32 v[8:9], v[10:11], v[8:9]
.LBB71_213:
	s_mov_b32 s31, 0
.LBB71_214:
	s_delay_alu instid0(SALU_CYCLE_1)
	s_and_not1_b32 vcc_lo, exec_lo, s31
	s_cbranch_vccnz .LBB71_216
; %bb.215:
	global_load_u8 v1, v[6:7], off
	s_wait_loadcnt 0x0
	v_lshlrev_b32_e32 v3, 25, v1
	v_lshlrev_b16 v1, 8, v1
	s_delay_alu instid0(VALU_DEP_1) | instskip(NEXT) | instid1(VALU_DEP_3)
	v_and_or_b32 v9, 0x7f00, v1, 0.5
	v_lshrrev_b32_e32 v8, 4, v3
	v_bfe_i32 v1, v1, 0, 16
	s_delay_alu instid0(VALU_DEP_3) | instskip(NEXT) | instid1(VALU_DEP_3)
	v_add_f32_e32 v9, -0.5, v9
	v_or_b32_e32 v8, 0x70000000, v8
	s_delay_alu instid0(VALU_DEP_1) | instskip(SKIP_1) | instid1(VALU_DEP_2)
	v_mul_f32_e32 v8, 0x7800000, v8
	v_cmp_gt_u32_e32 vcc_lo, 0x8000000, v3
	v_cndmask_b32_e32 v3, v8, v9, vcc_lo
	s_delay_alu instid0(VALU_DEP_1) | instskip(NEXT) | instid1(VALU_DEP_1)
	v_and_or_b32 v1, 0x80000000, v1, v3
	v_trunc_f32_e32 v1, v1
	s_delay_alu instid0(VALU_DEP_1) | instskip(SKIP_1) | instid1(VALU_DEP_2)
	v_mul_f32_e64 v3, 0x2f800000, |v1|
	v_ashrrev_i32_e32 v8, 31, v1
	v_floor_f32_e32 v3, v3
	s_delay_alu instid0(VALU_DEP_1) | instskip(SKIP_1) | instid1(VALU_DEP_2)
	v_fma_f32 v9, 0xcf800000, v3, |v1|
	v_cvt_u32_f32_e32 v1, v3
	v_cvt_u32_f32_e32 v3, v9
	s_delay_alu instid0(VALU_DEP_2) | instskip(NEXT) | instid1(VALU_DEP_2)
	v_dual_mov_b32 v9, v8 :: v_dual_bitop2_b32 v11, v1, v8 bitop3:0x14
	v_xor_b32_e32 v10, v3, v8
	s_delay_alu instid0(VALU_DEP_1)
	v_sub_nc_u64_e32 v[8:9], v[10:11], v[8:9]
.LBB71_216:
	s_mov_b32 s43, 0
	s_mov_b32 s31, -1
.LBB71_217:
	s_and_not1_b32 vcc_lo, exec_lo, s43
	s_cbranch_vccnz .LBB71_230
; %bb.218:
	s_cmp_gt_i32 s0, 14
	s_cbranch_scc0 .LBB71_221
; %bb.219:
	s_cmp_eq_u32 s0, 15
	s_cbranch_scc0 .LBB71_224
; %bb.220:
	global_load_u16 v1, v[6:7], off
	s_mov_b32 s31, -1
	s_mov_b32 s30, 0
	s_wait_loadcnt 0x0
	v_lshlrev_b32_e32 v1, 16, v1
	s_delay_alu instid0(VALU_DEP_1) | instskip(NEXT) | instid1(VALU_DEP_1)
	v_trunc_f32_e32 v1, v1
	v_mul_f32_e64 v3, 0x2f800000, |v1|
	v_ashrrev_i32_e32 v8, 31, v1
	s_delay_alu instid0(VALU_DEP_2) | instskip(NEXT) | instid1(VALU_DEP_1)
	v_floor_f32_e32 v3, v3
	v_fma_f32 v9, 0xcf800000, v3, |v1|
	v_cvt_u32_f32_e32 v1, v3
	s_delay_alu instid0(VALU_DEP_2) | instskip(NEXT) | instid1(VALU_DEP_2)
	v_cvt_u32_f32_e32 v3, v9
	v_dual_mov_b32 v9, v8 :: v_dual_bitop2_b32 v11, v1, v8 bitop3:0x14
	s_delay_alu instid0(VALU_DEP_2) | instskip(NEXT) | instid1(VALU_DEP_1)
	v_xor_b32_e32 v10, v3, v8
	v_sub_nc_u64_e32 v[8:9], v[10:11], v[8:9]
	s_branch .LBB71_225
.LBB71_221:
	s_mov_b32 s43, -1
                                        ; implicit-def: $vgpr8_vgpr9
	s_branch .LBB71_226
.LBB71_222:
	s_and_not1_saveexec_b32 s31, s31
	s_cbranch_execz .LBB71_203
.LBB71_223:
	v_cmp_ne_u16_e32 vcc_lo, 0, v1
	s_and_not1_b32 s43, s43, exec_lo
	s_and_b32 s44, vcc_lo, exec_lo
	s_delay_alu instid0(SALU_CYCLE_1)
	s_or_b32 s43, s43, s44
	s_or_b32 exec_lo, exec_lo, s31
	v_mov_b64_e32 v[8:9], 0
	s_and_saveexec_b32 s31, s43
	s_cbranch_execnz .LBB71_204
	s_branch .LBB71_205
.LBB71_224:
	s_mov_b32 s30, -1
                                        ; implicit-def: $vgpr8_vgpr9
.LBB71_225:
	s_mov_b32 s43, 0
.LBB71_226:
	s_delay_alu instid0(SALU_CYCLE_1)
	s_and_b32 vcc_lo, exec_lo, s43
	s_cbranch_vccz .LBB71_230
; %bb.227:
	s_cmp_eq_u32 s0, 11
	s_cbranch_scc0 .LBB71_229
; %bb.228:
	global_load_u8 v1, v[6:7], off
	s_mov_b32 s30, 0
	s_mov_b32 s31, -1
	s_wait_loadcnt 0x1
	s_wait_xcnt 0x1
	v_mov_b32_e32 v9, s30
	s_wait_loadcnt 0x0
	v_cmp_ne_u16_e32 vcc_lo, 0, v1
	v_cndmask_b32_e64 v8, 0, 1, vcc_lo
	s_branch .LBB71_230
.LBB71_229:
	s_mov_b32 s30, -1
                                        ; implicit-def: $vgpr8_vgpr9
.LBB71_230:
	s_mov_b32 s43, 0
.LBB71_231:
	s_delay_alu instid0(SALU_CYCLE_1)
	s_and_b32 vcc_lo, exec_lo, s43
	s_cbranch_vccz .LBB71_280
; %bb.232:
	s_cmp_lt_i32 s0, 5
	s_cbranch_scc1 .LBB71_237
; %bb.233:
	s_cmp_lt_i32 s0, 8
	s_cbranch_scc1 .LBB71_238
	;; [unrolled: 3-line block ×3, first 2 shown]
; %bb.235:
	s_cmp_gt_i32 s0, 9
	s_cbranch_scc0 .LBB71_240
; %bb.236:
	s_wait_loadcnt 0x0
	global_load_b64 v[8:9], v[6:7], off
	s_mov_b32 s31, 0
	s_wait_loadcnt 0x0
	v_trunc_f64_e32 v[8:9], v[8:9]
	s_delay_alu instid0(VALU_DEP_1) | instskip(NEXT) | instid1(VALU_DEP_1)
	v_ldexp_f64 v[10:11], v[8:9], 0xffffffe0
	v_floor_f64_e32 v[10:11], v[10:11]
	s_delay_alu instid0(VALU_DEP_1) | instskip(SKIP_1) | instid1(VALU_DEP_2)
	v_fmamk_f64 v[12:13], v[10:11], 0xc1f00000, v[8:9]
	v_cvt_i32_f64_e32 v9, v[10:11]
	v_cvt_u32_f64_e32 v8, v[12:13]
	s_branch .LBB71_241
.LBB71_237:
	s_mov_b32 s31, -1
                                        ; implicit-def: $vgpr8_vgpr9
	s_branch .LBB71_259
.LBB71_238:
	s_mov_b32 s31, -1
                                        ; implicit-def: $vgpr8_vgpr9
	s_branch .LBB71_247
.LBB71_239:
	s_mov_b32 s31, -1
                                        ; implicit-def: $vgpr8_vgpr9
	s_branch .LBB71_244
.LBB71_240:
	s_mov_b32 s31, -1
                                        ; implicit-def: $vgpr8_vgpr9
.LBB71_241:
	s_delay_alu instid0(SALU_CYCLE_1)
	s_and_not1_b32 vcc_lo, exec_lo, s31
	s_cbranch_vccnz .LBB71_243
; %bb.242:
	global_load_b32 v1, v[6:7], off
	s_wait_loadcnt 0x0
	v_trunc_f32_e32 v1, v1
	s_delay_alu instid0(VALU_DEP_1) | instskip(SKIP_1) | instid1(VALU_DEP_2)
	v_mul_f32_e64 v3, 0x2f800000, |v1|
	v_ashrrev_i32_e32 v8, 31, v1
	v_floor_f32_e32 v3, v3
	s_delay_alu instid0(VALU_DEP_1) | instskip(SKIP_1) | instid1(VALU_DEP_2)
	v_fma_f32 v9, 0xcf800000, v3, |v1|
	v_cvt_u32_f32_e32 v1, v3
	v_cvt_u32_f32_e32 v3, v9
	s_delay_alu instid0(VALU_DEP_2) | instskip(NEXT) | instid1(VALU_DEP_2)
	v_dual_mov_b32 v9, v8 :: v_dual_bitop2_b32 v11, v1, v8 bitop3:0x14
	v_xor_b32_e32 v10, v3, v8
	s_delay_alu instid0(VALU_DEP_1)
	v_sub_nc_u64_e32 v[8:9], v[10:11], v[8:9]
.LBB71_243:
	s_mov_b32 s31, 0
.LBB71_244:
	s_delay_alu instid0(SALU_CYCLE_1)
	s_and_not1_b32 vcc_lo, exec_lo, s31
	s_cbranch_vccnz .LBB71_246
; %bb.245:
	global_load_b32 v1, v[6:7], off
	s_wait_loadcnt 0x0
	v_cvt_f32_f16_e32 v1, v1
	s_delay_alu instid0(VALU_DEP_1) | instskip(NEXT) | instid1(VALU_DEP_1)
	v_cvt_i32_f32_e32 v8, v1
	v_ashrrev_i32_e32 v9, 31, v8
.LBB71_246:
	s_mov_b32 s31, 0
.LBB71_247:
	s_delay_alu instid0(SALU_CYCLE_1)
	s_and_not1_b32 vcc_lo, exec_lo, s31
	s_cbranch_vccnz .LBB71_258
; %bb.248:
	s_cmp_lt_i32 s0, 6
	s_cbranch_scc1 .LBB71_251
; %bb.249:
	s_cmp_gt_i32 s0, 6
	s_cbranch_scc0 .LBB71_252
; %bb.250:
	s_wait_loadcnt 0x0
	global_load_b64 v[8:9], v[6:7], off
	s_mov_b32 s31, 0
	s_wait_loadcnt 0x0
	v_trunc_f64_e32 v[8:9], v[8:9]
	s_delay_alu instid0(VALU_DEP_1) | instskip(NEXT) | instid1(VALU_DEP_1)
	v_ldexp_f64 v[10:11], v[8:9], 0xffffffe0
	v_floor_f64_e32 v[10:11], v[10:11]
	s_delay_alu instid0(VALU_DEP_1) | instskip(SKIP_1) | instid1(VALU_DEP_2)
	v_fmamk_f64 v[12:13], v[10:11], 0xc1f00000, v[8:9]
	v_cvt_i32_f64_e32 v9, v[10:11]
	v_cvt_u32_f64_e32 v8, v[12:13]
	s_branch .LBB71_253
.LBB71_251:
	s_mov_b32 s31, -1
                                        ; implicit-def: $vgpr8_vgpr9
	s_branch .LBB71_256
.LBB71_252:
	s_mov_b32 s31, -1
                                        ; implicit-def: $vgpr8_vgpr9
.LBB71_253:
	s_delay_alu instid0(SALU_CYCLE_1)
	s_and_not1_b32 vcc_lo, exec_lo, s31
	s_cbranch_vccnz .LBB71_255
; %bb.254:
	global_load_b32 v1, v[6:7], off
	s_wait_loadcnt 0x0
	v_trunc_f32_e32 v1, v1
	s_delay_alu instid0(VALU_DEP_1) | instskip(SKIP_1) | instid1(VALU_DEP_2)
	v_mul_f32_e64 v3, 0x2f800000, |v1|
	v_ashrrev_i32_e32 v8, 31, v1
	v_floor_f32_e32 v3, v3
	s_delay_alu instid0(VALU_DEP_1) | instskip(SKIP_1) | instid1(VALU_DEP_2)
	v_fma_f32 v9, 0xcf800000, v3, |v1|
	v_cvt_u32_f32_e32 v1, v3
	v_cvt_u32_f32_e32 v3, v9
	s_delay_alu instid0(VALU_DEP_2) | instskip(NEXT) | instid1(VALU_DEP_2)
	v_dual_mov_b32 v9, v8 :: v_dual_bitop2_b32 v11, v1, v8 bitop3:0x14
	v_xor_b32_e32 v10, v3, v8
	s_delay_alu instid0(VALU_DEP_1)
	v_sub_nc_u64_e32 v[8:9], v[10:11], v[8:9]
.LBB71_255:
	s_mov_b32 s31, 0
.LBB71_256:
	s_delay_alu instid0(SALU_CYCLE_1)
	s_and_not1_b32 vcc_lo, exec_lo, s31
	s_cbranch_vccnz .LBB71_258
; %bb.257:
	global_load_u16 v1, v[6:7], off
	s_wait_loadcnt 0x0
	v_cvt_f32_f16_e32 v1, v1
	s_delay_alu instid0(VALU_DEP_1) | instskip(NEXT) | instid1(VALU_DEP_1)
	v_cvt_i32_f32_e32 v8, v1
	v_ashrrev_i32_e32 v9, 31, v8
.LBB71_258:
	s_mov_b32 s31, 0
.LBB71_259:
	s_delay_alu instid0(SALU_CYCLE_1)
	s_and_not1_b32 vcc_lo, exec_lo, s31
	s_cbranch_vccnz .LBB71_279
; %bb.260:
	s_cmp_lt_i32 s0, 2
	s_cbranch_scc1 .LBB71_264
; %bb.261:
	s_cmp_lt_i32 s0, 3
	s_cbranch_scc1 .LBB71_265
; %bb.262:
	s_cmp_gt_i32 s0, 3
	s_cbranch_scc0 .LBB71_266
; %bb.263:
	s_wait_loadcnt 0x0
	global_load_b64 v[8:9], v[6:7], off
	s_mov_b32 s31, 0
	s_branch .LBB71_267
.LBB71_264:
	s_mov_b32 s31, -1
                                        ; implicit-def: $vgpr8_vgpr9
	s_branch .LBB71_273
.LBB71_265:
	s_mov_b32 s31, -1
                                        ; implicit-def: $vgpr8_vgpr9
	s_branch .LBB71_270
.LBB71_266:
	s_mov_b32 s31, -1
                                        ; implicit-def: $vgpr8_vgpr9
.LBB71_267:
	s_delay_alu instid0(SALU_CYCLE_1)
	s_and_not1_b32 vcc_lo, exec_lo, s31
	s_cbranch_vccnz .LBB71_269
; %bb.268:
	s_wait_loadcnt 0x0
	global_load_b32 v8, v[6:7], off
	s_wait_loadcnt 0x0
	v_ashrrev_i32_e32 v9, 31, v8
.LBB71_269:
	s_mov_b32 s31, 0
.LBB71_270:
	s_delay_alu instid0(SALU_CYCLE_1)
	s_and_not1_b32 vcc_lo, exec_lo, s31
	s_cbranch_vccnz .LBB71_272
; %bb.271:
	global_load_u16 v1, v[6:7], off
	s_wait_loadcnt 0x0
	v_bfe_i32 v8, v1, 0, 16
	s_delay_alu instid0(VALU_DEP_1)
	v_ashrrev_i32_e32 v9, 31, v8
.LBB71_272:
	s_mov_b32 s31, 0
.LBB71_273:
	s_delay_alu instid0(SALU_CYCLE_1)
	s_and_not1_b32 vcc_lo, exec_lo, s31
	s_cbranch_vccnz .LBB71_279
; %bb.274:
	s_cmp_gt_i32 s0, 0
	s_mov_b32 s0, 0
	s_cbranch_scc0 .LBB71_276
; %bb.275:
	global_load_i8 v1, v[6:7], off
	s_wait_loadcnt 0x0
	v_bfe_i32 v8, v1, 0, 16
	s_delay_alu instid0(VALU_DEP_1)
	v_ashrrev_i32_e32 v9, 31, v8
	s_branch .LBB71_277
.LBB71_276:
	s_mov_b32 s0, -1
                                        ; implicit-def: $vgpr8_vgpr9
.LBB71_277:
	s_delay_alu instid0(SALU_CYCLE_1)
	s_and_not1_b32 vcc_lo, exec_lo, s0
	s_cbranch_vccnz .LBB71_279
; %bb.278:
	global_load_u8 v1, v[6:7], off
	s_mov_b32 s0, 0
	s_wait_loadcnt 0x1
	s_wait_xcnt 0x1
	v_mov_b32_e32 v9, s0
	s_wait_loadcnt 0x0
	v_and_b32_e32 v8, 0xffff, v1
.LBB71_279:
	s_mov_b32 s31, -1
.LBB71_280:
	s_delay_alu instid0(SALU_CYCLE_1)
	s_and_not1_b32 vcc_lo, exec_lo, s31
	s_cbranch_vccnz .LBB71_288
; %bb.281:
	s_wait_loadcnt 0x0
	s_delay_alu instid0(VALU_DEP_3) | instskip(SKIP_2) | instid1(SALU_CYCLE_1)
	v_mul_u64_e32 v[4:5], s[12:13], v[4:5]
	v_mov_b32_e32 v3, 0
	s_and_b32 s31, s14, 0xff
	s_cmp_lt_i32 s31, 11
	s_delay_alu instid0(VALU_DEP_1) | instskip(NEXT) | instid1(VALU_DEP_3)
	v_add_nc_u64_e32 v[2:3], s[20:21], v[2:3]
	v_mul_u64_e32 v[4:5], v[4:5], v[8:9]
	s_cbranch_scc1 .LBB71_289
; %bb.282:
	s_and_b32 s43, 0xffff, s31
	s_delay_alu instid0(SALU_CYCLE_1)
	s_cmp_gt_i32 s43, 25
	s_cbranch_scc0 .LBB71_290
; %bb.283:
	s_cmp_gt_i32 s43, 28
	s_cbranch_scc0 .LBB71_291
; %bb.284:
	;; [unrolled: 3-line block ×4, first 2 shown]
	s_mov_b32 s45, 0
	s_mov_b32 s0, -1
	s_cmp_eq_u32 s43, 46
	s_mov_b32 s44, 0
	s_cbranch_scc0 .LBB71_294
; %bb.287:
	s_delay_alu instid0(VALU_DEP_1) | instskip(SKIP_3) | instid1(VALU_DEP_2)
	v_xor_b32_e32 v1, v4, v5
	v_cls_i32_e32 v6, v5
	s_mov_b32 s44, -1
	s_mov_b32 s0, 0
	v_ashrrev_i32_e32 v1, 31, v1
	s_delay_alu instid0(VALU_DEP_1) | instskip(NEXT) | instid1(VALU_DEP_1)
	v_add_nc_u32_e32 v1, 32, v1
	v_add_min_u32_e64 v1, v6, -1, v1
	s_delay_alu instid0(VALU_DEP_1) | instskip(SKIP_1) | instid1(VALU_DEP_2)
	v_lshlrev_b64_e32 v[6:7], v1, v[4:5]
	v_sub_nc_u32_e32 v1, 32, v1
	v_min_u32_e32 v6, 1, v6
	s_delay_alu instid0(VALU_DEP_1) | instskip(NEXT) | instid1(VALU_DEP_1)
	v_or_b32_e32 v6, v7, v6
	v_cvt_f32_i32_e32 v6, v6
	s_delay_alu instid0(VALU_DEP_1) | instskip(NEXT) | instid1(VALU_DEP_1)
	v_ldexp_f32 v1, v6, v1
	v_bfe_u32 v6, v1, 16, 1
	s_delay_alu instid0(VALU_DEP_1) | instskip(NEXT) | instid1(VALU_DEP_1)
	v_add3_u32 v1, v1, v6, 0x7fff
	v_lshrrev_b32_e32 v1, 16, v1
	global_store_b32 v[2:3], v1, off
	s_branch .LBB71_294
.LBB71_288:
	s_mov_b32 s0, 0
	s_branch .LBB71_38
.LBB71_289:
	s_mov_b32 s43, -1
	s_mov_b32 s0, 0
	s_mov_b32 s44, 0
	s_branch .LBB71_363
.LBB71_290:
	s_mov_b32 s45, -1
	s_mov_b32 s0, 0
	s_mov_b32 s44, 0
	s_branch .LBB71_321
.LBB71_291:
	s_mov_b32 s45, -1
	s_mov_b32 s0, 0
	s_mov_b32 s44, 0
	s_branch .LBB71_304
.LBB71_292:
	s_mov_b32 s45, -1
	s_mov_b32 s0, 0
	s_mov_b32 s44, 0
	s_branch .LBB71_300
.LBB71_293:
	s_mov_b32 s45, -1
	s_mov_b32 s0, 0
	s_mov_b32 s44, 0
.LBB71_294:
	s_and_b32 vcc_lo, exec_lo, s45
	s_cbranch_vccz .LBB71_299
; %bb.295:
	s_cmp_eq_u32 s43, 44
	s_mov_b32 s0, -1
	s_cbranch_scc0 .LBB71_299
; %bb.296:
	s_wait_xcnt 0x0
	s_delay_alu instid0(VALU_DEP_1) | instskip(SKIP_3) | instid1(VALU_DEP_2)
	v_xor_b32_e32 v1, v4, v5
	v_cls_i32_e32 v6, v5
	s_mov_b32 s44, -1
	s_mov_b32 s45, exec_lo
	v_ashrrev_i32_e32 v1, 31, v1
	s_delay_alu instid0(VALU_DEP_1) | instskip(NEXT) | instid1(VALU_DEP_1)
	v_add_nc_u32_e32 v1, 32, v1
	v_add_min_u32_e64 v1, v6, -1, v1
	s_delay_alu instid0(VALU_DEP_1) | instskip(SKIP_1) | instid1(VALU_DEP_2)
	v_lshlrev_b64_e32 v[6:7], v1, v[4:5]
	v_sub_nc_u32_e32 v1, 32, v1
	v_min_u32_e32 v6, 1, v6
	s_delay_alu instid0(VALU_DEP_1) | instskip(NEXT) | instid1(VALU_DEP_1)
	v_or_b32_e32 v6, v7, v6
	v_cvt_f32_i32_e32 v6, v6
	s_delay_alu instid0(VALU_DEP_1) | instskip(SKIP_1) | instid1(VALU_DEP_2)
	v_ldexp_f32 v1, v6, v1
	v_mov_b32_e32 v6, 0xff
	v_bfe_u32 v7, v1, 23, 8
	s_delay_alu instid0(VALU_DEP_1)
	v_cmpx_ne_u32_e32 0xff, v7
	s_cbranch_execz .LBB71_298
; %bb.297:
	v_and_b32_e32 v6, 0x400000, v1
	v_and_or_b32 v7, 0x3fffff, v1, v7
	v_lshrrev_b32_e32 v1, 23, v1
	s_delay_alu instid0(VALU_DEP_3) | instskip(NEXT) | instid1(VALU_DEP_3)
	v_cmp_ne_u32_e32 vcc_lo, 0, v6
	v_cmp_ne_u32_e64 s0, 0, v7
	s_and_b32 s0, vcc_lo, s0
	s_delay_alu instid0(SALU_CYCLE_1) | instskip(NEXT) | instid1(VALU_DEP_1)
	v_cndmask_b32_e64 v6, 0, 1, s0
	v_add_nc_u32_e32 v6, v1, v6
.LBB71_298:
	s_or_b32 exec_lo, exec_lo, s45
	s_mov_b32 s0, 0
	global_store_b8 v[2:3], v6, off
.LBB71_299:
	s_mov_b32 s45, 0
.LBB71_300:
	s_delay_alu instid0(SALU_CYCLE_1)
	s_and_b32 vcc_lo, exec_lo, s45
	s_cbranch_vccz .LBB71_303
; %bb.301:
	s_cmp_eq_u32 s43, 29
	s_mov_b32 s0, -1
	s_cbranch_scc0 .LBB71_303
; %bb.302:
	s_mov_b32 s44, -1
	s_mov_b32 s0, 0
	global_store_b64 v[2:3], v[4:5], off
.LBB71_303:
	s_mov_b32 s45, 0
.LBB71_304:
	s_delay_alu instid0(SALU_CYCLE_1)
	s_and_b32 vcc_lo, exec_lo, s45
	s_cbranch_vccz .LBB71_320
; %bb.305:
	s_cmp_lt_i32 s43, 27
	s_mov_b32 s44, -1
	s_cbranch_scc1 .LBB71_311
; %bb.306:
	s_cmp_gt_i32 s43, 27
	s_cbranch_scc0 .LBB71_308
; %bb.307:
	s_mov_b32 s44, 0
	global_store_b32 v[2:3], v4, off
.LBB71_308:
	s_and_not1_b32 vcc_lo, exec_lo, s44
	s_cbranch_vccnz .LBB71_310
; %bb.309:
	global_store_b16 v[2:3], v4, off
.LBB71_310:
	s_mov_b32 s44, 0
.LBB71_311:
	s_delay_alu instid0(SALU_CYCLE_1)
	s_and_not1_b32 vcc_lo, exec_lo, s44
	s_cbranch_vccnz .LBB71_319
; %bb.312:
	s_wait_xcnt 0x0
	s_delay_alu instid0(VALU_DEP_1) | instskip(SKIP_2) | instid1(VALU_DEP_2)
	v_xor_b32_e32 v1, v4, v5
	v_cls_i32_e32 v6, v5
	s_mov_b32 s44, exec_lo
	v_ashrrev_i32_e32 v1, 31, v1
	s_delay_alu instid0(VALU_DEP_1) | instskip(NEXT) | instid1(VALU_DEP_1)
	v_add_nc_u32_e32 v1, 32, v1
	v_add_min_u32_e64 v1, v6, -1, v1
	s_delay_alu instid0(VALU_DEP_1) | instskip(SKIP_1) | instid1(VALU_DEP_2)
	v_lshlrev_b64_e32 v[6:7], v1, v[4:5]
	v_sub_nc_u32_e32 v1, 32, v1
	v_min_u32_e32 v6, 1, v6
	s_delay_alu instid0(VALU_DEP_1) | instskip(SKIP_1) | instid1(VALU_DEP_2)
	v_or_b32_e32 v6, v7, v6
	v_mov_b32_e32 v7, 0x80
	v_cvt_f32_i32_e32 v6, v6
	s_delay_alu instid0(VALU_DEP_1) | instskip(NEXT) | instid1(VALU_DEP_1)
	v_ldexp_f32 v1, v6, v1
	v_and_b32_e32 v6, 0x7fffffff, v1
	s_delay_alu instid0(VALU_DEP_1)
	v_cmpx_gt_u32_e32 0x43800000, v6
	s_cbranch_execz .LBB71_318
; %bb.313:
	v_cmp_lt_u32_e32 vcc_lo, 0x3bffffff, v6
	s_mov_b32 s45, 0
                                        ; implicit-def: $vgpr6
	s_and_saveexec_b32 s46, vcc_lo
	s_delay_alu instid0(SALU_CYCLE_1)
	s_xor_b32 s46, exec_lo, s46
	s_cbranch_execz .LBB71_450
; %bb.314:
	v_bfe_u32 v6, v1, 20, 1
	s_mov_b32 s45, exec_lo
	s_delay_alu instid0(VALU_DEP_1) | instskip(NEXT) | instid1(VALU_DEP_1)
	v_add3_u32 v6, v1, v6, 0x487ffff
	v_lshrrev_b32_e32 v6, 20, v6
	s_and_not1_saveexec_b32 s46, s46
	s_cbranch_execnz .LBB71_451
.LBB71_315:
	s_or_b32 exec_lo, exec_lo, s46
	v_mov_b32_e32 v7, 0
	s_and_saveexec_b32 s46, s45
.LBB71_316:
	v_lshrrev_b32_e32 v1, 24, v1
	s_delay_alu instid0(VALU_DEP_1)
	v_and_or_b32 v7, 0x80, v1, v6
.LBB71_317:
	s_or_b32 exec_lo, exec_lo, s46
.LBB71_318:
	s_delay_alu instid0(SALU_CYCLE_1)
	s_or_b32 exec_lo, exec_lo, s44
	global_store_b8 v[2:3], v7, off
.LBB71_319:
	s_mov_b32 s44, -1
.LBB71_320:
	s_mov_b32 s45, 0
.LBB71_321:
	s_delay_alu instid0(SALU_CYCLE_1)
	s_and_b32 vcc_lo, exec_lo, s45
	s_cbranch_vccz .LBB71_362
; %bb.322:
	s_cmp_gt_i32 s43, 22
	s_mov_b32 s45, -1
	s_cbranch_scc0 .LBB71_354
; %bb.323:
	s_cmp_lt_i32 s43, 24
	s_mov_b32 s44, -1
	s_cbranch_scc1 .LBB71_343
; %bb.324:
	s_cmp_gt_i32 s43, 24
	s_cbranch_scc0 .LBB71_332
; %bb.325:
	s_wait_xcnt 0x0
	s_delay_alu instid0(VALU_DEP_1) | instskip(SKIP_2) | instid1(VALU_DEP_2)
	v_xor_b32_e32 v1, v4, v5
	v_cls_i32_e32 v6, v5
	s_mov_b32 s44, exec_lo
	v_ashrrev_i32_e32 v1, 31, v1
	s_delay_alu instid0(VALU_DEP_1) | instskip(NEXT) | instid1(VALU_DEP_1)
	v_add_nc_u32_e32 v1, 32, v1
	v_add_min_u32_e64 v1, v6, -1, v1
	s_delay_alu instid0(VALU_DEP_1) | instskip(SKIP_1) | instid1(VALU_DEP_2)
	v_lshlrev_b64_e32 v[6:7], v1, v[4:5]
	v_sub_nc_u32_e32 v1, 32, v1
	v_min_u32_e32 v6, 1, v6
	s_delay_alu instid0(VALU_DEP_1) | instskip(SKIP_1) | instid1(VALU_DEP_2)
	v_or_b32_e32 v6, v7, v6
	v_mov_b32_e32 v7, 0x80
	v_cvt_f32_i32_e32 v6, v6
	s_delay_alu instid0(VALU_DEP_1) | instskip(NEXT) | instid1(VALU_DEP_1)
	v_ldexp_f32 v1, v6, v1
	v_and_b32_e32 v6, 0x7fffffff, v1
	s_delay_alu instid0(VALU_DEP_1)
	v_cmpx_gt_u32_e32 0x47800000, v6
	s_cbranch_execz .LBB71_331
; %bb.326:
	v_cmp_lt_u32_e32 vcc_lo, 0x37ffffff, v6
	s_mov_b32 s45, 0
                                        ; implicit-def: $vgpr6
	s_and_saveexec_b32 s46, vcc_lo
	s_delay_alu instid0(SALU_CYCLE_1)
	s_xor_b32 s46, exec_lo, s46
	s_cbranch_execz .LBB71_577
; %bb.327:
	v_bfe_u32 v6, v1, 21, 1
	s_mov_b32 s45, exec_lo
	s_delay_alu instid0(VALU_DEP_1) | instskip(NEXT) | instid1(VALU_DEP_1)
	v_add3_u32 v6, v1, v6, 0x88fffff
	v_lshrrev_b32_e32 v6, 21, v6
	s_and_not1_saveexec_b32 s46, s46
	s_cbranch_execnz .LBB71_578
.LBB71_328:
	s_or_b32 exec_lo, exec_lo, s46
	v_mov_b32_e32 v7, 0
	s_and_saveexec_b32 s46, s45
.LBB71_329:
	v_lshrrev_b32_e32 v1, 24, v1
	s_delay_alu instid0(VALU_DEP_1)
	v_and_or_b32 v7, 0x80, v1, v6
.LBB71_330:
	s_or_b32 exec_lo, exec_lo, s46
.LBB71_331:
	s_delay_alu instid0(SALU_CYCLE_1)
	s_or_b32 exec_lo, exec_lo, s44
	s_mov_b32 s44, 0
	global_store_b8 v[2:3], v7, off
.LBB71_332:
	s_and_b32 vcc_lo, exec_lo, s44
	s_cbranch_vccz .LBB71_342
; %bb.333:
	s_wait_xcnt 0x0
	s_delay_alu instid0(VALU_DEP_1) | instskip(SKIP_2) | instid1(VALU_DEP_2)
	v_xor_b32_e32 v1, v4, v5
	v_cls_i32_e32 v6, v5
	s_mov_b32 s44, exec_lo
	v_ashrrev_i32_e32 v1, 31, v1
	s_delay_alu instid0(VALU_DEP_1) | instskip(NEXT) | instid1(VALU_DEP_1)
	v_add_nc_u32_e32 v1, 32, v1
	v_add_min_u32_e64 v1, v6, -1, v1
	s_delay_alu instid0(VALU_DEP_1) | instskip(SKIP_1) | instid1(VALU_DEP_2)
	v_lshlrev_b64_e32 v[6:7], v1, v[4:5]
	v_sub_nc_u32_e32 v1, 32, v1
	v_min_u32_e32 v6, 1, v6
	s_delay_alu instid0(VALU_DEP_1) | instskip(NEXT) | instid1(VALU_DEP_1)
	v_or_b32_e32 v6, v7, v6
	v_cvt_f32_i32_e32 v6, v6
	s_delay_alu instid0(VALU_DEP_1) | instskip(NEXT) | instid1(VALU_DEP_1)
	v_ldexp_f32 v1, v6, v1
                                        ; implicit-def: $vgpr6
	v_and_b32_e32 v7, 0x7fffffff, v1
	s_delay_alu instid0(VALU_DEP_1)
	v_cmpx_gt_u32_e32 0x43f00000, v7
	s_xor_b32 s44, exec_lo, s44
	s_cbranch_execz .LBB71_339
; %bb.334:
	s_mov_b32 s45, exec_lo
                                        ; implicit-def: $vgpr6
	v_cmpx_lt_u32_e32 0x3c7fffff, v7
	s_xor_b32 s45, exec_lo, s45
; %bb.335:
	v_bfe_u32 v6, v1, 20, 1
	s_delay_alu instid0(VALU_DEP_1) | instskip(NEXT) | instid1(VALU_DEP_1)
	v_add3_u32 v6, v1, v6, 0x407ffff
	v_and_b32_e32 v7, 0xff00000, v6
	v_lshrrev_b32_e32 v6, 20, v6
	s_delay_alu instid0(VALU_DEP_2) | instskip(NEXT) | instid1(VALU_DEP_2)
	v_cmp_ne_u32_e32 vcc_lo, 0x7f00000, v7
	v_cndmask_b32_e32 v6, 0x7e, v6, vcc_lo
; %bb.336:
	s_and_not1_saveexec_b32 s45, s45
; %bb.337:
	v_add_f32_e64 v6, 0x46800000, |v1|
; %bb.338:
	s_or_b32 exec_lo, exec_lo, s45
                                        ; implicit-def: $vgpr7
.LBB71_339:
	s_and_not1_saveexec_b32 s44, s44
; %bb.340:
	v_mov_b32_e32 v6, 0x7f
	v_cmp_lt_u32_e32 vcc_lo, 0x7f800000, v7
	s_delay_alu instid0(VALU_DEP_2)
	v_cndmask_b32_e32 v6, 0x7e, v6, vcc_lo
; %bb.341:
	s_or_b32 exec_lo, exec_lo, s44
	v_lshrrev_b32_e32 v1, 24, v1
	s_delay_alu instid0(VALU_DEP_1)
	v_and_or_b32 v1, 0x80, v1, v6
	global_store_b8 v[2:3], v1, off
.LBB71_342:
	s_mov_b32 s44, 0
.LBB71_343:
	s_delay_alu instid0(SALU_CYCLE_1)
	s_and_not1_b32 vcc_lo, exec_lo, s44
	s_cbranch_vccnz .LBB71_353
; %bb.344:
	s_wait_xcnt 0x0
	s_delay_alu instid0(VALU_DEP_1) | instskip(SKIP_2) | instid1(VALU_DEP_2)
	v_xor_b32_e32 v1, v4, v5
	v_cls_i32_e32 v6, v5
	s_mov_b32 s44, exec_lo
	v_ashrrev_i32_e32 v1, 31, v1
	s_delay_alu instid0(VALU_DEP_1) | instskip(NEXT) | instid1(VALU_DEP_1)
	v_add_nc_u32_e32 v1, 32, v1
	v_add_min_u32_e64 v1, v6, -1, v1
	s_delay_alu instid0(VALU_DEP_1) | instskip(SKIP_1) | instid1(VALU_DEP_2)
	v_lshlrev_b64_e32 v[6:7], v1, v[4:5]
	v_sub_nc_u32_e32 v1, 32, v1
	v_min_u32_e32 v6, 1, v6
	s_delay_alu instid0(VALU_DEP_1) | instskip(NEXT) | instid1(VALU_DEP_1)
	v_or_b32_e32 v6, v7, v6
	v_cvt_f32_i32_e32 v6, v6
	s_delay_alu instid0(VALU_DEP_1) | instskip(NEXT) | instid1(VALU_DEP_1)
	v_ldexp_f32 v1, v6, v1
                                        ; implicit-def: $vgpr6
	v_and_b32_e32 v7, 0x7fffffff, v1
	s_delay_alu instid0(VALU_DEP_1)
	v_cmpx_gt_u32_e32 0x47800000, v7
	s_xor_b32 s44, exec_lo, s44
	s_cbranch_execz .LBB71_350
; %bb.345:
	s_mov_b32 s45, exec_lo
                                        ; implicit-def: $vgpr6
	v_cmpx_lt_u32_e32 0x387fffff, v7
	s_xor_b32 s45, exec_lo, s45
; %bb.346:
	v_bfe_u32 v6, v1, 21, 1
	s_delay_alu instid0(VALU_DEP_1) | instskip(NEXT) | instid1(VALU_DEP_1)
	v_add3_u32 v6, v1, v6, 0x80fffff
	v_lshrrev_b32_e32 v6, 21, v6
; %bb.347:
	s_and_not1_saveexec_b32 s45, s45
; %bb.348:
	v_add_f32_e64 v6, 0x43000000, |v1|
; %bb.349:
	s_or_b32 exec_lo, exec_lo, s45
                                        ; implicit-def: $vgpr7
.LBB71_350:
	s_and_not1_saveexec_b32 s44, s44
; %bb.351:
	v_mov_b32_e32 v6, 0x7f
	v_cmp_lt_u32_e32 vcc_lo, 0x7f800000, v7
	s_delay_alu instid0(VALU_DEP_2)
	v_cndmask_b32_e32 v6, 0x7c, v6, vcc_lo
; %bb.352:
	s_or_b32 exec_lo, exec_lo, s44
	v_lshrrev_b32_e32 v1, 24, v1
	s_delay_alu instid0(VALU_DEP_1)
	v_and_or_b32 v1, 0x80, v1, v6
	global_store_b8 v[2:3], v1, off
.LBB71_353:
	s_mov_b32 s45, 0
	s_mov_b32 s44, -1
.LBB71_354:
	s_and_not1_b32 vcc_lo, exec_lo, s45
	s_cbranch_vccnz .LBB71_362
; %bb.355:
	s_cmp_gt_i32 s43, 14
	s_mov_b32 s45, -1
	s_cbranch_scc0 .LBB71_359
; %bb.356:
	s_cmp_eq_u32 s43, 15
	s_mov_b32 s0, -1
	s_cbranch_scc0 .LBB71_358
; %bb.357:
	s_wait_xcnt 0x0
	s_delay_alu instid0(VALU_DEP_1) | instskip(SKIP_3) | instid1(VALU_DEP_2)
	v_xor_b32_e32 v1, v4, v5
	v_cls_i32_e32 v6, v5
	s_mov_b32 s44, -1
	s_mov_b32 s0, 0
	v_ashrrev_i32_e32 v1, 31, v1
	s_delay_alu instid0(VALU_DEP_1) | instskip(NEXT) | instid1(VALU_DEP_1)
	v_add_nc_u32_e32 v1, 32, v1
	v_add_min_u32_e64 v1, v6, -1, v1
	s_delay_alu instid0(VALU_DEP_1) | instskip(SKIP_1) | instid1(VALU_DEP_2)
	v_lshlrev_b64_e32 v[6:7], v1, v[4:5]
	v_sub_nc_u32_e32 v1, 32, v1
	v_min_u32_e32 v6, 1, v6
	s_delay_alu instid0(VALU_DEP_1) | instskip(NEXT) | instid1(VALU_DEP_1)
	v_or_b32_e32 v6, v7, v6
	v_cvt_f32_i32_e32 v6, v6
	s_delay_alu instid0(VALU_DEP_1) | instskip(NEXT) | instid1(VALU_DEP_1)
	v_ldexp_f32 v1, v6, v1
	v_bfe_u32 v6, v1, 16, 1
	s_delay_alu instid0(VALU_DEP_1)
	v_add3_u32 v1, v1, v6, 0x7fff
	global_store_d16_hi_b16 v[2:3], v1, off
.LBB71_358:
	s_mov_b32 s45, 0
.LBB71_359:
	s_delay_alu instid0(SALU_CYCLE_1)
	s_and_b32 vcc_lo, exec_lo, s45
	s_cbranch_vccz .LBB71_362
; %bb.360:
	s_cmp_eq_u32 s43, 11
	s_mov_b32 s0, -1
	s_cbranch_scc0 .LBB71_362
; %bb.361:
	s_delay_alu instid0(VALU_DEP_1)
	v_cmp_ne_u64_e32 vcc_lo, 0, v[4:5]
	s_mov_b32 s44, -1
	s_mov_b32 s0, 0
	s_wait_xcnt 0x0
	v_cndmask_b32_e64 v1, 0, 1, vcc_lo
	global_store_b8 v[2:3], v1, off
.LBB71_362:
	s_mov_b32 s43, 0
.LBB71_363:
	s_delay_alu instid0(SALU_CYCLE_1)
	s_and_b32 vcc_lo, exec_lo, s43
	s_cbranch_vccz .LBB71_402
; %bb.364:
	s_and_b32 s31, 0xffff, s31
	s_mov_b32 s43, -1
	s_cmp_lt_i32 s31, 5
	s_cbranch_scc1 .LBB71_385
; %bb.365:
	s_cmp_lt_i32 s31, 8
	s_cbranch_scc1 .LBB71_375
; %bb.366:
	;; [unrolled: 3-line block ×3, first 2 shown]
	s_cmp_gt_i32 s31, 9
	s_cbranch_scc0 .LBB71_369
; %bb.368:
	s_wait_xcnt 0x0
	s_delay_alu instid0(VALU_DEP_1) | instskip(NEXT) | instid1(VALU_DEP_2)
	v_cvt_f64_i32_e32 v[6:7], v5
	v_cvt_f64_u32_e32 v[8:9], v4
	s_mov_b32 s43, 0
	s_delay_alu instid0(VALU_DEP_2) | instskip(NEXT) | instid1(VALU_DEP_1)
	v_ldexp_f64 v[6:7], v[6:7], 32
	v_dual_add_f64 v[6:7], v[6:7], v[8:9] :: v_dual_mov_b32 v8, 0
	s_delay_alu instid0(VALU_DEP_1)
	v_mov_b32_e32 v9, v8
	global_store_b128 v[2:3], v[6:9], off
.LBB71_369:
	s_and_not1_b32 vcc_lo, exec_lo, s43
	s_cbranch_vccnz .LBB71_371
; %bb.370:
	s_wait_xcnt 0x0
	s_delay_alu instid0(VALU_DEP_1) | instskip(SKIP_1) | instid1(VALU_DEP_2)
	v_xor_b32_e32 v1, v4, v5
	v_cls_i32_e32 v6, v5
	v_ashrrev_i32_e32 v1, 31, v1
	s_delay_alu instid0(VALU_DEP_1) | instskip(NEXT) | instid1(VALU_DEP_1)
	v_add_nc_u32_e32 v1, 32, v1
	v_add_min_u32_e64 v1, v6, -1, v1
	s_delay_alu instid0(VALU_DEP_1) | instskip(SKIP_1) | instid1(VALU_DEP_2)
	v_lshlrev_b64_e32 v[6:7], v1, v[4:5]
	v_sub_nc_u32_e32 v1, 32, v1
	v_min_u32_e32 v6, 1, v6
	s_delay_alu instid0(VALU_DEP_1) | instskip(NEXT) | instid1(VALU_DEP_1)
	v_dual_mov_b32 v7, 0 :: v_dual_bitop2_b32 v6, v7, v6 bitop3:0x54
	v_cvt_f32_i32_e32 v6, v6
	s_delay_alu instid0(VALU_DEP_1)
	v_ldexp_f32 v6, v6, v1
	global_store_b64 v[2:3], v[6:7], off
.LBB71_371:
	s_mov_b32 s43, 0
.LBB71_372:
	s_delay_alu instid0(SALU_CYCLE_1)
	s_and_not1_b32 vcc_lo, exec_lo, s43
	s_cbranch_vccnz .LBB71_374
; %bb.373:
	s_wait_xcnt 0x0
	s_delay_alu instid0(VALU_DEP_1) | instskip(SKIP_1) | instid1(VALU_DEP_2)
	v_xor_b32_e32 v1, v4, v5
	v_cls_i32_e32 v6, v5
	v_ashrrev_i32_e32 v1, 31, v1
	s_delay_alu instid0(VALU_DEP_1) | instskip(NEXT) | instid1(VALU_DEP_1)
	v_add_nc_u32_e32 v1, 32, v1
	v_add_min_u32_e64 v1, v6, -1, v1
	s_delay_alu instid0(VALU_DEP_1) | instskip(SKIP_1) | instid1(VALU_DEP_2)
	v_lshlrev_b64_e32 v[6:7], v1, v[4:5]
	v_sub_nc_u32_e32 v1, 32, v1
	v_min_u32_e32 v6, 1, v6
	s_delay_alu instid0(VALU_DEP_1) | instskip(NEXT) | instid1(VALU_DEP_1)
	v_or_b32_e32 v6, v7, v6
	v_cvt_f32_i32_e32 v6, v6
	s_delay_alu instid0(VALU_DEP_1) | instskip(NEXT) | instid1(VALU_DEP_1)
	v_ldexp_f32 v1, v6, v1
	v_cvt_f16_f32_e32 v1, v1
	s_delay_alu instid0(VALU_DEP_1)
	v_and_b32_e32 v1, 0xffff, v1
	global_store_b32 v[2:3], v1, off
.LBB71_374:
	s_mov_b32 s43, 0
.LBB71_375:
	s_delay_alu instid0(SALU_CYCLE_1)
	s_and_not1_b32 vcc_lo, exec_lo, s43
	s_cbranch_vccnz .LBB71_384
; %bb.376:
	s_cmp_lt_i32 s31, 6
	s_mov_b32 s43, -1
	s_cbranch_scc1 .LBB71_382
; %bb.377:
	s_cmp_gt_i32 s31, 6
	s_cbranch_scc0 .LBB71_379
; %bb.378:
	s_wait_xcnt 0x0
	s_delay_alu instid0(VALU_DEP_1) | instskip(NEXT) | instid1(VALU_DEP_2)
	v_cvt_f64_i32_e32 v[6:7], v5
	v_cvt_f64_u32_e32 v[8:9], v4
	s_mov_b32 s43, 0
	s_delay_alu instid0(VALU_DEP_2) | instskip(NEXT) | instid1(VALU_DEP_1)
	v_ldexp_f64 v[6:7], v[6:7], 32
	v_add_f64_e32 v[6:7], v[6:7], v[8:9]
	global_store_b64 v[2:3], v[6:7], off
.LBB71_379:
	s_and_not1_b32 vcc_lo, exec_lo, s43
	s_cbranch_vccnz .LBB71_381
; %bb.380:
	s_wait_xcnt 0x0
	s_delay_alu instid0(VALU_DEP_1) | instskip(SKIP_1) | instid1(VALU_DEP_2)
	v_xor_b32_e32 v1, v4, v5
	v_cls_i32_e32 v6, v5
	v_ashrrev_i32_e32 v1, 31, v1
	s_delay_alu instid0(VALU_DEP_1) | instskip(NEXT) | instid1(VALU_DEP_1)
	v_add_nc_u32_e32 v1, 32, v1
	v_add_min_u32_e64 v1, v6, -1, v1
	s_delay_alu instid0(VALU_DEP_1) | instskip(SKIP_1) | instid1(VALU_DEP_2)
	v_lshlrev_b64_e32 v[6:7], v1, v[4:5]
	v_sub_nc_u32_e32 v1, 32, v1
	v_min_u32_e32 v6, 1, v6
	s_delay_alu instid0(VALU_DEP_1) | instskip(NEXT) | instid1(VALU_DEP_1)
	v_or_b32_e32 v6, v7, v6
	v_cvt_f32_i32_e32 v6, v6
	s_delay_alu instid0(VALU_DEP_1)
	v_ldexp_f32 v1, v6, v1
	global_store_b32 v[2:3], v1, off
.LBB71_381:
	s_mov_b32 s43, 0
.LBB71_382:
	s_delay_alu instid0(SALU_CYCLE_1)
	s_and_not1_b32 vcc_lo, exec_lo, s43
	s_cbranch_vccnz .LBB71_384
; %bb.383:
	s_wait_xcnt 0x0
	s_delay_alu instid0(VALU_DEP_1) | instskip(SKIP_1) | instid1(VALU_DEP_2)
	v_xor_b32_e32 v1, v4, v5
	v_cls_i32_e32 v6, v5
	v_ashrrev_i32_e32 v1, 31, v1
	s_delay_alu instid0(VALU_DEP_1) | instskip(NEXT) | instid1(VALU_DEP_1)
	v_add_nc_u32_e32 v1, 32, v1
	v_add_min_u32_e64 v1, v6, -1, v1
	s_delay_alu instid0(VALU_DEP_1) | instskip(SKIP_1) | instid1(VALU_DEP_2)
	v_lshlrev_b64_e32 v[6:7], v1, v[4:5]
	v_sub_nc_u32_e32 v1, 32, v1
	v_min_u32_e32 v6, 1, v6
	s_delay_alu instid0(VALU_DEP_1) | instskip(NEXT) | instid1(VALU_DEP_1)
	v_or_b32_e32 v6, v7, v6
	v_cvt_f32_i32_e32 v6, v6
	s_delay_alu instid0(VALU_DEP_1) | instskip(NEXT) | instid1(VALU_DEP_1)
	v_ldexp_f32 v1, v6, v1
	v_cvt_f16_f32_e32 v1, v1
	global_store_b16 v[2:3], v1, off
.LBB71_384:
	s_mov_b32 s43, 0
.LBB71_385:
	s_delay_alu instid0(SALU_CYCLE_1)
	s_and_not1_b32 vcc_lo, exec_lo, s43
	s_cbranch_vccnz .LBB71_401
; %bb.386:
	s_cmp_lt_i32 s31, 2
	s_mov_b32 s43, -1
	s_cbranch_scc1 .LBB71_396
; %bb.387:
	s_cmp_lt_i32 s31, 3
	s_cbranch_scc1 .LBB71_393
; %bb.388:
	s_cmp_gt_i32 s31, 3
	s_cbranch_scc0 .LBB71_390
; %bb.389:
	s_mov_b32 s43, 0
	global_store_b64 v[2:3], v[4:5], off
.LBB71_390:
	s_and_not1_b32 vcc_lo, exec_lo, s43
	s_cbranch_vccnz .LBB71_392
; %bb.391:
	global_store_b32 v[2:3], v4, off
.LBB71_392:
	s_mov_b32 s43, 0
.LBB71_393:
	s_delay_alu instid0(SALU_CYCLE_1)
	s_and_not1_b32 vcc_lo, exec_lo, s43
	s_cbranch_vccnz .LBB71_395
; %bb.394:
	global_store_b16 v[2:3], v4, off
.LBB71_395:
	s_mov_b32 s43, 0
.LBB71_396:
	s_delay_alu instid0(SALU_CYCLE_1)
	s_and_not1_b32 vcc_lo, exec_lo, s43
	s_cbranch_vccnz .LBB71_401
; %bb.397:
	s_cmp_gt_i32 s31, 0
	s_mov_b32 s31, -1
	s_cbranch_scc0 .LBB71_399
; %bb.398:
	s_mov_b32 s31, 0
	global_store_b8 v[2:3], v4, off
.LBB71_399:
	s_and_not1_b32 vcc_lo, exec_lo, s31
	s_cbranch_vccnz .LBB71_401
; %bb.400:
	global_store_b8 v[2:3], v4, off
.LBB71_401:
	s_mov_b32 s44, -1
.LBB71_402:
	s_delay_alu instid0(SALU_CYCLE_1)
	s_and_not1_b32 vcc_lo, exec_lo, s44
	s_cbranch_vccnz .LBB71_38
; %bb.403:
	v_add_nc_u32_e32 v0, 0x80, v0
	s_mov_b32 s31, -1
.LBB71_404:
	s_and_b32 s43, s0, exec_lo
	s_and_b32 s44, s30, exec_lo
	;; [unrolled: 1-line block ×4, first 2 shown]
	s_or_not1_b32 s28, s31, exec_lo
.LBB71_405:
	s_wait_xcnt 0x0
	s_or_b32 exec_lo, exec_lo, s47
                                        ; implicit-def: $vgpr4
                                        ; implicit-def: $vgpr8
                                        ; implicit-def: $vgpr2
	s_and_saveexec_b32 s47, s28
	s_cbranch_execz .LBB71_1267
; %bb.406:
	s_mov_b32 s28, -1
	s_mov_b32 s48, s46
	s_mov_b32 s51, s45
	;; [unrolled: 1-line block ×4, first 2 shown]
	s_mov_b32 s52, exec_lo
	v_cmpx_gt_i32_e64 s41, v0
	s_cbranch_execz .LBB71_816
; %bb.407:
	s_and_not1_b32 vcc_lo, exec_lo, s34
	s_cbranch_vccnz .LBB71_413
; %bb.408:
	s_and_not1_b32 vcc_lo, exec_lo, s42
	s_cbranch_vccnz .LBB71_414
; %bb.409:
	v_dual_mov_b32 v2, 0 :: v_dual_mov_b32 v1, v0
	s_wait_loadcnt 0x0
	v_dual_mov_b32 v4, 0 :: v_dual_mov_b32 v6, 0
	s_add_co_i32 s0, s40, 1
	s_mov_b64 s[28:29], 0xffffffffffffffe0
	s_and_b32 s0, s0, 30
	s_add_nc_u64 s[28:29], s[2:3], s[28:29]
	s_mov_b64 s[30:31], s[2:3]
.LBB71_410:                             ; =>This Inner Loop Header: Depth=1
	s_clause 0x1
	s_load_b128 s[48:51], s[30:31], 0x4
	s_load_b64 s[54:55], s[30:31], 0x14
	s_load_b32 s53, s[28:29], 0xe4
	s_add_co_i32 s0, s0, -2
	s_wait_xcnt 0x0
	s_add_nc_u64 s[30:31], s[30:31], 24
	s_cmp_eq_u32 s0, 0
	s_wait_kmcnt 0x0
	v_mul_hi_u32 v3, s49, v1
	s_delay_alu instid0(VALU_DEP_1) | instskip(NEXT) | instid1(VALU_DEP_1)
	v_add_nc_u32_e32 v3, v1, v3
	v_lshrrev_b32_e32 v3, s50, v3
	s_delay_alu instid0(VALU_DEP_1) | instskip(SKIP_2) | instid1(VALU_DEP_1)
	v_mul_hi_u32 v5, s54, v3
	v_mul_lo_u32 v7, v3, s48
	s_load_b96 s[48:50], s[28:29], 0xec
	v_dual_add_nc_u32 v5, v3, v5 :: v_dual_sub_nc_u32 v7, v1, v7
	s_delay_alu instid0(VALU_DEP_1) | instskip(SKIP_1) | instid1(VALU_DEP_2)
	v_lshrrev_b32_e32 v1, s55, v5
	s_load_b64 s[54:55], s[28:29], 0xfc
	v_mad_u32 v2, v7, s53, v2
	s_wait_xcnt 0x0
	s_add_nc_u64 s[28:29], s[28:29], 32
	v_mul_lo_u32 v5, v1, s51
	s_wait_kmcnt 0x0
	v_mad_u32 v6, v7, s49, v6
	v_mad_u32 v4, v7, s48, v4
	s_delay_alu instid0(VALU_DEP_3) | instskip(NEXT) | instid1(VALU_DEP_1)
	v_sub_nc_u32_e32 v3, v3, v5
	v_mad_u32 v2, v3, s50, v2
	s_delay_alu instid0(VALU_DEP_4) | instskip(NEXT) | instid1(VALU_DEP_4)
	v_mad_u32 v6, v3, s55, v6
	v_mad_u32 v4, v3, s54, v4
	s_cbranch_scc0 .LBB71_410
; %bb.411:
	s_bitcmp1_b32 s40, 0
	s_cselect_b32 s0, -1, 0
	s_delay_alu instid0(SALU_CYCLE_1)
	s_and_b32 vcc_lo, exec_lo, s0
	s_cbranch_vccnz .LBB71_415
; %bb.412:
	s_load_b96 s[48:50], s[30:31], 0x4
	s_load_b32 s0, s[28:29], 0xe4
	s_wait_xcnt 0x0
	s_load_b64 s[30:31], s[28:29], 0xec
	s_wait_kmcnt 0x0
	v_mul_hi_u32 v3, s49, v1
	s_delay_alu instid0(VALU_DEP_1) | instskip(NEXT) | instid1(VALU_DEP_1)
	v_add_nc_u32_e32 v3, v1, v3
	v_lshrrev_b32_e32 v3, s50, v3
	s_delay_alu instid0(VALU_DEP_1) | instskip(NEXT) | instid1(VALU_DEP_1)
	v_mul_lo_u32 v3, v3, s48
	v_sub_nc_u32_e32 v1, v1, v3
	s_delay_alu instid0(VALU_DEP_1)
	v_mad_u32 v2, v1, s0, v2
	v_mad_u32 v4, v1, s30, v4
	;; [unrolled: 1-line block ×3, first 2 shown]
	s_branch .LBB71_415
.LBB71_413:
                                        ; implicit-def: $vgpr6
                                        ; implicit-def: $vgpr4
                                        ; implicit-def: $vgpr2
	s_branch .LBB71_416
.LBB71_414:
	s_wait_loadcnt 0x0
	v_dual_mov_b32 v6, 0 :: v_dual_mov_b32 v4, 0
	v_mov_b32_e32 v2, 0
.LBB71_415:
	s_cbranch_execnz .LBB71_418
.LBB71_416:
	v_mov_b32_e32 v1, 0
	s_and_not1_b32 vcc_lo, exec_lo, s39
	s_delay_alu instid0(VALU_DEP_1) | instskip(NEXT) | instid1(VALU_DEP_1)
	v_mul_u64_e32 v[2:3], s[22:23], v[0:1]
	v_add_nc_u32_e32 v2, v0, v3
	s_wait_loadcnt 0x0
	s_delay_alu instid0(VALU_DEP_1) | instskip(NEXT) | instid1(VALU_DEP_1)
	v_lshrrev_b32_e32 v8, s10, v2
	v_mul_lo_u32 v2, v8, s8
	s_delay_alu instid0(VALU_DEP_1) | instskip(NEXT) | instid1(VALU_DEP_1)
	v_sub_nc_u32_e32 v3, v0, v2
	v_mul_lo_u32 v2, v3, s38
	v_mul_lo_u32 v6, v3, s17
	;; [unrolled: 1-line block ×3, first 2 shown]
	s_cbranch_vccnz .LBB71_418
; %bb.417:
	v_mov_b32_e32 v9, v1
	s_delay_alu instid0(VALU_DEP_1) | instskip(NEXT) | instid1(VALU_DEP_1)
	v_mul_u64_e32 v[10:11], s[26:27], v[8:9]
	v_add_nc_u32_e32 v1, v8, v11
	s_delay_alu instid0(VALU_DEP_1) | instskip(NEXT) | instid1(VALU_DEP_1)
	v_lshrrev_b32_e32 v1, s1, v1
	v_mul_lo_u32 v1, v1, s11
	s_delay_alu instid0(VALU_DEP_1) | instskip(NEXT) | instid1(VALU_DEP_1)
	v_sub_nc_u32_e32 v1, v8, v1
	v_mad_u32 v2, v1, s18, v2
	v_mad_u32 v4, v1, s24, v4
	;; [unrolled: 1-line block ×3, first 2 shown]
.LBB71_418:
	s_and_b32 s28, s37, 0xff
	s_delay_alu instid0(SALU_CYCLE_1)
	s_cmp_lt_i32 s28, 23
	s_cbranch_scc1 .LBB71_422
; %bb.419:
	s_and_b32 s30, 0xffff, s28
	s_delay_alu instid0(SALU_CYCLE_1)
	s_cmp_gt_i32 s30, 43
	s_cbranch_scc0 .LBB71_423
; %bb.420:
	s_cmp_gt_i32 s30, 45
	s_cbranch_scc0 .LBB71_424
; %bb.421:
	s_cmp_eq_u32 s30, 46
	s_mov_b32 s31, 0
	s_cselect_b32 s0, -1, 0
	s_or_b32 s29, s46, exec_lo
	s_branch .LBB71_425
.LBB71_422:
	s_mov_b32 s0, 0
	s_mov_b32 s29, s46
	s_cbranch_execnz .LBB71_431
	s_branch .LBB71_435
.LBB71_423:
	s_mov_b32 s31, -1
	s_mov_b32 s0, 0
	s_mov_b32 s29, s46
	s_branch .LBB71_428
.LBB71_424:
	s_mov_b32 s31, -1
	s_mov_b32 s0, 0
	s_mov_b32 s29, s46
.LBB71_425:
	s_and_not1_b32 vcc_lo, exec_lo, s31
	s_cbranch_vccnz .LBB71_427
; %bb.426:
	s_cmp_eq_u32 s30, 44
	s_cselect_b32 s0, -1, 0
	s_cmp_lg_u32 s30, 44
	s_cselect_b32 s31, -1, 0
	s_and_not1_b32 s29, s29, exec_lo
	s_and_b32 s31, s31, exec_lo
	s_delay_alu instid0(SALU_CYCLE_1)
	s_or_b32 s29, s29, s31
.LBB71_427:
	s_mov_b32 s31, 0
.LBB71_428:
	s_delay_alu instid0(SALU_CYCLE_1)
	s_and_b32 vcc_lo, exec_lo, s31
	s_cbranch_vccz .LBB71_430
; %bb.429:
	s_cmp_lt_i32 s30, 30
	s_cselect_b32 s0, -1, 0
	s_cmp_gt_i32 s30, 29
	s_cselect_b32 s30, -1, 0
	s_and_not1_b32 s29, s29, exec_lo
	s_and_b32 s30, s30, exec_lo
	s_delay_alu instid0(SALU_CYCLE_1)
	s_or_b32 s29, s29, s30
.LBB71_430:
	s_branch .LBB71_435
.LBB71_431:
	s_and_b32 s28, 0xffff, s28
	s_mov_b32 s30, -1
	s_cmp_gt_i32 s28, 14
	s_cbranch_scc0 .LBB71_433
; %bb.432:
	s_cmp_eq_u32 s28, 15
	s_cselect_b32 s0, -1, 0
	s_cmp_lg_u32 s28, 15
	s_cselect_b32 s30, -1, 0
	s_and_not1_b32 s29, s29, exec_lo
	s_and_b32 s31, s30, exec_lo
	s_mov_b32 s30, 0
	s_or_b32 s29, s29, s31
.LBB71_433:
	s_and_not1_b32 vcc_lo, exec_lo, s30
	s_cbranch_vccnz .LBB71_435
; %bb.434:
	s_cmp_lt_i32 s28, 12
	s_cselect_b32 s0, -1, 0
	s_cmp_gt_i32 s28, 11
	s_cselect_b32 s28, -1, 0
	s_and_not1_b32 s29, s29, exec_lo
	s_and_b32 s28, s28, exec_lo
	s_delay_alu instid0(SALU_CYCLE_1)
	s_or_b32 s29, s29, s28
.LBB71_435:
	s_and_b32 vcc_lo, exec_lo, s0
	s_cbranch_vccz .LBB71_443
; %bb.436:
	s_wait_loadcnt 0x0
	v_mov_b32_e32 v5, 0
	s_and_b32 s0, s36, 0xff
	s_delay_alu instid0(SALU_CYCLE_1) | instskip(NEXT) | instid1(VALU_DEP_1)
	s_cmp_lt_i32 s0, 11
	v_add_nc_u64_e32 v[8:9], s[4:5], v[4:5]
	s_cbranch_scc1 .LBB71_445
; %bb.437:
	s_and_b32 s29, 0xffff, s0
	s_delay_alu instid0(SALU_CYCLE_1)
	s_cmp_gt_i32 s29, 25
	s_cbranch_scc0 .LBB71_446
; %bb.438:
	s_cmp_gt_i32 s29, 28
	s_cbranch_scc0 .LBB71_447
; %bb.439:
	;; [unrolled: 3-line block ×4, first 2 shown]
	s_cmp_eq_u32 s29, 46
	s_mov_b32 s31, 0
	s_cbranch_scc0 .LBB71_452
; %bb.442:
	global_load_b32 v1, v[8:9], off
	s_mov_b32 s30, -1
	s_mov_b32 s28, 0
	s_wait_loadcnt 0x0
	v_lshlrev_b32_e32 v1, 16, v1
	s_delay_alu instid0(VALU_DEP_1) | instskip(NEXT) | instid1(VALU_DEP_1)
	v_trunc_f32_e32 v1, v1
	v_mul_f32_e64 v3, 0x2f800000, |v1|
	v_ashrrev_i32_e32 v4, 31, v1
	s_delay_alu instid0(VALU_DEP_2) | instskip(NEXT) | instid1(VALU_DEP_1)
	v_floor_f32_e32 v3, v3
	v_fma_f32 v5, 0xcf800000, v3, |v1|
	v_cvt_u32_f32_e32 v1, v3
	s_delay_alu instid0(VALU_DEP_2) | instskip(NEXT) | instid1(VALU_DEP_2)
	v_cvt_u32_f32_e32 v3, v5
	v_dual_mov_b32 v5, v4 :: v_dual_bitop2_b32 v11, v1, v4 bitop3:0x14
	s_delay_alu instid0(VALU_DEP_2) | instskip(NEXT) | instid1(VALU_DEP_1)
	v_xor_b32_e32 v10, v3, v4
	v_sub_nc_u64_e32 v[4:5], v[10:11], v[4:5]
	s_branch .LBB71_454
.LBB71_443:
	s_mov_b32 s31, 0
	s_mov_b32 s0, s43
	;; [unrolled: 1-line block ×4, first 2 shown]
.LBB71_444:
                                        ; implicit-def: $vgpr0
	s_branch .LBB71_815
.LBB71_445:
	s_mov_b32 s29, -1
	s_mov_b32 s30, 0
	s_mov_b32 s28, s45
                                        ; implicit-def: $vgpr4_vgpr5
	s_branch .LBB71_515
.LBB71_446:
	s_mov_b32 s31, -1
	s_mov_b32 s30, 0
	s_mov_b32 s28, s45
                                        ; implicit-def: $vgpr4_vgpr5
	s_branch .LBB71_481
.LBB71_447:
	s_mov_b32 s31, -1
	s_mov_b32 s30, 0
	s_mov_b32 s28, s45
                                        ; implicit-def: $vgpr4_vgpr5
	s_branch .LBB71_464
.LBB71_448:
	s_mov_b32 s31, -1
	s_mov_b32 s30, 0
	s_mov_b32 s28, s45
                                        ; implicit-def: $vgpr4_vgpr5
	s_branch .LBB71_459
.LBB71_449:
	s_mov_b32 s31, -1
	s_mov_b32 s30, 0
	s_mov_b32 s28, s45
	s_branch .LBB71_453
.LBB71_450:
	s_and_not1_saveexec_b32 s46, s46
	s_cbranch_execz .LBB71_315
.LBB71_451:
	v_add_f32_e64 v6, 0x46000000, |v1|
	s_and_not1_b32 s45, s45, exec_lo
	s_delay_alu instid0(VALU_DEP_1) | instskip(NEXT) | instid1(VALU_DEP_1)
	v_and_b32_e32 v6, 0xff, v6
	v_cmp_ne_u32_e32 vcc_lo, 0, v6
	s_and_b32 s48, vcc_lo, exec_lo
	s_delay_alu instid0(SALU_CYCLE_1)
	s_or_b32 s45, s45, s48
	s_or_b32 exec_lo, exec_lo, s46
	v_mov_b32_e32 v7, 0
	s_and_saveexec_b32 s46, s45
	s_cbranch_execnz .LBB71_316
	s_branch .LBB71_317
.LBB71_452:
	s_mov_b32 s28, -1
	s_mov_b32 s30, 0
.LBB71_453:
                                        ; implicit-def: $vgpr4_vgpr5
.LBB71_454:
	s_and_b32 vcc_lo, exec_lo, s31
	s_cbranch_vccz .LBB71_458
; %bb.455:
	s_cmp_eq_u32 s29, 44
	s_cbranch_scc0 .LBB71_457
; %bb.456:
	global_load_u8 v1, v[8:9], off
	s_mov_b32 s28, 0
	s_mov_b32 s30, -1
	s_wait_loadcnt 0x0
	v_lshlrev_b32_e32 v3, 23, v1
	v_cmp_ne_u32_e32 vcc_lo, 0, v1
	s_delay_alu instid0(VALU_DEP_2) | instskip(NEXT) | instid1(VALU_DEP_1)
	v_trunc_f32_e32 v3, v3
	v_mul_f32_e64 v4, 0x2f800000, |v3|
	s_delay_alu instid0(VALU_DEP_1) | instskip(SKIP_1) | instid1(VALU_DEP_2)
	v_floor_f32_e32 v5, v4
	v_ashrrev_i32_e32 v4, 31, v3
	v_fma_f32 v7, 0xcf800000, v5, |v3|
	v_cvt_u32_f32_e32 v3, v5
	s_delay_alu instid0(VALU_DEP_3) | instskip(NEXT) | instid1(VALU_DEP_3)
	v_mov_b32_e32 v5, v4
	v_cvt_u32_f32_e32 v7, v7
	s_delay_alu instid0(VALU_DEP_3) | instskip(NEXT) | instid1(VALU_DEP_2)
	v_xor_b32_e32 v11, v3, v4
	v_xor_b32_e32 v10, v7, v4
	s_delay_alu instid0(VALU_DEP_1) | instskip(NEXT) | instid1(VALU_DEP_1)
	v_sub_nc_u64_e32 v[4:5], v[10:11], v[4:5]
	v_dual_cndmask_b32 v5, 0, v5 :: v_dual_cndmask_b32 v4, 0, v4
	s_branch .LBB71_458
.LBB71_457:
	s_mov_b32 s28, -1
                                        ; implicit-def: $vgpr4_vgpr5
.LBB71_458:
	s_mov_b32 s31, 0
.LBB71_459:
	s_delay_alu instid0(SALU_CYCLE_1)
	s_and_b32 vcc_lo, exec_lo, s31
	s_cbranch_vccz .LBB71_463
; %bb.460:
	s_cmp_eq_u32 s29, 29
	s_cbranch_scc0 .LBB71_462
; %bb.461:
	global_load_b64 v[4:5], v[8:9], off
	s_mov_b32 s30, -1
	s_mov_b32 s28, 0
	s_branch .LBB71_463
.LBB71_462:
	s_mov_b32 s28, -1
                                        ; implicit-def: $vgpr4_vgpr5
.LBB71_463:
	s_mov_b32 s31, 0
.LBB71_464:
	s_delay_alu instid0(SALU_CYCLE_1)
	s_and_b32 vcc_lo, exec_lo, s31
	s_cbranch_vccz .LBB71_480
; %bb.465:
	s_cmp_lt_i32 s29, 27
	s_cbranch_scc1 .LBB71_468
; %bb.466:
	s_cmp_gt_i32 s29, 27
	s_cbranch_scc0 .LBB71_469
; %bb.467:
	s_wait_loadcnt 0x0
	global_load_b32 v4, v[8:9], off
	v_mov_b32_e32 v5, 0
	s_mov_b32 s30, 0
	s_branch .LBB71_470
.LBB71_468:
	s_mov_b32 s30, -1
                                        ; implicit-def: $vgpr4_vgpr5
	s_branch .LBB71_473
.LBB71_469:
	s_mov_b32 s30, -1
                                        ; implicit-def: $vgpr4_vgpr5
.LBB71_470:
	s_delay_alu instid0(SALU_CYCLE_1)
	s_and_not1_b32 vcc_lo, exec_lo, s30
	s_cbranch_vccnz .LBB71_472
; %bb.471:
	global_load_u16 v1, v[8:9], off
	s_mov_b32 s30, 0
	s_wait_loadcnt 0x1
	v_mov_b32_e32 v5, s30
	s_wait_loadcnt 0x0
	v_and_b32_e32 v4, 0xffff, v1
.LBB71_472:
	s_mov_b32 s30, 0
.LBB71_473:
	s_delay_alu instid0(SALU_CYCLE_1)
	s_and_not1_b32 vcc_lo, exec_lo, s30
	s_cbranch_vccnz .LBB71_479
; %bb.474:
	global_load_u8 v1, v[8:9], off
	s_mov_b32 s31, 0
	s_mov_b32 s30, exec_lo
	s_wait_loadcnt 0x0
	v_cmpx_lt_i16_e32 0x7f, v1
	s_xor_b32 s30, exec_lo, s30
	s_cbranch_execz .LBB71_491
; %bb.475:
	v_cmp_ne_u16_e32 vcc_lo, 0x80, v1
	s_and_b32 s31, vcc_lo, exec_lo
	s_and_not1_saveexec_b32 s30, s30
	s_cbranch_execnz .LBB71_492
.LBB71_476:
	s_or_b32 exec_lo, exec_lo, s30
	v_mov_b64_e32 v[4:5], 0
	s_and_saveexec_b32 s30, s31
	s_cbranch_execz .LBB71_478
.LBB71_477:
	v_and_b32_e32 v3, 0xffff, v1
	s_delay_alu instid0(VALU_DEP_1) | instskip(SKIP_1) | instid1(VALU_DEP_2)
	v_and_b32_e32 v4, 7, v3
	v_bfe_u32 v10, v3, 3, 4
	v_clz_i32_u32_e32 v5, v4
	s_delay_alu instid0(VALU_DEP_2) | instskip(NEXT) | instid1(VALU_DEP_2)
	v_cmp_eq_u32_e32 vcc_lo, 0, v10
	v_min_u32_e32 v5, 32, v5
	s_delay_alu instid0(VALU_DEP_1) | instskip(NEXT) | instid1(VALU_DEP_1)
	v_subrev_nc_u32_e32 v7, 28, v5
	v_dual_lshlrev_b32 v3, v7, v3 :: v_dual_sub_nc_u32 v5, 29, v5
	s_delay_alu instid0(VALU_DEP_1) | instskip(NEXT) | instid1(VALU_DEP_1)
	v_dual_lshlrev_b32 v1, 24, v1 :: v_dual_bitop2_b32 v3, 7, v3 bitop3:0x40
	v_dual_cndmask_b32 v3, v4, v3, vcc_lo :: v_dual_cndmask_b32 v5, v10, v5, vcc_lo
	s_delay_alu instid0(VALU_DEP_2) | instskip(NEXT) | instid1(VALU_DEP_2)
	v_and_b32_e32 v1, 0x80000000, v1
	v_lshlrev_b32_e32 v3, 20, v3
	s_delay_alu instid0(VALU_DEP_3) | instskip(NEXT) | instid1(VALU_DEP_1)
	v_lshl_add_u32 v4, v5, 23, 0x3b800000
	v_or3_b32 v1, v1, v4, v3
	s_delay_alu instid0(VALU_DEP_1) | instskip(NEXT) | instid1(VALU_DEP_1)
	v_trunc_f32_e32 v1, v1
	v_mul_f32_e64 v3, 0x2f800000, |v1|
	v_ashrrev_i32_e32 v4, 31, v1
	s_delay_alu instid0(VALU_DEP_2) | instskip(NEXT) | instid1(VALU_DEP_1)
	v_floor_f32_e32 v3, v3
	v_fma_f32 v5, 0xcf800000, v3, |v1|
	v_cvt_u32_f32_e32 v1, v3
	s_delay_alu instid0(VALU_DEP_2) | instskip(NEXT) | instid1(VALU_DEP_2)
	v_cvt_u32_f32_e32 v3, v5
	v_dual_mov_b32 v5, v4 :: v_dual_bitop2_b32 v11, v1, v4 bitop3:0x14
	s_delay_alu instid0(VALU_DEP_2) | instskip(NEXT) | instid1(VALU_DEP_1)
	v_xor_b32_e32 v10, v3, v4
	v_sub_nc_u64_e32 v[4:5], v[10:11], v[4:5]
.LBB71_478:
	s_or_b32 exec_lo, exec_lo, s30
.LBB71_479:
	s_mov_b32 s30, -1
.LBB71_480:
	s_mov_b32 s31, 0
.LBB71_481:
	s_delay_alu instid0(SALU_CYCLE_1)
	s_and_b32 vcc_lo, exec_lo, s31
	s_cbranch_vccz .LBB71_514
; %bb.482:
	s_cmp_gt_i32 s29, 22
	s_cbranch_scc0 .LBB71_490
; %bb.483:
	s_cmp_lt_i32 s29, 24
	s_cbranch_scc1 .LBB71_493
; %bb.484:
	s_cmp_gt_i32 s29, 24
	s_cbranch_scc0 .LBB71_494
; %bb.485:
	global_load_u8 v1, v[8:9], off
	s_mov_b32 s31, 0
	s_mov_b32 s30, exec_lo
	s_wait_loadcnt 0x0
	v_cmpx_lt_i16_e32 0x7f, v1
	s_xor_b32 s30, exec_lo, s30
	s_cbranch_execz .LBB71_506
; %bb.486:
	v_cmp_ne_u16_e32 vcc_lo, 0x80, v1
	s_and_b32 s31, vcc_lo, exec_lo
	s_and_not1_saveexec_b32 s30, s30
	s_cbranch_execnz .LBB71_507
.LBB71_487:
	s_or_b32 exec_lo, exec_lo, s30
	v_mov_b64_e32 v[4:5], 0
	s_and_saveexec_b32 s30, s31
	s_cbranch_execz .LBB71_489
.LBB71_488:
	v_and_b32_e32 v3, 0xffff, v1
	s_delay_alu instid0(VALU_DEP_1) | instskip(SKIP_1) | instid1(VALU_DEP_2)
	v_and_b32_e32 v4, 3, v3
	v_bfe_u32 v10, v3, 2, 5
	v_clz_i32_u32_e32 v5, v4
	s_delay_alu instid0(VALU_DEP_2) | instskip(NEXT) | instid1(VALU_DEP_2)
	v_cmp_eq_u32_e32 vcc_lo, 0, v10
	v_min_u32_e32 v5, 32, v5
	s_delay_alu instid0(VALU_DEP_1) | instskip(NEXT) | instid1(VALU_DEP_1)
	v_subrev_nc_u32_e32 v7, 29, v5
	v_dual_lshlrev_b32 v3, v7, v3 :: v_dual_sub_nc_u32 v5, 30, v5
	s_delay_alu instid0(VALU_DEP_1) | instskip(NEXT) | instid1(VALU_DEP_1)
	v_dual_lshlrev_b32 v1, 24, v1 :: v_dual_bitop2_b32 v3, 3, v3 bitop3:0x40
	v_dual_cndmask_b32 v3, v4, v3, vcc_lo :: v_dual_cndmask_b32 v5, v10, v5, vcc_lo
	s_delay_alu instid0(VALU_DEP_2) | instskip(NEXT) | instid1(VALU_DEP_2)
	v_and_b32_e32 v1, 0x80000000, v1
	v_lshlrev_b32_e32 v3, 21, v3
	s_delay_alu instid0(VALU_DEP_3) | instskip(NEXT) | instid1(VALU_DEP_1)
	v_lshl_add_u32 v4, v5, 23, 0x37800000
	v_or3_b32 v1, v1, v4, v3
	s_delay_alu instid0(VALU_DEP_1) | instskip(NEXT) | instid1(VALU_DEP_1)
	v_trunc_f32_e32 v1, v1
	v_mul_f32_e64 v3, 0x2f800000, |v1|
	v_ashrrev_i32_e32 v4, 31, v1
	s_delay_alu instid0(VALU_DEP_2) | instskip(NEXT) | instid1(VALU_DEP_1)
	v_floor_f32_e32 v3, v3
	v_fma_f32 v5, 0xcf800000, v3, |v1|
	v_cvt_u32_f32_e32 v1, v3
	s_delay_alu instid0(VALU_DEP_2) | instskip(NEXT) | instid1(VALU_DEP_2)
	v_cvt_u32_f32_e32 v3, v5
	v_dual_mov_b32 v5, v4 :: v_dual_bitop2_b32 v11, v1, v4 bitop3:0x14
	s_delay_alu instid0(VALU_DEP_2) | instskip(NEXT) | instid1(VALU_DEP_1)
	v_xor_b32_e32 v10, v3, v4
	v_sub_nc_u64_e32 v[4:5], v[10:11], v[4:5]
.LBB71_489:
	s_or_b32 exec_lo, exec_lo, s30
	s_mov_b32 s30, 0
	s_branch .LBB71_495
.LBB71_490:
	s_mov_b32 s31, -1
                                        ; implicit-def: $vgpr4_vgpr5
	s_branch .LBB71_501
.LBB71_491:
	s_and_not1_saveexec_b32 s30, s30
	s_cbranch_execz .LBB71_476
.LBB71_492:
	v_cmp_ne_u16_e32 vcc_lo, 0, v1
	s_and_not1_b32 s31, s31, exec_lo
	s_and_b32 s48, vcc_lo, exec_lo
	s_delay_alu instid0(SALU_CYCLE_1)
	s_or_b32 s31, s31, s48
	s_or_b32 exec_lo, exec_lo, s30
	v_mov_b64_e32 v[4:5], 0
	s_and_saveexec_b32 s30, s31
	s_cbranch_execnz .LBB71_477
	s_branch .LBB71_478
.LBB71_493:
	s_mov_b32 s30, -1
                                        ; implicit-def: $vgpr4_vgpr5
	s_branch .LBB71_498
.LBB71_494:
	s_mov_b32 s30, -1
                                        ; implicit-def: $vgpr4_vgpr5
.LBB71_495:
	s_delay_alu instid0(SALU_CYCLE_1)
	s_and_b32 vcc_lo, exec_lo, s30
	s_cbranch_vccz .LBB71_497
; %bb.496:
	global_load_u8 v1, v[8:9], off
	s_wait_loadcnt 0x0
	v_lshlrev_b32_e32 v1, 24, v1
	s_delay_alu instid0(VALU_DEP_1) | instskip(NEXT) | instid1(VALU_DEP_1)
	v_and_b32_e32 v3, 0x7f000000, v1
	v_clz_i32_u32_e32 v4, v3
	v_add_nc_u32_e32 v7, 0x1000000, v3
	v_cmp_ne_u32_e32 vcc_lo, 0, v3
	s_delay_alu instid0(VALU_DEP_3) | instskip(NEXT) | instid1(VALU_DEP_1)
	v_min_u32_e32 v4, 32, v4
	v_sub_nc_u32_e64 v4, v4, 4 clamp
	s_delay_alu instid0(VALU_DEP_1) | instskip(NEXT) | instid1(VALU_DEP_1)
	v_dual_lshlrev_b32 v5, v4, v3 :: v_dual_lshlrev_b32 v4, 23, v4
	v_lshrrev_b32_e32 v5, 4, v5
	s_delay_alu instid0(VALU_DEP_1) | instskip(NEXT) | instid1(VALU_DEP_1)
	v_dual_sub_nc_u32 v4, v5, v4 :: v_dual_ashrrev_i32 v5, 8, v7
	v_add_nc_u32_e32 v4, 0x3c000000, v4
	s_delay_alu instid0(VALU_DEP_1) | instskip(NEXT) | instid1(VALU_DEP_1)
	v_and_or_b32 v4, 0x7f800000, v5, v4
	v_cndmask_b32_e32 v3, 0, v4, vcc_lo
	s_delay_alu instid0(VALU_DEP_1) | instskip(NEXT) | instid1(VALU_DEP_1)
	v_and_or_b32 v1, 0x80000000, v1, v3
	v_trunc_f32_e32 v1, v1
	s_delay_alu instid0(VALU_DEP_1) | instskip(SKIP_1) | instid1(VALU_DEP_2)
	v_mul_f32_e64 v3, 0x2f800000, |v1|
	v_ashrrev_i32_e32 v4, 31, v1
	v_floor_f32_e32 v3, v3
	s_delay_alu instid0(VALU_DEP_1) | instskip(SKIP_1) | instid1(VALU_DEP_2)
	v_fma_f32 v5, 0xcf800000, v3, |v1|
	v_cvt_u32_f32_e32 v1, v3
	v_cvt_u32_f32_e32 v3, v5
	s_delay_alu instid0(VALU_DEP_2) | instskip(NEXT) | instid1(VALU_DEP_2)
	v_dual_mov_b32 v5, v4 :: v_dual_bitop2_b32 v11, v1, v4 bitop3:0x14
	v_xor_b32_e32 v10, v3, v4
	s_delay_alu instid0(VALU_DEP_1)
	v_sub_nc_u64_e32 v[4:5], v[10:11], v[4:5]
.LBB71_497:
	s_mov_b32 s30, 0
.LBB71_498:
	s_delay_alu instid0(SALU_CYCLE_1)
	s_and_not1_b32 vcc_lo, exec_lo, s30
	s_cbranch_vccnz .LBB71_500
; %bb.499:
	global_load_u8 v1, v[8:9], off
	s_wait_loadcnt 0x0
	v_lshlrev_b32_e32 v3, 25, v1
	v_lshlrev_b16 v1, 8, v1
	s_delay_alu instid0(VALU_DEP_1) | instskip(NEXT) | instid1(VALU_DEP_3)
	v_and_or_b32 v5, 0x7f00, v1, 0.5
	v_lshrrev_b32_e32 v4, 4, v3
	v_bfe_i32 v1, v1, 0, 16
	s_delay_alu instid0(VALU_DEP_3) | instskip(NEXT) | instid1(VALU_DEP_3)
	v_add_f32_e32 v5, -0.5, v5
	v_or_b32_e32 v4, 0x70000000, v4
	s_delay_alu instid0(VALU_DEP_1) | instskip(SKIP_1) | instid1(VALU_DEP_2)
	v_mul_f32_e32 v4, 0x7800000, v4
	v_cmp_gt_u32_e32 vcc_lo, 0x8000000, v3
	v_cndmask_b32_e32 v3, v4, v5, vcc_lo
	s_delay_alu instid0(VALU_DEP_1) | instskip(NEXT) | instid1(VALU_DEP_1)
	v_and_or_b32 v1, 0x80000000, v1, v3
	v_trunc_f32_e32 v1, v1
	s_delay_alu instid0(VALU_DEP_1) | instskip(SKIP_1) | instid1(VALU_DEP_2)
	v_mul_f32_e64 v3, 0x2f800000, |v1|
	v_ashrrev_i32_e32 v4, 31, v1
	v_floor_f32_e32 v3, v3
	s_delay_alu instid0(VALU_DEP_1) | instskip(SKIP_1) | instid1(VALU_DEP_2)
	v_fma_f32 v5, 0xcf800000, v3, |v1|
	v_cvt_u32_f32_e32 v1, v3
	v_cvt_u32_f32_e32 v3, v5
	s_delay_alu instid0(VALU_DEP_2) | instskip(NEXT) | instid1(VALU_DEP_2)
	v_dual_mov_b32 v5, v4 :: v_dual_bitop2_b32 v11, v1, v4 bitop3:0x14
	v_xor_b32_e32 v10, v3, v4
	s_delay_alu instid0(VALU_DEP_1)
	v_sub_nc_u64_e32 v[4:5], v[10:11], v[4:5]
.LBB71_500:
	s_mov_b32 s31, 0
	s_mov_b32 s30, -1
.LBB71_501:
	s_and_not1_b32 vcc_lo, exec_lo, s31
	s_cbranch_vccnz .LBB71_514
; %bb.502:
	s_cmp_gt_i32 s29, 14
	s_cbranch_scc0 .LBB71_505
; %bb.503:
	s_cmp_eq_u32 s29, 15
	s_cbranch_scc0 .LBB71_508
; %bb.504:
	global_load_u16 v1, v[8:9], off
	s_mov_b32 s30, -1
	s_mov_b32 s28, 0
	s_wait_loadcnt 0x0
	v_lshlrev_b32_e32 v1, 16, v1
	s_delay_alu instid0(VALU_DEP_1) | instskip(NEXT) | instid1(VALU_DEP_1)
	v_trunc_f32_e32 v1, v1
	v_mul_f32_e64 v3, 0x2f800000, |v1|
	v_ashrrev_i32_e32 v4, 31, v1
	s_delay_alu instid0(VALU_DEP_2) | instskip(NEXT) | instid1(VALU_DEP_1)
	v_floor_f32_e32 v3, v3
	v_fma_f32 v5, 0xcf800000, v3, |v1|
	v_cvt_u32_f32_e32 v1, v3
	s_delay_alu instid0(VALU_DEP_2) | instskip(NEXT) | instid1(VALU_DEP_2)
	v_cvt_u32_f32_e32 v3, v5
	v_dual_mov_b32 v5, v4 :: v_dual_bitop2_b32 v11, v1, v4 bitop3:0x14
	s_delay_alu instid0(VALU_DEP_2) | instskip(NEXT) | instid1(VALU_DEP_1)
	v_xor_b32_e32 v10, v3, v4
	v_sub_nc_u64_e32 v[4:5], v[10:11], v[4:5]
	s_branch .LBB71_509
.LBB71_505:
	s_mov_b32 s31, -1
                                        ; implicit-def: $vgpr4_vgpr5
	s_branch .LBB71_510
.LBB71_506:
	s_and_not1_saveexec_b32 s30, s30
	s_cbranch_execz .LBB71_487
.LBB71_507:
	v_cmp_ne_u16_e32 vcc_lo, 0, v1
	s_and_not1_b32 s31, s31, exec_lo
	s_and_b32 s48, vcc_lo, exec_lo
	s_delay_alu instid0(SALU_CYCLE_1)
	s_or_b32 s31, s31, s48
	s_or_b32 exec_lo, exec_lo, s30
	v_mov_b64_e32 v[4:5], 0
	s_and_saveexec_b32 s30, s31
	s_cbranch_execnz .LBB71_488
	s_branch .LBB71_489
.LBB71_508:
	s_mov_b32 s28, -1
                                        ; implicit-def: $vgpr4_vgpr5
.LBB71_509:
	s_mov_b32 s31, 0
.LBB71_510:
	s_delay_alu instid0(SALU_CYCLE_1)
	s_and_b32 vcc_lo, exec_lo, s31
	s_cbranch_vccz .LBB71_514
; %bb.511:
	s_cmp_eq_u32 s29, 11
	s_cbranch_scc0 .LBB71_513
; %bb.512:
	global_load_u8 v1, v[8:9], off
	s_mov_b32 s28, 0
	s_mov_b32 s30, -1
	s_wait_loadcnt 0x1
	v_mov_b32_e32 v5, s28
	s_wait_loadcnt 0x0
	v_cmp_ne_u16_e32 vcc_lo, 0, v1
	v_cndmask_b32_e64 v4, 0, 1, vcc_lo
	s_branch .LBB71_514
.LBB71_513:
	s_mov_b32 s28, -1
                                        ; implicit-def: $vgpr4_vgpr5
.LBB71_514:
	s_mov_b32 s29, 0
.LBB71_515:
	s_delay_alu instid0(SALU_CYCLE_1)
	s_and_b32 vcc_lo, exec_lo, s29
	s_cbranch_vccz .LBB71_564
; %bb.516:
	s_and_b32 s0, 0xffff, s0
	s_delay_alu instid0(SALU_CYCLE_1)
	s_cmp_lt_i32 s0, 5
	s_cbranch_scc1 .LBB71_521
; %bb.517:
	s_cmp_lt_i32 s0, 8
	s_cbranch_scc1 .LBB71_522
; %bb.518:
	;; [unrolled: 3-line block ×3, first 2 shown]
	s_cmp_gt_i32 s0, 9
	s_cbranch_scc0 .LBB71_524
; %bb.520:
	s_wait_loadcnt 0x0
	global_load_b64 v[4:5], v[8:9], off
	s_mov_b32 s29, 0
	s_wait_loadcnt 0x0
	v_trunc_f64_e32 v[4:5], v[4:5]
	s_delay_alu instid0(VALU_DEP_1) | instskip(NEXT) | instid1(VALU_DEP_1)
	v_ldexp_f64 v[10:11], v[4:5], 0xffffffe0
	v_floor_f64_e32 v[10:11], v[10:11]
	s_delay_alu instid0(VALU_DEP_1) | instskip(SKIP_1) | instid1(VALU_DEP_2)
	v_fmamk_f64 v[12:13], v[10:11], 0xc1f00000, v[4:5]
	v_cvt_i32_f64_e32 v5, v[10:11]
	v_cvt_u32_f64_e32 v4, v[12:13]
	s_branch .LBB71_525
.LBB71_521:
	s_mov_b32 s29, -1
                                        ; implicit-def: $vgpr4_vgpr5
	s_branch .LBB71_543
.LBB71_522:
	s_mov_b32 s29, -1
                                        ; implicit-def: $vgpr4_vgpr5
	s_branch .LBB71_531
.LBB71_523:
	s_mov_b32 s29, -1
                                        ; implicit-def: $vgpr4_vgpr5
	s_branch .LBB71_528
.LBB71_524:
	s_mov_b32 s29, -1
                                        ; implicit-def: $vgpr4_vgpr5
.LBB71_525:
	s_delay_alu instid0(SALU_CYCLE_1)
	s_and_not1_b32 vcc_lo, exec_lo, s29
	s_cbranch_vccnz .LBB71_527
; %bb.526:
	global_load_b32 v1, v[8:9], off
	s_wait_loadcnt 0x0
	v_trunc_f32_e32 v1, v1
	s_delay_alu instid0(VALU_DEP_1) | instskip(SKIP_1) | instid1(VALU_DEP_2)
	v_mul_f32_e64 v3, 0x2f800000, |v1|
	v_ashrrev_i32_e32 v4, 31, v1
	v_floor_f32_e32 v3, v3
	s_delay_alu instid0(VALU_DEP_1) | instskip(SKIP_1) | instid1(VALU_DEP_2)
	v_fma_f32 v5, 0xcf800000, v3, |v1|
	v_cvt_u32_f32_e32 v1, v3
	v_cvt_u32_f32_e32 v3, v5
	s_delay_alu instid0(VALU_DEP_2) | instskip(NEXT) | instid1(VALU_DEP_2)
	v_dual_mov_b32 v5, v4 :: v_dual_bitop2_b32 v11, v1, v4 bitop3:0x14
	v_xor_b32_e32 v10, v3, v4
	s_delay_alu instid0(VALU_DEP_1)
	v_sub_nc_u64_e32 v[4:5], v[10:11], v[4:5]
.LBB71_527:
	s_mov_b32 s29, 0
.LBB71_528:
	s_delay_alu instid0(SALU_CYCLE_1)
	s_and_not1_b32 vcc_lo, exec_lo, s29
	s_cbranch_vccnz .LBB71_530
; %bb.529:
	global_load_b32 v1, v[8:9], off
	s_wait_loadcnt 0x0
	v_cvt_f32_f16_e32 v1, v1
	s_delay_alu instid0(VALU_DEP_1) | instskip(NEXT) | instid1(VALU_DEP_1)
	v_cvt_i32_f32_e32 v4, v1
	v_ashrrev_i32_e32 v5, 31, v4
.LBB71_530:
	s_mov_b32 s29, 0
.LBB71_531:
	s_delay_alu instid0(SALU_CYCLE_1)
	s_and_not1_b32 vcc_lo, exec_lo, s29
	s_cbranch_vccnz .LBB71_542
; %bb.532:
	s_cmp_lt_i32 s0, 6
	s_cbranch_scc1 .LBB71_535
; %bb.533:
	s_cmp_gt_i32 s0, 6
	s_cbranch_scc0 .LBB71_536
; %bb.534:
	s_wait_loadcnt 0x0
	global_load_b64 v[4:5], v[8:9], off
	s_mov_b32 s29, 0
	s_wait_loadcnt 0x0
	v_trunc_f64_e32 v[4:5], v[4:5]
	s_delay_alu instid0(VALU_DEP_1) | instskip(NEXT) | instid1(VALU_DEP_1)
	v_ldexp_f64 v[10:11], v[4:5], 0xffffffe0
	v_floor_f64_e32 v[10:11], v[10:11]
	s_delay_alu instid0(VALU_DEP_1) | instskip(SKIP_1) | instid1(VALU_DEP_2)
	v_fmamk_f64 v[12:13], v[10:11], 0xc1f00000, v[4:5]
	v_cvt_i32_f64_e32 v5, v[10:11]
	v_cvt_u32_f64_e32 v4, v[12:13]
	s_branch .LBB71_537
.LBB71_535:
	s_mov_b32 s29, -1
                                        ; implicit-def: $vgpr4_vgpr5
	s_branch .LBB71_540
.LBB71_536:
	s_mov_b32 s29, -1
                                        ; implicit-def: $vgpr4_vgpr5
.LBB71_537:
	s_delay_alu instid0(SALU_CYCLE_1)
	s_and_not1_b32 vcc_lo, exec_lo, s29
	s_cbranch_vccnz .LBB71_539
; %bb.538:
	global_load_b32 v1, v[8:9], off
	s_wait_loadcnt 0x0
	v_trunc_f32_e32 v1, v1
	s_delay_alu instid0(VALU_DEP_1) | instskip(SKIP_1) | instid1(VALU_DEP_2)
	v_mul_f32_e64 v3, 0x2f800000, |v1|
	v_ashrrev_i32_e32 v4, 31, v1
	v_floor_f32_e32 v3, v3
	s_delay_alu instid0(VALU_DEP_1) | instskip(SKIP_1) | instid1(VALU_DEP_2)
	v_fma_f32 v5, 0xcf800000, v3, |v1|
	v_cvt_u32_f32_e32 v1, v3
	v_cvt_u32_f32_e32 v3, v5
	s_delay_alu instid0(VALU_DEP_2) | instskip(NEXT) | instid1(VALU_DEP_2)
	v_dual_mov_b32 v5, v4 :: v_dual_bitop2_b32 v11, v1, v4 bitop3:0x14
	v_xor_b32_e32 v10, v3, v4
	s_delay_alu instid0(VALU_DEP_1)
	v_sub_nc_u64_e32 v[4:5], v[10:11], v[4:5]
.LBB71_539:
	s_mov_b32 s29, 0
.LBB71_540:
	s_delay_alu instid0(SALU_CYCLE_1)
	s_and_not1_b32 vcc_lo, exec_lo, s29
	s_cbranch_vccnz .LBB71_542
; %bb.541:
	global_load_u16 v1, v[8:9], off
	s_wait_loadcnt 0x0
	v_cvt_f32_f16_e32 v1, v1
	s_delay_alu instid0(VALU_DEP_1) | instskip(NEXT) | instid1(VALU_DEP_1)
	v_cvt_i32_f32_e32 v4, v1
	v_ashrrev_i32_e32 v5, 31, v4
.LBB71_542:
	s_mov_b32 s29, 0
.LBB71_543:
	s_delay_alu instid0(SALU_CYCLE_1)
	s_and_not1_b32 vcc_lo, exec_lo, s29
	s_cbranch_vccnz .LBB71_563
; %bb.544:
	s_cmp_lt_i32 s0, 2
	s_cbranch_scc1 .LBB71_548
; %bb.545:
	s_cmp_lt_i32 s0, 3
	s_cbranch_scc1 .LBB71_549
; %bb.546:
	s_cmp_gt_i32 s0, 3
	s_cbranch_scc0 .LBB71_550
; %bb.547:
	s_wait_loadcnt 0x0
	global_load_b64 v[4:5], v[8:9], off
	s_mov_b32 s29, 0
	s_branch .LBB71_551
.LBB71_548:
	s_mov_b32 s29, -1
                                        ; implicit-def: $vgpr4_vgpr5
	s_branch .LBB71_557
.LBB71_549:
	s_mov_b32 s29, -1
                                        ; implicit-def: $vgpr4_vgpr5
	s_branch .LBB71_554
.LBB71_550:
	s_mov_b32 s29, -1
                                        ; implicit-def: $vgpr4_vgpr5
.LBB71_551:
	s_delay_alu instid0(SALU_CYCLE_1)
	s_and_not1_b32 vcc_lo, exec_lo, s29
	s_cbranch_vccnz .LBB71_553
; %bb.552:
	s_wait_loadcnt 0x0
	global_load_b32 v4, v[8:9], off
	s_wait_loadcnt 0x0
	v_ashrrev_i32_e32 v5, 31, v4
.LBB71_553:
	s_mov_b32 s29, 0
.LBB71_554:
	s_delay_alu instid0(SALU_CYCLE_1)
	s_and_not1_b32 vcc_lo, exec_lo, s29
	s_cbranch_vccnz .LBB71_556
; %bb.555:
	global_load_u16 v1, v[8:9], off
	s_wait_loadcnt 0x0
	v_bfe_i32 v4, v1, 0, 16
	s_delay_alu instid0(VALU_DEP_1)
	v_ashrrev_i32_e32 v5, 31, v4
.LBB71_556:
	s_mov_b32 s29, 0
.LBB71_557:
	s_delay_alu instid0(SALU_CYCLE_1)
	s_and_not1_b32 vcc_lo, exec_lo, s29
	s_cbranch_vccnz .LBB71_563
; %bb.558:
	s_cmp_gt_i32 s0, 0
	s_mov_b32 s0, 0
	s_cbranch_scc0 .LBB71_560
; %bb.559:
	global_load_i8 v1, v[8:9], off
	s_wait_loadcnt 0x0
	v_bfe_i32 v4, v1, 0, 16
	s_delay_alu instid0(VALU_DEP_1)
	v_ashrrev_i32_e32 v5, 31, v4
	s_branch .LBB71_561
.LBB71_560:
	s_mov_b32 s0, -1
                                        ; implicit-def: $vgpr4_vgpr5
.LBB71_561:
	s_delay_alu instid0(SALU_CYCLE_1)
	s_and_not1_b32 vcc_lo, exec_lo, s0
	s_cbranch_vccnz .LBB71_563
; %bb.562:
	global_load_u8 v1, v[8:9], off
	s_mov_b32 s0, 0
	s_wait_loadcnt 0x1
	v_mov_b32_e32 v5, s0
	s_wait_loadcnt 0x0
	v_and_b32_e32 v4, 0xffff, v1
.LBB71_563:
	s_mov_b32 s30, -1
.LBB71_564:
	s_mov_b32 s29, 0
	s_mov_b32 s0, s43
	s_and_not1_b32 vcc_lo, exec_lo, s30
	s_mov_b32 s30, s44
	s_mov_b32 s31, 0
	s_cbranch_vccnz .LBB71_815
; %bb.565:
	v_mov_b32_e32 v7, 0
	s_and_b32 s0, 0xffff, s9
	s_delay_alu instid0(SALU_CYCLE_1) | instskip(NEXT) | instid1(VALU_DEP_1)
	s_cmp_lt_i32 s0, 11
	v_add_nc_u64_e32 v[6:7], s[6:7], v[6:7]
	s_cbranch_scc1 .LBB71_572
; %bb.566:
	s_cmp_gt_i32 s0, 25
	s_cbranch_scc0 .LBB71_573
; %bb.567:
	s_cmp_gt_i32 s0, 28
	s_cbranch_scc0 .LBB71_574
	;; [unrolled: 3-line block ×4, first 2 shown]
; %bb.570:
	s_cmp_eq_u32 s0, 46
	s_mov_b32 s48, 0
	s_cbranch_scc0 .LBB71_579
; %bb.571:
	global_load_b32 v1, v[6:7], off
	s_mov_b32 s31, -1
	s_mov_b32 s30, 0
	s_wait_loadcnt 0x0
	v_lshlrev_b32_e32 v1, 16, v1
	s_delay_alu instid0(VALU_DEP_1) | instskip(NEXT) | instid1(VALU_DEP_1)
	v_trunc_f32_e32 v1, v1
	v_mul_f32_e64 v3, 0x2f800000, |v1|
	s_wait_xcnt 0x1
	v_ashrrev_i32_e32 v8, 31, v1
	s_delay_alu instid0(VALU_DEP_2) | instskip(NEXT) | instid1(VALU_DEP_1)
	v_floor_f32_e32 v3, v3
	v_fma_f32 v9, 0xcf800000, v3, |v1|
	v_cvt_u32_f32_e32 v1, v3
	s_delay_alu instid0(VALU_DEP_2) | instskip(NEXT) | instid1(VALU_DEP_2)
	v_cvt_u32_f32_e32 v3, v9
	v_dual_mov_b32 v9, v8 :: v_dual_bitop2_b32 v11, v1, v8 bitop3:0x14
	s_delay_alu instid0(VALU_DEP_2) | instskip(NEXT) | instid1(VALU_DEP_1)
	v_xor_b32_e32 v10, v3, v8
	v_sub_nc_u64_e32 v[8:9], v[10:11], v[8:9]
	s_branch .LBB71_581
.LBB71_572:
	s_mov_b32 s48, -1
	s_mov_b32 s30, s44
                                        ; implicit-def: $vgpr8_vgpr9
	s_branch .LBB71_642
.LBB71_573:
	s_mov_b32 s48, -1
	s_mov_b32 s30, s44
                                        ; implicit-def: $vgpr8_vgpr9
	s_branch .LBB71_608
.LBB71_574:
	s_mov_b32 s48, -1
	s_mov_b32 s30, s44
                                        ; implicit-def: $vgpr8_vgpr9
	s_branch .LBB71_591
.LBB71_575:
	s_mov_b32 s48, -1
	s_mov_b32 s30, s44
                                        ; implicit-def: $vgpr8_vgpr9
	s_branch .LBB71_586
.LBB71_576:
	s_mov_b32 s48, -1
	s_mov_b32 s30, s44
	s_branch .LBB71_580
.LBB71_577:
	s_and_not1_saveexec_b32 s46, s46
	s_cbranch_execz .LBB71_328
.LBB71_578:
	v_add_f32_e64 v6, 0x42800000, |v1|
	s_and_not1_b32 s45, s45, exec_lo
	s_delay_alu instid0(VALU_DEP_1) | instskip(NEXT) | instid1(VALU_DEP_1)
	v_and_b32_e32 v6, 0xff, v6
	v_cmp_ne_u32_e32 vcc_lo, 0, v6
	s_and_b32 s48, vcc_lo, exec_lo
	s_delay_alu instid0(SALU_CYCLE_1)
	s_or_b32 s45, s45, s48
	s_or_b32 exec_lo, exec_lo, s46
	v_mov_b32_e32 v7, 0
	s_and_saveexec_b32 s46, s45
	s_cbranch_execnz .LBB71_329
	s_branch .LBB71_330
.LBB71_579:
	s_mov_b32 s30, -1
.LBB71_580:
                                        ; implicit-def: $vgpr8_vgpr9
.LBB71_581:
	s_and_b32 vcc_lo, exec_lo, s48
	s_cbranch_vccz .LBB71_585
; %bb.582:
	s_cmp_eq_u32 s0, 44
	s_cbranch_scc0 .LBB71_584
; %bb.583:
	global_load_u8 v1, v[6:7], off
	s_mov_b32 s30, 0
	s_mov_b32 s31, -1
	s_wait_loadcnt 0x0
	v_lshlrev_b32_e32 v3, 23, v1
	v_cmp_ne_u32_e32 vcc_lo, 0, v1
	s_delay_alu instid0(VALU_DEP_2) | instskip(SKIP_1) | instid1(VALU_DEP_1)
	v_trunc_f32_e32 v3, v3
	s_wait_xcnt 0x1
	v_mul_f32_e64 v8, 0x2f800000, |v3|
	s_delay_alu instid0(VALU_DEP_1) | instskip(SKIP_1) | instid1(VALU_DEP_2)
	v_floor_f32_e32 v9, v8
	v_ashrrev_i32_e32 v8, 31, v3
	v_fma_f32 v10, 0xcf800000, v9, |v3|
	v_cvt_u32_f32_e32 v3, v9
	s_delay_alu instid0(VALU_DEP_3) | instskip(NEXT) | instid1(VALU_DEP_3)
	v_mov_b32_e32 v9, v8
	v_cvt_u32_f32_e32 v10, v10
	s_delay_alu instid0(VALU_DEP_3) | instskip(NEXT) | instid1(VALU_DEP_2)
	v_xor_b32_e32 v11, v3, v8
	v_xor_b32_e32 v10, v10, v8
	s_delay_alu instid0(VALU_DEP_1) | instskip(NEXT) | instid1(VALU_DEP_1)
	v_sub_nc_u64_e32 v[8:9], v[10:11], v[8:9]
	v_dual_cndmask_b32 v9, 0, v9 :: v_dual_cndmask_b32 v8, 0, v8
	s_branch .LBB71_585
.LBB71_584:
	s_mov_b32 s30, -1
                                        ; implicit-def: $vgpr8_vgpr9
.LBB71_585:
	s_mov_b32 s48, 0
.LBB71_586:
	s_delay_alu instid0(SALU_CYCLE_1)
	s_and_b32 vcc_lo, exec_lo, s48
	s_cbranch_vccz .LBB71_590
; %bb.587:
	s_cmp_eq_u32 s0, 29
	s_cbranch_scc0 .LBB71_589
; %bb.588:
	global_load_b64 v[8:9], v[6:7], off
	s_mov_b32 s31, -1
	s_mov_b32 s30, 0
	s_branch .LBB71_590
.LBB71_589:
	s_mov_b32 s30, -1
                                        ; implicit-def: $vgpr8_vgpr9
.LBB71_590:
	s_mov_b32 s48, 0
.LBB71_591:
	s_delay_alu instid0(SALU_CYCLE_1)
	s_and_b32 vcc_lo, exec_lo, s48
	s_cbranch_vccz .LBB71_607
; %bb.592:
	s_cmp_lt_i32 s0, 27
	s_cbranch_scc1 .LBB71_595
; %bb.593:
	s_cmp_gt_i32 s0, 27
	s_cbranch_scc0 .LBB71_596
; %bb.594:
	s_wait_loadcnt 0x0
	global_load_b32 v8, v[6:7], off
	v_mov_b32_e32 v9, 0
	s_mov_b32 s31, 0
	s_branch .LBB71_597
.LBB71_595:
	s_mov_b32 s31, -1
                                        ; implicit-def: $vgpr8_vgpr9
	s_branch .LBB71_600
.LBB71_596:
	s_mov_b32 s31, -1
                                        ; implicit-def: $vgpr8_vgpr9
.LBB71_597:
	s_delay_alu instid0(SALU_CYCLE_1)
	s_and_not1_b32 vcc_lo, exec_lo, s31
	s_cbranch_vccnz .LBB71_599
; %bb.598:
	global_load_u16 v1, v[6:7], off
	s_mov_b32 s31, 0
	s_wait_loadcnt 0x1
	s_wait_xcnt 0x1
	v_mov_b32_e32 v9, s31
	s_wait_loadcnt 0x0
	v_and_b32_e32 v8, 0xffff, v1
.LBB71_599:
	s_mov_b32 s31, 0
.LBB71_600:
	s_delay_alu instid0(SALU_CYCLE_1)
	s_and_not1_b32 vcc_lo, exec_lo, s31
	s_cbranch_vccnz .LBB71_606
; %bb.601:
	global_load_u8 v1, v[6:7], off
	s_mov_b32 s48, 0
	s_mov_b32 s31, exec_lo
	s_wait_loadcnt 0x0
	v_cmpx_lt_i16_e32 0x7f, v1
	s_xor_b32 s31, exec_lo, s31
	s_cbranch_execz .LBB71_618
; %bb.602:
	v_cmp_ne_u16_e32 vcc_lo, 0x80, v1
	s_and_b32 s48, vcc_lo, exec_lo
	s_and_not1_saveexec_b32 s31, s31
	s_cbranch_execnz .LBB71_619
.LBB71_603:
	s_or_b32 exec_lo, exec_lo, s31
	v_mov_b64_e32 v[8:9], 0
	s_and_saveexec_b32 s31, s48
	s_cbranch_execz .LBB71_605
.LBB71_604:
	v_and_b32_e32 v3, 0xffff, v1
	s_delay_alu instid0(VALU_DEP_1) | instskip(SKIP_1) | instid1(VALU_DEP_2)
	v_and_b32_e32 v8, 7, v3
	v_bfe_u32 v11, v3, 3, 4
	v_clz_i32_u32_e32 v9, v8
	s_delay_alu instid0(VALU_DEP_2) | instskip(NEXT) | instid1(VALU_DEP_2)
	v_cmp_eq_u32_e32 vcc_lo, 0, v11
	v_min_u32_e32 v9, 32, v9
	s_delay_alu instid0(VALU_DEP_1) | instskip(NEXT) | instid1(VALU_DEP_1)
	v_subrev_nc_u32_e32 v10, 28, v9
	v_dual_lshlrev_b32 v3, v10, v3 :: v_dual_sub_nc_u32 v9, 29, v9
	s_delay_alu instid0(VALU_DEP_1) | instskip(NEXT) | instid1(VALU_DEP_1)
	v_dual_lshlrev_b32 v1, 24, v1 :: v_dual_bitop2_b32 v3, 7, v3 bitop3:0x40
	v_dual_cndmask_b32 v3, v8, v3, vcc_lo :: v_dual_cndmask_b32 v9, v11, v9, vcc_lo
	s_delay_alu instid0(VALU_DEP_2) | instskip(NEXT) | instid1(VALU_DEP_2)
	v_and_b32_e32 v1, 0x80000000, v1
	v_lshlrev_b32_e32 v3, 20, v3
	s_delay_alu instid0(VALU_DEP_3) | instskip(NEXT) | instid1(VALU_DEP_1)
	v_lshl_add_u32 v8, v9, 23, 0x3b800000
	v_or3_b32 v1, v1, v8, v3
	s_delay_alu instid0(VALU_DEP_1) | instskip(NEXT) | instid1(VALU_DEP_1)
	v_trunc_f32_e32 v1, v1
	v_mul_f32_e64 v3, 0x2f800000, |v1|
	v_ashrrev_i32_e32 v8, 31, v1
	s_delay_alu instid0(VALU_DEP_2) | instskip(NEXT) | instid1(VALU_DEP_1)
	v_floor_f32_e32 v3, v3
	v_fma_f32 v9, 0xcf800000, v3, |v1|
	v_cvt_u32_f32_e32 v1, v3
	s_delay_alu instid0(VALU_DEP_2) | instskip(NEXT) | instid1(VALU_DEP_2)
	v_cvt_u32_f32_e32 v3, v9
	v_dual_mov_b32 v9, v8 :: v_dual_bitop2_b32 v11, v1, v8 bitop3:0x14
	s_delay_alu instid0(VALU_DEP_2) | instskip(NEXT) | instid1(VALU_DEP_1)
	v_xor_b32_e32 v10, v3, v8
	v_sub_nc_u64_e32 v[8:9], v[10:11], v[8:9]
.LBB71_605:
	s_or_b32 exec_lo, exec_lo, s31
.LBB71_606:
	s_mov_b32 s31, -1
.LBB71_607:
	s_mov_b32 s48, 0
.LBB71_608:
	s_delay_alu instid0(SALU_CYCLE_1)
	s_and_b32 vcc_lo, exec_lo, s48
	s_cbranch_vccz .LBB71_641
; %bb.609:
	s_cmp_gt_i32 s0, 22
	s_cbranch_scc0 .LBB71_617
; %bb.610:
	s_cmp_lt_i32 s0, 24
	s_cbranch_scc1 .LBB71_620
; %bb.611:
	s_cmp_gt_i32 s0, 24
	s_cbranch_scc0 .LBB71_621
; %bb.612:
	global_load_u8 v1, v[6:7], off
	s_mov_b32 s48, 0
	s_mov_b32 s31, exec_lo
	s_wait_loadcnt 0x0
	v_cmpx_lt_i16_e32 0x7f, v1
	s_xor_b32 s31, exec_lo, s31
	s_cbranch_execz .LBB71_633
; %bb.613:
	v_cmp_ne_u16_e32 vcc_lo, 0x80, v1
	s_and_b32 s48, vcc_lo, exec_lo
	s_and_not1_saveexec_b32 s31, s31
	s_cbranch_execnz .LBB71_634
.LBB71_614:
	s_or_b32 exec_lo, exec_lo, s31
	v_mov_b64_e32 v[8:9], 0
	s_and_saveexec_b32 s31, s48
	s_cbranch_execz .LBB71_616
.LBB71_615:
	v_and_b32_e32 v3, 0xffff, v1
	s_delay_alu instid0(VALU_DEP_1) | instskip(SKIP_1) | instid1(VALU_DEP_2)
	v_and_b32_e32 v8, 3, v3
	v_bfe_u32 v11, v3, 2, 5
	v_clz_i32_u32_e32 v9, v8
	s_delay_alu instid0(VALU_DEP_2) | instskip(NEXT) | instid1(VALU_DEP_2)
	v_cmp_eq_u32_e32 vcc_lo, 0, v11
	v_min_u32_e32 v9, 32, v9
	s_delay_alu instid0(VALU_DEP_1) | instskip(NEXT) | instid1(VALU_DEP_1)
	v_subrev_nc_u32_e32 v10, 29, v9
	v_dual_lshlrev_b32 v3, v10, v3 :: v_dual_sub_nc_u32 v9, 30, v9
	s_delay_alu instid0(VALU_DEP_1) | instskip(NEXT) | instid1(VALU_DEP_1)
	v_dual_lshlrev_b32 v1, 24, v1 :: v_dual_bitop2_b32 v3, 3, v3 bitop3:0x40
	v_dual_cndmask_b32 v3, v8, v3, vcc_lo :: v_dual_cndmask_b32 v9, v11, v9, vcc_lo
	s_delay_alu instid0(VALU_DEP_2) | instskip(NEXT) | instid1(VALU_DEP_2)
	v_and_b32_e32 v1, 0x80000000, v1
	v_lshlrev_b32_e32 v3, 21, v3
	s_delay_alu instid0(VALU_DEP_3) | instskip(NEXT) | instid1(VALU_DEP_1)
	v_lshl_add_u32 v8, v9, 23, 0x37800000
	v_or3_b32 v1, v1, v8, v3
	s_delay_alu instid0(VALU_DEP_1) | instskip(NEXT) | instid1(VALU_DEP_1)
	v_trunc_f32_e32 v1, v1
	v_mul_f32_e64 v3, 0x2f800000, |v1|
	v_ashrrev_i32_e32 v8, 31, v1
	s_delay_alu instid0(VALU_DEP_2) | instskip(NEXT) | instid1(VALU_DEP_1)
	v_floor_f32_e32 v3, v3
	v_fma_f32 v9, 0xcf800000, v3, |v1|
	v_cvt_u32_f32_e32 v1, v3
	s_delay_alu instid0(VALU_DEP_2) | instskip(NEXT) | instid1(VALU_DEP_2)
	v_cvt_u32_f32_e32 v3, v9
	v_dual_mov_b32 v9, v8 :: v_dual_bitop2_b32 v11, v1, v8 bitop3:0x14
	s_delay_alu instid0(VALU_DEP_2) | instskip(NEXT) | instid1(VALU_DEP_1)
	v_xor_b32_e32 v10, v3, v8
	v_sub_nc_u64_e32 v[8:9], v[10:11], v[8:9]
.LBB71_616:
	s_or_b32 exec_lo, exec_lo, s31
	s_mov_b32 s31, 0
	s_branch .LBB71_622
.LBB71_617:
	s_mov_b32 s48, -1
                                        ; implicit-def: $vgpr8_vgpr9
	s_branch .LBB71_628
.LBB71_618:
	s_and_not1_saveexec_b32 s31, s31
	s_cbranch_execz .LBB71_603
.LBB71_619:
	v_cmp_ne_u16_e32 vcc_lo, 0, v1
	s_and_not1_b32 s48, s48, exec_lo
	s_and_b32 s49, vcc_lo, exec_lo
	s_delay_alu instid0(SALU_CYCLE_1)
	s_or_b32 s48, s48, s49
	s_or_b32 exec_lo, exec_lo, s31
	v_mov_b64_e32 v[8:9], 0
	s_and_saveexec_b32 s31, s48
	s_cbranch_execnz .LBB71_604
	s_branch .LBB71_605
.LBB71_620:
	s_mov_b32 s31, -1
                                        ; implicit-def: $vgpr8_vgpr9
	s_branch .LBB71_625
.LBB71_621:
	s_mov_b32 s31, -1
                                        ; implicit-def: $vgpr8_vgpr9
.LBB71_622:
	s_delay_alu instid0(SALU_CYCLE_1)
	s_and_b32 vcc_lo, exec_lo, s31
	s_cbranch_vccz .LBB71_624
; %bb.623:
	global_load_u8 v1, v[6:7], off
	s_wait_loadcnt 0x0
	v_lshlrev_b32_e32 v1, 24, v1
	s_delay_alu instid0(VALU_DEP_1) | instskip(SKIP_1) | instid1(VALU_DEP_1)
	v_and_b32_e32 v3, 0x7f000000, v1
	s_wait_xcnt 0x1
	v_clz_i32_u32_e32 v8, v3
	v_cmp_ne_u32_e32 vcc_lo, 0, v3
	v_add_nc_u32_e32 v10, 0x1000000, v3
	s_delay_alu instid0(VALU_DEP_3) | instskip(NEXT) | instid1(VALU_DEP_1)
	v_min_u32_e32 v8, 32, v8
	v_sub_nc_u32_e64 v8, v8, 4 clamp
	s_delay_alu instid0(VALU_DEP_1) | instskip(NEXT) | instid1(VALU_DEP_1)
	v_dual_lshlrev_b32 v9, v8, v3 :: v_dual_lshlrev_b32 v8, 23, v8
	v_lshrrev_b32_e32 v9, 4, v9
	s_delay_alu instid0(VALU_DEP_1) | instskip(NEXT) | instid1(VALU_DEP_1)
	v_dual_sub_nc_u32 v8, v9, v8 :: v_dual_ashrrev_i32 v9, 8, v10
	v_add_nc_u32_e32 v8, 0x3c000000, v8
	s_delay_alu instid0(VALU_DEP_1) | instskip(NEXT) | instid1(VALU_DEP_1)
	v_and_or_b32 v8, 0x7f800000, v9, v8
	v_cndmask_b32_e32 v3, 0, v8, vcc_lo
	s_delay_alu instid0(VALU_DEP_1) | instskip(NEXT) | instid1(VALU_DEP_1)
	v_and_or_b32 v1, 0x80000000, v1, v3
	v_trunc_f32_e32 v1, v1
	s_delay_alu instid0(VALU_DEP_1) | instskip(SKIP_1) | instid1(VALU_DEP_2)
	v_mul_f32_e64 v3, 0x2f800000, |v1|
	v_ashrrev_i32_e32 v8, 31, v1
	v_floor_f32_e32 v3, v3
	s_delay_alu instid0(VALU_DEP_1) | instskip(SKIP_1) | instid1(VALU_DEP_2)
	v_fma_f32 v9, 0xcf800000, v3, |v1|
	v_cvt_u32_f32_e32 v1, v3
	v_cvt_u32_f32_e32 v3, v9
	s_delay_alu instid0(VALU_DEP_2) | instskip(NEXT) | instid1(VALU_DEP_2)
	v_dual_mov_b32 v9, v8 :: v_dual_bitop2_b32 v11, v1, v8 bitop3:0x14
	v_xor_b32_e32 v10, v3, v8
	s_delay_alu instid0(VALU_DEP_1)
	v_sub_nc_u64_e32 v[8:9], v[10:11], v[8:9]
.LBB71_624:
	s_mov_b32 s31, 0
.LBB71_625:
	s_delay_alu instid0(SALU_CYCLE_1)
	s_and_not1_b32 vcc_lo, exec_lo, s31
	s_cbranch_vccnz .LBB71_627
; %bb.626:
	global_load_u8 v1, v[6:7], off
	s_wait_loadcnt 0x0
	v_lshlrev_b32_e32 v3, 25, v1
	v_lshlrev_b16 v1, 8, v1
	s_wait_xcnt 0x1
	s_delay_alu instid0(VALU_DEP_1) | instskip(NEXT) | instid1(VALU_DEP_3)
	v_and_or_b32 v9, 0x7f00, v1, 0.5
	v_lshrrev_b32_e32 v8, 4, v3
	v_bfe_i32 v1, v1, 0, 16
	s_delay_alu instid0(VALU_DEP_3) | instskip(NEXT) | instid1(VALU_DEP_3)
	v_add_f32_e32 v9, -0.5, v9
	v_or_b32_e32 v8, 0x70000000, v8
	s_delay_alu instid0(VALU_DEP_1) | instskip(SKIP_1) | instid1(VALU_DEP_2)
	v_mul_f32_e32 v8, 0x7800000, v8
	v_cmp_gt_u32_e32 vcc_lo, 0x8000000, v3
	v_cndmask_b32_e32 v3, v8, v9, vcc_lo
	s_delay_alu instid0(VALU_DEP_1) | instskip(NEXT) | instid1(VALU_DEP_1)
	v_and_or_b32 v1, 0x80000000, v1, v3
	v_trunc_f32_e32 v1, v1
	s_delay_alu instid0(VALU_DEP_1) | instskip(SKIP_1) | instid1(VALU_DEP_2)
	v_mul_f32_e64 v3, 0x2f800000, |v1|
	v_ashrrev_i32_e32 v8, 31, v1
	v_floor_f32_e32 v3, v3
	s_delay_alu instid0(VALU_DEP_1) | instskip(SKIP_1) | instid1(VALU_DEP_2)
	v_fma_f32 v9, 0xcf800000, v3, |v1|
	v_cvt_u32_f32_e32 v1, v3
	v_cvt_u32_f32_e32 v3, v9
	s_delay_alu instid0(VALU_DEP_2) | instskip(NEXT) | instid1(VALU_DEP_2)
	v_dual_mov_b32 v9, v8 :: v_dual_bitop2_b32 v11, v1, v8 bitop3:0x14
	v_xor_b32_e32 v10, v3, v8
	s_delay_alu instid0(VALU_DEP_1)
	v_sub_nc_u64_e32 v[8:9], v[10:11], v[8:9]
.LBB71_627:
	s_mov_b32 s48, 0
	s_mov_b32 s31, -1
.LBB71_628:
	s_and_not1_b32 vcc_lo, exec_lo, s48
	s_cbranch_vccnz .LBB71_641
; %bb.629:
	s_cmp_gt_i32 s0, 14
	s_cbranch_scc0 .LBB71_632
; %bb.630:
	s_cmp_eq_u32 s0, 15
	s_cbranch_scc0 .LBB71_635
; %bb.631:
	global_load_u16 v1, v[6:7], off
	s_mov_b32 s31, -1
	s_mov_b32 s30, 0
	s_wait_loadcnt 0x0
	v_lshlrev_b32_e32 v1, 16, v1
	s_delay_alu instid0(VALU_DEP_1) | instskip(NEXT) | instid1(VALU_DEP_1)
	v_trunc_f32_e32 v1, v1
	v_mul_f32_e64 v3, 0x2f800000, |v1|
	s_wait_xcnt 0x1
	v_ashrrev_i32_e32 v8, 31, v1
	s_delay_alu instid0(VALU_DEP_2) | instskip(NEXT) | instid1(VALU_DEP_1)
	v_floor_f32_e32 v3, v3
	v_fma_f32 v9, 0xcf800000, v3, |v1|
	v_cvt_u32_f32_e32 v1, v3
	s_delay_alu instid0(VALU_DEP_2) | instskip(NEXT) | instid1(VALU_DEP_2)
	v_cvt_u32_f32_e32 v3, v9
	v_dual_mov_b32 v9, v8 :: v_dual_bitop2_b32 v11, v1, v8 bitop3:0x14
	s_delay_alu instid0(VALU_DEP_2) | instskip(NEXT) | instid1(VALU_DEP_1)
	v_xor_b32_e32 v10, v3, v8
	v_sub_nc_u64_e32 v[8:9], v[10:11], v[8:9]
	s_branch .LBB71_636
.LBB71_632:
	s_mov_b32 s48, -1
                                        ; implicit-def: $vgpr8_vgpr9
	s_branch .LBB71_637
.LBB71_633:
	s_and_not1_saveexec_b32 s31, s31
	s_cbranch_execz .LBB71_614
.LBB71_634:
	v_cmp_ne_u16_e32 vcc_lo, 0, v1
	s_and_not1_b32 s48, s48, exec_lo
	s_and_b32 s49, vcc_lo, exec_lo
	s_delay_alu instid0(SALU_CYCLE_1)
	s_or_b32 s48, s48, s49
	s_or_b32 exec_lo, exec_lo, s31
	v_mov_b64_e32 v[8:9], 0
	s_and_saveexec_b32 s31, s48
	s_cbranch_execnz .LBB71_615
	s_branch .LBB71_616
.LBB71_635:
	s_mov_b32 s30, -1
                                        ; implicit-def: $vgpr8_vgpr9
.LBB71_636:
	s_mov_b32 s48, 0
.LBB71_637:
	s_delay_alu instid0(SALU_CYCLE_1)
	s_and_b32 vcc_lo, exec_lo, s48
	s_cbranch_vccz .LBB71_641
; %bb.638:
	s_cmp_eq_u32 s0, 11
	s_cbranch_scc0 .LBB71_640
; %bb.639:
	global_load_u8 v1, v[6:7], off
	s_mov_b32 s30, 0
	s_mov_b32 s31, -1
	s_wait_loadcnt 0x1
	s_wait_xcnt 0x1
	v_mov_b32_e32 v9, s30
	s_wait_loadcnt 0x0
	v_cmp_ne_u16_e32 vcc_lo, 0, v1
	v_cndmask_b32_e64 v8, 0, 1, vcc_lo
	s_branch .LBB71_641
.LBB71_640:
	s_mov_b32 s30, -1
                                        ; implicit-def: $vgpr8_vgpr9
.LBB71_641:
	s_mov_b32 s48, 0
.LBB71_642:
	s_delay_alu instid0(SALU_CYCLE_1)
	s_and_b32 vcc_lo, exec_lo, s48
	s_cbranch_vccz .LBB71_691
; %bb.643:
	s_cmp_lt_i32 s0, 5
	s_cbranch_scc1 .LBB71_648
; %bb.644:
	s_cmp_lt_i32 s0, 8
	s_cbranch_scc1 .LBB71_649
	;; [unrolled: 3-line block ×3, first 2 shown]
; %bb.646:
	s_cmp_gt_i32 s0, 9
	s_cbranch_scc0 .LBB71_651
; %bb.647:
	s_wait_loadcnt 0x0
	global_load_b64 v[8:9], v[6:7], off
	s_mov_b32 s31, 0
	s_wait_loadcnt 0x0
	v_trunc_f64_e32 v[8:9], v[8:9]
	s_delay_alu instid0(VALU_DEP_1) | instskip(NEXT) | instid1(VALU_DEP_1)
	v_ldexp_f64 v[10:11], v[8:9], 0xffffffe0
	v_floor_f64_e32 v[10:11], v[10:11]
	s_delay_alu instid0(VALU_DEP_1) | instskip(SKIP_1) | instid1(VALU_DEP_2)
	v_fmamk_f64 v[12:13], v[10:11], 0xc1f00000, v[8:9]
	v_cvt_i32_f64_e32 v9, v[10:11]
	v_cvt_u32_f64_e32 v8, v[12:13]
	s_branch .LBB71_652
.LBB71_648:
	s_mov_b32 s31, -1
                                        ; implicit-def: $vgpr8_vgpr9
	s_branch .LBB71_670
.LBB71_649:
	s_mov_b32 s31, -1
                                        ; implicit-def: $vgpr8_vgpr9
	s_branch .LBB71_658
.LBB71_650:
	s_mov_b32 s31, -1
                                        ; implicit-def: $vgpr8_vgpr9
	s_branch .LBB71_655
.LBB71_651:
	s_mov_b32 s31, -1
                                        ; implicit-def: $vgpr8_vgpr9
.LBB71_652:
	s_delay_alu instid0(SALU_CYCLE_1)
	s_and_not1_b32 vcc_lo, exec_lo, s31
	s_cbranch_vccnz .LBB71_654
; %bb.653:
	global_load_b32 v1, v[6:7], off
	s_wait_loadcnt 0x0
	v_trunc_f32_e32 v1, v1
	s_delay_alu instid0(VALU_DEP_1) | instskip(SKIP_2) | instid1(VALU_DEP_2)
	v_mul_f32_e64 v3, 0x2f800000, |v1|
	s_wait_xcnt 0x1
	v_ashrrev_i32_e32 v8, 31, v1
	v_floor_f32_e32 v3, v3
	s_delay_alu instid0(VALU_DEP_1) | instskip(SKIP_1) | instid1(VALU_DEP_2)
	v_fma_f32 v9, 0xcf800000, v3, |v1|
	v_cvt_u32_f32_e32 v1, v3
	v_cvt_u32_f32_e32 v3, v9
	s_delay_alu instid0(VALU_DEP_2) | instskip(NEXT) | instid1(VALU_DEP_2)
	v_dual_mov_b32 v9, v8 :: v_dual_bitop2_b32 v11, v1, v8 bitop3:0x14
	v_xor_b32_e32 v10, v3, v8
	s_delay_alu instid0(VALU_DEP_1)
	v_sub_nc_u64_e32 v[8:9], v[10:11], v[8:9]
.LBB71_654:
	s_mov_b32 s31, 0
.LBB71_655:
	s_delay_alu instid0(SALU_CYCLE_1)
	s_and_not1_b32 vcc_lo, exec_lo, s31
	s_cbranch_vccnz .LBB71_657
; %bb.656:
	global_load_b32 v1, v[6:7], off
	s_wait_loadcnt 0x0
	v_cvt_f32_f16_e32 v1, v1
	s_wait_xcnt 0x1
	s_delay_alu instid0(VALU_DEP_1) | instskip(NEXT) | instid1(VALU_DEP_1)
	v_cvt_i32_f32_e32 v8, v1
	v_ashrrev_i32_e32 v9, 31, v8
.LBB71_657:
	s_mov_b32 s31, 0
.LBB71_658:
	s_delay_alu instid0(SALU_CYCLE_1)
	s_and_not1_b32 vcc_lo, exec_lo, s31
	s_cbranch_vccnz .LBB71_669
; %bb.659:
	s_cmp_lt_i32 s0, 6
	s_cbranch_scc1 .LBB71_662
; %bb.660:
	s_cmp_gt_i32 s0, 6
	s_cbranch_scc0 .LBB71_663
; %bb.661:
	s_wait_loadcnt 0x0
	global_load_b64 v[8:9], v[6:7], off
	s_mov_b32 s31, 0
	s_wait_loadcnt 0x0
	v_trunc_f64_e32 v[8:9], v[8:9]
	s_delay_alu instid0(VALU_DEP_1) | instskip(NEXT) | instid1(VALU_DEP_1)
	v_ldexp_f64 v[10:11], v[8:9], 0xffffffe0
	v_floor_f64_e32 v[10:11], v[10:11]
	s_delay_alu instid0(VALU_DEP_1) | instskip(SKIP_1) | instid1(VALU_DEP_2)
	v_fmamk_f64 v[12:13], v[10:11], 0xc1f00000, v[8:9]
	v_cvt_i32_f64_e32 v9, v[10:11]
	v_cvt_u32_f64_e32 v8, v[12:13]
	s_branch .LBB71_664
.LBB71_662:
	s_mov_b32 s31, -1
                                        ; implicit-def: $vgpr8_vgpr9
	s_branch .LBB71_667
.LBB71_663:
	s_mov_b32 s31, -1
                                        ; implicit-def: $vgpr8_vgpr9
.LBB71_664:
	s_delay_alu instid0(SALU_CYCLE_1)
	s_and_not1_b32 vcc_lo, exec_lo, s31
	s_cbranch_vccnz .LBB71_666
; %bb.665:
	global_load_b32 v1, v[6:7], off
	s_wait_loadcnt 0x0
	v_trunc_f32_e32 v1, v1
	s_delay_alu instid0(VALU_DEP_1) | instskip(SKIP_2) | instid1(VALU_DEP_2)
	v_mul_f32_e64 v3, 0x2f800000, |v1|
	s_wait_xcnt 0x1
	v_ashrrev_i32_e32 v8, 31, v1
	v_floor_f32_e32 v3, v3
	s_delay_alu instid0(VALU_DEP_1) | instskip(SKIP_1) | instid1(VALU_DEP_2)
	v_fma_f32 v9, 0xcf800000, v3, |v1|
	v_cvt_u32_f32_e32 v1, v3
	v_cvt_u32_f32_e32 v3, v9
	s_delay_alu instid0(VALU_DEP_2) | instskip(NEXT) | instid1(VALU_DEP_2)
	v_dual_mov_b32 v9, v8 :: v_dual_bitop2_b32 v11, v1, v8 bitop3:0x14
	v_xor_b32_e32 v10, v3, v8
	s_delay_alu instid0(VALU_DEP_1)
	v_sub_nc_u64_e32 v[8:9], v[10:11], v[8:9]
.LBB71_666:
	s_mov_b32 s31, 0
.LBB71_667:
	s_delay_alu instid0(SALU_CYCLE_1)
	s_and_not1_b32 vcc_lo, exec_lo, s31
	s_cbranch_vccnz .LBB71_669
; %bb.668:
	global_load_u16 v1, v[6:7], off
	s_wait_loadcnt 0x0
	v_cvt_f32_f16_e32 v1, v1
	s_wait_xcnt 0x1
	s_delay_alu instid0(VALU_DEP_1) | instskip(NEXT) | instid1(VALU_DEP_1)
	v_cvt_i32_f32_e32 v8, v1
	v_ashrrev_i32_e32 v9, 31, v8
.LBB71_669:
	s_mov_b32 s31, 0
.LBB71_670:
	s_delay_alu instid0(SALU_CYCLE_1)
	s_and_not1_b32 vcc_lo, exec_lo, s31
	s_cbranch_vccnz .LBB71_690
; %bb.671:
	s_cmp_lt_i32 s0, 2
	s_cbranch_scc1 .LBB71_675
; %bb.672:
	s_cmp_lt_i32 s0, 3
	s_cbranch_scc1 .LBB71_676
; %bb.673:
	s_cmp_gt_i32 s0, 3
	s_cbranch_scc0 .LBB71_677
; %bb.674:
	s_wait_loadcnt 0x0
	global_load_b64 v[8:9], v[6:7], off
	s_mov_b32 s31, 0
	s_branch .LBB71_678
.LBB71_675:
	s_mov_b32 s31, -1
                                        ; implicit-def: $vgpr8_vgpr9
	s_branch .LBB71_684
.LBB71_676:
	s_mov_b32 s31, -1
                                        ; implicit-def: $vgpr8_vgpr9
	s_branch .LBB71_681
.LBB71_677:
	s_mov_b32 s31, -1
                                        ; implicit-def: $vgpr8_vgpr9
.LBB71_678:
	s_delay_alu instid0(SALU_CYCLE_1)
	s_and_not1_b32 vcc_lo, exec_lo, s31
	s_cbranch_vccnz .LBB71_680
; %bb.679:
	s_wait_loadcnt 0x0
	global_load_b32 v8, v[6:7], off
	s_wait_loadcnt 0x0
	v_ashrrev_i32_e32 v9, 31, v8
.LBB71_680:
	s_mov_b32 s31, 0
.LBB71_681:
	s_delay_alu instid0(SALU_CYCLE_1)
	s_and_not1_b32 vcc_lo, exec_lo, s31
	s_cbranch_vccnz .LBB71_683
; %bb.682:
	global_load_u16 v1, v[6:7], off
	s_wait_loadcnt 0x0
	s_wait_xcnt 0x1
	v_bfe_i32 v8, v1, 0, 16
	s_delay_alu instid0(VALU_DEP_1)
	v_ashrrev_i32_e32 v9, 31, v8
.LBB71_683:
	s_mov_b32 s31, 0
.LBB71_684:
	s_delay_alu instid0(SALU_CYCLE_1)
	s_and_not1_b32 vcc_lo, exec_lo, s31
	s_cbranch_vccnz .LBB71_690
; %bb.685:
	s_cmp_gt_i32 s0, 0
	s_mov_b32 s0, 0
	s_cbranch_scc0 .LBB71_687
; %bb.686:
	global_load_i8 v1, v[6:7], off
	s_wait_loadcnt 0x0
	s_wait_xcnt 0x1
	v_bfe_i32 v8, v1, 0, 16
	s_delay_alu instid0(VALU_DEP_1)
	v_ashrrev_i32_e32 v9, 31, v8
	s_branch .LBB71_688
.LBB71_687:
	s_mov_b32 s0, -1
                                        ; implicit-def: $vgpr8_vgpr9
.LBB71_688:
	s_delay_alu instid0(SALU_CYCLE_1)
	s_and_not1_b32 vcc_lo, exec_lo, s0
	s_cbranch_vccnz .LBB71_690
; %bb.689:
	global_load_u8 v1, v[6:7], off
	s_mov_b32 s0, 0
	s_wait_loadcnt 0x1
	s_wait_xcnt 0x1
	v_mov_b32_e32 v9, s0
	s_wait_loadcnt 0x0
	v_and_b32_e32 v8, 0xffff, v1
.LBB71_690:
	s_mov_b32 s31, -1
.LBB71_691:
	s_delay_alu instid0(SALU_CYCLE_1)
	s_and_not1_b32 vcc_lo, exec_lo, s31
	s_cbranch_vccnz .LBB71_699
; %bb.692:
	s_wait_loadcnt 0x0
	s_delay_alu instid0(VALU_DEP_3) | instskip(SKIP_2) | instid1(SALU_CYCLE_1)
	v_mul_u64_e32 v[4:5], s[12:13], v[4:5]
	v_mov_b32_e32 v3, 0
	s_and_b32 s31, s14, 0xff
	s_cmp_lt_i32 s31, 11
	s_delay_alu instid0(VALU_DEP_1) | instskip(NEXT) | instid1(VALU_DEP_3)
	v_add_nc_u64_e32 v[2:3], s[20:21], v[2:3]
	v_mul_u64_e32 v[4:5], v[4:5], v[8:9]
	s_cbranch_scc1 .LBB71_700
; %bb.693:
	s_and_b32 s48, 0xffff, s31
	s_delay_alu instid0(SALU_CYCLE_1)
	s_cmp_gt_i32 s48, 25
	s_cbranch_scc0 .LBB71_701
; %bb.694:
	s_cmp_gt_i32 s48, 28
	s_cbranch_scc0 .LBB71_702
; %bb.695:
	;; [unrolled: 3-line block ×4, first 2 shown]
	s_mov_b32 s50, 0
	s_mov_b32 s0, -1
	s_cmp_eq_u32 s48, 46
	s_mov_b32 s49, 0
	s_cbranch_scc0 .LBB71_705
; %bb.698:
	s_delay_alu instid0(VALU_DEP_1)
	v_xor_b32_e32 v1, v4, v5
	s_wait_xcnt 0x0
	v_cls_i32_e32 v6, v5
	s_mov_b32 s49, -1
	s_mov_b32 s0, 0
	v_ashrrev_i32_e32 v1, 31, v1
	s_delay_alu instid0(VALU_DEP_1) | instskip(NEXT) | instid1(VALU_DEP_1)
	v_add_nc_u32_e32 v1, 32, v1
	v_add_min_u32_e64 v1, v6, -1, v1
	s_delay_alu instid0(VALU_DEP_1) | instskip(SKIP_1) | instid1(VALU_DEP_2)
	v_lshlrev_b64_e32 v[6:7], v1, v[4:5]
	v_sub_nc_u32_e32 v1, 32, v1
	v_min_u32_e32 v6, 1, v6
	s_delay_alu instid0(VALU_DEP_1) | instskip(NEXT) | instid1(VALU_DEP_1)
	v_or_b32_e32 v6, v7, v6
	v_cvt_f32_i32_e32 v6, v6
	s_delay_alu instid0(VALU_DEP_1) | instskip(NEXT) | instid1(VALU_DEP_1)
	v_ldexp_f32 v1, v6, v1
	v_bfe_u32 v6, v1, 16, 1
	s_delay_alu instid0(VALU_DEP_1) | instskip(NEXT) | instid1(VALU_DEP_1)
	v_add3_u32 v1, v1, v6, 0x7fff
	v_lshrrev_b32_e32 v1, 16, v1
	global_store_b32 v[2:3], v1, off
	s_branch .LBB71_705
.LBB71_699:
	s_mov_b32 s31, 0
	s_mov_b32 s0, s43
	s_branch .LBB71_444
.LBB71_700:
	s_mov_b32 s48, -1
	s_mov_b32 s49, 0
	s_mov_b32 s0, s43
	s_branch .LBB71_774
.LBB71_701:
	s_mov_b32 s50, -1
	s_mov_b32 s49, 0
	s_mov_b32 s0, s43
	s_branch .LBB71_732
.LBB71_702:
	s_mov_b32 s50, -1
	s_mov_b32 s49, 0
	s_mov_b32 s0, s43
	s_branch .LBB71_715
.LBB71_703:
	s_mov_b32 s50, -1
	s_mov_b32 s49, 0
	s_mov_b32 s0, s43
	s_branch .LBB71_711
.LBB71_704:
	s_mov_b32 s50, -1
	s_mov_b32 s49, 0
	s_mov_b32 s0, s43
.LBB71_705:
	s_and_b32 vcc_lo, exec_lo, s50
	s_cbranch_vccz .LBB71_710
; %bb.706:
	s_cmp_eq_u32 s48, 44
	s_mov_b32 s0, -1
	s_cbranch_scc0 .LBB71_710
; %bb.707:
	s_wait_xcnt 0x0
	s_delay_alu instid0(VALU_DEP_1) | instskip(SKIP_3) | instid1(VALU_DEP_2)
	v_xor_b32_e32 v1, v4, v5
	v_cls_i32_e32 v6, v5
	s_mov_b32 s49, -1
	s_mov_b32 s50, exec_lo
	v_ashrrev_i32_e32 v1, 31, v1
	s_delay_alu instid0(VALU_DEP_1) | instskip(NEXT) | instid1(VALU_DEP_1)
	v_add_nc_u32_e32 v1, 32, v1
	v_add_min_u32_e64 v1, v6, -1, v1
	s_delay_alu instid0(VALU_DEP_1) | instskip(SKIP_1) | instid1(VALU_DEP_2)
	v_lshlrev_b64_e32 v[6:7], v1, v[4:5]
	v_sub_nc_u32_e32 v1, 32, v1
	v_min_u32_e32 v6, 1, v6
	s_delay_alu instid0(VALU_DEP_1) | instskip(NEXT) | instid1(VALU_DEP_1)
	v_or_b32_e32 v6, v7, v6
	v_cvt_f32_i32_e32 v6, v6
	s_delay_alu instid0(VALU_DEP_1) | instskip(SKIP_1) | instid1(VALU_DEP_2)
	v_ldexp_f32 v1, v6, v1
	v_mov_b32_e32 v6, 0xff
	v_bfe_u32 v7, v1, 23, 8
	s_delay_alu instid0(VALU_DEP_1)
	v_cmpx_ne_u32_e32 0xff, v7
	s_cbranch_execz .LBB71_709
; %bb.708:
	v_and_b32_e32 v6, 0x400000, v1
	v_and_or_b32 v7, 0x3fffff, v1, v7
	v_lshrrev_b32_e32 v1, 23, v1
	s_delay_alu instid0(VALU_DEP_3) | instskip(NEXT) | instid1(VALU_DEP_3)
	v_cmp_ne_u32_e32 vcc_lo, 0, v6
	v_cmp_ne_u32_e64 s0, 0, v7
	s_and_b32 s0, vcc_lo, s0
	s_delay_alu instid0(SALU_CYCLE_1) | instskip(NEXT) | instid1(VALU_DEP_1)
	v_cndmask_b32_e64 v6, 0, 1, s0
	v_add_nc_u32_e32 v6, v1, v6
.LBB71_709:
	s_or_b32 exec_lo, exec_lo, s50
	s_mov_b32 s0, 0
	global_store_b8 v[2:3], v6, off
.LBB71_710:
	s_mov_b32 s50, 0
.LBB71_711:
	s_delay_alu instid0(SALU_CYCLE_1)
	s_and_b32 vcc_lo, exec_lo, s50
	s_cbranch_vccz .LBB71_714
; %bb.712:
	s_cmp_eq_u32 s48, 29
	s_mov_b32 s0, -1
	s_cbranch_scc0 .LBB71_714
; %bb.713:
	s_mov_b32 s49, -1
	s_mov_b32 s0, 0
	global_store_b64 v[2:3], v[4:5], off
.LBB71_714:
	s_mov_b32 s50, 0
.LBB71_715:
	s_delay_alu instid0(SALU_CYCLE_1)
	s_and_b32 vcc_lo, exec_lo, s50
	s_cbranch_vccz .LBB71_731
; %bb.716:
	s_cmp_lt_i32 s48, 27
	s_mov_b32 s49, -1
	s_cbranch_scc1 .LBB71_722
; %bb.717:
	s_cmp_gt_i32 s48, 27
	s_cbranch_scc0 .LBB71_719
; %bb.718:
	s_mov_b32 s49, 0
	global_store_b32 v[2:3], v4, off
.LBB71_719:
	s_and_not1_b32 vcc_lo, exec_lo, s49
	s_cbranch_vccnz .LBB71_721
; %bb.720:
	global_store_b16 v[2:3], v4, off
.LBB71_721:
	s_mov_b32 s49, 0
.LBB71_722:
	s_delay_alu instid0(SALU_CYCLE_1)
	s_and_not1_b32 vcc_lo, exec_lo, s49
	s_cbranch_vccnz .LBB71_730
; %bb.723:
	s_wait_xcnt 0x0
	s_delay_alu instid0(VALU_DEP_1) | instskip(SKIP_2) | instid1(VALU_DEP_2)
	v_xor_b32_e32 v1, v4, v5
	v_cls_i32_e32 v6, v5
	s_mov_b32 s49, exec_lo
	v_ashrrev_i32_e32 v1, 31, v1
	s_delay_alu instid0(VALU_DEP_1) | instskip(NEXT) | instid1(VALU_DEP_1)
	v_add_nc_u32_e32 v1, 32, v1
	v_add_min_u32_e64 v1, v6, -1, v1
	s_delay_alu instid0(VALU_DEP_1) | instskip(SKIP_1) | instid1(VALU_DEP_2)
	v_lshlrev_b64_e32 v[6:7], v1, v[4:5]
	v_sub_nc_u32_e32 v1, 32, v1
	v_min_u32_e32 v6, 1, v6
	s_delay_alu instid0(VALU_DEP_1) | instskip(SKIP_1) | instid1(VALU_DEP_2)
	v_or_b32_e32 v6, v7, v6
	v_mov_b32_e32 v7, 0x80
	v_cvt_f32_i32_e32 v6, v6
	s_delay_alu instid0(VALU_DEP_1) | instskip(NEXT) | instid1(VALU_DEP_1)
	v_ldexp_f32 v1, v6, v1
	v_and_b32_e32 v6, 0x7fffffff, v1
	s_delay_alu instid0(VALU_DEP_1)
	v_cmpx_gt_u32_e32 0x43800000, v6
	s_cbranch_execz .LBB71_729
; %bb.724:
	v_cmp_lt_u32_e32 vcc_lo, 0x3bffffff, v6
	s_mov_b32 s50, 0
                                        ; implicit-def: $vgpr6
	s_and_saveexec_b32 s51, vcc_lo
	s_delay_alu instid0(SALU_CYCLE_1)
	s_xor_b32 s51, exec_lo, s51
	s_cbranch_execz .LBB71_864
; %bb.725:
	v_bfe_u32 v6, v1, 20, 1
	s_mov_b32 s50, exec_lo
	s_delay_alu instid0(VALU_DEP_1) | instskip(NEXT) | instid1(VALU_DEP_1)
	v_add3_u32 v6, v1, v6, 0x487ffff
	v_lshrrev_b32_e32 v6, 20, v6
	s_and_not1_saveexec_b32 s51, s51
	s_cbranch_execnz .LBB71_865
.LBB71_726:
	s_or_b32 exec_lo, exec_lo, s51
	v_mov_b32_e32 v7, 0
	s_and_saveexec_b32 s51, s50
.LBB71_727:
	v_lshrrev_b32_e32 v1, 24, v1
	s_delay_alu instid0(VALU_DEP_1)
	v_and_or_b32 v7, 0x80, v1, v6
.LBB71_728:
	s_or_b32 exec_lo, exec_lo, s51
.LBB71_729:
	s_delay_alu instid0(SALU_CYCLE_1)
	s_or_b32 exec_lo, exec_lo, s49
	global_store_b8 v[2:3], v7, off
.LBB71_730:
	s_mov_b32 s49, -1
.LBB71_731:
	s_mov_b32 s50, 0
.LBB71_732:
	s_delay_alu instid0(SALU_CYCLE_1)
	s_and_b32 vcc_lo, exec_lo, s50
	s_cbranch_vccz .LBB71_773
; %bb.733:
	s_cmp_gt_i32 s48, 22
	s_mov_b32 s50, -1
	s_cbranch_scc0 .LBB71_765
; %bb.734:
	s_cmp_lt_i32 s48, 24
	s_mov_b32 s49, -1
	s_cbranch_scc1 .LBB71_754
; %bb.735:
	s_cmp_gt_i32 s48, 24
	s_cbranch_scc0 .LBB71_743
; %bb.736:
	s_wait_xcnt 0x0
	s_delay_alu instid0(VALU_DEP_1) | instskip(SKIP_2) | instid1(VALU_DEP_2)
	v_xor_b32_e32 v1, v4, v5
	v_cls_i32_e32 v6, v5
	s_mov_b32 s49, exec_lo
	v_ashrrev_i32_e32 v1, 31, v1
	s_delay_alu instid0(VALU_DEP_1) | instskip(NEXT) | instid1(VALU_DEP_1)
	v_add_nc_u32_e32 v1, 32, v1
	v_add_min_u32_e64 v1, v6, -1, v1
	s_delay_alu instid0(VALU_DEP_1) | instskip(SKIP_1) | instid1(VALU_DEP_2)
	v_lshlrev_b64_e32 v[6:7], v1, v[4:5]
	v_sub_nc_u32_e32 v1, 32, v1
	v_min_u32_e32 v6, 1, v6
	s_delay_alu instid0(VALU_DEP_1) | instskip(SKIP_1) | instid1(VALU_DEP_2)
	v_or_b32_e32 v6, v7, v6
	v_mov_b32_e32 v7, 0x80
	v_cvt_f32_i32_e32 v6, v6
	s_delay_alu instid0(VALU_DEP_1) | instskip(NEXT) | instid1(VALU_DEP_1)
	v_ldexp_f32 v1, v6, v1
	v_and_b32_e32 v6, 0x7fffffff, v1
	s_delay_alu instid0(VALU_DEP_1)
	v_cmpx_gt_u32_e32 0x47800000, v6
	s_cbranch_execz .LBB71_742
; %bb.737:
	v_cmp_lt_u32_e32 vcc_lo, 0x37ffffff, v6
	s_mov_b32 s50, 0
                                        ; implicit-def: $vgpr6
	s_and_saveexec_b32 s51, vcc_lo
	s_delay_alu instid0(SALU_CYCLE_1)
	s_xor_b32 s51, exec_lo, s51
	s_cbranch_execz .LBB71_991
; %bb.738:
	v_bfe_u32 v6, v1, 21, 1
	s_mov_b32 s50, exec_lo
	s_delay_alu instid0(VALU_DEP_1) | instskip(NEXT) | instid1(VALU_DEP_1)
	v_add3_u32 v6, v1, v6, 0x88fffff
	v_lshrrev_b32_e32 v6, 21, v6
	s_and_not1_saveexec_b32 s51, s51
	s_cbranch_execnz .LBB71_992
.LBB71_739:
	s_or_b32 exec_lo, exec_lo, s51
	v_mov_b32_e32 v7, 0
	s_and_saveexec_b32 s51, s50
.LBB71_740:
	v_lshrrev_b32_e32 v1, 24, v1
	s_delay_alu instid0(VALU_DEP_1)
	v_and_or_b32 v7, 0x80, v1, v6
.LBB71_741:
	s_or_b32 exec_lo, exec_lo, s51
.LBB71_742:
	s_delay_alu instid0(SALU_CYCLE_1)
	s_or_b32 exec_lo, exec_lo, s49
	s_mov_b32 s49, 0
	global_store_b8 v[2:3], v7, off
.LBB71_743:
	s_and_b32 vcc_lo, exec_lo, s49
	s_cbranch_vccz .LBB71_753
; %bb.744:
	s_wait_xcnt 0x0
	s_delay_alu instid0(VALU_DEP_1) | instskip(SKIP_2) | instid1(VALU_DEP_2)
	v_xor_b32_e32 v1, v4, v5
	v_cls_i32_e32 v6, v5
	s_mov_b32 s49, exec_lo
	v_ashrrev_i32_e32 v1, 31, v1
	s_delay_alu instid0(VALU_DEP_1) | instskip(NEXT) | instid1(VALU_DEP_1)
	v_add_nc_u32_e32 v1, 32, v1
	v_add_min_u32_e64 v1, v6, -1, v1
	s_delay_alu instid0(VALU_DEP_1) | instskip(SKIP_1) | instid1(VALU_DEP_2)
	v_lshlrev_b64_e32 v[6:7], v1, v[4:5]
	v_sub_nc_u32_e32 v1, 32, v1
	v_min_u32_e32 v6, 1, v6
	s_delay_alu instid0(VALU_DEP_1) | instskip(NEXT) | instid1(VALU_DEP_1)
	v_or_b32_e32 v6, v7, v6
	v_cvt_f32_i32_e32 v6, v6
	s_delay_alu instid0(VALU_DEP_1) | instskip(NEXT) | instid1(VALU_DEP_1)
	v_ldexp_f32 v1, v6, v1
                                        ; implicit-def: $vgpr6
	v_and_b32_e32 v7, 0x7fffffff, v1
	s_delay_alu instid0(VALU_DEP_1)
	v_cmpx_gt_u32_e32 0x43f00000, v7
	s_xor_b32 s49, exec_lo, s49
	s_cbranch_execz .LBB71_750
; %bb.745:
	s_mov_b32 s50, exec_lo
                                        ; implicit-def: $vgpr6
	v_cmpx_lt_u32_e32 0x3c7fffff, v7
	s_xor_b32 s50, exec_lo, s50
; %bb.746:
	v_bfe_u32 v6, v1, 20, 1
	s_delay_alu instid0(VALU_DEP_1) | instskip(NEXT) | instid1(VALU_DEP_1)
	v_add3_u32 v6, v1, v6, 0x407ffff
	v_and_b32_e32 v7, 0xff00000, v6
	v_lshrrev_b32_e32 v6, 20, v6
	s_delay_alu instid0(VALU_DEP_2) | instskip(NEXT) | instid1(VALU_DEP_2)
	v_cmp_ne_u32_e32 vcc_lo, 0x7f00000, v7
	v_cndmask_b32_e32 v6, 0x7e, v6, vcc_lo
; %bb.747:
	s_and_not1_saveexec_b32 s50, s50
; %bb.748:
	v_add_f32_e64 v6, 0x46800000, |v1|
; %bb.749:
	s_or_b32 exec_lo, exec_lo, s50
                                        ; implicit-def: $vgpr7
.LBB71_750:
	s_and_not1_saveexec_b32 s49, s49
; %bb.751:
	v_mov_b32_e32 v6, 0x7f
	v_cmp_lt_u32_e32 vcc_lo, 0x7f800000, v7
	s_delay_alu instid0(VALU_DEP_2)
	v_cndmask_b32_e32 v6, 0x7e, v6, vcc_lo
; %bb.752:
	s_or_b32 exec_lo, exec_lo, s49
	v_lshrrev_b32_e32 v1, 24, v1
	s_delay_alu instid0(VALU_DEP_1)
	v_and_or_b32 v1, 0x80, v1, v6
	global_store_b8 v[2:3], v1, off
.LBB71_753:
	s_mov_b32 s49, 0
.LBB71_754:
	s_delay_alu instid0(SALU_CYCLE_1)
	s_and_not1_b32 vcc_lo, exec_lo, s49
	s_cbranch_vccnz .LBB71_764
; %bb.755:
	s_wait_xcnt 0x0
	s_delay_alu instid0(VALU_DEP_1) | instskip(SKIP_2) | instid1(VALU_DEP_2)
	v_xor_b32_e32 v1, v4, v5
	v_cls_i32_e32 v6, v5
	s_mov_b32 s49, exec_lo
	v_ashrrev_i32_e32 v1, 31, v1
	s_delay_alu instid0(VALU_DEP_1) | instskip(NEXT) | instid1(VALU_DEP_1)
	v_add_nc_u32_e32 v1, 32, v1
	v_add_min_u32_e64 v1, v6, -1, v1
	s_delay_alu instid0(VALU_DEP_1) | instskip(SKIP_1) | instid1(VALU_DEP_2)
	v_lshlrev_b64_e32 v[6:7], v1, v[4:5]
	v_sub_nc_u32_e32 v1, 32, v1
	v_min_u32_e32 v6, 1, v6
	s_delay_alu instid0(VALU_DEP_1) | instskip(NEXT) | instid1(VALU_DEP_1)
	v_or_b32_e32 v6, v7, v6
	v_cvt_f32_i32_e32 v6, v6
	s_delay_alu instid0(VALU_DEP_1) | instskip(NEXT) | instid1(VALU_DEP_1)
	v_ldexp_f32 v1, v6, v1
                                        ; implicit-def: $vgpr6
	v_and_b32_e32 v7, 0x7fffffff, v1
	s_delay_alu instid0(VALU_DEP_1)
	v_cmpx_gt_u32_e32 0x47800000, v7
	s_xor_b32 s49, exec_lo, s49
	s_cbranch_execz .LBB71_761
; %bb.756:
	s_mov_b32 s50, exec_lo
                                        ; implicit-def: $vgpr6
	v_cmpx_lt_u32_e32 0x387fffff, v7
	s_xor_b32 s50, exec_lo, s50
; %bb.757:
	v_bfe_u32 v6, v1, 21, 1
	s_delay_alu instid0(VALU_DEP_1) | instskip(NEXT) | instid1(VALU_DEP_1)
	v_add3_u32 v6, v1, v6, 0x80fffff
	v_lshrrev_b32_e32 v6, 21, v6
; %bb.758:
	s_and_not1_saveexec_b32 s50, s50
; %bb.759:
	v_add_f32_e64 v6, 0x43000000, |v1|
; %bb.760:
	s_or_b32 exec_lo, exec_lo, s50
                                        ; implicit-def: $vgpr7
.LBB71_761:
	s_and_not1_saveexec_b32 s49, s49
; %bb.762:
	v_mov_b32_e32 v6, 0x7f
	v_cmp_lt_u32_e32 vcc_lo, 0x7f800000, v7
	s_delay_alu instid0(VALU_DEP_2)
	v_cndmask_b32_e32 v6, 0x7c, v6, vcc_lo
; %bb.763:
	s_or_b32 exec_lo, exec_lo, s49
	v_lshrrev_b32_e32 v1, 24, v1
	s_delay_alu instid0(VALU_DEP_1)
	v_and_or_b32 v1, 0x80, v1, v6
	global_store_b8 v[2:3], v1, off
.LBB71_764:
	s_mov_b32 s50, 0
	s_mov_b32 s49, -1
.LBB71_765:
	s_and_not1_b32 vcc_lo, exec_lo, s50
	s_cbranch_vccnz .LBB71_773
; %bb.766:
	s_cmp_gt_i32 s48, 14
	s_mov_b32 s50, -1
	s_cbranch_scc0 .LBB71_770
; %bb.767:
	s_cmp_eq_u32 s48, 15
	s_mov_b32 s0, -1
	s_cbranch_scc0 .LBB71_769
; %bb.768:
	s_wait_xcnt 0x0
	s_delay_alu instid0(VALU_DEP_1) | instskip(SKIP_3) | instid1(VALU_DEP_2)
	v_xor_b32_e32 v1, v4, v5
	v_cls_i32_e32 v6, v5
	s_mov_b32 s49, -1
	s_mov_b32 s0, 0
	v_ashrrev_i32_e32 v1, 31, v1
	s_delay_alu instid0(VALU_DEP_1) | instskip(NEXT) | instid1(VALU_DEP_1)
	v_add_nc_u32_e32 v1, 32, v1
	v_add_min_u32_e64 v1, v6, -1, v1
	s_delay_alu instid0(VALU_DEP_1) | instskip(SKIP_1) | instid1(VALU_DEP_2)
	v_lshlrev_b64_e32 v[6:7], v1, v[4:5]
	v_sub_nc_u32_e32 v1, 32, v1
	v_min_u32_e32 v6, 1, v6
	s_delay_alu instid0(VALU_DEP_1) | instskip(NEXT) | instid1(VALU_DEP_1)
	v_or_b32_e32 v6, v7, v6
	v_cvt_f32_i32_e32 v6, v6
	s_delay_alu instid0(VALU_DEP_1) | instskip(NEXT) | instid1(VALU_DEP_1)
	v_ldexp_f32 v1, v6, v1
	v_bfe_u32 v6, v1, 16, 1
	s_delay_alu instid0(VALU_DEP_1)
	v_add3_u32 v1, v1, v6, 0x7fff
	global_store_d16_hi_b16 v[2:3], v1, off
.LBB71_769:
	s_mov_b32 s50, 0
.LBB71_770:
	s_delay_alu instid0(SALU_CYCLE_1)
	s_and_b32 vcc_lo, exec_lo, s50
	s_cbranch_vccz .LBB71_773
; %bb.771:
	s_cmp_eq_u32 s48, 11
	s_mov_b32 s0, -1
	s_cbranch_scc0 .LBB71_773
; %bb.772:
	s_delay_alu instid0(VALU_DEP_1)
	v_cmp_ne_u64_e32 vcc_lo, 0, v[4:5]
	s_mov_b32 s49, -1
	s_mov_b32 s0, 0
	s_wait_xcnt 0x0
	v_cndmask_b32_e64 v1, 0, 1, vcc_lo
	global_store_b8 v[2:3], v1, off
.LBB71_773:
	s_mov_b32 s48, 0
.LBB71_774:
	s_delay_alu instid0(SALU_CYCLE_1)
	s_and_b32 vcc_lo, exec_lo, s48
	s_cbranch_vccz .LBB71_813
; %bb.775:
	s_and_b32 s31, 0xffff, s31
	s_mov_b32 s48, -1
	s_cmp_lt_i32 s31, 5
	s_cbranch_scc1 .LBB71_796
; %bb.776:
	s_cmp_lt_i32 s31, 8
	s_cbranch_scc1 .LBB71_786
; %bb.777:
	;; [unrolled: 3-line block ×3, first 2 shown]
	s_cmp_gt_i32 s31, 9
	s_cbranch_scc0 .LBB71_780
; %bb.779:
	s_wait_xcnt 0x0
	s_delay_alu instid0(VALU_DEP_1) | instskip(NEXT) | instid1(VALU_DEP_2)
	v_cvt_f64_i32_e32 v[6:7], v5
	v_cvt_f64_u32_e32 v[8:9], v4
	s_mov_b32 s48, 0
	s_delay_alu instid0(VALU_DEP_2) | instskip(NEXT) | instid1(VALU_DEP_1)
	v_ldexp_f64 v[6:7], v[6:7], 32
	v_dual_add_f64 v[6:7], v[6:7], v[8:9] :: v_dual_mov_b32 v8, 0
	s_delay_alu instid0(VALU_DEP_1)
	v_mov_b32_e32 v9, v8
	global_store_b128 v[2:3], v[6:9], off
.LBB71_780:
	s_and_not1_b32 vcc_lo, exec_lo, s48
	s_cbranch_vccnz .LBB71_782
; %bb.781:
	s_wait_xcnt 0x0
	s_delay_alu instid0(VALU_DEP_1) | instskip(SKIP_1) | instid1(VALU_DEP_2)
	v_xor_b32_e32 v1, v4, v5
	v_cls_i32_e32 v6, v5
	v_ashrrev_i32_e32 v1, 31, v1
	s_delay_alu instid0(VALU_DEP_1) | instskip(NEXT) | instid1(VALU_DEP_1)
	v_add_nc_u32_e32 v1, 32, v1
	v_add_min_u32_e64 v1, v6, -1, v1
	s_delay_alu instid0(VALU_DEP_1) | instskip(SKIP_1) | instid1(VALU_DEP_2)
	v_lshlrev_b64_e32 v[6:7], v1, v[4:5]
	v_sub_nc_u32_e32 v1, 32, v1
	v_min_u32_e32 v6, 1, v6
	s_delay_alu instid0(VALU_DEP_1) | instskip(NEXT) | instid1(VALU_DEP_1)
	v_dual_mov_b32 v7, 0 :: v_dual_bitop2_b32 v6, v7, v6 bitop3:0x54
	v_cvt_f32_i32_e32 v6, v6
	s_delay_alu instid0(VALU_DEP_1)
	v_ldexp_f32 v6, v6, v1
	global_store_b64 v[2:3], v[6:7], off
.LBB71_782:
	s_mov_b32 s48, 0
.LBB71_783:
	s_delay_alu instid0(SALU_CYCLE_1)
	s_and_not1_b32 vcc_lo, exec_lo, s48
	s_cbranch_vccnz .LBB71_785
; %bb.784:
	s_wait_xcnt 0x0
	s_delay_alu instid0(VALU_DEP_1) | instskip(SKIP_1) | instid1(VALU_DEP_2)
	v_xor_b32_e32 v1, v4, v5
	v_cls_i32_e32 v6, v5
	v_ashrrev_i32_e32 v1, 31, v1
	s_delay_alu instid0(VALU_DEP_1) | instskip(NEXT) | instid1(VALU_DEP_1)
	v_add_nc_u32_e32 v1, 32, v1
	v_add_min_u32_e64 v1, v6, -1, v1
	s_delay_alu instid0(VALU_DEP_1) | instskip(SKIP_1) | instid1(VALU_DEP_2)
	v_lshlrev_b64_e32 v[6:7], v1, v[4:5]
	v_sub_nc_u32_e32 v1, 32, v1
	v_min_u32_e32 v6, 1, v6
	s_delay_alu instid0(VALU_DEP_1) | instskip(NEXT) | instid1(VALU_DEP_1)
	v_or_b32_e32 v6, v7, v6
	v_cvt_f32_i32_e32 v6, v6
	s_delay_alu instid0(VALU_DEP_1) | instskip(NEXT) | instid1(VALU_DEP_1)
	v_ldexp_f32 v1, v6, v1
	v_cvt_f16_f32_e32 v1, v1
	s_delay_alu instid0(VALU_DEP_1)
	v_and_b32_e32 v1, 0xffff, v1
	global_store_b32 v[2:3], v1, off
.LBB71_785:
	s_mov_b32 s48, 0
.LBB71_786:
	s_delay_alu instid0(SALU_CYCLE_1)
	s_and_not1_b32 vcc_lo, exec_lo, s48
	s_cbranch_vccnz .LBB71_795
; %bb.787:
	s_cmp_lt_i32 s31, 6
	s_mov_b32 s48, -1
	s_cbranch_scc1 .LBB71_793
; %bb.788:
	s_cmp_gt_i32 s31, 6
	s_cbranch_scc0 .LBB71_790
; %bb.789:
	s_wait_xcnt 0x0
	s_delay_alu instid0(VALU_DEP_1) | instskip(NEXT) | instid1(VALU_DEP_2)
	v_cvt_f64_i32_e32 v[6:7], v5
	v_cvt_f64_u32_e32 v[8:9], v4
	s_mov_b32 s48, 0
	s_delay_alu instid0(VALU_DEP_2) | instskip(NEXT) | instid1(VALU_DEP_1)
	v_ldexp_f64 v[6:7], v[6:7], 32
	v_add_f64_e32 v[6:7], v[6:7], v[8:9]
	global_store_b64 v[2:3], v[6:7], off
.LBB71_790:
	s_and_not1_b32 vcc_lo, exec_lo, s48
	s_cbranch_vccnz .LBB71_792
; %bb.791:
	s_wait_xcnt 0x0
	s_delay_alu instid0(VALU_DEP_1) | instskip(SKIP_1) | instid1(VALU_DEP_2)
	v_xor_b32_e32 v1, v4, v5
	v_cls_i32_e32 v6, v5
	v_ashrrev_i32_e32 v1, 31, v1
	s_delay_alu instid0(VALU_DEP_1) | instskip(NEXT) | instid1(VALU_DEP_1)
	v_add_nc_u32_e32 v1, 32, v1
	v_add_min_u32_e64 v1, v6, -1, v1
	s_delay_alu instid0(VALU_DEP_1) | instskip(SKIP_1) | instid1(VALU_DEP_2)
	v_lshlrev_b64_e32 v[6:7], v1, v[4:5]
	v_sub_nc_u32_e32 v1, 32, v1
	v_min_u32_e32 v6, 1, v6
	s_delay_alu instid0(VALU_DEP_1) | instskip(NEXT) | instid1(VALU_DEP_1)
	v_or_b32_e32 v6, v7, v6
	v_cvt_f32_i32_e32 v6, v6
	s_delay_alu instid0(VALU_DEP_1)
	v_ldexp_f32 v1, v6, v1
	global_store_b32 v[2:3], v1, off
.LBB71_792:
	s_mov_b32 s48, 0
.LBB71_793:
	s_delay_alu instid0(SALU_CYCLE_1)
	s_and_not1_b32 vcc_lo, exec_lo, s48
	s_cbranch_vccnz .LBB71_795
; %bb.794:
	s_wait_xcnt 0x0
	s_delay_alu instid0(VALU_DEP_1) | instskip(SKIP_1) | instid1(VALU_DEP_2)
	v_xor_b32_e32 v1, v4, v5
	v_cls_i32_e32 v6, v5
	v_ashrrev_i32_e32 v1, 31, v1
	s_delay_alu instid0(VALU_DEP_1) | instskip(NEXT) | instid1(VALU_DEP_1)
	v_add_nc_u32_e32 v1, 32, v1
	v_add_min_u32_e64 v1, v6, -1, v1
	s_delay_alu instid0(VALU_DEP_1) | instskip(SKIP_1) | instid1(VALU_DEP_2)
	v_lshlrev_b64_e32 v[6:7], v1, v[4:5]
	v_sub_nc_u32_e32 v1, 32, v1
	v_min_u32_e32 v6, 1, v6
	s_delay_alu instid0(VALU_DEP_1) | instskip(NEXT) | instid1(VALU_DEP_1)
	v_or_b32_e32 v6, v7, v6
	v_cvt_f32_i32_e32 v6, v6
	s_delay_alu instid0(VALU_DEP_1) | instskip(NEXT) | instid1(VALU_DEP_1)
	v_ldexp_f32 v1, v6, v1
	v_cvt_f16_f32_e32 v1, v1
	global_store_b16 v[2:3], v1, off
.LBB71_795:
	s_mov_b32 s48, 0
.LBB71_796:
	s_delay_alu instid0(SALU_CYCLE_1)
	s_and_not1_b32 vcc_lo, exec_lo, s48
	s_cbranch_vccnz .LBB71_812
; %bb.797:
	s_cmp_lt_i32 s31, 2
	s_mov_b32 s48, -1
	s_cbranch_scc1 .LBB71_807
; %bb.798:
	s_cmp_lt_i32 s31, 3
	s_cbranch_scc1 .LBB71_804
; %bb.799:
	s_cmp_gt_i32 s31, 3
	s_cbranch_scc0 .LBB71_801
; %bb.800:
	s_mov_b32 s48, 0
	global_store_b64 v[2:3], v[4:5], off
.LBB71_801:
	s_and_not1_b32 vcc_lo, exec_lo, s48
	s_cbranch_vccnz .LBB71_803
; %bb.802:
	global_store_b32 v[2:3], v4, off
.LBB71_803:
	s_mov_b32 s48, 0
.LBB71_804:
	s_delay_alu instid0(SALU_CYCLE_1)
	s_and_not1_b32 vcc_lo, exec_lo, s48
	s_cbranch_vccnz .LBB71_806
; %bb.805:
	global_store_b16 v[2:3], v4, off
.LBB71_806:
	s_mov_b32 s48, 0
.LBB71_807:
	s_delay_alu instid0(SALU_CYCLE_1)
	s_and_not1_b32 vcc_lo, exec_lo, s48
	s_cbranch_vccnz .LBB71_812
; %bb.808:
	s_cmp_gt_i32 s31, 0
	s_mov_b32 s31, -1
	s_cbranch_scc0 .LBB71_810
; %bb.809:
	s_mov_b32 s31, 0
	global_store_b8 v[2:3], v4, off
.LBB71_810:
	s_and_not1_b32 vcc_lo, exec_lo, s31
	s_cbranch_vccnz .LBB71_812
; %bb.811:
	global_store_b8 v[2:3], v4, off
.LBB71_812:
	s_mov_b32 s49, -1
.LBB71_813:
	s_delay_alu instid0(SALU_CYCLE_1)
	s_and_not1_b32 vcc_lo, exec_lo, s49
	s_cbranch_vccnz .LBB71_836
; %bb.814:
	v_add_nc_u32_e32 v0, 0x80, v0
	s_mov_b32 s31, -1
.LBB71_815:
	s_and_not1_b32 s48, s43, exec_lo
	s_and_b32 s0, s0, exec_lo
	s_and_not1_b32 s50, s44, exec_lo
	s_and_b32 s30, s30, exec_lo
	s_or_b32 s49, s48, s0
	s_or_b32 s50, s50, s30
	s_and_not1_b32 s0, s45, exec_lo
	s_and_b32 s28, s28, exec_lo
	s_and_not1_b32 s30, s46, exec_lo
	s_and_b32 s29, s29, exec_lo
	s_or_b32 s51, s0, s28
	s_or_b32 s48, s30, s29
	s_or_not1_b32 s28, s31, exec_lo
.LBB71_816:
	s_wait_xcnt 0x0
	s_or_b32 exec_lo, exec_lo, s52
	s_mov_b32 s0, 0
                                        ; implicit-def: $vgpr4
                                        ; implicit-def: $vgpr8
                                        ; implicit-def: $vgpr2
	s_and_saveexec_b32 s52, s28
	s_cbranch_execz .LBB71_1266
; %bb.817:
	s_mov_b32 s29, -1
	s_mov_b32 s0, s48
	s_mov_b32 s55, s51
	;; [unrolled: 1-line block ×4, first 2 shown]
	s_mov_b32 s53, exec_lo
	v_cmpx_gt_i32_e64 s41, v0
	s_cbranch_execz .LBB71_1230
; %bb.818:
	s_and_not1_b32 vcc_lo, exec_lo, s34
	s_cbranch_vccnz .LBB71_824
; %bb.819:
	s_and_not1_b32 vcc_lo, exec_lo, s42
	s_cbranch_vccnz .LBB71_825
; %bb.820:
	v_dual_mov_b32 v2, 0 :: v_dual_mov_b32 v1, v0
	s_wait_loadcnt 0x0
	v_dual_mov_b32 v4, 0 :: v_dual_mov_b32 v6, 0
	s_add_co_i32 s0, s40, 1
	s_mov_b64 s[28:29], 0xffffffffffffffe0
	s_and_b32 s0, s0, 30
	s_add_nc_u64 s[28:29], s[2:3], s[28:29]
	s_mov_b64 s[30:31], s[2:3]
.LBB71_821:                             ; =>This Inner Loop Header: Depth=1
	s_clause 0x1
	s_load_b128 s[56:59], s[30:31], 0x4
	s_load_b64 s[54:55], s[30:31], 0x14
	s_load_b32 s60, s[28:29], 0xe4
	s_add_co_i32 s0, s0, -2
	s_wait_xcnt 0x0
	s_add_nc_u64 s[30:31], s[30:31], 24
	s_cmp_eq_u32 s0, 0
	s_wait_kmcnt 0x0
	v_mul_hi_u32 v3, s57, v1
	s_delay_alu instid0(VALU_DEP_1) | instskip(NEXT) | instid1(VALU_DEP_1)
	v_add_nc_u32_e32 v3, v1, v3
	v_lshrrev_b32_e32 v3, s58, v3
	s_delay_alu instid0(VALU_DEP_1) | instskip(SKIP_2) | instid1(VALU_DEP_1)
	v_mul_hi_u32 v5, s54, v3
	v_mul_lo_u32 v7, v3, s56
	s_load_b96 s[56:58], s[28:29], 0xec
	v_dual_add_nc_u32 v5, v3, v5 :: v_dual_sub_nc_u32 v7, v1, v7
	s_delay_alu instid0(VALU_DEP_1) | instskip(SKIP_1) | instid1(VALU_DEP_2)
	v_lshrrev_b32_e32 v1, s55, v5
	s_load_b64 s[54:55], s[28:29], 0xfc
	v_mad_u32 v2, v7, s60, v2
	s_wait_xcnt 0x0
	s_add_nc_u64 s[28:29], s[28:29], 32
	v_mul_lo_u32 v5, v1, s59
	s_wait_kmcnt 0x0
	v_mad_u32 v6, v7, s57, v6
	v_mad_u32 v4, v7, s56, v4
	s_delay_alu instid0(VALU_DEP_3) | instskip(NEXT) | instid1(VALU_DEP_1)
	v_sub_nc_u32_e32 v3, v3, v5
	v_mad_u32 v2, v3, s58, v2
	s_delay_alu instid0(VALU_DEP_4) | instskip(NEXT) | instid1(VALU_DEP_4)
	v_mad_u32 v6, v3, s55, v6
	v_mad_u32 v4, v3, s54, v4
	s_cbranch_scc0 .LBB71_821
; %bb.822:
	s_bitcmp1_b32 s40, 0
	s_cselect_b32 s0, -1, 0
	s_delay_alu instid0(SALU_CYCLE_1)
	s_and_b32 vcc_lo, exec_lo, s0
	s_cbranch_vccnz .LBB71_826
; %bb.823:
	s_load_b96 s[56:58], s[30:31], 0x4
	s_load_b32 s0, s[28:29], 0xe4
	s_wait_xcnt 0x0
	s_load_b64 s[30:31], s[28:29], 0xec
	s_wait_kmcnt 0x0
	v_mul_hi_u32 v3, s57, v1
	s_delay_alu instid0(VALU_DEP_1) | instskip(NEXT) | instid1(VALU_DEP_1)
	v_add_nc_u32_e32 v3, v1, v3
	v_lshrrev_b32_e32 v3, s58, v3
	s_delay_alu instid0(VALU_DEP_1) | instskip(NEXT) | instid1(VALU_DEP_1)
	v_mul_lo_u32 v3, v3, s56
	v_sub_nc_u32_e32 v1, v1, v3
	s_delay_alu instid0(VALU_DEP_1)
	v_mad_u32 v2, v1, s0, v2
	v_mad_u32 v4, v1, s30, v4
	;; [unrolled: 1-line block ×3, first 2 shown]
	s_branch .LBB71_826
.LBB71_824:
	s_mov_b32 s0, -1
                                        ; implicit-def: $vgpr6
                                        ; implicit-def: $vgpr4
                                        ; implicit-def: $vgpr2
	s_branch .LBB71_827
.LBB71_825:
	s_wait_loadcnt 0x0
	v_dual_mov_b32 v6, 0 :: v_dual_mov_b32 v4, 0
	v_mov_b32_e32 v2, 0
.LBB71_826:
	s_mov_b32 s0, 0
.LBB71_827:
	s_delay_alu instid0(SALU_CYCLE_1)
	s_and_not1_b32 vcc_lo, exec_lo, s0
	s_cbranch_vccnz .LBB71_830
; %bb.828:
	v_mov_b32_e32 v1, 0
	s_and_not1_b32 vcc_lo, exec_lo, s39
	s_delay_alu instid0(VALU_DEP_1) | instskip(NEXT) | instid1(VALU_DEP_1)
	v_mul_u64_e32 v[2:3], s[22:23], v[0:1]
	v_add_nc_u32_e32 v2, v0, v3
	s_wait_loadcnt 0x0
	s_delay_alu instid0(VALU_DEP_1) | instskip(NEXT) | instid1(VALU_DEP_1)
	v_lshrrev_b32_e32 v8, s10, v2
	v_mul_lo_u32 v2, v8, s8
	s_delay_alu instid0(VALU_DEP_1) | instskip(NEXT) | instid1(VALU_DEP_1)
	v_sub_nc_u32_e32 v3, v0, v2
	v_mul_lo_u32 v2, v3, s38
	v_mul_lo_u32 v6, v3, s17
	;; [unrolled: 1-line block ×3, first 2 shown]
	s_cbranch_vccnz .LBB71_830
; %bb.829:
	v_mov_b32_e32 v9, v1
	s_delay_alu instid0(VALU_DEP_1) | instskip(NEXT) | instid1(VALU_DEP_1)
	v_mul_u64_e32 v[10:11], s[26:27], v[8:9]
	v_add_nc_u32_e32 v1, v8, v11
	s_delay_alu instid0(VALU_DEP_1) | instskip(NEXT) | instid1(VALU_DEP_1)
	v_lshrrev_b32_e32 v1, s1, v1
	v_mul_lo_u32 v1, v1, s11
	s_delay_alu instid0(VALU_DEP_1) | instskip(NEXT) | instid1(VALU_DEP_1)
	v_sub_nc_u32_e32 v1, v8, v1
	v_mad_u32 v2, v1, s18, v2
	v_mad_u32 v4, v1, s24, v4
	;; [unrolled: 1-line block ×3, first 2 shown]
.LBB71_830:
	s_and_b32 s28, s37, 0xff
	s_delay_alu instid0(SALU_CYCLE_1)
	s_cmp_lt_i32 s28, 23
	s_cbranch_scc1 .LBB71_834
; %bb.831:
	s_and_b32 s30, 0xffff, s28
	s_delay_alu instid0(SALU_CYCLE_1)
	s_cmp_gt_i32 s30, 43
	s_cbranch_scc0 .LBB71_835
; %bb.832:
	s_cmp_gt_i32 s30, 45
	s_cbranch_scc0 .LBB71_837
; %bb.833:
	s_cmp_eq_u32 s30, 46
	s_mov_b32 s31, 0
	s_cselect_b32 s0, -1, 0
	s_or_b32 s29, s48, exec_lo
	s_branch .LBB71_838
.LBB71_834:
	s_mov_b32 s30, -1
	s_mov_b32 s0, 0
	s_mov_b32 s29, s48
	s_branch .LBB71_844
.LBB71_835:
	s_mov_b32 s31, -1
	s_mov_b32 s0, 0
	s_mov_b32 s29, s48
	s_branch .LBB71_841
.LBB71_836:
	s_mov_b32 s31, 0
	s_branch .LBB71_444
.LBB71_837:
	s_mov_b32 s31, -1
	s_mov_b32 s0, 0
	s_mov_b32 s29, s48
.LBB71_838:
	s_and_not1_b32 vcc_lo, exec_lo, s31
	s_cbranch_vccnz .LBB71_840
; %bb.839:
	s_cmp_eq_u32 s30, 44
	s_cselect_b32 s0, -1, 0
	s_cmp_lg_u32 s30, 44
	s_cselect_b32 s31, -1, 0
	s_and_not1_b32 s29, s29, exec_lo
	s_and_b32 s31, s31, exec_lo
	s_delay_alu instid0(SALU_CYCLE_1)
	s_or_b32 s29, s29, s31
.LBB71_840:
	s_mov_b32 s31, 0
.LBB71_841:
	s_delay_alu instid0(SALU_CYCLE_1)
	s_and_b32 vcc_lo, exec_lo, s31
	s_cbranch_vccz .LBB71_843
; %bb.842:
	s_cmp_lt_i32 s30, 30
	s_cselect_b32 s0, -1, 0
	s_cmp_gt_i32 s30, 29
	s_cselect_b32 s30, -1, 0
	s_and_not1_b32 s29, s29, exec_lo
	s_and_b32 s30, s30, exec_lo
	s_delay_alu instid0(SALU_CYCLE_1)
	s_or_b32 s29, s29, s30
.LBB71_843:
	s_mov_b32 s30, 0
.LBB71_844:
	s_delay_alu instid0(SALU_CYCLE_1)
	s_and_b32 vcc_lo, exec_lo, s30
	s_cbranch_vccz .LBB71_849
; %bb.845:
	s_and_b32 s28, 0xffff, s28
	s_mov_b32 s30, -1
	s_cmp_gt_i32 s28, 14
	s_cbranch_scc0 .LBB71_847
; %bb.846:
	s_cmp_eq_u32 s28, 15
	s_cselect_b32 s0, -1, 0
	s_cmp_lg_u32 s28, 15
	s_cselect_b32 s30, -1, 0
	s_and_not1_b32 s29, s29, exec_lo
	s_and_b32 s31, s30, exec_lo
	s_mov_b32 s30, 0
	s_or_b32 s29, s29, s31
.LBB71_847:
	s_and_not1_b32 vcc_lo, exec_lo, s30
	s_cbranch_vccnz .LBB71_849
; %bb.848:
	s_cmp_lt_i32 s28, 12
	s_cselect_b32 s0, -1, 0
	s_cmp_gt_i32 s28, 11
	s_cselect_b32 s28, -1, 0
	s_and_not1_b32 s29, s29, exec_lo
	s_and_b32 s28, s28, exec_lo
	s_delay_alu instid0(SALU_CYCLE_1)
	s_or_b32 s29, s29, s28
.LBB71_849:
	s_and_b32 vcc_lo, exec_lo, s0
	s_cbranch_vccz .LBB71_857
; %bb.850:
	s_wait_loadcnt 0x0
	v_mov_b32_e32 v5, 0
	s_and_b32 s0, s36, 0xff
	s_delay_alu instid0(SALU_CYCLE_1) | instskip(NEXT) | instid1(VALU_DEP_1)
	s_cmp_lt_i32 s0, 11
	v_add_nc_u64_e32 v[8:9], s[4:5], v[4:5]
	s_cbranch_scc1 .LBB71_859
; %bb.851:
	s_and_b32 s29, 0xffff, s0
	s_delay_alu instid0(SALU_CYCLE_1)
	s_cmp_gt_i32 s29, 25
	s_cbranch_scc0 .LBB71_860
; %bb.852:
	s_cmp_gt_i32 s29, 28
	s_cbranch_scc0 .LBB71_861
; %bb.853:
	;; [unrolled: 3-line block ×4, first 2 shown]
	s_cmp_eq_u32 s29, 46
	s_mov_b32 s31, 0
	s_cbranch_scc0 .LBB71_866
; %bb.856:
	global_load_b32 v1, v[8:9], off
	s_mov_b32 s30, -1
	s_mov_b32 s28, 0
	s_wait_loadcnt 0x0
	v_lshlrev_b32_e32 v1, 16, v1
	s_delay_alu instid0(VALU_DEP_1) | instskip(NEXT) | instid1(VALU_DEP_1)
	v_trunc_f32_e32 v1, v1
	v_mul_f32_e64 v3, 0x2f800000, |v1|
	v_ashrrev_i32_e32 v4, 31, v1
	s_delay_alu instid0(VALU_DEP_2) | instskip(NEXT) | instid1(VALU_DEP_1)
	v_floor_f32_e32 v3, v3
	v_fma_f32 v5, 0xcf800000, v3, |v1|
	v_cvt_u32_f32_e32 v1, v3
	s_delay_alu instid0(VALU_DEP_2) | instskip(NEXT) | instid1(VALU_DEP_2)
	v_cvt_u32_f32_e32 v3, v5
	v_dual_mov_b32 v5, v4 :: v_dual_bitop2_b32 v11, v1, v4 bitop3:0x14
	s_delay_alu instid0(VALU_DEP_2) | instskip(NEXT) | instid1(VALU_DEP_1)
	v_xor_b32_e32 v10, v3, v4
	v_sub_nc_u64_e32 v[4:5], v[10:11], v[4:5]
	s_branch .LBB71_868
.LBB71_857:
	s_mov_b32 s31, 0
	s_mov_b32 s0, s49
	;; [unrolled: 1-line block ×4, first 2 shown]
.LBB71_858:
                                        ; implicit-def: $vgpr0
	s_branch .LBB71_1229
.LBB71_859:
	s_mov_b32 s29, -1
	s_mov_b32 s30, 0
	s_mov_b32 s28, s51
                                        ; implicit-def: $vgpr4_vgpr5
	s_branch .LBB71_929
.LBB71_860:
	s_mov_b32 s31, -1
	s_mov_b32 s30, 0
	s_mov_b32 s28, s51
                                        ; implicit-def: $vgpr4_vgpr5
	s_branch .LBB71_895
.LBB71_861:
	s_mov_b32 s31, -1
	s_mov_b32 s30, 0
	s_mov_b32 s28, s51
                                        ; implicit-def: $vgpr4_vgpr5
	s_branch .LBB71_878
.LBB71_862:
	s_mov_b32 s31, -1
	s_mov_b32 s30, 0
	s_mov_b32 s28, s51
                                        ; implicit-def: $vgpr4_vgpr5
	s_branch .LBB71_873
.LBB71_863:
	s_mov_b32 s31, -1
	s_mov_b32 s30, 0
	s_mov_b32 s28, s51
	s_branch .LBB71_867
.LBB71_864:
	s_and_not1_saveexec_b32 s51, s51
	s_cbranch_execz .LBB71_726
.LBB71_865:
	v_add_f32_e64 v6, 0x46000000, |v1|
	s_and_not1_b32 s50, s50, exec_lo
	s_delay_alu instid0(VALU_DEP_1) | instskip(NEXT) | instid1(VALU_DEP_1)
	v_and_b32_e32 v6, 0xff, v6
	v_cmp_ne_u32_e32 vcc_lo, 0, v6
	s_and_b32 s53, vcc_lo, exec_lo
	s_delay_alu instid0(SALU_CYCLE_1)
	s_or_b32 s50, s50, s53
	s_or_b32 exec_lo, exec_lo, s51
	v_mov_b32_e32 v7, 0
	s_and_saveexec_b32 s51, s50
	s_cbranch_execnz .LBB71_727
	s_branch .LBB71_728
.LBB71_866:
	s_mov_b32 s28, -1
	s_mov_b32 s30, 0
.LBB71_867:
                                        ; implicit-def: $vgpr4_vgpr5
.LBB71_868:
	s_and_b32 vcc_lo, exec_lo, s31
	s_cbranch_vccz .LBB71_872
; %bb.869:
	s_cmp_eq_u32 s29, 44
	s_cbranch_scc0 .LBB71_871
; %bb.870:
	global_load_u8 v1, v[8:9], off
	s_mov_b32 s28, 0
	s_mov_b32 s30, -1
	s_wait_loadcnt 0x0
	v_lshlrev_b32_e32 v3, 23, v1
	v_cmp_ne_u32_e32 vcc_lo, 0, v1
	s_delay_alu instid0(VALU_DEP_2) | instskip(NEXT) | instid1(VALU_DEP_1)
	v_trunc_f32_e32 v3, v3
	v_mul_f32_e64 v4, 0x2f800000, |v3|
	s_delay_alu instid0(VALU_DEP_1) | instskip(SKIP_1) | instid1(VALU_DEP_2)
	v_floor_f32_e32 v5, v4
	v_ashrrev_i32_e32 v4, 31, v3
	v_fma_f32 v7, 0xcf800000, v5, |v3|
	v_cvt_u32_f32_e32 v3, v5
	s_delay_alu instid0(VALU_DEP_3) | instskip(NEXT) | instid1(VALU_DEP_3)
	v_mov_b32_e32 v5, v4
	v_cvt_u32_f32_e32 v7, v7
	s_delay_alu instid0(VALU_DEP_3) | instskip(NEXT) | instid1(VALU_DEP_2)
	v_xor_b32_e32 v11, v3, v4
	v_xor_b32_e32 v10, v7, v4
	s_delay_alu instid0(VALU_DEP_1) | instskip(NEXT) | instid1(VALU_DEP_1)
	v_sub_nc_u64_e32 v[4:5], v[10:11], v[4:5]
	v_dual_cndmask_b32 v5, 0, v5 :: v_dual_cndmask_b32 v4, 0, v4
	s_branch .LBB71_872
.LBB71_871:
	s_mov_b32 s28, -1
                                        ; implicit-def: $vgpr4_vgpr5
.LBB71_872:
	s_mov_b32 s31, 0
.LBB71_873:
	s_delay_alu instid0(SALU_CYCLE_1)
	s_and_b32 vcc_lo, exec_lo, s31
	s_cbranch_vccz .LBB71_877
; %bb.874:
	s_cmp_eq_u32 s29, 29
	s_cbranch_scc0 .LBB71_876
; %bb.875:
	global_load_b64 v[4:5], v[8:9], off
	s_mov_b32 s30, -1
	s_mov_b32 s28, 0
	s_branch .LBB71_877
.LBB71_876:
	s_mov_b32 s28, -1
                                        ; implicit-def: $vgpr4_vgpr5
.LBB71_877:
	s_mov_b32 s31, 0
.LBB71_878:
	s_delay_alu instid0(SALU_CYCLE_1)
	s_and_b32 vcc_lo, exec_lo, s31
	s_cbranch_vccz .LBB71_894
; %bb.879:
	s_cmp_lt_i32 s29, 27
	s_cbranch_scc1 .LBB71_882
; %bb.880:
	s_cmp_gt_i32 s29, 27
	s_cbranch_scc0 .LBB71_883
; %bb.881:
	s_wait_loadcnt 0x0
	global_load_b32 v4, v[8:9], off
	v_mov_b32_e32 v5, 0
	s_mov_b32 s30, 0
	s_branch .LBB71_884
.LBB71_882:
	s_mov_b32 s30, -1
                                        ; implicit-def: $vgpr4_vgpr5
	s_branch .LBB71_887
.LBB71_883:
	s_mov_b32 s30, -1
                                        ; implicit-def: $vgpr4_vgpr5
.LBB71_884:
	s_delay_alu instid0(SALU_CYCLE_1)
	s_and_not1_b32 vcc_lo, exec_lo, s30
	s_cbranch_vccnz .LBB71_886
; %bb.885:
	global_load_u16 v1, v[8:9], off
	s_mov_b32 s30, 0
	s_wait_loadcnt 0x1
	v_mov_b32_e32 v5, s30
	s_wait_loadcnt 0x0
	v_and_b32_e32 v4, 0xffff, v1
.LBB71_886:
	s_mov_b32 s30, 0
.LBB71_887:
	s_delay_alu instid0(SALU_CYCLE_1)
	s_and_not1_b32 vcc_lo, exec_lo, s30
	s_cbranch_vccnz .LBB71_893
; %bb.888:
	global_load_u8 v1, v[8:9], off
	s_mov_b32 s31, 0
	s_mov_b32 s30, exec_lo
	s_wait_loadcnt 0x0
	v_cmpx_lt_i16_e32 0x7f, v1
	s_xor_b32 s30, exec_lo, s30
	s_cbranch_execz .LBB71_905
; %bb.889:
	v_cmp_ne_u16_e32 vcc_lo, 0x80, v1
	s_and_b32 s31, vcc_lo, exec_lo
	s_and_not1_saveexec_b32 s30, s30
	s_cbranch_execnz .LBB71_906
.LBB71_890:
	s_or_b32 exec_lo, exec_lo, s30
	v_mov_b64_e32 v[4:5], 0
	s_and_saveexec_b32 s30, s31
	s_cbranch_execz .LBB71_892
.LBB71_891:
	v_and_b32_e32 v3, 0xffff, v1
	s_delay_alu instid0(VALU_DEP_1) | instskip(SKIP_1) | instid1(VALU_DEP_2)
	v_and_b32_e32 v4, 7, v3
	v_bfe_u32 v10, v3, 3, 4
	v_clz_i32_u32_e32 v5, v4
	s_delay_alu instid0(VALU_DEP_2) | instskip(NEXT) | instid1(VALU_DEP_2)
	v_cmp_eq_u32_e32 vcc_lo, 0, v10
	v_min_u32_e32 v5, 32, v5
	s_delay_alu instid0(VALU_DEP_1) | instskip(NEXT) | instid1(VALU_DEP_1)
	v_subrev_nc_u32_e32 v7, 28, v5
	v_dual_lshlrev_b32 v3, v7, v3 :: v_dual_sub_nc_u32 v5, 29, v5
	s_delay_alu instid0(VALU_DEP_1) | instskip(NEXT) | instid1(VALU_DEP_1)
	v_dual_lshlrev_b32 v1, 24, v1 :: v_dual_bitop2_b32 v3, 7, v3 bitop3:0x40
	v_dual_cndmask_b32 v3, v4, v3, vcc_lo :: v_dual_cndmask_b32 v5, v10, v5, vcc_lo
	s_delay_alu instid0(VALU_DEP_2) | instskip(NEXT) | instid1(VALU_DEP_2)
	v_and_b32_e32 v1, 0x80000000, v1
	v_lshlrev_b32_e32 v3, 20, v3
	s_delay_alu instid0(VALU_DEP_3) | instskip(NEXT) | instid1(VALU_DEP_1)
	v_lshl_add_u32 v4, v5, 23, 0x3b800000
	v_or3_b32 v1, v1, v4, v3
	s_delay_alu instid0(VALU_DEP_1) | instskip(NEXT) | instid1(VALU_DEP_1)
	v_trunc_f32_e32 v1, v1
	v_mul_f32_e64 v3, 0x2f800000, |v1|
	v_ashrrev_i32_e32 v4, 31, v1
	s_delay_alu instid0(VALU_DEP_2) | instskip(NEXT) | instid1(VALU_DEP_1)
	v_floor_f32_e32 v3, v3
	v_fma_f32 v5, 0xcf800000, v3, |v1|
	v_cvt_u32_f32_e32 v1, v3
	s_delay_alu instid0(VALU_DEP_2) | instskip(NEXT) | instid1(VALU_DEP_2)
	v_cvt_u32_f32_e32 v3, v5
	v_dual_mov_b32 v5, v4 :: v_dual_bitop2_b32 v11, v1, v4 bitop3:0x14
	s_delay_alu instid0(VALU_DEP_2) | instskip(NEXT) | instid1(VALU_DEP_1)
	v_xor_b32_e32 v10, v3, v4
	v_sub_nc_u64_e32 v[4:5], v[10:11], v[4:5]
.LBB71_892:
	s_or_b32 exec_lo, exec_lo, s30
.LBB71_893:
	s_mov_b32 s30, -1
.LBB71_894:
	s_mov_b32 s31, 0
.LBB71_895:
	s_delay_alu instid0(SALU_CYCLE_1)
	s_and_b32 vcc_lo, exec_lo, s31
	s_cbranch_vccz .LBB71_928
; %bb.896:
	s_cmp_gt_i32 s29, 22
	s_cbranch_scc0 .LBB71_904
; %bb.897:
	s_cmp_lt_i32 s29, 24
	s_cbranch_scc1 .LBB71_907
; %bb.898:
	s_cmp_gt_i32 s29, 24
	s_cbranch_scc0 .LBB71_908
; %bb.899:
	global_load_u8 v1, v[8:9], off
	s_mov_b32 s31, 0
	s_mov_b32 s30, exec_lo
	s_wait_loadcnt 0x0
	v_cmpx_lt_i16_e32 0x7f, v1
	s_xor_b32 s30, exec_lo, s30
	s_cbranch_execz .LBB71_920
; %bb.900:
	v_cmp_ne_u16_e32 vcc_lo, 0x80, v1
	s_and_b32 s31, vcc_lo, exec_lo
	s_and_not1_saveexec_b32 s30, s30
	s_cbranch_execnz .LBB71_921
.LBB71_901:
	s_or_b32 exec_lo, exec_lo, s30
	v_mov_b64_e32 v[4:5], 0
	s_and_saveexec_b32 s30, s31
	s_cbranch_execz .LBB71_903
.LBB71_902:
	v_and_b32_e32 v3, 0xffff, v1
	s_delay_alu instid0(VALU_DEP_1) | instskip(SKIP_1) | instid1(VALU_DEP_2)
	v_and_b32_e32 v4, 3, v3
	v_bfe_u32 v10, v3, 2, 5
	v_clz_i32_u32_e32 v5, v4
	s_delay_alu instid0(VALU_DEP_2) | instskip(NEXT) | instid1(VALU_DEP_2)
	v_cmp_eq_u32_e32 vcc_lo, 0, v10
	v_min_u32_e32 v5, 32, v5
	s_delay_alu instid0(VALU_DEP_1) | instskip(NEXT) | instid1(VALU_DEP_1)
	v_subrev_nc_u32_e32 v7, 29, v5
	v_dual_lshlrev_b32 v3, v7, v3 :: v_dual_sub_nc_u32 v5, 30, v5
	s_delay_alu instid0(VALU_DEP_1) | instskip(NEXT) | instid1(VALU_DEP_1)
	v_dual_lshlrev_b32 v1, 24, v1 :: v_dual_bitop2_b32 v3, 3, v3 bitop3:0x40
	v_dual_cndmask_b32 v3, v4, v3, vcc_lo :: v_dual_cndmask_b32 v5, v10, v5, vcc_lo
	s_delay_alu instid0(VALU_DEP_2) | instskip(NEXT) | instid1(VALU_DEP_2)
	v_and_b32_e32 v1, 0x80000000, v1
	v_lshlrev_b32_e32 v3, 21, v3
	s_delay_alu instid0(VALU_DEP_3) | instskip(NEXT) | instid1(VALU_DEP_1)
	v_lshl_add_u32 v4, v5, 23, 0x37800000
	v_or3_b32 v1, v1, v4, v3
	s_delay_alu instid0(VALU_DEP_1) | instskip(NEXT) | instid1(VALU_DEP_1)
	v_trunc_f32_e32 v1, v1
	v_mul_f32_e64 v3, 0x2f800000, |v1|
	v_ashrrev_i32_e32 v4, 31, v1
	s_delay_alu instid0(VALU_DEP_2) | instskip(NEXT) | instid1(VALU_DEP_1)
	v_floor_f32_e32 v3, v3
	v_fma_f32 v5, 0xcf800000, v3, |v1|
	v_cvt_u32_f32_e32 v1, v3
	s_delay_alu instid0(VALU_DEP_2) | instskip(NEXT) | instid1(VALU_DEP_2)
	v_cvt_u32_f32_e32 v3, v5
	v_dual_mov_b32 v5, v4 :: v_dual_bitop2_b32 v11, v1, v4 bitop3:0x14
	s_delay_alu instid0(VALU_DEP_2) | instskip(NEXT) | instid1(VALU_DEP_1)
	v_xor_b32_e32 v10, v3, v4
	v_sub_nc_u64_e32 v[4:5], v[10:11], v[4:5]
.LBB71_903:
	s_or_b32 exec_lo, exec_lo, s30
	s_mov_b32 s30, 0
	s_branch .LBB71_909
.LBB71_904:
	s_mov_b32 s31, -1
                                        ; implicit-def: $vgpr4_vgpr5
	s_branch .LBB71_915
.LBB71_905:
	s_and_not1_saveexec_b32 s30, s30
	s_cbranch_execz .LBB71_890
.LBB71_906:
	v_cmp_ne_u16_e32 vcc_lo, 0, v1
	s_and_not1_b32 s31, s31, exec_lo
	s_and_b32 s54, vcc_lo, exec_lo
	s_delay_alu instid0(SALU_CYCLE_1)
	s_or_b32 s31, s31, s54
	s_or_b32 exec_lo, exec_lo, s30
	v_mov_b64_e32 v[4:5], 0
	s_and_saveexec_b32 s30, s31
	s_cbranch_execnz .LBB71_891
	s_branch .LBB71_892
.LBB71_907:
	s_mov_b32 s30, -1
                                        ; implicit-def: $vgpr4_vgpr5
	s_branch .LBB71_912
.LBB71_908:
	s_mov_b32 s30, -1
                                        ; implicit-def: $vgpr4_vgpr5
.LBB71_909:
	s_delay_alu instid0(SALU_CYCLE_1)
	s_and_b32 vcc_lo, exec_lo, s30
	s_cbranch_vccz .LBB71_911
; %bb.910:
	global_load_u8 v1, v[8:9], off
	s_wait_loadcnt 0x0
	v_lshlrev_b32_e32 v1, 24, v1
	s_delay_alu instid0(VALU_DEP_1) | instskip(NEXT) | instid1(VALU_DEP_1)
	v_and_b32_e32 v3, 0x7f000000, v1
	v_clz_i32_u32_e32 v4, v3
	v_add_nc_u32_e32 v7, 0x1000000, v3
	v_cmp_ne_u32_e32 vcc_lo, 0, v3
	s_delay_alu instid0(VALU_DEP_3) | instskip(NEXT) | instid1(VALU_DEP_1)
	v_min_u32_e32 v4, 32, v4
	v_sub_nc_u32_e64 v4, v4, 4 clamp
	s_delay_alu instid0(VALU_DEP_1) | instskip(NEXT) | instid1(VALU_DEP_1)
	v_dual_lshlrev_b32 v5, v4, v3 :: v_dual_lshlrev_b32 v4, 23, v4
	v_lshrrev_b32_e32 v5, 4, v5
	s_delay_alu instid0(VALU_DEP_1) | instskip(NEXT) | instid1(VALU_DEP_1)
	v_dual_sub_nc_u32 v4, v5, v4 :: v_dual_ashrrev_i32 v5, 8, v7
	v_add_nc_u32_e32 v4, 0x3c000000, v4
	s_delay_alu instid0(VALU_DEP_1) | instskip(NEXT) | instid1(VALU_DEP_1)
	v_and_or_b32 v4, 0x7f800000, v5, v4
	v_cndmask_b32_e32 v3, 0, v4, vcc_lo
	s_delay_alu instid0(VALU_DEP_1) | instskip(NEXT) | instid1(VALU_DEP_1)
	v_and_or_b32 v1, 0x80000000, v1, v3
	v_trunc_f32_e32 v1, v1
	s_delay_alu instid0(VALU_DEP_1) | instskip(SKIP_1) | instid1(VALU_DEP_2)
	v_mul_f32_e64 v3, 0x2f800000, |v1|
	v_ashrrev_i32_e32 v4, 31, v1
	v_floor_f32_e32 v3, v3
	s_delay_alu instid0(VALU_DEP_1) | instskip(SKIP_1) | instid1(VALU_DEP_2)
	v_fma_f32 v5, 0xcf800000, v3, |v1|
	v_cvt_u32_f32_e32 v1, v3
	v_cvt_u32_f32_e32 v3, v5
	s_delay_alu instid0(VALU_DEP_2) | instskip(NEXT) | instid1(VALU_DEP_2)
	v_dual_mov_b32 v5, v4 :: v_dual_bitop2_b32 v11, v1, v4 bitop3:0x14
	v_xor_b32_e32 v10, v3, v4
	s_delay_alu instid0(VALU_DEP_1)
	v_sub_nc_u64_e32 v[4:5], v[10:11], v[4:5]
.LBB71_911:
	s_mov_b32 s30, 0
.LBB71_912:
	s_delay_alu instid0(SALU_CYCLE_1)
	s_and_not1_b32 vcc_lo, exec_lo, s30
	s_cbranch_vccnz .LBB71_914
; %bb.913:
	global_load_u8 v1, v[8:9], off
	s_wait_loadcnt 0x0
	v_lshlrev_b32_e32 v3, 25, v1
	v_lshlrev_b16 v1, 8, v1
	s_delay_alu instid0(VALU_DEP_1) | instskip(NEXT) | instid1(VALU_DEP_3)
	v_and_or_b32 v5, 0x7f00, v1, 0.5
	v_lshrrev_b32_e32 v4, 4, v3
	v_bfe_i32 v1, v1, 0, 16
	s_delay_alu instid0(VALU_DEP_3) | instskip(NEXT) | instid1(VALU_DEP_3)
	v_add_f32_e32 v5, -0.5, v5
	v_or_b32_e32 v4, 0x70000000, v4
	s_delay_alu instid0(VALU_DEP_1) | instskip(SKIP_1) | instid1(VALU_DEP_2)
	v_mul_f32_e32 v4, 0x7800000, v4
	v_cmp_gt_u32_e32 vcc_lo, 0x8000000, v3
	v_cndmask_b32_e32 v3, v4, v5, vcc_lo
	s_delay_alu instid0(VALU_DEP_1) | instskip(NEXT) | instid1(VALU_DEP_1)
	v_and_or_b32 v1, 0x80000000, v1, v3
	v_trunc_f32_e32 v1, v1
	s_delay_alu instid0(VALU_DEP_1) | instskip(SKIP_1) | instid1(VALU_DEP_2)
	v_mul_f32_e64 v3, 0x2f800000, |v1|
	v_ashrrev_i32_e32 v4, 31, v1
	v_floor_f32_e32 v3, v3
	s_delay_alu instid0(VALU_DEP_1) | instskip(SKIP_1) | instid1(VALU_DEP_2)
	v_fma_f32 v5, 0xcf800000, v3, |v1|
	v_cvt_u32_f32_e32 v1, v3
	v_cvt_u32_f32_e32 v3, v5
	s_delay_alu instid0(VALU_DEP_2) | instskip(NEXT) | instid1(VALU_DEP_2)
	v_dual_mov_b32 v5, v4 :: v_dual_bitop2_b32 v11, v1, v4 bitop3:0x14
	v_xor_b32_e32 v10, v3, v4
	s_delay_alu instid0(VALU_DEP_1)
	v_sub_nc_u64_e32 v[4:5], v[10:11], v[4:5]
.LBB71_914:
	s_mov_b32 s31, 0
	s_mov_b32 s30, -1
.LBB71_915:
	s_and_not1_b32 vcc_lo, exec_lo, s31
	s_cbranch_vccnz .LBB71_928
; %bb.916:
	s_cmp_gt_i32 s29, 14
	s_cbranch_scc0 .LBB71_919
; %bb.917:
	s_cmp_eq_u32 s29, 15
	s_cbranch_scc0 .LBB71_922
; %bb.918:
	global_load_u16 v1, v[8:9], off
	s_mov_b32 s30, -1
	s_mov_b32 s28, 0
	s_wait_loadcnt 0x0
	v_lshlrev_b32_e32 v1, 16, v1
	s_delay_alu instid0(VALU_DEP_1) | instskip(NEXT) | instid1(VALU_DEP_1)
	v_trunc_f32_e32 v1, v1
	v_mul_f32_e64 v3, 0x2f800000, |v1|
	v_ashrrev_i32_e32 v4, 31, v1
	s_delay_alu instid0(VALU_DEP_2) | instskip(NEXT) | instid1(VALU_DEP_1)
	v_floor_f32_e32 v3, v3
	v_fma_f32 v5, 0xcf800000, v3, |v1|
	v_cvt_u32_f32_e32 v1, v3
	s_delay_alu instid0(VALU_DEP_2) | instskip(NEXT) | instid1(VALU_DEP_2)
	v_cvt_u32_f32_e32 v3, v5
	v_dual_mov_b32 v5, v4 :: v_dual_bitop2_b32 v11, v1, v4 bitop3:0x14
	s_delay_alu instid0(VALU_DEP_2) | instskip(NEXT) | instid1(VALU_DEP_1)
	v_xor_b32_e32 v10, v3, v4
	v_sub_nc_u64_e32 v[4:5], v[10:11], v[4:5]
	s_branch .LBB71_923
.LBB71_919:
	s_mov_b32 s31, -1
                                        ; implicit-def: $vgpr4_vgpr5
	s_branch .LBB71_924
.LBB71_920:
	s_and_not1_saveexec_b32 s30, s30
	s_cbranch_execz .LBB71_901
.LBB71_921:
	v_cmp_ne_u16_e32 vcc_lo, 0, v1
	s_and_not1_b32 s31, s31, exec_lo
	s_and_b32 s54, vcc_lo, exec_lo
	s_delay_alu instid0(SALU_CYCLE_1)
	s_or_b32 s31, s31, s54
	s_or_b32 exec_lo, exec_lo, s30
	v_mov_b64_e32 v[4:5], 0
	s_and_saveexec_b32 s30, s31
	s_cbranch_execnz .LBB71_902
	s_branch .LBB71_903
.LBB71_922:
	s_mov_b32 s28, -1
                                        ; implicit-def: $vgpr4_vgpr5
.LBB71_923:
	s_mov_b32 s31, 0
.LBB71_924:
	s_delay_alu instid0(SALU_CYCLE_1)
	s_and_b32 vcc_lo, exec_lo, s31
	s_cbranch_vccz .LBB71_928
; %bb.925:
	s_cmp_eq_u32 s29, 11
	s_cbranch_scc0 .LBB71_927
; %bb.926:
	global_load_u8 v1, v[8:9], off
	s_mov_b32 s28, 0
	s_mov_b32 s30, -1
	s_wait_loadcnt 0x1
	v_mov_b32_e32 v5, s28
	s_wait_loadcnt 0x0
	v_cmp_ne_u16_e32 vcc_lo, 0, v1
	v_cndmask_b32_e64 v4, 0, 1, vcc_lo
	s_branch .LBB71_928
.LBB71_927:
	s_mov_b32 s28, -1
                                        ; implicit-def: $vgpr4_vgpr5
.LBB71_928:
	s_mov_b32 s29, 0
.LBB71_929:
	s_delay_alu instid0(SALU_CYCLE_1)
	s_and_b32 vcc_lo, exec_lo, s29
	s_cbranch_vccz .LBB71_978
; %bb.930:
	s_and_b32 s0, 0xffff, s0
	s_delay_alu instid0(SALU_CYCLE_1)
	s_cmp_lt_i32 s0, 5
	s_cbranch_scc1 .LBB71_935
; %bb.931:
	s_cmp_lt_i32 s0, 8
	s_cbranch_scc1 .LBB71_936
; %bb.932:
	;; [unrolled: 3-line block ×3, first 2 shown]
	s_cmp_gt_i32 s0, 9
	s_cbranch_scc0 .LBB71_938
; %bb.934:
	s_wait_loadcnt 0x0
	global_load_b64 v[4:5], v[8:9], off
	s_mov_b32 s29, 0
	s_wait_loadcnt 0x0
	v_trunc_f64_e32 v[4:5], v[4:5]
	s_delay_alu instid0(VALU_DEP_1) | instskip(NEXT) | instid1(VALU_DEP_1)
	v_ldexp_f64 v[10:11], v[4:5], 0xffffffe0
	v_floor_f64_e32 v[10:11], v[10:11]
	s_delay_alu instid0(VALU_DEP_1) | instskip(SKIP_1) | instid1(VALU_DEP_2)
	v_fmamk_f64 v[12:13], v[10:11], 0xc1f00000, v[4:5]
	v_cvt_i32_f64_e32 v5, v[10:11]
	v_cvt_u32_f64_e32 v4, v[12:13]
	s_branch .LBB71_939
.LBB71_935:
	s_mov_b32 s29, -1
                                        ; implicit-def: $vgpr4_vgpr5
	s_branch .LBB71_957
.LBB71_936:
	s_mov_b32 s29, -1
                                        ; implicit-def: $vgpr4_vgpr5
	s_branch .LBB71_945
.LBB71_937:
	s_mov_b32 s29, -1
                                        ; implicit-def: $vgpr4_vgpr5
	s_branch .LBB71_942
.LBB71_938:
	s_mov_b32 s29, -1
                                        ; implicit-def: $vgpr4_vgpr5
.LBB71_939:
	s_delay_alu instid0(SALU_CYCLE_1)
	s_and_not1_b32 vcc_lo, exec_lo, s29
	s_cbranch_vccnz .LBB71_941
; %bb.940:
	global_load_b32 v1, v[8:9], off
	s_wait_loadcnt 0x0
	v_trunc_f32_e32 v1, v1
	s_delay_alu instid0(VALU_DEP_1) | instskip(SKIP_1) | instid1(VALU_DEP_2)
	v_mul_f32_e64 v3, 0x2f800000, |v1|
	v_ashrrev_i32_e32 v4, 31, v1
	v_floor_f32_e32 v3, v3
	s_delay_alu instid0(VALU_DEP_1) | instskip(SKIP_1) | instid1(VALU_DEP_2)
	v_fma_f32 v5, 0xcf800000, v3, |v1|
	v_cvt_u32_f32_e32 v1, v3
	v_cvt_u32_f32_e32 v3, v5
	s_delay_alu instid0(VALU_DEP_2) | instskip(NEXT) | instid1(VALU_DEP_2)
	v_dual_mov_b32 v5, v4 :: v_dual_bitop2_b32 v11, v1, v4 bitop3:0x14
	v_xor_b32_e32 v10, v3, v4
	s_delay_alu instid0(VALU_DEP_1)
	v_sub_nc_u64_e32 v[4:5], v[10:11], v[4:5]
.LBB71_941:
	s_mov_b32 s29, 0
.LBB71_942:
	s_delay_alu instid0(SALU_CYCLE_1)
	s_and_not1_b32 vcc_lo, exec_lo, s29
	s_cbranch_vccnz .LBB71_944
; %bb.943:
	global_load_b32 v1, v[8:9], off
	s_wait_loadcnt 0x0
	v_cvt_f32_f16_e32 v1, v1
	s_delay_alu instid0(VALU_DEP_1) | instskip(NEXT) | instid1(VALU_DEP_1)
	v_cvt_i32_f32_e32 v4, v1
	v_ashrrev_i32_e32 v5, 31, v4
.LBB71_944:
	s_mov_b32 s29, 0
.LBB71_945:
	s_delay_alu instid0(SALU_CYCLE_1)
	s_and_not1_b32 vcc_lo, exec_lo, s29
	s_cbranch_vccnz .LBB71_956
; %bb.946:
	s_cmp_lt_i32 s0, 6
	s_cbranch_scc1 .LBB71_949
; %bb.947:
	s_cmp_gt_i32 s0, 6
	s_cbranch_scc0 .LBB71_950
; %bb.948:
	s_wait_loadcnt 0x0
	global_load_b64 v[4:5], v[8:9], off
	s_mov_b32 s29, 0
	s_wait_loadcnt 0x0
	v_trunc_f64_e32 v[4:5], v[4:5]
	s_delay_alu instid0(VALU_DEP_1) | instskip(NEXT) | instid1(VALU_DEP_1)
	v_ldexp_f64 v[10:11], v[4:5], 0xffffffe0
	v_floor_f64_e32 v[10:11], v[10:11]
	s_delay_alu instid0(VALU_DEP_1) | instskip(SKIP_1) | instid1(VALU_DEP_2)
	v_fmamk_f64 v[12:13], v[10:11], 0xc1f00000, v[4:5]
	v_cvt_i32_f64_e32 v5, v[10:11]
	v_cvt_u32_f64_e32 v4, v[12:13]
	s_branch .LBB71_951
.LBB71_949:
	s_mov_b32 s29, -1
                                        ; implicit-def: $vgpr4_vgpr5
	s_branch .LBB71_954
.LBB71_950:
	s_mov_b32 s29, -1
                                        ; implicit-def: $vgpr4_vgpr5
.LBB71_951:
	s_delay_alu instid0(SALU_CYCLE_1)
	s_and_not1_b32 vcc_lo, exec_lo, s29
	s_cbranch_vccnz .LBB71_953
; %bb.952:
	global_load_b32 v1, v[8:9], off
	s_wait_loadcnt 0x0
	v_trunc_f32_e32 v1, v1
	s_delay_alu instid0(VALU_DEP_1) | instskip(SKIP_1) | instid1(VALU_DEP_2)
	v_mul_f32_e64 v3, 0x2f800000, |v1|
	v_ashrrev_i32_e32 v4, 31, v1
	v_floor_f32_e32 v3, v3
	s_delay_alu instid0(VALU_DEP_1) | instskip(SKIP_1) | instid1(VALU_DEP_2)
	v_fma_f32 v5, 0xcf800000, v3, |v1|
	v_cvt_u32_f32_e32 v1, v3
	v_cvt_u32_f32_e32 v3, v5
	s_delay_alu instid0(VALU_DEP_2) | instskip(NEXT) | instid1(VALU_DEP_2)
	v_dual_mov_b32 v5, v4 :: v_dual_bitop2_b32 v11, v1, v4 bitop3:0x14
	v_xor_b32_e32 v10, v3, v4
	s_delay_alu instid0(VALU_DEP_1)
	v_sub_nc_u64_e32 v[4:5], v[10:11], v[4:5]
.LBB71_953:
	s_mov_b32 s29, 0
.LBB71_954:
	s_delay_alu instid0(SALU_CYCLE_1)
	s_and_not1_b32 vcc_lo, exec_lo, s29
	s_cbranch_vccnz .LBB71_956
; %bb.955:
	global_load_u16 v1, v[8:9], off
	s_wait_loadcnt 0x0
	v_cvt_f32_f16_e32 v1, v1
	s_delay_alu instid0(VALU_DEP_1) | instskip(NEXT) | instid1(VALU_DEP_1)
	v_cvt_i32_f32_e32 v4, v1
	v_ashrrev_i32_e32 v5, 31, v4
.LBB71_956:
	s_mov_b32 s29, 0
.LBB71_957:
	s_delay_alu instid0(SALU_CYCLE_1)
	s_and_not1_b32 vcc_lo, exec_lo, s29
	s_cbranch_vccnz .LBB71_977
; %bb.958:
	s_cmp_lt_i32 s0, 2
	s_cbranch_scc1 .LBB71_962
; %bb.959:
	s_cmp_lt_i32 s0, 3
	s_cbranch_scc1 .LBB71_963
; %bb.960:
	s_cmp_gt_i32 s0, 3
	s_cbranch_scc0 .LBB71_964
; %bb.961:
	s_wait_loadcnt 0x0
	global_load_b64 v[4:5], v[8:9], off
	s_mov_b32 s29, 0
	s_branch .LBB71_965
.LBB71_962:
	s_mov_b32 s29, -1
                                        ; implicit-def: $vgpr4_vgpr5
	s_branch .LBB71_971
.LBB71_963:
	s_mov_b32 s29, -1
                                        ; implicit-def: $vgpr4_vgpr5
	s_branch .LBB71_968
.LBB71_964:
	s_mov_b32 s29, -1
                                        ; implicit-def: $vgpr4_vgpr5
.LBB71_965:
	s_delay_alu instid0(SALU_CYCLE_1)
	s_and_not1_b32 vcc_lo, exec_lo, s29
	s_cbranch_vccnz .LBB71_967
; %bb.966:
	s_wait_loadcnt 0x0
	global_load_b32 v4, v[8:9], off
	s_wait_loadcnt 0x0
	v_ashrrev_i32_e32 v5, 31, v4
.LBB71_967:
	s_mov_b32 s29, 0
.LBB71_968:
	s_delay_alu instid0(SALU_CYCLE_1)
	s_and_not1_b32 vcc_lo, exec_lo, s29
	s_cbranch_vccnz .LBB71_970
; %bb.969:
	global_load_u16 v1, v[8:9], off
	s_wait_loadcnt 0x0
	v_bfe_i32 v4, v1, 0, 16
	s_delay_alu instid0(VALU_DEP_1)
	v_ashrrev_i32_e32 v5, 31, v4
.LBB71_970:
	s_mov_b32 s29, 0
.LBB71_971:
	s_delay_alu instid0(SALU_CYCLE_1)
	s_and_not1_b32 vcc_lo, exec_lo, s29
	s_cbranch_vccnz .LBB71_977
; %bb.972:
	s_cmp_gt_i32 s0, 0
	s_mov_b32 s0, 0
	s_cbranch_scc0 .LBB71_974
; %bb.973:
	global_load_i8 v1, v[8:9], off
	s_wait_loadcnt 0x0
	v_bfe_i32 v4, v1, 0, 16
	s_delay_alu instid0(VALU_DEP_1)
	v_ashrrev_i32_e32 v5, 31, v4
	s_branch .LBB71_975
.LBB71_974:
	s_mov_b32 s0, -1
                                        ; implicit-def: $vgpr4_vgpr5
.LBB71_975:
	s_delay_alu instid0(SALU_CYCLE_1)
	s_and_not1_b32 vcc_lo, exec_lo, s0
	s_cbranch_vccnz .LBB71_977
; %bb.976:
	global_load_u8 v1, v[8:9], off
	s_mov_b32 s0, 0
	s_wait_loadcnt 0x1
	v_mov_b32_e32 v5, s0
	s_wait_loadcnt 0x0
	v_and_b32_e32 v4, 0xffff, v1
.LBB71_977:
	s_mov_b32 s30, -1
.LBB71_978:
	s_mov_b32 s29, 0
	s_mov_b32 s0, s49
	s_and_not1_b32 vcc_lo, exec_lo, s30
	s_mov_b32 s30, s50
	s_mov_b32 s31, 0
	s_cbranch_vccnz .LBB71_1229
; %bb.979:
	v_mov_b32_e32 v7, 0
	s_and_b32 s0, 0xffff, s9
	s_delay_alu instid0(SALU_CYCLE_1) | instskip(NEXT) | instid1(VALU_DEP_1)
	s_cmp_lt_i32 s0, 11
	v_add_nc_u64_e32 v[6:7], s[6:7], v[6:7]
	s_cbranch_scc1 .LBB71_986
; %bb.980:
	s_cmp_gt_i32 s0, 25
	s_cbranch_scc0 .LBB71_987
; %bb.981:
	s_cmp_gt_i32 s0, 28
	s_cbranch_scc0 .LBB71_988
	;; [unrolled: 3-line block ×4, first 2 shown]
; %bb.984:
	s_cmp_eq_u32 s0, 46
	s_mov_b32 s54, 0
	s_cbranch_scc0 .LBB71_993
; %bb.985:
	global_load_b32 v1, v[6:7], off
	s_mov_b32 s31, -1
	s_mov_b32 s30, 0
	s_wait_loadcnt 0x0
	v_lshlrev_b32_e32 v1, 16, v1
	s_delay_alu instid0(VALU_DEP_1) | instskip(NEXT) | instid1(VALU_DEP_1)
	v_trunc_f32_e32 v1, v1
	v_mul_f32_e64 v3, 0x2f800000, |v1|
	s_wait_xcnt 0x1
	v_ashrrev_i32_e32 v8, 31, v1
	s_delay_alu instid0(VALU_DEP_2) | instskip(NEXT) | instid1(VALU_DEP_1)
	v_floor_f32_e32 v3, v3
	v_fma_f32 v9, 0xcf800000, v3, |v1|
	v_cvt_u32_f32_e32 v1, v3
	s_delay_alu instid0(VALU_DEP_2) | instskip(NEXT) | instid1(VALU_DEP_2)
	v_cvt_u32_f32_e32 v3, v9
	v_dual_mov_b32 v9, v8 :: v_dual_bitop2_b32 v11, v1, v8 bitop3:0x14
	s_delay_alu instid0(VALU_DEP_2) | instskip(NEXT) | instid1(VALU_DEP_1)
	v_xor_b32_e32 v10, v3, v8
	v_sub_nc_u64_e32 v[8:9], v[10:11], v[8:9]
	s_branch .LBB71_995
.LBB71_986:
	s_mov_b32 s54, -1
	s_mov_b32 s30, s50
                                        ; implicit-def: $vgpr8_vgpr9
	s_branch .LBB71_1056
.LBB71_987:
	s_mov_b32 s54, -1
	s_mov_b32 s30, s50
                                        ; implicit-def: $vgpr8_vgpr9
	s_branch .LBB71_1022
.LBB71_988:
	s_mov_b32 s54, -1
	s_mov_b32 s30, s50
                                        ; implicit-def: $vgpr8_vgpr9
	s_branch .LBB71_1005
.LBB71_989:
	s_mov_b32 s54, -1
	s_mov_b32 s30, s50
                                        ; implicit-def: $vgpr8_vgpr9
	s_branch .LBB71_1000
.LBB71_990:
	s_mov_b32 s54, -1
	s_mov_b32 s30, s50
	s_branch .LBB71_994
.LBB71_991:
	s_and_not1_saveexec_b32 s51, s51
	s_cbranch_execz .LBB71_739
.LBB71_992:
	v_add_f32_e64 v6, 0x42800000, |v1|
	s_and_not1_b32 s50, s50, exec_lo
	s_delay_alu instid0(VALU_DEP_1) | instskip(NEXT) | instid1(VALU_DEP_1)
	v_and_b32_e32 v6, 0xff, v6
	v_cmp_ne_u32_e32 vcc_lo, 0, v6
	s_and_b32 s53, vcc_lo, exec_lo
	s_delay_alu instid0(SALU_CYCLE_1)
	s_or_b32 s50, s50, s53
	s_or_b32 exec_lo, exec_lo, s51
	v_mov_b32_e32 v7, 0
	s_and_saveexec_b32 s51, s50
	s_cbranch_execnz .LBB71_740
	s_branch .LBB71_741
.LBB71_993:
	s_mov_b32 s30, -1
.LBB71_994:
                                        ; implicit-def: $vgpr8_vgpr9
.LBB71_995:
	s_and_b32 vcc_lo, exec_lo, s54
	s_cbranch_vccz .LBB71_999
; %bb.996:
	s_cmp_eq_u32 s0, 44
	s_cbranch_scc0 .LBB71_998
; %bb.997:
	global_load_u8 v1, v[6:7], off
	s_mov_b32 s30, 0
	s_mov_b32 s31, -1
	s_wait_loadcnt 0x0
	v_lshlrev_b32_e32 v3, 23, v1
	v_cmp_ne_u32_e32 vcc_lo, 0, v1
	s_delay_alu instid0(VALU_DEP_2) | instskip(SKIP_1) | instid1(VALU_DEP_1)
	v_trunc_f32_e32 v3, v3
	s_wait_xcnt 0x1
	v_mul_f32_e64 v8, 0x2f800000, |v3|
	s_delay_alu instid0(VALU_DEP_1) | instskip(SKIP_1) | instid1(VALU_DEP_2)
	v_floor_f32_e32 v9, v8
	v_ashrrev_i32_e32 v8, 31, v3
	v_fma_f32 v10, 0xcf800000, v9, |v3|
	v_cvt_u32_f32_e32 v3, v9
	s_delay_alu instid0(VALU_DEP_3) | instskip(NEXT) | instid1(VALU_DEP_3)
	v_mov_b32_e32 v9, v8
	v_cvt_u32_f32_e32 v10, v10
	s_delay_alu instid0(VALU_DEP_3) | instskip(NEXT) | instid1(VALU_DEP_2)
	v_xor_b32_e32 v11, v3, v8
	v_xor_b32_e32 v10, v10, v8
	s_delay_alu instid0(VALU_DEP_1) | instskip(NEXT) | instid1(VALU_DEP_1)
	v_sub_nc_u64_e32 v[8:9], v[10:11], v[8:9]
	v_dual_cndmask_b32 v9, 0, v9 :: v_dual_cndmask_b32 v8, 0, v8
	s_branch .LBB71_999
.LBB71_998:
	s_mov_b32 s30, -1
                                        ; implicit-def: $vgpr8_vgpr9
.LBB71_999:
	s_mov_b32 s54, 0
.LBB71_1000:
	s_delay_alu instid0(SALU_CYCLE_1)
	s_and_b32 vcc_lo, exec_lo, s54
	s_cbranch_vccz .LBB71_1004
; %bb.1001:
	s_cmp_eq_u32 s0, 29
	s_cbranch_scc0 .LBB71_1003
; %bb.1002:
	global_load_b64 v[8:9], v[6:7], off
	s_mov_b32 s31, -1
	s_mov_b32 s30, 0
	s_branch .LBB71_1004
.LBB71_1003:
	s_mov_b32 s30, -1
                                        ; implicit-def: $vgpr8_vgpr9
.LBB71_1004:
	s_mov_b32 s54, 0
.LBB71_1005:
	s_delay_alu instid0(SALU_CYCLE_1)
	s_and_b32 vcc_lo, exec_lo, s54
	s_cbranch_vccz .LBB71_1021
; %bb.1006:
	s_cmp_lt_i32 s0, 27
	s_cbranch_scc1 .LBB71_1009
; %bb.1007:
	s_cmp_gt_i32 s0, 27
	s_cbranch_scc0 .LBB71_1010
; %bb.1008:
	s_wait_loadcnt 0x0
	global_load_b32 v8, v[6:7], off
	v_mov_b32_e32 v9, 0
	s_mov_b32 s31, 0
	s_branch .LBB71_1011
.LBB71_1009:
	s_mov_b32 s31, -1
                                        ; implicit-def: $vgpr8_vgpr9
	s_branch .LBB71_1014
.LBB71_1010:
	s_mov_b32 s31, -1
                                        ; implicit-def: $vgpr8_vgpr9
.LBB71_1011:
	s_delay_alu instid0(SALU_CYCLE_1)
	s_and_not1_b32 vcc_lo, exec_lo, s31
	s_cbranch_vccnz .LBB71_1013
; %bb.1012:
	global_load_u16 v1, v[6:7], off
	s_mov_b32 s31, 0
	s_wait_loadcnt 0x1
	s_wait_xcnt 0x1
	v_mov_b32_e32 v9, s31
	s_wait_loadcnt 0x0
	v_and_b32_e32 v8, 0xffff, v1
.LBB71_1013:
	s_mov_b32 s31, 0
.LBB71_1014:
	s_delay_alu instid0(SALU_CYCLE_1)
	s_and_not1_b32 vcc_lo, exec_lo, s31
	s_cbranch_vccnz .LBB71_1020
; %bb.1015:
	global_load_u8 v1, v[6:7], off
	s_mov_b32 s54, 0
	s_mov_b32 s31, exec_lo
	s_wait_loadcnt 0x0
	v_cmpx_lt_i16_e32 0x7f, v1
	s_xor_b32 s31, exec_lo, s31
	s_cbranch_execz .LBB71_1032
; %bb.1016:
	v_cmp_ne_u16_e32 vcc_lo, 0x80, v1
	s_and_b32 s54, vcc_lo, exec_lo
	s_and_not1_saveexec_b32 s31, s31
	s_cbranch_execnz .LBB71_1033
.LBB71_1017:
	s_or_b32 exec_lo, exec_lo, s31
	v_mov_b64_e32 v[8:9], 0
	s_and_saveexec_b32 s31, s54
	s_cbranch_execz .LBB71_1019
.LBB71_1018:
	v_and_b32_e32 v3, 0xffff, v1
	s_delay_alu instid0(VALU_DEP_1) | instskip(SKIP_1) | instid1(VALU_DEP_2)
	v_and_b32_e32 v8, 7, v3
	v_bfe_u32 v11, v3, 3, 4
	v_clz_i32_u32_e32 v9, v8
	s_delay_alu instid0(VALU_DEP_2) | instskip(NEXT) | instid1(VALU_DEP_2)
	v_cmp_eq_u32_e32 vcc_lo, 0, v11
	v_min_u32_e32 v9, 32, v9
	s_delay_alu instid0(VALU_DEP_1) | instskip(NEXT) | instid1(VALU_DEP_1)
	v_subrev_nc_u32_e32 v10, 28, v9
	v_dual_lshlrev_b32 v3, v10, v3 :: v_dual_sub_nc_u32 v9, 29, v9
	s_delay_alu instid0(VALU_DEP_1) | instskip(NEXT) | instid1(VALU_DEP_1)
	v_dual_lshlrev_b32 v1, 24, v1 :: v_dual_bitop2_b32 v3, 7, v3 bitop3:0x40
	v_dual_cndmask_b32 v3, v8, v3, vcc_lo :: v_dual_cndmask_b32 v9, v11, v9, vcc_lo
	s_delay_alu instid0(VALU_DEP_2) | instskip(NEXT) | instid1(VALU_DEP_2)
	v_and_b32_e32 v1, 0x80000000, v1
	v_lshlrev_b32_e32 v3, 20, v3
	s_delay_alu instid0(VALU_DEP_3) | instskip(NEXT) | instid1(VALU_DEP_1)
	v_lshl_add_u32 v8, v9, 23, 0x3b800000
	v_or3_b32 v1, v1, v8, v3
	s_delay_alu instid0(VALU_DEP_1) | instskip(NEXT) | instid1(VALU_DEP_1)
	v_trunc_f32_e32 v1, v1
	v_mul_f32_e64 v3, 0x2f800000, |v1|
	v_ashrrev_i32_e32 v8, 31, v1
	s_delay_alu instid0(VALU_DEP_2) | instskip(NEXT) | instid1(VALU_DEP_1)
	v_floor_f32_e32 v3, v3
	v_fma_f32 v9, 0xcf800000, v3, |v1|
	v_cvt_u32_f32_e32 v1, v3
	s_delay_alu instid0(VALU_DEP_2) | instskip(NEXT) | instid1(VALU_DEP_2)
	v_cvt_u32_f32_e32 v3, v9
	v_dual_mov_b32 v9, v8 :: v_dual_bitop2_b32 v11, v1, v8 bitop3:0x14
	s_delay_alu instid0(VALU_DEP_2) | instskip(NEXT) | instid1(VALU_DEP_1)
	v_xor_b32_e32 v10, v3, v8
	v_sub_nc_u64_e32 v[8:9], v[10:11], v[8:9]
.LBB71_1019:
	s_or_b32 exec_lo, exec_lo, s31
.LBB71_1020:
	s_mov_b32 s31, -1
.LBB71_1021:
	s_mov_b32 s54, 0
.LBB71_1022:
	s_delay_alu instid0(SALU_CYCLE_1)
	s_and_b32 vcc_lo, exec_lo, s54
	s_cbranch_vccz .LBB71_1055
; %bb.1023:
	s_cmp_gt_i32 s0, 22
	s_cbranch_scc0 .LBB71_1031
; %bb.1024:
	s_cmp_lt_i32 s0, 24
	s_cbranch_scc1 .LBB71_1034
; %bb.1025:
	s_cmp_gt_i32 s0, 24
	s_cbranch_scc0 .LBB71_1035
; %bb.1026:
	global_load_u8 v1, v[6:7], off
	s_mov_b32 s54, 0
	s_mov_b32 s31, exec_lo
	s_wait_loadcnt 0x0
	v_cmpx_lt_i16_e32 0x7f, v1
	s_xor_b32 s31, exec_lo, s31
	s_cbranch_execz .LBB71_1047
; %bb.1027:
	v_cmp_ne_u16_e32 vcc_lo, 0x80, v1
	s_and_b32 s54, vcc_lo, exec_lo
	s_and_not1_saveexec_b32 s31, s31
	s_cbranch_execnz .LBB71_1048
.LBB71_1028:
	s_or_b32 exec_lo, exec_lo, s31
	v_mov_b64_e32 v[8:9], 0
	s_and_saveexec_b32 s31, s54
	s_cbranch_execz .LBB71_1030
.LBB71_1029:
	v_and_b32_e32 v3, 0xffff, v1
	s_delay_alu instid0(VALU_DEP_1) | instskip(SKIP_1) | instid1(VALU_DEP_2)
	v_and_b32_e32 v8, 3, v3
	v_bfe_u32 v11, v3, 2, 5
	v_clz_i32_u32_e32 v9, v8
	s_delay_alu instid0(VALU_DEP_2) | instskip(NEXT) | instid1(VALU_DEP_2)
	v_cmp_eq_u32_e32 vcc_lo, 0, v11
	v_min_u32_e32 v9, 32, v9
	s_delay_alu instid0(VALU_DEP_1) | instskip(NEXT) | instid1(VALU_DEP_1)
	v_subrev_nc_u32_e32 v10, 29, v9
	v_dual_lshlrev_b32 v3, v10, v3 :: v_dual_sub_nc_u32 v9, 30, v9
	s_delay_alu instid0(VALU_DEP_1) | instskip(NEXT) | instid1(VALU_DEP_1)
	v_dual_lshlrev_b32 v1, 24, v1 :: v_dual_bitop2_b32 v3, 3, v3 bitop3:0x40
	v_dual_cndmask_b32 v3, v8, v3, vcc_lo :: v_dual_cndmask_b32 v9, v11, v9, vcc_lo
	s_delay_alu instid0(VALU_DEP_2) | instskip(NEXT) | instid1(VALU_DEP_2)
	v_and_b32_e32 v1, 0x80000000, v1
	v_lshlrev_b32_e32 v3, 21, v3
	s_delay_alu instid0(VALU_DEP_3) | instskip(NEXT) | instid1(VALU_DEP_1)
	v_lshl_add_u32 v8, v9, 23, 0x37800000
	v_or3_b32 v1, v1, v8, v3
	s_delay_alu instid0(VALU_DEP_1) | instskip(NEXT) | instid1(VALU_DEP_1)
	v_trunc_f32_e32 v1, v1
	v_mul_f32_e64 v3, 0x2f800000, |v1|
	v_ashrrev_i32_e32 v8, 31, v1
	s_delay_alu instid0(VALU_DEP_2) | instskip(NEXT) | instid1(VALU_DEP_1)
	v_floor_f32_e32 v3, v3
	v_fma_f32 v9, 0xcf800000, v3, |v1|
	v_cvt_u32_f32_e32 v1, v3
	s_delay_alu instid0(VALU_DEP_2) | instskip(NEXT) | instid1(VALU_DEP_2)
	v_cvt_u32_f32_e32 v3, v9
	v_dual_mov_b32 v9, v8 :: v_dual_bitop2_b32 v11, v1, v8 bitop3:0x14
	s_delay_alu instid0(VALU_DEP_2) | instskip(NEXT) | instid1(VALU_DEP_1)
	v_xor_b32_e32 v10, v3, v8
	v_sub_nc_u64_e32 v[8:9], v[10:11], v[8:9]
.LBB71_1030:
	s_or_b32 exec_lo, exec_lo, s31
	s_mov_b32 s31, 0
	s_branch .LBB71_1036
.LBB71_1031:
	s_mov_b32 s54, -1
                                        ; implicit-def: $vgpr8_vgpr9
	s_branch .LBB71_1042
.LBB71_1032:
	s_and_not1_saveexec_b32 s31, s31
	s_cbranch_execz .LBB71_1017
.LBB71_1033:
	v_cmp_ne_u16_e32 vcc_lo, 0, v1
	s_and_not1_b32 s54, s54, exec_lo
	s_and_b32 s55, vcc_lo, exec_lo
	s_delay_alu instid0(SALU_CYCLE_1)
	s_or_b32 s54, s54, s55
	s_or_b32 exec_lo, exec_lo, s31
	v_mov_b64_e32 v[8:9], 0
	s_and_saveexec_b32 s31, s54
	s_cbranch_execnz .LBB71_1018
	s_branch .LBB71_1019
.LBB71_1034:
	s_mov_b32 s31, -1
                                        ; implicit-def: $vgpr8_vgpr9
	s_branch .LBB71_1039
.LBB71_1035:
	s_mov_b32 s31, -1
                                        ; implicit-def: $vgpr8_vgpr9
.LBB71_1036:
	s_delay_alu instid0(SALU_CYCLE_1)
	s_and_b32 vcc_lo, exec_lo, s31
	s_cbranch_vccz .LBB71_1038
; %bb.1037:
	global_load_u8 v1, v[6:7], off
	s_wait_loadcnt 0x0
	v_lshlrev_b32_e32 v1, 24, v1
	s_delay_alu instid0(VALU_DEP_1) | instskip(SKIP_1) | instid1(VALU_DEP_1)
	v_and_b32_e32 v3, 0x7f000000, v1
	s_wait_xcnt 0x1
	v_clz_i32_u32_e32 v8, v3
	v_cmp_ne_u32_e32 vcc_lo, 0, v3
	v_add_nc_u32_e32 v10, 0x1000000, v3
	s_delay_alu instid0(VALU_DEP_3) | instskip(NEXT) | instid1(VALU_DEP_1)
	v_min_u32_e32 v8, 32, v8
	v_sub_nc_u32_e64 v8, v8, 4 clamp
	s_delay_alu instid0(VALU_DEP_1) | instskip(NEXT) | instid1(VALU_DEP_1)
	v_dual_lshlrev_b32 v9, v8, v3 :: v_dual_lshlrev_b32 v8, 23, v8
	v_lshrrev_b32_e32 v9, 4, v9
	s_delay_alu instid0(VALU_DEP_1) | instskip(NEXT) | instid1(VALU_DEP_1)
	v_dual_sub_nc_u32 v8, v9, v8 :: v_dual_ashrrev_i32 v9, 8, v10
	v_add_nc_u32_e32 v8, 0x3c000000, v8
	s_delay_alu instid0(VALU_DEP_1) | instskip(NEXT) | instid1(VALU_DEP_1)
	v_and_or_b32 v8, 0x7f800000, v9, v8
	v_cndmask_b32_e32 v3, 0, v8, vcc_lo
	s_delay_alu instid0(VALU_DEP_1) | instskip(NEXT) | instid1(VALU_DEP_1)
	v_and_or_b32 v1, 0x80000000, v1, v3
	v_trunc_f32_e32 v1, v1
	s_delay_alu instid0(VALU_DEP_1) | instskip(SKIP_1) | instid1(VALU_DEP_2)
	v_mul_f32_e64 v3, 0x2f800000, |v1|
	v_ashrrev_i32_e32 v8, 31, v1
	v_floor_f32_e32 v3, v3
	s_delay_alu instid0(VALU_DEP_1) | instskip(SKIP_1) | instid1(VALU_DEP_2)
	v_fma_f32 v9, 0xcf800000, v3, |v1|
	v_cvt_u32_f32_e32 v1, v3
	v_cvt_u32_f32_e32 v3, v9
	s_delay_alu instid0(VALU_DEP_2) | instskip(NEXT) | instid1(VALU_DEP_2)
	v_dual_mov_b32 v9, v8 :: v_dual_bitop2_b32 v11, v1, v8 bitop3:0x14
	v_xor_b32_e32 v10, v3, v8
	s_delay_alu instid0(VALU_DEP_1)
	v_sub_nc_u64_e32 v[8:9], v[10:11], v[8:9]
.LBB71_1038:
	s_mov_b32 s31, 0
.LBB71_1039:
	s_delay_alu instid0(SALU_CYCLE_1)
	s_and_not1_b32 vcc_lo, exec_lo, s31
	s_cbranch_vccnz .LBB71_1041
; %bb.1040:
	global_load_u8 v1, v[6:7], off
	s_wait_loadcnt 0x0
	v_lshlrev_b32_e32 v3, 25, v1
	v_lshlrev_b16 v1, 8, v1
	s_wait_xcnt 0x1
	s_delay_alu instid0(VALU_DEP_1) | instskip(NEXT) | instid1(VALU_DEP_3)
	v_and_or_b32 v9, 0x7f00, v1, 0.5
	v_lshrrev_b32_e32 v8, 4, v3
	v_bfe_i32 v1, v1, 0, 16
	s_delay_alu instid0(VALU_DEP_3) | instskip(NEXT) | instid1(VALU_DEP_3)
	v_add_f32_e32 v9, -0.5, v9
	v_or_b32_e32 v8, 0x70000000, v8
	s_delay_alu instid0(VALU_DEP_1) | instskip(SKIP_1) | instid1(VALU_DEP_2)
	v_mul_f32_e32 v8, 0x7800000, v8
	v_cmp_gt_u32_e32 vcc_lo, 0x8000000, v3
	v_cndmask_b32_e32 v3, v8, v9, vcc_lo
	s_delay_alu instid0(VALU_DEP_1) | instskip(NEXT) | instid1(VALU_DEP_1)
	v_and_or_b32 v1, 0x80000000, v1, v3
	v_trunc_f32_e32 v1, v1
	s_delay_alu instid0(VALU_DEP_1) | instskip(SKIP_1) | instid1(VALU_DEP_2)
	v_mul_f32_e64 v3, 0x2f800000, |v1|
	v_ashrrev_i32_e32 v8, 31, v1
	v_floor_f32_e32 v3, v3
	s_delay_alu instid0(VALU_DEP_1) | instskip(SKIP_1) | instid1(VALU_DEP_2)
	v_fma_f32 v9, 0xcf800000, v3, |v1|
	v_cvt_u32_f32_e32 v1, v3
	v_cvt_u32_f32_e32 v3, v9
	s_delay_alu instid0(VALU_DEP_2) | instskip(NEXT) | instid1(VALU_DEP_2)
	v_dual_mov_b32 v9, v8 :: v_dual_bitop2_b32 v11, v1, v8 bitop3:0x14
	v_xor_b32_e32 v10, v3, v8
	s_delay_alu instid0(VALU_DEP_1)
	v_sub_nc_u64_e32 v[8:9], v[10:11], v[8:9]
.LBB71_1041:
	s_mov_b32 s54, 0
	s_mov_b32 s31, -1
.LBB71_1042:
	s_and_not1_b32 vcc_lo, exec_lo, s54
	s_cbranch_vccnz .LBB71_1055
; %bb.1043:
	s_cmp_gt_i32 s0, 14
	s_cbranch_scc0 .LBB71_1046
; %bb.1044:
	s_cmp_eq_u32 s0, 15
	s_cbranch_scc0 .LBB71_1049
; %bb.1045:
	global_load_u16 v1, v[6:7], off
	s_mov_b32 s31, -1
	s_mov_b32 s30, 0
	s_wait_loadcnt 0x0
	v_lshlrev_b32_e32 v1, 16, v1
	s_delay_alu instid0(VALU_DEP_1) | instskip(NEXT) | instid1(VALU_DEP_1)
	v_trunc_f32_e32 v1, v1
	v_mul_f32_e64 v3, 0x2f800000, |v1|
	s_wait_xcnt 0x1
	v_ashrrev_i32_e32 v8, 31, v1
	s_delay_alu instid0(VALU_DEP_2) | instskip(NEXT) | instid1(VALU_DEP_1)
	v_floor_f32_e32 v3, v3
	v_fma_f32 v9, 0xcf800000, v3, |v1|
	v_cvt_u32_f32_e32 v1, v3
	s_delay_alu instid0(VALU_DEP_2) | instskip(NEXT) | instid1(VALU_DEP_2)
	v_cvt_u32_f32_e32 v3, v9
	v_dual_mov_b32 v9, v8 :: v_dual_bitop2_b32 v11, v1, v8 bitop3:0x14
	s_delay_alu instid0(VALU_DEP_2) | instskip(NEXT) | instid1(VALU_DEP_1)
	v_xor_b32_e32 v10, v3, v8
	v_sub_nc_u64_e32 v[8:9], v[10:11], v[8:9]
	s_branch .LBB71_1050
.LBB71_1046:
	s_mov_b32 s54, -1
                                        ; implicit-def: $vgpr8_vgpr9
	s_branch .LBB71_1051
.LBB71_1047:
	s_and_not1_saveexec_b32 s31, s31
	s_cbranch_execz .LBB71_1028
.LBB71_1048:
	v_cmp_ne_u16_e32 vcc_lo, 0, v1
	s_and_not1_b32 s54, s54, exec_lo
	s_and_b32 s55, vcc_lo, exec_lo
	s_delay_alu instid0(SALU_CYCLE_1)
	s_or_b32 s54, s54, s55
	s_or_b32 exec_lo, exec_lo, s31
	v_mov_b64_e32 v[8:9], 0
	s_and_saveexec_b32 s31, s54
	s_cbranch_execnz .LBB71_1029
	s_branch .LBB71_1030
.LBB71_1049:
	s_mov_b32 s30, -1
                                        ; implicit-def: $vgpr8_vgpr9
.LBB71_1050:
	s_mov_b32 s54, 0
.LBB71_1051:
	s_delay_alu instid0(SALU_CYCLE_1)
	s_and_b32 vcc_lo, exec_lo, s54
	s_cbranch_vccz .LBB71_1055
; %bb.1052:
	s_cmp_eq_u32 s0, 11
	s_cbranch_scc0 .LBB71_1054
; %bb.1053:
	global_load_u8 v1, v[6:7], off
	s_mov_b32 s30, 0
	s_mov_b32 s31, -1
	s_wait_loadcnt 0x1
	s_wait_xcnt 0x1
	v_mov_b32_e32 v9, s30
	s_wait_loadcnt 0x0
	v_cmp_ne_u16_e32 vcc_lo, 0, v1
	v_cndmask_b32_e64 v8, 0, 1, vcc_lo
	s_branch .LBB71_1055
.LBB71_1054:
	s_mov_b32 s30, -1
                                        ; implicit-def: $vgpr8_vgpr9
.LBB71_1055:
	s_mov_b32 s54, 0
.LBB71_1056:
	s_delay_alu instid0(SALU_CYCLE_1)
	s_and_b32 vcc_lo, exec_lo, s54
	s_cbranch_vccz .LBB71_1105
; %bb.1057:
	s_cmp_lt_i32 s0, 5
	s_cbranch_scc1 .LBB71_1062
; %bb.1058:
	s_cmp_lt_i32 s0, 8
	s_cbranch_scc1 .LBB71_1063
	;; [unrolled: 3-line block ×3, first 2 shown]
; %bb.1060:
	s_cmp_gt_i32 s0, 9
	s_cbranch_scc0 .LBB71_1065
; %bb.1061:
	s_wait_loadcnt 0x0
	global_load_b64 v[8:9], v[6:7], off
	s_mov_b32 s31, 0
	s_wait_loadcnt 0x0
	v_trunc_f64_e32 v[8:9], v[8:9]
	s_delay_alu instid0(VALU_DEP_1) | instskip(NEXT) | instid1(VALU_DEP_1)
	v_ldexp_f64 v[10:11], v[8:9], 0xffffffe0
	v_floor_f64_e32 v[10:11], v[10:11]
	s_delay_alu instid0(VALU_DEP_1) | instskip(SKIP_1) | instid1(VALU_DEP_2)
	v_fmamk_f64 v[12:13], v[10:11], 0xc1f00000, v[8:9]
	v_cvt_i32_f64_e32 v9, v[10:11]
	v_cvt_u32_f64_e32 v8, v[12:13]
	s_branch .LBB71_1066
.LBB71_1062:
	s_mov_b32 s31, -1
                                        ; implicit-def: $vgpr8_vgpr9
	s_branch .LBB71_1084
.LBB71_1063:
	s_mov_b32 s31, -1
                                        ; implicit-def: $vgpr8_vgpr9
	s_branch .LBB71_1072
.LBB71_1064:
	s_mov_b32 s31, -1
                                        ; implicit-def: $vgpr8_vgpr9
	s_branch .LBB71_1069
.LBB71_1065:
	s_mov_b32 s31, -1
                                        ; implicit-def: $vgpr8_vgpr9
.LBB71_1066:
	s_delay_alu instid0(SALU_CYCLE_1)
	s_and_not1_b32 vcc_lo, exec_lo, s31
	s_cbranch_vccnz .LBB71_1068
; %bb.1067:
	global_load_b32 v1, v[6:7], off
	s_wait_loadcnt 0x0
	v_trunc_f32_e32 v1, v1
	s_delay_alu instid0(VALU_DEP_1) | instskip(SKIP_2) | instid1(VALU_DEP_2)
	v_mul_f32_e64 v3, 0x2f800000, |v1|
	s_wait_xcnt 0x1
	v_ashrrev_i32_e32 v8, 31, v1
	v_floor_f32_e32 v3, v3
	s_delay_alu instid0(VALU_DEP_1) | instskip(SKIP_1) | instid1(VALU_DEP_2)
	v_fma_f32 v9, 0xcf800000, v3, |v1|
	v_cvt_u32_f32_e32 v1, v3
	v_cvt_u32_f32_e32 v3, v9
	s_delay_alu instid0(VALU_DEP_2) | instskip(NEXT) | instid1(VALU_DEP_2)
	v_dual_mov_b32 v9, v8 :: v_dual_bitop2_b32 v11, v1, v8 bitop3:0x14
	v_xor_b32_e32 v10, v3, v8
	s_delay_alu instid0(VALU_DEP_1)
	v_sub_nc_u64_e32 v[8:9], v[10:11], v[8:9]
.LBB71_1068:
	s_mov_b32 s31, 0
.LBB71_1069:
	s_delay_alu instid0(SALU_CYCLE_1)
	s_and_not1_b32 vcc_lo, exec_lo, s31
	s_cbranch_vccnz .LBB71_1071
; %bb.1070:
	global_load_b32 v1, v[6:7], off
	s_wait_loadcnt 0x0
	v_cvt_f32_f16_e32 v1, v1
	s_wait_xcnt 0x1
	s_delay_alu instid0(VALU_DEP_1) | instskip(NEXT) | instid1(VALU_DEP_1)
	v_cvt_i32_f32_e32 v8, v1
	v_ashrrev_i32_e32 v9, 31, v8
.LBB71_1071:
	s_mov_b32 s31, 0
.LBB71_1072:
	s_delay_alu instid0(SALU_CYCLE_1)
	s_and_not1_b32 vcc_lo, exec_lo, s31
	s_cbranch_vccnz .LBB71_1083
; %bb.1073:
	s_cmp_lt_i32 s0, 6
	s_cbranch_scc1 .LBB71_1076
; %bb.1074:
	s_cmp_gt_i32 s0, 6
	s_cbranch_scc0 .LBB71_1077
; %bb.1075:
	s_wait_loadcnt 0x0
	global_load_b64 v[8:9], v[6:7], off
	s_mov_b32 s31, 0
	s_wait_loadcnt 0x0
	v_trunc_f64_e32 v[8:9], v[8:9]
	s_delay_alu instid0(VALU_DEP_1) | instskip(NEXT) | instid1(VALU_DEP_1)
	v_ldexp_f64 v[10:11], v[8:9], 0xffffffe0
	v_floor_f64_e32 v[10:11], v[10:11]
	s_delay_alu instid0(VALU_DEP_1) | instskip(SKIP_1) | instid1(VALU_DEP_2)
	v_fmamk_f64 v[12:13], v[10:11], 0xc1f00000, v[8:9]
	v_cvt_i32_f64_e32 v9, v[10:11]
	v_cvt_u32_f64_e32 v8, v[12:13]
	s_branch .LBB71_1078
.LBB71_1076:
	s_mov_b32 s31, -1
                                        ; implicit-def: $vgpr8_vgpr9
	s_branch .LBB71_1081
.LBB71_1077:
	s_mov_b32 s31, -1
                                        ; implicit-def: $vgpr8_vgpr9
.LBB71_1078:
	s_delay_alu instid0(SALU_CYCLE_1)
	s_and_not1_b32 vcc_lo, exec_lo, s31
	s_cbranch_vccnz .LBB71_1080
; %bb.1079:
	global_load_b32 v1, v[6:7], off
	s_wait_loadcnt 0x0
	v_trunc_f32_e32 v1, v1
	s_delay_alu instid0(VALU_DEP_1) | instskip(SKIP_2) | instid1(VALU_DEP_2)
	v_mul_f32_e64 v3, 0x2f800000, |v1|
	s_wait_xcnt 0x1
	v_ashrrev_i32_e32 v8, 31, v1
	v_floor_f32_e32 v3, v3
	s_delay_alu instid0(VALU_DEP_1) | instskip(SKIP_1) | instid1(VALU_DEP_2)
	v_fma_f32 v9, 0xcf800000, v3, |v1|
	v_cvt_u32_f32_e32 v1, v3
	v_cvt_u32_f32_e32 v3, v9
	s_delay_alu instid0(VALU_DEP_2) | instskip(NEXT) | instid1(VALU_DEP_2)
	v_dual_mov_b32 v9, v8 :: v_dual_bitop2_b32 v11, v1, v8 bitop3:0x14
	v_xor_b32_e32 v10, v3, v8
	s_delay_alu instid0(VALU_DEP_1)
	v_sub_nc_u64_e32 v[8:9], v[10:11], v[8:9]
.LBB71_1080:
	s_mov_b32 s31, 0
.LBB71_1081:
	s_delay_alu instid0(SALU_CYCLE_1)
	s_and_not1_b32 vcc_lo, exec_lo, s31
	s_cbranch_vccnz .LBB71_1083
; %bb.1082:
	global_load_u16 v1, v[6:7], off
	s_wait_loadcnt 0x0
	v_cvt_f32_f16_e32 v1, v1
	s_wait_xcnt 0x1
	s_delay_alu instid0(VALU_DEP_1) | instskip(NEXT) | instid1(VALU_DEP_1)
	v_cvt_i32_f32_e32 v8, v1
	v_ashrrev_i32_e32 v9, 31, v8
.LBB71_1083:
	s_mov_b32 s31, 0
.LBB71_1084:
	s_delay_alu instid0(SALU_CYCLE_1)
	s_and_not1_b32 vcc_lo, exec_lo, s31
	s_cbranch_vccnz .LBB71_1104
; %bb.1085:
	s_cmp_lt_i32 s0, 2
	s_cbranch_scc1 .LBB71_1089
; %bb.1086:
	s_cmp_lt_i32 s0, 3
	s_cbranch_scc1 .LBB71_1090
; %bb.1087:
	s_cmp_gt_i32 s0, 3
	s_cbranch_scc0 .LBB71_1091
; %bb.1088:
	s_wait_loadcnt 0x0
	global_load_b64 v[8:9], v[6:7], off
	s_mov_b32 s31, 0
	s_branch .LBB71_1092
.LBB71_1089:
	s_mov_b32 s31, -1
                                        ; implicit-def: $vgpr8_vgpr9
	s_branch .LBB71_1098
.LBB71_1090:
	s_mov_b32 s31, -1
                                        ; implicit-def: $vgpr8_vgpr9
	s_branch .LBB71_1095
.LBB71_1091:
	s_mov_b32 s31, -1
                                        ; implicit-def: $vgpr8_vgpr9
.LBB71_1092:
	s_delay_alu instid0(SALU_CYCLE_1)
	s_and_not1_b32 vcc_lo, exec_lo, s31
	s_cbranch_vccnz .LBB71_1094
; %bb.1093:
	s_wait_loadcnt 0x0
	global_load_b32 v8, v[6:7], off
	s_wait_loadcnt 0x0
	v_ashrrev_i32_e32 v9, 31, v8
.LBB71_1094:
	s_mov_b32 s31, 0
.LBB71_1095:
	s_delay_alu instid0(SALU_CYCLE_1)
	s_and_not1_b32 vcc_lo, exec_lo, s31
	s_cbranch_vccnz .LBB71_1097
; %bb.1096:
	global_load_u16 v1, v[6:7], off
	s_wait_loadcnt 0x0
	s_wait_xcnt 0x1
	v_bfe_i32 v8, v1, 0, 16
	s_delay_alu instid0(VALU_DEP_1)
	v_ashrrev_i32_e32 v9, 31, v8
.LBB71_1097:
	s_mov_b32 s31, 0
.LBB71_1098:
	s_delay_alu instid0(SALU_CYCLE_1)
	s_and_not1_b32 vcc_lo, exec_lo, s31
	s_cbranch_vccnz .LBB71_1104
; %bb.1099:
	s_cmp_gt_i32 s0, 0
	s_mov_b32 s0, 0
	s_cbranch_scc0 .LBB71_1101
; %bb.1100:
	global_load_i8 v1, v[6:7], off
	s_wait_loadcnt 0x0
	s_wait_xcnt 0x1
	v_bfe_i32 v8, v1, 0, 16
	s_delay_alu instid0(VALU_DEP_1)
	v_ashrrev_i32_e32 v9, 31, v8
	s_branch .LBB71_1102
.LBB71_1101:
	s_mov_b32 s0, -1
                                        ; implicit-def: $vgpr8_vgpr9
.LBB71_1102:
	s_delay_alu instid0(SALU_CYCLE_1)
	s_and_not1_b32 vcc_lo, exec_lo, s0
	s_cbranch_vccnz .LBB71_1104
; %bb.1103:
	global_load_u8 v1, v[6:7], off
	s_mov_b32 s0, 0
	s_wait_loadcnt 0x1
	s_wait_xcnt 0x1
	v_mov_b32_e32 v9, s0
	s_wait_loadcnt 0x0
	v_and_b32_e32 v8, 0xffff, v1
.LBB71_1104:
	s_mov_b32 s31, -1
.LBB71_1105:
	s_delay_alu instid0(SALU_CYCLE_1)
	s_and_not1_b32 vcc_lo, exec_lo, s31
	s_cbranch_vccnz .LBB71_1113
; %bb.1106:
	s_wait_loadcnt 0x0
	s_delay_alu instid0(VALU_DEP_3) | instskip(SKIP_2) | instid1(SALU_CYCLE_1)
	v_mul_u64_e32 v[4:5], s[12:13], v[4:5]
	v_mov_b32_e32 v3, 0
	s_and_b32 s31, s14, 0xff
	s_cmp_lt_i32 s31, 11
	s_delay_alu instid0(VALU_DEP_1) | instskip(NEXT) | instid1(VALU_DEP_3)
	v_add_nc_u64_e32 v[2:3], s[20:21], v[2:3]
	v_mul_u64_e32 v[4:5], v[4:5], v[8:9]
	s_cbranch_scc1 .LBB71_1114
; %bb.1107:
	s_and_b32 s54, 0xffff, s31
	s_delay_alu instid0(SALU_CYCLE_1)
	s_cmp_gt_i32 s54, 25
	s_cbranch_scc0 .LBB71_1115
; %bb.1108:
	s_cmp_gt_i32 s54, 28
	s_cbranch_scc0 .LBB71_1116
; %bb.1109:
	;; [unrolled: 3-line block ×4, first 2 shown]
	s_mov_b32 s56, 0
	s_mov_b32 s0, -1
	s_cmp_eq_u32 s54, 46
	s_mov_b32 s55, 0
	s_cbranch_scc0 .LBB71_1119
; %bb.1112:
	s_delay_alu instid0(VALU_DEP_1)
	v_xor_b32_e32 v1, v4, v5
	s_wait_xcnt 0x0
	v_cls_i32_e32 v6, v5
	s_mov_b32 s55, -1
	s_mov_b32 s0, 0
	v_ashrrev_i32_e32 v1, 31, v1
	s_delay_alu instid0(VALU_DEP_1) | instskip(NEXT) | instid1(VALU_DEP_1)
	v_add_nc_u32_e32 v1, 32, v1
	v_add_min_u32_e64 v1, v6, -1, v1
	s_delay_alu instid0(VALU_DEP_1) | instskip(SKIP_1) | instid1(VALU_DEP_2)
	v_lshlrev_b64_e32 v[6:7], v1, v[4:5]
	v_sub_nc_u32_e32 v1, 32, v1
	v_min_u32_e32 v6, 1, v6
	s_delay_alu instid0(VALU_DEP_1) | instskip(NEXT) | instid1(VALU_DEP_1)
	v_or_b32_e32 v6, v7, v6
	v_cvt_f32_i32_e32 v6, v6
	s_delay_alu instid0(VALU_DEP_1) | instskip(NEXT) | instid1(VALU_DEP_1)
	v_ldexp_f32 v1, v6, v1
	v_bfe_u32 v6, v1, 16, 1
	s_delay_alu instid0(VALU_DEP_1) | instskip(NEXT) | instid1(VALU_DEP_1)
	v_add3_u32 v1, v1, v6, 0x7fff
	v_lshrrev_b32_e32 v1, 16, v1
	global_store_b32 v[2:3], v1, off
	s_branch .LBB71_1119
.LBB71_1113:
	s_mov_b32 s31, 0
	s_mov_b32 s0, s49
	s_branch .LBB71_858
.LBB71_1114:
	s_mov_b32 s54, -1
	s_mov_b32 s55, 0
	s_mov_b32 s0, s49
	s_branch .LBB71_1188
.LBB71_1115:
	s_mov_b32 s56, -1
	s_mov_b32 s55, 0
	s_mov_b32 s0, s49
	s_branch .LBB71_1146
.LBB71_1116:
	s_mov_b32 s56, -1
	s_mov_b32 s55, 0
	s_mov_b32 s0, s49
	s_branch .LBB71_1129
.LBB71_1117:
	s_mov_b32 s56, -1
	s_mov_b32 s55, 0
	s_mov_b32 s0, s49
	s_branch .LBB71_1125
.LBB71_1118:
	s_mov_b32 s56, -1
	s_mov_b32 s55, 0
	s_mov_b32 s0, s49
.LBB71_1119:
	s_and_b32 vcc_lo, exec_lo, s56
	s_cbranch_vccz .LBB71_1124
; %bb.1120:
	s_cmp_eq_u32 s54, 44
	s_mov_b32 s0, -1
	s_cbranch_scc0 .LBB71_1124
; %bb.1121:
	s_wait_xcnt 0x0
	s_delay_alu instid0(VALU_DEP_1) | instskip(SKIP_3) | instid1(VALU_DEP_2)
	v_xor_b32_e32 v1, v4, v5
	v_cls_i32_e32 v6, v5
	s_mov_b32 s55, -1
	s_mov_b32 s56, exec_lo
	v_ashrrev_i32_e32 v1, 31, v1
	s_delay_alu instid0(VALU_DEP_1) | instskip(NEXT) | instid1(VALU_DEP_1)
	v_add_nc_u32_e32 v1, 32, v1
	v_add_min_u32_e64 v1, v6, -1, v1
	s_delay_alu instid0(VALU_DEP_1) | instskip(SKIP_1) | instid1(VALU_DEP_2)
	v_lshlrev_b64_e32 v[6:7], v1, v[4:5]
	v_sub_nc_u32_e32 v1, 32, v1
	v_min_u32_e32 v6, 1, v6
	s_delay_alu instid0(VALU_DEP_1) | instskip(NEXT) | instid1(VALU_DEP_1)
	v_or_b32_e32 v6, v7, v6
	v_cvt_f32_i32_e32 v6, v6
	s_delay_alu instid0(VALU_DEP_1) | instskip(SKIP_1) | instid1(VALU_DEP_2)
	v_ldexp_f32 v1, v6, v1
	v_mov_b32_e32 v6, 0xff
	v_bfe_u32 v7, v1, 23, 8
	s_delay_alu instid0(VALU_DEP_1)
	v_cmpx_ne_u32_e32 0xff, v7
	s_cbranch_execz .LBB71_1123
; %bb.1122:
	v_and_b32_e32 v6, 0x400000, v1
	v_and_or_b32 v7, 0x3fffff, v1, v7
	v_lshrrev_b32_e32 v1, 23, v1
	s_delay_alu instid0(VALU_DEP_3) | instskip(NEXT) | instid1(VALU_DEP_3)
	v_cmp_ne_u32_e32 vcc_lo, 0, v6
	v_cmp_ne_u32_e64 s0, 0, v7
	s_and_b32 s0, vcc_lo, s0
	s_delay_alu instid0(SALU_CYCLE_1) | instskip(NEXT) | instid1(VALU_DEP_1)
	v_cndmask_b32_e64 v6, 0, 1, s0
	v_add_nc_u32_e32 v6, v1, v6
.LBB71_1123:
	s_or_b32 exec_lo, exec_lo, s56
	s_mov_b32 s0, 0
	global_store_b8 v[2:3], v6, off
.LBB71_1124:
	s_mov_b32 s56, 0
.LBB71_1125:
	s_delay_alu instid0(SALU_CYCLE_1)
	s_and_b32 vcc_lo, exec_lo, s56
	s_cbranch_vccz .LBB71_1128
; %bb.1126:
	s_cmp_eq_u32 s54, 29
	s_mov_b32 s0, -1
	s_cbranch_scc0 .LBB71_1128
; %bb.1127:
	s_mov_b32 s55, -1
	s_mov_b32 s0, 0
	global_store_b64 v[2:3], v[4:5], off
.LBB71_1128:
	s_mov_b32 s56, 0
.LBB71_1129:
	s_delay_alu instid0(SALU_CYCLE_1)
	s_and_b32 vcc_lo, exec_lo, s56
	s_cbranch_vccz .LBB71_1145
; %bb.1130:
	s_cmp_lt_i32 s54, 27
	s_mov_b32 s55, -1
	s_cbranch_scc1 .LBB71_1136
; %bb.1131:
	s_cmp_gt_i32 s54, 27
	s_cbranch_scc0 .LBB71_1133
; %bb.1132:
	s_mov_b32 s55, 0
	global_store_b32 v[2:3], v4, off
.LBB71_1133:
	s_and_not1_b32 vcc_lo, exec_lo, s55
	s_cbranch_vccnz .LBB71_1135
; %bb.1134:
	global_store_b16 v[2:3], v4, off
.LBB71_1135:
	s_mov_b32 s55, 0
.LBB71_1136:
	s_delay_alu instid0(SALU_CYCLE_1)
	s_and_not1_b32 vcc_lo, exec_lo, s55
	s_cbranch_vccnz .LBB71_1144
; %bb.1137:
	s_wait_xcnt 0x0
	s_delay_alu instid0(VALU_DEP_1) | instskip(SKIP_2) | instid1(VALU_DEP_2)
	v_xor_b32_e32 v1, v4, v5
	v_cls_i32_e32 v6, v5
	s_mov_b32 s55, exec_lo
	v_ashrrev_i32_e32 v1, 31, v1
	s_delay_alu instid0(VALU_DEP_1) | instskip(NEXT) | instid1(VALU_DEP_1)
	v_add_nc_u32_e32 v1, 32, v1
	v_add_min_u32_e64 v1, v6, -1, v1
	s_delay_alu instid0(VALU_DEP_1) | instskip(SKIP_1) | instid1(VALU_DEP_2)
	v_lshlrev_b64_e32 v[6:7], v1, v[4:5]
	v_sub_nc_u32_e32 v1, 32, v1
	v_min_u32_e32 v6, 1, v6
	s_delay_alu instid0(VALU_DEP_1) | instskip(SKIP_1) | instid1(VALU_DEP_2)
	v_or_b32_e32 v6, v7, v6
	v_mov_b32_e32 v7, 0x80
	v_cvt_f32_i32_e32 v6, v6
	s_delay_alu instid0(VALU_DEP_1) | instskip(NEXT) | instid1(VALU_DEP_1)
	v_ldexp_f32 v1, v6, v1
	v_and_b32_e32 v6, 0x7fffffff, v1
	s_delay_alu instid0(VALU_DEP_1)
	v_cmpx_gt_u32_e32 0x43800000, v6
	s_cbranch_execz .LBB71_1143
; %bb.1138:
	v_cmp_lt_u32_e32 vcc_lo, 0x3bffffff, v6
	s_mov_b32 s56, 0
                                        ; implicit-def: $vgpr6
	s_and_saveexec_b32 s57, vcc_lo
	s_delay_alu instid0(SALU_CYCLE_1)
	s_xor_b32 s57, exec_lo, s57
	s_cbranch_execz .LBB71_2115
; %bb.1139:
	v_bfe_u32 v6, v1, 20, 1
	s_mov_b32 s56, exec_lo
	s_delay_alu instid0(VALU_DEP_1) | instskip(NEXT) | instid1(VALU_DEP_1)
	v_add3_u32 v6, v1, v6, 0x487ffff
	v_lshrrev_b32_e32 v6, 20, v6
	s_and_not1_saveexec_b32 s57, s57
	s_cbranch_execnz .LBB71_2116
.LBB71_1140:
	s_or_b32 exec_lo, exec_lo, s57
	v_mov_b32_e32 v7, 0
	s_and_saveexec_b32 s57, s56
.LBB71_1141:
	v_lshrrev_b32_e32 v1, 24, v1
	s_delay_alu instid0(VALU_DEP_1)
	v_and_or_b32 v7, 0x80, v1, v6
.LBB71_1142:
	s_or_b32 exec_lo, exec_lo, s57
.LBB71_1143:
	s_delay_alu instid0(SALU_CYCLE_1)
	s_or_b32 exec_lo, exec_lo, s55
	global_store_b8 v[2:3], v7, off
.LBB71_1144:
	s_mov_b32 s55, -1
.LBB71_1145:
	s_mov_b32 s56, 0
.LBB71_1146:
	s_delay_alu instid0(SALU_CYCLE_1)
	s_and_b32 vcc_lo, exec_lo, s56
	s_cbranch_vccz .LBB71_1187
; %bb.1147:
	s_cmp_gt_i32 s54, 22
	s_mov_b32 s56, -1
	s_cbranch_scc0 .LBB71_1179
; %bb.1148:
	s_cmp_lt_i32 s54, 24
	s_mov_b32 s55, -1
	s_cbranch_scc1 .LBB71_1168
; %bb.1149:
	s_cmp_gt_i32 s54, 24
	s_cbranch_scc0 .LBB71_1157
; %bb.1150:
	s_wait_xcnt 0x0
	s_delay_alu instid0(VALU_DEP_1) | instskip(SKIP_2) | instid1(VALU_DEP_2)
	v_xor_b32_e32 v1, v4, v5
	v_cls_i32_e32 v6, v5
	s_mov_b32 s55, exec_lo
	v_ashrrev_i32_e32 v1, 31, v1
	s_delay_alu instid0(VALU_DEP_1) | instskip(NEXT) | instid1(VALU_DEP_1)
	v_add_nc_u32_e32 v1, 32, v1
	v_add_min_u32_e64 v1, v6, -1, v1
	s_delay_alu instid0(VALU_DEP_1) | instskip(SKIP_1) | instid1(VALU_DEP_2)
	v_lshlrev_b64_e32 v[6:7], v1, v[4:5]
	v_sub_nc_u32_e32 v1, 32, v1
	v_min_u32_e32 v6, 1, v6
	s_delay_alu instid0(VALU_DEP_1) | instskip(SKIP_1) | instid1(VALU_DEP_2)
	v_or_b32_e32 v6, v7, v6
	v_mov_b32_e32 v7, 0x80
	v_cvt_f32_i32_e32 v6, v6
	s_delay_alu instid0(VALU_DEP_1) | instskip(NEXT) | instid1(VALU_DEP_1)
	v_ldexp_f32 v1, v6, v1
	v_and_b32_e32 v6, 0x7fffffff, v1
	s_delay_alu instid0(VALU_DEP_1)
	v_cmpx_gt_u32_e32 0x47800000, v6
	s_cbranch_execz .LBB71_1156
; %bb.1151:
	v_cmp_lt_u32_e32 vcc_lo, 0x37ffffff, v6
	s_mov_b32 s56, 0
                                        ; implicit-def: $vgpr6
	s_and_saveexec_b32 s57, vcc_lo
	s_delay_alu instid0(SALU_CYCLE_1)
	s_xor_b32 s57, exec_lo, s57
	s_cbranch_execz .LBB71_2264
; %bb.1152:
	v_bfe_u32 v6, v1, 21, 1
	s_mov_b32 s56, exec_lo
	s_delay_alu instid0(VALU_DEP_1) | instskip(NEXT) | instid1(VALU_DEP_1)
	v_add3_u32 v6, v1, v6, 0x88fffff
	v_lshrrev_b32_e32 v6, 21, v6
	s_and_not1_saveexec_b32 s57, s57
	s_cbranch_execnz .LBB71_2265
.LBB71_1153:
	s_or_b32 exec_lo, exec_lo, s57
	v_mov_b32_e32 v7, 0
	s_and_saveexec_b32 s57, s56
.LBB71_1154:
	v_lshrrev_b32_e32 v1, 24, v1
	s_delay_alu instid0(VALU_DEP_1)
	v_and_or_b32 v7, 0x80, v1, v6
.LBB71_1155:
	s_or_b32 exec_lo, exec_lo, s57
.LBB71_1156:
	s_delay_alu instid0(SALU_CYCLE_1)
	s_or_b32 exec_lo, exec_lo, s55
	s_mov_b32 s55, 0
	global_store_b8 v[2:3], v7, off
.LBB71_1157:
	s_and_b32 vcc_lo, exec_lo, s55
	s_cbranch_vccz .LBB71_1167
; %bb.1158:
	s_wait_xcnt 0x0
	s_delay_alu instid0(VALU_DEP_1) | instskip(SKIP_2) | instid1(VALU_DEP_2)
	v_xor_b32_e32 v1, v4, v5
	v_cls_i32_e32 v6, v5
	s_mov_b32 s55, exec_lo
	v_ashrrev_i32_e32 v1, 31, v1
	s_delay_alu instid0(VALU_DEP_1) | instskip(NEXT) | instid1(VALU_DEP_1)
	v_add_nc_u32_e32 v1, 32, v1
	v_add_min_u32_e64 v1, v6, -1, v1
	s_delay_alu instid0(VALU_DEP_1) | instskip(SKIP_1) | instid1(VALU_DEP_2)
	v_lshlrev_b64_e32 v[6:7], v1, v[4:5]
	v_sub_nc_u32_e32 v1, 32, v1
	v_min_u32_e32 v6, 1, v6
	s_delay_alu instid0(VALU_DEP_1) | instskip(NEXT) | instid1(VALU_DEP_1)
	v_or_b32_e32 v6, v7, v6
	v_cvt_f32_i32_e32 v6, v6
	s_delay_alu instid0(VALU_DEP_1) | instskip(NEXT) | instid1(VALU_DEP_1)
	v_ldexp_f32 v1, v6, v1
                                        ; implicit-def: $vgpr6
	v_and_b32_e32 v7, 0x7fffffff, v1
	s_delay_alu instid0(VALU_DEP_1)
	v_cmpx_gt_u32_e32 0x43f00000, v7
	s_xor_b32 s55, exec_lo, s55
	s_cbranch_execz .LBB71_1164
; %bb.1159:
	s_mov_b32 s56, exec_lo
                                        ; implicit-def: $vgpr6
	v_cmpx_lt_u32_e32 0x3c7fffff, v7
	s_xor_b32 s56, exec_lo, s56
; %bb.1160:
	v_bfe_u32 v6, v1, 20, 1
	s_delay_alu instid0(VALU_DEP_1) | instskip(NEXT) | instid1(VALU_DEP_1)
	v_add3_u32 v6, v1, v6, 0x407ffff
	v_and_b32_e32 v7, 0xff00000, v6
	v_lshrrev_b32_e32 v6, 20, v6
	s_delay_alu instid0(VALU_DEP_2) | instskip(NEXT) | instid1(VALU_DEP_2)
	v_cmp_ne_u32_e32 vcc_lo, 0x7f00000, v7
	v_cndmask_b32_e32 v6, 0x7e, v6, vcc_lo
; %bb.1161:
	s_and_not1_saveexec_b32 s56, s56
; %bb.1162:
	v_add_f32_e64 v6, 0x46800000, |v1|
; %bb.1163:
	s_or_b32 exec_lo, exec_lo, s56
                                        ; implicit-def: $vgpr7
.LBB71_1164:
	s_and_not1_saveexec_b32 s55, s55
; %bb.1165:
	v_mov_b32_e32 v6, 0x7f
	v_cmp_lt_u32_e32 vcc_lo, 0x7f800000, v7
	s_delay_alu instid0(VALU_DEP_2)
	v_cndmask_b32_e32 v6, 0x7e, v6, vcc_lo
; %bb.1166:
	s_or_b32 exec_lo, exec_lo, s55
	v_lshrrev_b32_e32 v1, 24, v1
	s_delay_alu instid0(VALU_DEP_1)
	v_and_or_b32 v1, 0x80, v1, v6
	global_store_b8 v[2:3], v1, off
.LBB71_1167:
	s_mov_b32 s55, 0
.LBB71_1168:
	s_delay_alu instid0(SALU_CYCLE_1)
	s_and_not1_b32 vcc_lo, exec_lo, s55
	s_cbranch_vccnz .LBB71_1178
; %bb.1169:
	s_wait_xcnt 0x0
	s_delay_alu instid0(VALU_DEP_1) | instskip(SKIP_2) | instid1(VALU_DEP_2)
	v_xor_b32_e32 v1, v4, v5
	v_cls_i32_e32 v6, v5
	s_mov_b32 s55, exec_lo
	v_ashrrev_i32_e32 v1, 31, v1
	s_delay_alu instid0(VALU_DEP_1) | instskip(NEXT) | instid1(VALU_DEP_1)
	v_add_nc_u32_e32 v1, 32, v1
	v_add_min_u32_e64 v1, v6, -1, v1
	s_delay_alu instid0(VALU_DEP_1) | instskip(SKIP_1) | instid1(VALU_DEP_2)
	v_lshlrev_b64_e32 v[6:7], v1, v[4:5]
	v_sub_nc_u32_e32 v1, 32, v1
	v_min_u32_e32 v6, 1, v6
	s_delay_alu instid0(VALU_DEP_1) | instskip(NEXT) | instid1(VALU_DEP_1)
	v_or_b32_e32 v6, v7, v6
	v_cvt_f32_i32_e32 v6, v6
	s_delay_alu instid0(VALU_DEP_1) | instskip(NEXT) | instid1(VALU_DEP_1)
	v_ldexp_f32 v1, v6, v1
                                        ; implicit-def: $vgpr6
	v_and_b32_e32 v7, 0x7fffffff, v1
	s_delay_alu instid0(VALU_DEP_1)
	v_cmpx_gt_u32_e32 0x47800000, v7
	s_xor_b32 s55, exec_lo, s55
	s_cbranch_execz .LBB71_1175
; %bb.1170:
	s_mov_b32 s56, exec_lo
                                        ; implicit-def: $vgpr6
	v_cmpx_lt_u32_e32 0x387fffff, v7
	s_xor_b32 s56, exec_lo, s56
; %bb.1171:
	v_bfe_u32 v6, v1, 21, 1
	s_delay_alu instid0(VALU_DEP_1) | instskip(NEXT) | instid1(VALU_DEP_1)
	v_add3_u32 v6, v1, v6, 0x80fffff
	v_lshrrev_b32_e32 v6, 21, v6
; %bb.1172:
	s_and_not1_saveexec_b32 s56, s56
; %bb.1173:
	v_add_f32_e64 v6, 0x43000000, |v1|
; %bb.1174:
	s_or_b32 exec_lo, exec_lo, s56
                                        ; implicit-def: $vgpr7
.LBB71_1175:
	s_and_not1_saveexec_b32 s55, s55
; %bb.1176:
	v_mov_b32_e32 v6, 0x7f
	v_cmp_lt_u32_e32 vcc_lo, 0x7f800000, v7
	s_delay_alu instid0(VALU_DEP_2)
	v_cndmask_b32_e32 v6, 0x7c, v6, vcc_lo
; %bb.1177:
	s_or_b32 exec_lo, exec_lo, s55
	v_lshrrev_b32_e32 v1, 24, v1
	s_delay_alu instid0(VALU_DEP_1)
	v_and_or_b32 v1, 0x80, v1, v6
	global_store_b8 v[2:3], v1, off
.LBB71_1178:
	s_mov_b32 s56, 0
	s_mov_b32 s55, -1
.LBB71_1179:
	s_and_not1_b32 vcc_lo, exec_lo, s56
	s_cbranch_vccnz .LBB71_1187
; %bb.1180:
	s_cmp_gt_i32 s54, 14
	s_mov_b32 s56, -1
	s_cbranch_scc0 .LBB71_1184
; %bb.1181:
	s_cmp_eq_u32 s54, 15
	s_mov_b32 s0, -1
	s_cbranch_scc0 .LBB71_1183
; %bb.1182:
	s_wait_xcnt 0x0
	s_delay_alu instid0(VALU_DEP_1) | instskip(SKIP_3) | instid1(VALU_DEP_2)
	v_xor_b32_e32 v1, v4, v5
	v_cls_i32_e32 v6, v5
	s_mov_b32 s55, -1
	s_mov_b32 s0, 0
	v_ashrrev_i32_e32 v1, 31, v1
	s_delay_alu instid0(VALU_DEP_1) | instskip(NEXT) | instid1(VALU_DEP_1)
	v_add_nc_u32_e32 v1, 32, v1
	v_add_min_u32_e64 v1, v6, -1, v1
	s_delay_alu instid0(VALU_DEP_1) | instskip(SKIP_1) | instid1(VALU_DEP_2)
	v_lshlrev_b64_e32 v[6:7], v1, v[4:5]
	v_sub_nc_u32_e32 v1, 32, v1
	v_min_u32_e32 v6, 1, v6
	s_delay_alu instid0(VALU_DEP_1) | instskip(NEXT) | instid1(VALU_DEP_1)
	v_or_b32_e32 v6, v7, v6
	v_cvt_f32_i32_e32 v6, v6
	s_delay_alu instid0(VALU_DEP_1) | instskip(NEXT) | instid1(VALU_DEP_1)
	v_ldexp_f32 v1, v6, v1
	v_bfe_u32 v6, v1, 16, 1
	s_delay_alu instid0(VALU_DEP_1)
	v_add3_u32 v1, v1, v6, 0x7fff
	global_store_d16_hi_b16 v[2:3], v1, off
.LBB71_1183:
	s_mov_b32 s56, 0
.LBB71_1184:
	s_delay_alu instid0(SALU_CYCLE_1)
	s_and_b32 vcc_lo, exec_lo, s56
	s_cbranch_vccz .LBB71_1187
; %bb.1185:
	s_cmp_eq_u32 s54, 11
	s_mov_b32 s0, -1
	s_cbranch_scc0 .LBB71_1187
; %bb.1186:
	s_delay_alu instid0(VALU_DEP_1)
	v_cmp_ne_u64_e32 vcc_lo, 0, v[4:5]
	s_mov_b32 s55, -1
	s_mov_b32 s0, 0
	s_wait_xcnt 0x0
	v_cndmask_b32_e64 v1, 0, 1, vcc_lo
	global_store_b8 v[2:3], v1, off
.LBB71_1187:
	s_mov_b32 s54, 0
.LBB71_1188:
	s_delay_alu instid0(SALU_CYCLE_1)
	s_and_b32 vcc_lo, exec_lo, s54
	s_cbranch_vccz .LBB71_1227
; %bb.1189:
	s_and_b32 s31, 0xffff, s31
	s_mov_b32 s54, -1
	s_cmp_lt_i32 s31, 5
	s_cbranch_scc1 .LBB71_1210
; %bb.1190:
	s_cmp_lt_i32 s31, 8
	s_cbranch_scc1 .LBB71_1200
; %bb.1191:
	;; [unrolled: 3-line block ×3, first 2 shown]
	s_cmp_gt_i32 s31, 9
	s_cbranch_scc0 .LBB71_1194
; %bb.1193:
	s_wait_xcnt 0x0
	s_delay_alu instid0(VALU_DEP_1) | instskip(NEXT) | instid1(VALU_DEP_2)
	v_cvt_f64_i32_e32 v[6:7], v5
	v_cvt_f64_u32_e32 v[8:9], v4
	s_mov_b32 s54, 0
	s_delay_alu instid0(VALU_DEP_2) | instskip(NEXT) | instid1(VALU_DEP_1)
	v_ldexp_f64 v[6:7], v[6:7], 32
	v_dual_add_f64 v[6:7], v[6:7], v[8:9] :: v_dual_mov_b32 v8, 0
	s_delay_alu instid0(VALU_DEP_1)
	v_mov_b32_e32 v9, v8
	global_store_b128 v[2:3], v[6:9], off
.LBB71_1194:
	s_and_not1_b32 vcc_lo, exec_lo, s54
	s_cbranch_vccnz .LBB71_1196
; %bb.1195:
	s_wait_xcnt 0x0
	s_delay_alu instid0(VALU_DEP_1) | instskip(SKIP_1) | instid1(VALU_DEP_2)
	v_xor_b32_e32 v1, v4, v5
	v_cls_i32_e32 v6, v5
	v_ashrrev_i32_e32 v1, 31, v1
	s_delay_alu instid0(VALU_DEP_1) | instskip(NEXT) | instid1(VALU_DEP_1)
	v_add_nc_u32_e32 v1, 32, v1
	v_add_min_u32_e64 v1, v6, -1, v1
	s_delay_alu instid0(VALU_DEP_1) | instskip(SKIP_1) | instid1(VALU_DEP_2)
	v_lshlrev_b64_e32 v[6:7], v1, v[4:5]
	v_sub_nc_u32_e32 v1, 32, v1
	v_min_u32_e32 v6, 1, v6
	s_delay_alu instid0(VALU_DEP_1) | instskip(NEXT) | instid1(VALU_DEP_1)
	v_dual_mov_b32 v7, 0 :: v_dual_bitop2_b32 v6, v7, v6 bitop3:0x54
	v_cvt_f32_i32_e32 v6, v6
	s_delay_alu instid0(VALU_DEP_1)
	v_ldexp_f32 v6, v6, v1
	global_store_b64 v[2:3], v[6:7], off
.LBB71_1196:
	s_mov_b32 s54, 0
.LBB71_1197:
	s_delay_alu instid0(SALU_CYCLE_1)
	s_and_not1_b32 vcc_lo, exec_lo, s54
	s_cbranch_vccnz .LBB71_1199
; %bb.1198:
	s_wait_xcnt 0x0
	s_delay_alu instid0(VALU_DEP_1) | instskip(SKIP_1) | instid1(VALU_DEP_2)
	v_xor_b32_e32 v1, v4, v5
	v_cls_i32_e32 v6, v5
	v_ashrrev_i32_e32 v1, 31, v1
	s_delay_alu instid0(VALU_DEP_1) | instskip(NEXT) | instid1(VALU_DEP_1)
	v_add_nc_u32_e32 v1, 32, v1
	v_add_min_u32_e64 v1, v6, -1, v1
	s_delay_alu instid0(VALU_DEP_1) | instskip(SKIP_1) | instid1(VALU_DEP_2)
	v_lshlrev_b64_e32 v[6:7], v1, v[4:5]
	v_sub_nc_u32_e32 v1, 32, v1
	v_min_u32_e32 v6, 1, v6
	s_delay_alu instid0(VALU_DEP_1) | instskip(NEXT) | instid1(VALU_DEP_1)
	v_or_b32_e32 v6, v7, v6
	v_cvt_f32_i32_e32 v6, v6
	s_delay_alu instid0(VALU_DEP_1) | instskip(NEXT) | instid1(VALU_DEP_1)
	v_ldexp_f32 v1, v6, v1
	v_cvt_f16_f32_e32 v1, v1
	s_delay_alu instid0(VALU_DEP_1)
	v_and_b32_e32 v1, 0xffff, v1
	global_store_b32 v[2:3], v1, off
.LBB71_1199:
	s_mov_b32 s54, 0
.LBB71_1200:
	s_delay_alu instid0(SALU_CYCLE_1)
	s_and_not1_b32 vcc_lo, exec_lo, s54
	s_cbranch_vccnz .LBB71_1209
; %bb.1201:
	s_cmp_lt_i32 s31, 6
	s_mov_b32 s54, -1
	s_cbranch_scc1 .LBB71_1207
; %bb.1202:
	s_cmp_gt_i32 s31, 6
	s_cbranch_scc0 .LBB71_1204
; %bb.1203:
	s_wait_xcnt 0x0
	s_delay_alu instid0(VALU_DEP_1) | instskip(NEXT) | instid1(VALU_DEP_2)
	v_cvt_f64_i32_e32 v[6:7], v5
	v_cvt_f64_u32_e32 v[8:9], v4
	s_mov_b32 s54, 0
	s_delay_alu instid0(VALU_DEP_2) | instskip(NEXT) | instid1(VALU_DEP_1)
	v_ldexp_f64 v[6:7], v[6:7], 32
	v_add_f64_e32 v[6:7], v[6:7], v[8:9]
	global_store_b64 v[2:3], v[6:7], off
.LBB71_1204:
	s_and_not1_b32 vcc_lo, exec_lo, s54
	s_cbranch_vccnz .LBB71_1206
; %bb.1205:
	s_wait_xcnt 0x0
	s_delay_alu instid0(VALU_DEP_1) | instskip(SKIP_1) | instid1(VALU_DEP_2)
	v_xor_b32_e32 v1, v4, v5
	v_cls_i32_e32 v6, v5
	v_ashrrev_i32_e32 v1, 31, v1
	s_delay_alu instid0(VALU_DEP_1) | instskip(NEXT) | instid1(VALU_DEP_1)
	v_add_nc_u32_e32 v1, 32, v1
	v_add_min_u32_e64 v1, v6, -1, v1
	s_delay_alu instid0(VALU_DEP_1) | instskip(SKIP_1) | instid1(VALU_DEP_2)
	v_lshlrev_b64_e32 v[6:7], v1, v[4:5]
	v_sub_nc_u32_e32 v1, 32, v1
	v_min_u32_e32 v6, 1, v6
	s_delay_alu instid0(VALU_DEP_1) | instskip(NEXT) | instid1(VALU_DEP_1)
	v_or_b32_e32 v6, v7, v6
	v_cvt_f32_i32_e32 v6, v6
	s_delay_alu instid0(VALU_DEP_1)
	v_ldexp_f32 v1, v6, v1
	global_store_b32 v[2:3], v1, off
.LBB71_1206:
	s_mov_b32 s54, 0
.LBB71_1207:
	s_delay_alu instid0(SALU_CYCLE_1)
	s_and_not1_b32 vcc_lo, exec_lo, s54
	s_cbranch_vccnz .LBB71_1209
; %bb.1208:
	s_wait_xcnt 0x0
	s_delay_alu instid0(VALU_DEP_1) | instskip(SKIP_1) | instid1(VALU_DEP_2)
	v_xor_b32_e32 v1, v4, v5
	v_cls_i32_e32 v6, v5
	v_ashrrev_i32_e32 v1, 31, v1
	s_delay_alu instid0(VALU_DEP_1) | instskip(NEXT) | instid1(VALU_DEP_1)
	v_add_nc_u32_e32 v1, 32, v1
	v_add_min_u32_e64 v1, v6, -1, v1
	s_delay_alu instid0(VALU_DEP_1) | instskip(SKIP_1) | instid1(VALU_DEP_2)
	v_lshlrev_b64_e32 v[6:7], v1, v[4:5]
	v_sub_nc_u32_e32 v1, 32, v1
	v_min_u32_e32 v6, 1, v6
	s_delay_alu instid0(VALU_DEP_1) | instskip(NEXT) | instid1(VALU_DEP_1)
	v_or_b32_e32 v6, v7, v6
	v_cvt_f32_i32_e32 v6, v6
	s_delay_alu instid0(VALU_DEP_1) | instskip(NEXT) | instid1(VALU_DEP_1)
	v_ldexp_f32 v1, v6, v1
	v_cvt_f16_f32_e32 v1, v1
	global_store_b16 v[2:3], v1, off
.LBB71_1209:
	s_mov_b32 s54, 0
.LBB71_1210:
	s_delay_alu instid0(SALU_CYCLE_1)
	s_and_not1_b32 vcc_lo, exec_lo, s54
	s_cbranch_vccnz .LBB71_1226
; %bb.1211:
	s_cmp_lt_i32 s31, 2
	s_mov_b32 s54, -1
	s_cbranch_scc1 .LBB71_1221
; %bb.1212:
	s_cmp_lt_i32 s31, 3
	s_cbranch_scc1 .LBB71_1218
; %bb.1213:
	s_cmp_gt_i32 s31, 3
	s_cbranch_scc0 .LBB71_1215
; %bb.1214:
	s_mov_b32 s54, 0
	global_store_b64 v[2:3], v[4:5], off
.LBB71_1215:
	s_and_not1_b32 vcc_lo, exec_lo, s54
	s_cbranch_vccnz .LBB71_1217
; %bb.1216:
	global_store_b32 v[2:3], v4, off
.LBB71_1217:
	s_mov_b32 s54, 0
.LBB71_1218:
	s_delay_alu instid0(SALU_CYCLE_1)
	s_and_not1_b32 vcc_lo, exec_lo, s54
	s_cbranch_vccnz .LBB71_1220
; %bb.1219:
	global_store_b16 v[2:3], v4, off
.LBB71_1220:
	s_mov_b32 s54, 0
.LBB71_1221:
	s_delay_alu instid0(SALU_CYCLE_1)
	s_and_not1_b32 vcc_lo, exec_lo, s54
	s_cbranch_vccnz .LBB71_1226
; %bb.1222:
	s_cmp_gt_i32 s31, 0
	s_mov_b32 s31, -1
	s_cbranch_scc0 .LBB71_1224
; %bb.1223:
	s_mov_b32 s31, 0
	global_store_b8 v[2:3], v4, off
.LBB71_1224:
	s_and_not1_b32 vcc_lo, exec_lo, s31
	s_cbranch_vccnz .LBB71_1226
; %bb.1225:
	global_store_b8 v[2:3], v4, off
.LBB71_1226:
	s_mov_b32 s55, -1
.LBB71_1227:
	s_delay_alu instid0(SALU_CYCLE_1)
	s_and_not1_b32 vcc_lo, exec_lo, s55
	s_cbranch_vccnz .LBB71_1250
; %bb.1228:
	v_add_nc_u32_e32 v0, 0x80, v0
	s_mov_b32 s31, -1
.LBB71_1229:
	s_and_not1_b32 s54, s49, exec_lo
	s_and_b32 s0, s0, exec_lo
	s_and_not1_b32 s55, s50, exec_lo
	s_and_b32 s30, s30, exec_lo
	s_or_b32 s56, s54, s0
	s_or_b32 s54, s55, s30
	s_and_not1_b32 s0, s51, exec_lo
	s_and_b32 s28, s28, exec_lo
	s_and_not1_b32 s30, s48, exec_lo
	s_and_b32 s29, s29, exec_lo
	s_or_b32 s55, s0, s28
	s_or_b32 s0, s30, s29
	s_or_not1_b32 s29, s31, exec_lo
.LBB71_1230:
	s_wait_xcnt 0x0
	s_or_b32 exec_lo, exec_lo, s53
	s_mov_b32 s28, 0
                                        ; implicit-def: $vgpr4
                                        ; implicit-def: $vgpr8
                                        ; implicit-def: $vgpr2
	s_and_saveexec_b32 s53, s29
	s_cbranch_execz .LBB71_1265
; %bb.1231:
	v_cmp_gt_i32_e32 vcc_lo, s41, v0
	s_mov_b32 s29, s0
                                        ; implicit-def: $vgpr4
                                        ; implicit-def: $vgpr8
                                        ; implicit-def: $vgpr2
	s_and_saveexec_b32 s41, vcc_lo
	s_cbranch_execz .LBB71_1264
; %bb.1232:
	s_and_not1_b32 vcc_lo, exec_lo, s34
	s_cbranch_vccnz .LBB71_1238
; %bb.1233:
	s_and_not1_b32 vcc_lo, exec_lo, s42
	s_cbranch_vccnz .LBB71_1239
; %bb.1234:
	v_dual_mov_b32 v2, 0 :: v_dual_mov_b32 v1, v0
	s_wait_loadcnt 0x0
	v_dual_mov_b32 v8, 0 :: v_dual_mov_b32 v4, 0
	s_add_co_i32 s30, s40, 1
	s_mov_b64 s[28:29], 0xffffffffffffffe0
	s_and_b32 s42, s30, 30
	s_add_nc_u64 s[28:29], s[2:3], s[28:29]
	s_mov_b64 s[30:31], s[2:3]
.LBB71_1235:                            ; =>This Inner Loop Header: Depth=1
	s_clause 0x1
	s_load_b128 s[60:63], s[30:31], 0x4
	s_load_b64 s[58:59], s[30:31], 0x14
	s_load_b32 s57, s[28:29], 0xe4
	s_add_co_i32 s42, s42, -2
	s_wait_xcnt 0x0
	s_add_nc_u64 s[30:31], s[30:31], 24
	s_cmp_eq_u32 s42, 0
	s_wait_kmcnt 0x0
	v_mul_hi_u32 v3, s61, v1
	s_delay_alu instid0(VALU_DEP_1) | instskip(NEXT) | instid1(VALU_DEP_1)
	v_add_nc_u32_e32 v3, v1, v3
	v_lshrrev_b32_e32 v3, s62, v3
	s_delay_alu instid0(VALU_DEP_1) | instskip(SKIP_2) | instid1(VALU_DEP_1)
	v_mul_hi_u32 v5, s58, v3
	v_mul_lo_u32 v6, v3, s60
	s_load_b96 s[60:62], s[28:29], 0xec
	v_dual_add_nc_u32 v5, v3, v5 :: v_dual_sub_nc_u32 v6, v1, v6
	s_delay_alu instid0(VALU_DEP_1) | instskip(SKIP_1) | instid1(VALU_DEP_2)
	v_lshrrev_b32_e32 v1, s59, v5
	s_load_b64 s[58:59], s[28:29], 0xfc
	v_mad_u32 v2, v6, s57, v2
	s_wait_xcnt 0x0
	s_add_nc_u64 s[28:29], s[28:29], 32
	v_mul_lo_u32 v5, v1, s63
	s_wait_kmcnt 0x0
	v_mad_u32 v4, v6, s61, v4
	v_mad_u32 v6, v6, s60, v8
	s_delay_alu instid0(VALU_DEP_3) | instskip(NEXT) | instid1(VALU_DEP_1)
	v_sub_nc_u32_e32 v3, v3, v5
	v_mad_u32 v2, v3, s62, v2
	s_delay_alu instid0(VALU_DEP_4) | instskip(NEXT) | instid1(VALU_DEP_4)
	v_mad_u32 v4, v3, s59, v4
	v_mad_u32 v8, v3, s58, v6
	s_cbranch_scc0 .LBB71_1235
; %bb.1236:
	s_bitcmp1_b32 s40, 0
	s_cselect_b32 s40, -1, 0
	s_delay_alu instid0(SALU_CYCLE_1)
	s_and_b32 vcc_lo, exec_lo, s40
	s_cbranch_vccnz .LBB71_1240
; %bb.1237:
	s_load_b96 s[60:62], s[30:31], 0x4
	s_load_b32 s40, s[28:29], 0xe4
	s_wait_xcnt 0x0
	s_load_b64 s[30:31], s[28:29], 0xec
	s_wait_kmcnt 0x0
	v_mul_hi_u32 v3, s61, v1
	s_delay_alu instid0(VALU_DEP_1) | instskip(NEXT) | instid1(VALU_DEP_1)
	v_add_nc_u32_e32 v3, v1, v3
	v_lshrrev_b32_e32 v3, s62, v3
	s_delay_alu instid0(VALU_DEP_1) | instskip(NEXT) | instid1(VALU_DEP_1)
	v_mul_lo_u32 v3, v3, s60
	v_sub_nc_u32_e32 v1, v1, v3
	s_delay_alu instid0(VALU_DEP_1)
	v_mad_u32 v2, v1, s40, v2
	v_mad_u32 v8, v1, s30, v8
	;; [unrolled: 1-line block ×3, first 2 shown]
	s_branch .LBB71_1240
.LBB71_1238:
	s_mov_b32 s28, -1
                                        ; implicit-def: $vgpr4
                                        ; implicit-def: $vgpr8
                                        ; implicit-def: $vgpr2
	s_branch .LBB71_1241
.LBB71_1239:
	s_wait_loadcnt 0x0
	v_dual_mov_b32 v4, 0 :: v_dual_mov_b32 v8, 0
	v_mov_b32_e32 v2, 0
.LBB71_1240:
	s_mov_b32 s28, 0
.LBB71_1241:
	s_delay_alu instid0(SALU_CYCLE_1)
	s_and_not1_b32 vcc_lo, exec_lo, s28
	s_cbranch_vccnz .LBB71_1244
; %bb.1242:
	v_mov_b32_e32 v1, 0
	s_and_not1_b32 vcc_lo, exec_lo, s39
	s_delay_alu instid0(VALU_DEP_1) | instskip(NEXT) | instid1(VALU_DEP_1)
	v_mul_u64_e32 v[2:3], s[22:23], v[0:1]
	v_add_nc_u32_e32 v2, v0, v3
	s_delay_alu instid0(VALU_DEP_1) | instskip(NEXT) | instid1(VALU_DEP_1)
	v_lshrrev_b32_e32 v6, s10, v2
	v_mul_lo_u32 v2, v6, s8
	s_delay_alu instid0(VALU_DEP_1) | instskip(NEXT) | instid1(VALU_DEP_1)
	v_sub_nc_u32_e32 v0, v0, v2
	v_mul_lo_u32 v2, v0, s38
	s_wait_loadcnt 0x0
	v_mul_lo_u32 v4, v0, s17
	v_mul_lo_u32 v8, v0, s16
	s_cbranch_vccnz .LBB71_1244
; %bb.1243:
	v_mov_b32_e32 v7, v1
	s_delay_alu instid0(VALU_DEP_1) | instskip(NEXT) | instid1(VALU_DEP_1)
	v_mul_u64_e32 v[0:1], s[26:27], v[6:7]
	v_add_nc_u32_e32 v0, v6, v1
	s_delay_alu instid0(VALU_DEP_1) | instskip(NEXT) | instid1(VALU_DEP_1)
	v_lshrrev_b32_e32 v0, s1, v0
	v_mul_lo_u32 v0, v0, s11
	s_delay_alu instid0(VALU_DEP_1) | instskip(NEXT) | instid1(VALU_DEP_1)
	v_sub_nc_u32_e32 v0, v6, v0
	v_mad_u32 v2, v0, s18, v2
	v_mad_u32 v8, v0, s24, v8
	;; [unrolled: 1-line block ×3, first 2 shown]
.LBB71_1244:
	s_and_b32 s10, s37, 0xff
	s_delay_alu instid0(SALU_CYCLE_1)
	s_cmp_lt_i32 s10, 23
	s_cbranch_scc1 .LBB71_1248
; %bb.1245:
	s_and_b32 s11, 0xffff, s10
	s_delay_alu instid0(SALU_CYCLE_1)
	s_cmp_gt_i32 s11, 43
	s_cbranch_scc0 .LBB71_1249
; %bb.1246:
	s_cmp_gt_i32 s11, 45
	s_cbranch_scc0 .LBB71_1251
; %bb.1247:
	s_cmp_lg_u32 s11, 46
	s_mov_b32 s16, 0
	s_cselect_b32 s1, -1, 0
	s_and_not1_b32 s8, s0, exec_lo
	s_and_b32 s17, s1, exec_lo
	s_mov_b32 s1, -1
	s_or_b32 s8, s8, s17
	s_branch .LBB71_1252
.LBB71_1248:
	s_mov_b32 s11, -1
	s_mov_b32 s1, 0
	s_mov_b32 s8, s0
	s_branch .LBB71_1258
.LBB71_1249:
	s_mov_b32 s16, -1
	s_mov_b32 s1, 0
	s_mov_b32 s8, s0
	s_branch .LBB71_1255
.LBB71_1250:
	s_mov_b32 s31, 0
	s_branch .LBB71_858
.LBB71_1251:
	s_mov_b32 s16, -1
	s_mov_b32 s1, 0
	s_mov_b32 s8, s0
.LBB71_1252:
	s_and_not1_b32 vcc_lo, exec_lo, s16
	s_cbranch_vccnz .LBB71_1254
; %bb.1253:
	s_cmp_eq_u32 s11, 44
	s_cselect_b32 s1, -1, 0
	s_cmp_lg_u32 s11, 44
	s_cselect_b32 s16, -1, 0
	s_and_not1_b32 s8, s8, exec_lo
	s_and_b32 s16, s16, exec_lo
	s_delay_alu instid0(SALU_CYCLE_1)
	s_or_b32 s8, s8, s16
.LBB71_1254:
	s_mov_b32 s16, 0
.LBB71_1255:
	s_delay_alu instid0(SALU_CYCLE_1)
	s_and_b32 vcc_lo, exec_lo, s16
	s_cbranch_vccz .LBB71_1257
; %bb.1256:
	s_cmp_lt_i32 s11, 30
	s_cselect_b32 s1, -1, 0
	s_cmp_gt_i32 s11, 29
	s_cselect_b32 s11, -1, 0
	s_and_not1_b32 s8, s8, exec_lo
	s_and_b32 s11, s11, exec_lo
	s_delay_alu instid0(SALU_CYCLE_1)
	s_or_b32 s8, s8, s11
.LBB71_1257:
	s_mov_b32 s11, 0
.LBB71_1258:
	s_delay_alu instid0(SALU_CYCLE_1)
	s_and_b32 vcc_lo, exec_lo, s11
	s_cbranch_vccz .LBB71_1263
; %bb.1259:
	s_and_b32 s10, 0xffff, s10
	s_mov_b32 s11, -1
	s_cmp_gt_i32 s10, 14
	s_cbranch_scc0 .LBB71_1261
; %bb.1260:
	s_cmp_eq_u32 s10, 15
	s_cselect_b32 s1, -1, 0
	s_cmp_lg_u32 s10, 15
	s_cselect_b32 s11, -1, 0
	s_and_not1_b32 s8, s8, exec_lo
	s_and_b32 s16, s11, exec_lo
	s_mov_b32 s11, 0
	s_or_b32 s8, s8, s16
.LBB71_1261:
	s_and_not1_b32 vcc_lo, exec_lo, s11
	s_cbranch_vccnz .LBB71_1263
; %bb.1262:
	s_cmp_lt_i32 s10, 12
	s_cselect_b32 s1, -1, 0
	s_cmp_gt_i32 s10, 11
	s_cselect_b32 s10, -1, 0
	s_and_not1_b32 s8, s8, exec_lo
	s_and_b32 s10, s10, exec_lo
	s_delay_alu instid0(SALU_CYCLE_1)
	s_or_b32 s8, s8, s10
.LBB71_1263:
	s_and_not1_b32 s10, s0, exec_lo
	s_and_b32 s8, s8, exec_lo
	s_and_b32 s28, s1, exec_lo
	s_or_b32 s29, s10, s8
.LBB71_1264:
	s_or_b32 exec_lo, exec_lo, s41
	s_delay_alu instid0(SALU_CYCLE_1)
	s_and_not1_b32 s0, s0, exec_lo
	s_and_b32 s1, s29, exec_lo
	s_and_b32 s28, s28, exec_lo
	s_or_b32 s0, s0, s1
.LBB71_1265:
	s_or_b32 exec_lo, exec_lo, s53
	s_delay_alu instid0(SALU_CYCLE_1)
	s_and_not1_b32 s1, s49, exec_lo
	s_and_b32 s8, s56, exec_lo
	s_and_not1_b32 s10, s51, exec_lo
	s_or_b32 s49, s1, s8
	s_and_not1_b32 s1, s50, exec_lo
	s_and_b32 s8, s54, exec_lo
	s_and_b32 s11, s55, exec_lo
	s_or_b32 s50, s1, s8
	s_and_not1_b32 s1, s48, exec_lo
	s_and_b32 s8, s0, exec_lo
	s_or_b32 s51, s10, s11
	s_and_b32 s0, s28, exec_lo
	s_or_b32 s48, s1, s8
.LBB71_1266:
	s_or_b32 exec_lo, exec_lo, s52
	s_delay_alu instid0(SALU_CYCLE_1)
	s_and_not1_b32 s1, s43, exec_lo
	s_and_b32 s8, s49, exec_lo
	s_and_not1_b32 s10, s45, exec_lo
	s_or_b32 s43, s1, s8
	s_and_not1_b32 s1, s44, exec_lo
	s_and_b32 s8, s50, exec_lo
	s_and_b32 s11, s51, exec_lo
	s_or_b32 s44, s1, s8
	s_and_not1_b32 s1, s46, exec_lo
	s_and_b32 s8, s48, exec_lo
	s_or_b32 s45, s10, s11
	s_and_b32 s23, s0, exec_lo
	s_or_b32 s46, s1, s8
.LBB71_1267:
	s_or_b32 exec_lo, exec_lo, s47
	s_mov_b32 s11, 0
	s_mov_b32 s1, 0
	s_and_saveexec_b32 s0, s46
	s_cbranch_execnz .LBB71_1282
.LBB71_1268:
	s_or_b32 exec_lo, exec_lo, s0
	s_mov_b32 s16, 0
	s_mov_b32 s10, 0
                                        ; implicit-def: $sgpr0
                                        ; implicit-def: $vgpr6_vgpr7
                                        ; implicit-def: $vgpr0_vgpr1
	s_and_saveexec_b32 s8, s23
	s_cbranch_execz .LBB71_1276
; %bb.1269:
	s_wait_loadcnt 0x0
	v_mov_b32_e32 v9, 0
	s_and_b32 s0, s36, 0xff
	s_delay_alu instid0(SALU_CYCLE_1) | instskip(NEXT) | instid1(VALU_DEP_1)
	s_cmp_lt_i32 s0, 11
	v_add_nc_u64_e32 v[6:7], s[4:5], v[8:9]
	s_cbranch_scc1 .LBB71_1279
; %bb.1270:
	s_and_b32 s4, 0xffff, s0
	s_delay_alu instid0(SALU_CYCLE_1)
	s_cmp_gt_i32 s4, 25
	s_cbranch_scc0 .LBB71_1280
; %bb.1271:
	s_cmp_gt_i32 s4, 28
	s_cbranch_scc0 .LBB71_1281
; %bb.1272:
	;; [unrolled: 3-line block ×4, first 2 shown]
	s_cmp_eq_u32 s4, 46
	s_cbranch_scc0 .LBB71_1285
; %bb.1275:
	global_load_b32 v0, v[6:7], off
	s_mov_b32 s5, 0
	s_mov_b32 s10, -1
	s_wait_loadcnt 0x0
	v_lshlrev_b32_e32 v0, 16, v0
	s_delay_alu instid0(VALU_DEP_1) | instskip(NEXT) | instid1(VALU_DEP_1)
	v_trunc_f32_e32 v0, v0
	v_mul_f32_e64 v1, 0x2f800000, |v0|
	s_delay_alu instid0(VALU_DEP_1) | instskip(NEXT) | instid1(VALU_DEP_1)
	v_floor_f32_e32 v1, v1
	v_fma_f32 v3, 0xcf800000, v1, |v0|
	v_ashrrev_i32_e32 v0, 31, v0
	v_cvt_u32_f32_e32 v5, v1
	s_delay_alu instid0(VALU_DEP_3) | instskip(NEXT) | instid1(VALU_DEP_2)
	v_cvt_u32_f32_e32 v3, v3
	v_dual_mov_b32 v1, v0 :: v_dual_bitop2_b32 v9, v5, v0 bitop3:0x14
	s_delay_alu instid0(VALU_DEP_2) | instskip(NEXT) | instid1(VALU_DEP_1)
	v_xor_b32_e32 v8, v3, v0
	v_sub_nc_u64_e32 v[0:1], v[8:9], v[0:1]
	s_branch .LBB71_1287
.LBB71_1276:
	s_or_b32 exec_lo, exec_lo, s8
	s_and_saveexec_b32 s4, s45
	s_cbranch_execnz .LBB71_1346
.LBB71_1277:
	s_or_b32 exec_lo, exec_lo, s4
	s_and_saveexec_b32 s4, s11
	s_delay_alu instid0(SALU_CYCLE_1)
	s_xor_b32 s4, exec_lo, s4
	s_cbranch_execz .LBB71_1347
.LBB71_1278:
	s_wait_loadcnt 0x0
	global_load_u8 v0, v[6:7], off
	s_mov_b32 s5, 0
	s_or_b32 s10, s10, exec_lo
	v_mov_b32_e32 v1, s5
	s_wait_loadcnt 0x0
	v_cmp_ne_u16_e32 vcc_lo, 0, v0
	v_cndmask_b32_e64 v0, 0, 1, vcc_lo
	s_wait_xcnt 0x0
	s_or_b32 exec_lo, exec_lo, s4
	s_and_saveexec_b32 s4, s16
	s_cbranch_execz .LBB71_1393
	s_branch .LBB71_1348
.LBB71_1279:
	s_mov_b32 s4, -1
	s_mov_b32 s5, s45
                                        ; implicit-def: $vgpr0_vgpr1
	s_branch .LBB71_1345
.LBB71_1280:
	s_mov_b32 s5, s45
                                        ; implicit-def: $vgpr0_vgpr1
	s_cbranch_execnz .LBB71_1314
	s_branch .LBB71_1344
.LBB71_1281:
	s_mov_b32 s16, -1
	s_mov_b32 s5, s45
                                        ; implicit-def: $vgpr0_vgpr1
	s_branch .LBB71_1297
.LBB71_1282:
	s_mov_b32 s1, exec_lo
	s_and_not1_b32 s23, s23, exec_lo
	s_trap 2
	s_branch .LBB71_1268
.LBB71_1283:
	s_mov_b32 s16, -1
	s_mov_b32 s5, s45
                                        ; implicit-def: $vgpr0_vgpr1
	s_branch .LBB71_1292
.LBB71_1284:
	s_mov_b32 s16, -1
	s_mov_b32 s5, s45
	s_branch .LBB71_1286
.LBB71_1285:
	s_mov_b32 s5, -1
.LBB71_1286:
                                        ; implicit-def: $vgpr0_vgpr1
.LBB71_1287:
	s_and_b32 vcc_lo, exec_lo, s16
	s_cbranch_vccz .LBB71_1291
; %bb.1288:
	s_cmp_eq_u32 s4, 44
	s_cbranch_scc0 .LBB71_1290
; %bb.1289:
	global_load_u8 v3, v[6:7], off
	s_mov_b32 s5, 0
	s_mov_b32 s10, -1
	s_wait_loadcnt 0x0
	v_cmp_ne_u32_e32 vcc_lo, 0, v3
	v_lshlrev_b32_e32 v0, 23, v3
	s_delay_alu instid0(VALU_DEP_1) | instskip(NEXT) | instid1(VALU_DEP_1)
	v_trunc_f32_e32 v0, v0
	v_mul_f32_e64 v1, 0x2f800000, |v0|
	s_delay_alu instid0(VALU_DEP_1) | instskip(NEXT) | instid1(VALU_DEP_1)
	v_floor_f32_e32 v1, v1
	v_fma_f32 v5, 0xcf800000, v1, |v0|
	v_ashrrev_i32_e32 v0, 31, v0
	v_cvt_u32_f32_e32 v8, v1
	s_delay_alu instid0(VALU_DEP_3) | instskip(NEXT) | instid1(VALU_DEP_3)
	v_cvt_u32_f32_e32 v5, v5
	v_mov_b32_e32 v1, v0
	s_delay_alu instid0(VALU_DEP_3) | instskip(NEXT) | instid1(VALU_DEP_3)
	v_xor_b32_e32 v9, v8, v0
	v_xor_b32_e32 v8, v5, v0
	s_delay_alu instid0(VALU_DEP_1) | instskip(NEXT) | instid1(VALU_DEP_1)
	v_sub_nc_u64_e32 v[0:1], v[8:9], v[0:1]
	v_dual_cndmask_b32 v1, 0, v1 :: v_dual_cndmask_b32 v0, 0, v0
	s_branch .LBB71_1291
.LBB71_1290:
	s_mov_b32 s5, -1
                                        ; implicit-def: $vgpr0_vgpr1
.LBB71_1291:
	s_mov_b32 s16, 0
.LBB71_1292:
	s_delay_alu instid0(SALU_CYCLE_1)
	s_and_b32 vcc_lo, exec_lo, s16
	s_cbranch_vccz .LBB71_1296
; %bb.1293:
	s_cmp_eq_u32 s4, 29
	s_cbranch_scc0 .LBB71_1295
; %bb.1294:
	global_load_b64 v[0:1], v[6:7], off
	s_mov_b32 s5, 0
	s_mov_b32 s10, -1
	s_branch .LBB71_1296
.LBB71_1295:
	s_mov_b32 s5, -1
                                        ; implicit-def: $vgpr0_vgpr1
.LBB71_1296:
	s_mov_b32 s16, 0
.LBB71_1297:
	s_delay_alu instid0(SALU_CYCLE_1)
	s_and_b32 vcc_lo, exec_lo, s16
	s_cbranch_vccz .LBB71_1313
; %bb.1298:
	s_cmp_lt_i32 s4, 27
	s_cbranch_scc1 .LBB71_1301
; %bb.1299:
	s_cmp_gt_i32 s4, 27
	s_cbranch_scc0 .LBB71_1302
; %bb.1300:
	s_wait_loadcnt 0x0
	global_load_b32 v0, v[6:7], off
	v_mov_b32_e32 v1, 0
	s_mov_b32 s10, 0
	s_branch .LBB71_1303
.LBB71_1301:
	s_mov_b32 s10, -1
                                        ; implicit-def: $vgpr0_vgpr1
	s_branch .LBB71_1306
.LBB71_1302:
	s_mov_b32 s10, -1
                                        ; implicit-def: $vgpr0_vgpr1
.LBB71_1303:
	s_delay_alu instid0(SALU_CYCLE_1)
	s_and_not1_b32 vcc_lo, exec_lo, s10
	s_cbranch_vccnz .LBB71_1305
; %bb.1304:
	s_wait_loadcnt 0x0
	global_load_u16 v0, v[6:7], off
	s_mov_b32 s10, 0
	s_delay_alu instid0(SALU_CYCLE_1)
	v_mov_b32_e32 v1, s10
	s_wait_loadcnt 0x0
	v_and_b32_e32 v0, 0xffff, v0
.LBB71_1305:
	s_mov_b32 s10, 0
.LBB71_1306:
	s_delay_alu instid0(SALU_CYCLE_1)
	s_and_not1_b32 vcc_lo, exec_lo, s10
	s_cbranch_vccnz .LBB71_1312
; %bb.1307:
	global_load_u8 v3, v[6:7], off
	s_mov_b32 s16, 0
	s_mov_b32 s10, exec_lo
	s_wait_loadcnt 0x0
	v_cmpx_lt_i16_e32 0x7f, v3
	s_xor_b32 s10, exec_lo, s10
	s_cbranch_execz .LBB71_1323
; %bb.1308:
	v_cmp_ne_u16_e32 vcc_lo, 0x80, v3
	s_and_b32 s16, vcc_lo, exec_lo
	s_and_not1_saveexec_b32 s10, s10
	s_cbranch_execnz .LBB71_1324
.LBB71_1309:
	s_or_b32 exec_lo, exec_lo, s10
	v_mov_b64_e32 v[0:1], 0
	s_and_saveexec_b32 s10, s16
	s_cbranch_execz .LBB71_1311
.LBB71_1310:
	v_and_b32_e32 v0, 0xffff, v3
	s_delay_alu instid0(VALU_DEP_1) | instskip(SKIP_1) | instid1(VALU_DEP_2)
	v_and_b32_e32 v1, 7, v0
	v_bfe_u32 v9, v0, 3, 4
	v_clz_i32_u32_e32 v5, v1
	s_delay_alu instid0(VALU_DEP_2) | instskip(NEXT) | instid1(VALU_DEP_2)
	v_cmp_eq_u32_e32 vcc_lo, 0, v9
	v_min_u32_e32 v5, 32, v5
	s_delay_alu instid0(VALU_DEP_1) | instskip(NEXT) | instid1(VALU_DEP_1)
	v_subrev_nc_u32_e32 v8, 28, v5
	v_dual_lshlrev_b32 v0, v8, v0 :: v_dual_sub_nc_u32 v5, 29, v5
	s_delay_alu instid0(VALU_DEP_1) | instskip(NEXT) | instid1(VALU_DEP_2)
	v_dual_lshlrev_b32 v3, 24, v3 :: v_dual_bitop2_b32 v0, 7, v0 bitop3:0x40
	v_cndmask_b32_e32 v5, v9, v5, vcc_lo
	s_delay_alu instid0(VALU_DEP_2) | instskip(NEXT) | instid1(VALU_DEP_3)
	v_cndmask_b32_e32 v0, v1, v0, vcc_lo
	v_and_b32_e32 v1, 0x80000000, v3
	s_delay_alu instid0(VALU_DEP_3) | instskip(NEXT) | instid1(VALU_DEP_3)
	v_lshl_add_u32 v3, v5, 23, 0x3b800000
	v_lshlrev_b32_e32 v0, 20, v0
	s_delay_alu instid0(VALU_DEP_1) | instskip(NEXT) | instid1(VALU_DEP_1)
	v_or3_b32 v0, v1, v3, v0
	v_trunc_f32_e32 v0, v0
	s_delay_alu instid0(VALU_DEP_1) | instskip(NEXT) | instid1(VALU_DEP_1)
	v_mul_f32_e64 v1, 0x2f800000, |v0|
	v_floor_f32_e32 v1, v1
	s_delay_alu instid0(VALU_DEP_1) | instskip(SKIP_2) | instid1(VALU_DEP_3)
	v_fma_f32 v3, 0xcf800000, v1, |v0|
	v_ashrrev_i32_e32 v0, 31, v0
	v_cvt_u32_f32_e32 v5, v1
	v_cvt_u32_f32_e32 v3, v3
	s_delay_alu instid0(VALU_DEP_2) | instskip(NEXT) | instid1(VALU_DEP_2)
	v_dual_mov_b32 v1, v0 :: v_dual_bitop2_b32 v9, v5, v0 bitop3:0x14
	v_xor_b32_e32 v8, v3, v0
	s_delay_alu instid0(VALU_DEP_1)
	v_sub_nc_u64_e32 v[0:1], v[8:9], v[0:1]
.LBB71_1311:
	s_or_b32 exec_lo, exec_lo, s10
.LBB71_1312:
	s_mov_b32 s10, -1
.LBB71_1313:
	s_branch .LBB71_1344
.LBB71_1314:
	s_cmp_gt_i32 s4, 22
	s_cbranch_scc0 .LBB71_1322
; %bb.1315:
	s_cmp_lt_i32 s4, 24
	s_cbranch_scc1 .LBB71_1325
; %bb.1316:
	s_cmp_gt_i32 s4, 24
	s_cbranch_scc0 .LBB71_1326
; %bb.1317:
	global_load_u8 v3, v[6:7], off
	s_mov_b32 s10, exec_lo
	s_wait_loadcnt 0x0
	v_cmpx_lt_i16_e32 0x7f, v3
	s_xor_b32 s10, exec_lo, s10
	s_cbranch_execz .LBB71_1338
; %bb.1318:
	v_cmp_ne_u16_e32 vcc_lo, 0x80, v3
	s_and_b32 s11, vcc_lo, exec_lo
	s_and_not1_saveexec_b32 s10, s10
	s_cbranch_execnz .LBB71_1339
.LBB71_1319:
	s_or_b32 exec_lo, exec_lo, s10
	v_mov_b64_e32 v[0:1], 0
	s_and_saveexec_b32 s10, s11
	s_cbranch_execz .LBB71_1321
.LBB71_1320:
	v_and_b32_e32 v0, 0xffff, v3
	s_delay_alu instid0(VALU_DEP_1) | instskip(SKIP_1) | instid1(VALU_DEP_2)
	v_and_b32_e32 v1, 3, v0
	v_bfe_u32 v9, v0, 2, 5
	v_clz_i32_u32_e32 v5, v1
	s_delay_alu instid0(VALU_DEP_2) | instskip(NEXT) | instid1(VALU_DEP_2)
	v_cmp_eq_u32_e32 vcc_lo, 0, v9
	v_min_u32_e32 v5, 32, v5
	s_delay_alu instid0(VALU_DEP_1) | instskip(NEXT) | instid1(VALU_DEP_1)
	v_subrev_nc_u32_e32 v8, 29, v5
	v_dual_lshlrev_b32 v0, v8, v0 :: v_dual_sub_nc_u32 v5, 30, v5
	s_delay_alu instid0(VALU_DEP_1) | instskip(NEXT) | instid1(VALU_DEP_2)
	v_dual_lshlrev_b32 v3, 24, v3 :: v_dual_bitop2_b32 v0, 3, v0 bitop3:0x40
	v_cndmask_b32_e32 v5, v9, v5, vcc_lo
	s_delay_alu instid0(VALU_DEP_2) | instskip(NEXT) | instid1(VALU_DEP_3)
	v_cndmask_b32_e32 v0, v1, v0, vcc_lo
	v_and_b32_e32 v1, 0x80000000, v3
	s_delay_alu instid0(VALU_DEP_3) | instskip(NEXT) | instid1(VALU_DEP_3)
	v_lshl_add_u32 v3, v5, 23, 0x37800000
	v_lshlrev_b32_e32 v0, 21, v0
	s_delay_alu instid0(VALU_DEP_1) | instskip(NEXT) | instid1(VALU_DEP_1)
	v_or3_b32 v0, v1, v3, v0
	v_trunc_f32_e32 v0, v0
	s_delay_alu instid0(VALU_DEP_1) | instskip(NEXT) | instid1(VALU_DEP_1)
	v_mul_f32_e64 v1, 0x2f800000, |v0|
	v_floor_f32_e32 v1, v1
	s_delay_alu instid0(VALU_DEP_1) | instskip(SKIP_2) | instid1(VALU_DEP_3)
	v_fma_f32 v3, 0xcf800000, v1, |v0|
	v_ashrrev_i32_e32 v0, 31, v0
	v_cvt_u32_f32_e32 v5, v1
	v_cvt_u32_f32_e32 v3, v3
	s_delay_alu instid0(VALU_DEP_2) | instskip(NEXT) | instid1(VALU_DEP_2)
	v_dual_mov_b32 v1, v0 :: v_dual_bitop2_b32 v9, v5, v0 bitop3:0x14
	v_xor_b32_e32 v8, v3, v0
	s_delay_alu instid0(VALU_DEP_1)
	v_sub_nc_u64_e32 v[0:1], v[8:9], v[0:1]
.LBB71_1321:
	s_or_b32 exec_lo, exec_lo, s10
	s_mov_b32 s10, 0
	s_branch .LBB71_1327
.LBB71_1322:
	s_mov_b32 s11, -1
                                        ; implicit-def: $vgpr0_vgpr1
	s_branch .LBB71_1333
.LBB71_1323:
	s_and_not1_saveexec_b32 s10, s10
	s_cbranch_execz .LBB71_1309
.LBB71_1324:
	v_cmp_ne_u16_e32 vcc_lo, 0, v3
	s_and_not1_b32 s16, s16, exec_lo
	s_and_b32 s17, vcc_lo, exec_lo
	s_delay_alu instid0(SALU_CYCLE_1)
	s_or_b32 s16, s16, s17
	s_or_b32 exec_lo, exec_lo, s10
	v_mov_b64_e32 v[0:1], 0
	s_and_saveexec_b32 s10, s16
	s_cbranch_execnz .LBB71_1310
	s_branch .LBB71_1311
.LBB71_1325:
	s_mov_b32 s10, -1
                                        ; implicit-def: $vgpr0_vgpr1
	s_branch .LBB71_1330
.LBB71_1326:
	s_mov_b32 s10, -1
                                        ; implicit-def: $vgpr0_vgpr1
.LBB71_1327:
	s_delay_alu instid0(SALU_CYCLE_1)
	s_and_b32 vcc_lo, exec_lo, s10
	s_cbranch_vccz .LBB71_1329
; %bb.1328:
	s_wait_loadcnt 0x0
	global_load_u8 v0, v[6:7], off
	s_wait_loadcnt 0x0
	v_lshlrev_b32_e32 v0, 24, v0
	s_delay_alu instid0(VALU_DEP_1) | instskip(NEXT) | instid1(VALU_DEP_1)
	v_and_b32_e32 v1, 0x7f000000, v0
	v_clz_i32_u32_e32 v3, v1
	v_cmp_ne_u32_e32 vcc_lo, 0, v1
	v_add_nc_u32_e32 v8, 0x1000000, v1
	s_delay_alu instid0(VALU_DEP_3) | instskip(NEXT) | instid1(VALU_DEP_1)
	v_min_u32_e32 v3, 32, v3
	v_sub_nc_u32_e64 v3, v3, 4 clamp
	s_delay_alu instid0(VALU_DEP_1) | instskip(NEXT) | instid1(VALU_DEP_1)
	v_dual_lshlrev_b32 v5, v3, v1 :: v_dual_lshlrev_b32 v3, 23, v3
	v_lshrrev_b32_e32 v5, 4, v5
	s_delay_alu instid0(VALU_DEP_1) | instskip(NEXT) | instid1(VALU_DEP_1)
	v_dual_sub_nc_u32 v3, v5, v3 :: v_dual_ashrrev_i32 v5, 8, v8
	v_add_nc_u32_e32 v3, 0x3c000000, v3
	s_delay_alu instid0(VALU_DEP_1) | instskip(NEXT) | instid1(VALU_DEP_1)
	v_and_or_b32 v3, 0x7f800000, v5, v3
	v_cndmask_b32_e32 v1, 0, v3, vcc_lo
	s_delay_alu instid0(VALU_DEP_1) | instskip(NEXT) | instid1(VALU_DEP_1)
	v_and_or_b32 v0, 0x80000000, v0, v1
	v_trunc_f32_e32 v0, v0
	s_delay_alu instid0(VALU_DEP_1) | instskip(NEXT) | instid1(VALU_DEP_1)
	v_mul_f32_e64 v1, 0x2f800000, |v0|
	v_floor_f32_e32 v1, v1
	s_delay_alu instid0(VALU_DEP_1) | instskip(SKIP_2) | instid1(VALU_DEP_3)
	v_fma_f32 v3, 0xcf800000, v1, |v0|
	v_ashrrev_i32_e32 v0, 31, v0
	v_cvt_u32_f32_e32 v5, v1
	v_cvt_u32_f32_e32 v3, v3
	s_delay_alu instid0(VALU_DEP_2) | instskip(NEXT) | instid1(VALU_DEP_2)
	v_dual_mov_b32 v1, v0 :: v_dual_bitop2_b32 v9, v5, v0 bitop3:0x14
	v_xor_b32_e32 v8, v3, v0
	s_delay_alu instid0(VALU_DEP_1)
	v_sub_nc_u64_e32 v[0:1], v[8:9], v[0:1]
.LBB71_1329:
	s_mov_b32 s10, 0
.LBB71_1330:
	s_delay_alu instid0(SALU_CYCLE_1)
	s_and_not1_b32 vcc_lo, exec_lo, s10
	s_cbranch_vccnz .LBB71_1332
; %bb.1331:
	s_wait_loadcnt 0x0
	global_load_u8 v0, v[6:7], off
	s_wait_loadcnt 0x0
	v_lshlrev_b32_e32 v1, 25, v0
	v_lshlrev_b16 v0, 8, v0
	s_delay_alu instid0(VALU_DEP_1) | instskip(SKIP_1) | instid1(VALU_DEP_2)
	v_and_or_b32 v5, 0x7f00, v0, 0.5
	v_bfe_i32 v0, v0, 0, 16
	v_add_f32_e32 v5, -0.5, v5
	v_lshrrev_b32_e32 v3, 4, v1
	v_cmp_gt_u32_e32 vcc_lo, 0x8000000, v1
	s_delay_alu instid0(VALU_DEP_2) | instskip(NEXT) | instid1(VALU_DEP_1)
	v_or_b32_e32 v3, 0x70000000, v3
	v_mul_f32_e32 v3, 0x7800000, v3
	s_delay_alu instid0(VALU_DEP_1) | instskip(NEXT) | instid1(VALU_DEP_1)
	v_cndmask_b32_e32 v1, v3, v5, vcc_lo
	v_and_or_b32 v0, 0x80000000, v0, v1
	s_delay_alu instid0(VALU_DEP_1) | instskip(NEXT) | instid1(VALU_DEP_1)
	v_trunc_f32_e32 v0, v0
	v_mul_f32_e64 v1, 0x2f800000, |v0|
	s_delay_alu instid0(VALU_DEP_1) | instskip(NEXT) | instid1(VALU_DEP_1)
	v_floor_f32_e32 v1, v1
	v_fma_f32 v3, 0xcf800000, v1, |v0|
	v_ashrrev_i32_e32 v0, 31, v0
	v_cvt_u32_f32_e32 v5, v1
	s_delay_alu instid0(VALU_DEP_3) | instskip(NEXT) | instid1(VALU_DEP_2)
	v_cvt_u32_f32_e32 v3, v3
	v_dual_mov_b32 v1, v0 :: v_dual_bitop2_b32 v9, v5, v0 bitop3:0x14
	s_delay_alu instid0(VALU_DEP_2) | instskip(NEXT) | instid1(VALU_DEP_1)
	v_xor_b32_e32 v8, v3, v0
	v_sub_nc_u64_e32 v[0:1], v[8:9], v[0:1]
.LBB71_1332:
	s_mov_b32 s11, 0
	s_mov_b32 s10, -1
.LBB71_1333:
	s_and_not1_b32 vcc_lo, exec_lo, s11
	s_mov_b32 s11, 0
	s_cbranch_vccnz .LBB71_1344
; %bb.1334:
	s_cmp_gt_i32 s4, 14
	s_cbranch_scc0 .LBB71_1337
; %bb.1335:
	s_cmp_eq_u32 s4, 15
	s_cbranch_scc0 .LBB71_1340
; %bb.1336:
	s_wait_loadcnt 0x0
	global_load_u16 v0, v[6:7], off
	s_mov_b32 s5, 0
	s_mov_b32 s10, -1
	s_wait_loadcnt 0x0
	v_lshlrev_b32_e32 v0, 16, v0
	s_delay_alu instid0(VALU_DEP_1) | instskip(NEXT) | instid1(VALU_DEP_1)
	v_trunc_f32_e32 v0, v0
	v_mul_f32_e64 v1, 0x2f800000, |v0|
	s_delay_alu instid0(VALU_DEP_1) | instskip(NEXT) | instid1(VALU_DEP_1)
	v_floor_f32_e32 v1, v1
	v_fma_f32 v3, 0xcf800000, v1, |v0|
	v_ashrrev_i32_e32 v0, 31, v0
	v_cvt_u32_f32_e32 v5, v1
	s_delay_alu instid0(VALU_DEP_3) | instskip(NEXT) | instid1(VALU_DEP_2)
	v_cvt_u32_f32_e32 v3, v3
	v_dual_mov_b32 v1, v0 :: v_dual_bitop2_b32 v9, v5, v0 bitop3:0x14
	s_delay_alu instid0(VALU_DEP_2) | instskip(NEXT) | instid1(VALU_DEP_1)
	v_xor_b32_e32 v8, v3, v0
	v_sub_nc_u64_e32 v[0:1], v[8:9], v[0:1]
	s_branch .LBB71_1342
.LBB71_1337:
	s_mov_b32 s11, -1
	s_branch .LBB71_1341
.LBB71_1338:
	s_and_not1_saveexec_b32 s10, s10
	s_cbranch_execz .LBB71_1319
.LBB71_1339:
	v_cmp_ne_u16_e32 vcc_lo, 0, v3
	s_and_not1_b32 s11, s11, exec_lo
	s_and_b32 s16, vcc_lo, exec_lo
	s_delay_alu instid0(SALU_CYCLE_1)
	s_or_b32 s11, s11, s16
	s_or_b32 exec_lo, exec_lo, s10
	v_mov_b64_e32 v[0:1], 0
	s_and_saveexec_b32 s10, s11
	s_cbranch_execnz .LBB71_1320
	s_branch .LBB71_1321
.LBB71_1340:
	s_mov_b32 s5, -1
.LBB71_1341:
                                        ; implicit-def: $vgpr0_vgpr1
.LBB71_1342:
	s_and_b32 vcc_lo, exec_lo, s11
	s_mov_b32 s11, 0
	s_cbranch_vccz .LBB71_1344
; %bb.1343:
	s_cmp_lg_u32 s4, 11
	s_mov_b32 s11, -1
	s_cselect_b32 s4, -1, 0
	s_and_not1_b32 s5, s5, exec_lo
	s_and_b32 s4, s4, exec_lo
	s_delay_alu instid0(SALU_CYCLE_1)
	s_or_b32 s5, s5, s4
.LBB71_1344:
	s_mov_b32 s4, 0
.LBB71_1345:
	s_delay_alu instid0(SALU_CYCLE_1)
	s_and_b32 s16, s4, exec_lo
	s_and_not1_b32 s4, s45, exec_lo
	s_and_b32 s5, s5, exec_lo
	s_and_b32 s10, s10, exec_lo
	;; [unrolled: 1-line block ×3, first 2 shown]
	s_or_b32 s45, s4, s5
	s_wait_xcnt 0x0
	s_or_b32 exec_lo, exec_lo, s8
	s_and_saveexec_b32 s4, s45
	s_cbranch_execz .LBB71_1277
.LBB71_1346:
	s_or_b32 s1, s1, exec_lo
	s_and_not1_b32 s11, s11, exec_lo
	s_trap 2
	s_or_b32 exec_lo, exec_lo, s4
	s_and_saveexec_b32 s4, s11
	s_delay_alu instid0(SALU_CYCLE_1)
	s_xor_b32 s4, exec_lo, s4
	s_cbranch_execnz .LBB71_1278
.LBB71_1347:
	s_or_b32 exec_lo, exec_lo, s4
	s_and_saveexec_b32 s4, s16
	s_cbranch_execz .LBB71_1393
.LBB71_1348:
	s_sext_i32_i16 s5, s0
	s_delay_alu instid0(SALU_CYCLE_1)
	s_cmp_lt_i32 s5, 5
	s_cbranch_scc1 .LBB71_1353
; %bb.1349:
	s_cmp_lt_i32 s5, 8
	s_cbranch_scc1 .LBB71_1354
; %bb.1350:
	;; [unrolled: 3-line block ×3, first 2 shown]
	s_cmp_gt_i32 s5, 9
	s_cbranch_scc0 .LBB71_1356
; %bb.1352:
	s_wait_loadcnt 0x0
	global_load_b64 v[0:1], v[6:7], off
	s_mov_b32 s5, 0
	s_wait_loadcnt 0x0
	v_trunc_f64_e32 v[0:1], v[0:1]
	s_delay_alu instid0(VALU_DEP_1) | instskip(NEXT) | instid1(VALU_DEP_1)
	v_ldexp_f64 v[8:9], v[0:1], 0xffffffe0
	v_floor_f64_e32 v[8:9], v[8:9]
	s_delay_alu instid0(VALU_DEP_1) | instskip(SKIP_1) | instid1(VALU_DEP_2)
	v_fmamk_f64 v[10:11], v[8:9], 0xc1f00000, v[0:1]
	v_cvt_i32_f64_e32 v1, v[8:9]
	v_cvt_u32_f64_e32 v0, v[10:11]
	s_branch .LBB71_1357
.LBB71_1353:
                                        ; implicit-def: $vgpr0_vgpr1
	s_branch .LBB71_1374
.LBB71_1354:
                                        ; implicit-def: $vgpr0_vgpr1
	s_branch .LBB71_1363
.LBB71_1355:
	s_mov_b32 s5, -1
                                        ; implicit-def: $vgpr0_vgpr1
	s_branch .LBB71_1360
.LBB71_1356:
	s_mov_b32 s5, -1
                                        ; implicit-def: $vgpr0_vgpr1
.LBB71_1357:
	s_delay_alu instid0(SALU_CYCLE_1)
	s_and_not1_b32 vcc_lo, exec_lo, s5
	s_cbranch_vccnz .LBB71_1359
; %bb.1358:
	s_wait_loadcnt 0x0
	global_load_b32 v0, v[6:7], off
	s_wait_loadcnt 0x0
	v_trunc_f32_e32 v0, v0
	s_delay_alu instid0(VALU_DEP_1) | instskip(NEXT) | instid1(VALU_DEP_1)
	v_mul_f32_e64 v1, 0x2f800000, |v0|
	v_floor_f32_e32 v1, v1
	s_delay_alu instid0(VALU_DEP_1) | instskip(SKIP_2) | instid1(VALU_DEP_3)
	v_fma_f32 v3, 0xcf800000, v1, |v0|
	v_ashrrev_i32_e32 v0, 31, v0
	v_cvt_u32_f32_e32 v5, v1
	v_cvt_u32_f32_e32 v3, v3
	s_delay_alu instid0(VALU_DEP_2) | instskip(NEXT) | instid1(VALU_DEP_2)
	v_dual_mov_b32 v1, v0 :: v_dual_bitop2_b32 v9, v5, v0 bitop3:0x14
	v_xor_b32_e32 v8, v3, v0
	s_delay_alu instid0(VALU_DEP_1)
	v_sub_nc_u64_e32 v[0:1], v[8:9], v[0:1]
.LBB71_1359:
	s_mov_b32 s5, 0
.LBB71_1360:
	s_delay_alu instid0(SALU_CYCLE_1)
	s_and_not1_b32 vcc_lo, exec_lo, s5
	s_cbranch_vccnz .LBB71_1362
; %bb.1361:
	s_wait_loadcnt 0x0
	global_load_b32 v0, v[6:7], off
	s_wait_loadcnt 0x0
	v_cvt_f32_f16_e32 v0, v0
	s_delay_alu instid0(VALU_DEP_1) | instskip(NEXT) | instid1(VALU_DEP_1)
	v_cvt_i32_f32_e32 v0, v0
	v_ashrrev_i32_e32 v1, 31, v0
.LBB71_1362:
	s_cbranch_execnz .LBB71_1373
.LBB71_1363:
	s_sext_i32_i16 s5, s0
	s_delay_alu instid0(SALU_CYCLE_1)
	s_cmp_lt_i32 s5, 6
	s_cbranch_scc1 .LBB71_1366
; %bb.1364:
	s_cmp_gt_i32 s5, 6
	s_cbranch_scc0 .LBB71_1367
; %bb.1365:
	s_wait_loadcnt 0x0
	global_load_b64 v[0:1], v[6:7], off
	s_mov_b32 s5, 0
	s_wait_loadcnt 0x0
	v_trunc_f64_e32 v[0:1], v[0:1]
	s_delay_alu instid0(VALU_DEP_1) | instskip(NEXT) | instid1(VALU_DEP_1)
	v_ldexp_f64 v[8:9], v[0:1], 0xffffffe0
	v_floor_f64_e32 v[8:9], v[8:9]
	s_delay_alu instid0(VALU_DEP_1) | instskip(SKIP_1) | instid1(VALU_DEP_2)
	v_fmamk_f64 v[10:11], v[8:9], 0xc1f00000, v[0:1]
	v_cvt_i32_f64_e32 v1, v[8:9]
	v_cvt_u32_f64_e32 v0, v[10:11]
	s_branch .LBB71_1368
.LBB71_1366:
	s_mov_b32 s5, -1
                                        ; implicit-def: $vgpr0_vgpr1
	s_branch .LBB71_1371
.LBB71_1367:
	s_mov_b32 s5, -1
                                        ; implicit-def: $vgpr0_vgpr1
.LBB71_1368:
	s_delay_alu instid0(SALU_CYCLE_1)
	s_and_not1_b32 vcc_lo, exec_lo, s5
	s_cbranch_vccnz .LBB71_1370
; %bb.1369:
	s_wait_loadcnt 0x0
	global_load_b32 v0, v[6:7], off
	s_wait_loadcnt 0x0
	v_trunc_f32_e32 v0, v0
	s_delay_alu instid0(VALU_DEP_1) | instskip(NEXT) | instid1(VALU_DEP_1)
	v_mul_f32_e64 v1, 0x2f800000, |v0|
	v_floor_f32_e32 v1, v1
	s_delay_alu instid0(VALU_DEP_1) | instskip(SKIP_2) | instid1(VALU_DEP_3)
	v_fma_f32 v3, 0xcf800000, v1, |v0|
	v_ashrrev_i32_e32 v0, 31, v0
	v_cvt_u32_f32_e32 v5, v1
	v_cvt_u32_f32_e32 v3, v3
	s_delay_alu instid0(VALU_DEP_2) | instskip(NEXT) | instid1(VALU_DEP_2)
	v_dual_mov_b32 v1, v0 :: v_dual_bitop2_b32 v9, v5, v0 bitop3:0x14
	v_xor_b32_e32 v8, v3, v0
	s_delay_alu instid0(VALU_DEP_1)
	v_sub_nc_u64_e32 v[0:1], v[8:9], v[0:1]
.LBB71_1370:
	s_mov_b32 s5, 0
.LBB71_1371:
	s_delay_alu instid0(SALU_CYCLE_1)
	s_and_not1_b32 vcc_lo, exec_lo, s5
	s_cbranch_vccnz .LBB71_1373
; %bb.1372:
	s_wait_loadcnt 0x0
	global_load_u16 v0, v[6:7], off
	s_wait_loadcnt 0x0
	v_cvt_f32_f16_e32 v0, v0
	s_delay_alu instid0(VALU_DEP_1) | instskip(NEXT) | instid1(VALU_DEP_1)
	v_cvt_i32_f32_e32 v0, v0
	v_ashrrev_i32_e32 v1, 31, v0
.LBB71_1373:
	s_cbranch_execnz .LBB71_1392
.LBB71_1374:
	s_sext_i32_i16 s5, s0
	s_delay_alu instid0(SALU_CYCLE_1)
	s_cmp_lt_i32 s5, 2
	s_cbranch_scc1 .LBB71_1378
; %bb.1375:
	s_cmp_lt_i32 s5, 3
	s_cbranch_scc1 .LBB71_1379
; %bb.1376:
	s_cmp_gt_i32 s5, 3
	s_cbranch_scc0 .LBB71_1380
; %bb.1377:
	s_wait_loadcnt 0x0
	global_load_b64 v[0:1], v[6:7], off
	s_mov_b32 s5, 0
	s_branch .LBB71_1381
.LBB71_1378:
                                        ; implicit-def: $vgpr0_vgpr1
	s_branch .LBB71_1387
.LBB71_1379:
	s_mov_b32 s5, -1
                                        ; implicit-def: $vgpr0_vgpr1
	s_branch .LBB71_1384
.LBB71_1380:
	s_mov_b32 s5, -1
                                        ; implicit-def: $vgpr0_vgpr1
.LBB71_1381:
	s_delay_alu instid0(SALU_CYCLE_1)
	s_and_not1_b32 vcc_lo, exec_lo, s5
	s_cbranch_vccnz .LBB71_1383
; %bb.1382:
	s_wait_loadcnt 0x0
	global_load_b32 v0, v[6:7], off
	s_wait_loadcnt 0x0
	v_ashrrev_i32_e32 v1, 31, v0
.LBB71_1383:
	s_mov_b32 s5, 0
.LBB71_1384:
	s_delay_alu instid0(SALU_CYCLE_1)
	s_and_not1_b32 vcc_lo, exec_lo, s5
	s_cbranch_vccnz .LBB71_1386
; %bb.1385:
	s_wait_loadcnt 0x0
	global_load_u16 v0, v[6:7], off
	s_wait_loadcnt 0x0
	v_bfe_i32 v0, v0, 0, 16
	s_delay_alu instid0(VALU_DEP_1)
	v_ashrrev_i32_e32 v1, 31, v0
.LBB71_1386:
	s_cbranch_execnz .LBB71_1392
.LBB71_1387:
	s_sext_i32_i16 s0, s0
	s_delay_alu instid0(SALU_CYCLE_1)
	s_cmp_gt_i32 s0, 0
	s_mov_b32 s0, 0
	s_cbranch_scc0 .LBB71_1389
; %bb.1388:
	s_wait_loadcnt 0x0
	global_load_i8 v0, v[6:7], off
	s_wait_loadcnt 0x0
	v_bfe_i32 v0, v0, 0, 16
	s_delay_alu instid0(VALU_DEP_1)
	v_ashrrev_i32_e32 v1, 31, v0
	s_branch .LBB71_1390
.LBB71_1389:
	s_mov_b32 s0, -1
                                        ; implicit-def: $vgpr0_vgpr1
.LBB71_1390:
	s_delay_alu instid0(SALU_CYCLE_1)
	s_and_not1_b32 vcc_lo, exec_lo, s0
	s_cbranch_vccnz .LBB71_1392
; %bb.1391:
	s_wait_loadcnt 0x0
	global_load_u8 v0, v[6:7], off
	s_mov_b32 s0, 0
	s_delay_alu instid0(SALU_CYCLE_1)
	v_mov_b32_e32 v1, s0
	s_wait_loadcnt 0x0
	v_and_b32_e32 v0, 0xffff, v0
.LBB71_1392:
	s_or_b32 s10, s10, exec_lo
.LBB71_1393:
	s_wait_xcnt 0x0
	s_or_b32 exec_lo, exec_lo, s4
	s_mov_b32 s5, 0
	s_mov_b32 s4, 0
	;; [unrolled: 1-line block ×3, first 2 shown]
                                        ; implicit-def: $vgpr6_vgpr7
                                        ; implicit-def: $vgpr8_vgpr9
	s_and_saveexec_b32 s0, s10
	s_cbranch_execz .LBB71_1401
; %bb.1394:
	s_wait_loadcnt 0x0
	v_mov_b32_e32 v5, 0
	s_and_b32 s4, 0xffff, s9
	s_delay_alu instid0(SALU_CYCLE_1) | instskip(NEXT) | instid1(VALU_DEP_1)
	s_cmp_lt_i32 s4, 11
	v_add_nc_u64_e32 v[6:7], s[6:7], v[4:5]
	s_cbranch_scc1 .LBB71_1404
; %bb.1395:
	s_cmp_gt_i32 s4, 25
	s_mov_b32 s6, 0
	s_cbranch_scc0 .LBB71_1405
; %bb.1396:
	s_cmp_gt_i32 s4, 28
	s_cbranch_scc0 .LBB71_1406
; %bb.1397:
	s_cmp_gt_i32 s4, 43
	;; [unrolled: 3-line block ×3, first 2 shown]
	s_cbranch_scc0 .LBB71_1408
; %bb.1399:
	s_cmp_eq_u32 s4, 46
	s_cbranch_scc0 .LBB71_1409
; %bb.1400:
	global_load_b32 v3, v[6:7], off
	s_mov_b32 s7, -1
	s_wait_loadcnt 0x0
	v_lshlrev_b32_e32 v3, 16, v3
	s_delay_alu instid0(VALU_DEP_1) | instskip(NEXT) | instid1(VALU_DEP_1)
	v_trunc_f32_e32 v3, v3
	v_mul_f32_e64 v4, 0x2f800000, |v3|
	s_delay_alu instid0(VALU_DEP_1) | instskip(SKIP_1) | instid1(VALU_DEP_2)
	v_floor_f32_e32 v5, v4
	v_ashrrev_i32_e32 v4, 31, v3
	v_fma_f32 v8, 0xcf800000, v5, |v3|
	v_cvt_u32_f32_e32 v3, v5
	s_delay_alu instid0(VALU_DEP_3) | instskip(NEXT) | instid1(VALU_DEP_3)
	v_mov_b32_e32 v5, v4
	v_cvt_u32_f32_e32 v8, v8
	s_delay_alu instid0(VALU_DEP_3) | instskip(NEXT) | instid1(VALU_DEP_2)
	v_xor_b32_e32 v9, v3, v4
	v_xor_b32_e32 v8, v8, v4
	s_delay_alu instid0(VALU_DEP_1)
	v_sub_nc_u64_e32 v[8:9], v[8:9], v[4:5]
	s_branch .LBB71_1411
.LBB71_1401:
	s_or_b32 exec_lo, exec_lo, s0
	s_and_saveexec_b32 s0, s44
	s_cbranch_execnz .LBB71_1470
.LBB71_1402:
	s_or_b32 exec_lo, exec_lo, s0
	s_and_saveexec_b32 s0, s5
	s_delay_alu instid0(SALU_CYCLE_1)
	s_xor_b32 s0, exec_lo, s0
	s_cbranch_execz .LBB71_1471
.LBB71_1403:
	global_load_u8 v3, v[6:7], off
	s_mov_b32 s5, 0
	s_or_b32 s8, s8, exec_lo
	s_wait_loadcnt 0x1
	v_mov_b32_e32 v9, s5
	s_wait_loadcnt 0x0
	v_cmp_ne_u16_e32 vcc_lo, 0, v3
	v_cndmask_b32_e64 v8, 0, 1, vcc_lo
	s_wait_xcnt 0x0
	s_or_b32 exec_lo, exec_lo, s0
	s_and_saveexec_b32 s0, s4
	s_cbranch_execz .LBB71_1517
	s_branch .LBB71_1472
.LBB71_1404:
	s_mov_b32 s4, -1
	s_mov_b32 s7, 0
	s_mov_b32 s6, 0
	;; [unrolled: 1-line block ×3, first 2 shown]
                                        ; implicit-def: $vgpr8_vgpr9
	s_branch .LBB71_1469
.LBB71_1405:
	s_mov_b32 s7, 0
	s_mov_b32 s5, s44
                                        ; implicit-def: $vgpr8_vgpr9
	s_cbranch_execnz .LBB71_1438
	s_branch .LBB71_1468
.LBB71_1406:
	s_mov_b32 s8, -1
	s_mov_b32 s7, 0
	s_mov_b32 s5, s44
                                        ; implicit-def: $vgpr8_vgpr9
	s_branch .LBB71_1421
.LBB71_1407:
	s_mov_b32 s8, -1
	s_mov_b32 s7, 0
	s_mov_b32 s5, s44
                                        ; implicit-def: $vgpr8_vgpr9
	s_branch .LBB71_1416
.LBB71_1408:
	s_mov_b32 s8, -1
	s_mov_b32 s7, 0
	s_mov_b32 s5, s44
	s_branch .LBB71_1410
.LBB71_1409:
	s_mov_b32 s5, -1
	s_mov_b32 s7, 0
.LBB71_1410:
                                        ; implicit-def: $vgpr8_vgpr9
.LBB71_1411:
	s_and_b32 vcc_lo, exec_lo, s8
	s_cbranch_vccz .LBB71_1415
; %bb.1412:
	s_cmp_eq_u32 s4, 44
	s_cbranch_scc0 .LBB71_1414
; %bb.1413:
	global_load_u8 v3, v[6:7], off
	s_mov_b32 s5, 0
	s_mov_b32 s7, -1
	s_wait_loadcnt 0x0
	v_cmp_ne_u32_e32 vcc_lo, 0, v3
	v_lshlrev_b32_e32 v4, 23, v3
	s_delay_alu instid0(VALU_DEP_1) | instskip(NEXT) | instid1(VALU_DEP_1)
	v_trunc_f32_e32 v4, v4
	v_mul_f32_e64 v5, 0x2f800000, |v4|
	s_delay_alu instid0(VALU_DEP_1) | instskip(NEXT) | instid1(VALU_DEP_1)
	v_floor_f32_e32 v5, v5
	v_fma_f32 v8, 0xcf800000, v5, |v4|
	v_ashrrev_i32_e32 v4, 31, v4
	v_cvt_u32_f32_e32 v9, v5
	s_delay_alu instid0(VALU_DEP_3) | instskip(NEXT) | instid1(VALU_DEP_2)
	v_cvt_u32_f32_e32 v8, v8
	v_dual_mov_b32 v5, v4 :: v_dual_bitop2_b32 v9, v9, v4 bitop3:0x14
	s_delay_alu instid0(VALU_DEP_2) | instskip(NEXT) | instid1(VALU_DEP_1)
	v_xor_b32_e32 v8, v8, v4
	v_sub_nc_u64_e32 v[4:5], v[8:9], v[4:5]
	s_delay_alu instid0(VALU_DEP_1)
	v_dual_cndmask_b32 v9, 0, v5 :: v_dual_cndmask_b32 v8, 0, v4
	s_branch .LBB71_1415
.LBB71_1414:
	s_mov_b32 s5, -1
                                        ; implicit-def: $vgpr8_vgpr9
.LBB71_1415:
	s_mov_b32 s8, 0
.LBB71_1416:
	s_delay_alu instid0(SALU_CYCLE_1)
	s_and_b32 vcc_lo, exec_lo, s8
	s_cbranch_vccz .LBB71_1420
; %bb.1417:
	s_cmp_eq_u32 s4, 29
	s_cbranch_scc0 .LBB71_1419
; %bb.1418:
	global_load_b64 v[8:9], v[6:7], off
	s_mov_b32 s5, 0
	s_mov_b32 s7, -1
	s_branch .LBB71_1420
.LBB71_1419:
	s_mov_b32 s5, -1
                                        ; implicit-def: $vgpr8_vgpr9
.LBB71_1420:
	s_mov_b32 s8, 0
.LBB71_1421:
	s_delay_alu instid0(SALU_CYCLE_1)
	s_and_b32 vcc_lo, exec_lo, s8
	s_cbranch_vccz .LBB71_1437
; %bb.1422:
	s_cmp_lt_i32 s4, 27
	s_cbranch_scc1 .LBB71_1425
; %bb.1423:
	s_cmp_gt_i32 s4, 27
	s_cbranch_scc0 .LBB71_1426
; %bb.1424:
	s_wait_loadcnt 0x0
	global_load_b32 v8, v[6:7], off
	v_mov_b32_e32 v9, 0
	s_mov_b32 s7, 0
	s_branch .LBB71_1427
.LBB71_1425:
	s_mov_b32 s7, -1
                                        ; implicit-def: $vgpr8_vgpr9
	s_branch .LBB71_1430
.LBB71_1426:
	s_mov_b32 s7, -1
                                        ; implicit-def: $vgpr8_vgpr9
.LBB71_1427:
	s_delay_alu instid0(SALU_CYCLE_1)
	s_and_not1_b32 vcc_lo, exec_lo, s7
	s_cbranch_vccnz .LBB71_1429
; %bb.1428:
	global_load_u16 v3, v[6:7], off
	s_mov_b32 s7, 0
	s_wait_loadcnt 0x1
	v_mov_b32_e32 v9, s7
	s_wait_loadcnt 0x0
	v_and_b32_e32 v8, 0xffff, v3
.LBB71_1429:
	s_mov_b32 s7, 0
.LBB71_1430:
	s_delay_alu instid0(SALU_CYCLE_1)
	s_and_not1_b32 vcc_lo, exec_lo, s7
	s_cbranch_vccnz .LBB71_1436
; %bb.1431:
	global_load_u8 v3, v[6:7], off
	s_mov_b32 s8, 0
	s_mov_b32 s7, exec_lo
	s_wait_loadcnt 0x0
	v_cmpx_lt_i16_e32 0x7f, v3
	s_xor_b32 s7, exec_lo, s7
	s_cbranch_execz .LBB71_1447
; %bb.1432:
	v_cmp_ne_u16_e32 vcc_lo, 0x80, v3
	s_and_b32 s8, vcc_lo, exec_lo
	s_and_not1_saveexec_b32 s7, s7
	s_cbranch_execnz .LBB71_1448
.LBB71_1433:
	s_or_b32 exec_lo, exec_lo, s7
	v_mov_b64_e32 v[8:9], 0
	s_and_saveexec_b32 s7, s8
	s_cbranch_execz .LBB71_1435
.LBB71_1434:
	v_and_b32_e32 v4, 0xffff, v3
	s_delay_alu instid0(VALU_DEP_1) | instskip(SKIP_1) | instid1(VALU_DEP_2)
	v_dual_lshlrev_b32 v3, 24, v3 :: v_dual_bitop2_b32 v5, 7, v4 bitop3:0x40
	v_bfe_u32 v10, v4, 3, 4
	v_and_b32_e32 v3, 0x80000000, v3
	s_delay_alu instid0(VALU_DEP_3) | instskip(NEXT) | instid1(VALU_DEP_3)
	v_clz_i32_u32_e32 v8, v5
	v_cmp_eq_u32_e32 vcc_lo, 0, v10
	s_delay_alu instid0(VALU_DEP_2) | instskip(NEXT) | instid1(VALU_DEP_1)
	v_min_u32_e32 v8, 32, v8
	v_subrev_nc_u32_e32 v9, 28, v8
	v_sub_nc_u32_e32 v8, 29, v8
	s_delay_alu instid0(VALU_DEP_2) | instskip(NEXT) | instid1(VALU_DEP_2)
	v_lshlrev_b32_e32 v4, v9, v4
	v_cndmask_b32_e32 v8, v10, v8, vcc_lo
	s_delay_alu instid0(VALU_DEP_2) | instskip(NEXT) | instid1(VALU_DEP_1)
	v_and_b32_e32 v4, 7, v4
	v_cndmask_b32_e32 v4, v5, v4, vcc_lo
	s_delay_alu instid0(VALU_DEP_3) | instskip(NEXT) | instid1(VALU_DEP_2)
	v_lshl_add_u32 v5, v8, 23, 0x3b800000
	v_lshlrev_b32_e32 v4, 20, v4
	s_delay_alu instid0(VALU_DEP_1) | instskip(NEXT) | instid1(VALU_DEP_1)
	v_or3_b32 v3, v3, v5, v4
	v_trunc_f32_e32 v3, v3
	s_delay_alu instid0(VALU_DEP_1) | instskip(NEXT) | instid1(VALU_DEP_1)
	v_mul_f32_e64 v4, 0x2f800000, |v3|
	v_floor_f32_e32 v5, v4
	v_ashrrev_i32_e32 v4, 31, v3
	s_delay_alu instid0(VALU_DEP_2) | instskip(SKIP_1) | instid1(VALU_DEP_3)
	v_fma_f32 v8, 0xcf800000, v5, |v3|
	v_cvt_u32_f32_e32 v3, v5
	v_mov_b32_e32 v5, v4
	s_delay_alu instid0(VALU_DEP_3) | instskip(NEXT) | instid1(VALU_DEP_3)
	v_cvt_u32_f32_e32 v8, v8
	v_xor_b32_e32 v9, v3, v4
	s_delay_alu instid0(VALU_DEP_2) | instskip(NEXT) | instid1(VALU_DEP_1)
	v_xor_b32_e32 v8, v8, v4
	v_sub_nc_u64_e32 v[8:9], v[8:9], v[4:5]
.LBB71_1435:
	s_or_b32 exec_lo, exec_lo, s7
.LBB71_1436:
	s_mov_b32 s7, -1
.LBB71_1437:
	s_branch .LBB71_1468
.LBB71_1438:
	s_cmp_gt_i32 s4, 22
	s_cbranch_scc0 .LBB71_1446
; %bb.1439:
	s_cmp_lt_i32 s4, 24
	s_cbranch_scc1 .LBB71_1449
; %bb.1440:
	s_cmp_gt_i32 s4, 24
	s_cbranch_scc0 .LBB71_1450
; %bb.1441:
	global_load_u8 v3, v[6:7], off
	s_mov_b32 s7, 0
	s_mov_b32 s6, exec_lo
	s_wait_loadcnt 0x0
	v_cmpx_lt_i16_e32 0x7f, v3
	s_xor_b32 s6, exec_lo, s6
	s_cbranch_execz .LBB71_1462
; %bb.1442:
	v_cmp_ne_u16_e32 vcc_lo, 0x80, v3
	s_and_b32 s7, vcc_lo, exec_lo
	s_and_not1_saveexec_b32 s6, s6
	s_cbranch_execnz .LBB71_1463
.LBB71_1443:
	s_or_b32 exec_lo, exec_lo, s6
	v_mov_b64_e32 v[8:9], 0
	s_and_saveexec_b32 s6, s7
	s_cbranch_execz .LBB71_1445
.LBB71_1444:
	v_and_b32_e32 v4, 0xffff, v3
	s_delay_alu instid0(VALU_DEP_1) | instskip(SKIP_1) | instid1(VALU_DEP_2)
	v_dual_lshlrev_b32 v3, 24, v3 :: v_dual_bitop2_b32 v5, 3, v4 bitop3:0x40
	v_bfe_u32 v10, v4, 2, 5
	v_and_b32_e32 v3, 0x80000000, v3
	s_delay_alu instid0(VALU_DEP_3) | instskip(NEXT) | instid1(VALU_DEP_3)
	v_clz_i32_u32_e32 v8, v5
	v_cmp_eq_u32_e32 vcc_lo, 0, v10
	s_delay_alu instid0(VALU_DEP_2) | instskip(NEXT) | instid1(VALU_DEP_1)
	v_min_u32_e32 v8, 32, v8
	v_subrev_nc_u32_e32 v9, 29, v8
	v_sub_nc_u32_e32 v8, 30, v8
	s_delay_alu instid0(VALU_DEP_2) | instskip(NEXT) | instid1(VALU_DEP_2)
	v_lshlrev_b32_e32 v4, v9, v4
	v_cndmask_b32_e32 v8, v10, v8, vcc_lo
	s_delay_alu instid0(VALU_DEP_2) | instskip(NEXT) | instid1(VALU_DEP_1)
	v_and_b32_e32 v4, 3, v4
	v_cndmask_b32_e32 v4, v5, v4, vcc_lo
	s_delay_alu instid0(VALU_DEP_3) | instskip(NEXT) | instid1(VALU_DEP_2)
	v_lshl_add_u32 v5, v8, 23, 0x37800000
	v_lshlrev_b32_e32 v4, 21, v4
	s_delay_alu instid0(VALU_DEP_1) | instskip(NEXT) | instid1(VALU_DEP_1)
	v_or3_b32 v3, v3, v5, v4
	v_trunc_f32_e32 v3, v3
	s_delay_alu instid0(VALU_DEP_1) | instskip(NEXT) | instid1(VALU_DEP_1)
	v_mul_f32_e64 v4, 0x2f800000, |v3|
	v_floor_f32_e32 v5, v4
	v_ashrrev_i32_e32 v4, 31, v3
	s_delay_alu instid0(VALU_DEP_2) | instskip(SKIP_1) | instid1(VALU_DEP_3)
	v_fma_f32 v8, 0xcf800000, v5, |v3|
	v_cvt_u32_f32_e32 v3, v5
	v_mov_b32_e32 v5, v4
	s_delay_alu instid0(VALU_DEP_3) | instskip(NEXT) | instid1(VALU_DEP_3)
	v_cvt_u32_f32_e32 v8, v8
	v_xor_b32_e32 v9, v3, v4
	s_delay_alu instid0(VALU_DEP_2) | instskip(NEXT) | instid1(VALU_DEP_1)
	v_xor_b32_e32 v8, v8, v4
	v_sub_nc_u64_e32 v[8:9], v[8:9], v[4:5]
.LBB71_1445:
	s_or_b32 exec_lo, exec_lo, s6
	s_mov_b32 s6, 0
	s_branch .LBB71_1451
.LBB71_1446:
	s_mov_b32 s6, -1
                                        ; implicit-def: $vgpr8_vgpr9
	s_branch .LBB71_1457
.LBB71_1447:
	s_and_not1_saveexec_b32 s7, s7
	s_cbranch_execz .LBB71_1433
.LBB71_1448:
	v_cmp_ne_u16_e32 vcc_lo, 0, v3
	s_and_not1_b32 s8, s8, exec_lo
	s_and_b32 s10, vcc_lo, exec_lo
	s_delay_alu instid0(SALU_CYCLE_1)
	s_or_b32 s8, s8, s10
	s_or_b32 exec_lo, exec_lo, s7
	v_mov_b64_e32 v[8:9], 0
	s_and_saveexec_b32 s7, s8
	s_cbranch_execnz .LBB71_1434
	s_branch .LBB71_1435
.LBB71_1449:
	s_mov_b32 s6, -1
                                        ; implicit-def: $vgpr8_vgpr9
	s_branch .LBB71_1454
.LBB71_1450:
	s_mov_b32 s6, -1
                                        ; implicit-def: $vgpr8_vgpr9
.LBB71_1451:
	s_delay_alu instid0(SALU_CYCLE_1)
	s_and_b32 vcc_lo, exec_lo, s6
	s_cbranch_vccz .LBB71_1453
; %bb.1452:
	global_load_u8 v3, v[6:7], off
	s_wait_loadcnt 0x0
	v_lshlrev_b32_e32 v3, 24, v3
	s_delay_alu instid0(VALU_DEP_1) | instskip(NEXT) | instid1(VALU_DEP_1)
	v_and_b32_e32 v4, 0x7f000000, v3
	v_clz_i32_u32_e32 v5, v4
	v_cmp_ne_u32_e32 vcc_lo, 0, v4
	v_add_nc_u32_e32 v9, 0x1000000, v4
	s_delay_alu instid0(VALU_DEP_3) | instskip(NEXT) | instid1(VALU_DEP_1)
	v_min_u32_e32 v5, 32, v5
	v_sub_nc_u32_e64 v5, v5, 4 clamp
	s_delay_alu instid0(VALU_DEP_1) | instskip(NEXT) | instid1(VALU_DEP_1)
	v_dual_lshlrev_b32 v8, v5, v4 :: v_dual_lshlrev_b32 v5, 23, v5
	v_lshrrev_b32_e32 v8, 4, v8
	s_delay_alu instid0(VALU_DEP_1) | instskip(SKIP_1) | instid1(VALU_DEP_2)
	v_sub_nc_u32_e32 v5, v8, v5
	v_ashrrev_i32_e32 v8, 8, v9
	v_add_nc_u32_e32 v5, 0x3c000000, v5
	s_delay_alu instid0(VALU_DEP_1) | instskip(NEXT) | instid1(VALU_DEP_1)
	v_and_or_b32 v5, 0x7f800000, v8, v5
	v_cndmask_b32_e32 v4, 0, v5, vcc_lo
	s_delay_alu instid0(VALU_DEP_1) | instskip(NEXT) | instid1(VALU_DEP_1)
	v_and_or_b32 v3, 0x80000000, v3, v4
	v_trunc_f32_e32 v3, v3
	s_delay_alu instid0(VALU_DEP_1) | instskip(NEXT) | instid1(VALU_DEP_1)
	v_mul_f32_e64 v4, 0x2f800000, |v3|
	v_floor_f32_e32 v5, v4
	v_ashrrev_i32_e32 v4, 31, v3
	s_delay_alu instid0(VALU_DEP_2) | instskip(SKIP_1) | instid1(VALU_DEP_3)
	v_fma_f32 v8, 0xcf800000, v5, |v3|
	v_cvt_u32_f32_e32 v3, v5
	v_mov_b32_e32 v5, v4
	s_delay_alu instid0(VALU_DEP_3) | instskip(NEXT) | instid1(VALU_DEP_3)
	v_cvt_u32_f32_e32 v8, v8
	v_xor_b32_e32 v9, v3, v4
	s_delay_alu instid0(VALU_DEP_2) | instskip(NEXT) | instid1(VALU_DEP_1)
	v_xor_b32_e32 v8, v8, v4
	v_sub_nc_u64_e32 v[8:9], v[8:9], v[4:5]
.LBB71_1453:
	s_mov_b32 s6, 0
.LBB71_1454:
	s_delay_alu instid0(SALU_CYCLE_1)
	s_and_not1_b32 vcc_lo, exec_lo, s6
	s_cbranch_vccnz .LBB71_1456
; %bb.1455:
	global_load_u8 v3, v[6:7], off
	s_wait_loadcnt 0x0
	v_lshlrev_b32_e32 v4, 25, v3
	v_lshlrev_b16 v3, 8, v3
	s_delay_alu instid0(VALU_DEP_1) | instskip(SKIP_1) | instid1(VALU_DEP_2)
	v_and_or_b32 v8, 0x7f00, v3, 0.5
	v_bfe_i32 v3, v3, 0, 16
	v_add_f32_e32 v8, -0.5, v8
	v_lshrrev_b32_e32 v5, 4, v4
	v_cmp_gt_u32_e32 vcc_lo, 0x8000000, v4
	s_delay_alu instid0(VALU_DEP_2) | instskip(NEXT) | instid1(VALU_DEP_1)
	v_or_b32_e32 v5, 0x70000000, v5
	v_mul_f32_e32 v5, 0x7800000, v5
	s_delay_alu instid0(VALU_DEP_1) | instskip(NEXT) | instid1(VALU_DEP_1)
	v_cndmask_b32_e32 v4, v5, v8, vcc_lo
	v_and_or_b32 v3, 0x80000000, v3, v4
	s_delay_alu instid0(VALU_DEP_1) | instskip(NEXT) | instid1(VALU_DEP_1)
	v_trunc_f32_e32 v3, v3
	v_mul_f32_e64 v4, 0x2f800000, |v3|
	s_delay_alu instid0(VALU_DEP_1) | instskip(SKIP_1) | instid1(VALU_DEP_2)
	v_floor_f32_e32 v5, v4
	v_ashrrev_i32_e32 v4, 31, v3
	v_fma_f32 v8, 0xcf800000, v5, |v3|
	v_cvt_u32_f32_e32 v3, v5
	s_delay_alu instid0(VALU_DEP_3) | instskip(NEXT) | instid1(VALU_DEP_3)
	v_mov_b32_e32 v5, v4
	v_cvt_u32_f32_e32 v8, v8
	s_delay_alu instid0(VALU_DEP_3) | instskip(NEXT) | instid1(VALU_DEP_2)
	v_xor_b32_e32 v9, v3, v4
	v_xor_b32_e32 v8, v8, v4
	s_delay_alu instid0(VALU_DEP_1)
	v_sub_nc_u64_e32 v[8:9], v[8:9], v[4:5]
.LBB71_1456:
	s_mov_b32 s6, 0
	s_mov_b32 s7, -1
.LBB71_1457:
	s_and_not1_b32 vcc_lo, exec_lo, s6
	s_mov_b32 s6, 0
	s_cbranch_vccnz .LBB71_1468
; %bb.1458:
	s_cmp_gt_i32 s4, 14
	s_cbranch_scc0 .LBB71_1461
; %bb.1459:
	s_cmp_eq_u32 s4, 15
	s_cbranch_scc0 .LBB71_1464
; %bb.1460:
	global_load_u16 v3, v[6:7], off
	s_mov_b32 s5, 0
	s_mov_b32 s7, -1
	s_wait_loadcnt 0x0
	v_lshlrev_b32_e32 v3, 16, v3
	s_delay_alu instid0(VALU_DEP_1) | instskip(NEXT) | instid1(VALU_DEP_1)
	v_trunc_f32_e32 v3, v3
	v_mul_f32_e64 v4, 0x2f800000, |v3|
	s_delay_alu instid0(VALU_DEP_1) | instskip(SKIP_1) | instid1(VALU_DEP_2)
	v_floor_f32_e32 v5, v4
	v_ashrrev_i32_e32 v4, 31, v3
	v_fma_f32 v8, 0xcf800000, v5, |v3|
	v_cvt_u32_f32_e32 v3, v5
	s_delay_alu instid0(VALU_DEP_3) | instskip(NEXT) | instid1(VALU_DEP_3)
	v_mov_b32_e32 v5, v4
	v_cvt_u32_f32_e32 v8, v8
	s_delay_alu instid0(VALU_DEP_3) | instskip(NEXT) | instid1(VALU_DEP_2)
	v_xor_b32_e32 v9, v3, v4
	v_xor_b32_e32 v8, v8, v4
	s_delay_alu instid0(VALU_DEP_1)
	v_sub_nc_u64_e32 v[8:9], v[8:9], v[4:5]
	s_branch .LBB71_1466
.LBB71_1461:
	s_mov_b32 s6, -1
	s_branch .LBB71_1465
.LBB71_1462:
	s_and_not1_saveexec_b32 s6, s6
	s_cbranch_execz .LBB71_1443
.LBB71_1463:
	v_cmp_ne_u16_e32 vcc_lo, 0, v3
	s_and_not1_b32 s7, s7, exec_lo
	s_and_b32 s8, vcc_lo, exec_lo
	s_delay_alu instid0(SALU_CYCLE_1)
	s_or_b32 s7, s7, s8
	s_or_b32 exec_lo, exec_lo, s6
	v_mov_b64_e32 v[8:9], 0
	s_and_saveexec_b32 s6, s7
	s_cbranch_execnz .LBB71_1444
	s_branch .LBB71_1445
.LBB71_1464:
	s_mov_b32 s5, -1
.LBB71_1465:
                                        ; implicit-def: $vgpr8_vgpr9
.LBB71_1466:
	s_and_b32 vcc_lo, exec_lo, s6
	s_mov_b32 s6, 0
	s_cbranch_vccz .LBB71_1468
; %bb.1467:
	s_cmp_lg_u32 s4, 11
	s_mov_b32 s6, -1
	s_cselect_b32 s4, -1, 0
	s_and_not1_b32 s5, s5, exec_lo
	s_and_b32 s4, s4, exec_lo
	s_delay_alu instid0(SALU_CYCLE_1)
	s_or_b32 s5, s5, s4
.LBB71_1468:
	s_mov_b32 s4, 0
.LBB71_1469:
	s_and_b32 s8, s7, exec_lo
	s_and_not1_b32 s7, s44, exec_lo
	s_and_b32 s10, s5, exec_lo
	s_and_b32 s4, s4, exec_lo
	;; [unrolled: 1-line block ×3, first 2 shown]
	s_or_b32 s44, s7, s10
	s_wait_xcnt 0x0
	s_or_b32 exec_lo, exec_lo, s0
	s_and_saveexec_b32 s0, s44
	s_cbranch_execz .LBB71_1402
.LBB71_1470:
	s_or_b32 s1, s1, exec_lo
	s_and_not1_b32 s5, s5, exec_lo
	s_trap 2
	s_or_b32 exec_lo, exec_lo, s0
	s_and_saveexec_b32 s0, s5
	s_delay_alu instid0(SALU_CYCLE_1)
	s_xor_b32 s0, exec_lo, s0
	s_cbranch_execnz .LBB71_1403
.LBB71_1471:
	s_or_b32 exec_lo, exec_lo, s0
	s_and_saveexec_b32 s0, s4
	s_cbranch_execz .LBB71_1517
.LBB71_1472:
	s_sext_i32_i16 s4, s9
	s_delay_alu instid0(SALU_CYCLE_1)
	s_cmp_lt_i32 s4, 5
	s_cbranch_scc1 .LBB71_1477
; %bb.1473:
	s_cmp_lt_i32 s4, 8
	s_cbranch_scc1 .LBB71_1478
; %bb.1474:
	;; [unrolled: 3-line block ×3, first 2 shown]
	s_cmp_gt_i32 s4, 9
	s_cbranch_scc0 .LBB71_1480
; %bb.1476:
	s_wait_loadcnt 0x0
	global_load_b64 v[4:5], v[6:7], off
	s_mov_b32 s4, 0
	s_wait_loadcnt 0x0
	v_trunc_f64_e32 v[4:5], v[4:5]
	s_delay_alu instid0(VALU_DEP_1) | instskip(NEXT) | instid1(VALU_DEP_1)
	v_ldexp_f64 v[8:9], v[4:5], 0xffffffe0
	v_floor_f64_e32 v[8:9], v[8:9]
	s_delay_alu instid0(VALU_DEP_1) | instskip(SKIP_1) | instid1(VALU_DEP_2)
	v_fmamk_f64 v[4:5], v[8:9], 0xc1f00000, v[4:5]
	v_cvt_i32_f64_e32 v9, v[8:9]
	v_cvt_u32_f64_e32 v8, v[4:5]
	s_branch .LBB71_1481
.LBB71_1477:
                                        ; implicit-def: $vgpr8_vgpr9
	s_branch .LBB71_1498
.LBB71_1478:
                                        ; implicit-def: $vgpr8_vgpr9
	s_branch .LBB71_1487
.LBB71_1479:
	s_mov_b32 s4, -1
                                        ; implicit-def: $vgpr8_vgpr9
	s_branch .LBB71_1484
.LBB71_1480:
	s_mov_b32 s4, -1
                                        ; implicit-def: $vgpr8_vgpr9
.LBB71_1481:
	s_delay_alu instid0(SALU_CYCLE_1)
	s_and_not1_b32 vcc_lo, exec_lo, s4
	s_cbranch_vccnz .LBB71_1483
; %bb.1482:
	global_load_b32 v3, v[6:7], off
	s_wait_loadcnt 0x0
	v_trunc_f32_e32 v3, v3
	s_delay_alu instid0(VALU_DEP_1) | instskip(NEXT) | instid1(VALU_DEP_1)
	v_mul_f32_e64 v4, 0x2f800000, |v3|
	v_floor_f32_e32 v5, v4
	v_ashrrev_i32_e32 v4, 31, v3
	s_delay_alu instid0(VALU_DEP_2) | instskip(SKIP_1) | instid1(VALU_DEP_3)
	v_fma_f32 v8, 0xcf800000, v5, |v3|
	v_cvt_u32_f32_e32 v3, v5
	v_mov_b32_e32 v5, v4
	s_delay_alu instid0(VALU_DEP_3) | instskip(NEXT) | instid1(VALU_DEP_3)
	v_cvt_u32_f32_e32 v8, v8
	v_xor_b32_e32 v9, v3, v4
	s_delay_alu instid0(VALU_DEP_2) | instskip(NEXT) | instid1(VALU_DEP_1)
	v_xor_b32_e32 v8, v8, v4
	v_sub_nc_u64_e32 v[8:9], v[8:9], v[4:5]
.LBB71_1483:
	s_mov_b32 s4, 0
.LBB71_1484:
	s_delay_alu instid0(SALU_CYCLE_1)
	s_and_not1_b32 vcc_lo, exec_lo, s4
	s_cbranch_vccnz .LBB71_1486
; %bb.1485:
	global_load_b32 v3, v[6:7], off
	s_wait_loadcnt 0x0
	v_cvt_f32_f16_e32 v3, v3
	s_delay_alu instid0(VALU_DEP_1) | instskip(NEXT) | instid1(VALU_DEP_1)
	v_cvt_i32_f32_e32 v8, v3
	v_ashrrev_i32_e32 v9, 31, v8
.LBB71_1486:
	s_cbranch_execnz .LBB71_1497
.LBB71_1487:
	s_sext_i32_i16 s4, s9
	s_delay_alu instid0(SALU_CYCLE_1)
	s_cmp_lt_i32 s4, 6
	s_cbranch_scc1 .LBB71_1490
; %bb.1488:
	s_cmp_gt_i32 s4, 6
	s_cbranch_scc0 .LBB71_1491
; %bb.1489:
	s_wait_loadcnt 0x0
	global_load_b64 v[4:5], v[6:7], off
	s_mov_b32 s4, 0
	s_wait_loadcnt 0x0
	v_trunc_f64_e32 v[4:5], v[4:5]
	s_delay_alu instid0(VALU_DEP_1) | instskip(NEXT) | instid1(VALU_DEP_1)
	v_ldexp_f64 v[8:9], v[4:5], 0xffffffe0
	v_floor_f64_e32 v[8:9], v[8:9]
	s_delay_alu instid0(VALU_DEP_1) | instskip(SKIP_1) | instid1(VALU_DEP_2)
	v_fmamk_f64 v[4:5], v[8:9], 0xc1f00000, v[4:5]
	v_cvt_i32_f64_e32 v9, v[8:9]
	v_cvt_u32_f64_e32 v8, v[4:5]
	s_branch .LBB71_1492
.LBB71_1490:
	s_mov_b32 s4, -1
                                        ; implicit-def: $vgpr8_vgpr9
	s_branch .LBB71_1495
.LBB71_1491:
	s_mov_b32 s4, -1
                                        ; implicit-def: $vgpr8_vgpr9
.LBB71_1492:
	s_delay_alu instid0(SALU_CYCLE_1)
	s_and_not1_b32 vcc_lo, exec_lo, s4
	s_cbranch_vccnz .LBB71_1494
; %bb.1493:
	global_load_b32 v3, v[6:7], off
	s_wait_loadcnt 0x0
	v_trunc_f32_e32 v3, v3
	s_delay_alu instid0(VALU_DEP_1) | instskip(NEXT) | instid1(VALU_DEP_1)
	v_mul_f32_e64 v4, 0x2f800000, |v3|
	v_floor_f32_e32 v5, v4
	v_ashrrev_i32_e32 v4, 31, v3
	s_delay_alu instid0(VALU_DEP_2) | instskip(SKIP_1) | instid1(VALU_DEP_3)
	v_fma_f32 v8, 0xcf800000, v5, |v3|
	v_cvt_u32_f32_e32 v3, v5
	v_mov_b32_e32 v5, v4
	s_delay_alu instid0(VALU_DEP_3) | instskip(NEXT) | instid1(VALU_DEP_3)
	v_cvt_u32_f32_e32 v8, v8
	v_xor_b32_e32 v9, v3, v4
	s_delay_alu instid0(VALU_DEP_2) | instskip(NEXT) | instid1(VALU_DEP_1)
	v_xor_b32_e32 v8, v8, v4
	v_sub_nc_u64_e32 v[8:9], v[8:9], v[4:5]
.LBB71_1494:
	s_mov_b32 s4, 0
.LBB71_1495:
	s_delay_alu instid0(SALU_CYCLE_1)
	s_and_not1_b32 vcc_lo, exec_lo, s4
	s_cbranch_vccnz .LBB71_1497
; %bb.1496:
	global_load_u16 v3, v[6:7], off
	s_wait_loadcnt 0x0
	v_cvt_f32_f16_e32 v3, v3
	s_delay_alu instid0(VALU_DEP_1) | instskip(NEXT) | instid1(VALU_DEP_1)
	v_cvt_i32_f32_e32 v8, v3
	v_ashrrev_i32_e32 v9, 31, v8
.LBB71_1497:
	s_cbranch_execnz .LBB71_1516
.LBB71_1498:
	s_sext_i32_i16 s4, s9
	s_delay_alu instid0(SALU_CYCLE_1)
	s_cmp_lt_i32 s4, 2
	s_cbranch_scc1 .LBB71_1502
; %bb.1499:
	s_cmp_lt_i32 s4, 3
	s_cbranch_scc1 .LBB71_1503
; %bb.1500:
	s_cmp_gt_i32 s4, 3
	s_cbranch_scc0 .LBB71_1504
; %bb.1501:
	s_wait_loadcnt 0x0
	global_load_b64 v[8:9], v[6:7], off
	s_mov_b32 s4, 0
	s_branch .LBB71_1505
.LBB71_1502:
                                        ; implicit-def: $vgpr8_vgpr9
	s_branch .LBB71_1511
.LBB71_1503:
	s_mov_b32 s4, -1
                                        ; implicit-def: $vgpr8_vgpr9
	s_branch .LBB71_1508
.LBB71_1504:
	s_mov_b32 s4, -1
                                        ; implicit-def: $vgpr8_vgpr9
.LBB71_1505:
	s_delay_alu instid0(SALU_CYCLE_1)
	s_and_not1_b32 vcc_lo, exec_lo, s4
	s_cbranch_vccnz .LBB71_1507
; %bb.1506:
	s_wait_loadcnt 0x0
	global_load_b32 v8, v[6:7], off
	s_wait_loadcnt 0x0
	v_ashrrev_i32_e32 v9, 31, v8
.LBB71_1507:
	s_mov_b32 s4, 0
.LBB71_1508:
	s_delay_alu instid0(SALU_CYCLE_1)
	s_and_not1_b32 vcc_lo, exec_lo, s4
	s_cbranch_vccnz .LBB71_1510
; %bb.1509:
	global_load_u16 v3, v[6:7], off
	s_wait_loadcnt 0x0
	v_bfe_i32 v8, v3, 0, 16
	s_delay_alu instid0(VALU_DEP_1)
	v_ashrrev_i32_e32 v9, 31, v8
.LBB71_1510:
	s_cbranch_execnz .LBB71_1516
.LBB71_1511:
	s_sext_i32_i16 s4, s9
	s_delay_alu instid0(SALU_CYCLE_1)
	s_cmp_gt_i32 s4, 0
	s_mov_b32 s4, 0
	s_cbranch_scc0 .LBB71_1513
; %bb.1512:
	global_load_i8 v3, v[6:7], off
	s_wait_loadcnt 0x0
	v_bfe_i32 v8, v3, 0, 16
	s_delay_alu instid0(VALU_DEP_1)
	v_ashrrev_i32_e32 v9, 31, v8
	s_branch .LBB71_1514
.LBB71_1513:
	s_mov_b32 s4, -1
                                        ; implicit-def: $vgpr8_vgpr9
.LBB71_1514:
	s_delay_alu instid0(SALU_CYCLE_1)
	s_and_not1_b32 vcc_lo, exec_lo, s4
	s_cbranch_vccnz .LBB71_1516
; %bb.1515:
	global_load_u8 v3, v[6:7], off
	s_mov_b32 s4, 0
	s_wait_loadcnt 0x1
	v_mov_b32_e32 v9, s4
	s_wait_loadcnt 0x0
	v_and_b32_e32 v8, 0xffff, v3
.LBB71_1516:
	s_or_b32 s8, s8, exec_lo
.LBB71_1517:
	s_wait_xcnt 0x0
	s_or_b32 exec_lo, exec_lo, s0
	s_mov_b32 s0, 0
	s_mov_b32 s6, 0
                                        ; implicit-def: $sgpr4
                                        ; implicit-def: $vgpr6_vgpr7
                                        ; implicit-def: $vgpr4_vgpr5
	s_and_saveexec_b32 s5, s8
	s_cbranch_execz .LBB71_1525
; %bb.1518:
	s_wait_loadcnt 0x0
	v_mul_u64_e32 v[0:1], s[12:13], v[0:1]
	v_mov_b32_e32 v3, 0
	s_and_b32 s4, s14, 0xff
	s_delay_alu instid0(SALU_CYCLE_1) | instskip(NEXT) | instid1(VALU_DEP_1)
	s_cmp_lt_i32 s4, 11
	v_add_nc_u64_e32 v[6:7], s[20:21], v[2:3]
	s_delay_alu instid0(VALU_DEP_3)
	v_mul_u64_e32 v[4:5], v[0:1], v[8:9]
	s_cbranch_scc1 .LBB71_1528
; %bb.1519:
	s_and_b32 s6, 0xffff, s4
	s_mov_b32 s7, -1
	s_cmp_gt_i32 s6, 25
	s_mov_b32 s0, s43
	s_cbranch_scc0 .LBB71_1556
; %bb.1520:
	s_cmp_gt_i32 s6, 28
	s_mov_b32 s0, s43
	s_cbranch_scc0 .LBB71_1540
; %bb.1521:
	;; [unrolled: 4-line block ×4, first 2 shown]
	s_cmp_eq_u32 s6, 46
	s_mov_b32 s0, -1
	s_cbranch_scc0 .LBB71_1529
; %bb.1524:
	s_delay_alu instid0(VALU_DEP_1) | instskip(SKIP_3) | instid1(VALU_DEP_2)
	v_xor_b32_e32 v0, v4, v5
	v_cls_i32_e32 v1, v5
	s_mov_b32 s0, 0
	s_mov_b32 s7, 0
	v_ashrrev_i32_e32 v0, 31, v0
	s_delay_alu instid0(VALU_DEP_1) | instskip(NEXT) | instid1(VALU_DEP_1)
	v_add_nc_u32_e32 v0, 32, v0
	v_add_min_u32_e64 v2, v1, -1, v0
	s_delay_alu instid0(VALU_DEP_1) | instskip(NEXT) | instid1(VALU_DEP_1)
	v_lshlrev_b64_e32 v[0:1], v2, v[4:5]
	v_min_u32_e32 v0, 1, v0
	s_delay_alu instid0(VALU_DEP_1) | instskip(NEXT) | instid1(VALU_DEP_1)
	v_dual_sub_nc_u32 v1, 32, v2 :: v_dual_bitop2_b32 v0, v1, v0 bitop3:0x54
	v_cvt_f32_i32_e32 v0, v0
	s_delay_alu instid0(VALU_DEP_1) | instskip(NEXT) | instid1(VALU_DEP_1)
	v_ldexp_f32 v0, v0, v1
	v_bfe_u32 v1, v0, 16, 1
	s_delay_alu instid0(VALU_DEP_1) | instskip(NEXT) | instid1(VALU_DEP_1)
	v_add3_u32 v0, v0, v1, 0x7fff
	v_lshrrev_b32_e32 v0, 16, v0
	global_store_b32 v[6:7], v0, off
	s_branch .LBB71_1530
.LBB71_1525:
	s_or_b32 exec_lo, exec_lo, s5
	s_and_saveexec_b32 s5, s43
	s_cbranch_execnz .LBB71_1598
.LBB71_1526:
	s_or_b32 exec_lo, exec_lo, s5
	s_and_saveexec_b32 s5, s0
	s_delay_alu instid0(SALU_CYCLE_1)
	s_xor_b32 s0, exec_lo, s5
	s_cbranch_execz .LBB71_1599
.LBB71_1527:
	s_wait_loadcnt 0x0
	s_delay_alu instid0(VALU_DEP_1)
	v_cmp_ne_u64_e32 vcc_lo, 0, v[4:5]
	v_cndmask_b32_e64 v0, 0, 1, vcc_lo
	global_store_b8 v[6:7], v0, off
	s_wait_xcnt 0x0
	s_or_b32 exec_lo, exec_lo, s0
	s_and_saveexec_b32 s0, s6
	s_delay_alu instid0(SALU_CYCLE_1)
	s_xor_b32 s0, exec_lo, s0
	s_cbranch_execz .LBB71_1637
	s_branch .LBB71_1600
.LBB71_1528:
	s_mov_b32 s8, 0
	s_mov_b32 s7, -1
	s_mov_b32 s0, s43
	s_branch .LBB71_1597
.LBB71_1529:
	s_mov_b32 s7, 0
.LBB71_1530:
	s_delay_alu instid0(SALU_CYCLE_1)
	s_and_b32 vcc_lo, exec_lo, s7
	s_cbranch_vccz .LBB71_1535
; %bb.1531:
	s_cmp_eq_u32 s6, 44
	s_mov_b32 s0, -1
	s_cbranch_scc0 .LBB71_1535
; %bb.1532:
	s_wait_xcnt 0x0
	s_delay_alu instid0(VALU_DEP_1) | instskip(SKIP_2) | instid1(VALU_DEP_2)
	v_xor_b32_e32 v0, v4, v5
	v_cls_i32_e32 v1, v5
	s_mov_b32 s7, exec_lo
	v_ashrrev_i32_e32 v0, 31, v0
	s_delay_alu instid0(VALU_DEP_1) | instskip(NEXT) | instid1(VALU_DEP_1)
	v_add_nc_u32_e32 v0, 32, v0
	v_add_min_u32_e64 v2, v1, -1, v0
	s_delay_alu instid0(VALU_DEP_1) | instskip(NEXT) | instid1(VALU_DEP_1)
	v_lshlrev_b64_e32 v[0:1], v2, v[4:5]
	v_min_u32_e32 v0, 1, v0
	s_delay_alu instid0(VALU_DEP_1) | instskip(NEXT) | instid1(VALU_DEP_1)
	v_dual_sub_nc_u32 v1, 32, v2 :: v_dual_bitop2_b32 v0, v1, v0 bitop3:0x54
	v_cvt_f32_i32_e32 v0, v0
	s_delay_alu instid0(VALU_DEP_1) | instskip(SKIP_1) | instid1(VALU_DEP_2)
	v_ldexp_f32 v0, v0, v1
	v_mov_b32_e32 v1, 0xff
	v_bfe_u32 v2, v0, 23, 8
	s_delay_alu instid0(VALU_DEP_1)
	v_cmpx_ne_u32_e32 0xff, v2
	s_cbranch_execz .LBB71_1534
; %bb.1533:
	v_and_b32_e32 v1, 0x400000, v0
	v_and_or_b32 v2, 0x3fffff, v0, v2
	v_lshrrev_b32_e32 v0, 23, v0
	s_delay_alu instid0(VALU_DEP_3) | instskip(NEXT) | instid1(VALU_DEP_3)
	v_cmp_ne_u32_e32 vcc_lo, 0, v1
	v_cmp_ne_u32_e64 s0, 0, v2
	s_and_b32 s0, vcc_lo, s0
	s_delay_alu instid0(SALU_CYCLE_1) | instskip(NEXT) | instid1(VALU_DEP_1)
	v_cndmask_b32_e64 v1, 0, 1, s0
	v_add_nc_u32_e32 v1, v0, v1
.LBB71_1534:
	s_or_b32 exec_lo, exec_lo, s7
	s_mov_b32 s0, 0
	global_store_b8 v[6:7], v1, off
.LBB71_1535:
	s_mov_b32 s7, 0
.LBB71_1536:
	s_delay_alu instid0(SALU_CYCLE_1)
	s_and_b32 vcc_lo, exec_lo, s7
	s_cbranch_vccz .LBB71_1539
; %bb.1537:
	s_cmp_eq_u32 s6, 29
	s_mov_b32 s0, -1
	s_cbranch_scc0 .LBB71_1539
; %bb.1538:
	s_mov_b32 s0, 0
	global_store_b64 v[6:7], v[4:5], off
.LBB71_1539:
	s_mov_b32 s7, 0
.LBB71_1540:
	s_delay_alu instid0(SALU_CYCLE_1)
	s_and_b32 vcc_lo, exec_lo, s7
	s_cbranch_vccz .LBB71_1555
; %bb.1541:
	s_cmp_lt_i32 s6, 27
	s_mov_b32 s7, -1
	s_cbranch_scc1 .LBB71_1547
; %bb.1542:
	s_cmp_gt_i32 s6, 27
	s_cbranch_scc0 .LBB71_1544
; %bb.1543:
	s_mov_b32 s7, 0
	global_store_b32 v[6:7], v4, off
.LBB71_1544:
	s_and_not1_b32 vcc_lo, exec_lo, s7
	s_cbranch_vccnz .LBB71_1546
; %bb.1545:
	global_store_b16 v[6:7], v4, off
.LBB71_1546:
	s_mov_b32 s7, 0
.LBB71_1547:
	s_delay_alu instid0(SALU_CYCLE_1)
	s_and_not1_b32 vcc_lo, exec_lo, s7
	s_cbranch_vccnz .LBB71_1555
; %bb.1548:
	s_wait_xcnt 0x0
	s_delay_alu instid0(VALU_DEP_1) | instskip(SKIP_2) | instid1(VALU_DEP_2)
	v_xor_b32_e32 v0, v4, v5
	v_cls_i32_e32 v1, v5
	s_mov_b32 s7, exec_lo
	v_ashrrev_i32_e32 v0, 31, v0
	s_delay_alu instid0(VALU_DEP_1) | instskip(NEXT) | instid1(VALU_DEP_1)
	v_add_nc_u32_e32 v0, 32, v0
	v_add_min_u32_e64 v2, v1, -1, v0
	s_delay_alu instid0(VALU_DEP_1) | instskip(NEXT) | instid1(VALU_DEP_1)
	v_lshlrev_b64_e32 v[0:1], v2, v[4:5]
	v_min_u32_e32 v0, 1, v0
	s_delay_alu instid0(VALU_DEP_1) | instskip(SKIP_1) | instid1(VALU_DEP_2)
	v_dual_sub_nc_u32 v1, 32, v2 :: v_dual_bitop2_b32 v0, v1, v0 bitop3:0x54
	v_mov_b32_e32 v2, 0x80
	v_cvt_f32_i32_e32 v0, v0
	s_delay_alu instid0(VALU_DEP_1) | instskip(NEXT) | instid1(VALU_DEP_1)
	v_ldexp_f32 v0, v0, v1
	v_and_b32_e32 v1, 0x7fffffff, v0
	s_delay_alu instid0(VALU_DEP_1)
	v_cmpx_gt_u32_e32 0x43800000, v1
	s_cbranch_execz .LBB71_1554
; %bb.1549:
	v_cmp_lt_u32_e32 vcc_lo, 0x3bffffff, v1
	s_mov_b32 s8, 0
                                        ; implicit-def: $vgpr1
	s_and_saveexec_b32 s9, vcc_lo
	s_delay_alu instid0(SALU_CYCLE_1)
	s_xor_b32 s9, exec_lo, s9
	s_cbranch_execz .LBB71_1713
; %bb.1550:
	v_bfe_u32 v1, v0, 20, 1
	s_mov_b32 s8, exec_lo
	s_delay_alu instid0(VALU_DEP_1) | instskip(NEXT) | instid1(VALU_DEP_1)
	v_add3_u32 v1, v0, v1, 0x487ffff
	v_lshrrev_b32_e32 v1, 20, v1
	s_and_not1_saveexec_b32 s9, s9
	s_cbranch_execnz .LBB71_1714
.LBB71_1551:
	s_or_b32 exec_lo, exec_lo, s9
	v_mov_b32_e32 v2, 0
	s_and_saveexec_b32 s9, s8
.LBB71_1552:
	v_lshrrev_b32_e32 v0, 24, v0
	s_delay_alu instid0(VALU_DEP_1)
	v_and_or_b32 v2, 0x80, v0, v1
.LBB71_1553:
	s_or_b32 exec_lo, exec_lo, s9
.LBB71_1554:
	s_delay_alu instid0(SALU_CYCLE_1)
	s_or_b32 exec_lo, exec_lo, s7
	global_store_b8 v[6:7], v2, off
.LBB71_1555:
	s_mov_b32 s7, 0
.LBB71_1556:
	s_delay_alu instid0(SALU_CYCLE_1)
	s_and_b32 vcc_lo, exec_lo, s7
	s_mov_b32 s7, 0
	s_cbranch_vccz .LBB71_1596
; %bb.1557:
	s_cmp_gt_i32 s6, 22
	s_mov_b32 s8, -1
	s_cbranch_scc0 .LBB71_1589
; %bb.1558:
	s_cmp_lt_i32 s6, 24
	s_cbranch_scc1 .LBB71_1578
; %bb.1559:
	s_cmp_gt_i32 s6, 24
	s_cbranch_scc0 .LBB71_1567
; %bb.1560:
	s_wait_xcnt 0x0
	s_delay_alu instid0(VALU_DEP_1) | instskip(SKIP_2) | instid1(VALU_DEP_2)
	v_xor_b32_e32 v0, v4, v5
	v_cls_i32_e32 v1, v5
	s_mov_b32 s8, exec_lo
	v_ashrrev_i32_e32 v0, 31, v0
	s_delay_alu instid0(VALU_DEP_1) | instskip(NEXT) | instid1(VALU_DEP_1)
	v_add_nc_u32_e32 v0, 32, v0
	v_add_min_u32_e64 v2, v1, -1, v0
	s_delay_alu instid0(VALU_DEP_1) | instskip(NEXT) | instid1(VALU_DEP_1)
	v_lshlrev_b64_e32 v[0:1], v2, v[4:5]
	v_min_u32_e32 v0, 1, v0
	s_delay_alu instid0(VALU_DEP_1) | instskip(SKIP_1) | instid1(VALU_DEP_2)
	v_dual_sub_nc_u32 v1, 32, v2 :: v_dual_bitop2_b32 v0, v1, v0 bitop3:0x54
	v_mov_b32_e32 v2, 0x80
	v_cvt_f32_i32_e32 v0, v0
	s_delay_alu instid0(VALU_DEP_1) | instskip(NEXT) | instid1(VALU_DEP_1)
	v_ldexp_f32 v0, v0, v1
	v_and_b32_e32 v1, 0x7fffffff, v0
	s_delay_alu instid0(VALU_DEP_1)
	v_cmpx_gt_u32_e32 0x47800000, v1
	s_cbranch_execz .LBB71_1566
; %bb.1561:
	v_cmp_lt_u32_e32 vcc_lo, 0x37ffffff, v1
	s_mov_b32 s9, 0
                                        ; implicit-def: $vgpr1
	s_and_saveexec_b32 s10, vcc_lo
	s_delay_alu instid0(SALU_CYCLE_1)
	s_xor_b32 s10, exec_lo, s10
	s_cbranch_execz .LBB71_1716
; %bb.1562:
	v_bfe_u32 v1, v0, 21, 1
	s_mov_b32 s9, exec_lo
	s_delay_alu instid0(VALU_DEP_1) | instskip(NEXT) | instid1(VALU_DEP_1)
	v_add3_u32 v1, v0, v1, 0x88fffff
	v_lshrrev_b32_e32 v1, 21, v1
	s_and_not1_saveexec_b32 s10, s10
	s_cbranch_execnz .LBB71_1717
.LBB71_1563:
	s_or_b32 exec_lo, exec_lo, s10
	v_mov_b32_e32 v2, 0
	s_and_saveexec_b32 s10, s9
.LBB71_1564:
	v_lshrrev_b32_e32 v0, 24, v0
	s_delay_alu instid0(VALU_DEP_1)
	v_and_or_b32 v2, 0x80, v0, v1
.LBB71_1565:
	s_or_b32 exec_lo, exec_lo, s10
.LBB71_1566:
	s_delay_alu instid0(SALU_CYCLE_1)
	s_or_b32 exec_lo, exec_lo, s8
	s_mov_b32 s8, 0
	global_store_b8 v[6:7], v2, off
.LBB71_1567:
	s_and_b32 vcc_lo, exec_lo, s8
	s_cbranch_vccz .LBB71_1577
; %bb.1568:
	s_wait_xcnt 0x0
	s_delay_alu instid0(VALU_DEP_1) | instskip(SKIP_2) | instid1(VALU_DEP_2)
	v_xor_b32_e32 v0, v4, v5
	v_cls_i32_e32 v1, v5
	s_mov_b32 s8, exec_lo
	v_ashrrev_i32_e32 v0, 31, v0
	s_delay_alu instid0(VALU_DEP_1) | instskip(NEXT) | instid1(VALU_DEP_1)
	v_add_nc_u32_e32 v0, 32, v0
	v_add_min_u32_e64 v2, v1, -1, v0
	s_delay_alu instid0(VALU_DEP_1) | instskip(NEXT) | instid1(VALU_DEP_1)
	v_lshlrev_b64_e32 v[0:1], v2, v[4:5]
	v_min_u32_e32 v0, 1, v0
	s_delay_alu instid0(VALU_DEP_1) | instskip(NEXT) | instid1(VALU_DEP_1)
	v_dual_sub_nc_u32 v1, 32, v2 :: v_dual_bitop2_b32 v0, v1, v0 bitop3:0x54
	v_cvt_f32_i32_e32 v0, v0
	s_delay_alu instid0(VALU_DEP_1) | instskip(NEXT) | instid1(VALU_DEP_1)
	v_ldexp_f32 v0, v0, v1
                                        ; implicit-def: $vgpr1
	v_and_b32_e32 v2, 0x7fffffff, v0
	s_delay_alu instid0(VALU_DEP_1)
	v_cmpx_gt_u32_e32 0x43f00000, v2
	s_xor_b32 s8, exec_lo, s8
	s_cbranch_execz .LBB71_1574
; %bb.1569:
	s_mov_b32 s9, exec_lo
                                        ; implicit-def: $vgpr1
	v_cmpx_lt_u32_e32 0x3c7fffff, v2
	s_xor_b32 s9, exec_lo, s9
; %bb.1570:
	v_bfe_u32 v1, v0, 20, 1
	s_delay_alu instid0(VALU_DEP_1) | instskip(NEXT) | instid1(VALU_DEP_1)
	v_add3_u32 v1, v0, v1, 0x407ffff
	v_and_b32_e32 v2, 0xff00000, v1
	v_lshrrev_b32_e32 v1, 20, v1
	s_delay_alu instid0(VALU_DEP_2) | instskip(NEXT) | instid1(VALU_DEP_2)
	v_cmp_ne_u32_e32 vcc_lo, 0x7f00000, v2
	v_cndmask_b32_e32 v1, 0x7e, v1, vcc_lo
; %bb.1571:
	s_and_not1_saveexec_b32 s9, s9
; %bb.1572:
	v_add_f32_e64 v1, 0x46800000, |v0|
; %bb.1573:
	s_or_b32 exec_lo, exec_lo, s9
                                        ; implicit-def: $vgpr2
.LBB71_1574:
	s_and_not1_saveexec_b32 s8, s8
; %bb.1575:
	v_mov_b32_e32 v1, 0x7f
	v_cmp_lt_u32_e32 vcc_lo, 0x7f800000, v2
	s_delay_alu instid0(VALU_DEP_2)
	v_cndmask_b32_e32 v1, 0x7e, v1, vcc_lo
; %bb.1576:
	s_or_b32 exec_lo, exec_lo, s8
	v_lshrrev_b32_e32 v0, 24, v0
	s_delay_alu instid0(VALU_DEP_1)
	v_and_or_b32 v0, 0x80, v0, v1
	global_store_b8 v[6:7], v0, off
.LBB71_1577:
	s_mov_b32 s8, 0
.LBB71_1578:
	s_delay_alu instid0(SALU_CYCLE_1)
	s_and_not1_b32 vcc_lo, exec_lo, s8
	s_cbranch_vccnz .LBB71_1588
; %bb.1579:
	s_wait_xcnt 0x0
	s_delay_alu instid0(VALU_DEP_1) | instskip(SKIP_2) | instid1(VALU_DEP_2)
	v_xor_b32_e32 v0, v4, v5
	v_cls_i32_e32 v1, v5
	s_mov_b32 s8, exec_lo
	v_ashrrev_i32_e32 v0, 31, v0
	s_delay_alu instid0(VALU_DEP_1) | instskip(NEXT) | instid1(VALU_DEP_1)
	v_add_nc_u32_e32 v0, 32, v0
	v_add_min_u32_e64 v2, v1, -1, v0
	s_delay_alu instid0(VALU_DEP_1) | instskip(NEXT) | instid1(VALU_DEP_1)
	v_lshlrev_b64_e32 v[0:1], v2, v[4:5]
	v_min_u32_e32 v0, 1, v0
	s_delay_alu instid0(VALU_DEP_1) | instskip(NEXT) | instid1(VALU_DEP_1)
	v_dual_sub_nc_u32 v1, 32, v2 :: v_dual_bitop2_b32 v0, v1, v0 bitop3:0x54
	v_cvt_f32_i32_e32 v0, v0
	s_delay_alu instid0(VALU_DEP_1) | instskip(NEXT) | instid1(VALU_DEP_1)
	v_ldexp_f32 v0, v0, v1
                                        ; implicit-def: $vgpr1
	v_and_b32_e32 v2, 0x7fffffff, v0
	s_delay_alu instid0(VALU_DEP_1)
	v_cmpx_gt_u32_e32 0x47800000, v2
	s_xor_b32 s8, exec_lo, s8
	s_cbranch_execz .LBB71_1585
; %bb.1580:
	s_mov_b32 s9, exec_lo
                                        ; implicit-def: $vgpr1
	v_cmpx_lt_u32_e32 0x387fffff, v2
	s_xor_b32 s9, exec_lo, s9
; %bb.1581:
	v_bfe_u32 v1, v0, 21, 1
	s_delay_alu instid0(VALU_DEP_1) | instskip(NEXT) | instid1(VALU_DEP_1)
	v_add3_u32 v1, v0, v1, 0x80fffff
	v_lshrrev_b32_e32 v1, 21, v1
; %bb.1582:
	s_and_not1_saveexec_b32 s9, s9
; %bb.1583:
	v_add_f32_e64 v1, 0x43000000, |v0|
; %bb.1584:
	s_or_b32 exec_lo, exec_lo, s9
                                        ; implicit-def: $vgpr2
.LBB71_1585:
	s_and_not1_saveexec_b32 s8, s8
; %bb.1586:
	v_mov_b32_e32 v1, 0x7f
	v_cmp_lt_u32_e32 vcc_lo, 0x7f800000, v2
	s_delay_alu instid0(VALU_DEP_2)
	v_cndmask_b32_e32 v1, 0x7c, v1, vcc_lo
; %bb.1587:
	s_or_b32 exec_lo, exec_lo, s8
	v_lshrrev_b32_e32 v0, 24, v0
	s_delay_alu instid0(VALU_DEP_1)
	v_and_or_b32 v0, 0x80, v0, v1
	global_store_b8 v[6:7], v0, off
.LBB71_1588:
	s_mov_b32 s8, 0
.LBB71_1589:
	s_delay_alu instid0(SALU_CYCLE_1)
	s_and_not1_b32 vcc_lo, exec_lo, s8
	s_mov_b32 s8, 0
	s_cbranch_vccnz .LBB71_1597
; %bb.1590:
	s_cmp_gt_i32 s6, 14
	s_mov_b32 s8, -1
	s_cbranch_scc0 .LBB71_1594
; %bb.1591:
	s_cmp_eq_u32 s6, 15
	s_mov_b32 s0, -1
	s_cbranch_scc0 .LBB71_1593
; %bb.1592:
	s_wait_xcnt 0x0
	s_delay_alu instid0(VALU_DEP_1) | instskip(SKIP_2) | instid1(VALU_DEP_2)
	v_xor_b32_e32 v0, v4, v5
	v_cls_i32_e32 v1, v5
	s_mov_b32 s0, 0
	v_ashrrev_i32_e32 v0, 31, v0
	s_delay_alu instid0(VALU_DEP_1) | instskip(NEXT) | instid1(VALU_DEP_1)
	v_add_nc_u32_e32 v0, 32, v0
	v_add_min_u32_e64 v2, v1, -1, v0
	s_delay_alu instid0(VALU_DEP_1) | instskip(NEXT) | instid1(VALU_DEP_1)
	v_lshlrev_b64_e32 v[0:1], v2, v[4:5]
	v_min_u32_e32 v0, 1, v0
	s_delay_alu instid0(VALU_DEP_1) | instskip(NEXT) | instid1(VALU_DEP_1)
	v_dual_sub_nc_u32 v1, 32, v2 :: v_dual_bitop2_b32 v0, v1, v0 bitop3:0x54
	v_cvt_f32_i32_e32 v0, v0
	s_delay_alu instid0(VALU_DEP_1) | instskip(NEXT) | instid1(VALU_DEP_1)
	v_ldexp_f32 v0, v0, v1
	v_bfe_u32 v1, v0, 16, 1
	s_delay_alu instid0(VALU_DEP_1)
	v_add3_u32 v0, v0, v1, 0x7fff
	global_store_d16_hi_b16 v[6:7], v0, off
.LBB71_1593:
	s_mov_b32 s8, 0
.LBB71_1594:
	s_delay_alu instid0(SALU_CYCLE_1)
	s_and_b32 vcc_lo, exec_lo, s8
	s_mov_b32 s8, 0
	s_cbranch_vccz .LBB71_1597
; %bb.1595:
	s_cmp_lg_u32 s6, 11
	s_mov_b32 s8, -1
	s_cselect_b32 s6, -1, 0
	s_and_not1_b32 s0, s0, exec_lo
	s_and_b32 s6, s6, exec_lo
	s_delay_alu instid0(SALU_CYCLE_1)
	s_or_b32 s0, s0, s6
	s_branch .LBB71_1597
.LBB71_1596:
	s_mov_b32 s8, 0
.LBB71_1597:
	s_and_b32 s6, s7, exec_lo
	s_and_not1_b32 s7, s43, exec_lo
	s_and_b32 s9, s0, exec_lo
	s_and_b32 s0, s8, exec_lo
	s_or_b32 s43, s7, s9
	s_wait_xcnt 0x0
	s_or_b32 exec_lo, exec_lo, s5
	s_and_saveexec_b32 s5, s43
	s_cbranch_execz .LBB71_1526
.LBB71_1598:
	s_or_b32 s1, s1, exec_lo
	s_and_not1_b32 s0, s0, exec_lo
	s_trap 2
	s_or_b32 exec_lo, exec_lo, s5
	s_and_saveexec_b32 s5, s0
	s_delay_alu instid0(SALU_CYCLE_1)
	s_xor_b32 s0, exec_lo, s5
	s_cbranch_execnz .LBB71_1527
.LBB71_1599:
	s_or_b32 exec_lo, exec_lo, s0
	s_and_saveexec_b32 s0, s6
	s_delay_alu instid0(SALU_CYCLE_1)
	s_xor_b32 s0, exec_lo, s0
	s_cbranch_execz .LBB71_1637
.LBB71_1600:
	s_sext_i32_i16 s6, s4
	s_mov_b32 s5, -1
	s_cmp_lt_i32 s6, 5
	s_cbranch_scc1 .LBB71_1621
; %bb.1601:
	s_cmp_lt_i32 s6, 8
	s_cbranch_scc1 .LBB71_1611
; %bb.1602:
	;; [unrolled: 3-line block ×3, first 2 shown]
	s_cmp_gt_i32 s6, 9
	s_cbranch_scc0 .LBB71_1605
; %bb.1604:
	s_wait_loadcnt 0x0
	v_cvt_f64_i32_e32 v[0:1], v5
	v_cvt_f64_u32_e32 v[2:3], v4
	s_mov_b32 s5, 0
	s_delay_alu instid0(VALU_DEP_2) | instskip(NEXT) | instid1(VALU_DEP_1)
	v_ldexp_f64 v[0:1], v[0:1], 32
	v_dual_add_f64 v[0:1], v[0:1], v[2:3] :: v_dual_mov_b32 v2, 0
	s_delay_alu instid0(VALU_DEP_1)
	v_mov_b32_e32 v3, v2
	global_store_b128 v[6:7], v[0:3], off
.LBB71_1605:
	s_and_not1_b32 vcc_lo, exec_lo, s5
	s_cbranch_vccnz .LBB71_1607
; %bb.1606:
	s_wait_loadcnt 0x0
	v_xor_b32_e32 v0, v4, v5
	v_cls_i32_e32 v1, v5
	s_delay_alu instid0(VALU_DEP_2) | instskip(NEXT) | instid1(VALU_DEP_1)
	v_ashrrev_i32_e32 v0, 31, v0
	v_add_nc_u32_e32 v0, 32, v0
	s_delay_alu instid0(VALU_DEP_1) | instskip(NEXT) | instid1(VALU_DEP_1)
	v_add_min_u32_e64 v2, v1, -1, v0
	v_lshlrev_b64_e32 v[0:1], v2, v[4:5]
	s_delay_alu instid0(VALU_DEP_1) | instskip(NEXT) | instid1(VALU_DEP_1)
	v_min_u32_e32 v0, 1, v0
	v_dual_sub_nc_u32 v1, 32, v2 :: v_dual_bitop2_b32 v0, v1, v0 bitop3:0x54
	s_delay_alu instid0(VALU_DEP_1) | instskip(NEXT) | instid1(VALU_DEP_1)
	v_cvt_f32_i32_e32 v0, v0
	v_ldexp_f32 v0, v0, v1
	v_mov_b32_e32 v1, 0
	global_store_b64 v[6:7], v[0:1], off
.LBB71_1607:
	s_mov_b32 s5, 0
.LBB71_1608:
	s_delay_alu instid0(SALU_CYCLE_1)
	s_and_not1_b32 vcc_lo, exec_lo, s5
	s_cbranch_vccnz .LBB71_1610
; %bb.1609:
	s_wait_loadcnt 0x0
	v_xor_b32_e32 v0, v4, v5
	v_cls_i32_e32 v1, v5
	s_delay_alu instid0(VALU_DEP_2) | instskip(NEXT) | instid1(VALU_DEP_1)
	v_ashrrev_i32_e32 v0, 31, v0
	v_add_nc_u32_e32 v0, 32, v0
	s_delay_alu instid0(VALU_DEP_1) | instskip(NEXT) | instid1(VALU_DEP_1)
	v_add_min_u32_e64 v2, v1, -1, v0
	v_lshlrev_b64_e32 v[0:1], v2, v[4:5]
	s_delay_alu instid0(VALU_DEP_1) | instskip(NEXT) | instid1(VALU_DEP_1)
	v_min_u32_e32 v0, 1, v0
	v_dual_sub_nc_u32 v1, 32, v2 :: v_dual_bitop2_b32 v0, v1, v0 bitop3:0x54
	s_delay_alu instid0(VALU_DEP_1) | instskip(NEXT) | instid1(VALU_DEP_1)
	v_cvt_f32_i32_e32 v0, v0
	v_ldexp_f32 v0, v0, v1
	s_delay_alu instid0(VALU_DEP_1) | instskip(NEXT) | instid1(VALU_DEP_1)
	v_cvt_f16_f32_e32 v0, v0
	v_and_b32_e32 v0, 0xffff, v0
	global_store_b32 v[6:7], v0, off
.LBB71_1610:
	s_mov_b32 s5, 0
.LBB71_1611:
	s_delay_alu instid0(SALU_CYCLE_1)
	s_and_not1_b32 vcc_lo, exec_lo, s5
	s_cbranch_vccnz .LBB71_1620
; %bb.1612:
	s_sext_i32_i16 s6, s4
	s_mov_b32 s5, -1
	s_cmp_lt_i32 s6, 6
	s_cbranch_scc1 .LBB71_1618
; %bb.1613:
	s_cmp_gt_i32 s6, 6
	s_cbranch_scc0 .LBB71_1615
; %bb.1614:
	s_wait_loadcnt 0x0
	v_cvt_f64_i32_e32 v[0:1], v5
	v_cvt_f64_u32_e32 v[2:3], v4
	s_mov_b32 s5, 0
	s_delay_alu instid0(VALU_DEP_2) | instskip(NEXT) | instid1(VALU_DEP_1)
	v_ldexp_f64 v[0:1], v[0:1], 32
	v_add_f64_e32 v[0:1], v[0:1], v[2:3]
	global_store_b64 v[6:7], v[0:1], off
.LBB71_1615:
	s_and_not1_b32 vcc_lo, exec_lo, s5
	s_cbranch_vccnz .LBB71_1617
; %bb.1616:
	s_wait_loadcnt 0x0
	v_xor_b32_e32 v0, v4, v5
	v_cls_i32_e32 v1, v5
	s_delay_alu instid0(VALU_DEP_2) | instskip(NEXT) | instid1(VALU_DEP_1)
	v_ashrrev_i32_e32 v0, 31, v0
	v_add_nc_u32_e32 v0, 32, v0
	s_delay_alu instid0(VALU_DEP_1) | instskip(NEXT) | instid1(VALU_DEP_1)
	v_add_min_u32_e64 v2, v1, -1, v0
	v_lshlrev_b64_e32 v[0:1], v2, v[4:5]
	s_delay_alu instid0(VALU_DEP_1) | instskip(NEXT) | instid1(VALU_DEP_1)
	v_min_u32_e32 v0, 1, v0
	v_dual_sub_nc_u32 v1, 32, v2 :: v_dual_bitop2_b32 v0, v1, v0 bitop3:0x54
	s_delay_alu instid0(VALU_DEP_1) | instskip(NEXT) | instid1(VALU_DEP_1)
	v_cvt_f32_i32_e32 v0, v0
	v_ldexp_f32 v0, v0, v1
	global_store_b32 v[6:7], v0, off
.LBB71_1617:
	s_mov_b32 s5, 0
.LBB71_1618:
	s_delay_alu instid0(SALU_CYCLE_1)
	s_and_not1_b32 vcc_lo, exec_lo, s5
	s_cbranch_vccnz .LBB71_1620
; %bb.1619:
	s_wait_loadcnt 0x0
	v_xor_b32_e32 v0, v4, v5
	v_cls_i32_e32 v1, v5
	s_delay_alu instid0(VALU_DEP_2) | instskip(NEXT) | instid1(VALU_DEP_1)
	v_ashrrev_i32_e32 v0, 31, v0
	v_add_nc_u32_e32 v0, 32, v0
	s_delay_alu instid0(VALU_DEP_1) | instskip(NEXT) | instid1(VALU_DEP_1)
	v_add_min_u32_e64 v2, v1, -1, v0
	v_lshlrev_b64_e32 v[0:1], v2, v[4:5]
	s_delay_alu instid0(VALU_DEP_1) | instskip(NEXT) | instid1(VALU_DEP_1)
	v_min_u32_e32 v0, 1, v0
	v_dual_sub_nc_u32 v1, 32, v2 :: v_dual_bitop2_b32 v0, v1, v0 bitop3:0x54
	s_delay_alu instid0(VALU_DEP_1) | instskip(NEXT) | instid1(VALU_DEP_1)
	v_cvt_f32_i32_e32 v0, v0
	v_ldexp_f32 v0, v0, v1
	s_delay_alu instid0(VALU_DEP_1)
	v_cvt_f16_f32_e32 v0, v0
	global_store_b16 v[6:7], v0, off
.LBB71_1620:
	s_mov_b32 s5, 0
.LBB71_1621:
	s_delay_alu instid0(SALU_CYCLE_1)
	s_and_not1_b32 vcc_lo, exec_lo, s5
	s_cbranch_vccnz .LBB71_1637
; %bb.1622:
	s_sext_i32_i16 s6, s4
	s_mov_b32 s5, -1
	s_cmp_lt_i32 s6, 2
	s_cbranch_scc1 .LBB71_1632
; %bb.1623:
	s_cmp_lt_i32 s6, 3
	s_cbranch_scc1 .LBB71_1629
; %bb.1624:
	s_cmp_gt_i32 s6, 3
	s_cbranch_scc0 .LBB71_1626
; %bb.1625:
	s_mov_b32 s5, 0
	s_wait_loadcnt 0x0
	global_store_b64 v[6:7], v[4:5], off
.LBB71_1626:
	s_and_not1_b32 vcc_lo, exec_lo, s5
	s_cbranch_vccnz .LBB71_1628
; %bb.1627:
	s_wait_loadcnt 0x0
	global_store_b32 v[6:7], v4, off
.LBB71_1628:
	s_mov_b32 s5, 0
.LBB71_1629:
	s_delay_alu instid0(SALU_CYCLE_1)
	s_and_not1_b32 vcc_lo, exec_lo, s5
	s_cbranch_vccnz .LBB71_1631
; %bb.1630:
	s_wait_loadcnt 0x0
	global_store_b16 v[6:7], v4, off
.LBB71_1631:
	s_mov_b32 s5, 0
.LBB71_1632:
	s_delay_alu instid0(SALU_CYCLE_1)
	s_and_not1_b32 vcc_lo, exec_lo, s5
	s_cbranch_vccnz .LBB71_1637
; %bb.1633:
	s_sext_i32_i16 s4, s4
	s_delay_alu instid0(SALU_CYCLE_1)
	s_cmp_gt_i32 s4, 0
	s_mov_b32 s4, -1
	s_cbranch_scc0 .LBB71_1635
; %bb.1634:
	s_mov_b32 s4, 0
	s_wait_loadcnt 0x0
	global_store_b8 v[6:7], v4, off
.LBB71_1635:
	s_and_not1_b32 vcc_lo, exec_lo, s4
	s_cbranch_vccnz .LBB71_1637
; %bb.1636:
	s_wait_loadcnt 0x0
	global_store_b8 v[6:7], v4, off
.LBB71_1637:
	s_wait_xcnt 0x0
	s_or_b32 exec_lo, exec_lo, s0
	s_delay_alu instid0(SALU_CYCLE_1)
	s_and_b32 s7, s1, exec_lo
                                        ; implicit-def: $vgpr1
                                        ; implicit-def: $vgpr0
.LBB71_1638:
	s_or_saveexec_b32 s8, s35
	s_mov_b32 s0, 0
                                        ; implicit-def: $vgpr2_vgpr3
                                        ; implicit-def: $sgpr1
                                        ; implicit-def: $vgpr4_vgpr5
	s_xor_b32 exec_lo, exec_lo, s8
	s_cbranch_execz .LBB71_3218
; %bb.1639:
	v_cndmask_b32_e64 v3, 0, 1, s34
	s_and_not1_b32 vcc_lo, exec_lo, s34
	s_cbranch_vccnz .LBB71_1645
; %bb.1640:
	s_cmp_lg_u32 s15, 0
	s_mov_b32 s6, 0
	s_cbranch_scc0 .LBB71_1649
; %bb.1641:
	s_min_u32 s9, s19, 15
	s_wait_loadcnt 0x0
	v_dual_mov_b32 v6, 0 :: v_dual_mov_b32 v2, v0
	v_dual_mov_b32 v8, 0 :: v_dual_mov_b32 v12, 0
	s_add_co_i32 s4, s9, 1
	s_mov_b64 s[0:1], 0xffffffffffffffe0
	s_and_b32 s10, s4, 30
	s_add_nc_u64 s[0:1], s[2:3], s[0:1]
	s_mov_b64 s[4:5], s[2:3]
.LBB71_1642:                            ; =>This Inner Loop Header: Depth=1
	s_clause 0x1
	s_load_b128 s[20:23], s[4:5], 0x4
	s_load_b64 s[16:17], s[4:5], 0x14
	s_clause 0x1
	s_load_b32 s11, s[0:1], 0xe4
	s_load_b96 s[12:14], s[0:1], 0xec
	s_add_co_i32 s10, s10, -2
	s_wait_xcnt 0x0
	s_add_nc_u64 s[4:5], s[4:5], 24
	s_cmp_lg_u32 s10, 0
	s_wait_kmcnt 0x0
	v_mul_hi_u32 v4, s21, v2
	s_delay_alu instid0(VALU_DEP_1) | instskip(NEXT) | instid1(VALU_DEP_1)
	v_add_nc_u32_e32 v4, v2, v4
	v_lshrrev_b32_e32 v4, s22, v4
	s_delay_alu instid0(VALU_DEP_1) | instskip(SKIP_1) | instid1(VALU_DEP_1)
	v_mul_hi_u32 v5, s16, v4
	v_mul_lo_u32 v7, v4, s20
	v_dual_add_nc_u32 v5, v4, v5 :: v_dual_sub_nc_u32 v7, v2, v7
	s_delay_alu instid0(VALU_DEP_1) | instskip(SKIP_1) | instid1(VALU_DEP_2)
	v_lshrrev_b32_e32 v2, s17, v5
	s_load_b64 s[16:17], s[0:1], 0xfc
	v_mad_u32 v6, v7, s11, v6
	v_mad_u32 v9, v7, s13, v12
	v_mad_u32 v7, v7, s12, v8
	v_mul_lo_u32 v5, v2, s23
	s_wait_xcnt 0x0
	s_add_nc_u64 s[0:1], s[0:1], 32
	s_delay_alu instid0(VALU_DEP_1) | instskip(NEXT) | instid1(VALU_DEP_1)
	v_sub_nc_u32_e32 v4, v4, v5
	v_mad_u32 v6, v4, s14, v6
	s_wait_kmcnt 0x0
	v_mad_u32 v12, v4, s17, v9
	v_mad_u32 v8, v4, s16, v7
	s_cbranch_scc1 .LBB71_1642
; %bb.1643:
	s_bitcmp1_b32 s9, 0
	s_cselect_b32 s9, -1, 0
	s_delay_alu instid0(SALU_CYCLE_1)
	s_and_b32 vcc_lo, exec_lo, s9
	s_cbranch_vccnz .LBB71_1646
; %bb.1644:
	s_load_b96 s[12:14], s[4:5], 0x4
	s_load_b32 s9, s[0:1], 0xe4
	s_wait_xcnt 0x0
	s_load_b64 s[4:5], s[0:1], 0xec
	s_wait_kmcnt 0x0
	v_mul_hi_u32 v4, s13, v2
	s_delay_alu instid0(VALU_DEP_1) | instskip(NEXT) | instid1(VALU_DEP_1)
	v_add_nc_u32_e32 v4, v2, v4
	v_lshrrev_b32_e32 v4, s14, v4
	s_delay_alu instid0(VALU_DEP_1) | instskip(NEXT) | instid1(VALU_DEP_1)
	v_mul_lo_u32 v4, v4, s12
	v_sub_nc_u32_e32 v2, v2, v4
	s_delay_alu instid0(VALU_DEP_1)
	v_mad_u32 v6, v2, s9, v6
	v_mad_u32 v8, v2, s4, v8
	;; [unrolled: 1-line block ×3, first 2 shown]
	s_and_not1_b32 vcc_lo, exec_lo, s6
	s_cbranch_vccz .LBB71_1647
	s_branch .LBB71_1650
.LBB71_1645:
	s_mov_b32 s6, -1
                                        ; implicit-def: $vgpr12
                                        ; implicit-def: $vgpr8
                                        ; implicit-def: $vgpr6
.LBB71_1646:
	s_delay_alu instid0(SALU_CYCLE_1)
	s_and_not1_b32 vcc_lo, exec_lo, s6
	s_cbranch_vccnz .LBB71_1650
.LBB71_1647:
	s_clause 0x2
	s_load_b96 s[4:6], s[2:3], 0x4
	s_load_b32 s9, s[2:3], 0xc4
	s_load_b64 s[0:1], s[2:3], 0xcc
	s_cmp_lt_u32 s15, 2
	s_wait_loadcnt 0x0
	s_wait_kmcnt 0x0
	v_mul_hi_u32 v2, s5, v0
	s_delay_alu instid0(VALU_DEP_1) | instskip(NEXT) | instid1(VALU_DEP_1)
	v_add_nc_u32_e32 v2, v0, v2
	v_lshrrev_b32_e32 v2, s6, v2
	s_delay_alu instid0(VALU_DEP_1) | instskip(NEXT) | instid1(VALU_DEP_1)
	v_mul_lo_u32 v4, v2, s4
	v_sub_nc_u32_e32 v4, v0, v4
	s_delay_alu instid0(VALU_DEP_1)
	v_mul_lo_u32 v6, v4, s9
	v_mul_lo_u32 v12, v4, s1
	;; [unrolled: 1-line block ×3, first 2 shown]
	s_cbranch_scc1 .LBB71_1650
; %bb.1648:
	s_clause 0x2
	s_load_b96 s[4:6], s[2:3], 0x10
	s_load_b32 s9, s[2:3], 0xd4
	s_load_b64 s[0:1], s[2:3], 0xdc
	s_wait_kmcnt 0x0
	v_mul_hi_u32 v4, s5, v2
	s_delay_alu instid0(VALU_DEP_1) | instskip(NEXT) | instid1(VALU_DEP_1)
	v_add_nc_u32_e32 v4, v2, v4
	v_lshrrev_b32_e32 v4, s6, v4
	s_delay_alu instid0(VALU_DEP_1) | instskip(NEXT) | instid1(VALU_DEP_1)
	v_mul_lo_u32 v4, v4, s4
	v_sub_nc_u32_e32 v2, v2, v4
	s_delay_alu instid0(VALU_DEP_1)
	v_mad_u32 v6, v2, s9, v6
	v_mad_u32 v8, v2, s0, v8
	;; [unrolled: 1-line block ×3, first 2 shown]
	s_branch .LBB71_1650
.LBB71_1649:
	s_wait_loadcnt 0x0
	v_dual_mov_b32 v12, 0 :: v_dual_mov_b32 v8, 0
	v_mov_b32_e32 v6, 0
	s_and_not1_b32 vcc_lo, exec_lo, s6
	s_cbranch_vccz .LBB71_1647
.LBB71_1650:
	v_cmp_ne_u32_e32 vcc_lo, 1, v3
	s_wait_loadcnt 0x0
	v_add_nc_u32_e32 v2, 0x80, v0
	s_cbranch_vccnz .LBB71_1656
; %bb.1651:
	s_cmp_lg_u32 s15, 0
	s_mov_b32 s6, 0
	s_cbranch_scc0 .LBB71_1660
; %bb.1652:
	s_min_u32 s9, s19, 15
	v_dual_mov_b32 v4, 0 :: v_dual_mov_b32 v5, v2
	v_dual_mov_b32 v14, 0 :: v_dual_mov_b32 v18, 0
	s_add_co_i32 s4, s9, 1
	s_mov_b64 s[0:1], 0xffffffffffffffe0
	s_and_b32 s10, s4, 30
	s_add_nc_u64 s[0:1], s[2:3], s[0:1]
	s_mov_b64 s[4:5], s[2:3]
.LBB71_1653:                            ; =>This Inner Loop Header: Depth=1
	s_clause 0x1
	s_load_b128 s[20:23], s[4:5], 0x4
	s_load_b64 s[16:17], s[4:5], 0x14
	s_clause 0x1
	s_load_b32 s11, s[0:1], 0xe4
	s_load_b96 s[12:14], s[0:1], 0xec
	s_add_co_i32 s10, s10, -2
	s_wait_xcnt 0x0
	s_add_nc_u64 s[4:5], s[4:5], 24
	s_cmp_lg_u32 s10, 0
	s_wait_kmcnt 0x0
	v_mul_hi_u32 v7, s21, v5
	s_delay_alu instid0(VALU_DEP_1) | instskip(NEXT) | instid1(VALU_DEP_1)
	v_add_nc_u32_e32 v7, v5, v7
	v_lshrrev_b32_e32 v7, s22, v7
	s_delay_alu instid0(VALU_DEP_1) | instskip(SKIP_1) | instid1(VALU_DEP_1)
	v_mul_hi_u32 v9, s16, v7
	v_mul_lo_u32 v10, v7, s20
	v_dual_add_nc_u32 v9, v7, v9 :: v_dual_sub_nc_u32 v10, v5, v10
	s_delay_alu instid0(VALU_DEP_1) | instskip(SKIP_1) | instid1(VALU_DEP_2)
	v_lshrrev_b32_e32 v5, s17, v9
	s_load_b64 s[16:17], s[0:1], 0xfc
	v_mad_u32 v4, v10, s11, v4
	v_mad_u32 v11, v10, s13, v18
	;; [unrolled: 1-line block ×3, first 2 shown]
	v_mul_lo_u32 v9, v5, s23
	s_wait_xcnt 0x0
	s_add_nc_u64 s[0:1], s[0:1], 32
	s_delay_alu instid0(VALU_DEP_1) | instskip(NEXT) | instid1(VALU_DEP_1)
	v_sub_nc_u32_e32 v7, v7, v9
	v_mad_u32 v4, v7, s14, v4
	s_wait_kmcnt 0x0
	v_mad_u32 v18, v7, s17, v11
	v_mad_u32 v14, v7, s16, v10
	s_cbranch_scc1 .LBB71_1653
; %bb.1654:
	s_bitcmp1_b32 s9, 0
	s_cselect_b32 s9, -1, 0
	s_delay_alu instid0(SALU_CYCLE_1)
	s_and_b32 vcc_lo, exec_lo, s9
	s_cbranch_vccnz .LBB71_1657
; %bb.1655:
	s_load_b96 s[12:14], s[4:5], 0x4
	s_load_b32 s9, s[0:1], 0xe4
	s_wait_xcnt 0x0
	s_load_b64 s[4:5], s[0:1], 0xec
	s_wait_kmcnt 0x0
	v_mul_hi_u32 v7, s13, v5
	s_delay_alu instid0(VALU_DEP_1) | instskip(NEXT) | instid1(VALU_DEP_1)
	v_add_nc_u32_e32 v7, v5, v7
	v_lshrrev_b32_e32 v7, s14, v7
	s_delay_alu instid0(VALU_DEP_1) | instskip(NEXT) | instid1(VALU_DEP_1)
	v_mul_lo_u32 v7, v7, s12
	v_sub_nc_u32_e32 v5, v5, v7
	s_delay_alu instid0(VALU_DEP_1)
	v_mad_u32 v4, v5, s9, v4
	v_mad_u32 v14, v5, s4, v14
	;; [unrolled: 1-line block ×3, first 2 shown]
	s_and_not1_b32 vcc_lo, exec_lo, s6
	s_cbranch_vccz .LBB71_1658
	s_branch .LBB71_1661
.LBB71_1656:
	s_mov_b32 s6, -1
                                        ; implicit-def: $vgpr18
                                        ; implicit-def: $vgpr14
                                        ; implicit-def: $vgpr4
.LBB71_1657:
	s_delay_alu instid0(SALU_CYCLE_1)
	s_and_not1_b32 vcc_lo, exec_lo, s6
	s_cbranch_vccnz .LBB71_1661
.LBB71_1658:
	s_clause 0x2
	s_load_b96 s[4:6], s[2:3], 0x4
	s_load_b32 s9, s[2:3], 0xc4
	s_load_b64 s[0:1], s[2:3], 0xcc
	s_cmp_lt_u32 s15, 2
	s_wait_kmcnt 0x0
	v_mul_hi_u32 v4, s5, v2
	s_delay_alu instid0(VALU_DEP_1) | instskip(NEXT) | instid1(VALU_DEP_1)
	v_add_nc_u32_e32 v4, v2, v4
	v_lshrrev_b32_e32 v5, s6, v4
	s_delay_alu instid0(VALU_DEP_1) | instskip(NEXT) | instid1(VALU_DEP_1)
	v_mul_lo_u32 v4, v5, s4
	v_sub_nc_u32_e32 v2, v2, v4
	s_delay_alu instid0(VALU_DEP_1)
	v_mul_lo_u32 v4, v2, s9
	v_mul_lo_u32 v18, v2, s1
	;; [unrolled: 1-line block ×3, first 2 shown]
	s_cbranch_scc1 .LBB71_1661
; %bb.1659:
	s_clause 0x2
	s_load_b96 s[4:6], s[2:3], 0x10
	s_load_b32 s9, s[2:3], 0xd4
	s_load_b64 s[0:1], s[2:3], 0xdc
	s_wait_kmcnt 0x0
	v_mul_hi_u32 v2, s5, v5
	s_delay_alu instid0(VALU_DEP_1) | instskip(NEXT) | instid1(VALU_DEP_1)
	v_add_nc_u32_e32 v2, v5, v2
	v_lshrrev_b32_e32 v2, s6, v2
	s_delay_alu instid0(VALU_DEP_1) | instskip(NEXT) | instid1(VALU_DEP_1)
	v_mul_lo_u32 v2, v2, s4
	v_sub_nc_u32_e32 v2, v5, v2
	s_delay_alu instid0(VALU_DEP_1)
	v_mad_u32 v4, v2, s9, v4
	v_mad_u32 v14, v2, s0, v14
	;; [unrolled: 1-line block ×3, first 2 shown]
	s_branch .LBB71_1661
.LBB71_1660:
	v_dual_mov_b32 v18, 0 :: v_dual_mov_b32 v14, 0
	v_mov_b32_e32 v4, 0
	s_and_not1_b32 vcc_lo, exec_lo, s6
	s_cbranch_vccz .LBB71_1658
.LBB71_1661:
	v_cmp_ne_u32_e32 vcc_lo, 1, v3
	v_add_nc_u32_e32 v0, 0x100, v0
	s_cbranch_vccnz .LBB71_1667
; %bb.1662:
	s_cmp_lg_u32 s15, 0
	s_mov_b32 s6, 0
	s_cbranch_scc0 .LBB71_1671
; %bb.1663:
	s_min_u32 s9, s19, 15
	v_dual_mov_b32 v2, 0 :: v_dual_mov_b32 v5, v0
	v_dual_mov_b32 v22, 0 :: v_dual_mov_b32 v20, 0
	s_add_co_i32 s4, s9, 1
	s_mov_b64 s[0:1], 0xffffffffffffffe0
	s_and_b32 s10, s4, 30
	s_add_nc_u64 s[0:1], s[2:3], s[0:1]
	s_mov_b64 s[4:5], s[2:3]
.LBB71_1664:                            ; =>This Inner Loop Header: Depth=1
	s_clause 0x1
	s_load_b128 s[20:23], s[4:5], 0x4
	s_load_b64 s[16:17], s[4:5], 0x14
	s_clause 0x1
	s_load_b32 s11, s[0:1], 0xe4
	s_load_b96 s[12:14], s[0:1], 0xec
	s_add_co_i32 s10, s10, -2
	s_wait_xcnt 0x0
	s_add_nc_u64 s[4:5], s[4:5], 24
	s_cmp_lg_u32 s10, 0
	s_wait_kmcnt 0x0
	v_mul_hi_u32 v7, s21, v5
	s_delay_alu instid0(VALU_DEP_1) | instskip(NEXT) | instid1(VALU_DEP_1)
	v_add_nc_u32_e32 v7, v5, v7
	v_lshrrev_b32_e32 v7, s22, v7
	s_delay_alu instid0(VALU_DEP_1) | instskip(SKIP_1) | instid1(VALU_DEP_1)
	v_mul_hi_u32 v9, s16, v7
	v_mul_lo_u32 v10, v7, s20
	v_dual_add_nc_u32 v9, v7, v9 :: v_dual_sub_nc_u32 v10, v5, v10
	s_delay_alu instid0(VALU_DEP_1) | instskip(SKIP_1) | instid1(VALU_DEP_2)
	v_lshrrev_b32_e32 v5, s17, v9
	s_load_b64 s[16:17], s[0:1], 0xfc
	v_mad_u32 v2, v10, s11, v2
	v_mad_u32 v11, v10, s13, v20
	;; [unrolled: 1-line block ×3, first 2 shown]
	v_mul_lo_u32 v9, v5, s23
	s_wait_xcnt 0x0
	s_add_nc_u64 s[0:1], s[0:1], 32
	s_delay_alu instid0(VALU_DEP_1) | instskip(NEXT) | instid1(VALU_DEP_1)
	v_sub_nc_u32_e32 v7, v7, v9
	v_mad_u32 v2, v7, s14, v2
	s_wait_kmcnt 0x0
	v_mad_u32 v20, v7, s17, v11
	v_mad_u32 v22, v7, s16, v10
	s_cbranch_scc1 .LBB71_1664
; %bb.1665:
	s_bitcmp1_b32 s9, 0
	s_cselect_b32 s9, -1, 0
	s_delay_alu instid0(SALU_CYCLE_1)
	s_and_b32 vcc_lo, exec_lo, s9
	s_cbranch_vccnz .LBB71_1668
; %bb.1666:
	s_load_b96 s[12:14], s[4:5], 0x4
	s_load_b32 s9, s[0:1], 0xe4
	s_wait_xcnt 0x0
	s_load_b64 s[4:5], s[0:1], 0xec
	s_wait_kmcnt 0x0
	v_mul_hi_u32 v7, s13, v5
	s_delay_alu instid0(VALU_DEP_1) | instskip(NEXT) | instid1(VALU_DEP_1)
	v_add_nc_u32_e32 v7, v5, v7
	v_lshrrev_b32_e32 v7, s14, v7
	s_delay_alu instid0(VALU_DEP_1) | instskip(NEXT) | instid1(VALU_DEP_1)
	v_mul_lo_u32 v7, v7, s12
	v_sub_nc_u32_e32 v5, v5, v7
	s_delay_alu instid0(VALU_DEP_1)
	v_mad_u32 v2, v5, s9, v2
	v_mad_u32 v22, v5, s4, v22
	;; [unrolled: 1-line block ×3, first 2 shown]
	s_and_not1_b32 vcc_lo, exec_lo, s6
	s_cbranch_vccz .LBB71_1669
	s_branch .LBB71_1672
.LBB71_1667:
	s_mov_b32 s6, -1
                                        ; implicit-def: $vgpr20
                                        ; implicit-def: $vgpr22
                                        ; implicit-def: $vgpr2
.LBB71_1668:
	s_delay_alu instid0(SALU_CYCLE_1)
	s_and_not1_b32 vcc_lo, exec_lo, s6
	s_cbranch_vccnz .LBB71_1672
.LBB71_1669:
	s_clause 0x2
	s_load_b96 s[4:6], s[2:3], 0x4
	s_load_b32 s9, s[2:3], 0xc4
	s_load_b64 s[0:1], s[2:3], 0xcc
	s_cmp_lt_u32 s15, 2
	s_wait_kmcnt 0x0
	v_mul_hi_u32 v2, s5, v0
	s_delay_alu instid0(VALU_DEP_1) | instskip(NEXT) | instid1(VALU_DEP_1)
	v_add_nc_u32_e32 v2, v0, v2
	v_lshrrev_b32_e32 v5, s6, v2
	s_delay_alu instid0(VALU_DEP_1) | instskip(NEXT) | instid1(VALU_DEP_1)
	v_mul_lo_u32 v2, v5, s4
	v_sub_nc_u32_e32 v0, v0, v2
	s_delay_alu instid0(VALU_DEP_1)
	v_mul_lo_u32 v2, v0, s9
	v_mul_lo_u32 v20, v0, s1
	;; [unrolled: 1-line block ×3, first 2 shown]
	s_cbranch_scc1 .LBB71_1672
; %bb.1670:
	s_clause 0x2
	s_load_b96 s[4:6], s[2:3], 0x10
	s_load_b32 s9, s[2:3], 0xd4
	s_load_b64 s[0:1], s[2:3], 0xdc
	s_wait_kmcnt 0x0
	v_mul_hi_u32 v0, s5, v5
	s_delay_alu instid0(VALU_DEP_1) | instskip(NEXT) | instid1(VALU_DEP_1)
	v_add_nc_u32_e32 v0, v5, v0
	v_lshrrev_b32_e32 v0, s6, v0
	s_delay_alu instid0(VALU_DEP_1) | instskip(NEXT) | instid1(VALU_DEP_1)
	v_mul_lo_u32 v0, v0, s4
	v_sub_nc_u32_e32 v0, v5, v0
	s_delay_alu instid0(VALU_DEP_1)
	v_mad_u32 v2, v0, s9, v2
	v_mad_u32 v22, v0, s0, v22
	;; [unrolled: 1-line block ×3, first 2 shown]
	s_branch .LBB71_1672
.LBB71_1671:
	v_dual_mov_b32 v20, 0 :: v_dual_mov_b32 v22, 0
	v_mov_b32_e32 v2, 0
	s_and_not1_b32 vcc_lo, exec_lo, s6
	s_cbranch_vccz .LBB71_1669
.LBB71_1672:
	v_cmp_ne_u32_e32 vcc_lo, 1, v3
	s_cbranch_vccnz .LBB71_1678
; %bb.1673:
	s_cmp_lg_u32 s15, 0
	s_mov_b32 s6, 0
	s_cbranch_scc0 .LBB71_1682
; %bb.1674:
	s_min_u32 s9, s19, 15
	v_dual_mov_b32 v0, 0 :: v_dual_mov_b32 v3, v1
	v_dual_mov_b32 v16, 0 :: v_dual_mov_b32 v10, 0
	s_add_co_i32 s4, s9, 1
	s_mov_b64 s[0:1], 0xffffffffffffffe0
	s_and_b32 s10, s4, 30
	s_add_nc_u64 s[0:1], s[2:3], s[0:1]
	s_mov_b64 s[4:5], s[2:3]
.LBB71_1675:                            ; =>This Inner Loop Header: Depth=1
	s_clause 0x1
	s_load_b128 s[16:19], s[4:5], 0x4
	s_load_b64 s[20:21], s[4:5], 0x14
	s_clause 0x1
	s_load_b32 s11, s[0:1], 0xe4
	s_load_b96 s[12:14], s[0:1], 0xec
	s_add_co_i32 s10, s10, -2
	s_wait_xcnt 0x0
	s_add_nc_u64 s[4:5], s[4:5], 24
	s_cmp_lg_u32 s10, 0
	s_wait_kmcnt 0x0
	v_mul_hi_u32 v5, s17, v3
	s_delay_alu instid0(VALU_DEP_1) | instskip(NEXT) | instid1(VALU_DEP_1)
	v_add_nc_u32_e32 v5, v3, v5
	v_lshrrev_b32_e32 v5, s18, v5
	s_delay_alu instid0(VALU_DEP_1) | instskip(SKIP_4) | instid1(VALU_DEP_1)
	v_mul_hi_u32 v7, s20, v5
	v_mul_lo_u32 v9, v5, s16
	s_load_b64 s[16:17], s[0:1], 0xfc
	s_wait_xcnt 0x0
	s_add_nc_u64 s[0:1], s[0:1], 32
	v_dual_add_nc_u32 v7, v5, v7 :: v_dual_sub_nc_u32 v9, v3, v9
	s_delay_alu instid0(VALU_DEP_1) | instskip(NEXT) | instid1(VALU_DEP_2)
	v_lshrrev_b32_e32 v3, s21, v7
	v_mad_u32 v0, v9, s11, v0
	v_mad_u32 v10, v9, s13, v10
	;; [unrolled: 1-line block ×3, first 2 shown]
	s_delay_alu instid0(VALU_DEP_4) | instskip(NEXT) | instid1(VALU_DEP_1)
	v_mul_lo_u32 v7, v3, s19
	v_sub_nc_u32_e32 v5, v5, v7
	s_delay_alu instid0(VALU_DEP_1)
	v_mad_u32 v0, v5, s14, v0
	s_wait_kmcnt 0x0
	v_mad_u32 v10, v5, s17, v10
	v_mad_u32 v16, v5, s16, v9
	s_cbranch_scc1 .LBB71_1675
; %bb.1676:
	s_bitcmp1_b32 s9, 0
	s_cselect_b32 s9, -1, 0
	s_delay_alu instid0(SALU_CYCLE_1)
	s_and_b32 vcc_lo, exec_lo, s9
	s_cbranch_vccnz .LBB71_1679
; %bb.1677:
	s_load_b96 s[12:14], s[4:5], 0x4
	s_load_b32 s9, s[0:1], 0xe4
	s_wait_xcnt 0x0
	s_load_b64 s[4:5], s[0:1], 0xec
	s_wait_kmcnt 0x0
	v_mul_hi_u32 v5, s13, v3
	s_delay_alu instid0(VALU_DEP_1) | instskip(NEXT) | instid1(VALU_DEP_1)
	v_add_nc_u32_e32 v5, v3, v5
	v_lshrrev_b32_e32 v5, s14, v5
	s_delay_alu instid0(VALU_DEP_1) | instskip(NEXT) | instid1(VALU_DEP_1)
	v_mul_lo_u32 v5, v5, s12
	v_sub_nc_u32_e32 v3, v3, v5
	s_delay_alu instid0(VALU_DEP_1)
	v_mad_u32 v0, v3, s9, v0
	v_mad_u32 v16, v3, s4, v16
	;; [unrolled: 1-line block ×3, first 2 shown]
	s_and_not1_b32 vcc_lo, exec_lo, s6
	s_cbranch_vccz .LBB71_1680
	s_branch .LBB71_1683
.LBB71_1678:
	s_mov_b32 s6, -1
                                        ; implicit-def: $vgpr10
                                        ; implicit-def: $vgpr16
                                        ; implicit-def: $vgpr0
.LBB71_1679:
	s_delay_alu instid0(SALU_CYCLE_1)
	s_and_not1_b32 vcc_lo, exec_lo, s6
	s_cbranch_vccnz .LBB71_1683
.LBB71_1680:
	s_clause 0x2
	s_load_b96 s[4:6], s[2:3], 0x4
	s_load_b32 s9, s[2:3], 0xc4
	s_load_b64 s[0:1], s[2:3], 0xcc
	s_cmp_lt_u32 s15, 2
	s_wait_kmcnt 0x0
	v_mul_hi_u32 v0, s5, v1
	s_delay_alu instid0(VALU_DEP_1) | instskip(NEXT) | instid1(VALU_DEP_1)
	v_add_nc_u32_e32 v0, v1, v0
	v_lshrrev_b32_e32 v3, s6, v0
	s_delay_alu instid0(VALU_DEP_1) | instskip(NEXT) | instid1(VALU_DEP_1)
	v_mul_lo_u32 v0, v3, s4
	v_sub_nc_u32_e32 v1, v1, v0
	s_delay_alu instid0(VALU_DEP_1)
	v_mul_lo_u32 v0, v1, s9
	v_mul_lo_u32 v10, v1, s1
	;; [unrolled: 1-line block ×3, first 2 shown]
	s_cbranch_scc1 .LBB71_1683
; %bb.1681:
	s_clause 0x2
	s_load_b96 s[4:6], s[2:3], 0x10
	s_load_b32 s9, s[2:3], 0xd4
	s_load_b64 s[0:1], s[2:3], 0xdc
	s_wait_kmcnt 0x0
	v_mul_hi_u32 v1, s5, v3
	s_delay_alu instid0(VALU_DEP_1) | instskip(NEXT) | instid1(VALU_DEP_1)
	v_add_nc_u32_e32 v1, v3, v1
	v_lshrrev_b32_e32 v1, s6, v1
	s_delay_alu instid0(VALU_DEP_1) | instskip(NEXT) | instid1(VALU_DEP_1)
	v_mul_lo_u32 v1, v1, s4
	v_sub_nc_u32_e32 v1, v3, v1
	s_delay_alu instid0(VALU_DEP_1)
	v_mad_u32 v0, v1, s9, v0
	v_mad_u32 v16, v1, s0, v16
	v_mad_u32 v10, v1, s1, v10
	s_branch .LBB71_1683
.LBB71_1682:
	v_dual_mov_b32 v10, 0 :: v_dual_mov_b32 v16, 0
	v_mov_b32_e32 v0, 0
	s_and_not1_b32 vcc_lo, exec_lo, s6
	s_cbranch_vccz .LBB71_1680
.LBB71_1683:
	v_mov_b32_e32 v1, 0
	global_load_u8 v1, v1, s[2:3] offset:497
	s_wait_loadcnt 0x0
	v_and_b32_e32 v3, 0xffff, v1
	v_readfirstlane_b32 s6, v1
	s_delay_alu instid0(VALU_DEP_2)
	v_cmp_gt_i32_e32 vcc_lo, 23, v3
	s_cbranch_vccnz .LBB71_1687
; %bb.1684:
	s_and_b32 s4, 0xffff, s6
	s_delay_alu instid0(SALU_CYCLE_1)
	s_cmp_gt_i32 s4, 43
	s_cbranch_scc0 .LBB71_1688
; %bb.1685:
	s_cmp_gt_i32 s4, 45
	s_cbranch_scc0 .LBB71_1689
; %bb.1686:
	s_cmp_lg_u32 s4, 46
	s_mov_b32 s0, -1
	s_cselect_b32 s1, -1, 0
	s_cbranch_execz .LBB71_1690
	s_branch .LBB71_1691
.LBB71_1687:
	s_mov_b32 s0, 0
	s_mov_b32 s1, 0
	s_cbranch_execnz .LBB71_1694
	s_branch .LBB71_1698
.LBB71_1688:
	s_mov_b32 s0, 0
	s_mov_b32 s1, 0
	s_cbranch_execnz .LBB71_1692
	s_branch .LBB71_1693
.LBB71_1689:
	s_mov_b32 s0, 0
	s_mov_b32 s1, 0
.LBB71_1690:
	s_cmp_eq_u32 s4, 44
	s_cselect_b32 s0, -1, 0
	s_cmp_lg_u32 s4, 44
	s_cselect_b32 s1, -1, 0
.LBB71_1691:
	s_branch .LBB71_1693
.LBB71_1692:
	s_cmp_lt_i32 s4, 30
	s_cselect_b32 s0, -1, 0
	s_cmp_gt_i32 s4, 29
	s_cselect_b32 s1, -1, 0
.LBB71_1693:
	s_branch .LBB71_1698
.LBB71_1694:
	s_and_b32 s4, 0xffff, s6
	s_mov_b32 s5, -1
	s_cmp_gt_i32 s4, 14
	s_cbranch_scc0 .LBB71_1696
; %bb.1695:
	s_cmp_eq_u32 s4, 15
	s_mov_b32 s5, 0
	s_cselect_b32 s0, -1, 0
	s_cmp_lg_u32 s4, 15
	s_cselect_b32 s1, -1, 0
.LBB71_1696:
	s_and_not1_b32 vcc_lo, exec_lo, s5
	s_cbranch_vccnz .LBB71_1698
; %bb.1697:
	s_cmp_lt_i32 s4, 12
	s_cselect_b32 s0, -1, 0
	s_cmp_gt_i32 s4, 11
	s_cselect_b32 s1, -1, 0
.LBB71_1698:
	s_delay_alu instid0(SALU_CYCLE_1)
	s_and_b32 vcc_lo, exec_lo, s1
	s_mov_b32 s9, s7
	s_cbranch_vccnz .LBB71_1711
; %bb.1699:
	s_and_not1_b32 vcc_lo, exec_lo, s0
	s_cbranch_vccnz .LBB71_3216
.LBB71_1700:
	v_mov_b32_e32 v9, 0
	s_load_b64 s[0:1], s[2:3], 0x1d8
	global_load_u8 v1, v9, s[2:3] offset:498
	s_wait_kmcnt 0x0
	v_add_nc_u64_e32 v[24:25], s[0:1], v[8:9]
	s_wait_loadcnt 0x0
	v_and_b32_e32 v3, 0xffff, v1
	v_readfirstlane_b32 s10, v1
	s_delay_alu instid0(VALU_DEP_2)
	v_cmp_gt_i32_e32 vcc_lo, 11, v3
	s_cbranch_vccnz .LBB71_1707
; %bb.1701:
	s_and_b32 s4, 0xffff, s10
	s_mov_b32 s11, 0
	s_cmp_gt_i32 s4, 25
	s_cbranch_scc0 .LBB71_1709
; %bb.1702:
	s_cmp_gt_i32 s4, 28
	s_cbranch_scc0 .LBB71_1710
; %bb.1703:
	;; [unrolled: 3-line block ×4, first 2 shown]
	s_cmp_eq_u32 s4, 46
	s_mov_b32 s13, 0
	s_cbranch_scc0 .LBB71_1718
; %bb.1706:
	global_load_b32 v1, v[24:25], off
	s_mov_b32 s5, 0
	s_mov_b32 s12, -1
	s_wait_loadcnt 0x0
	v_lshlrev_b32_e32 v1, 16, v1
	s_delay_alu instid0(VALU_DEP_1) | instskip(NEXT) | instid1(VALU_DEP_1)
	v_trunc_f32_e32 v1, v1
	v_mul_f32_e64 v3, 0x2f800000, |v1|
	v_ashrrev_i32_e32 v8, 31, v1
	s_delay_alu instid0(VALU_DEP_2) | instskip(SKIP_1) | instid1(VALU_DEP_2)
	v_floor_f32_e32 v3, v3
	s_wait_xcnt 0x1
	v_mov_b32_e32 v9, v8
	s_delay_alu instid0(VALU_DEP_2) | instskip(SKIP_1) | instid1(VALU_DEP_2)
	v_fma_f32 v5, 0xcf800000, v3, |v1|
	v_cvt_u32_f32_e32 v1, v3
	v_cvt_u32_f32_e32 v3, v5
	s_delay_alu instid0(VALU_DEP_2) | instskip(NEXT) | instid1(VALU_DEP_2)
	v_xor_b32_e32 v27, v1, v8
	v_xor_b32_e32 v26, v3, v8
	s_delay_alu instid0(VALU_DEP_1)
	v_sub_nc_u64_e32 v[8:9], v[26:27], v[8:9]
	s_branch .LBB71_1720
.LBB71_1707:
	s_mov_b32 s12, 0
                                        ; implicit-def: $vgpr8_vgpr9
	s_cbranch_execnz .LBB71_1781
.LBB71_1708:
	s_and_not1_b32 vcc_lo, exec_lo, s12
	s_cbranch_vccz .LBB71_1828
	s_branch .LBB71_3216
.LBB71_1709:
	s_mov_b32 s12, 0
	s_mov_b32 s5, 0
                                        ; implicit-def: $vgpr8_vgpr9
	s_cbranch_execnz .LBB71_1747
	s_branch .LBB71_1777
.LBB71_1710:
	s_mov_b32 s13, -1
	s_mov_b32 s12, 0
	s_mov_b32 s5, 0
                                        ; implicit-def: $vgpr8_vgpr9
	s_branch .LBB71_1730
.LBB71_1711:
	s_or_b32 s9, s7, exec_lo
	s_trap 2
	s_cbranch_execz .LBB71_1700
	s_branch .LBB71_3216
.LBB71_1712:
	s_mov_b32 s13, -1
	s_mov_b32 s12, 0
	s_mov_b32 s5, 0
                                        ; implicit-def: $vgpr8_vgpr9
	s_branch .LBB71_1725
.LBB71_1713:
	s_and_not1_saveexec_b32 s9, s9
	s_cbranch_execz .LBB71_1551
.LBB71_1714:
	v_add_f32_e64 v1, 0x46000000, |v0|
	s_and_not1_b32 s8, s8, exec_lo
	s_delay_alu instid0(VALU_DEP_1) | instskip(NEXT) | instid1(VALU_DEP_1)
	v_and_b32_e32 v1, 0xff, v1
	v_cmp_ne_u32_e32 vcc_lo, 0, v1
	s_and_b32 s10, vcc_lo, exec_lo
	s_delay_alu instid0(SALU_CYCLE_1)
	s_or_b32 s8, s8, s10
	s_or_b32 exec_lo, exec_lo, s9
	v_mov_b32_e32 v2, 0
	s_and_saveexec_b32 s9, s8
	s_cbranch_execnz .LBB71_1552
	s_branch .LBB71_1553
.LBB71_1715:
	s_mov_b32 s13, -1
	s_mov_b32 s12, 0
	s_mov_b32 s5, 0
	s_branch .LBB71_1719
.LBB71_1716:
	s_and_not1_saveexec_b32 s10, s10
	s_cbranch_execz .LBB71_1563
.LBB71_1717:
	v_add_f32_e64 v1, 0x42800000, |v0|
	s_and_not1_b32 s9, s9, exec_lo
	s_delay_alu instid0(VALU_DEP_1) | instskip(NEXT) | instid1(VALU_DEP_1)
	v_and_b32_e32 v1, 0xff, v1
	v_cmp_ne_u32_e32 vcc_lo, 0, v1
	s_and_b32 s11, vcc_lo, exec_lo
	s_delay_alu instid0(SALU_CYCLE_1)
	s_or_b32 s9, s9, s11
	s_or_b32 exec_lo, exec_lo, s10
	v_mov_b32_e32 v2, 0
	s_and_saveexec_b32 s10, s9
	s_cbranch_execnz .LBB71_1564
	s_branch .LBB71_1565
.LBB71_1718:
	s_mov_b32 s5, -1
	s_mov_b32 s12, 0
.LBB71_1719:
                                        ; implicit-def: $vgpr8_vgpr9
.LBB71_1720:
	s_and_b32 vcc_lo, exec_lo, s13
	s_cbranch_vccz .LBB71_1724
; %bb.1721:
	s_cmp_eq_u32 s4, 44
	s_cbranch_scc0 .LBB71_1723
; %bb.1722:
	global_load_u8 v1, v[24:25], off
	s_mov_b32 s5, 0
	s_mov_b32 s12, -1
	s_wait_loadcnt 0x0
	v_lshlrev_b32_e32 v3, 23, v1
	v_cmp_ne_u32_e32 vcc_lo, 0, v1
	s_delay_alu instid0(VALU_DEP_2) | instskip(NEXT) | instid1(VALU_DEP_1)
	v_trunc_f32_e32 v3, v3
	v_mul_f32_e64 v5, 0x2f800000, |v3|
	v_ashrrev_i32_e32 v8, 31, v3
	s_delay_alu instid0(VALU_DEP_2) | instskip(SKIP_1) | instid1(VALU_DEP_2)
	v_floor_f32_e32 v5, v5
	s_wait_xcnt 0x1
	v_mov_b32_e32 v9, v8
	s_delay_alu instid0(VALU_DEP_2) | instskip(SKIP_1) | instid1(VALU_DEP_2)
	v_fma_f32 v7, 0xcf800000, v5, |v3|
	v_cvt_u32_f32_e32 v3, v5
	v_cvt_u32_f32_e32 v5, v7
	s_delay_alu instid0(VALU_DEP_2) | instskip(NEXT) | instid1(VALU_DEP_2)
	v_xor_b32_e32 v27, v3, v8
	v_xor_b32_e32 v26, v5, v8
	s_delay_alu instid0(VALU_DEP_1) | instskip(NEXT) | instid1(VALU_DEP_1)
	v_sub_nc_u64_e32 v[8:9], v[26:27], v[8:9]
	v_dual_cndmask_b32 v9, 0, v9 :: v_dual_cndmask_b32 v8, 0, v8
	s_branch .LBB71_1724
.LBB71_1723:
	s_mov_b32 s5, -1
                                        ; implicit-def: $vgpr8_vgpr9
.LBB71_1724:
	s_mov_b32 s13, 0
.LBB71_1725:
	s_delay_alu instid0(SALU_CYCLE_1)
	s_and_b32 vcc_lo, exec_lo, s13
	s_cbranch_vccz .LBB71_1729
; %bb.1726:
	s_cmp_eq_u32 s4, 29
	s_cbranch_scc0 .LBB71_1728
; %bb.1727:
	global_load_b64 v[8:9], v[24:25], off
	s_mov_b32 s5, 0
	s_mov_b32 s12, -1
	s_branch .LBB71_1729
.LBB71_1728:
	s_mov_b32 s5, -1
                                        ; implicit-def: $vgpr8_vgpr9
.LBB71_1729:
	s_mov_b32 s13, 0
.LBB71_1730:
	s_delay_alu instid0(SALU_CYCLE_1)
	s_and_b32 vcc_lo, exec_lo, s13
	s_cbranch_vccz .LBB71_1746
; %bb.1731:
	s_cmp_lt_i32 s4, 27
	s_cbranch_scc1 .LBB71_1734
; %bb.1732:
	s_cmp_gt_i32 s4, 27
	s_cbranch_scc0 .LBB71_1735
; %bb.1733:
	s_wait_loadcnt 0x0
	global_load_b32 v8, v[24:25], off
	s_wait_xcnt 0x1
	v_mov_b32_e32 v9, 0
	s_mov_b32 s12, 0
	s_branch .LBB71_1736
.LBB71_1734:
	s_mov_b32 s12, -1
                                        ; implicit-def: $vgpr8_vgpr9
	s_branch .LBB71_1739
.LBB71_1735:
	s_mov_b32 s12, -1
                                        ; implicit-def: $vgpr8_vgpr9
.LBB71_1736:
	s_delay_alu instid0(SALU_CYCLE_1)
	s_and_not1_b32 vcc_lo, exec_lo, s12
	s_cbranch_vccnz .LBB71_1738
; %bb.1737:
	global_load_u16 v1, v[24:25], off
	s_mov_b32 s12, 0
	s_wait_loadcnt 0x1
	s_wait_xcnt 0x1
	v_mov_b32_e32 v9, s12
	s_wait_loadcnt 0x0
	v_and_b32_e32 v8, 0xffff, v1
.LBB71_1738:
	s_mov_b32 s12, 0
.LBB71_1739:
	s_delay_alu instid0(SALU_CYCLE_1)
	s_and_not1_b32 vcc_lo, exec_lo, s12
	s_cbranch_vccnz .LBB71_1745
; %bb.1740:
	global_load_u8 v1, v[24:25], off
	s_mov_b32 s13, 0
	s_mov_b32 s12, exec_lo
	s_wait_loadcnt 0x0
	v_cmpx_lt_i16_e32 0x7f, v1
	s_xor_b32 s12, exec_lo, s12
	s_cbranch_execz .LBB71_1756
; %bb.1741:
	v_cmp_ne_u16_e32 vcc_lo, 0x80, v1
	s_and_b32 s13, vcc_lo, exec_lo
	s_and_not1_saveexec_b32 s12, s12
	s_cbranch_execnz .LBB71_1757
.LBB71_1742:
	s_or_b32 exec_lo, exec_lo, s12
	v_mov_b64_e32 v[8:9], 0
	s_and_saveexec_b32 s12, s13
	s_cbranch_execz .LBB71_1744
.LBB71_1743:
	v_and_b32_e32 v3, 0xffff, v1
	s_delay_alu instid0(VALU_DEP_1) | instskip(SKIP_1) | instid1(VALU_DEP_2)
	v_dual_lshlrev_b32 v1, 24, v1 :: v_dual_bitop2_b32 v5, 7, v3 bitop3:0x40
	v_bfe_u32 v9, v3, 3, 4
	v_and_b32_e32 v1, 0x80000000, v1
	s_delay_alu instid0(VALU_DEP_3) | instskip(NEXT) | instid1(VALU_DEP_3)
	v_clz_i32_u32_e32 v7, v5
	v_cmp_eq_u32_e32 vcc_lo, 0, v9
	s_delay_alu instid0(VALU_DEP_2) | instskip(NEXT) | instid1(VALU_DEP_1)
	v_min_u32_e32 v7, 32, v7
	v_subrev_nc_u32_e32 v8, 28, v7
	v_sub_nc_u32_e32 v7, 29, v7
	s_delay_alu instid0(VALU_DEP_2) | instskip(NEXT) | instid1(VALU_DEP_2)
	v_lshlrev_b32_e32 v3, v8, v3
	v_cndmask_b32_e32 v7, v9, v7, vcc_lo
	s_delay_alu instid0(VALU_DEP_2) | instskip(NEXT) | instid1(VALU_DEP_1)
	v_and_b32_e32 v3, 7, v3
	v_cndmask_b32_e32 v3, v5, v3, vcc_lo
	s_delay_alu instid0(VALU_DEP_3) | instskip(NEXT) | instid1(VALU_DEP_2)
	v_lshl_add_u32 v5, v7, 23, 0x3b800000
	v_lshlrev_b32_e32 v3, 20, v3
	s_delay_alu instid0(VALU_DEP_1) | instskip(NEXT) | instid1(VALU_DEP_1)
	v_or3_b32 v1, v1, v5, v3
	v_trunc_f32_e32 v1, v1
	s_delay_alu instid0(VALU_DEP_1) | instskip(SKIP_1) | instid1(VALU_DEP_2)
	v_mul_f32_e64 v3, 0x2f800000, |v1|
	v_ashrrev_i32_e32 v8, 31, v1
	v_floor_f32_e32 v3, v3
	s_delay_alu instid0(VALU_DEP_2) | instskip(NEXT) | instid1(VALU_DEP_2)
	v_mov_b32_e32 v9, v8
	v_fma_f32 v5, 0xcf800000, v3, |v1|
	v_cvt_u32_f32_e32 v1, v3
	s_delay_alu instid0(VALU_DEP_2) | instskip(NEXT) | instid1(VALU_DEP_2)
	v_cvt_u32_f32_e32 v3, v5
	v_xor_b32_e32 v27, v1, v8
	s_delay_alu instid0(VALU_DEP_2) | instskip(NEXT) | instid1(VALU_DEP_1)
	v_xor_b32_e32 v26, v3, v8
	v_sub_nc_u64_e32 v[8:9], v[26:27], v[8:9]
.LBB71_1744:
	s_or_b32 exec_lo, exec_lo, s12
.LBB71_1745:
	s_mov_b32 s12, -1
.LBB71_1746:
	s_branch .LBB71_1777
.LBB71_1747:
	s_cmp_gt_i32 s4, 22
	s_cbranch_scc0 .LBB71_1755
; %bb.1748:
	s_cmp_lt_i32 s4, 24
	s_cbranch_scc1 .LBB71_1758
; %bb.1749:
	s_cmp_gt_i32 s4, 24
	s_cbranch_scc0 .LBB71_1759
; %bb.1750:
	global_load_u8 v1, v[24:25], off
	s_mov_b32 s12, 0
	s_mov_b32 s11, exec_lo
	s_wait_loadcnt 0x0
	v_cmpx_lt_i16_e32 0x7f, v1
	s_xor_b32 s11, exec_lo, s11
	s_cbranch_execz .LBB71_1771
; %bb.1751:
	v_cmp_ne_u16_e32 vcc_lo, 0x80, v1
	s_and_b32 s12, vcc_lo, exec_lo
	s_and_not1_saveexec_b32 s11, s11
	s_cbranch_execnz .LBB71_1772
.LBB71_1752:
	s_or_b32 exec_lo, exec_lo, s11
	v_mov_b64_e32 v[8:9], 0
	s_and_saveexec_b32 s11, s12
	s_cbranch_execz .LBB71_1754
.LBB71_1753:
	v_and_b32_e32 v3, 0xffff, v1
	s_delay_alu instid0(VALU_DEP_1) | instskip(SKIP_1) | instid1(VALU_DEP_2)
	v_dual_lshlrev_b32 v1, 24, v1 :: v_dual_bitop2_b32 v5, 3, v3 bitop3:0x40
	v_bfe_u32 v9, v3, 2, 5
	v_and_b32_e32 v1, 0x80000000, v1
	s_delay_alu instid0(VALU_DEP_3) | instskip(NEXT) | instid1(VALU_DEP_3)
	v_clz_i32_u32_e32 v7, v5
	v_cmp_eq_u32_e32 vcc_lo, 0, v9
	s_delay_alu instid0(VALU_DEP_2) | instskip(NEXT) | instid1(VALU_DEP_1)
	v_min_u32_e32 v7, 32, v7
	v_subrev_nc_u32_e32 v8, 29, v7
	v_sub_nc_u32_e32 v7, 30, v7
	s_delay_alu instid0(VALU_DEP_2) | instskip(NEXT) | instid1(VALU_DEP_2)
	v_lshlrev_b32_e32 v3, v8, v3
	v_cndmask_b32_e32 v7, v9, v7, vcc_lo
	s_delay_alu instid0(VALU_DEP_2) | instskip(NEXT) | instid1(VALU_DEP_1)
	v_and_b32_e32 v3, 3, v3
	v_cndmask_b32_e32 v3, v5, v3, vcc_lo
	s_delay_alu instid0(VALU_DEP_3) | instskip(NEXT) | instid1(VALU_DEP_2)
	v_lshl_add_u32 v5, v7, 23, 0x37800000
	v_lshlrev_b32_e32 v3, 21, v3
	s_delay_alu instid0(VALU_DEP_1) | instskip(NEXT) | instid1(VALU_DEP_1)
	v_or3_b32 v1, v1, v5, v3
	v_trunc_f32_e32 v1, v1
	s_delay_alu instid0(VALU_DEP_1) | instskip(SKIP_1) | instid1(VALU_DEP_2)
	v_mul_f32_e64 v3, 0x2f800000, |v1|
	v_ashrrev_i32_e32 v8, 31, v1
	v_floor_f32_e32 v3, v3
	s_delay_alu instid0(VALU_DEP_2) | instskip(NEXT) | instid1(VALU_DEP_2)
	v_mov_b32_e32 v9, v8
	v_fma_f32 v5, 0xcf800000, v3, |v1|
	v_cvt_u32_f32_e32 v1, v3
	s_delay_alu instid0(VALU_DEP_2) | instskip(NEXT) | instid1(VALU_DEP_2)
	v_cvt_u32_f32_e32 v3, v5
	v_xor_b32_e32 v27, v1, v8
	s_delay_alu instid0(VALU_DEP_2) | instskip(NEXT) | instid1(VALU_DEP_1)
	v_xor_b32_e32 v26, v3, v8
	v_sub_nc_u64_e32 v[8:9], v[26:27], v[8:9]
.LBB71_1754:
	s_or_b32 exec_lo, exec_lo, s11
	s_mov_b32 s11, 0
	s_branch .LBB71_1760
.LBB71_1755:
	s_mov_b32 s11, -1
                                        ; implicit-def: $vgpr8_vgpr9
	s_branch .LBB71_1766
.LBB71_1756:
	s_and_not1_saveexec_b32 s12, s12
	s_cbranch_execz .LBB71_1742
.LBB71_1757:
	v_cmp_ne_u16_e32 vcc_lo, 0, v1
	s_and_not1_b32 s13, s13, exec_lo
	s_and_b32 s14, vcc_lo, exec_lo
	s_delay_alu instid0(SALU_CYCLE_1)
	s_or_b32 s13, s13, s14
	s_or_b32 exec_lo, exec_lo, s12
	v_mov_b64_e32 v[8:9], 0
	s_and_saveexec_b32 s12, s13
	s_cbranch_execnz .LBB71_1743
	s_branch .LBB71_1744
.LBB71_1758:
	s_mov_b32 s11, -1
                                        ; implicit-def: $vgpr8_vgpr9
	s_branch .LBB71_1763
.LBB71_1759:
	s_mov_b32 s11, -1
                                        ; implicit-def: $vgpr8_vgpr9
.LBB71_1760:
	s_delay_alu instid0(SALU_CYCLE_1)
	s_and_b32 vcc_lo, exec_lo, s11
	s_cbranch_vccz .LBB71_1762
; %bb.1761:
	global_load_u8 v1, v[24:25], off
	s_wait_loadcnt 0x0
	v_lshlrev_b32_e32 v1, 24, v1
	s_delay_alu instid0(VALU_DEP_1) | instskip(NEXT) | instid1(VALU_DEP_1)
	v_and_b32_e32 v3, 0x7f000000, v1
	v_clz_i32_u32_e32 v5, v3
	v_cmp_ne_u32_e32 vcc_lo, 0, v3
	v_add_nc_u32_e32 v8, 0x1000000, v3
	s_delay_alu instid0(VALU_DEP_3) | instskip(NEXT) | instid1(VALU_DEP_1)
	v_min_u32_e32 v5, 32, v5
	v_sub_nc_u32_e64 v5, v5, 4 clamp
	s_delay_alu instid0(VALU_DEP_1) | instskip(NEXT) | instid1(VALU_DEP_1)
	v_dual_lshlrev_b32 v7, v5, v3 :: v_dual_lshlrev_b32 v5, 23, v5
	v_lshrrev_b32_e32 v7, 4, v7
	s_delay_alu instid0(VALU_DEP_1) | instskip(NEXT) | instid1(VALU_DEP_1)
	v_dual_sub_nc_u32 v5, v7, v5 :: v_dual_ashrrev_i32 v7, 8, v8
	v_add_nc_u32_e32 v5, 0x3c000000, v5
	s_delay_alu instid0(VALU_DEP_1) | instskip(NEXT) | instid1(VALU_DEP_1)
	v_and_or_b32 v5, 0x7f800000, v7, v5
	v_cndmask_b32_e32 v3, 0, v5, vcc_lo
	s_delay_alu instid0(VALU_DEP_1) | instskip(NEXT) | instid1(VALU_DEP_1)
	v_and_or_b32 v1, 0x80000000, v1, v3
	v_trunc_f32_e32 v1, v1
	s_delay_alu instid0(VALU_DEP_1) | instskip(SKIP_1) | instid1(VALU_DEP_2)
	v_mul_f32_e64 v3, 0x2f800000, |v1|
	v_ashrrev_i32_e32 v8, 31, v1
	v_floor_f32_e32 v3, v3
	s_delay_alu instid0(VALU_DEP_1) | instskip(SKIP_3) | instid1(VALU_DEP_3)
	v_fma_f32 v5, 0xcf800000, v3, |v1|
	v_cvt_u32_f32_e32 v1, v3
	s_wait_xcnt 0x1
	v_mov_b32_e32 v9, v8
	v_cvt_u32_f32_e32 v3, v5
	s_delay_alu instid0(VALU_DEP_3) | instskip(NEXT) | instid1(VALU_DEP_2)
	v_xor_b32_e32 v27, v1, v8
	v_xor_b32_e32 v26, v3, v8
	s_delay_alu instid0(VALU_DEP_1)
	v_sub_nc_u64_e32 v[8:9], v[26:27], v[8:9]
.LBB71_1762:
	s_mov_b32 s11, 0
.LBB71_1763:
	s_delay_alu instid0(SALU_CYCLE_1)
	s_and_not1_b32 vcc_lo, exec_lo, s11
	s_cbranch_vccnz .LBB71_1765
; %bb.1764:
	global_load_u8 v1, v[24:25], off
	s_wait_loadcnt 0x0
	v_lshlrev_b32_e32 v3, 25, v1
	v_lshlrev_b16 v1, 8, v1
	s_delay_alu instid0(VALU_DEP_1) | instskip(SKIP_1) | instid1(VALU_DEP_2)
	v_and_or_b32 v7, 0x7f00, v1, 0.5
	v_bfe_i32 v1, v1, 0, 16
	v_add_f32_e32 v7, -0.5, v7
	v_lshrrev_b32_e32 v5, 4, v3
	v_cmp_gt_u32_e32 vcc_lo, 0x8000000, v3
	s_delay_alu instid0(VALU_DEP_2) | instskip(NEXT) | instid1(VALU_DEP_1)
	v_or_b32_e32 v5, 0x70000000, v5
	v_mul_f32_e32 v5, 0x7800000, v5
	s_delay_alu instid0(VALU_DEP_1) | instskip(NEXT) | instid1(VALU_DEP_1)
	v_cndmask_b32_e32 v3, v5, v7, vcc_lo
	v_and_or_b32 v1, 0x80000000, v1, v3
	s_delay_alu instid0(VALU_DEP_1) | instskip(NEXT) | instid1(VALU_DEP_1)
	v_trunc_f32_e32 v1, v1
	v_mul_f32_e64 v3, 0x2f800000, |v1|
	v_ashrrev_i32_e32 v8, 31, v1
	s_delay_alu instid0(VALU_DEP_2) | instskip(SKIP_1) | instid1(VALU_DEP_2)
	v_floor_f32_e32 v3, v3
	s_wait_xcnt 0x1
	v_mov_b32_e32 v9, v8
	s_delay_alu instid0(VALU_DEP_2) | instskip(SKIP_1) | instid1(VALU_DEP_2)
	v_fma_f32 v5, 0xcf800000, v3, |v1|
	v_cvt_u32_f32_e32 v1, v3
	v_cvt_u32_f32_e32 v3, v5
	s_delay_alu instid0(VALU_DEP_2) | instskip(NEXT) | instid1(VALU_DEP_2)
	v_xor_b32_e32 v27, v1, v8
	v_xor_b32_e32 v26, v3, v8
	s_delay_alu instid0(VALU_DEP_1)
	v_sub_nc_u64_e32 v[8:9], v[26:27], v[8:9]
.LBB71_1765:
	s_mov_b32 s11, 0
	s_mov_b32 s12, -1
.LBB71_1766:
	s_and_not1_b32 vcc_lo, exec_lo, s11
	s_mov_b32 s11, 0
	s_cbranch_vccnz .LBB71_1777
; %bb.1767:
	s_cmp_gt_i32 s4, 14
	s_cbranch_scc0 .LBB71_1770
; %bb.1768:
	s_cmp_eq_u32 s4, 15
	s_cbranch_scc0 .LBB71_1773
; %bb.1769:
	global_load_u16 v1, v[24:25], off
	s_mov_b32 s5, 0
	s_mov_b32 s12, -1
	s_wait_loadcnt 0x0
	v_lshlrev_b32_e32 v1, 16, v1
	s_delay_alu instid0(VALU_DEP_1) | instskip(NEXT) | instid1(VALU_DEP_1)
	v_trunc_f32_e32 v1, v1
	v_mul_f32_e64 v3, 0x2f800000, |v1|
	v_ashrrev_i32_e32 v8, 31, v1
	s_delay_alu instid0(VALU_DEP_2) | instskip(SKIP_1) | instid1(VALU_DEP_2)
	v_floor_f32_e32 v3, v3
	s_wait_xcnt 0x1
	v_mov_b32_e32 v9, v8
	s_delay_alu instid0(VALU_DEP_2) | instskip(SKIP_1) | instid1(VALU_DEP_2)
	v_fma_f32 v5, 0xcf800000, v3, |v1|
	v_cvt_u32_f32_e32 v1, v3
	v_cvt_u32_f32_e32 v3, v5
	s_delay_alu instid0(VALU_DEP_2) | instskip(NEXT) | instid1(VALU_DEP_2)
	v_xor_b32_e32 v27, v1, v8
	v_xor_b32_e32 v26, v3, v8
	s_delay_alu instid0(VALU_DEP_1)
	v_sub_nc_u64_e32 v[8:9], v[26:27], v[8:9]
	s_branch .LBB71_1775
.LBB71_1770:
	s_mov_b32 s11, -1
	s_branch .LBB71_1774
.LBB71_1771:
	s_and_not1_saveexec_b32 s11, s11
	s_cbranch_execz .LBB71_1752
.LBB71_1772:
	v_cmp_ne_u16_e32 vcc_lo, 0, v1
	s_and_not1_b32 s12, s12, exec_lo
	s_and_b32 s13, vcc_lo, exec_lo
	s_delay_alu instid0(SALU_CYCLE_1)
	s_or_b32 s12, s12, s13
	s_or_b32 exec_lo, exec_lo, s11
	v_mov_b64_e32 v[8:9], 0
	s_and_saveexec_b32 s11, s12
	s_cbranch_execnz .LBB71_1753
	s_branch .LBB71_1754
.LBB71_1773:
	s_mov_b32 s5, -1
.LBB71_1774:
                                        ; implicit-def: $vgpr8_vgpr9
.LBB71_1775:
	s_and_b32 vcc_lo, exec_lo, s11
	s_mov_b32 s11, 0
	s_cbranch_vccz .LBB71_1777
; %bb.1776:
	s_cmp_lg_u32 s4, 11
	s_mov_b32 s11, -1
	s_cselect_b32 s5, -1, 0
.LBB71_1777:
	s_delay_alu instid0(SALU_CYCLE_1)
	s_and_b32 vcc_lo, exec_lo, s5
	s_cbranch_vccnz .LBB71_1840
; %bb.1778:
	s_and_not1_b32 vcc_lo, exec_lo, s11
	s_cbranch_vccnz .LBB71_1780
.LBB71_1779:
	global_load_u8 v1, v[24:25], off
	s_mov_b32 s4, 0
	s_mov_b32 s12, -1
	s_wait_loadcnt 0x1
	s_wait_xcnt 0x1
	v_mov_b32_e32 v9, s4
	s_wait_loadcnt 0x0
	v_cmp_ne_u16_e32 vcc_lo, 0, v1
	v_cndmask_b32_e64 v8, 0, 1, vcc_lo
.LBB71_1780:
	s_branch .LBB71_1708
.LBB71_1781:
	s_and_b32 s4, 0xffff, s10
	s_delay_alu instid0(SALU_CYCLE_1)
	s_cmp_lt_i32 s4, 5
	s_cbranch_scc1 .LBB71_1786
; %bb.1782:
	s_cmp_lt_i32 s4, 8
	s_cbranch_scc1 .LBB71_1787
; %bb.1783:
	;; [unrolled: 3-line block ×3, first 2 shown]
	s_cmp_gt_i32 s4, 9
	s_cbranch_scc0 .LBB71_1789
; %bb.1785:
	s_wait_loadcnt 0x0
	global_load_b64 v[8:9], v[24:25], off
	s_mov_b32 s5, 0
	s_wait_loadcnt 0x0
	v_trunc_f64_e32 v[8:9], v[8:9]
	s_delay_alu instid0(VALU_DEP_1) | instskip(NEXT) | instid1(VALU_DEP_1)
	v_ldexp_f64 v[26:27], v[8:9], 0xffffffe0
	v_floor_f64_e32 v[26:27], v[26:27]
	s_delay_alu instid0(VALU_DEP_1) | instskip(SKIP_1) | instid1(VALU_DEP_2)
	v_fmamk_f64 v[28:29], v[26:27], 0xc1f00000, v[8:9]
	v_cvt_i32_f64_e32 v9, v[26:27]
	v_cvt_u32_f64_e32 v8, v[28:29]
	s_branch .LBB71_1790
.LBB71_1786:
                                        ; implicit-def: $vgpr8_vgpr9
	s_branch .LBB71_1808
.LBB71_1787:
	s_mov_b32 s5, -1
                                        ; implicit-def: $vgpr8_vgpr9
	s_branch .LBB71_1796
.LBB71_1788:
	s_mov_b32 s5, -1
                                        ; implicit-def: $vgpr8_vgpr9
	s_branch .LBB71_1793
.LBB71_1789:
	s_mov_b32 s5, -1
                                        ; implicit-def: $vgpr8_vgpr9
.LBB71_1790:
	s_delay_alu instid0(SALU_CYCLE_1)
	s_and_not1_b32 vcc_lo, exec_lo, s5
	s_cbranch_vccnz .LBB71_1792
; %bb.1791:
	global_load_b32 v1, v[24:25], off
	s_wait_loadcnt 0x0
	v_trunc_f32_e32 v1, v1
	s_delay_alu instid0(VALU_DEP_1) | instskip(SKIP_1) | instid1(VALU_DEP_2)
	v_mul_f32_e64 v3, 0x2f800000, |v1|
	v_ashrrev_i32_e32 v8, 31, v1
	v_floor_f32_e32 v3, v3
	s_delay_alu instid0(VALU_DEP_1) | instskip(SKIP_3) | instid1(VALU_DEP_3)
	v_fma_f32 v5, 0xcf800000, v3, |v1|
	v_cvt_u32_f32_e32 v1, v3
	s_wait_xcnt 0x1
	v_mov_b32_e32 v9, v8
	v_cvt_u32_f32_e32 v3, v5
	s_delay_alu instid0(VALU_DEP_3) | instskip(NEXT) | instid1(VALU_DEP_2)
	v_xor_b32_e32 v27, v1, v8
	v_xor_b32_e32 v26, v3, v8
	s_delay_alu instid0(VALU_DEP_1)
	v_sub_nc_u64_e32 v[8:9], v[26:27], v[8:9]
.LBB71_1792:
	s_mov_b32 s5, 0
.LBB71_1793:
	s_delay_alu instid0(SALU_CYCLE_1)
	s_and_not1_b32 vcc_lo, exec_lo, s5
	s_cbranch_vccnz .LBB71_1795
; %bb.1794:
	global_load_b32 v1, v[24:25], off
	s_wait_loadcnt 0x0
	v_cvt_f32_f16_e32 v1, v1
	s_delay_alu instid0(VALU_DEP_1) | instskip(SKIP_1) | instid1(VALU_DEP_1)
	v_cvt_i32_f32_e32 v8, v1
	s_wait_xcnt 0x1
	v_ashrrev_i32_e32 v9, 31, v8
.LBB71_1795:
	s_mov_b32 s5, 0
.LBB71_1796:
	s_delay_alu instid0(SALU_CYCLE_1)
	s_and_not1_b32 vcc_lo, exec_lo, s5
	s_cbranch_vccnz .LBB71_1807
; %bb.1797:
	s_cmp_lt_i32 s4, 6
	s_cbranch_scc1 .LBB71_1800
; %bb.1798:
	s_cmp_gt_i32 s4, 6
	s_cbranch_scc0 .LBB71_1801
; %bb.1799:
	s_wait_loadcnt 0x0
	global_load_b64 v[8:9], v[24:25], off
	s_mov_b32 s5, 0
	s_wait_loadcnt 0x0
	v_trunc_f64_e32 v[8:9], v[8:9]
	s_delay_alu instid0(VALU_DEP_1) | instskip(NEXT) | instid1(VALU_DEP_1)
	v_ldexp_f64 v[26:27], v[8:9], 0xffffffe0
	v_floor_f64_e32 v[26:27], v[26:27]
	s_delay_alu instid0(VALU_DEP_1) | instskip(SKIP_1) | instid1(VALU_DEP_2)
	v_fmamk_f64 v[28:29], v[26:27], 0xc1f00000, v[8:9]
	v_cvt_i32_f64_e32 v9, v[26:27]
	v_cvt_u32_f64_e32 v8, v[28:29]
	s_branch .LBB71_1802
.LBB71_1800:
	s_mov_b32 s5, -1
                                        ; implicit-def: $vgpr8_vgpr9
	s_branch .LBB71_1805
.LBB71_1801:
	s_mov_b32 s5, -1
                                        ; implicit-def: $vgpr8_vgpr9
.LBB71_1802:
	s_delay_alu instid0(SALU_CYCLE_1)
	s_and_not1_b32 vcc_lo, exec_lo, s5
	s_cbranch_vccnz .LBB71_1804
; %bb.1803:
	global_load_b32 v1, v[24:25], off
	s_wait_loadcnt 0x0
	v_trunc_f32_e32 v1, v1
	s_delay_alu instid0(VALU_DEP_1) | instskip(SKIP_1) | instid1(VALU_DEP_2)
	v_mul_f32_e64 v3, 0x2f800000, |v1|
	v_ashrrev_i32_e32 v8, 31, v1
	v_floor_f32_e32 v3, v3
	s_delay_alu instid0(VALU_DEP_1) | instskip(SKIP_3) | instid1(VALU_DEP_3)
	v_fma_f32 v5, 0xcf800000, v3, |v1|
	v_cvt_u32_f32_e32 v1, v3
	s_wait_xcnt 0x1
	v_mov_b32_e32 v9, v8
	v_cvt_u32_f32_e32 v3, v5
	s_delay_alu instid0(VALU_DEP_3) | instskip(NEXT) | instid1(VALU_DEP_2)
	v_xor_b32_e32 v27, v1, v8
	v_xor_b32_e32 v26, v3, v8
	s_delay_alu instid0(VALU_DEP_1)
	v_sub_nc_u64_e32 v[8:9], v[26:27], v[8:9]
.LBB71_1804:
	s_mov_b32 s5, 0
.LBB71_1805:
	s_delay_alu instid0(SALU_CYCLE_1)
	s_and_not1_b32 vcc_lo, exec_lo, s5
	s_cbranch_vccnz .LBB71_1807
; %bb.1806:
	global_load_u16 v1, v[24:25], off
	s_wait_loadcnt 0x0
	v_cvt_f32_f16_e32 v1, v1
	s_delay_alu instid0(VALU_DEP_1) | instskip(SKIP_1) | instid1(VALU_DEP_1)
	v_cvt_i32_f32_e32 v8, v1
	s_wait_xcnt 0x1
	v_ashrrev_i32_e32 v9, 31, v8
.LBB71_1807:
	s_cbranch_execnz .LBB71_1827
.LBB71_1808:
	s_cmp_lt_i32 s4, 2
	s_cbranch_scc1 .LBB71_1812
; %bb.1809:
	s_cmp_lt_i32 s4, 3
	s_cbranch_scc1 .LBB71_1813
; %bb.1810:
	s_cmp_gt_i32 s4, 3
	s_cbranch_scc0 .LBB71_1814
; %bb.1811:
	s_wait_loadcnt 0x0
	global_load_b64 v[8:9], v[24:25], off
	s_mov_b32 s5, 0
	s_branch .LBB71_1815
.LBB71_1812:
	s_mov_b32 s5, -1
                                        ; implicit-def: $vgpr8_vgpr9
	s_branch .LBB71_1821
.LBB71_1813:
	s_mov_b32 s5, -1
                                        ; implicit-def: $vgpr8_vgpr9
	s_branch .LBB71_1818
.LBB71_1814:
	s_mov_b32 s5, -1
                                        ; implicit-def: $vgpr8_vgpr9
.LBB71_1815:
	s_delay_alu instid0(SALU_CYCLE_1)
	s_and_not1_b32 vcc_lo, exec_lo, s5
	s_cbranch_vccnz .LBB71_1817
; %bb.1816:
	s_wait_loadcnt 0x0
	global_load_b32 v8, v[24:25], off
	s_wait_loadcnt 0x0
	s_wait_xcnt 0x1
	v_ashrrev_i32_e32 v9, 31, v8
.LBB71_1817:
	s_mov_b32 s5, 0
.LBB71_1818:
	s_delay_alu instid0(SALU_CYCLE_1)
	s_and_not1_b32 vcc_lo, exec_lo, s5
	s_cbranch_vccnz .LBB71_1820
; %bb.1819:
	global_load_u16 v1, v[24:25], off
	s_wait_loadcnt 0x0
	v_bfe_i32 v8, v1, 0, 16
	s_wait_xcnt 0x1
	s_delay_alu instid0(VALU_DEP_1)
	v_ashrrev_i32_e32 v9, 31, v8
.LBB71_1820:
	s_mov_b32 s5, 0
.LBB71_1821:
	s_delay_alu instid0(SALU_CYCLE_1)
	s_and_not1_b32 vcc_lo, exec_lo, s5
	s_cbranch_vccnz .LBB71_1827
; %bb.1822:
	s_cmp_gt_i32 s4, 0
	s_mov_b32 s4, 0
	s_cbranch_scc0 .LBB71_1824
; %bb.1823:
	global_load_i8 v1, v[24:25], off
	s_wait_loadcnt 0x0
	v_bfe_i32 v8, v1, 0, 16
	s_wait_xcnt 0x1
	s_delay_alu instid0(VALU_DEP_1)
	v_ashrrev_i32_e32 v9, 31, v8
	s_branch .LBB71_1825
.LBB71_1824:
	s_mov_b32 s4, -1
                                        ; implicit-def: $vgpr8_vgpr9
.LBB71_1825:
	s_delay_alu instid0(SALU_CYCLE_1)
	s_and_not1_b32 vcc_lo, exec_lo, s4
	s_cbranch_vccnz .LBB71_1827
; %bb.1826:
	global_load_u8 v1, v[24:25], off
	s_mov_b32 s4, 0
	s_wait_loadcnt 0x1
	s_wait_xcnt 0x1
	v_mov_b32_e32 v9, s4
	s_wait_loadcnt 0x0
	v_and_b32_e32 v8, 0xffff, v1
.LBB71_1827:
.LBB71_1828:
	v_mov_b32_e32 v13, 0
	s_load_b64 s[4:5], s[2:3], 0x1e0
	global_load_u8 v1, v13, s[2:3] offset:499
	s_wait_kmcnt 0x0
	v_add_nc_u64_e32 v[24:25], s[4:5], v[12:13]
	s_wait_loadcnt 0x0
	v_and_b32_e32 v3, 0xffff, v1
	v_readfirstlane_b32 s12, v1
	s_delay_alu instid0(VALU_DEP_2)
	v_cmp_gt_i32_e32 vcc_lo, 11, v3
	s_cbranch_vccnz .LBB71_1835
; %bb.1829:
	s_and_b32 s11, 0xffff, s12
	s_mov_b32 s14, 0
	s_cmp_gt_i32 s11, 25
	s_cbranch_scc0 .LBB71_1837
; %bb.1830:
	s_cmp_gt_i32 s11, 28
	s_cbranch_scc0 .LBB71_1838
; %bb.1831:
	;; [unrolled: 3-line block ×4, first 2 shown]
	s_cmp_eq_u32 s11, 46
	s_mov_b32 s16, 0
	s_cbranch_scc0 .LBB71_1842
; %bb.1834:
	global_load_b32 v1, v[24:25], off
	s_mov_b32 s13, 0
	s_mov_b32 s15, -1
	s_wait_loadcnt 0x0
	v_lshlrev_b32_e32 v1, 16, v1
	s_delay_alu instid0(VALU_DEP_1) | instskip(NEXT) | instid1(VALU_DEP_1)
	v_trunc_f32_e32 v1, v1
	v_mul_f32_e64 v3, 0x2f800000, |v1|
	v_ashrrev_i32_e32 v12, 31, v1
	s_delay_alu instid0(VALU_DEP_2) | instskip(SKIP_1) | instid1(VALU_DEP_2)
	v_floor_f32_e32 v3, v3
	s_wait_xcnt 0x1
	v_mov_b32_e32 v13, v12
	s_delay_alu instid0(VALU_DEP_2) | instskip(SKIP_1) | instid1(VALU_DEP_2)
	v_fma_f32 v5, 0xcf800000, v3, |v1|
	v_cvt_u32_f32_e32 v1, v3
	v_cvt_u32_f32_e32 v3, v5
	s_delay_alu instid0(VALU_DEP_2) | instskip(NEXT) | instid1(VALU_DEP_2)
	v_xor_b32_e32 v27, v1, v12
	v_xor_b32_e32 v26, v3, v12
	s_delay_alu instid0(VALU_DEP_1)
	v_sub_nc_u64_e32 v[12:13], v[26:27], v[12:13]
	s_branch .LBB71_1844
.LBB71_1835:
	s_mov_b32 s15, 0
                                        ; implicit-def: $vgpr12_vgpr13
	s_cbranch_execnz .LBB71_1906
.LBB71_1836:
	s_and_not1_b32 vcc_lo, exec_lo, s15
	s_cbranch_vccz .LBB71_1954
	s_branch .LBB71_3216
.LBB71_1837:
	s_mov_b32 s16, -1
	s_mov_b32 s15, 0
	s_mov_b32 s13, 0
                                        ; implicit-def: $vgpr12_vgpr13
	s_branch .LBB71_1871
.LBB71_1838:
	s_mov_b32 s16, -1
	s_mov_b32 s15, 0
	s_mov_b32 s13, 0
                                        ; implicit-def: $vgpr12_vgpr13
	s_branch .LBB71_1854
.LBB71_1839:
	s_mov_b32 s16, -1
	s_mov_b32 s15, 0
	s_mov_b32 s13, 0
                                        ; implicit-def: $vgpr12_vgpr13
	s_branch .LBB71_1849
.LBB71_1840:
	s_or_b32 s9, s9, exec_lo
	s_trap 2
	s_cbranch_execz .LBB71_1779
	s_branch .LBB71_1780
.LBB71_1841:
	s_mov_b32 s16, -1
	s_mov_b32 s15, 0
	s_mov_b32 s13, 0
	s_branch .LBB71_1843
.LBB71_1842:
	s_mov_b32 s13, -1
	s_mov_b32 s15, 0
.LBB71_1843:
                                        ; implicit-def: $vgpr12_vgpr13
.LBB71_1844:
	s_and_b32 vcc_lo, exec_lo, s16
	s_cbranch_vccz .LBB71_1848
; %bb.1845:
	s_cmp_eq_u32 s11, 44
	s_cbranch_scc0 .LBB71_1847
; %bb.1846:
	global_load_u8 v1, v[24:25], off
	s_mov_b32 s13, 0
	s_mov_b32 s15, -1
	s_wait_loadcnt 0x0
	v_lshlrev_b32_e32 v3, 23, v1
	v_cmp_ne_u32_e32 vcc_lo, 0, v1
	s_delay_alu instid0(VALU_DEP_2) | instskip(NEXT) | instid1(VALU_DEP_1)
	v_trunc_f32_e32 v3, v3
	v_mul_f32_e64 v5, 0x2f800000, |v3|
	v_ashrrev_i32_e32 v12, 31, v3
	s_delay_alu instid0(VALU_DEP_2) | instskip(SKIP_1) | instid1(VALU_DEP_2)
	v_floor_f32_e32 v5, v5
	s_wait_xcnt 0x1
	v_mov_b32_e32 v13, v12
	s_delay_alu instid0(VALU_DEP_2) | instskip(SKIP_1) | instid1(VALU_DEP_2)
	v_fma_f32 v7, 0xcf800000, v5, |v3|
	v_cvt_u32_f32_e32 v3, v5
	v_cvt_u32_f32_e32 v5, v7
	s_delay_alu instid0(VALU_DEP_2) | instskip(NEXT) | instid1(VALU_DEP_2)
	v_xor_b32_e32 v27, v3, v12
	v_xor_b32_e32 v26, v5, v12
	s_delay_alu instid0(VALU_DEP_1) | instskip(NEXT) | instid1(VALU_DEP_1)
	v_sub_nc_u64_e32 v[12:13], v[26:27], v[12:13]
	v_dual_cndmask_b32 v13, 0, v13 :: v_dual_cndmask_b32 v12, 0, v12
	s_branch .LBB71_1848
.LBB71_1847:
	s_mov_b32 s13, -1
                                        ; implicit-def: $vgpr12_vgpr13
.LBB71_1848:
	s_mov_b32 s16, 0
.LBB71_1849:
	s_delay_alu instid0(SALU_CYCLE_1)
	s_and_b32 vcc_lo, exec_lo, s16
	s_cbranch_vccz .LBB71_1853
; %bb.1850:
	s_cmp_eq_u32 s11, 29
	s_cbranch_scc0 .LBB71_1852
; %bb.1851:
	global_load_b64 v[12:13], v[24:25], off
	s_mov_b32 s13, 0
	s_mov_b32 s15, -1
	s_branch .LBB71_1853
.LBB71_1852:
	s_mov_b32 s13, -1
                                        ; implicit-def: $vgpr12_vgpr13
.LBB71_1853:
	s_mov_b32 s16, 0
.LBB71_1854:
	s_delay_alu instid0(SALU_CYCLE_1)
	s_and_b32 vcc_lo, exec_lo, s16
	s_cbranch_vccz .LBB71_1870
; %bb.1855:
	s_cmp_lt_i32 s11, 27
	s_cbranch_scc1 .LBB71_1858
; %bb.1856:
	s_cmp_gt_i32 s11, 27
	s_cbranch_scc0 .LBB71_1859
; %bb.1857:
	s_wait_loadcnt 0x0
	global_load_b32 v12, v[24:25], off
	s_wait_xcnt 0x1
	v_mov_b32_e32 v13, 0
	s_mov_b32 s15, 0
	s_branch .LBB71_1860
.LBB71_1858:
	s_mov_b32 s15, -1
                                        ; implicit-def: $vgpr12_vgpr13
	s_branch .LBB71_1863
.LBB71_1859:
	s_mov_b32 s15, -1
                                        ; implicit-def: $vgpr12_vgpr13
.LBB71_1860:
	s_delay_alu instid0(SALU_CYCLE_1)
	s_and_not1_b32 vcc_lo, exec_lo, s15
	s_cbranch_vccnz .LBB71_1862
; %bb.1861:
	global_load_u16 v1, v[24:25], off
	s_mov_b32 s15, 0
	s_wait_loadcnt 0x1
	s_wait_xcnt 0x1
	v_mov_b32_e32 v13, s15
	s_wait_loadcnt 0x0
	v_and_b32_e32 v12, 0xffff, v1
.LBB71_1862:
	s_mov_b32 s15, 0
.LBB71_1863:
	s_delay_alu instid0(SALU_CYCLE_1)
	s_and_not1_b32 vcc_lo, exec_lo, s15
	s_cbranch_vccnz .LBB71_1869
; %bb.1864:
	global_load_u8 v1, v[24:25], off
	s_mov_b32 s16, 0
	s_mov_b32 s15, exec_lo
	s_wait_loadcnt 0x0
	v_cmpx_lt_i16_e32 0x7f, v1
	s_xor_b32 s15, exec_lo, s15
	s_cbranch_execz .LBB71_1881
; %bb.1865:
	v_cmp_ne_u16_e32 vcc_lo, 0x80, v1
	s_and_b32 s16, vcc_lo, exec_lo
	s_and_not1_saveexec_b32 s15, s15
	s_cbranch_execnz .LBB71_1882
.LBB71_1866:
	s_or_b32 exec_lo, exec_lo, s15
	v_mov_b64_e32 v[12:13], 0
	s_and_saveexec_b32 s15, s16
	s_cbranch_execz .LBB71_1868
.LBB71_1867:
	v_and_b32_e32 v3, 0xffff, v1
	s_delay_alu instid0(VALU_DEP_1) | instskip(SKIP_1) | instid1(VALU_DEP_2)
	v_dual_lshlrev_b32 v1, 24, v1 :: v_dual_bitop2_b32 v5, 7, v3 bitop3:0x40
	v_bfe_u32 v12, v3, 3, 4
	v_and_b32_e32 v1, 0x80000000, v1
	s_delay_alu instid0(VALU_DEP_3) | instskip(NEXT) | instid1(VALU_DEP_3)
	v_clz_i32_u32_e32 v7, v5
	v_cmp_eq_u32_e32 vcc_lo, 0, v12
	s_delay_alu instid0(VALU_DEP_2) | instskip(NEXT) | instid1(VALU_DEP_1)
	v_min_u32_e32 v7, 32, v7
	v_subrev_nc_u32_e32 v11, 28, v7
	v_sub_nc_u32_e32 v7, 29, v7
	s_delay_alu instid0(VALU_DEP_2) | instskip(NEXT) | instid1(VALU_DEP_2)
	v_lshlrev_b32_e32 v3, v11, v3
	v_cndmask_b32_e32 v7, v12, v7, vcc_lo
	s_delay_alu instid0(VALU_DEP_2) | instskip(NEXT) | instid1(VALU_DEP_1)
	v_and_b32_e32 v3, 7, v3
	v_cndmask_b32_e32 v3, v5, v3, vcc_lo
	s_delay_alu instid0(VALU_DEP_3) | instskip(NEXT) | instid1(VALU_DEP_2)
	v_lshl_add_u32 v5, v7, 23, 0x3b800000
	v_lshlrev_b32_e32 v3, 20, v3
	s_delay_alu instid0(VALU_DEP_1) | instskip(NEXT) | instid1(VALU_DEP_1)
	v_or3_b32 v1, v1, v5, v3
	v_trunc_f32_e32 v1, v1
	s_delay_alu instid0(VALU_DEP_1) | instskip(SKIP_1) | instid1(VALU_DEP_2)
	v_mul_f32_e64 v3, 0x2f800000, |v1|
	v_ashrrev_i32_e32 v12, 31, v1
	v_floor_f32_e32 v3, v3
	s_delay_alu instid0(VALU_DEP_2) | instskip(NEXT) | instid1(VALU_DEP_2)
	v_mov_b32_e32 v13, v12
	v_fma_f32 v5, 0xcf800000, v3, |v1|
	v_cvt_u32_f32_e32 v1, v3
	s_delay_alu instid0(VALU_DEP_2) | instskip(NEXT) | instid1(VALU_DEP_2)
	v_cvt_u32_f32_e32 v3, v5
	v_xor_b32_e32 v27, v1, v12
	s_delay_alu instid0(VALU_DEP_2) | instskip(NEXT) | instid1(VALU_DEP_1)
	v_xor_b32_e32 v26, v3, v12
	v_sub_nc_u64_e32 v[12:13], v[26:27], v[12:13]
.LBB71_1868:
	s_or_b32 exec_lo, exec_lo, s15
.LBB71_1869:
	s_mov_b32 s15, -1
.LBB71_1870:
	s_mov_b32 s16, 0
.LBB71_1871:
	s_delay_alu instid0(SALU_CYCLE_1)
	s_and_b32 vcc_lo, exec_lo, s16
	s_cbranch_vccz .LBB71_1902
; %bb.1872:
	s_cmp_gt_i32 s11, 22
	s_cbranch_scc0 .LBB71_1880
; %bb.1873:
	s_cmp_lt_i32 s11, 24
	s_cbranch_scc1 .LBB71_1883
; %bb.1874:
	s_cmp_gt_i32 s11, 24
	s_cbranch_scc0 .LBB71_1884
; %bb.1875:
	global_load_u8 v1, v[24:25], off
	s_mov_b32 s15, 0
	s_mov_b32 s14, exec_lo
	s_wait_loadcnt 0x0
	v_cmpx_lt_i16_e32 0x7f, v1
	s_xor_b32 s14, exec_lo, s14
	s_cbranch_execz .LBB71_1896
; %bb.1876:
	v_cmp_ne_u16_e32 vcc_lo, 0x80, v1
	s_and_b32 s15, vcc_lo, exec_lo
	s_and_not1_saveexec_b32 s14, s14
	s_cbranch_execnz .LBB71_1897
.LBB71_1877:
	s_or_b32 exec_lo, exec_lo, s14
	v_mov_b64_e32 v[12:13], 0
	s_and_saveexec_b32 s14, s15
	s_cbranch_execz .LBB71_1879
.LBB71_1878:
	v_and_b32_e32 v3, 0xffff, v1
	s_delay_alu instid0(VALU_DEP_1) | instskip(SKIP_1) | instid1(VALU_DEP_2)
	v_dual_lshlrev_b32 v1, 24, v1 :: v_dual_bitop2_b32 v5, 3, v3 bitop3:0x40
	v_bfe_u32 v12, v3, 2, 5
	v_and_b32_e32 v1, 0x80000000, v1
	s_delay_alu instid0(VALU_DEP_3) | instskip(NEXT) | instid1(VALU_DEP_3)
	v_clz_i32_u32_e32 v7, v5
	v_cmp_eq_u32_e32 vcc_lo, 0, v12
	s_delay_alu instid0(VALU_DEP_2) | instskip(NEXT) | instid1(VALU_DEP_1)
	v_min_u32_e32 v7, 32, v7
	v_subrev_nc_u32_e32 v11, 29, v7
	v_sub_nc_u32_e32 v7, 30, v7
	s_delay_alu instid0(VALU_DEP_2) | instskip(NEXT) | instid1(VALU_DEP_2)
	v_lshlrev_b32_e32 v3, v11, v3
	v_cndmask_b32_e32 v7, v12, v7, vcc_lo
	s_delay_alu instid0(VALU_DEP_2) | instskip(NEXT) | instid1(VALU_DEP_1)
	v_and_b32_e32 v3, 3, v3
	v_cndmask_b32_e32 v3, v5, v3, vcc_lo
	s_delay_alu instid0(VALU_DEP_3) | instskip(NEXT) | instid1(VALU_DEP_2)
	v_lshl_add_u32 v5, v7, 23, 0x37800000
	v_lshlrev_b32_e32 v3, 21, v3
	s_delay_alu instid0(VALU_DEP_1) | instskip(NEXT) | instid1(VALU_DEP_1)
	v_or3_b32 v1, v1, v5, v3
	v_trunc_f32_e32 v1, v1
	s_delay_alu instid0(VALU_DEP_1) | instskip(SKIP_1) | instid1(VALU_DEP_2)
	v_mul_f32_e64 v3, 0x2f800000, |v1|
	v_ashrrev_i32_e32 v12, 31, v1
	v_floor_f32_e32 v3, v3
	s_delay_alu instid0(VALU_DEP_2) | instskip(NEXT) | instid1(VALU_DEP_2)
	v_mov_b32_e32 v13, v12
	v_fma_f32 v5, 0xcf800000, v3, |v1|
	v_cvt_u32_f32_e32 v1, v3
	s_delay_alu instid0(VALU_DEP_2) | instskip(NEXT) | instid1(VALU_DEP_2)
	v_cvt_u32_f32_e32 v3, v5
	v_xor_b32_e32 v27, v1, v12
	s_delay_alu instid0(VALU_DEP_2) | instskip(NEXT) | instid1(VALU_DEP_1)
	v_xor_b32_e32 v26, v3, v12
	v_sub_nc_u64_e32 v[12:13], v[26:27], v[12:13]
.LBB71_1879:
	s_or_b32 exec_lo, exec_lo, s14
	s_mov_b32 s14, 0
	s_branch .LBB71_1885
.LBB71_1880:
	s_mov_b32 s14, -1
                                        ; implicit-def: $vgpr12_vgpr13
	s_branch .LBB71_1891
.LBB71_1881:
	s_and_not1_saveexec_b32 s15, s15
	s_cbranch_execz .LBB71_1866
.LBB71_1882:
	v_cmp_ne_u16_e32 vcc_lo, 0, v1
	s_and_not1_b32 s16, s16, exec_lo
	s_and_b32 s17, vcc_lo, exec_lo
	s_delay_alu instid0(SALU_CYCLE_1)
	s_or_b32 s16, s16, s17
	s_or_b32 exec_lo, exec_lo, s15
	v_mov_b64_e32 v[12:13], 0
	s_and_saveexec_b32 s15, s16
	s_cbranch_execnz .LBB71_1867
	s_branch .LBB71_1868
.LBB71_1883:
	s_mov_b32 s14, -1
                                        ; implicit-def: $vgpr12_vgpr13
	s_branch .LBB71_1888
.LBB71_1884:
	s_mov_b32 s14, -1
                                        ; implicit-def: $vgpr12_vgpr13
.LBB71_1885:
	s_delay_alu instid0(SALU_CYCLE_1)
	s_and_b32 vcc_lo, exec_lo, s14
	s_cbranch_vccz .LBB71_1887
; %bb.1886:
	global_load_u8 v1, v[24:25], off
	s_wait_loadcnt 0x0
	v_lshlrev_b32_e32 v1, 24, v1
	s_delay_alu instid0(VALU_DEP_1) | instskip(NEXT) | instid1(VALU_DEP_1)
	v_and_b32_e32 v3, 0x7f000000, v1
	v_clz_i32_u32_e32 v5, v3
	v_add_nc_u32_e32 v11, 0x1000000, v3
	v_cmp_ne_u32_e32 vcc_lo, 0, v3
	s_delay_alu instid0(VALU_DEP_3) | instskip(NEXT) | instid1(VALU_DEP_1)
	v_min_u32_e32 v5, 32, v5
	v_sub_nc_u32_e64 v5, v5, 4 clamp
	s_delay_alu instid0(VALU_DEP_1) | instskip(NEXT) | instid1(VALU_DEP_1)
	v_dual_lshlrev_b32 v7, v5, v3 :: v_dual_lshlrev_b32 v5, 23, v5
	v_lshrrev_b32_e32 v7, 4, v7
	s_delay_alu instid0(VALU_DEP_1) | instskip(NEXT) | instid1(VALU_DEP_1)
	v_dual_sub_nc_u32 v5, v7, v5 :: v_dual_ashrrev_i32 v7, 8, v11
	v_add_nc_u32_e32 v5, 0x3c000000, v5
	s_delay_alu instid0(VALU_DEP_1) | instskip(NEXT) | instid1(VALU_DEP_1)
	v_and_or_b32 v5, 0x7f800000, v7, v5
	v_cndmask_b32_e32 v3, 0, v5, vcc_lo
	s_delay_alu instid0(VALU_DEP_1) | instskip(NEXT) | instid1(VALU_DEP_1)
	v_and_or_b32 v1, 0x80000000, v1, v3
	v_trunc_f32_e32 v1, v1
	s_delay_alu instid0(VALU_DEP_1) | instskip(SKIP_1) | instid1(VALU_DEP_2)
	v_mul_f32_e64 v3, 0x2f800000, |v1|
	v_ashrrev_i32_e32 v12, 31, v1
	v_floor_f32_e32 v3, v3
	s_wait_xcnt 0x1
	s_delay_alu instid0(VALU_DEP_2) | instskip(NEXT) | instid1(VALU_DEP_2)
	v_mov_b32_e32 v13, v12
	v_fma_f32 v5, 0xcf800000, v3, |v1|
	v_cvt_u32_f32_e32 v1, v3
	s_delay_alu instid0(VALU_DEP_2) | instskip(NEXT) | instid1(VALU_DEP_2)
	v_cvt_u32_f32_e32 v3, v5
	v_xor_b32_e32 v27, v1, v12
	s_delay_alu instid0(VALU_DEP_2) | instskip(NEXT) | instid1(VALU_DEP_1)
	v_xor_b32_e32 v26, v3, v12
	v_sub_nc_u64_e32 v[12:13], v[26:27], v[12:13]
.LBB71_1887:
	s_mov_b32 s14, 0
.LBB71_1888:
	s_delay_alu instid0(SALU_CYCLE_1)
	s_and_not1_b32 vcc_lo, exec_lo, s14
	s_cbranch_vccnz .LBB71_1890
; %bb.1889:
	global_load_u8 v1, v[24:25], off
	s_wait_loadcnt 0x0
	v_lshlrev_b32_e32 v3, 25, v1
	v_lshlrev_b16 v1, 8, v1
	s_delay_alu instid0(VALU_DEP_1) | instskip(SKIP_1) | instid1(VALU_DEP_2)
	v_and_or_b32 v7, 0x7f00, v1, 0.5
	v_bfe_i32 v1, v1, 0, 16
	v_add_f32_e32 v7, -0.5, v7
	v_lshrrev_b32_e32 v5, 4, v3
	v_cmp_gt_u32_e32 vcc_lo, 0x8000000, v3
	s_delay_alu instid0(VALU_DEP_2) | instskip(NEXT) | instid1(VALU_DEP_1)
	v_or_b32_e32 v5, 0x70000000, v5
	v_mul_f32_e32 v5, 0x7800000, v5
	s_delay_alu instid0(VALU_DEP_1) | instskip(NEXT) | instid1(VALU_DEP_1)
	v_cndmask_b32_e32 v3, v5, v7, vcc_lo
	v_and_or_b32 v1, 0x80000000, v1, v3
	s_delay_alu instid0(VALU_DEP_1) | instskip(NEXT) | instid1(VALU_DEP_1)
	v_trunc_f32_e32 v1, v1
	v_mul_f32_e64 v3, 0x2f800000, |v1|
	v_ashrrev_i32_e32 v12, 31, v1
	s_delay_alu instid0(VALU_DEP_2) | instskip(SKIP_1) | instid1(VALU_DEP_2)
	v_floor_f32_e32 v3, v3
	s_wait_xcnt 0x1
	v_mov_b32_e32 v13, v12
	s_delay_alu instid0(VALU_DEP_2) | instskip(SKIP_1) | instid1(VALU_DEP_2)
	v_fma_f32 v5, 0xcf800000, v3, |v1|
	v_cvt_u32_f32_e32 v1, v3
	v_cvt_u32_f32_e32 v3, v5
	s_delay_alu instid0(VALU_DEP_2) | instskip(NEXT) | instid1(VALU_DEP_2)
	v_xor_b32_e32 v27, v1, v12
	v_xor_b32_e32 v26, v3, v12
	s_delay_alu instid0(VALU_DEP_1)
	v_sub_nc_u64_e32 v[12:13], v[26:27], v[12:13]
.LBB71_1890:
	s_mov_b32 s14, 0
	s_mov_b32 s15, -1
.LBB71_1891:
	s_and_not1_b32 vcc_lo, exec_lo, s14
	s_mov_b32 s14, 0
	s_cbranch_vccnz .LBB71_1902
; %bb.1892:
	s_cmp_gt_i32 s11, 14
	s_cbranch_scc0 .LBB71_1895
; %bb.1893:
	s_cmp_eq_u32 s11, 15
	s_cbranch_scc0 .LBB71_1898
; %bb.1894:
	global_load_u16 v1, v[24:25], off
	s_mov_b32 s13, 0
	s_mov_b32 s15, -1
	s_wait_loadcnt 0x0
	v_lshlrev_b32_e32 v1, 16, v1
	s_delay_alu instid0(VALU_DEP_1) | instskip(NEXT) | instid1(VALU_DEP_1)
	v_trunc_f32_e32 v1, v1
	v_mul_f32_e64 v3, 0x2f800000, |v1|
	v_ashrrev_i32_e32 v12, 31, v1
	s_delay_alu instid0(VALU_DEP_2) | instskip(SKIP_1) | instid1(VALU_DEP_2)
	v_floor_f32_e32 v3, v3
	s_wait_xcnt 0x1
	v_mov_b32_e32 v13, v12
	s_delay_alu instid0(VALU_DEP_2) | instskip(SKIP_1) | instid1(VALU_DEP_2)
	v_fma_f32 v5, 0xcf800000, v3, |v1|
	v_cvt_u32_f32_e32 v1, v3
	v_cvt_u32_f32_e32 v3, v5
	s_delay_alu instid0(VALU_DEP_2) | instskip(NEXT) | instid1(VALU_DEP_2)
	v_xor_b32_e32 v27, v1, v12
	v_xor_b32_e32 v26, v3, v12
	s_delay_alu instid0(VALU_DEP_1)
	v_sub_nc_u64_e32 v[12:13], v[26:27], v[12:13]
	s_branch .LBB71_1900
.LBB71_1895:
	s_mov_b32 s14, -1
	s_branch .LBB71_1899
.LBB71_1896:
	s_and_not1_saveexec_b32 s14, s14
	s_cbranch_execz .LBB71_1877
.LBB71_1897:
	v_cmp_ne_u16_e32 vcc_lo, 0, v1
	s_and_not1_b32 s15, s15, exec_lo
	s_and_b32 s16, vcc_lo, exec_lo
	s_delay_alu instid0(SALU_CYCLE_1)
	s_or_b32 s15, s15, s16
	s_or_b32 exec_lo, exec_lo, s14
	v_mov_b64_e32 v[12:13], 0
	s_and_saveexec_b32 s14, s15
	s_cbranch_execnz .LBB71_1878
	s_branch .LBB71_1879
.LBB71_1898:
	s_mov_b32 s13, -1
.LBB71_1899:
                                        ; implicit-def: $vgpr12_vgpr13
.LBB71_1900:
	s_and_b32 vcc_lo, exec_lo, s14
	s_mov_b32 s14, 0
	s_cbranch_vccz .LBB71_1902
; %bb.1901:
	s_cmp_lg_u32 s11, 11
	s_mov_b32 s14, -1
	s_cselect_b32 s13, -1, 0
.LBB71_1902:
	s_delay_alu instid0(SALU_CYCLE_1)
	s_and_b32 vcc_lo, exec_lo, s13
	s_cbranch_vccnz .LBB71_1984
; %bb.1903:
	s_and_not1_b32 vcc_lo, exec_lo, s14
	s_cbranch_vccnz .LBB71_1905
.LBB71_1904:
	global_load_u8 v1, v[24:25], off
	s_mov_b32 s11, 0
	s_mov_b32 s15, -1
	s_wait_loadcnt 0x1
	s_wait_xcnt 0x1
	v_mov_b32_e32 v13, s11
	s_wait_loadcnt 0x0
	v_cmp_ne_u16_e32 vcc_lo, 0, v1
	v_cndmask_b32_e64 v12, 0, 1, vcc_lo
.LBB71_1905:
	s_branch .LBB71_1836
.LBB71_1906:
	s_and_b32 s11, 0xffff, s12
	s_delay_alu instid0(SALU_CYCLE_1)
	s_cmp_lt_i32 s11, 5
	s_cbranch_scc1 .LBB71_1911
; %bb.1907:
	s_cmp_lt_i32 s11, 8
	s_cbranch_scc1 .LBB71_1912
; %bb.1908:
	;; [unrolled: 3-line block ×3, first 2 shown]
	s_cmp_gt_i32 s11, 9
	s_cbranch_scc0 .LBB71_1914
; %bb.1910:
	s_wait_loadcnt 0x0
	global_load_b64 v[12:13], v[24:25], off
	s_mov_b32 s13, 0
	s_wait_loadcnt 0x0
	v_trunc_f64_e32 v[12:13], v[12:13]
	s_delay_alu instid0(VALU_DEP_1) | instskip(NEXT) | instid1(VALU_DEP_1)
	v_ldexp_f64 v[26:27], v[12:13], 0xffffffe0
	v_floor_f64_e32 v[26:27], v[26:27]
	s_delay_alu instid0(VALU_DEP_1) | instskip(SKIP_1) | instid1(VALU_DEP_2)
	v_fmamk_f64 v[28:29], v[26:27], 0xc1f00000, v[12:13]
	v_cvt_i32_f64_e32 v13, v[26:27]
	v_cvt_u32_f64_e32 v12, v[28:29]
	s_branch .LBB71_1915
.LBB71_1911:
	s_mov_b32 s13, -1
                                        ; implicit-def: $vgpr12_vgpr13
	s_branch .LBB71_1933
.LBB71_1912:
	s_mov_b32 s13, -1
                                        ; implicit-def: $vgpr12_vgpr13
	s_branch .LBB71_1921
.LBB71_1913:
	s_mov_b32 s13, -1
                                        ; implicit-def: $vgpr12_vgpr13
	s_branch .LBB71_1918
.LBB71_1914:
	s_mov_b32 s13, -1
                                        ; implicit-def: $vgpr12_vgpr13
.LBB71_1915:
	s_delay_alu instid0(SALU_CYCLE_1)
	s_and_not1_b32 vcc_lo, exec_lo, s13
	s_cbranch_vccnz .LBB71_1917
; %bb.1916:
	global_load_b32 v1, v[24:25], off
	s_wait_loadcnt 0x0
	v_trunc_f32_e32 v1, v1
	s_delay_alu instid0(VALU_DEP_1) | instskip(SKIP_1) | instid1(VALU_DEP_2)
	v_mul_f32_e64 v3, 0x2f800000, |v1|
	v_ashrrev_i32_e32 v12, 31, v1
	v_floor_f32_e32 v3, v3
	s_delay_alu instid0(VALU_DEP_1) | instskip(SKIP_3) | instid1(VALU_DEP_3)
	v_fma_f32 v5, 0xcf800000, v3, |v1|
	v_cvt_u32_f32_e32 v1, v3
	s_wait_xcnt 0x1
	v_mov_b32_e32 v13, v12
	v_cvt_u32_f32_e32 v3, v5
	s_delay_alu instid0(VALU_DEP_3) | instskip(NEXT) | instid1(VALU_DEP_2)
	v_xor_b32_e32 v27, v1, v12
	v_xor_b32_e32 v26, v3, v12
	s_delay_alu instid0(VALU_DEP_1)
	v_sub_nc_u64_e32 v[12:13], v[26:27], v[12:13]
.LBB71_1917:
	s_mov_b32 s13, 0
.LBB71_1918:
	s_delay_alu instid0(SALU_CYCLE_1)
	s_and_not1_b32 vcc_lo, exec_lo, s13
	s_cbranch_vccnz .LBB71_1920
; %bb.1919:
	global_load_b32 v1, v[24:25], off
	s_wait_loadcnt 0x0
	v_cvt_f32_f16_e32 v1, v1
	s_delay_alu instid0(VALU_DEP_1) | instskip(SKIP_1) | instid1(VALU_DEP_1)
	v_cvt_i32_f32_e32 v12, v1
	s_wait_xcnt 0x1
	v_ashrrev_i32_e32 v13, 31, v12
.LBB71_1920:
	s_mov_b32 s13, 0
.LBB71_1921:
	s_delay_alu instid0(SALU_CYCLE_1)
	s_and_not1_b32 vcc_lo, exec_lo, s13
	s_cbranch_vccnz .LBB71_1932
; %bb.1922:
	s_cmp_lt_i32 s11, 6
	s_cbranch_scc1 .LBB71_1925
; %bb.1923:
	s_cmp_gt_i32 s11, 6
	s_cbranch_scc0 .LBB71_1926
; %bb.1924:
	s_wait_loadcnt 0x0
	global_load_b64 v[12:13], v[24:25], off
	s_mov_b32 s13, 0
	s_wait_loadcnt 0x0
	v_trunc_f64_e32 v[12:13], v[12:13]
	s_delay_alu instid0(VALU_DEP_1) | instskip(NEXT) | instid1(VALU_DEP_1)
	v_ldexp_f64 v[26:27], v[12:13], 0xffffffe0
	v_floor_f64_e32 v[26:27], v[26:27]
	s_delay_alu instid0(VALU_DEP_1) | instskip(SKIP_1) | instid1(VALU_DEP_2)
	v_fmamk_f64 v[28:29], v[26:27], 0xc1f00000, v[12:13]
	v_cvt_i32_f64_e32 v13, v[26:27]
	v_cvt_u32_f64_e32 v12, v[28:29]
	s_branch .LBB71_1927
.LBB71_1925:
	s_mov_b32 s13, -1
                                        ; implicit-def: $vgpr12_vgpr13
	s_branch .LBB71_1930
.LBB71_1926:
	s_mov_b32 s13, -1
                                        ; implicit-def: $vgpr12_vgpr13
.LBB71_1927:
	s_delay_alu instid0(SALU_CYCLE_1)
	s_and_not1_b32 vcc_lo, exec_lo, s13
	s_cbranch_vccnz .LBB71_1929
; %bb.1928:
	global_load_b32 v1, v[24:25], off
	s_wait_loadcnt 0x0
	v_trunc_f32_e32 v1, v1
	s_delay_alu instid0(VALU_DEP_1) | instskip(SKIP_1) | instid1(VALU_DEP_2)
	v_mul_f32_e64 v3, 0x2f800000, |v1|
	v_ashrrev_i32_e32 v12, 31, v1
	v_floor_f32_e32 v3, v3
	s_delay_alu instid0(VALU_DEP_1) | instskip(SKIP_3) | instid1(VALU_DEP_3)
	v_fma_f32 v5, 0xcf800000, v3, |v1|
	v_cvt_u32_f32_e32 v1, v3
	s_wait_xcnt 0x1
	v_mov_b32_e32 v13, v12
	v_cvt_u32_f32_e32 v3, v5
	s_delay_alu instid0(VALU_DEP_3) | instskip(NEXT) | instid1(VALU_DEP_2)
	v_xor_b32_e32 v27, v1, v12
	v_xor_b32_e32 v26, v3, v12
	s_delay_alu instid0(VALU_DEP_1)
	v_sub_nc_u64_e32 v[12:13], v[26:27], v[12:13]
.LBB71_1929:
	s_mov_b32 s13, 0
.LBB71_1930:
	s_delay_alu instid0(SALU_CYCLE_1)
	s_and_not1_b32 vcc_lo, exec_lo, s13
	s_cbranch_vccnz .LBB71_1932
; %bb.1931:
	global_load_u16 v1, v[24:25], off
	s_wait_loadcnt 0x0
	v_cvt_f32_f16_e32 v1, v1
	s_delay_alu instid0(VALU_DEP_1) | instskip(SKIP_1) | instid1(VALU_DEP_1)
	v_cvt_i32_f32_e32 v12, v1
	s_wait_xcnt 0x1
	v_ashrrev_i32_e32 v13, 31, v12
.LBB71_1932:
	s_mov_b32 s13, 0
.LBB71_1933:
	s_delay_alu instid0(SALU_CYCLE_1)
	s_and_not1_b32 vcc_lo, exec_lo, s13
	s_cbranch_vccnz .LBB71_1953
; %bb.1934:
	s_cmp_lt_i32 s11, 2
	s_cbranch_scc1 .LBB71_1938
; %bb.1935:
	s_cmp_lt_i32 s11, 3
	s_cbranch_scc1 .LBB71_1939
; %bb.1936:
	s_cmp_gt_i32 s11, 3
	s_cbranch_scc0 .LBB71_1940
; %bb.1937:
	s_wait_loadcnt 0x0
	global_load_b64 v[12:13], v[24:25], off
	s_mov_b32 s13, 0
	s_branch .LBB71_1941
.LBB71_1938:
	s_mov_b32 s13, -1
                                        ; implicit-def: $vgpr12_vgpr13
	s_branch .LBB71_1947
.LBB71_1939:
	s_mov_b32 s13, -1
                                        ; implicit-def: $vgpr12_vgpr13
	s_branch .LBB71_1944
.LBB71_1940:
	s_mov_b32 s13, -1
                                        ; implicit-def: $vgpr12_vgpr13
.LBB71_1941:
	s_delay_alu instid0(SALU_CYCLE_1)
	s_and_not1_b32 vcc_lo, exec_lo, s13
	s_cbranch_vccnz .LBB71_1943
; %bb.1942:
	s_wait_loadcnt 0x0
	global_load_b32 v12, v[24:25], off
	s_wait_loadcnt 0x0
	s_wait_xcnt 0x1
	v_ashrrev_i32_e32 v13, 31, v12
.LBB71_1943:
	s_mov_b32 s13, 0
.LBB71_1944:
	s_delay_alu instid0(SALU_CYCLE_1)
	s_and_not1_b32 vcc_lo, exec_lo, s13
	s_cbranch_vccnz .LBB71_1946
; %bb.1945:
	global_load_u16 v1, v[24:25], off
	s_wait_loadcnt 0x0
	v_bfe_i32 v12, v1, 0, 16
	s_wait_xcnt 0x1
	s_delay_alu instid0(VALU_DEP_1)
	v_ashrrev_i32_e32 v13, 31, v12
.LBB71_1946:
	s_mov_b32 s13, 0
.LBB71_1947:
	s_delay_alu instid0(SALU_CYCLE_1)
	s_and_not1_b32 vcc_lo, exec_lo, s13
	s_cbranch_vccnz .LBB71_1953
; %bb.1948:
	s_cmp_gt_i32 s11, 0
	s_mov_b32 s11, 0
	s_cbranch_scc0 .LBB71_1950
; %bb.1949:
	global_load_i8 v1, v[24:25], off
	s_wait_loadcnt 0x0
	v_bfe_i32 v12, v1, 0, 16
	s_wait_xcnt 0x1
	s_delay_alu instid0(VALU_DEP_1)
	v_ashrrev_i32_e32 v13, 31, v12
	s_branch .LBB71_1951
.LBB71_1950:
	s_mov_b32 s11, -1
                                        ; implicit-def: $vgpr12_vgpr13
.LBB71_1951:
	s_delay_alu instid0(SALU_CYCLE_1)
	s_and_not1_b32 vcc_lo, exec_lo, s11
	s_cbranch_vccnz .LBB71_1953
; %bb.1952:
	global_load_u8 v1, v[24:25], off
	s_mov_b32 s11, 0
	s_wait_loadcnt 0x1
	s_wait_xcnt 0x1
	v_mov_b32_e32 v13, s11
	s_wait_loadcnt 0x0
	v_and_b32_e32 v12, 0xffff, v1
.LBB71_1953:
.LBB71_1954:
	s_and_b32 s11, 0xffff, s6
	s_delay_alu instid0(SALU_CYCLE_1)
	s_cmp_lt_i32 s11, 23
	s_cbranch_scc1 .LBB71_1958
; %bb.1955:
	s_cmp_gt_i32 s11, 43
	s_cbranch_scc0 .LBB71_1959
; %bb.1956:
	s_cmp_gt_i32 s11, 45
	s_cbranch_scc0 .LBB71_1960
; %bb.1957:
	s_cmp_lg_u32 s11, 46
	s_mov_b32 s14, 0
	s_mov_b32 s6, -1
	s_cselect_b32 s13, -1, 0
	s_branch .LBB71_1961
.LBB71_1958:
	s_mov_b32 s14, -1
	s_mov_b32 s6, 0
	s_mov_b32 s13, 0
	s_branch .LBB71_1967
.LBB71_1959:
	s_mov_b32 s14, -1
	s_mov_b32 s6, 0
	s_mov_b32 s13, 0
	s_branch .LBB71_1964
.LBB71_1960:
	s_mov_b32 s14, -1
	s_mov_b32 s6, 0
	s_mov_b32 s13, 0
.LBB71_1961:
	s_and_not1_b32 vcc_lo, exec_lo, s14
	s_cbranch_vccnz .LBB71_1963
; %bb.1962:
	s_cmp_eq_u32 s11, 44
	s_cselect_b32 s6, -1, 0
	s_cmp_lg_u32 s11, 44
	s_cselect_b32 s13, -1, 0
.LBB71_1963:
	s_mov_b32 s14, 0
.LBB71_1964:
	s_delay_alu instid0(SALU_CYCLE_1)
	s_and_b32 vcc_lo, exec_lo, s14
	s_cbranch_vccz .LBB71_1966
; %bb.1965:
	s_cmp_lt_i32 s11, 30
	s_cselect_b32 s6, -1, 0
	s_cmp_gt_i32 s11, 29
	s_cselect_b32 s13, -1, 0
.LBB71_1966:
	s_mov_b32 s14, 0
.LBB71_1967:
	s_delay_alu instid0(SALU_CYCLE_1)
	s_and_b32 vcc_lo, exec_lo, s14
	s_cbranch_vccz .LBB71_1972
; %bb.1968:
	s_cmp_gt_i32 s11, 14
	s_mov_b32 s14, -1
	s_cbranch_scc0 .LBB71_1970
; %bb.1969:
	s_cmp_eq_u32 s11, 15
	s_mov_b32 s14, 0
	s_cselect_b32 s6, -1, 0
	s_cmp_lg_u32 s11, 15
	s_cselect_b32 s13, -1, 0
.LBB71_1970:
	s_and_not1_b32 vcc_lo, exec_lo, s14
	s_cbranch_vccnz .LBB71_1972
; %bb.1971:
	s_cmp_lt_i32 s11, 12
	s_cselect_b32 s6, -1, 0
	s_cmp_gt_i32 s11, 11
	s_cselect_b32 s13, -1, 0
.LBB71_1972:
	s_delay_alu instid0(SALU_CYCLE_1)
	s_and_b32 vcc_lo, exec_lo, s13
	s_cbranch_vccnz .LBB71_1985
; %bb.1973:
	s_and_not1_b32 vcc_lo, exec_lo, s6
	s_cbranch_vccnz .LBB71_3216
.LBB71_1974:
	v_mov_b32_e32 v15, 0
	s_and_b32 s6, 0xffff, s10
	s_delay_alu instid0(SALU_CYCLE_1) | instskip(SKIP_1) | instid1(VALU_DEP_1)
	s_cmp_lt_i32 s6, 11
	s_wait_xcnt 0x0
	v_add_nc_u64_e32 v[24:25], s[0:1], v[14:15]
	s_cbranch_scc1 .LBB71_1981
; %bb.1975:
	s_cmp_gt_i32 s6, 25
	s_mov_b32 s13, 0
	s_cbranch_scc0 .LBB71_1982
; %bb.1976:
	s_cmp_gt_i32 s6, 28
	s_cbranch_scc0 .LBB71_1983
; %bb.1977:
	s_cmp_gt_i32 s6, 43
	s_cbranch_scc0 .LBB71_1986
; %bb.1978:
	s_cmp_gt_i32 s6, 45
	s_cbranch_scc0 .LBB71_1987
; %bb.1979:
	s_cmp_eq_u32 s6, 46
	s_mov_b32 s15, 0
	s_cbranch_scc0 .LBB71_1988
; %bb.1980:
	global_load_b32 v1, v[24:25], off
	s_mov_b32 s10, 0
	s_mov_b32 s14, -1
	s_wait_loadcnt 0x0
	v_lshlrev_b32_e32 v1, 16, v1
	s_delay_alu instid0(VALU_DEP_1) | instskip(NEXT) | instid1(VALU_DEP_1)
	v_trunc_f32_e32 v1, v1
	v_mul_f32_e64 v3, 0x2f800000, |v1|
	v_ashrrev_i32_e32 v14, 31, v1
	s_delay_alu instid0(VALU_DEP_2) | instskip(NEXT) | instid1(VALU_DEP_2)
	v_floor_f32_e32 v3, v3
	v_mov_b32_e32 v15, v14
	s_delay_alu instid0(VALU_DEP_2) | instskip(SKIP_1) | instid1(VALU_DEP_2)
	v_fma_f32 v5, 0xcf800000, v3, |v1|
	v_cvt_u32_f32_e32 v1, v3
	v_cvt_u32_f32_e32 v3, v5
	s_delay_alu instid0(VALU_DEP_2) | instskip(NEXT) | instid1(VALU_DEP_2)
	v_xor_b32_e32 v27, v1, v14
	v_xor_b32_e32 v26, v3, v14
	s_delay_alu instid0(VALU_DEP_1)
	v_sub_nc_u64_e32 v[14:15], v[26:27], v[14:15]
	s_branch .LBB71_1990
.LBB71_1981:
	s_mov_b32 s10, -1
	s_mov_b32 s14, 0
                                        ; implicit-def: $vgpr14_vgpr15
	s_branch .LBB71_2052
.LBB71_1982:
	s_mov_b32 s15, -1
	s_mov_b32 s14, 0
	s_mov_b32 s10, 0
                                        ; implicit-def: $vgpr14_vgpr15
	s_branch .LBB71_2017
.LBB71_1983:
	s_mov_b32 s15, -1
	s_mov_b32 s14, 0
	s_mov_b32 s10, 0
                                        ; implicit-def: $vgpr14_vgpr15
	s_branch .LBB71_2000
.LBB71_1984:
	s_or_b32 s9, s9, exec_lo
	s_trap 2
	s_cbranch_execz .LBB71_1904
	s_branch .LBB71_1905
.LBB71_1985:
	s_or_b32 s9, s9, exec_lo
	s_trap 2
	s_cbranch_execz .LBB71_1974
	s_branch .LBB71_3216
.LBB71_1986:
	s_mov_b32 s15, -1
	s_mov_b32 s14, 0
	s_mov_b32 s10, 0
                                        ; implicit-def: $vgpr14_vgpr15
	s_branch .LBB71_1995
.LBB71_1987:
	s_mov_b32 s15, -1
	s_mov_b32 s14, 0
	s_mov_b32 s10, 0
	s_branch .LBB71_1989
.LBB71_1988:
	s_mov_b32 s10, -1
	s_mov_b32 s14, 0
.LBB71_1989:
                                        ; implicit-def: $vgpr14_vgpr15
.LBB71_1990:
	s_and_b32 vcc_lo, exec_lo, s15
	s_cbranch_vccz .LBB71_1994
; %bb.1991:
	s_cmp_eq_u32 s6, 44
	s_cbranch_scc0 .LBB71_1993
; %bb.1992:
	global_load_u8 v1, v[24:25], off
	s_mov_b32 s10, 0
	s_mov_b32 s14, -1
	s_wait_loadcnt 0x0
	v_lshlrev_b32_e32 v3, 23, v1
	v_cmp_ne_u32_e32 vcc_lo, 0, v1
	s_delay_alu instid0(VALU_DEP_2) | instskip(NEXT) | instid1(VALU_DEP_1)
	v_trunc_f32_e32 v3, v3
	v_mul_f32_e64 v5, 0x2f800000, |v3|
	v_ashrrev_i32_e32 v14, 31, v3
	s_delay_alu instid0(VALU_DEP_2) | instskip(NEXT) | instid1(VALU_DEP_2)
	v_floor_f32_e32 v5, v5
	v_mov_b32_e32 v15, v14
	s_delay_alu instid0(VALU_DEP_2) | instskip(SKIP_1) | instid1(VALU_DEP_2)
	v_fma_f32 v7, 0xcf800000, v5, |v3|
	v_cvt_u32_f32_e32 v3, v5
	v_cvt_u32_f32_e32 v5, v7
	s_delay_alu instid0(VALU_DEP_2) | instskip(NEXT) | instid1(VALU_DEP_2)
	v_xor_b32_e32 v27, v3, v14
	v_xor_b32_e32 v26, v5, v14
	s_delay_alu instid0(VALU_DEP_1) | instskip(NEXT) | instid1(VALU_DEP_1)
	v_sub_nc_u64_e32 v[14:15], v[26:27], v[14:15]
	v_dual_cndmask_b32 v15, 0, v15 :: v_dual_cndmask_b32 v14, 0, v14
	s_branch .LBB71_1994
.LBB71_1993:
	s_mov_b32 s10, -1
                                        ; implicit-def: $vgpr14_vgpr15
.LBB71_1994:
	s_mov_b32 s15, 0
.LBB71_1995:
	s_delay_alu instid0(SALU_CYCLE_1)
	s_and_b32 vcc_lo, exec_lo, s15
	s_cbranch_vccz .LBB71_1999
; %bb.1996:
	s_cmp_eq_u32 s6, 29
	s_cbranch_scc0 .LBB71_1998
; %bb.1997:
	global_load_b64 v[14:15], v[24:25], off
	s_mov_b32 s10, 0
	s_mov_b32 s14, -1
	s_branch .LBB71_1999
.LBB71_1998:
	s_mov_b32 s10, -1
                                        ; implicit-def: $vgpr14_vgpr15
.LBB71_1999:
	s_mov_b32 s15, 0
.LBB71_2000:
	s_delay_alu instid0(SALU_CYCLE_1)
	s_and_b32 vcc_lo, exec_lo, s15
	s_cbranch_vccz .LBB71_2016
; %bb.2001:
	s_cmp_lt_i32 s6, 27
	s_cbranch_scc1 .LBB71_2004
; %bb.2002:
	s_cmp_gt_i32 s6, 27
	s_cbranch_scc0 .LBB71_2005
; %bb.2003:
	s_wait_loadcnt 0x0
	global_load_b32 v14, v[24:25], off
	v_mov_b32_e32 v15, 0
	s_mov_b32 s14, 0
	s_branch .LBB71_2006
.LBB71_2004:
	s_mov_b32 s14, -1
                                        ; implicit-def: $vgpr14_vgpr15
	s_branch .LBB71_2009
.LBB71_2005:
	s_mov_b32 s14, -1
                                        ; implicit-def: $vgpr14_vgpr15
.LBB71_2006:
	s_delay_alu instid0(SALU_CYCLE_1)
	s_and_not1_b32 vcc_lo, exec_lo, s14
	s_cbranch_vccnz .LBB71_2008
; %bb.2007:
	global_load_u16 v1, v[24:25], off
	s_mov_b32 s14, 0
	s_wait_loadcnt 0x1
	v_mov_b32_e32 v15, s14
	s_wait_loadcnt 0x0
	v_and_b32_e32 v14, 0xffff, v1
.LBB71_2008:
	s_mov_b32 s14, 0
.LBB71_2009:
	s_delay_alu instid0(SALU_CYCLE_1)
	s_and_not1_b32 vcc_lo, exec_lo, s14
	s_cbranch_vccnz .LBB71_2015
; %bb.2010:
	global_load_u8 v1, v[24:25], off
	s_mov_b32 s15, 0
	s_mov_b32 s14, exec_lo
	s_wait_loadcnt 0x0
	v_cmpx_lt_i16_e32 0x7f, v1
	s_xor_b32 s14, exec_lo, s14
	s_cbranch_execz .LBB71_2027
; %bb.2011:
	v_cmp_ne_u16_e32 vcc_lo, 0x80, v1
	s_and_b32 s15, vcc_lo, exec_lo
	s_and_not1_saveexec_b32 s14, s14
	s_cbranch_execnz .LBB71_2028
.LBB71_2012:
	s_or_b32 exec_lo, exec_lo, s14
	v_mov_b64_e32 v[14:15], 0
	s_and_saveexec_b32 s14, s15
	s_cbranch_execz .LBB71_2014
.LBB71_2013:
	v_and_b32_e32 v3, 0xffff, v1
	s_delay_alu instid0(VALU_DEP_1) | instskip(SKIP_1) | instid1(VALU_DEP_2)
	v_dual_lshlrev_b32 v1, 24, v1 :: v_dual_bitop2_b32 v5, 7, v3 bitop3:0x40
	v_bfe_u32 v14, v3, 3, 4
	v_and_b32_e32 v1, 0x80000000, v1
	s_delay_alu instid0(VALU_DEP_3) | instskip(NEXT) | instid1(VALU_DEP_3)
	v_clz_i32_u32_e32 v7, v5
	v_cmp_eq_u32_e32 vcc_lo, 0, v14
	s_delay_alu instid0(VALU_DEP_2) | instskip(NEXT) | instid1(VALU_DEP_1)
	v_min_u32_e32 v7, 32, v7
	v_subrev_nc_u32_e32 v11, 28, v7
	v_sub_nc_u32_e32 v7, 29, v7
	s_delay_alu instid0(VALU_DEP_2) | instskip(NEXT) | instid1(VALU_DEP_2)
	v_lshlrev_b32_e32 v3, v11, v3
	v_cndmask_b32_e32 v7, v14, v7, vcc_lo
	s_delay_alu instid0(VALU_DEP_2) | instskip(NEXT) | instid1(VALU_DEP_1)
	v_and_b32_e32 v3, 7, v3
	v_cndmask_b32_e32 v3, v5, v3, vcc_lo
	s_delay_alu instid0(VALU_DEP_3) | instskip(NEXT) | instid1(VALU_DEP_2)
	v_lshl_add_u32 v5, v7, 23, 0x3b800000
	v_lshlrev_b32_e32 v3, 20, v3
	s_delay_alu instid0(VALU_DEP_1) | instskip(NEXT) | instid1(VALU_DEP_1)
	v_or3_b32 v1, v1, v5, v3
	v_trunc_f32_e32 v1, v1
	s_delay_alu instid0(VALU_DEP_1) | instskip(SKIP_1) | instid1(VALU_DEP_2)
	v_mul_f32_e64 v3, 0x2f800000, |v1|
	v_ashrrev_i32_e32 v14, 31, v1
	v_floor_f32_e32 v3, v3
	s_delay_alu instid0(VALU_DEP_2) | instskip(NEXT) | instid1(VALU_DEP_2)
	v_mov_b32_e32 v15, v14
	v_fma_f32 v5, 0xcf800000, v3, |v1|
	v_cvt_u32_f32_e32 v1, v3
	s_delay_alu instid0(VALU_DEP_2) | instskip(NEXT) | instid1(VALU_DEP_2)
	v_cvt_u32_f32_e32 v3, v5
	v_xor_b32_e32 v27, v1, v14
	s_delay_alu instid0(VALU_DEP_2) | instskip(NEXT) | instid1(VALU_DEP_1)
	v_xor_b32_e32 v26, v3, v14
	v_sub_nc_u64_e32 v[14:15], v[26:27], v[14:15]
.LBB71_2014:
	s_or_b32 exec_lo, exec_lo, s14
.LBB71_2015:
	s_mov_b32 s14, -1
.LBB71_2016:
	s_mov_b32 s15, 0
.LBB71_2017:
	s_delay_alu instid0(SALU_CYCLE_1)
	s_and_b32 vcc_lo, exec_lo, s15
	s_cbranch_vccz .LBB71_2048
; %bb.2018:
	s_cmp_gt_i32 s6, 22
	s_cbranch_scc0 .LBB71_2026
; %bb.2019:
	s_cmp_lt_i32 s6, 24
	s_cbranch_scc1 .LBB71_2029
; %bb.2020:
	s_cmp_gt_i32 s6, 24
	s_cbranch_scc0 .LBB71_2030
; %bb.2021:
	global_load_u8 v1, v[24:25], off
	s_mov_b32 s14, 0
	s_mov_b32 s13, exec_lo
	s_wait_loadcnt 0x0
	v_cmpx_lt_i16_e32 0x7f, v1
	s_xor_b32 s13, exec_lo, s13
	s_cbranch_execz .LBB71_2042
; %bb.2022:
	v_cmp_ne_u16_e32 vcc_lo, 0x80, v1
	s_and_b32 s14, vcc_lo, exec_lo
	s_and_not1_saveexec_b32 s13, s13
	s_cbranch_execnz .LBB71_2043
.LBB71_2023:
	s_or_b32 exec_lo, exec_lo, s13
	v_mov_b64_e32 v[14:15], 0
	s_and_saveexec_b32 s13, s14
	s_cbranch_execz .LBB71_2025
.LBB71_2024:
	v_and_b32_e32 v3, 0xffff, v1
	s_delay_alu instid0(VALU_DEP_1) | instskip(SKIP_1) | instid1(VALU_DEP_2)
	v_dual_lshlrev_b32 v1, 24, v1 :: v_dual_bitop2_b32 v5, 3, v3 bitop3:0x40
	v_bfe_u32 v14, v3, 2, 5
	v_and_b32_e32 v1, 0x80000000, v1
	s_delay_alu instid0(VALU_DEP_3) | instskip(NEXT) | instid1(VALU_DEP_3)
	v_clz_i32_u32_e32 v7, v5
	v_cmp_eq_u32_e32 vcc_lo, 0, v14
	s_delay_alu instid0(VALU_DEP_2) | instskip(NEXT) | instid1(VALU_DEP_1)
	v_min_u32_e32 v7, 32, v7
	v_subrev_nc_u32_e32 v11, 29, v7
	v_sub_nc_u32_e32 v7, 30, v7
	s_delay_alu instid0(VALU_DEP_2) | instskip(NEXT) | instid1(VALU_DEP_2)
	v_lshlrev_b32_e32 v3, v11, v3
	v_cndmask_b32_e32 v7, v14, v7, vcc_lo
	s_delay_alu instid0(VALU_DEP_2) | instskip(NEXT) | instid1(VALU_DEP_1)
	v_and_b32_e32 v3, 3, v3
	v_cndmask_b32_e32 v3, v5, v3, vcc_lo
	s_delay_alu instid0(VALU_DEP_3) | instskip(NEXT) | instid1(VALU_DEP_2)
	v_lshl_add_u32 v5, v7, 23, 0x37800000
	v_lshlrev_b32_e32 v3, 21, v3
	s_delay_alu instid0(VALU_DEP_1) | instskip(NEXT) | instid1(VALU_DEP_1)
	v_or3_b32 v1, v1, v5, v3
	v_trunc_f32_e32 v1, v1
	s_delay_alu instid0(VALU_DEP_1) | instskip(SKIP_1) | instid1(VALU_DEP_2)
	v_mul_f32_e64 v3, 0x2f800000, |v1|
	v_ashrrev_i32_e32 v14, 31, v1
	v_floor_f32_e32 v3, v3
	s_delay_alu instid0(VALU_DEP_2) | instskip(NEXT) | instid1(VALU_DEP_2)
	v_mov_b32_e32 v15, v14
	v_fma_f32 v5, 0xcf800000, v3, |v1|
	v_cvt_u32_f32_e32 v1, v3
	s_delay_alu instid0(VALU_DEP_2) | instskip(NEXT) | instid1(VALU_DEP_2)
	v_cvt_u32_f32_e32 v3, v5
	v_xor_b32_e32 v27, v1, v14
	s_delay_alu instid0(VALU_DEP_2) | instskip(NEXT) | instid1(VALU_DEP_1)
	v_xor_b32_e32 v26, v3, v14
	v_sub_nc_u64_e32 v[14:15], v[26:27], v[14:15]
.LBB71_2025:
	s_or_b32 exec_lo, exec_lo, s13
	s_mov_b32 s13, 0
	s_branch .LBB71_2031
.LBB71_2026:
	s_mov_b32 s13, -1
                                        ; implicit-def: $vgpr14_vgpr15
	s_branch .LBB71_2037
.LBB71_2027:
	s_and_not1_saveexec_b32 s14, s14
	s_cbranch_execz .LBB71_2012
.LBB71_2028:
	v_cmp_ne_u16_e32 vcc_lo, 0, v1
	s_and_not1_b32 s15, s15, exec_lo
	s_and_b32 s16, vcc_lo, exec_lo
	s_delay_alu instid0(SALU_CYCLE_1)
	s_or_b32 s15, s15, s16
	s_or_b32 exec_lo, exec_lo, s14
	v_mov_b64_e32 v[14:15], 0
	s_and_saveexec_b32 s14, s15
	s_cbranch_execnz .LBB71_2013
	s_branch .LBB71_2014
.LBB71_2029:
	s_mov_b32 s13, -1
                                        ; implicit-def: $vgpr14_vgpr15
	s_branch .LBB71_2034
.LBB71_2030:
	s_mov_b32 s13, -1
                                        ; implicit-def: $vgpr14_vgpr15
.LBB71_2031:
	s_delay_alu instid0(SALU_CYCLE_1)
	s_and_b32 vcc_lo, exec_lo, s13
	s_cbranch_vccz .LBB71_2033
; %bb.2032:
	global_load_u8 v1, v[24:25], off
	s_wait_loadcnt 0x0
	v_lshlrev_b32_e32 v1, 24, v1
	s_delay_alu instid0(VALU_DEP_1) | instskip(NEXT) | instid1(VALU_DEP_1)
	v_and_b32_e32 v3, 0x7f000000, v1
	v_clz_i32_u32_e32 v5, v3
	v_add_nc_u32_e32 v11, 0x1000000, v3
	v_cmp_ne_u32_e32 vcc_lo, 0, v3
	s_delay_alu instid0(VALU_DEP_3) | instskip(NEXT) | instid1(VALU_DEP_1)
	v_min_u32_e32 v5, 32, v5
	v_sub_nc_u32_e64 v5, v5, 4 clamp
	s_delay_alu instid0(VALU_DEP_1) | instskip(NEXT) | instid1(VALU_DEP_1)
	v_dual_lshlrev_b32 v7, v5, v3 :: v_dual_lshlrev_b32 v5, 23, v5
	v_lshrrev_b32_e32 v7, 4, v7
	s_delay_alu instid0(VALU_DEP_1) | instskip(NEXT) | instid1(VALU_DEP_1)
	v_dual_sub_nc_u32 v5, v7, v5 :: v_dual_ashrrev_i32 v7, 8, v11
	v_add_nc_u32_e32 v5, 0x3c000000, v5
	s_delay_alu instid0(VALU_DEP_1) | instskip(NEXT) | instid1(VALU_DEP_1)
	v_and_or_b32 v5, 0x7f800000, v7, v5
	v_cndmask_b32_e32 v3, 0, v5, vcc_lo
	s_delay_alu instid0(VALU_DEP_1) | instskip(NEXT) | instid1(VALU_DEP_1)
	v_and_or_b32 v1, 0x80000000, v1, v3
	v_trunc_f32_e32 v1, v1
	s_delay_alu instid0(VALU_DEP_1) | instskip(SKIP_1) | instid1(VALU_DEP_2)
	v_mul_f32_e64 v3, 0x2f800000, |v1|
	v_ashrrev_i32_e32 v14, 31, v1
	v_floor_f32_e32 v3, v3
	s_delay_alu instid0(VALU_DEP_2) | instskip(NEXT) | instid1(VALU_DEP_2)
	v_mov_b32_e32 v15, v14
	v_fma_f32 v5, 0xcf800000, v3, |v1|
	v_cvt_u32_f32_e32 v1, v3
	s_delay_alu instid0(VALU_DEP_2) | instskip(NEXT) | instid1(VALU_DEP_2)
	v_cvt_u32_f32_e32 v3, v5
	v_xor_b32_e32 v27, v1, v14
	s_delay_alu instid0(VALU_DEP_2) | instskip(NEXT) | instid1(VALU_DEP_1)
	v_xor_b32_e32 v26, v3, v14
	v_sub_nc_u64_e32 v[14:15], v[26:27], v[14:15]
.LBB71_2033:
	s_mov_b32 s13, 0
.LBB71_2034:
	s_delay_alu instid0(SALU_CYCLE_1)
	s_and_not1_b32 vcc_lo, exec_lo, s13
	s_cbranch_vccnz .LBB71_2036
; %bb.2035:
	global_load_u8 v1, v[24:25], off
	s_wait_loadcnt 0x0
	v_lshlrev_b32_e32 v3, 25, v1
	v_lshlrev_b16 v1, 8, v1
	s_delay_alu instid0(VALU_DEP_1) | instskip(SKIP_1) | instid1(VALU_DEP_2)
	v_and_or_b32 v7, 0x7f00, v1, 0.5
	v_bfe_i32 v1, v1, 0, 16
	v_add_f32_e32 v7, -0.5, v7
	v_lshrrev_b32_e32 v5, 4, v3
	v_cmp_gt_u32_e32 vcc_lo, 0x8000000, v3
	s_delay_alu instid0(VALU_DEP_2) | instskip(NEXT) | instid1(VALU_DEP_1)
	v_or_b32_e32 v5, 0x70000000, v5
	v_mul_f32_e32 v5, 0x7800000, v5
	s_delay_alu instid0(VALU_DEP_1) | instskip(NEXT) | instid1(VALU_DEP_1)
	v_cndmask_b32_e32 v3, v5, v7, vcc_lo
	v_and_or_b32 v1, 0x80000000, v1, v3
	s_delay_alu instid0(VALU_DEP_1) | instskip(NEXT) | instid1(VALU_DEP_1)
	v_trunc_f32_e32 v1, v1
	v_mul_f32_e64 v3, 0x2f800000, |v1|
	v_ashrrev_i32_e32 v14, 31, v1
	s_delay_alu instid0(VALU_DEP_2) | instskip(NEXT) | instid1(VALU_DEP_2)
	v_floor_f32_e32 v3, v3
	v_mov_b32_e32 v15, v14
	s_delay_alu instid0(VALU_DEP_2) | instskip(SKIP_1) | instid1(VALU_DEP_2)
	v_fma_f32 v5, 0xcf800000, v3, |v1|
	v_cvt_u32_f32_e32 v1, v3
	v_cvt_u32_f32_e32 v3, v5
	s_delay_alu instid0(VALU_DEP_2) | instskip(NEXT) | instid1(VALU_DEP_2)
	v_xor_b32_e32 v27, v1, v14
	v_xor_b32_e32 v26, v3, v14
	s_delay_alu instid0(VALU_DEP_1)
	v_sub_nc_u64_e32 v[14:15], v[26:27], v[14:15]
.LBB71_2036:
	s_mov_b32 s13, 0
	s_mov_b32 s14, -1
.LBB71_2037:
	s_and_not1_b32 vcc_lo, exec_lo, s13
	s_mov_b32 s13, 0
	s_cbranch_vccnz .LBB71_2048
; %bb.2038:
	s_cmp_gt_i32 s6, 14
	s_cbranch_scc0 .LBB71_2041
; %bb.2039:
	s_cmp_eq_u32 s6, 15
	s_cbranch_scc0 .LBB71_2044
; %bb.2040:
	global_load_u16 v1, v[24:25], off
	s_mov_b32 s10, 0
	s_mov_b32 s14, -1
	s_wait_loadcnt 0x0
	v_lshlrev_b32_e32 v1, 16, v1
	s_delay_alu instid0(VALU_DEP_1) | instskip(NEXT) | instid1(VALU_DEP_1)
	v_trunc_f32_e32 v1, v1
	v_mul_f32_e64 v3, 0x2f800000, |v1|
	v_ashrrev_i32_e32 v14, 31, v1
	s_delay_alu instid0(VALU_DEP_2) | instskip(NEXT) | instid1(VALU_DEP_2)
	v_floor_f32_e32 v3, v3
	v_mov_b32_e32 v15, v14
	s_delay_alu instid0(VALU_DEP_2) | instskip(SKIP_1) | instid1(VALU_DEP_2)
	v_fma_f32 v5, 0xcf800000, v3, |v1|
	v_cvt_u32_f32_e32 v1, v3
	v_cvt_u32_f32_e32 v3, v5
	s_delay_alu instid0(VALU_DEP_2) | instskip(NEXT) | instid1(VALU_DEP_2)
	v_xor_b32_e32 v27, v1, v14
	v_xor_b32_e32 v26, v3, v14
	s_delay_alu instid0(VALU_DEP_1)
	v_sub_nc_u64_e32 v[14:15], v[26:27], v[14:15]
	s_branch .LBB71_2046
.LBB71_2041:
	s_mov_b32 s13, -1
	s_branch .LBB71_2045
.LBB71_2042:
	s_and_not1_saveexec_b32 s13, s13
	s_cbranch_execz .LBB71_2023
.LBB71_2043:
	v_cmp_ne_u16_e32 vcc_lo, 0, v1
	s_and_not1_b32 s14, s14, exec_lo
	s_and_b32 s15, vcc_lo, exec_lo
	s_delay_alu instid0(SALU_CYCLE_1)
	s_or_b32 s14, s14, s15
	s_or_b32 exec_lo, exec_lo, s13
	v_mov_b64_e32 v[14:15], 0
	s_and_saveexec_b32 s13, s14
	s_cbranch_execnz .LBB71_2024
	s_branch .LBB71_2025
.LBB71_2044:
	s_mov_b32 s10, -1
.LBB71_2045:
                                        ; implicit-def: $vgpr14_vgpr15
.LBB71_2046:
	s_and_b32 vcc_lo, exec_lo, s13
	s_mov_b32 s13, 0
	s_cbranch_vccz .LBB71_2048
; %bb.2047:
	s_cmp_lg_u32 s6, 11
	s_mov_b32 s13, -1
	s_cselect_b32 s10, -1, 0
.LBB71_2048:
	s_delay_alu instid0(SALU_CYCLE_1)
	s_and_b32 vcc_lo, exec_lo, s10
	s_cbranch_vccnz .LBB71_2113
; %bb.2049:
	s_and_not1_b32 vcc_lo, exec_lo, s13
	s_cbranch_vccnz .LBB71_2051
.LBB71_2050:
	global_load_u8 v1, v[24:25], off
	s_mov_b32 s10, 0
	s_mov_b32 s14, -1
	s_wait_loadcnt 0x1
	v_mov_b32_e32 v15, s10
	s_wait_loadcnt 0x0
	v_cmp_ne_u16_e32 vcc_lo, 0, v1
	v_cndmask_b32_e64 v14, 0, 1, vcc_lo
.LBB71_2051:
	s_mov_b32 s10, 0
.LBB71_2052:
	s_delay_alu instid0(SALU_CYCLE_1)
	s_and_b32 vcc_lo, exec_lo, s10
	s_cbranch_vccz .LBB71_2101
; %bb.2053:
	s_cmp_lt_i32 s6, 5
	s_cbranch_scc1 .LBB71_2058
; %bb.2054:
	s_cmp_lt_i32 s6, 8
	s_cbranch_scc1 .LBB71_2059
	;; [unrolled: 3-line block ×3, first 2 shown]
; %bb.2056:
	s_cmp_gt_i32 s6, 9
	s_cbranch_scc0 .LBB71_2061
; %bb.2057:
	s_wait_loadcnt 0x0
	global_load_b64 v[14:15], v[24:25], off
	s_mov_b32 s10, 0
	s_wait_loadcnt 0x0
	v_trunc_f64_e32 v[14:15], v[14:15]
	s_delay_alu instid0(VALU_DEP_1) | instskip(NEXT) | instid1(VALU_DEP_1)
	v_ldexp_f64 v[26:27], v[14:15], 0xffffffe0
	v_floor_f64_e32 v[26:27], v[26:27]
	s_delay_alu instid0(VALU_DEP_1) | instskip(SKIP_1) | instid1(VALU_DEP_2)
	v_fmamk_f64 v[28:29], v[26:27], 0xc1f00000, v[14:15]
	v_cvt_i32_f64_e32 v15, v[26:27]
	v_cvt_u32_f64_e32 v14, v[28:29]
	s_branch .LBB71_2062
.LBB71_2058:
	s_mov_b32 s10, -1
                                        ; implicit-def: $vgpr14_vgpr15
	s_branch .LBB71_2080
.LBB71_2059:
	s_mov_b32 s10, -1
                                        ; implicit-def: $vgpr14_vgpr15
	s_branch .LBB71_2068
.LBB71_2060:
	s_mov_b32 s10, -1
                                        ; implicit-def: $vgpr14_vgpr15
	s_branch .LBB71_2065
.LBB71_2061:
	s_mov_b32 s10, -1
                                        ; implicit-def: $vgpr14_vgpr15
.LBB71_2062:
	s_delay_alu instid0(SALU_CYCLE_1)
	s_and_not1_b32 vcc_lo, exec_lo, s10
	s_cbranch_vccnz .LBB71_2064
; %bb.2063:
	global_load_b32 v1, v[24:25], off
	s_wait_loadcnt 0x0
	v_trunc_f32_e32 v1, v1
	s_delay_alu instid0(VALU_DEP_1) | instskip(SKIP_1) | instid1(VALU_DEP_2)
	v_mul_f32_e64 v3, 0x2f800000, |v1|
	v_ashrrev_i32_e32 v14, 31, v1
	v_floor_f32_e32 v3, v3
	s_delay_alu instid0(VALU_DEP_1) | instskip(SKIP_1) | instid1(VALU_DEP_4)
	v_fma_f32 v5, 0xcf800000, v3, |v1|
	v_cvt_u32_f32_e32 v1, v3
	v_mov_b32_e32 v15, v14
	s_delay_alu instid0(VALU_DEP_3) | instskip(NEXT) | instid1(VALU_DEP_3)
	v_cvt_u32_f32_e32 v3, v5
	v_xor_b32_e32 v27, v1, v14
	s_delay_alu instid0(VALU_DEP_2) | instskip(NEXT) | instid1(VALU_DEP_1)
	v_xor_b32_e32 v26, v3, v14
	v_sub_nc_u64_e32 v[14:15], v[26:27], v[14:15]
.LBB71_2064:
	s_mov_b32 s10, 0
.LBB71_2065:
	s_delay_alu instid0(SALU_CYCLE_1)
	s_and_not1_b32 vcc_lo, exec_lo, s10
	s_cbranch_vccnz .LBB71_2067
; %bb.2066:
	global_load_b32 v1, v[24:25], off
	s_wait_loadcnt 0x0
	v_cvt_f32_f16_e32 v1, v1
	s_delay_alu instid0(VALU_DEP_1) | instskip(NEXT) | instid1(VALU_DEP_1)
	v_cvt_i32_f32_e32 v14, v1
	v_ashrrev_i32_e32 v15, 31, v14
.LBB71_2067:
	s_mov_b32 s10, 0
.LBB71_2068:
	s_delay_alu instid0(SALU_CYCLE_1)
	s_and_not1_b32 vcc_lo, exec_lo, s10
	s_cbranch_vccnz .LBB71_2079
; %bb.2069:
	s_cmp_lt_i32 s6, 6
	s_cbranch_scc1 .LBB71_2072
; %bb.2070:
	s_cmp_gt_i32 s6, 6
	s_cbranch_scc0 .LBB71_2073
; %bb.2071:
	s_wait_loadcnt 0x0
	global_load_b64 v[14:15], v[24:25], off
	s_mov_b32 s10, 0
	s_wait_loadcnt 0x0
	v_trunc_f64_e32 v[14:15], v[14:15]
	s_delay_alu instid0(VALU_DEP_1) | instskip(NEXT) | instid1(VALU_DEP_1)
	v_ldexp_f64 v[26:27], v[14:15], 0xffffffe0
	v_floor_f64_e32 v[26:27], v[26:27]
	s_delay_alu instid0(VALU_DEP_1) | instskip(SKIP_1) | instid1(VALU_DEP_2)
	v_fmamk_f64 v[28:29], v[26:27], 0xc1f00000, v[14:15]
	v_cvt_i32_f64_e32 v15, v[26:27]
	v_cvt_u32_f64_e32 v14, v[28:29]
	s_branch .LBB71_2074
.LBB71_2072:
	s_mov_b32 s10, -1
                                        ; implicit-def: $vgpr14_vgpr15
	s_branch .LBB71_2077
.LBB71_2073:
	s_mov_b32 s10, -1
                                        ; implicit-def: $vgpr14_vgpr15
.LBB71_2074:
	s_delay_alu instid0(SALU_CYCLE_1)
	s_and_not1_b32 vcc_lo, exec_lo, s10
	s_cbranch_vccnz .LBB71_2076
; %bb.2075:
	global_load_b32 v1, v[24:25], off
	s_wait_loadcnt 0x0
	v_trunc_f32_e32 v1, v1
	s_delay_alu instid0(VALU_DEP_1) | instskip(SKIP_1) | instid1(VALU_DEP_2)
	v_mul_f32_e64 v3, 0x2f800000, |v1|
	v_ashrrev_i32_e32 v14, 31, v1
	v_floor_f32_e32 v3, v3
	s_delay_alu instid0(VALU_DEP_1) | instskip(SKIP_1) | instid1(VALU_DEP_4)
	v_fma_f32 v5, 0xcf800000, v3, |v1|
	v_cvt_u32_f32_e32 v1, v3
	v_mov_b32_e32 v15, v14
	s_delay_alu instid0(VALU_DEP_3) | instskip(NEXT) | instid1(VALU_DEP_3)
	v_cvt_u32_f32_e32 v3, v5
	v_xor_b32_e32 v27, v1, v14
	s_delay_alu instid0(VALU_DEP_2) | instskip(NEXT) | instid1(VALU_DEP_1)
	v_xor_b32_e32 v26, v3, v14
	v_sub_nc_u64_e32 v[14:15], v[26:27], v[14:15]
.LBB71_2076:
	s_mov_b32 s10, 0
.LBB71_2077:
	s_delay_alu instid0(SALU_CYCLE_1)
	s_and_not1_b32 vcc_lo, exec_lo, s10
	s_cbranch_vccnz .LBB71_2079
; %bb.2078:
	global_load_u16 v1, v[24:25], off
	s_wait_loadcnt 0x0
	v_cvt_f32_f16_e32 v1, v1
	s_delay_alu instid0(VALU_DEP_1) | instskip(NEXT) | instid1(VALU_DEP_1)
	v_cvt_i32_f32_e32 v14, v1
	v_ashrrev_i32_e32 v15, 31, v14
.LBB71_2079:
	s_mov_b32 s10, 0
.LBB71_2080:
	s_delay_alu instid0(SALU_CYCLE_1)
	s_and_not1_b32 vcc_lo, exec_lo, s10
	s_cbranch_vccnz .LBB71_2100
; %bb.2081:
	s_cmp_lt_i32 s6, 2
	s_cbranch_scc1 .LBB71_2085
; %bb.2082:
	s_cmp_lt_i32 s6, 3
	s_cbranch_scc1 .LBB71_2086
; %bb.2083:
	s_cmp_gt_i32 s6, 3
	s_cbranch_scc0 .LBB71_2087
; %bb.2084:
	s_wait_loadcnt 0x0
	global_load_b64 v[14:15], v[24:25], off
	s_mov_b32 s10, 0
	s_branch .LBB71_2088
.LBB71_2085:
	s_mov_b32 s10, -1
                                        ; implicit-def: $vgpr14_vgpr15
	s_branch .LBB71_2094
.LBB71_2086:
	s_mov_b32 s10, -1
                                        ; implicit-def: $vgpr14_vgpr15
	s_branch .LBB71_2091
.LBB71_2087:
	s_mov_b32 s10, -1
                                        ; implicit-def: $vgpr14_vgpr15
.LBB71_2088:
	s_delay_alu instid0(SALU_CYCLE_1)
	s_and_not1_b32 vcc_lo, exec_lo, s10
	s_cbranch_vccnz .LBB71_2090
; %bb.2089:
	s_wait_loadcnt 0x0
	global_load_b32 v14, v[24:25], off
	s_wait_loadcnt 0x0
	v_ashrrev_i32_e32 v15, 31, v14
.LBB71_2090:
	s_mov_b32 s10, 0
.LBB71_2091:
	s_delay_alu instid0(SALU_CYCLE_1)
	s_and_not1_b32 vcc_lo, exec_lo, s10
	s_cbranch_vccnz .LBB71_2093
; %bb.2092:
	global_load_u16 v1, v[24:25], off
	s_wait_loadcnt 0x0
	v_bfe_i32 v14, v1, 0, 16
	s_delay_alu instid0(VALU_DEP_1)
	v_ashrrev_i32_e32 v15, 31, v14
.LBB71_2093:
	s_mov_b32 s10, 0
.LBB71_2094:
	s_delay_alu instid0(SALU_CYCLE_1)
	s_and_not1_b32 vcc_lo, exec_lo, s10
	s_cbranch_vccnz .LBB71_2100
; %bb.2095:
	s_cmp_gt_i32 s6, 0
	s_mov_b32 s10, 0
	s_cbranch_scc0 .LBB71_2097
; %bb.2096:
	global_load_i8 v1, v[24:25], off
	s_wait_loadcnt 0x0
	v_bfe_i32 v14, v1, 0, 16
	s_delay_alu instid0(VALU_DEP_1)
	v_ashrrev_i32_e32 v15, 31, v14
	s_branch .LBB71_2098
.LBB71_2097:
	s_mov_b32 s10, -1
                                        ; implicit-def: $vgpr14_vgpr15
.LBB71_2098:
	s_delay_alu instid0(SALU_CYCLE_1)
	s_and_not1_b32 vcc_lo, exec_lo, s10
	s_cbranch_vccnz .LBB71_2100
; %bb.2099:
	global_load_u8 v1, v[24:25], off
	s_mov_b32 s10, 0
	s_wait_loadcnt 0x1
	v_mov_b32_e32 v15, s10
	s_wait_loadcnt 0x0
	v_and_b32_e32 v14, 0xffff, v1
.LBB71_2100:
	s_mov_b32 s14, -1
.LBB71_2101:
	s_delay_alu instid0(SALU_CYCLE_1)
	s_and_not1_b32 vcc_lo, exec_lo, s14
	s_cbranch_vccnz .LBB71_3216
; %bb.2102:
	v_mov_b32_e32 v19, 0
	s_and_b32 s10, 0xffff, s12
	s_delay_alu instid0(SALU_CYCLE_1) | instskip(SKIP_1) | instid1(VALU_DEP_1)
	s_cmp_lt_i32 s10, 11
	s_wait_xcnt 0x0
	v_add_nc_u64_e32 v[24:25], s[4:5], v[18:19]
	s_cbranch_scc1 .LBB71_2109
; %bb.2103:
	s_cmp_gt_i32 s10, 25
	s_mov_b32 s13, 0
	s_cbranch_scc0 .LBB71_2110
; %bb.2104:
	s_cmp_gt_i32 s10, 28
	s_cbranch_scc0 .LBB71_2111
; %bb.2105:
	s_cmp_gt_i32 s10, 43
	;; [unrolled: 3-line block ×3, first 2 shown]
	s_cbranch_scc0 .LBB71_2114
; %bb.2107:
	s_cmp_eq_u32 s10, 46
	s_mov_b32 s15, 0
	s_cbranch_scc0 .LBB71_2117
; %bb.2108:
	global_load_b32 v1, v[24:25], off
	s_mov_b32 s12, 0
	s_mov_b32 s14, -1
	s_wait_loadcnt 0x0
	v_lshlrev_b32_e32 v1, 16, v1
	s_delay_alu instid0(VALU_DEP_1) | instskip(NEXT) | instid1(VALU_DEP_1)
	v_trunc_f32_e32 v1, v1
	v_mul_f32_e64 v3, 0x2f800000, |v1|
	v_ashrrev_i32_e32 v18, 31, v1
	s_delay_alu instid0(VALU_DEP_2) | instskip(NEXT) | instid1(VALU_DEP_2)
	v_floor_f32_e32 v3, v3
	v_mov_b32_e32 v19, v18
	s_delay_alu instid0(VALU_DEP_2) | instskip(SKIP_1) | instid1(VALU_DEP_2)
	v_fma_f32 v5, 0xcf800000, v3, |v1|
	v_cvt_u32_f32_e32 v1, v3
	v_cvt_u32_f32_e32 v3, v5
	s_delay_alu instid0(VALU_DEP_2) | instskip(NEXT) | instid1(VALU_DEP_2)
	v_xor_b32_e32 v27, v1, v18
	v_xor_b32_e32 v26, v3, v18
	s_delay_alu instid0(VALU_DEP_1)
	v_sub_nc_u64_e32 v[18:19], v[26:27], v[18:19]
	s_branch .LBB71_2119
.LBB71_2109:
	s_mov_b32 s12, -1
	s_mov_b32 s14, 0
                                        ; implicit-def: $vgpr18_vgpr19
	s_branch .LBB71_2181
.LBB71_2110:
	s_mov_b32 s15, -1
	s_mov_b32 s14, 0
	s_mov_b32 s12, 0
                                        ; implicit-def: $vgpr18_vgpr19
	s_branch .LBB71_2146
.LBB71_2111:
	s_mov_b32 s15, -1
	s_mov_b32 s14, 0
	s_mov_b32 s12, 0
                                        ; implicit-def: $vgpr18_vgpr19
	s_branch .LBB71_2129
.LBB71_2112:
	s_mov_b32 s15, -1
	s_mov_b32 s14, 0
	s_mov_b32 s12, 0
                                        ; implicit-def: $vgpr18_vgpr19
	s_branch .LBB71_2124
.LBB71_2113:
	s_or_b32 s9, s9, exec_lo
	s_trap 2
	s_cbranch_execz .LBB71_2050
	s_branch .LBB71_2051
.LBB71_2114:
	s_mov_b32 s15, -1
	s_mov_b32 s14, 0
	s_mov_b32 s12, 0
	s_branch .LBB71_2118
.LBB71_2115:
	s_and_not1_saveexec_b32 s57, s57
	s_cbranch_execz .LBB71_1140
.LBB71_2116:
	v_add_f32_e64 v6, 0x46000000, |v1|
	s_and_not1_b32 s56, s56, exec_lo
	s_delay_alu instid0(VALU_DEP_1) | instskip(NEXT) | instid1(VALU_DEP_1)
	v_and_b32_e32 v6, 0xff, v6
	v_cmp_ne_u32_e32 vcc_lo, 0, v6
	s_and_b32 s58, vcc_lo, exec_lo
	s_delay_alu instid0(SALU_CYCLE_1)
	s_or_b32 s56, s56, s58
	s_or_b32 exec_lo, exec_lo, s57
	v_mov_b32_e32 v7, 0
	s_and_saveexec_b32 s57, s56
	s_cbranch_execnz .LBB71_1141
	s_branch .LBB71_1142
.LBB71_2117:
	s_mov_b32 s12, -1
	s_mov_b32 s14, 0
.LBB71_2118:
                                        ; implicit-def: $vgpr18_vgpr19
.LBB71_2119:
	s_and_b32 vcc_lo, exec_lo, s15
	s_cbranch_vccz .LBB71_2123
; %bb.2120:
	s_cmp_eq_u32 s10, 44
	s_cbranch_scc0 .LBB71_2122
; %bb.2121:
	global_load_u8 v1, v[24:25], off
	s_mov_b32 s12, 0
	s_mov_b32 s14, -1
	s_wait_loadcnt 0x0
	v_lshlrev_b32_e32 v3, 23, v1
	v_cmp_ne_u32_e32 vcc_lo, 0, v1
	s_delay_alu instid0(VALU_DEP_2) | instskip(NEXT) | instid1(VALU_DEP_1)
	v_trunc_f32_e32 v3, v3
	v_mul_f32_e64 v5, 0x2f800000, |v3|
	v_ashrrev_i32_e32 v18, 31, v3
	s_delay_alu instid0(VALU_DEP_2) | instskip(NEXT) | instid1(VALU_DEP_2)
	v_floor_f32_e32 v5, v5
	v_mov_b32_e32 v19, v18
	s_delay_alu instid0(VALU_DEP_2) | instskip(SKIP_1) | instid1(VALU_DEP_2)
	v_fma_f32 v7, 0xcf800000, v5, |v3|
	v_cvt_u32_f32_e32 v3, v5
	v_cvt_u32_f32_e32 v5, v7
	s_delay_alu instid0(VALU_DEP_2) | instskip(NEXT) | instid1(VALU_DEP_2)
	v_xor_b32_e32 v27, v3, v18
	v_xor_b32_e32 v26, v5, v18
	s_delay_alu instid0(VALU_DEP_1) | instskip(NEXT) | instid1(VALU_DEP_1)
	v_sub_nc_u64_e32 v[18:19], v[26:27], v[18:19]
	v_dual_cndmask_b32 v19, 0, v19 :: v_dual_cndmask_b32 v18, 0, v18
	s_branch .LBB71_2123
.LBB71_2122:
	s_mov_b32 s12, -1
                                        ; implicit-def: $vgpr18_vgpr19
.LBB71_2123:
	s_mov_b32 s15, 0
.LBB71_2124:
	s_delay_alu instid0(SALU_CYCLE_1)
	s_and_b32 vcc_lo, exec_lo, s15
	s_cbranch_vccz .LBB71_2128
; %bb.2125:
	s_cmp_eq_u32 s10, 29
	s_cbranch_scc0 .LBB71_2127
; %bb.2126:
	global_load_b64 v[18:19], v[24:25], off
	s_mov_b32 s12, 0
	s_mov_b32 s14, -1
	s_branch .LBB71_2128
.LBB71_2127:
	s_mov_b32 s12, -1
                                        ; implicit-def: $vgpr18_vgpr19
.LBB71_2128:
	s_mov_b32 s15, 0
.LBB71_2129:
	s_delay_alu instid0(SALU_CYCLE_1)
	s_and_b32 vcc_lo, exec_lo, s15
	s_cbranch_vccz .LBB71_2145
; %bb.2130:
	s_cmp_lt_i32 s10, 27
	s_cbranch_scc1 .LBB71_2133
; %bb.2131:
	s_cmp_gt_i32 s10, 27
	s_cbranch_scc0 .LBB71_2134
; %bb.2132:
	s_wait_loadcnt 0x0
	global_load_b32 v18, v[24:25], off
	v_mov_b32_e32 v19, 0
	s_mov_b32 s14, 0
	s_branch .LBB71_2135
.LBB71_2133:
	s_mov_b32 s14, -1
                                        ; implicit-def: $vgpr18_vgpr19
	s_branch .LBB71_2138
.LBB71_2134:
	s_mov_b32 s14, -1
                                        ; implicit-def: $vgpr18_vgpr19
.LBB71_2135:
	s_delay_alu instid0(SALU_CYCLE_1)
	s_and_not1_b32 vcc_lo, exec_lo, s14
	s_cbranch_vccnz .LBB71_2137
; %bb.2136:
	global_load_u16 v1, v[24:25], off
	s_mov_b32 s14, 0
	s_wait_loadcnt 0x1
	v_mov_b32_e32 v19, s14
	s_wait_loadcnt 0x0
	v_and_b32_e32 v18, 0xffff, v1
.LBB71_2137:
	s_mov_b32 s14, 0
.LBB71_2138:
	s_delay_alu instid0(SALU_CYCLE_1)
	s_and_not1_b32 vcc_lo, exec_lo, s14
	s_cbranch_vccnz .LBB71_2144
; %bb.2139:
	global_load_u8 v1, v[24:25], off
	s_mov_b32 s15, 0
	s_mov_b32 s14, exec_lo
	s_wait_loadcnt 0x0
	v_cmpx_lt_i16_e32 0x7f, v1
	s_xor_b32 s14, exec_lo, s14
	s_cbranch_execz .LBB71_2156
; %bb.2140:
	v_cmp_ne_u16_e32 vcc_lo, 0x80, v1
	s_and_b32 s15, vcc_lo, exec_lo
	s_and_not1_saveexec_b32 s14, s14
	s_cbranch_execnz .LBB71_2157
.LBB71_2141:
	s_or_b32 exec_lo, exec_lo, s14
	v_mov_b64_e32 v[18:19], 0
	s_and_saveexec_b32 s14, s15
	s_cbranch_execz .LBB71_2143
.LBB71_2142:
	v_and_b32_e32 v3, 0xffff, v1
	s_delay_alu instid0(VALU_DEP_1) | instskip(SKIP_1) | instid1(VALU_DEP_2)
	v_dual_lshlrev_b32 v1, 24, v1 :: v_dual_bitop2_b32 v5, 7, v3 bitop3:0x40
	v_bfe_u32 v17, v3, 3, 4
	v_and_b32_e32 v1, 0x80000000, v1
	s_delay_alu instid0(VALU_DEP_3) | instskip(NEXT) | instid1(VALU_DEP_3)
	v_clz_i32_u32_e32 v7, v5
	v_cmp_eq_u32_e32 vcc_lo, 0, v17
	s_delay_alu instid0(VALU_DEP_2) | instskip(NEXT) | instid1(VALU_DEP_1)
	v_min_u32_e32 v7, 32, v7
	v_subrev_nc_u32_e32 v11, 28, v7
	v_sub_nc_u32_e32 v7, 29, v7
	s_delay_alu instid0(VALU_DEP_2) | instskip(NEXT) | instid1(VALU_DEP_2)
	v_lshlrev_b32_e32 v3, v11, v3
	v_cndmask_b32_e32 v7, v17, v7, vcc_lo
	s_delay_alu instid0(VALU_DEP_2) | instskip(NEXT) | instid1(VALU_DEP_1)
	v_and_b32_e32 v3, 7, v3
	v_cndmask_b32_e32 v3, v5, v3, vcc_lo
	s_delay_alu instid0(VALU_DEP_3) | instskip(NEXT) | instid1(VALU_DEP_2)
	v_lshl_add_u32 v5, v7, 23, 0x3b800000
	v_lshlrev_b32_e32 v3, 20, v3
	s_delay_alu instid0(VALU_DEP_1) | instskip(NEXT) | instid1(VALU_DEP_1)
	v_or3_b32 v1, v1, v5, v3
	v_trunc_f32_e32 v1, v1
	s_delay_alu instid0(VALU_DEP_1) | instskip(SKIP_1) | instid1(VALU_DEP_2)
	v_mul_f32_e64 v3, 0x2f800000, |v1|
	v_ashrrev_i32_e32 v18, 31, v1
	v_floor_f32_e32 v3, v3
	s_delay_alu instid0(VALU_DEP_2) | instskip(NEXT) | instid1(VALU_DEP_2)
	v_mov_b32_e32 v19, v18
	v_fma_f32 v5, 0xcf800000, v3, |v1|
	v_cvt_u32_f32_e32 v1, v3
	s_delay_alu instid0(VALU_DEP_2) | instskip(NEXT) | instid1(VALU_DEP_2)
	v_cvt_u32_f32_e32 v3, v5
	v_xor_b32_e32 v27, v1, v18
	s_delay_alu instid0(VALU_DEP_2) | instskip(NEXT) | instid1(VALU_DEP_1)
	v_xor_b32_e32 v26, v3, v18
	v_sub_nc_u64_e32 v[18:19], v[26:27], v[18:19]
.LBB71_2143:
	s_or_b32 exec_lo, exec_lo, s14
.LBB71_2144:
	s_mov_b32 s14, -1
.LBB71_2145:
	s_mov_b32 s15, 0
.LBB71_2146:
	s_delay_alu instid0(SALU_CYCLE_1)
	s_and_b32 vcc_lo, exec_lo, s15
	s_cbranch_vccz .LBB71_2177
; %bb.2147:
	s_cmp_gt_i32 s10, 22
	s_cbranch_scc0 .LBB71_2155
; %bb.2148:
	s_cmp_lt_i32 s10, 24
	s_cbranch_scc1 .LBB71_2158
; %bb.2149:
	s_cmp_gt_i32 s10, 24
	s_cbranch_scc0 .LBB71_2159
; %bb.2150:
	global_load_u8 v1, v[24:25], off
	s_mov_b32 s14, 0
	s_mov_b32 s13, exec_lo
	s_wait_loadcnt 0x0
	v_cmpx_lt_i16_e32 0x7f, v1
	s_xor_b32 s13, exec_lo, s13
	s_cbranch_execz .LBB71_2171
; %bb.2151:
	v_cmp_ne_u16_e32 vcc_lo, 0x80, v1
	s_and_b32 s14, vcc_lo, exec_lo
	s_and_not1_saveexec_b32 s13, s13
	s_cbranch_execnz .LBB71_2172
.LBB71_2152:
	s_or_b32 exec_lo, exec_lo, s13
	v_mov_b64_e32 v[18:19], 0
	s_and_saveexec_b32 s13, s14
	s_cbranch_execz .LBB71_2154
.LBB71_2153:
	v_and_b32_e32 v3, 0xffff, v1
	s_delay_alu instid0(VALU_DEP_1) | instskip(SKIP_1) | instid1(VALU_DEP_2)
	v_dual_lshlrev_b32 v1, 24, v1 :: v_dual_bitop2_b32 v5, 3, v3 bitop3:0x40
	v_bfe_u32 v17, v3, 2, 5
	v_and_b32_e32 v1, 0x80000000, v1
	s_delay_alu instid0(VALU_DEP_3) | instskip(NEXT) | instid1(VALU_DEP_3)
	v_clz_i32_u32_e32 v7, v5
	v_cmp_eq_u32_e32 vcc_lo, 0, v17
	s_delay_alu instid0(VALU_DEP_2) | instskip(NEXT) | instid1(VALU_DEP_1)
	v_min_u32_e32 v7, 32, v7
	v_subrev_nc_u32_e32 v11, 29, v7
	v_sub_nc_u32_e32 v7, 30, v7
	s_delay_alu instid0(VALU_DEP_2) | instskip(NEXT) | instid1(VALU_DEP_2)
	v_lshlrev_b32_e32 v3, v11, v3
	v_cndmask_b32_e32 v7, v17, v7, vcc_lo
	s_delay_alu instid0(VALU_DEP_2) | instskip(NEXT) | instid1(VALU_DEP_1)
	v_and_b32_e32 v3, 3, v3
	v_cndmask_b32_e32 v3, v5, v3, vcc_lo
	s_delay_alu instid0(VALU_DEP_3) | instskip(NEXT) | instid1(VALU_DEP_2)
	v_lshl_add_u32 v5, v7, 23, 0x37800000
	v_lshlrev_b32_e32 v3, 21, v3
	s_delay_alu instid0(VALU_DEP_1) | instskip(NEXT) | instid1(VALU_DEP_1)
	v_or3_b32 v1, v1, v5, v3
	v_trunc_f32_e32 v1, v1
	s_delay_alu instid0(VALU_DEP_1) | instskip(SKIP_1) | instid1(VALU_DEP_2)
	v_mul_f32_e64 v3, 0x2f800000, |v1|
	v_ashrrev_i32_e32 v18, 31, v1
	v_floor_f32_e32 v3, v3
	s_delay_alu instid0(VALU_DEP_2) | instskip(NEXT) | instid1(VALU_DEP_2)
	v_mov_b32_e32 v19, v18
	v_fma_f32 v5, 0xcf800000, v3, |v1|
	v_cvt_u32_f32_e32 v1, v3
	s_delay_alu instid0(VALU_DEP_2) | instskip(NEXT) | instid1(VALU_DEP_2)
	v_cvt_u32_f32_e32 v3, v5
	v_xor_b32_e32 v27, v1, v18
	s_delay_alu instid0(VALU_DEP_2) | instskip(NEXT) | instid1(VALU_DEP_1)
	v_xor_b32_e32 v26, v3, v18
	v_sub_nc_u64_e32 v[18:19], v[26:27], v[18:19]
.LBB71_2154:
	s_or_b32 exec_lo, exec_lo, s13
	s_mov_b32 s13, 0
	s_branch .LBB71_2160
.LBB71_2155:
	s_mov_b32 s13, -1
                                        ; implicit-def: $vgpr18_vgpr19
	s_branch .LBB71_2166
.LBB71_2156:
	s_and_not1_saveexec_b32 s14, s14
	s_cbranch_execz .LBB71_2141
.LBB71_2157:
	v_cmp_ne_u16_e32 vcc_lo, 0, v1
	s_and_not1_b32 s15, s15, exec_lo
	s_and_b32 s16, vcc_lo, exec_lo
	s_delay_alu instid0(SALU_CYCLE_1)
	s_or_b32 s15, s15, s16
	s_or_b32 exec_lo, exec_lo, s14
	v_mov_b64_e32 v[18:19], 0
	s_and_saveexec_b32 s14, s15
	s_cbranch_execnz .LBB71_2142
	s_branch .LBB71_2143
.LBB71_2158:
	s_mov_b32 s13, -1
                                        ; implicit-def: $vgpr18_vgpr19
	s_branch .LBB71_2163
.LBB71_2159:
	s_mov_b32 s13, -1
                                        ; implicit-def: $vgpr18_vgpr19
.LBB71_2160:
	s_delay_alu instid0(SALU_CYCLE_1)
	s_and_b32 vcc_lo, exec_lo, s13
	s_cbranch_vccz .LBB71_2162
; %bb.2161:
	global_load_u8 v1, v[24:25], off
	s_wait_loadcnt 0x0
	v_lshlrev_b32_e32 v1, 24, v1
	s_delay_alu instid0(VALU_DEP_1) | instskip(NEXT) | instid1(VALU_DEP_1)
	v_and_b32_e32 v3, 0x7f000000, v1
	v_clz_i32_u32_e32 v5, v3
	v_add_nc_u32_e32 v11, 0x1000000, v3
	v_cmp_ne_u32_e32 vcc_lo, 0, v3
	s_delay_alu instid0(VALU_DEP_3) | instskip(NEXT) | instid1(VALU_DEP_1)
	v_min_u32_e32 v5, 32, v5
	v_sub_nc_u32_e64 v5, v5, 4 clamp
	s_delay_alu instid0(VALU_DEP_1) | instskip(NEXT) | instid1(VALU_DEP_1)
	v_dual_lshlrev_b32 v7, v5, v3 :: v_dual_lshlrev_b32 v5, 23, v5
	v_lshrrev_b32_e32 v7, 4, v7
	s_delay_alu instid0(VALU_DEP_1) | instskip(NEXT) | instid1(VALU_DEP_1)
	v_dual_sub_nc_u32 v5, v7, v5 :: v_dual_ashrrev_i32 v7, 8, v11
	v_add_nc_u32_e32 v5, 0x3c000000, v5
	s_delay_alu instid0(VALU_DEP_1) | instskip(NEXT) | instid1(VALU_DEP_1)
	v_and_or_b32 v5, 0x7f800000, v7, v5
	v_cndmask_b32_e32 v3, 0, v5, vcc_lo
	s_delay_alu instid0(VALU_DEP_1) | instskip(NEXT) | instid1(VALU_DEP_1)
	v_and_or_b32 v1, 0x80000000, v1, v3
	v_trunc_f32_e32 v1, v1
	s_delay_alu instid0(VALU_DEP_1) | instskip(SKIP_1) | instid1(VALU_DEP_2)
	v_mul_f32_e64 v3, 0x2f800000, |v1|
	v_ashrrev_i32_e32 v18, 31, v1
	v_floor_f32_e32 v3, v3
	s_delay_alu instid0(VALU_DEP_2) | instskip(NEXT) | instid1(VALU_DEP_2)
	v_mov_b32_e32 v19, v18
	v_fma_f32 v5, 0xcf800000, v3, |v1|
	v_cvt_u32_f32_e32 v1, v3
	s_delay_alu instid0(VALU_DEP_2) | instskip(NEXT) | instid1(VALU_DEP_2)
	v_cvt_u32_f32_e32 v3, v5
	v_xor_b32_e32 v27, v1, v18
	s_delay_alu instid0(VALU_DEP_2) | instskip(NEXT) | instid1(VALU_DEP_1)
	v_xor_b32_e32 v26, v3, v18
	v_sub_nc_u64_e32 v[18:19], v[26:27], v[18:19]
.LBB71_2162:
	s_mov_b32 s13, 0
.LBB71_2163:
	s_delay_alu instid0(SALU_CYCLE_1)
	s_and_not1_b32 vcc_lo, exec_lo, s13
	s_cbranch_vccnz .LBB71_2165
; %bb.2164:
	global_load_u8 v1, v[24:25], off
	s_wait_loadcnt 0x0
	v_lshlrev_b32_e32 v3, 25, v1
	v_lshlrev_b16 v1, 8, v1
	s_delay_alu instid0(VALU_DEP_1) | instskip(SKIP_1) | instid1(VALU_DEP_2)
	v_and_or_b32 v7, 0x7f00, v1, 0.5
	v_bfe_i32 v1, v1, 0, 16
	v_add_f32_e32 v7, -0.5, v7
	v_lshrrev_b32_e32 v5, 4, v3
	v_cmp_gt_u32_e32 vcc_lo, 0x8000000, v3
	s_delay_alu instid0(VALU_DEP_2) | instskip(NEXT) | instid1(VALU_DEP_1)
	v_or_b32_e32 v5, 0x70000000, v5
	v_mul_f32_e32 v5, 0x7800000, v5
	s_delay_alu instid0(VALU_DEP_1) | instskip(NEXT) | instid1(VALU_DEP_1)
	v_cndmask_b32_e32 v3, v5, v7, vcc_lo
	v_and_or_b32 v1, 0x80000000, v1, v3
	s_delay_alu instid0(VALU_DEP_1) | instskip(NEXT) | instid1(VALU_DEP_1)
	v_trunc_f32_e32 v1, v1
	v_mul_f32_e64 v3, 0x2f800000, |v1|
	v_ashrrev_i32_e32 v18, 31, v1
	s_delay_alu instid0(VALU_DEP_2) | instskip(NEXT) | instid1(VALU_DEP_2)
	v_floor_f32_e32 v3, v3
	v_mov_b32_e32 v19, v18
	s_delay_alu instid0(VALU_DEP_2) | instskip(SKIP_1) | instid1(VALU_DEP_2)
	v_fma_f32 v5, 0xcf800000, v3, |v1|
	v_cvt_u32_f32_e32 v1, v3
	v_cvt_u32_f32_e32 v3, v5
	s_delay_alu instid0(VALU_DEP_2) | instskip(NEXT) | instid1(VALU_DEP_2)
	v_xor_b32_e32 v27, v1, v18
	v_xor_b32_e32 v26, v3, v18
	s_delay_alu instid0(VALU_DEP_1)
	v_sub_nc_u64_e32 v[18:19], v[26:27], v[18:19]
.LBB71_2165:
	s_mov_b32 s13, 0
	s_mov_b32 s14, -1
.LBB71_2166:
	s_and_not1_b32 vcc_lo, exec_lo, s13
	s_mov_b32 s13, 0
	s_cbranch_vccnz .LBB71_2177
; %bb.2167:
	s_cmp_gt_i32 s10, 14
	s_cbranch_scc0 .LBB71_2170
; %bb.2168:
	s_cmp_eq_u32 s10, 15
	s_cbranch_scc0 .LBB71_2173
; %bb.2169:
	global_load_u16 v1, v[24:25], off
	s_mov_b32 s12, 0
	s_mov_b32 s14, -1
	s_wait_loadcnt 0x0
	v_lshlrev_b32_e32 v1, 16, v1
	s_delay_alu instid0(VALU_DEP_1) | instskip(NEXT) | instid1(VALU_DEP_1)
	v_trunc_f32_e32 v1, v1
	v_mul_f32_e64 v3, 0x2f800000, |v1|
	v_ashrrev_i32_e32 v18, 31, v1
	s_delay_alu instid0(VALU_DEP_2) | instskip(NEXT) | instid1(VALU_DEP_2)
	v_floor_f32_e32 v3, v3
	v_mov_b32_e32 v19, v18
	s_delay_alu instid0(VALU_DEP_2) | instskip(SKIP_1) | instid1(VALU_DEP_2)
	v_fma_f32 v5, 0xcf800000, v3, |v1|
	v_cvt_u32_f32_e32 v1, v3
	v_cvt_u32_f32_e32 v3, v5
	s_delay_alu instid0(VALU_DEP_2) | instskip(NEXT) | instid1(VALU_DEP_2)
	v_xor_b32_e32 v27, v1, v18
	v_xor_b32_e32 v26, v3, v18
	s_delay_alu instid0(VALU_DEP_1)
	v_sub_nc_u64_e32 v[18:19], v[26:27], v[18:19]
	s_branch .LBB71_2175
.LBB71_2170:
	s_mov_b32 s13, -1
	s_branch .LBB71_2174
.LBB71_2171:
	s_and_not1_saveexec_b32 s13, s13
	s_cbranch_execz .LBB71_2152
.LBB71_2172:
	v_cmp_ne_u16_e32 vcc_lo, 0, v1
	s_and_not1_b32 s14, s14, exec_lo
	s_and_b32 s15, vcc_lo, exec_lo
	s_delay_alu instid0(SALU_CYCLE_1)
	s_or_b32 s14, s14, s15
	s_or_b32 exec_lo, exec_lo, s13
	v_mov_b64_e32 v[18:19], 0
	s_and_saveexec_b32 s13, s14
	s_cbranch_execnz .LBB71_2153
	s_branch .LBB71_2154
.LBB71_2173:
	s_mov_b32 s12, -1
.LBB71_2174:
                                        ; implicit-def: $vgpr18_vgpr19
.LBB71_2175:
	s_and_b32 vcc_lo, exec_lo, s13
	s_mov_b32 s13, 0
	s_cbranch_vccz .LBB71_2177
; %bb.2176:
	s_cmp_lg_u32 s10, 11
	s_mov_b32 s13, -1
	s_cselect_b32 s12, -1, 0
.LBB71_2177:
	s_delay_alu instid0(SALU_CYCLE_1)
	s_and_b32 vcc_lo, exec_lo, s12
	s_cbranch_vccnz .LBB71_2261
; %bb.2178:
	s_and_not1_b32 vcc_lo, exec_lo, s13
	s_cbranch_vccnz .LBB71_2180
.LBB71_2179:
	global_load_u8 v1, v[24:25], off
	s_mov_b32 s12, 0
	s_mov_b32 s14, -1
	s_wait_loadcnt 0x1
	v_mov_b32_e32 v19, s12
	s_wait_loadcnt 0x0
	v_cmp_ne_u16_e32 vcc_lo, 0, v1
	v_cndmask_b32_e64 v18, 0, 1, vcc_lo
.LBB71_2180:
	s_mov_b32 s12, 0
.LBB71_2181:
	s_delay_alu instid0(SALU_CYCLE_1)
	s_and_b32 vcc_lo, exec_lo, s12
	s_cbranch_vccz .LBB71_2230
; %bb.2182:
	s_cmp_lt_i32 s10, 5
	s_cbranch_scc1 .LBB71_2187
; %bb.2183:
	s_cmp_lt_i32 s10, 8
	s_cbranch_scc1 .LBB71_2188
	;; [unrolled: 3-line block ×3, first 2 shown]
; %bb.2185:
	s_cmp_gt_i32 s10, 9
	s_cbranch_scc0 .LBB71_2190
; %bb.2186:
	s_wait_loadcnt 0x0
	global_load_b64 v[18:19], v[24:25], off
	s_mov_b32 s12, 0
	s_wait_loadcnt 0x0
	v_trunc_f64_e32 v[18:19], v[18:19]
	s_delay_alu instid0(VALU_DEP_1) | instskip(NEXT) | instid1(VALU_DEP_1)
	v_ldexp_f64 v[26:27], v[18:19], 0xffffffe0
	v_floor_f64_e32 v[26:27], v[26:27]
	s_delay_alu instid0(VALU_DEP_1) | instskip(SKIP_1) | instid1(VALU_DEP_2)
	v_fmamk_f64 v[28:29], v[26:27], 0xc1f00000, v[18:19]
	v_cvt_i32_f64_e32 v19, v[26:27]
	v_cvt_u32_f64_e32 v18, v[28:29]
	s_branch .LBB71_2191
.LBB71_2187:
	s_mov_b32 s12, -1
                                        ; implicit-def: $vgpr18_vgpr19
	s_branch .LBB71_2209
.LBB71_2188:
	s_mov_b32 s12, -1
                                        ; implicit-def: $vgpr18_vgpr19
	s_branch .LBB71_2197
.LBB71_2189:
	s_mov_b32 s12, -1
                                        ; implicit-def: $vgpr18_vgpr19
	s_branch .LBB71_2194
.LBB71_2190:
	s_mov_b32 s12, -1
                                        ; implicit-def: $vgpr18_vgpr19
.LBB71_2191:
	s_delay_alu instid0(SALU_CYCLE_1)
	s_and_not1_b32 vcc_lo, exec_lo, s12
	s_cbranch_vccnz .LBB71_2193
; %bb.2192:
	global_load_b32 v1, v[24:25], off
	s_wait_loadcnt 0x0
	v_trunc_f32_e32 v1, v1
	s_delay_alu instid0(VALU_DEP_1) | instskip(SKIP_1) | instid1(VALU_DEP_2)
	v_mul_f32_e64 v3, 0x2f800000, |v1|
	v_ashrrev_i32_e32 v18, 31, v1
	v_floor_f32_e32 v3, v3
	s_delay_alu instid0(VALU_DEP_1) | instskip(SKIP_1) | instid1(VALU_DEP_4)
	v_fma_f32 v5, 0xcf800000, v3, |v1|
	v_cvt_u32_f32_e32 v1, v3
	v_mov_b32_e32 v19, v18
	s_delay_alu instid0(VALU_DEP_3) | instskip(NEXT) | instid1(VALU_DEP_3)
	v_cvt_u32_f32_e32 v3, v5
	v_xor_b32_e32 v27, v1, v18
	s_delay_alu instid0(VALU_DEP_2) | instskip(NEXT) | instid1(VALU_DEP_1)
	v_xor_b32_e32 v26, v3, v18
	v_sub_nc_u64_e32 v[18:19], v[26:27], v[18:19]
.LBB71_2193:
	s_mov_b32 s12, 0
.LBB71_2194:
	s_delay_alu instid0(SALU_CYCLE_1)
	s_and_not1_b32 vcc_lo, exec_lo, s12
	s_cbranch_vccnz .LBB71_2196
; %bb.2195:
	global_load_b32 v1, v[24:25], off
	s_wait_loadcnt 0x0
	v_cvt_f32_f16_e32 v1, v1
	s_delay_alu instid0(VALU_DEP_1) | instskip(NEXT) | instid1(VALU_DEP_1)
	v_cvt_i32_f32_e32 v18, v1
	v_ashrrev_i32_e32 v19, 31, v18
.LBB71_2196:
	s_mov_b32 s12, 0
.LBB71_2197:
	s_delay_alu instid0(SALU_CYCLE_1)
	s_and_not1_b32 vcc_lo, exec_lo, s12
	s_cbranch_vccnz .LBB71_2208
; %bb.2198:
	s_cmp_lt_i32 s10, 6
	s_cbranch_scc1 .LBB71_2201
; %bb.2199:
	s_cmp_gt_i32 s10, 6
	s_cbranch_scc0 .LBB71_2202
; %bb.2200:
	s_wait_loadcnt 0x0
	global_load_b64 v[18:19], v[24:25], off
	s_mov_b32 s12, 0
	s_wait_loadcnt 0x0
	v_trunc_f64_e32 v[18:19], v[18:19]
	s_delay_alu instid0(VALU_DEP_1) | instskip(NEXT) | instid1(VALU_DEP_1)
	v_ldexp_f64 v[26:27], v[18:19], 0xffffffe0
	v_floor_f64_e32 v[26:27], v[26:27]
	s_delay_alu instid0(VALU_DEP_1) | instskip(SKIP_1) | instid1(VALU_DEP_2)
	v_fmamk_f64 v[28:29], v[26:27], 0xc1f00000, v[18:19]
	v_cvt_i32_f64_e32 v19, v[26:27]
	v_cvt_u32_f64_e32 v18, v[28:29]
	s_branch .LBB71_2203
.LBB71_2201:
	s_mov_b32 s12, -1
                                        ; implicit-def: $vgpr18_vgpr19
	s_branch .LBB71_2206
.LBB71_2202:
	s_mov_b32 s12, -1
                                        ; implicit-def: $vgpr18_vgpr19
.LBB71_2203:
	s_delay_alu instid0(SALU_CYCLE_1)
	s_and_not1_b32 vcc_lo, exec_lo, s12
	s_cbranch_vccnz .LBB71_2205
; %bb.2204:
	global_load_b32 v1, v[24:25], off
	s_wait_loadcnt 0x0
	v_trunc_f32_e32 v1, v1
	s_delay_alu instid0(VALU_DEP_1) | instskip(SKIP_1) | instid1(VALU_DEP_2)
	v_mul_f32_e64 v3, 0x2f800000, |v1|
	v_ashrrev_i32_e32 v18, 31, v1
	v_floor_f32_e32 v3, v3
	s_delay_alu instid0(VALU_DEP_1) | instskip(SKIP_1) | instid1(VALU_DEP_4)
	v_fma_f32 v5, 0xcf800000, v3, |v1|
	v_cvt_u32_f32_e32 v1, v3
	v_mov_b32_e32 v19, v18
	s_delay_alu instid0(VALU_DEP_3) | instskip(NEXT) | instid1(VALU_DEP_3)
	v_cvt_u32_f32_e32 v3, v5
	v_xor_b32_e32 v27, v1, v18
	s_delay_alu instid0(VALU_DEP_2) | instskip(NEXT) | instid1(VALU_DEP_1)
	v_xor_b32_e32 v26, v3, v18
	v_sub_nc_u64_e32 v[18:19], v[26:27], v[18:19]
.LBB71_2205:
	s_mov_b32 s12, 0
.LBB71_2206:
	s_delay_alu instid0(SALU_CYCLE_1)
	s_and_not1_b32 vcc_lo, exec_lo, s12
	s_cbranch_vccnz .LBB71_2208
; %bb.2207:
	global_load_u16 v1, v[24:25], off
	s_wait_loadcnt 0x0
	v_cvt_f32_f16_e32 v1, v1
	s_delay_alu instid0(VALU_DEP_1) | instskip(NEXT) | instid1(VALU_DEP_1)
	v_cvt_i32_f32_e32 v18, v1
	v_ashrrev_i32_e32 v19, 31, v18
.LBB71_2208:
	s_mov_b32 s12, 0
.LBB71_2209:
	s_delay_alu instid0(SALU_CYCLE_1)
	s_and_not1_b32 vcc_lo, exec_lo, s12
	s_cbranch_vccnz .LBB71_2229
; %bb.2210:
	s_cmp_lt_i32 s10, 2
	s_cbranch_scc1 .LBB71_2214
; %bb.2211:
	s_cmp_lt_i32 s10, 3
	s_cbranch_scc1 .LBB71_2215
; %bb.2212:
	s_cmp_gt_i32 s10, 3
	s_cbranch_scc0 .LBB71_2216
; %bb.2213:
	s_wait_loadcnt 0x0
	global_load_b64 v[18:19], v[24:25], off
	s_mov_b32 s12, 0
	s_branch .LBB71_2217
.LBB71_2214:
	s_mov_b32 s12, -1
                                        ; implicit-def: $vgpr18_vgpr19
	s_branch .LBB71_2223
.LBB71_2215:
	s_mov_b32 s12, -1
                                        ; implicit-def: $vgpr18_vgpr19
	s_branch .LBB71_2220
.LBB71_2216:
	s_mov_b32 s12, -1
                                        ; implicit-def: $vgpr18_vgpr19
.LBB71_2217:
	s_delay_alu instid0(SALU_CYCLE_1)
	s_and_not1_b32 vcc_lo, exec_lo, s12
	s_cbranch_vccnz .LBB71_2219
; %bb.2218:
	s_wait_loadcnt 0x0
	global_load_b32 v18, v[24:25], off
	s_wait_loadcnt 0x0
	v_ashrrev_i32_e32 v19, 31, v18
.LBB71_2219:
	s_mov_b32 s12, 0
.LBB71_2220:
	s_delay_alu instid0(SALU_CYCLE_1)
	s_and_not1_b32 vcc_lo, exec_lo, s12
	s_cbranch_vccnz .LBB71_2222
; %bb.2221:
	global_load_u16 v1, v[24:25], off
	s_wait_loadcnt 0x0
	v_bfe_i32 v18, v1, 0, 16
	s_delay_alu instid0(VALU_DEP_1)
	v_ashrrev_i32_e32 v19, 31, v18
.LBB71_2222:
	s_mov_b32 s12, 0
.LBB71_2223:
	s_delay_alu instid0(SALU_CYCLE_1)
	s_and_not1_b32 vcc_lo, exec_lo, s12
	s_cbranch_vccnz .LBB71_2229
; %bb.2224:
	s_cmp_gt_i32 s10, 0
	s_mov_b32 s12, 0
	s_cbranch_scc0 .LBB71_2226
; %bb.2225:
	global_load_i8 v1, v[24:25], off
	s_wait_loadcnt 0x0
	v_bfe_i32 v18, v1, 0, 16
	s_delay_alu instid0(VALU_DEP_1)
	v_ashrrev_i32_e32 v19, 31, v18
	s_branch .LBB71_2227
.LBB71_2226:
	s_mov_b32 s12, -1
                                        ; implicit-def: $vgpr18_vgpr19
.LBB71_2227:
	s_delay_alu instid0(SALU_CYCLE_1)
	s_and_not1_b32 vcc_lo, exec_lo, s12
	s_cbranch_vccnz .LBB71_2229
; %bb.2228:
	global_load_u8 v1, v[24:25], off
	s_mov_b32 s12, 0
	s_wait_loadcnt 0x1
	v_mov_b32_e32 v19, s12
	s_wait_loadcnt 0x0
	v_and_b32_e32 v18, 0xffff, v1
.LBB71_2229:
	s_mov_b32 s14, -1
.LBB71_2230:
	s_delay_alu instid0(SALU_CYCLE_1)
	s_and_not1_b32 vcc_lo, exec_lo, s14
	s_cbranch_vccnz .LBB71_3216
; %bb.2231:
	s_cmp_lt_i32 s11, 23
	s_cbranch_scc1 .LBB71_2235
; %bb.2232:
	s_cmp_gt_i32 s11, 43
	s_cbranch_scc0 .LBB71_2236
; %bb.2233:
	s_cmp_gt_i32 s11, 45
	s_cbranch_scc0 .LBB71_2237
; %bb.2234:
	s_cmp_lg_u32 s11, 46
	s_mov_b32 s14, 0
	s_mov_b32 s12, -1
	s_cselect_b32 s13, -1, 0
	s_branch .LBB71_2238
.LBB71_2235:
	s_mov_b32 s14, -1
	s_mov_b32 s12, 0
	s_mov_b32 s13, 0
	s_branch .LBB71_2244
.LBB71_2236:
	s_mov_b32 s14, -1
	s_mov_b32 s12, 0
	s_mov_b32 s13, 0
	s_branch .LBB71_2241
.LBB71_2237:
	s_mov_b32 s14, -1
	s_mov_b32 s12, 0
	s_mov_b32 s13, 0
.LBB71_2238:
	s_and_not1_b32 vcc_lo, exec_lo, s14
	s_cbranch_vccnz .LBB71_2240
; %bb.2239:
	s_cmp_eq_u32 s11, 44
	s_cselect_b32 s12, -1, 0
	s_cmp_lg_u32 s11, 44
	s_cselect_b32 s13, -1, 0
.LBB71_2240:
	s_mov_b32 s14, 0
.LBB71_2241:
	s_delay_alu instid0(SALU_CYCLE_1)
	s_and_b32 vcc_lo, exec_lo, s14
	s_cbranch_vccz .LBB71_2243
; %bb.2242:
	s_cmp_lt_i32 s11, 30
	s_cselect_b32 s12, -1, 0
	s_cmp_gt_i32 s11, 29
	s_cselect_b32 s13, -1, 0
.LBB71_2243:
	s_mov_b32 s14, 0
.LBB71_2244:
	s_delay_alu instid0(SALU_CYCLE_1)
	s_and_b32 vcc_lo, exec_lo, s14
	s_cbranch_vccz .LBB71_2249
; %bb.2245:
	s_cmp_gt_i32 s11, 14
	s_mov_b32 s14, -1
	s_cbranch_scc0 .LBB71_2247
; %bb.2246:
	s_cmp_eq_u32 s11, 15
	s_mov_b32 s14, 0
	s_cselect_b32 s12, -1, 0
	s_cmp_lg_u32 s11, 15
	s_cselect_b32 s13, -1, 0
.LBB71_2247:
	s_and_not1_b32 vcc_lo, exec_lo, s14
	s_cbranch_vccnz .LBB71_2249
; %bb.2248:
	s_cmp_lt_i32 s11, 12
	s_cselect_b32 s12, -1, 0
	s_cmp_gt_i32 s11, 11
	s_cselect_b32 s13, -1, 0
.LBB71_2249:
	s_delay_alu instid0(SALU_CYCLE_1)
	s_and_b32 vcc_lo, exec_lo, s13
	s_cbranch_vccnz .LBB71_2262
; %bb.2250:
	s_and_not1_b32 vcc_lo, exec_lo, s12
	s_cbranch_vccnz .LBB71_3216
.LBB71_2251:
	v_mov_b32_e32 v23, 0
	s_cmp_lt_i32 s6, 11
	s_wait_xcnt 0x0
	s_delay_alu instid0(VALU_DEP_1)
	v_add_nc_u64_e32 v[24:25], s[0:1], v[22:23]
	s_cbranch_scc1 .LBB71_2258
; %bb.2252:
	s_cmp_gt_i32 s6, 25
	s_mov_b32 s13, 0
	s_cbranch_scc0 .LBB71_2259
; %bb.2253:
	s_cmp_gt_i32 s6, 28
	s_cbranch_scc0 .LBB71_2260
; %bb.2254:
	s_cmp_gt_i32 s6, 43
	;; [unrolled: 3-line block ×3, first 2 shown]
	s_cbranch_scc0 .LBB71_2266
; %bb.2256:
	s_cmp_eq_u32 s6, 46
	s_mov_b32 s15, 0
	s_cbranch_scc0 .LBB71_2267
; %bb.2257:
	global_load_b32 v1, v[24:25], off
	s_mov_b32 s12, 0
	s_mov_b32 s14, -1
	s_wait_loadcnt 0x0
	v_lshlrev_b32_e32 v1, 16, v1
	s_delay_alu instid0(VALU_DEP_1) | instskip(NEXT) | instid1(VALU_DEP_1)
	v_trunc_f32_e32 v1, v1
	v_mul_f32_e64 v3, 0x2f800000, |v1|
	v_ashrrev_i32_e32 v22, 31, v1
	s_delay_alu instid0(VALU_DEP_2) | instskip(NEXT) | instid1(VALU_DEP_2)
	v_floor_f32_e32 v3, v3
	v_mov_b32_e32 v23, v22
	s_delay_alu instid0(VALU_DEP_2) | instskip(SKIP_1) | instid1(VALU_DEP_2)
	v_fma_f32 v5, 0xcf800000, v3, |v1|
	v_cvt_u32_f32_e32 v1, v3
	v_cvt_u32_f32_e32 v3, v5
	s_delay_alu instid0(VALU_DEP_2) | instskip(NEXT) | instid1(VALU_DEP_2)
	v_xor_b32_e32 v27, v1, v22
	v_xor_b32_e32 v26, v3, v22
	s_delay_alu instid0(VALU_DEP_1)
	v_sub_nc_u64_e32 v[22:23], v[26:27], v[22:23]
	s_branch .LBB71_2269
.LBB71_2258:
	s_mov_b32 s12, -1
	s_mov_b32 s14, 0
                                        ; implicit-def: $vgpr22_vgpr23
	s_branch .LBB71_2331
.LBB71_2259:
	s_mov_b32 s15, -1
	s_mov_b32 s14, 0
	s_mov_b32 s12, 0
                                        ; implicit-def: $vgpr22_vgpr23
	s_branch .LBB71_2296
.LBB71_2260:
	s_mov_b32 s15, -1
	s_mov_b32 s14, 0
	s_mov_b32 s12, 0
                                        ; implicit-def: $vgpr22_vgpr23
	s_branch .LBB71_2279
.LBB71_2261:
	s_or_b32 s9, s9, exec_lo
	s_trap 2
	s_cbranch_execz .LBB71_2179
	s_branch .LBB71_2180
.LBB71_2262:
	s_or_b32 s9, s9, exec_lo
	s_trap 2
	s_cbranch_execz .LBB71_2251
	s_branch .LBB71_3216
.LBB71_2263:
	s_mov_b32 s15, -1
	s_mov_b32 s14, 0
	s_mov_b32 s12, 0
                                        ; implicit-def: $vgpr22_vgpr23
	s_branch .LBB71_2274
.LBB71_2264:
	s_and_not1_saveexec_b32 s57, s57
	s_cbranch_execz .LBB71_1153
.LBB71_2265:
	v_add_f32_e64 v6, 0x42800000, |v1|
	s_and_not1_b32 s56, s56, exec_lo
	s_delay_alu instid0(VALU_DEP_1) | instskip(NEXT) | instid1(VALU_DEP_1)
	v_and_b32_e32 v6, 0xff, v6
	v_cmp_ne_u32_e32 vcc_lo, 0, v6
	s_and_b32 s58, vcc_lo, exec_lo
	s_delay_alu instid0(SALU_CYCLE_1)
	s_or_b32 s56, s56, s58
	s_or_b32 exec_lo, exec_lo, s57
	v_mov_b32_e32 v7, 0
	s_and_saveexec_b32 s57, s56
	s_cbranch_execnz .LBB71_1154
	s_branch .LBB71_1155
.LBB71_2266:
	s_mov_b32 s15, -1
	s_mov_b32 s14, 0
	s_mov_b32 s12, 0
	s_branch .LBB71_2268
.LBB71_2267:
	s_mov_b32 s12, -1
	s_mov_b32 s14, 0
.LBB71_2268:
                                        ; implicit-def: $vgpr22_vgpr23
.LBB71_2269:
	s_and_b32 vcc_lo, exec_lo, s15
	s_cbranch_vccz .LBB71_2273
; %bb.2270:
	s_cmp_eq_u32 s6, 44
	s_cbranch_scc0 .LBB71_2272
; %bb.2271:
	global_load_u8 v1, v[24:25], off
	s_mov_b32 s12, 0
	s_mov_b32 s14, -1
	s_wait_loadcnt 0x0
	v_lshlrev_b32_e32 v3, 23, v1
	v_cmp_ne_u32_e32 vcc_lo, 0, v1
	s_delay_alu instid0(VALU_DEP_2) | instskip(NEXT) | instid1(VALU_DEP_1)
	v_trunc_f32_e32 v3, v3
	v_mul_f32_e64 v5, 0x2f800000, |v3|
	v_ashrrev_i32_e32 v22, 31, v3
	s_delay_alu instid0(VALU_DEP_2) | instskip(NEXT) | instid1(VALU_DEP_2)
	v_floor_f32_e32 v5, v5
	v_mov_b32_e32 v23, v22
	s_delay_alu instid0(VALU_DEP_2) | instskip(SKIP_1) | instid1(VALU_DEP_2)
	v_fma_f32 v7, 0xcf800000, v5, |v3|
	v_cvt_u32_f32_e32 v3, v5
	v_cvt_u32_f32_e32 v5, v7
	s_delay_alu instid0(VALU_DEP_2) | instskip(NEXT) | instid1(VALU_DEP_2)
	v_xor_b32_e32 v27, v3, v22
	v_xor_b32_e32 v26, v5, v22
	s_delay_alu instid0(VALU_DEP_1) | instskip(NEXT) | instid1(VALU_DEP_1)
	v_sub_nc_u64_e32 v[22:23], v[26:27], v[22:23]
	v_dual_cndmask_b32 v23, 0, v23 :: v_dual_cndmask_b32 v22, 0, v22
	s_branch .LBB71_2273
.LBB71_2272:
	s_mov_b32 s12, -1
                                        ; implicit-def: $vgpr22_vgpr23
.LBB71_2273:
	s_mov_b32 s15, 0
.LBB71_2274:
	s_delay_alu instid0(SALU_CYCLE_1)
	s_and_b32 vcc_lo, exec_lo, s15
	s_cbranch_vccz .LBB71_2278
; %bb.2275:
	s_cmp_eq_u32 s6, 29
	s_cbranch_scc0 .LBB71_2277
; %bb.2276:
	global_load_b64 v[22:23], v[24:25], off
	s_mov_b32 s12, 0
	s_mov_b32 s14, -1
	s_branch .LBB71_2278
.LBB71_2277:
	s_mov_b32 s12, -1
                                        ; implicit-def: $vgpr22_vgpr23
.LBB71_2278:
	s_mov_b32 s15, 0
.LBB71_2279:
	s_delay_alu instid0(SALU_CYCLE_1)
	s_and_b32 vcc_lo, exec_lo, s15
	s_cbranch_vccz .LBB71_2295
; %bb.2280:
	s_cmp_lt_i32 s6, 27
	s_cbranch_scc1 .LBB71_2283
; %bb.2281:
	s_cmp_gt_i32 s6, 27
	s_cbranch_scc0 .LBB71_2284
; %bb.2282:
	s_wait_loadcnt 0x0
	global_load_b32 v22, v[24:25], off
	v_mov_b32_e32 v23, 0
	s_mov_b32 s14, 0
	s_branch .LBB71_2285
.LBB71_2283:
	s_mov_b32 s14, -1
                                        ; implicit-def: $vgpr22_vgpr23
	s_branch .LBB71_2288
.LBB71_2284:
	s_mov_b32 s14, -1
                                        ; implicit-def: $vgpr22_vgpr23
.LBB71_2285:
	s_delay_alu instid0(SALU_CYCLE_1)
	s_and_not1_b32 vcc_lo, exec_lo, s14
	s_cbranch_vccnz .LBB71_2287
; %bb.2286:
	global_load_u16 v1, v[24:25], off
	s_mov_b32 s14, 0
	s_wait_loadcnt 0x1
	v_mov_b32_e32 v23, s14
	s_wait_loadcnt 0x0
	v_and_b32_e32 v22, 0xffff, v1
.LBB71_2287:
	s_mov_b32 s14, 0
.LBB71_2288:
	s_delay_alu instid0(SALU_CYCLE_1)
	s_and_not1_b32 vcc_lo, exec_lo, s14
	s_cbranch_vccnz .LBB71_2294
; %bb.2289:
	global_load_u8 v1, v[24:25], off
	s_mov_b32 s15, 0
	s_mov_b32 s14, exec_lo
	s_wait_loadcnt 0x0
	v_cmpx_lt_i16_e32 0x7f, v1
	s_xor_b32 s14, exec_lo, s14
	s_cbranch_execz .LBB71_2306
; %bb.2290:
	v_cmp_ne_u16_e32 vcc_lo, 0x80, v1
	s_and_b32 s15, vcc_lo, exec_lo
	s_and_not1_saveexec_b32 s14, s14
	s_cbranch_execnz .LBB71_2307
.LBB71_2291:
	s_or_b32 exec_lo, exec_lo, s14
	v_mov_b64_e32 v[22:23], 0
	s_and_saveexec_b32 s14, s15
	s_cbranch_execz .LBB71_2293
.LBB71_2292:
	v_and_b32_e32 v3, 0xffff, v1
	s_delay_alu instid0(VALU_DEP_1) | instskip(SKIP_1) | instid1(VALU_DEP_2)
	v_dual_lshlrev_b32 v1, 24, v1 :: v_dual_bitop2_b32 v5, 7, v3 bitop3:0x40
	v_bfe_u32 v17, v3, 3, 4
	v_and_b32_e32 v1, 0x80000000, v1
	s_delay_alu instid0(VALU_DEP_3) | instskip(NEXT) | instid1(VALU_DEP_3)
	v_clz_i32_u32_e32 v7, v5
	v_cmp_eq_u32_e32 vcc_lo, 0, v17
	s_delay_alu instid0(VALU_DEP_2) | instskip(NEXT) | instid1(VALU_DEP_1)
	v_min_u32_e32 v7, 32, v7
	v_subrev_nc_u32_e32 v11, 28, v7
	v_sub_nc_u32_e32 v7, 29, v7
	s_delay_alu instid0(VALU_DEP_2) | instskip(NEXT) | instid1(VALU_DEP_2)
	v_lshlrev_b32_e32 v3, v11, v3
	v_cndmask_b32_e32 v7, v17, v7, vcc_lo
	s_delay_alu instid0(VALU_DEP_2) | instskip(NEXT) | instid1(VALU_DEP_1)
	v_and_b32_e32 v3, 7, v3
	v_cndmask_b32_e32 v3, v5, v3, vcc_lo
	s_delay_alu instid0(VALU_DEP_3) | instskip(NEXT) | instid1(VALU_DEP_2)
	v_lshl_add_u32 v5, v7, 23, 0x3b800000
	v_lshlrev_b32_e32 v3, 20, v3
	s_delay_alu instid0(VALU_DEP_1) | instskip(NEXT) | instid1(VALU_DEP_1)
	v_or3_b32 v1, v1, v5, v3
	v_trunc_f32_e32 v1, v1
	s_delay_alu instid0(VALU_DEP_1) | instskip(SKIP_1) | instid1(VALU_DEP_2)
	v_mul_f32_e64 v3, 0x2f800000, |v1|
	v_ashrrev_i32_e32 v22, 31, v1
	v_floor_f32_e32 v3, v3
	s_delay_alu instid0(VALU_DEP_2) | instskip(NEXT) | instid1(VALU_DEP_2)
	v_mov_b32_e32 v23, v22
	v_fma_f32 v5, 0xcf800000, v3, |v1|
	v_cvt_u32_f32_e32 v1, v3
	s_delay_alu instid0(VALU_DEP_2) | instskip(NEXT) | instid1(VALU_DEP_2)
	v_cvt_u32_f32_e32 v3, v5
	v_xor_b32_e32 v27, v1, v22
	s_delay_alu instid0(VALU_DEP_2) | instskip(NEXT) | instid1(VALU_DEP_1)
	v_xor_b32_e32 v26, v3, v22
	v_sub_nc_u64_e32 v[22:23], v[26:27], v[22:23]
.LBB71_2293:
	s_or_b32 exec_lo, exec_lo, s14
.LBB71_2294:
	s_mov_b32 s14, -1
.LBB71_2295:
	s_mov_b32 s15, 0
.LBB71_2296:
	s_delay_alu instid0(SALU_CYCLE_1)
	s_and_b32 vcc_lo, exec_lo, s15
	s_cbranch_vccz .LBB71_2327
; %bb.2297:
	s_cmp_gt_i32 s6, 22
	s_cbranch_scc0 .LBB71_2305
; %bb.2298:
	s_cmp_lt_i32 s6, 24
	s_cbranch_scc1 .LBB71_2308
; %bb.2299:
	s_cmp_gt_i32 s6, 24
	s_cbranch_scc0 .LBB71_2309
; %bb.2300:
	global_load_u8 v1, v[24:25], off
	s_mov_b32 s14, 0
	s_mov_b32 s13, exec_lo
	s_wait_loadcnt 0x0
	v_cmpx_lt_i16_e32 0x7f, v1
	s_xor_b32 s13, exec_lo, s13
	s_cbranch_execz .LBB71_2321
; %bb.2301:
	v_cmp_ne_u16_e32 vcc_lo, 0x80, v1
	s_and_b32 s14, vcc_lo, exec_lo
	s_and_not1_saveexec_b32 s13, s13
	s_cbranch_execnz .LBB71_2322
.LBB71_2302:
	s_or_b32 exec_lo, exec_lo, s13
	v_mov_b64_e32 v[22:23], 0
	s_and_saveexec_b32 s13, s14
	s_cbranch_execz .LBB71_2304
.LBB71_2303:
	v_and_b32_e32 v3, 0xffff, v1
	s_delay_alu instid0(VALU_DEP_1) | instskip(SKIP_1) | instid1(VALU_DEP_2)
	v_dual_lshlrev_b32 v1, 24, v1 :: v_dual_bitop2_b32 v5, 3, v3 bitop3:0x40
	v_bfe_u32 v17, v3, 2, 5
	v_and_b32_e32 v1, 0x80000000, v1
	s_delay_alu instid0(VALU_DEP_3) | instskip(NEXT) | instid1(VALU_DEP_3)
	v_clz_i32_u32_e32 v7, v5
	v_cmp_eq_u32_e32 vcc_lo, 0, v17
	s_delay_alu instid0(VALU_DEP_2) | instskip(NEXT) | instid1(VALU_DEP_1)
	v_min_u32_e32 v7, 32, v7
	v_subrev_nc_u32_e32 v11, 29, v7
	v_sub_nc_u32_e32 v7, 30, v7
	s_delay_alu instid0(VALU_DEP_2) | instskip(NEXT) | instid1(VALU_DEP_2)
	v_lshlrev_b32_e32 v3, v11, v3
	v_cndmask_b32_e32 v7, v17, v7, vcc_lo
	s_delay_alu instid0(VALU_DEP_2) | instskip(NEXT) | instid1(VALU_DEP_1)
	v_and_b32_e32 v3, 3, v3
	v_cndmask_b32_e32 v3, v5, v3, vcc_lo
	s_delay_alu instid0(VALU_DEP_3) | instskip(NEXT) | instid1(VALU_DEP_2)
	v_lshl_add_u32 v5, v7, 23, 0x37800000
	v_lshlrev_b32_e32 v3, 21, v3
	s_delay_alu instid0(VALU_DEP_1) | instskip(NEXT) | instid1(VALU_DEP_1)
	v_or3_b32 v1, v1, v5, v3
	v_trunc_f32_e32 v1, v1
	s_delay_alu instid0(VALU_DEP_1) | instskip(SKIP_1) | instid1(VALU_DEP_2)
	v_mul_f32_e64 v3, 0x2f800000, |v1|
	v_ashrrev_i32_e32 v22, 31, v1
	v_floor_f32_e32 v3, v3
	s_delay_alu instid0(VALU_DEP_2) | instskip(NEXT) | instid1(VALU_DEP_2)
	v_mov_b32_e32 v23, v22
	v_fma_f32 v5, 0xcf800000, v3, |v1|
	v_cvt_u32_f32_e32 v1, v3
	s_delay_alu instid0(VALU_DEP_2) | instskip(NEXT) | instid1(VALU_DEP_2)
	v_cvt_u32_f32_e32 v3, v5
	v_xor_b32_e32 v27, v1, v22
	s_delay_alu instid0(VALU_DEP_2) | instskip(NEXT) | instid1(VALU_DEP_1)
	v_xor_b32_e32 v26, v3, v22
	v_sub_nc_u64_e32 v[22:23], v[26:27], v[22:23]
.LBB71_2304:
	s_or_b32 exec_lo, exec_lo, s13
	s_mov_b32 s13, 0
	s_branch .LBB71_2310
.LBB71_2305:
	s_mov_b32 s13, -1
                                        ; implicit-def: $vgpr22_vgpr23
	s_branch .LBB71_2316
.LBB71_2306:
	s_and_not1_saveexec_b32 s14, s14
	s_cbranch_execz .LBB71_2291
.LBB71_2307:
	v_cmp_ne_u16_e32 vcc_lo, 0, v1
	s_and_not1_b32 s15, s15, exec_lo
	s_and_b32 s16, vcc_lo, exec_lo
	s_delay_alu instid0(SALU_CYCLE_1)
	s_or_b32 s15, s15, s16
	s_or_b32 exec_lo, exec_lo, s14
	v_mov_b64_e32 v[22:23], 0
	s_and_saveexec_b32 s14, s15
	s_cbranch_execnz .LBB71_2292
	s_branch .LBB71_2293
.LBB71_2308:
	s_mov_b32 s13, -1
                                        ; implicit-def: $vgpr22_vgpr23
	s_branch .LBB71_2313
.LBB71_2309:
	s_mov_b32 s13, -1
                                        ; implicit-def: $vgpr22_vgpr23
.LBB71_2310:
	s_delay_alu instid0(SALU_CYCLE_1)
	s_and_b32 vcc_lo, exec_lo, s13
	s_cbranch_vccz .LBB71_2312
; %bb.2311:
	global_load_u8 v1, v[24:25], off
	s_wait_loadcnt 0x0
	v_lshlrev_b32_e32 v1, 24, v1
	s_delay_alu instid0(VALU_DEP_1) | instskip(NEXT) | instid1(VALU_DEP_1)
	v_and_b32_e32 v3, 0x7f000000, v1
	v_clz_i32_u32_e32 v5, v3
	v_add_nc_u32_e32 v11, 0x1000000, v3
	v_cmp_ne_u32_e32 vcc_lo, 0, v3
	s_delay_alu instid0(VALU_DEP_3) | instskip(NEXT) | instid1(VALU_DEP_1)
	v_min_u32_e32 v5, 32, v5
	v_sub_nc_u32_e64 v5, v5, 4 clamp
	s_delay_alu instid0(VALU_DEP_1) | instskip(NEXT) | instid1(VALU_DEP_1)
	v_dual_lshlrev_b32 v7, v5, v3 :: v_dual_lshlrev_b32 v5, 23, v5
	v_lshrrev_b32_e32 v7, 4, v7
	s_delay_alu instid0(VALU_DEP_1) | instskip(NEXT) | instid1(VALU_DEP_1)
	v_dual_sub_nc_u32 v5, v7, v5 :: v_dual_ashrrev_i32 v7, 8, v11
	v_add_nc_u32_e32 v5, 0x3c000000, v5
	s_delay_alu instid0(VALU_DEP_1) | instskip(NEXT) | instid1(VALU_DEP_1)
	v_and_or_b32 v5, 0x7f800000, v7, v5
	v_cndmask_b32_e32 v3, 0, v5, vcc_lo
	s_delay_alu instid0(VALU_DEP_1) | instskip(NEXT) | instid1(VALU_DEP_1)
	v_and_or_b32 v1, 0x80000000, v1, v3
	v_trunc_f32_e32 v1, v1
	s_delay_alu instid0(VALU_DEP_1) | instskip(SKIP_1) | instid1(VALU_DEP_2)
	v_mul_f32_e64 v3, 0x2f800000, |v1|
	v_ashrrev_i32_e32 v22, 31, v1
	v_floor_f32_e32 v3, v3
	s_delay_alu instid0(VALU_DEP_2) | instskip(NEXT) | instid1(VALU_DEP_2)
	v_mov_b32_e32 v23, v22
	v_fma_f32 v5, 0xcf800000, v3, |v1|
	v_cvt_u32_f32_e32 v1, v3
	s_delay_alu instid0(VALU_DEP_2) | instskip(NEXT) | instid1(VALU_DEP_2)
	v_cvt_u32_f32_e32 v3, v5
	v_xor_b32_e32 v27, v1, v22
	s_delay_alu instid0(VALU_DEP_2) | instskip(NEXT) | instid1(VALU_DEP_1)
	v_xor_b32_e32 v26, v3, v22
	v_sub_nc_u64_e32 v[22:23], v[26:27], v[22:23]
.LBB71_2312:
	s_mov_b32 s13, 0
.LBB71_2313:
	s_delay_alu instid0(SALU_CYCLE_1)
	s_and_not1_b32 vcc_lo, exec_lo, s13
	s_cbranch_vccnz .LBB71_2315
; %bb.2314:
	global_load_u8 v1, v[24:25], off
	s_wait_loadcnt 0x0
	v_lshlrev_b32_e32 v3, 25, v1
	v_lshlrev_b16 v1, 8, v1
	s_delay_alu instid0(VALU_DEP_1) | instskip(SKIP_1) | instid1(VALU_DEP_2)
	v_and_or_b32 v7, 0x7f00, v1, 0.5
	v_bfe_i32 v1, v1, 0, 16
	v_add_f32_e32 v7, -0.5, v7
	v_lshrrev_b32_e32 v5, 4, v3
	v_cmp_gt_u32_e32 vcc_lo, 0x8000000, v3
	s_delay_alu instid0(VALU_DEP_2) | instskip(NEXT) | instid1(VALU_DEP_1)
	v_or_b32_e32 v5, 0x70000000, v5
	v_mul_f32_e32 v5, 0x7800000, v5
	s_delay_alu instid0(VALU_DEP_1) | instskip(NEXT) | instid1(VALU_DEP_1)
	v_cndmask_b32_e32 v3, v5, v7, vcc_lo
	v_and_or_b32 v1, 0x80000000, v1, v3
	s_delay_alu instid0(VALU_DEP_1) | instskip(NEXT) | instid1(VALU_DEP_1)
	v_trunc_f32_e32 v1, v1
	v_mul_f32_e64 v3, 0x2f800000, |v1|
	v_ashrrev_i32_e32 v22, 31, v1
	s_delay_alu instid0(VALU_DEP_2) | instskip(NEXT) | instid1(VALU_DEP_2)
	v_floor_f32_e32 v3, v3
	v_mov_b32_e32 v23, v22
	s_delay_alu instid0(VALU_DEP_2) | instskip(SKIP_1) | instid1(VALU_DEP_2)
	v_fma_f32 v5, 0xcf800000, v3, |v1|
	v_cvt_u32_f32_e32 v1, v3
	v_cvt_u32_f32_e32 v3, v5
	s_delay_alu instid0(VALU_DEP_2) | instskip(NEXT) | instid1(VALU_DEP_2)
	v_xor_b32_e32 v27, v1, v22
	v_xor_b32_e32 v26, v3, v22
	s_delay_alu instid0(VALU_DEP_1)
	v_sub_nc_u64_e32 v[22:23], v[26:27], v[22:23]
.LBB71_2315:
	s_mov_b32 s13, 0
	s_mov_b32 s14, -1
.LBB71_2316:
	s_and_not1_b32 vcc_lo, exec_lo, s13
	s_mov_b32 s13, 0
	s_cbranch_vccnz .LBB71_2327
; %bb.2317:
	s_cmp_gt_i32 s6, 14
	s_cbranch_scc0 .LBB71_2320
; %bb.2318:
	s_cmp_eq_u32 s6, 15
	s_cbranch_scc0 .LBB71_2323
; %bb.2319:
	global_load_u16 v1, v[24:25], off
	s_mov_b32 s12, 0
	s_mov_b32 s14, -1
	s_wait_loadcnt 0x0
	v_lshlrev_b32_e32 v1, 16, v1
	s_delay_alu instid0(VALU_DEP_1) | instskip(NEXT) | instid1(VALU_DEP_1)
	v_trunc_f32_e32 v1, v1
	v_mul_f32_e64 v3, 0x2f800000, |v1|
	v_ashrrev_i32_e32 v22, 31, v1
	s_delay_alu instid0(VALU_DEP_2) | instskip(NEXT) | instid1(VALU_DEP_2)
	v_floor_f32_e32 v3, v3
	v_mov_b32_e32 v23, v22
	s_delay_alu instid0(VALU_DEP_2) | instskip(SKIP_1) | instid1(VALU_DEP_2)
	v_fma_f32 v5, 0xcf800000, v3, |v1|
	v_cvt_u32_f32_e32 v1, v3
	v_cvt_u32_f32_e32 v3, v5
	s_delay_alu instid0(VALU_DEP_2) | instskip(NEXT) | instid1(VALU_DEP_2)
	v_xor_b32_e32 v27, v1, v22
	v_xor_b32_e32 v26, v3, v22
	s_delay_alu instid0(VALU_DEP_1)
	v_sub_nc_u64_e32 v[22:23], v[26:27], v[22:23]
	s_branch .LBB71_2325
.LBB71_2320:
	s_mov_b32 s13, -1
	s_branch .LBB71_2324
.LBB71_2321:
	s_and_not1_saveexec_b32 s13, s13
	s_cbranch_execz .LBB71_2302
.LBB71_2322:
	v_cmp_ne_u16_e32 vcc_lo, 0, v1
	s_and_not1_b32 s14, s14, exec_lo
	s_and_b32 s15, vcc_lo, exec_lo
	s_delay_alu instid0(SALU_CYCLE_1)
	s_or_b32 s14, s14, s15
	s_or_b32 exec_lo, exec_lo, s13
	v_mov_b64_e32 v[22:23], 0
	s_and_saveexec_b32 s13, s14
	s_cbranch_execnz .LBB71_2303
	s_branch .LBB71_2304
.LBB71_2323:
	s_mov_b32 s12, -1
.LBB71_2324:
                                        ; implicit-def: $vgpr22_vgpr23
.LBB71_2325:
	s_and_b32 vcc_lo, exec_lo, s13
	s_mov_b32 s13, 0
	s_cbranch_vccz .LBB71_2327
; %bb.2326:
	s_cmp_lg_u32 s6, 11
	s_mov_b32 s13, -1
	s_cselect_b32 s12, -1, 0
.LBB71_2327:
	s_delay_alu instid0(SALU_CYCLE_1)
	s_and_b32 vcc_lo, exec_lo, s12
	s_cbranch_vccnz .LBB71_2392
; %bb.2328:
	s_and_not1_b32 vcc_lo, exec_lo, s13
	s_cbranch_vccnz .LBB71_2330
.LBB71_2329:
	global_load_u8 v1, v[24:25], off
	s_mov_b32 s12, 0
	s_mov_b32 s14, -1
	s_wait_loadcnt 0x1
	v_mov_b32_e32 v23, s12
	s_wait_loadcnt 0x0
	v_cmp_ne_u16_e32 vcc_lo, 0, v1
	v_cndmask_b32_e64 v22, 0, 1, vcc_lo
.LBB71_2330:
	s_mov_b32 s12, 0
.LBB71_2331:
	s_delay_alu instid0(SALU_CYCLE_1)
	s_and_b32 vcc_lo, exec_lo, s12
	s_cbranch_vccz .LBB71_2380
; %bb.2332:
	s_cmp_lt_i32 s6, 5
	s_cbranch_scc1 .LBB71_2337
; %bb.2333:
	s_cmp_lt_i32 s6, 8
	s_cbranch_scc1 .LBB71_2338
	;; [unrolled: 3-line block ×3, first 2 shown]
; %bb.2335:
	s_cmp_gt_i32 s6, 9
	s_cbranch_scc0 .LBB71_2340
; %bb.2336:
	s_wait_loadcnt 0x0
	global_load_b64 v[22:23], v[24:25], off
	s_mov_b32 s12, 0
	s_wait_loadcnt 0x0
	v_trunc_f64_e32 v[22:23], v[22:23]
	s_delay_alu instid0(VALU_DEP_1) | instskip(NEXT) | instid1(VALU_DEP_1)
	v_ldexp_f64 v[26:27], v[22:23], 0xffffffe0
	v_floor_f64_e32 v[26:27], v[26:27]
	s_delay_alu instid0(VALU_DEP_1) | instskip(SKIP_1) | instid1(VALU_DEP_2)
	v_fmamk_f64 v[28:29], v[26:27], 0xc1f00000, v[22:23]
	v_cvt_i32_f64_e32 v23, v[26:27]
	v_cvt_u32_f64_e32 v22, v[28:29]
	s_branch .LBB71_2341
.LBB71_2337:
	s_mov_b32 s12, -1
                                        ; implicit-def: $vgpr22_vgpr23
	s_branch .LBB71_2359
.LBB71_2338:
	s_mov_b32 s12, -1
                                        ; implicit-def: $vgpr22_vgpr23
	s_branch .LBB71_2347
.LBB71_2339:
	s_mov_b32 s12, -1
                                        ; implicit-def: $vgpr22_vgpr23
	s_branch .LBB71_2344
.LBB71_2340:
	s_mov_b32 s12, -1
                                        ; implicit-def: $vgpr22_vgpr23
.LBB71_2341:
	s_delay_alu instid0(SALU_CYCLE_1)
	s_and_not1_b32 vcc_lo, exec_lo, s12
	s_cbranch_vccnz .LBB71_2343
; %bb.2342:
	global_load_b32 v1, v[24:25], off
	s_wait_loadcnt 0x0
	v_trunc_f32_e32 v1, v1
	s_delay_alu instid0(VALU_DEP_1) | instskip(SKIP_1) | instid1(VALU_DEP_2)
	v_mul_f32_e64 v3, 0x2f800000, |v1|
	v_ashrrev_i32_e32 v22, 31, v1
	v_floor_f32_e32 v3, v3
	s_delay_alu instid0(VALU_DEP_1) | instskip(SKIP_1) | instid1(VALU_DEP_4)
	v_fma_f32 v5, 0xcf800000, v3, |v1|
	v_cvt_u32_f32_e32 v1, v3
	v_mov_b32_e32 v23, v22
	s_delay_alu instid0(VALU_DEP_3) | instskip(NEXT) | instid1(VALU_DEP_3)
	v_cvt_u32_f32_e32 v3, v5
	v_xor_b32_e32 v27, v1, v22
	s_delay_alu instid0(VALU_DEP_2) | instskip(NEXT) | instid1(VALU_DEP_1)
	v_xor_b32_e32 v26, v3, v22
	v_sub_nc_u64_e32 v[22:23], v[26:27], v[22:23]
.LBB71_2343:
	s_mov_b32 s12, 0
.LBB71_2344:
	s_delay_alu instid0(SALU_CYCLE_1)
	s_and_not1_b32 vcc_lo, exec_lo, s12
	s_cbranch_vccnz .LBB71_2346
; %bb.2345:
	global_load_b32 v1, v[24:25], off
	s_wait_loadcnt 0x0
	v_cvt_f32_f16_e32 v1, v1
	s_delay_alu instid0(VALU_DEP_1) | instskip(NEXT) | instid1(VALU_DEP_1)
	v_cvt_i32_f32_e32 v22, v1
	v_ashrrev_i32_e32 v23, 31, v22
.LBB71_2346:
	s_mov_b32 s12, 0
.LBB71_2347:
	s_delay_alu instid0(SALU_CYCLE_1)
	s_and_not1_b32 vcc_lo, exec_lo, s12
	s_cbranch_vccnz .LBB71_2358
; %bb.2348:
	s_cmp_lt_i32 s6, 6
	s_cbranch_scc1 .LBB71_2351
; %bb.2349:
	s_cmp_gt_i32 s6, 6
	s_cbranch_scc0 .LBB71_2352
; %bb.2350:
	s_wait_loadcnt 0x0
	global_load_b64 v[22:23], v[24:25], off
	s_mov_b32 s12, 0
	s_wait_loadcnt 0x0
	v_trunc_f64_e32 v[22:23], v[22:23]
	s_delay_alu instid0(VALU_DEP_1) | instskip(NEXT) | instid1(VALU_DEP_1)
	v_ldexp_f64 v[26:27], v[22:23], 0xffffffe0
	v_floor_f64_e32 v[26:27], v[26:27]
	s_delay_alu instid0(VALU_DEP_1) | instskip(SKIP_1) | instid1(VALU_DEP_2)
	v_fmamk_f64 v[28:29], v[26:27], 0xc1f00000, v[22:23]
	v_cvt_i32_f64_e32 v23, v[26:27]
	v_cvt_u32_f64_e32 v22, v[28:29]
	s_branch .LBB71_2353
.LBB71_2351:
	s_mov_b32 s12, -1
                                        ; implicit-def: $vgpr22_vgpr23
	s_branch .LBB71_2356
.LBB71_2352:
	s_mov_b32 s12, -1
                                        ; implicit-def: $vgpr22_vgpr23
.LBB71_2353:
	s_delay_alu instid0(SALU_CYCLE_1)
	s_and_not1_b32 vcc_lo, exec_lo, s12
	s_cbranch_vccnz .LBB71_2355
; %bb.2354:
	global_load_b32 v1, v[24:25], off
	s_wait_loadcnt 0x0
	v_trunc_f32_e32 v1, v1
	s_delay_alu instid0(VALU_DEP_1) | instskip(SKIP_1) | instid1(VALU_DEP_2)
	v_mul_f32_e64 v3, 0x2f800000, |v1|
	v_ashrrev_i32_e32 v22, 31, v1
	v_floor_f32_e32 v3, v3
	s_delay_alu instid0(VALU_DEP_1) | instskip(SKIP_1) | instid1(VALU_DEP_4)
	v_fma_f32 v5, 0xcf800000, v3, |v1|
	v_cvt_u32_f32_e32 v1, v3
	v_mov_b32_e32 v23, v22
	s_delay_alu instid0(VALU_DEP_3) | instskip(NEXT) | instid1(VALU_DEP_3)
	v_cvt_u32_f32_e32 v3, v5
	v_xor_b32_e32 v27, v1, v22
	s_delay_alu instid0(VALU_DEP_2) | instskip(NEXT) | instid1(VALU_DEP_1)
	v_xor_b32_e32 v26, v3, v22
	v_sub_nc_u64_e32 v[22:23], v[26:27], v[22:23]
.LBB71_2355:
	s_mov_b32 s12, 0
.LBB71_2356:
	s_delay_alu instid0(SALU_CYCLE_1)
	s_and_not1_b32 vcc_lo, exec_lo, s12
	s_cbranch_vccnz .LBB71_2358
; %bb.2357:
	global_load_u16 v1, v[24:25], off
	s_wait_loadcnt 0x0
	v_cvt_f32_f16_e32 v1, v1
	s_delay_alu instid0(VALU_DEP_1) | instskip(NEXT) | instid1(VALU_DEP_1)
	v_cvt_i32_f32_e32 v22, v1
	v_ashrrev_i32_e32 v23, 31, v22
.LBB71_2358:
	s_mov_b32 s12, 0
.LBB71_2359:
	s_delay_alu instid0(SALU_CYCLE_1)
	s_and_not1_b32 vcc_lo, exec_lo, s12
	s_cbranch_vccnz .LBB71_2379
; %bb.2360:
	s_cmp_lt_i32 s6, 2
	s_cbranch_scc1 .LBB71_2364
; %bb.2361:
	s_cmp_lt_i32 s6, 3
	s_cbranch_scc1 .LBB71_2365
; %bb.2362:
	s_cmp_gt_i32 s6, 3
	s_cbranch_scc0 .LBB71_2366
; %bb.2363:
	s_wait_loadcnt 0x0
	global_load_b64 v[22:23], v[24:25], off
	s_mov_b32 s12, 0
	s_branch .LBB71_2367
.LBB71_2364:
	s_mov_b32 s12, -1
                                        ; implicit-def: $vgpr22_vgpr23
	s_branch .LBB71_2373
.LBB71_2365:
	s_mov_b32 s12, -1
                                        ; implicit-def: $vgpr22_vgpr23
	s_branch .LBB71_2370
.LBB71_2366:
	s_mov_b32 s12, -1
                                        ; implicit-def: $vgpr22_vgpr23
.LBB71_2367:
	s_delay_alu instid0(SALU_CYCLE_1)
	s_and_not1_b32 vcc_lo, exec_lo, s12
	s_cbranch_vccnz .LBB71_2369
; %bb.2368:
	s_wait_loadcnt 0x0
	global_load_b32 v22, v[24:25], off
	s_wait_loadcnt 0x0
	v_ashrrev_i32_e32 v23, 31, v22
.LBB71_2369:
	s_mov_b32 s12, 0
.LBB71_2370:
	s_delay_alu instid0(SALU_CYCLE_1)
	s_and_not1_b32 vcc_lo, exec_lo, s12
	s_cbranch_vccnz .LBB71_2372
; %bb.2371:
	global_load_u16 v1, v[24:25], off
	s_wait_loadcnt 0x0
	v_bfe_i32 v22, v1, 0, 16
	s_delay_alu instid0(VALU_DEP_1)
	v_ashrrev_i32_e32 v23, 31, v22
.LBB71_2372:
	s_mov_b32 s12, 0
.LBB71_2373:
	s_delay_alu instid0(SALU_CYCLE_1)
	s_and_not1_b32 vcc_lo, exec_lo, s12
	s_cbranch_vccnz .LBB71_2379
; %bb.2374:
	s_cmp_gt_i32 s6, 0
	s_mov_b32 s12, 0
	s_cbranch_scc0 .LBB71_2376
; %bb.2375:
	global_load_i8 v1, v[24:25], off
	s_wait_loadcnt 0x0
	v_bfe_i32 v22, v1, 0, 16
	s_delay_alu instid0(VALU_DEP_1)
	v_ashrrev_i32_e32 v23, 31, v22
	s_branch .LBB71_2377
.LBB71_2376:
	s_mov_b32 s12, -1
                                        ; implicit-def: $vgpr22_vgpr23
.LBB71_2377:
	s_delay_alu instid0(SALU_CYCLE_1)
	s_and_not1_b32 vcc_lo, exec_lo, s12
	s_cbranch_vccnz .LBB71_2379
; %bb.2378:
	global_load_u8 v1, v[24:25], off
	s_mov_b32 s12, 0
	s_wait_loadcnt 0x1
	v_mov_b32_e32 v23, s12
	s_wait_loadcnt 0x0
	v_and_b32_e32 v22, 0xffff, v1
.LBB71_2379:
	s_mov_b32 s14, -1
.LBB71_2380:
	s_delay_alu instid0(SALU_CYCLE_1)
	s_and_not1_b32 vcc_lo, exec_lo, s14
	s_cbranch_vccnz .LBB71_3216
; %bb.2381:
	v_mov_b32_e32 v21, 0
	s_cmp_lt_i32 s10, 11
	s_wait_xcnt 0x0
	s_delay_alu instid0(VALU_DEP_1)
	v_add_nc_u64_e32 v[24:25], s[4:5], v[20:21]
	s_cbranch_scc1 .LBB71_2388
; %bb.2382:
	s_cmp_gt_i32 s10, 25
	s_mov_b32 s13, 0
	s_cbranch_scc0 .LBB71_2389
; %bb.2383:
	s_cmp_gt_i32 s10, 28
	s_cbranch_scc0 .LBB71_2390
; %bb.2384:
	s_cmp_gt_i32 s10, 43
	;; [unrolled: 3-line block ×3, first 2 shown]
	s_cbranch_scc0 .LBB71_2393
; %bb.2386:
	s_cmp_eq_u32 s10, 46
	s_mov_b32 s15, 0
	s_cbranch_scc0 .LBB71_2394
; %bb.2387:
	global_load_b32 v1, v[24:25], off
	s_mov_b32 s12, 0
	s_mov_b32 s14, -1
	s_wait_loadcnt 0x0
	v_lshlrev_b32_e32 v1, 16, v1
	s_delay_alu instid0(VALU_DEP_1) | instskip(NEXT) | instid1(VALU_DEP_1)
	v_trunc_f32_e32 v1, v1
	v_mul_f32_e64 v3, 0x2f800000, |v1|
	v_ashrrev_i32_e32 v20, 31, v1
	s_delay_alu instid0(VALU_DEP_2) | instskip(NEXT) | instid1(VALU_DEP_2)
	v_floor_f32_e32 v3, v3
	v_mov_b32_e32 v21, v20
	s_delay_alu instid0(VALU_DEP_2) | instskip(SKIP_1) | instid1(VALU_DEP_2)
	v_fma_f32 v5, 0xcf800000, v3, |v1|
	v_cvt_u32_f32_e32 v1, v3
	v_cvt_u32_f32_e32 v3, v5
	s_delay_alu instid0(VALU_DEP_2) | instskip(NEXT) | instid1(VALU_DEP_2)
	v_xor_b32_e32 v27, v1, v20
	v_xor_b32_e32 v26, v3, v20
	s_delay_alu instid0(VALU_DEP_1)
	v_sub_nc_u64_e32 v[20:21], v[26:27], v[20:21]
	s_branch .LBB71_2396
.LBB71_2388:
	s_mov_b32 s12, -1
	s_mov_b32 s14, 0
                                        ; implicit-def: $vgpr20_vgpr21
	s_branch .LBB71_2458
.LBB71_2389:
	s_mov_b32 s15, -1
	s_mov_b32 s14, 0
	s_mov_b32 s12, 0
                                        ; implicit-def: $vgpr20_vgpr21
	s_branch .LBB71_2423
.LBB71_2390:
	s_mov_b32 s15, -1
	s_mov_b32 s14, 0
	s_mov_b32 s12, 0
                                        ; implicit-def: $vgpr20_vgpr21
	s_branch .LBB71_2406
.LBB71_2391:
	s_mov_b32 s15, -1
	s_mov_b32 s14, 0
	s_mov_b32 s12, 0
                                        ; implicit-def: $vgpr20_vgpr21
	s_branch .LBB71_2401
.LBB71_2392:
	s_or_b32 s9, s9, exec_lo
	s_trap 2
	s_cbranch_execz .LBB71_2329
	s_branch .LBB71_2330
.LBB71_2393:
	s_mov_b32 s15, -1
	s_mov_b32 s14, 0
	s_mov_b32 s12, 0
	s_branch .LBB71_2395
.LBB71_2394:
	s_mov_b32 s12, -1
	s_mov_b32 s14, 0
.LBB71_2395:
                                        ; implicit-def: $vgpr20_vgpr21
.LBB71_2396:
	s_and_b32 vcc_lo, exec_lo, s15
	s_cbranch_vccz .LBB71_2400
; %bb.2397:
	s_cmp_eq_u32 s10, 44
	s_cbranch_scc0 .LBB71_2399
; %bb.2398:
	global_load_u8 v1, v[24:25], off
	s_mov_b32 s12, 0
	s_mov_b32 s14, -1
	s_wait_loadcnt 0x0
	v_lshlrev_b32_e32 v3, 23, v1
	v_cmp_ne_u32_e32 vcc_lo, 0, v1
	s_delay_alu instid0(VALU_DEP_2) | instskip(NEXT) | instid1(VALU_DEP_1)
	v_trunc_f32_e32 v3, v3
	v_mul_f32_e64 v5, 0x2f800000, |v3|
	v_ashrrev_i32_e32 v20, 31, v3
	s_delay_alu instid0(VALU_DEP_2) | instskip(NEXT) | instid1(VALU_DEP_2)
	v_floor_f32_e32 v5, v5
	v_mov_b32_e32 v21, v20
	s_delay_alu instid0(VALU_DEP_2) | instskip(SKIP_1) | instid1(VALU_DEP_2)
	v_fma_f32 v7, 0xcf800000, v5, |v3|
	v_cvt_u32_f32_e32 v3, v5
	v_cvt_u32_f32_e32 v5, v7
	s_delay_alu instid0(VALU_DEP_2) | instskip(NEXT) | instid1(VALU_DEP_2)
	v_xor_b32_e32 v27, v3, v20
	v_xor_b32_e32 v26, v5, v20
	s_delay_alu instid0(VALU_DEP_1) | instskip(NEXT) | instid1(VALU_DEP_1)
	v_sub_nc_u64_e32 v[20:21], v[26:27], v[20:21]
	v_dual_cndmask_b32 v21, 0, v21 :: v_dual_cndmask_b32 v20, 0, v20
	s_branch .LBB71_2400
.LBB71_2399:
	s_mov_b32 s12, -1
                                        ; implicit-def: $vgpr20_vgpr21
.LBB71_2400:
	s_mov_b32 s15, 0
.LBB71_2401:
	s_delay_alu instid0(SALU_CYCLE_1)
	s_and_b32 vcc_lo, exec_lo, s15
	s_cbranch_vccz .LBB71_2405
; %bb.2402:
	s_cmp_eq_u32 s10, 29
	s_cbranch_scc0 .LBB71_2404
; %bb.2403:
	global_load_b64 v[20:21], v[24:25], off
	s_mov_b32 s12, 0
	s_mov_b32 s14, -1
	s_branch .LBB71_2405
.LBB71_2404:
	s_mov_b32 s12, -1
                                        ; implicit-def: $vgpr20_vgpr21
.LBB71_2405:
	s_mov_b32 s15, 0
.LBB71_2406:
	s_delay_alu instid0(SALU_CYCLE_1)
	s_and_b32 vcc_lo, exec_lo, s15
	s_cbranch_vccz .LBB71_2422
; %bb.2407:
	s_cmp_lt_i32 s10, 27
	s_cbranch_scc1 .LBB71_2410
; %bb.2408:
	s_cmp_gt_i32 s10, 27
	s_cbranch_scc0 .LBB71_2411
; %bb.2409:
	s_wait_loadcnt 0x0
	global_load_b32 v20, v[24:25], off
	v_mov_b32_e32 v21, 0
	s_mov_b32 s14, 0
	s_branch .LBB71_2412
.LBB71_2410:
	s_mov_b32 s14, -1
                                        ; implicit-def: $vgpr20_vgpr21
	s_branch .LBB71_2415
.LBB71_2411:
	s_mov_b32 s14, -1
                                        ; implicit-def: $vgpr20_vgpr21
.LBB71_2412:
	s_delay_alu instid0(SALU_CYCLE_1)
	s_and_not1_b32 vcc_lo, exec_lo, s14
	s_cbranch_vccnz .LBB71_2414
; %bb.2413:
	global_load_u16 v1, v[24:25], off
	s_mov_b32 s14, 0
	s_wait_loadcnt 0x1
	v_mov_b32_e32 v21, s14
	s_wait_loadcnt 0x0
	v_and_b32_e32 v20, 0xffff, v1
.LBB71_2414:
	s_mov_b32 s14, 0
.LBB71_2415:
	s_delay_alu instid0(SALU_CYCLE_1)
	s_and_not1_b32 vcc_lo, exec_lo, s14
	s_cbranch_vccnz .LBB71_2421
; %bb.2416:
	global_load_u8 v1, v[24:25], off
	s_mov_b32 s15, 0
	s_mov_b32 s14, exec_lo
	s_wait_loadcnt 0x0
	v_cmpx_lt_i16_e32 0x7f, v1
	s_xor_b32 s14, exec_lo, s14
	s_cbranch_execz .LBB71_2433
; %bb.2417:
	v_cmp_ne_u16_e32 vcc_lo, 0x80, v1
	s_and_b32 s15, vcc_lo, exec_lo
	s_and_not1_saveexec_b32 s14, s14
	s_cbranch_execnz .LBB71_2434
.LBB71_2418:
	s_or_b32 exec_lo, exec_lo, s14
	v_mov_b64_e32 v[20:21], 0
	s_and_saveexec_b32 s14, s15
	s_cbranch_execz .LBB71_2420
.LBB71_2419:
	v_and_b32_e32 v3, 0xffff, v1
	s_delay_alu instid0(VALU_DEP_1) | instskip(SKIP_1) | instid1(VALU_DEP_2)
	v_dual_lshlrev_b32 v1, 24, v1 :: v_dual_bitop2_b32 v5, 7, v3 bitop3:0x40
	v_bfe_u32 v17, v3, 3, 4
	v_and_b32_e32 v1, 0x80000000, v1
	s_delay_alu instid0(VALU_DEP_3) | instskip(NEXT) | instid1(VALU_DEP_3)
	v_clz_i32_u32_e32 v7, v5
	v_cmp_eq_u32_e32 vcc_lo, 0, v17
	s_delay_alu instid0(VALU_DEP_2) | instskip(NEXT) | instid1(VALU_DEP_1)
	v_min_u32_e32 v7, 32, v7
	v_subrev_nc_u32_e32 v11, 28, v7
	v_sub_nc_u32_e32 v7, 29, v7
	s_delay_alu instid0(VALU_DEP_2) | instskip(NEXT) | instid1(VALU_DEP_2)
	v_lshlrev_b32_e32 v3, v11, v3
	v_cndmask_b32_e32 v7, v17, v7, vcc_lo
	s_delay_alu instid0(VALU_DEP_2) | instskip(NEXT) | instid1(VALU_DEP_1)
	v_and_b32_e32 v3, 7, v3
	v_cndmask_b32_e32 v3, v5, v3, vcc_lo
	s_delay_alu instid0(VALU_DEP_3) | instskip(NEXT) | instid1(VALU_DEP_2)
	v_lshl_add_u32 v5, v7, 23, 0x3b800000
	v_lshlrev_b32_e32 v3, 20, v3
	s_delay_alu instid0(VALU_DEP_1) | instskip(NEXT) | instid1(VALU_DEP_1)
	v_or3_b32 v1, v1, v5, v3
	v_trunc_f32_e32 v1, v1
	s_delay_alu instid0(VALU_DEP_1) | instskip(SKIP_1) | instid1(VALU_DEP_2)
	v_mul_f32_e64 v3, 0x2f800000, |v1|
	v_ashrrev_i32_e32 v20, 31, v1
	v_floor_f32_e32 v3, v3
	s_delay_alu instid0(VALU_DEP_2) | instskip(NEXT) | instid1(VALU_DEP_2)
	v_mov_b32_e32 v21, v20
	v_fma_f32 v5, 0xcf800000, v3, |v1|
	v_cvt_u32_f32_e32 v1, v3
	s_delay_alu instid0(VALU_DEP_2) | instskip(NEXT) | instid1(VALU_DEP_2)
	v_cvt_u32_f32_e32 v3, v5
	v_xor_b32_e32 v27, v1, v20
	s_delay_alu instid0(VALU_DEP_2) | instskip(NEXT) | instid1(VALU_DEP_1)
	v_xor_b32_e32 v26, v3, v20
	v_sub_nc_u64_e32 v[20:21], v[26:27], v[20:21]
.LBB71_2420:
	s_or_b32 exec_lo, exec_lo, s14
.LBB71_2421:
	s_mov_b32 s14, -1
.LBB71_2422:
	s_mov_b32 s15, 0
.LBB71_2423:
	s_delay_alu instid0(SALU_CYCLE_1)
	s_and_b32 vcc_lo, exec_lo, s15
	s_cbranch_vccz .LBB71_2454
; %bb.2424:
	s_cmp_gt_i32 s10, 22
	s_cbranch_scc0 .LBB71_2432
; %bb.2425:
	s_cmp_lt_i32 s10, 24
	s_cbranch_scc1 .LBB71_2435
; %bb.2426:
	s_cmp_gt_i32 s10, 24
	s_cbranch_scc0 .LBB71_2436
; %bb.2427:
	global_load_u8 v1, v[24:25], off
	s_mov_b32 s14, 0
	s_mov_b32 s13, exec_lo
	s_wait_loadcnt 0x0
	v_cmpx_lt_i16_e32 0x7f, v1
	s_xor_b32 s13, exec_lo, s13
	s_cbranch_execz .LBB71_2448
; %bb.2428:
	v_cmp_ne_u16_e32 vcc_lo, 0x80, v1
	s_and_b32 s14, vcc_lo, exec_lo
	s_and_not1_saveexec_b32 s13, s13
	s_cbranch_execnz .LBB71_2449
.LBB71_2429:
	s_or_b32 exec_lo, exec_lo, s13
	v_mov_b64_e32 v[20:21], 0
	s_and_saveexec_b32 s13, s14
	s_cbranch_execz .LBB71_2431
.LBB71_2430:
	v_and_b32_e32 v3, 0xffff, v1
	s_delay_alu instid0(VALU_DEP_1) | instskip(SKIP_1) | instid1(VALU_DEP_2)
	v_dual_lshlrev_b32 v1, 24, v1 :: v_dual_bitop2_b32 v5, 3, v3 bitop3:0x40
	v_bfe_u32 v17, v3, 2, 5
	v_and_b32_e32 v1, 0x80000000, v1
	s_delay_alu instid0(VALU_DEP_3) | instskip(NEXT) | instid1(VALU_DEP_3)
	v_clz_i32_u32_e32 v7, v5
	v_cmp_eq_u32_e32 vcc_lo, 0, v17
	s_delay_alu instid0(VALU_DEP_2) | instskip(NEXT) | instid1(VALU_DEP_1)
	v_min_u32_e32 v7, 32, v7
	v_subrev_nc_u32_e32 v11, 29, v7
	v_sub_nc_u32_e32 v7, 30, v7
	s_delay_alu instid0(VALU_DEP_2) | instskip(NEXT) | instid1(VALU_DEP_2)
	v_lshlrev_b32_e32 v3, v11, v3
	v_cndmask_b32_e32 v7, v17, v7, vcc_lo
	s_delay_alu instid0(VALU_DEP_2) | instskip(NEXT) | instid1(VALU_DEP_1)
	v_and_b32_e32 v3, 3, v3
	v_cndmask_b32_e32 v3, v5, v3, vcc_lo
	s_delay_alu instid0(VALU_DEP_3) | instskip(NEXT) | instid1(VALU_DEP_2)
	v_lshl_add_u32 v5, v7, 23, 0x37800000
	v_lshlrev_b32_e32 v3, 21, v3
	s_delay_alu instid0(VALU_DEP_1) | instskip(NEXT) | instid1(VALU_DEP_1)
	v_or3_b32 v1, v1, v5, v3
	v_trunc_f32_e32 v1, v1
	s_delay_alu instid0(VALU_DEP_1) | instskip(SKIP_1) | instid1(VALU_DEP_2)
	v_mul_f32_e64 v3, 0x2f800000, |v1|
	v_ashrrev_i32_e32 v20, 31, v1
	v_floor_f32_e32 v3, v3
	s_delay_alu instid0(VALU_DEP_2) | instskip(NEXT) | instid1(VALU_DEP_2)
	v_mov_b32_e32 v21, v20
	v_fma_f32 v5, 0xcf800000, v3, |v1|
	v_cvt_u32_f32_e32 v1, v3
	s_delay_alu instid0(VALU_DEP_2) | instskip(NEXT) | instid1(VALU_DEP_2)
	v_cvt_u32_f32_e32 v3, v5
	v_xor_b32_e32 v27, v1, v20
	s_delay_alu instid0(VALU_DEP_2) | instskip(NEXT) | instid1(VALU_DEP_1)
	v_xor_b32_e32 v26, v3, v20
	v_sub_nc_u64_e32 v[20:21], v[26:27], v[20:21]
.LBB71_2431:
	s_or_b32 exec_lo, exec_lo, s13
	s_mov_b32 s13, 0
	s_branch .LBB71_2437
.LBB71_2432:
	s_mov_b32 s13, -1
                                        ; implicit-def: $vgpr20_vgpr21
	s_branch .LBB71_2443
.LBB71_2433:
	s_and_not1_saveexec_b32 s14, s14
	s_cbranch_execz .LBB71_2418
.LBB71_2434:
	v_cmp_ne_u16_e32 vcc_lo, 0, v1
	s_and_not1_b32 s15, s15, exec_lo
	s_and_b32 s16, vcc_lo, exec_lo
	s_delay_alu instid0(SALU_CYCLE_1)
	s_or_b32 s15, s15, s16
	s_or_b32 exec_lo, exec_lo, s14
	v_mov_b64_e32 v[20:21], 0
	s_and_saveexec_b32 s14, s15
	s_cbranch_execnz .LBB71_2419
	s_branch .LBB71_2420
.LBB71_2435:
	s_mov_b32 s13, -1
                                        ; implicit-def: $vgpr20_vgpr21
	s_branch .LBB71_2440
.LBB71_2436:
	s_mov_b32 s13, -1
                                        ; implicit-def: $vgpr20_vgpr21
.LBB71_2437:
	s_delay_alu instid0(SALU_CYCLE_1)
	s_and_b32 vcc_lo, exec_lo, s13
	s_cbranch_vccz .LBB71_2439
; %bb.2438:
	global_load_u8 v1, v[24:25], off
	s_wait_loadcnt 0x0
	v_lshlrev_b32_e32 v1, 24, v1
	s_delay_alu instid0(VALU_DEP_1) | instskip(NEXT) | instid1(VALU_DEP_1)
	v_and_b32_e32 v3, 0x7f000000, v1
	v_clz_i32_u32_e32 v5, v3
	v_add_nc_u32_e32 v11, 0x1000000, v3
	v_cmp_ne_u32_e32 vcc_lo, 0, v3
	s_delay_alu instid0(VALU_DEP_3) | instskip(NEXT) | instid1(VALU_DEP_1)
	v_min_u32_e32 v5, 32, v5
	v_sub_nc_u32_e64 v5, v5, 4 clamp
	s_delay_alu instid0(VALU_DEP_1) | instskip(NEXT) | instid1(VALU_DEP_1)
	v_dual_lshlrev_b32 v7, v5, v3 :: v_dual_lshlrev_b32 v5, 23, v5
	v_lshrrev_b32_e32 v7, 4, v7
	s_delay_alu instid0(VALU_DEP_1) | instskip(NEXT) | instid1(VALU_DEP_1)
	v_dual_sub_nc_u32 v5, v7, v5 :: v_dual_ashrrev_i32 v7, 8, v11
	v_add_nc_u32_e32 v5, 0x3c000000, v5
	s_delay_alu instid0(VALU_DEP_1) | instskip(NEXT) | instid1(VALU_DEP_1)
	v_and_or_b32 v5, 0x7f800000, v7, v5
	v_cndmask_b32_e32 v3, 0, v5, vcc_lo
	s_delay_alu instid0(VALU_DEP_1) | instskip(NEXT) | instid1(VALU_DEP_1)
	v_and_or_b32 v1, 0x80000000, v1, v3
	v_trunc_f32_e32 v1, v1
	s_delay_alu instid0(VALU_DEP_1) | instskip(SKIP_1) | instid1(VALU_DEP_2)
	v_mul_f32_e64 v3, 0x2f800000, |v1|
	v_ashrrev_i32_e32 v20, 31, v1
	v_floor_f32_e32 v3, v3
	s_delay_alu instid0(VALU_DEP_2) | instskip(NEXT) | instid1(VALU_DEP_2)
	v_mov_b32_e32 v21, v20
	v_fma_f32 v5, 0xcf800000, v3, |v1|
	v_cvt_u32_f32_e32 v1, v3
	s_delay_alu instid0(VALU_DEP_2) | instskip(NEXT) | instid1(VALU_DEP_2)
	v_cvt_u32_f32_e32 v3, v5
	v_xor_b32_e32 v27, v1, v20
	s_delay_alu instid0(VALU_DEP_2) | instskip(NEXT) | instid1(VALU_DEP_1)
	v_xor_b32_e32 v26, v3, v20
	v_sub_nc_u64_e32 v[20:21], v[26:27], v[20:21]
.LBB71_2439:
	s_mov_b32 s13, 0
.LBB71_2440:
	s_delay_alu instid0(SALU_CYCLE_1)
	s_and_not1_b32 vcc_lo, exec_lo, s13
	s_cbranch_vccnz .LBB71_2442
; %bb.2441:
	global_load_u8 v1, v[24:25], off
	s_wait_loadcnt 0x0
	v_lshlrev_b32_e32 v3, 25, v1
	v_lshlrev_b16 v1, 8, v1
	s_delay_alu instid0(VALU_DEP_1) | instskip(SKIP_1) | instid1(VALU_DEP_2)
	v_and_or_b32 v7, 0x7f00, v1, 0.5
	v_bfe_i32 v1, v1, 0, 16
	v_add_f32_e32 v7, -0.5, v7
	v_lshrrev_b32_e32 v5, 4, v3
	v_cmp_gt_u32_e32 vcc_lo, 0x8000000, v3
	s_delay_alu instid0(VALU_DEP_2) | instskip(NEXT) | instid1(VALU_DEP_1)
	v_or_b32_e32 v5, 0x70000000, v5
	v_mul_f32_e32 v5, 0x7800000, v5
	s_delay_alu instid0(VALU_DEP_1) | instskip(NEXT) | instid1(VALU_DEP_1)
	v_cndmask_b32_e32 v3, v5, v7, vcc_lo
	v_and_or_b32 v1, 0x80000000, v1, v3
	s_delay_alu instid0(VALU_DEP_1) | instskip(NEXT) | instid1(VALU_DEP_1)
	v_trunc_f32_e32 v1, v1
	v_mul_f32_e64 v3, 0x2f800000, |v1|
	v_ashrrev_i32_e32 v20, 31, v1
	s_delay_alu instid0(VALU_DEP_2) | instskip(NEXT) | instid1(VALU_DEP_2)
	v_floor_f32_e32 v3, v3
	v_mov_b32_e32 v21, v20
	s_delay_alu instid0(VALU_DEP_2) | instskip(SKIP_1) | instid1(VALU_DEP_2)
	v_fma_f32 v5, 0xcf800000, v3, |v1|
	v_cvt_u32_f32_e32 v1, v3
	v_cvt_u32_f32_e32 v3, v5
	s_delay_alu instid0(VALU_DEP_2) | instskip(NEXT) | instid1(VALU_DEP_2)
	v_xor_b32_e32 v27, v1, v20
	v_xor_b32_e32 v26, v3, v20
	s_delay_alu instid0(VALU_DEP_1)
	v_sub_nc_u64_e32 v[20:21], v[26:27], v[20:21]
.LBB71_2442:
	s_mov_b32 s13, 0
	s_mov_b32 s14, -1
.LBB71_2443:
	s_and_not1_b32 vcc_lo, exec_lo, s13
	s_mov_b32 s13, 0
	s_cbranch_vccnz .LBB71_2454
; %bb.2444:
	s_cmp_gt_i32 s10, 14
	s_cbranch_scc0 .LBB71_2447
; %bb.2445:
	s_cmp_eq_u32 s10, 15
	s_cbranch_scc0 .LBB71_2450
; %bb.2446:
	global_load_u16 v1, v[24:25], off
	s_mov_b32 s12, 0
	s_mov_b32 s14, -1
	s_wait_loadcnt 0x0
	v_lshlrev_b32_e32 v1, 16, v1
	s_delay_alu instid0(VALU_DEP_1) | instskip(NEXT) | instid1(VALU_DEP_1)
	v_trunc_f32_e32 v1, v1
	v_mul_f32_e64 v3, 0x2f800000, |v1|
	v_ashrrev_i32_e32 v20, 31, v1
	s_delay_alu instid0(VALU_DEP_2) | instskip(NEXT) | instid1(VALU_DEP_2)
	v_floor_f32_e32 v3, v3
	v_mov_b32_e32 v21, v20
	s_delay_alu instid0(VALU_DEP_2) | instskip(SKIP_1) | instid1(VALU_DEP_2)
	v_fma_f32 v5, 0xcf800000, v3, |v1|
	v_cvt_u32_f32_e32 v1, v3
	v_cvt_u32_f32_e32 v3, v5
	s_delay_alu instid0(VALU_DEP_2) | instskip(NEXT) | instid1(VALU_DEP_2)
	v_xor_b32_e32 v27, v1, v20
	v_xor_b32_e32 v26, v3, v20
	s_delay_alu instid0(VALU_DEP_1)
	v_sub_nc_u64_e32 v[20:21], v[26:27], v[20:21]
	s_branch .LBB71_2452
.LBB71_2447:
	s_mov_b32 s13, -1
	s_branch .LBB71_2451
.LBB71_2448:
	s_and_not1_saveexec_b32 s13, s13
	s_cbranch_execz .LBB71_2429
.LBB71_2449:
	v_cmp_ne_u16_e32 vcc_lo, 0, v1
	s_and_not1_b32 s14, s14, exec_lo
	s_and_b32 s15, vcc_lo, exec_lo
	s_delay_alu instid0(SALU_CYCLE_1)
	s_or_b32 s14, s14, s15
	s_or_b32 exec_lo, exec_lo, s13
	v_mov_b64_e32 v[20:21], 0
	s_and_saveexec_b32 s13, s14
	s_cbranch_execnz .LBB71_2430
	s_branch .LBB71_2431
.LBB71_2450:
	s_mov_b32 s12, -1
.LBB71_2451:
                                        ; implicit-def: $vgpr20_vgpr21
.LBB71_2452:
	s_and_b32 vcc_lo, exec_lo, s13
	s_mov_b32 s13, 0
	s_cbranch_vccz .LBB71_2454
; %bb.2453:
	s_cmp_lg_u32 s10, 11
	s_mov_b32 s13, -1
	s_cselect_b32 s12, -1, 0
.LBB71_2454:
	s_delay_alu instid0(SALU_CYCLE_1)
	s_and_b32 vcc_lo, exec_lo, s12
	s_cbranch_vccnz .LBB71_2538
; %bb.2455:
	s_and_not1_b32 vcc_lo, exec_lo, s13
	s_cbranch_vccnz .LBB71_2457
.LBB71_2456:
	global_load_u8 v1, v[24:25], off
	s_mov_b32 s12, 0
	s_mov_b32 s14, -1
	s_wait_loadcnt 0x1
	v_mov_b32_e32 v21, s12
	s_wait_loadcnt 0x0
	v_cmp_ne_u16_e32 vcc_lo, 0, v1
	v_cndmask_b32_e64 v20, 0, 1, vcc_lo
.LBB71_2457:
	s_mov_b32 s12, 0
.LBB71_2458:
	s_delay_alu instid0(SALU_CYCLE_1)
	s_and_b32 vcc_lo, exec_lo, s12
	s_cbranch_vccz .LBB71_2507
; %bb.2459:
	s_cmp_lt_i32 s10, 5
	s_cbranch_scc1 .LBB71_2464
; %bb.2460:
	s_cmp_lt_i32 s10, 8
	s_cbranch_scc1 .LBB71_2465
	;; [unrolled: 3-line block ×3, first 2 shown]
; %bb.2462:
	s_cmp_gt_i32 s10, 9
	s_cbranch_scc0 .LBB71_2467
; %bb.2463:
	s_wait_loadcnt 0x0
	global_load_b64 v[20:21], v[24:25], off
	s_mov_b32 s12, 0
	s_wait_loadcnt 0x0
	v_trunc_f64_e32 v[20:21], v[20:21]
	s_delay_alu instid0(VALU_DEP_1) | instskip(NEXT) | instid1(VALU_DEP_1)
	v_ldexp_f64 v[26:27], v[20:21], 0xffffffe0
	v_floor_f64_e32 v[26:27], v[26:27]
	s_delay_alu instid0(VALU_DEP_1) | instskip(SKIP_1) | instid1(VALU_DEP_2)
	v_fmamk_f64 v[28:29], v[26:27], 0xc1f00000, v[20:21]
	v_cvt_i32_f64_e32 v21, v[26:27]
	v_cvt_u32_f64_e32 v20, v[28:29]
	s_branch .LBB71_2468
.LBB71_2464:
	s_mov_b32 s12, -1
                                        ; implicit-def: $vgpr20_vgpr21
	s_branch .LBB71_2486
.LBB71_2465:
	s_mov_b32 s12, -1
                                        ; implicit-def: $vgpr20_vgpr21
	s_branch .LBB71_2474
.LBB71_2466:
	s_mov_b32 s12, -1
                                        ; implicit-def: $vgpr20_vgpr21
	s_branch .LBB71_2471
.LBB71_2467:
	s_mov_b32 s12, -1
                                        ; implicit-def: $vgpr20_vgpr21
.LBB71_2468:
	s_delay_alu instid0(SALU_CYCLE_1)
	s_and_not1_b32 vcc_lo, exec_lo, s12
	s_cbranch_vccnz .LBB71_2470
; %bb.2469:
	global_load_b32 v1, v[24:25], off
	s_wait_loadcnt 0x0
	v_trunc_f32_e32 v1, v1
	s_delay_alu instid0(VALU_DEP_1) | instskip(SKIP_1) | instid1(VALU_DEP_2)
	v_mul_f32_e64 v3, 0x2f800000, |v1|
	v_ashrrev_i32_e32 v20, 31, v1
	v_floor_f32_e32 v3, v3
	s_delay_alu instid0(VALU_DEP_1) | instskip(SKIP_1) | instid1(VALU_DEP_4)
	v_fma_f32 v5, 0xcf800000, v3, |v1|
	v_cvt_u32_f32_e32 v1, v3
	v_mov_b32_e32 v21, v20
	s_delay_alu instid0(VALU_DEP_3) | instskip(NEXT) | instid1(VALU_DEP_3)
	v_cvt_u32_f32_e32 v3, v5
	v_xor_b32_e32 v27, v1, v20
	s_delay_alu instid0(VALU_DEP_2) | instskip(NEXT) | instid1(VALU_DEP_1)
	v_xor_b32_e32 v26, v3, v20
	v_sub_nc_u64_e32 v[20:21], v[26:27], v[20:21]
.LBB71_2470:
	s_mov_b32 s12, 0
.LBB71_2471:
	s_delay_alu instid0(SALU_CYCLE_1)
	s_and_not1_b32 vcc_lo, exec_lo, s12
	s_cbranch_vccnz .LBB71_2473
; %bb.2472:
	global_load_b32 v1, v[24:25], off
	s_wait_loadcnt 0x0
	v_cvt_f32_f16_e32 v1, v1
	s_delay_alu instid0(VALU_DEP_1) | instskip(NEXT) | instid1(VALU_DEP_1)
	v_cvt_i32_f32_e32 v20, v1
	v_ashrrev_i32_e32 v21, 31, v20
.LBB71_2473:
	s_mov_b32 s12, 0
.LBB71_2474:
	s_delay_alu instid0(SALU_CYCLE_1)
	s_and_not1_b32 vcc_lo, exec_lo, s12
	s_cbranch_vccnz .LBB71_2485
; %bb.2475:
	s_cmp_lt_i32 s10, 6
	s_cbranch_scc1 .LBB71_2478
; %bb.2476:
	s_cmp_gt_i32 s10, 6
	s_cbranch_scc0 .LBB71_2479
; %bb.2477:
	s_wait_loadcnt 0x0
	global_load_b64 v[20:21], v[24:25], off
	s_mov_b32 s12, 0
	s_wait_loadcnt 0x0
	v_trunc_f64_e32 v[20:21], v[20:21]
	s_delay_alu instid0(VALU_DEP_1) | instskip(NEXT) | instid1(VALU_DEP_1)
	v_ldexp_f64 v[26:27], v[20:21], 0xffffffe0
	v_floor_f64_e32 v[26:27], v[26:27]
	s_delay_alu instid0(VALU_DEP_1) | instskip(SKIP_1) | instid1(VALU_DEP_2)
	v_fmamk_f64 v[28:29], v[26:27], 0xc1f00000, v[20:21]
	v_cvt_i32_f64_e32 v21, v[26:27]
	v_cvt_u32_f64_e32 v20, v[28:29]
	s_branch .LBB71_2480
.LBB71_2478:
	s_mov_b32 s12, -1
                                        ; implicit-def: $vgpr20_vgpr21
	s_branch .LBB71_2483
.LBB71_2479:
	s_mov_b32 s12, -1
                                        ; implicit-def: $vgpr20_vgpr21
.LBB71_2480:
	s_delay_alu instid0(SALU_CYCLE_1)
	s_and_not1_b32 vcc_lo, exec_lo, s12
	s_cbranch_vccnz .LBB71_2482
; %bb.2481:
	global_load_b32 v1, v[24:25], off
	s_wait_loadcnt 0x0
	v_trunc_f32_e32 v1, v1
	s_delay_alu instid0(VALU_DEP_1) | instskip(SKIP_1) | instid1(VALU_DEP_2)
	v_mul_f32_e64 v3, 0x2f800000, |v1|
	v_ashrrev_i32_e32 v20, 31, v1
	v_floor_f32_e32 v3, v3
	s_delay_alu instid0(VALU_DEP_1) | instskip(SKIP_1) | instid1(VALU_DEP_4)
	v_fma_f32 v5, 0xcf800000, v3, |v1|
	v_cvt_u32_f32_e32 v1, v3
	v_mov_b32_e32 v21, v20
	s_delay_alu instid0(VALU_DEP_3) | instskip(NEXT) | instid1(VALU_DEP_3)
	v_cvt_u32_f32_e32 v3, v5
	v_xor_b32_e32 v27, v1, v20
	s_delay_alu instid0(VALU_DEP_2) | instskip(NEXT) | instid1(VALU_DEP_1)
	v_xor_b32_e32 v26, v3, v20
	v_sub_nc_u64_e32 v[20:21], v[26:27], v[20:21]
.LBB71_2482:
	s_mov_b32 s12, 0
.LBB71_2483:
	s_delay_alu instid0(SALU_CYCLE_1)
	s_and_not1_b32 vcc_lo, exec_lo, s12
	s_cbranch_vccnz .LBB71_2485
; %bb.2484:
	global_load_u16 v1, v[24:25], off
	s_wait_loadcnt 0x0
	v_cvt_f32_f16_e32 v1, v1
	s_delay_alu instid0(VALU_DEP_1) | instskip(NEXT) | instid1(VALU_DEP_1)
	v_cvt_i32_f32_e32 v20, v1
	v_ashrrev_i32_e32 v21, 31, v20
.LBB71_2485:
	s_mov_b32 s12, 0
.LBB71_2486:
	s_delay_alu instid0(SALU_CYCLE_1)
	s_and_not1_b32 vcc_lo, exec_lo, s12
	s_cbranch_vccnz .LBB71_2506
; %bb.2487:
	s_cmp_lt_i32 s10, 2
	s_cbranch_scc1 .LBB71_2491
; %bb.2488:
	s_cmp_lt_i32 s10, 3
	s_cbranch_scc1 .LBB71_2492
; %bb.2489:
	s_cmp_gt_i32 s10, 3
	s_cbranch_scc0 .LBB71_2493
; %bb.2490:
	s_wait_loadcnt 0x0
	global_load_b64 v[20:21], v[24:25], off
	s_mov_b32 s12, 0
	s_branch .LBB71_2494
.LBB71_2491:
	s_mov_b32 s12, -1
                                        ; implicit-def: $vgpr20_vgpr21
	s_branch .LBB71_2500
.LBB71_2492:
	s_mov_b32 s12, -1
                                        ; implicit-def: $vgpr20_vgpr21
	s_branch .LBB71_2497
.LBB71_2493:
	s_mov_b32 s12, -1
                                        ; implicit-def: $vgpr20_vgpr21
.LBB71_2494:
	s_delay_alu instid0(SALU_CYCLE_1)
	s_and_not1_b32 vcc_lo, exec_lo, s12
	s_cbranch_vccnz .LBB71_2496
; %bb.2495:
	s_wait_loadcnt 0x0
	global_load_b32 v20, v[24:25], off
	s_wait_loadcnt 0x0
	v_ashrrev_i32_e32 v21, 31, v20
.LBB71_2496:
	s_mov_b32 s12, 0
.LBB71_2497:
	s_delay_alu instid0(SALU_CYCLE_1)
	s_and_not1_b32 vcc_lo, exec_lo, s12
	s_cbranch_vccnz .LBB71_2499
; %bb.2498:
	global_load_u16 v1, v[24:25], off
	s_wait_loadcnt 0x0
	v_bfe_i32 v20, v1, 0, 16
	s_delay_alu instid0(VALU_DEP_1)
	v_ashrrev_i32_e32 v21, 31, v20
.LBB71_2499:
	s_mov_b32 s12, 0
.LBB71_2500:
	s_delay_alu instid0(SALU_CYCLE_1)
	s_and_not1_b32 vcc_lo, exec_lo, s12
	s_cbranch_vccnz .LBB71_2506
; %bb.2501:
	s_cmp_gt_i32 s10, 0
	s_mov_b32 s12, 0
	s_cbranch_scc0 .LBB71_2503
; %bb.2502:
	global_load_i8 v1, v[24:25], off
	s_wait_loadcnt 0x0
	v_bfe_i32 v20, v1, 0, 16
	s_delay_alu instid0(VALU_DEP_1)
	v_ashrrev_i32_e32 v21, 31, v20
	s_branch .LBB71_2504
.LBB71_2503:
	s_mov_b32 s12, -1
                                        ; implicit-def: $vgpr20_vgpr21
.LBB71_2504:
	s_delay_alu instid0(SALU_CYCLE_1)
	s_and_not1_b32 vcc_lo, exec_lo, s12
	s_cbranch_vccnz .LBB71_2506
; %bb.2505:
	global_load_u8 v1, v[24:25], off
	s_mov_b32 s12, 0
	s_wait_loadcnt 0x1
	v_mov_b32_e32 v21, s12
	s_wait_loadcnt 0x0
	v_and_b32_e32 v20, 0xffff, v1
.LBB71_2506:
	s_mov_b32 s14, -1
.LBB71_2507:
	s_delay_alu instid0(SALU_CYCLE_1)
	s_and_not1_b32 vcc_lo, exec_lo, s14
	s_cbranch_vccnz .LBB71_3216
; %bb.2508:
	s_cmp_lt_i32 s11, 23
	s_cbranch_scc1 .LBB71_2512
; %bb.2509:
	s_cmp_gt_i32 s11, 43
	s_cbranch_scc0 .LBB71_2513
; %bb.2510:
	s_cmp_gt_i32 s11, 45
	s_cbranch_scc0 .LBB71_2514
; %bb.2511:
	s_cmp_lg_u32 s11, 46
	s_mov_b32 s14, 0
	s_mov_b32 s12, -1
	s_cselect_b32 s13, -1, 0
	s_branch .LBB71_2515
.LBB71_2512:
	s_mov_b32 s14, -1
	s_mov_b32 s12, 0
	s_mov_b32 s13, 0
	s_branch .LBB71_2521
.LBB71_2513:
	s_mov_b32 s14, -1
	s_mov_b32 s12, 0
	s_mov_b32 s13, 0
	s_branch .LBB71_2518
.LBB71_2514:
	s_mov_b32 s14, -1
	s_mov_b32 s12, 0
	s_mov_b32 s13, 0
.LBB71_2515:
	s_and_not1_b32 vcc_lo, exec_lo, s14
	s_cbranch_vccnz .LBB71_2517
; %bb.2516:
	s_cmp_eq_u32 s11, 44
	s_cselect_b32 s12, -1, 0
	s_cmp_lg_u32 s11, 44
	s_cselect_b32 s13, -1, 0
.LBB71_2517:
	s_mov_b32 s14, 0
.LBB71_2518:
	s_delay_alu instid0(SALU_CYCLE_1)
	s_and_b32 vcc_lo, exec_lo, s14
	s_cbranch_vccz .LBB71_2520
; %bb.2519:
	s_cmp_lt_i32 s11, 30
	s_cselect_b32 s12, -1, 0
	s_cmp_gt_i32 s11, 29
	s_cselect_b32 s13, -1, 0
.LBB71_2520:
	s_mov_b32 s14, 0
.LBB71_2521:
	s_delay_alu instid0(SALU_CYCLE_1)
	s_and_b32 vcc_lo, exec_lo, s14
	s_cbranch_vccz .LBB71_2526
; %bb.2522:
	s_cmp_gt_i32 s11, 14
	s_mov_b32 s14, -1
	s_cbranch_scc0 .LBB71_2524
; %bb.2523:
	s_cmp_eq_u32 s11, 15
	s_mov_b32 s14, 0
	s_cselect_b32 s12, -1, 0
	s_cmp_lg_u32 s11, 15
	s_cselect_b32 s13, -1, 0
.LBB71_2524:
	s_and_not1_b32 vcc_lo, exec_lo, s14
	s_cbranch_vccnz .LBB71_2526
; %bb.2525:
	s_cmp_lt_i32 s11, 12
	s_cselect_b32 s12, -1, 0
	s_cmp_gt_i32 s11, 11
	s_cselect_b32 s13, -1, 0
.LBB71_2526:
	s_delay_alu instid0(SALU_CYCLE_1)
	s_and_b32 vcc_lo, exec_lo, s13
	s_cbranch_vccnz .LBB71_2539
; %bb.2527:
	s_and_not1_b32 vcc_lo, exec_lo, s12
	s_cbranch_vccnz .LBB71_3216
.LBB71_2528:
	v_mov_b32_e32 v17, 0
	s_cmp_lt_i32 s6, 11
	s_wait_xcnt 0x0
	s_delay_alu instid0(VALU_DEP_1)
	v_add_nc_u64_e32 v[24:25], s[0:1], v[16:17]
	s_cbranch_scc1 .LBB71_2535
; %bb.2529:
	s_cmp_gt_i32 s6, 25
	s_mov_b32 s1, 0
	s_cbranch_scc0 .LBB71_2536
; %bb.2530:
	s_cmp_gt_i32 s6, 28
	s_cbranch_scc0 .LBB71_2537
; %bb.2531:
	s_cmp_gt_i32 s6, 43
	;; [unrolled: 3-line block ×3, first 2 shown]
	s_cbranch_scc0 .LBB71_2541
; %bb.2533:
	s_cmp_eq_u32 s6, 46
	s_mov_b32 s12, 0
	s_cbranch_scc0 .LBB71_2542
; %bb.2534:
	global_load_b32 v1, v[24:25], off
	s_mov_b32 s0, 0
	s_mov_b32 s11, -1
	s_wait_loadcnt 0x0
	v_lshlrev_b32_e32 v1, 16, v1
	s_delay_alu instid0(VALU_DEP_1) | instskip(NEXT) | instid1(VALU_DEP_1)
	v_trunc_f32_e32 v1, v1
	v_mul_f32_e64 v3, 0x2f800000, |v1|
	v_ashrrev_i32_e32 v16, 31, v1
	s_delay_alu instid0(VALU_DEP_2) | instskip(NEXT) | instid1(VALU_DEP_2)
	v_floor_f32_e32 v3, v3
	v_mov_b32_e32 v17, v16
	s_delay_alu instid0(VALU_DEP_2) | instskip(SKIP_1) | instid1(VALU_DEP_2)
	v_fma_f32 v5, 0xcf800000, v3, |v1|
	v_cvt_u32_f32_e32 v1, v3
	v_cvt_u32_f32_e32 v3, v5
	s_delay_alu instid0(VALU_DEP_2) | instskip(NEXT) | instid1(VALU_DEP_2)
	v_xor_b32_e32 v27, v1, v16
	v_xor_b32_e32 v26, v3, v16
	s_delay_alu instid0(VALU_DEP_1)
	v_sub_nc_u64_e32 v[16:17], v[26:27], v[16:17]
	s_branch .LBB71_2544
.LBB71_2535:
	s_mov_b32 s0, -1
	s_mov_b32 s11, 0
                                        ; implicit-def: $vgpr16_vgpr17
	s_branch .LBB71_2606
.LBB71_2536:
	s_mov_b32 s12, -1
	s_mov_b32 s11, 0
	s_mov_b32 s0, 0
                                        ; implicit-def: $vgpr16_vgpr17
	s_branch .LBB71_2571
.LBB71_2537:
	s_mov_b32 s12, -1
	s_mov_b32 s11, 0
	s_mov_b32 s0, 0
                                        ; implicit-def: $vgpr16_vgpr17
	s_branch .LBB71_2554
.LBB71_2538:
	s_or_b32 s9, s9, exec_lo
	s_trap 2
	s_cbranch_execz .LBB71_2456
	s_branch .LBB71_2457
.LBB71_2539:
	s_or_b32 s9, s9, exec_lo
	s_trap 2
	s_cbranch_execz .LBB71_2528
	s_branch .LBB71_3216
.LBB71_2540:
	s_mov_b32 s12, -1
	s_mov_b32 s11, 0
	s_mov_b32 s0, 0
                                        ; implicit-def: $vgpr16_vgpr17
	s_branch .LBB71_2549
.LBB71_2541:
	s_mov_b32 s12, -1
	s_mov_b32 s11, 0
	s_mov_b32 s0, 0
	s_branch .LBB71_2543
.LBB71_2542:
	s_mov_b32 s0, -1
	s_mov_b32 s11, 0
.LBB71_2543:
                                        ; implicit-def: $vgpr16_vgpr17
.LBB71_2544:
	s_and_b32 vcc_lo, exec_lo, s12
	s_cbranch_vccz .LBB71_2548
; %bb.2545:
	s_cmp_eq_u32 s6, 44
	s_cbranch_scc0 .LBB71_2547
; %bb.2546:
	global_load_u8 v1, v[24:25], off
	s_mov_b32 s0, 0
	s_mov_b32 s11, -1
	s_wait_loadcnt 0x0
	v_lshlrev_b32_e32 v3, 23, v1
	v_cmp_ne_u32_e32 vcc_lo, 0, v1
	s_delay_alu instid0(VALU_DEP_2) | instskip(NEXT) | instid1(VALU_DEP_1)
	v_trunc_f32_e32 v3, v3
	v_mul_f32_e64 v5, 0x2f800000, |v3|
	v_ashrrev_i32_e32 v16, 31, v3
	s_delay_alu instid0(VALU_DEP_2) | instskip(NEXT) | instid1(VALU_DEP_2)
	v_floor_f32_e32 v5, v5
	v_mov_b32_e32 v17, v16
	s_delay_alu instid0(VALU_DEP_2) | instskip(SKIP_1) | instid1(VALU_DEP_2)
	v_fma_f32 v7, 0xcf800000, v5, |v3|
	v_cvt_u32_f32_e32 v3, v5
	v_cvt_u32_f32_e32 v5, v7
	s_delay_alu instid0(VALU_DEP_2) | instskip(NEXT) | instid1(VALU_DEP_2)
	v_xor_b32_e32 v27, v3, v16
	v_xor_b32_e32 v26, v5, v16
	s_delay_alu instid0(VALU_DEP_1) | instskip(NEXT) | instid1(VALU_DEP_1)
	v_sub_nc_u64_e32 v[16:17], v[26:27], v[16:17]
	v_dual_cndmask_b32 v17, 0, v17 :: v_dual_cndmask_b32 v16, 0, v16
	s_branch .LBB71_2548
.LBB71_2547:
	s_mov_b32 s0, -1
                                        ; implicit-def: $vgpr16_vgpr17
.LBB71_2548:
	s_mov_b32 s12, 0
.LBB71_2549:
	s_delay_alu instid0(SALU_CYCLE_1)
	s_and_b32 vcc_lo, exec_lo, s12
	s_cbranch_vccz .LBB71_2553
; %bb.2550:
	s_cmp_eq_u32 s6, 29
	s_cbranch_scc0 .LBB71_2552
; %bb.2551:
	global_load_b64 v[16:17], v[24:25], off
	s_mov_b32 s0, 0
	s_mov_b32 s11, -1
	s_branch .LBB71_2553
.LBB71_2552:
	s_mov_b32 s0, -1
                                        ; implicit-def: $vgpr16_vgpr17
.LBB71_2553:
	s_mov_b32 s12, 0
.LBB71_2554:
	s_delay_alu instid0(SALU_CYCLE_1)
	s_and_b32 vcc_lo, exec_lo, s12
	s_cbranch_vccz .LBB71_2570
; %bb.2555:
	s_cmp_lt_i32 s6, 27
	s_cbranch_scc1 .LBB71_2558
; %bb.2556:
	s_cmp_gt_i32 s6, 27
	s_cbranch_scc0 .LBB71_2559
; %bb.2557:
	s_wait_loadcnt 0x0
	global_load_b32 v16, v[24:25], off
	v_mov_b32_e32 v17, 0
	s_mov_b32 s11, 0
	s_branch .LBB71_2560
.LBB71_2558:
	s_mov_b32 s11, -1
                                        ; implicit-def: $vgpr16_vgpr17
	s_branch .LBB71_2563
.LBB71_2559:
	s_mov_b32 s11, -1
                                        ; implicit-def: $vgpr16_vgpr17
.LBB71_2560:
	s_delay_alu instid0(SALU_CYCLE_1)
	s_and_not1_b32 vcc_lo, exec_lo, s11
	s_cbranch_vccnz .LBB71_2562
; %bb.2561:
	global_load_u16 v1, v[24:25], off
	s_mov_b32 s11, 0
	s_wait_loadcnt 0x1
	v_mov_b32_e32 v17, s11
	s_wait_loadcnt 0x0
	v_and_b32_e32 v16, 0xffff, v1
.LBB71_2562:
	s_mov_b32 s11, 0
.LBB71_2563:
	s_delay_alu instid0(SALU_CYCLE_1)
	s_and_not1_b32 vcc_lo, exec_lo, s11
	s_cbranch_vccnz .LBB71_2569
; %bb.2564:
	global_load_u8 v1, v[24:25], off
	s_mov_b32 s12, 0
	s_mov_b32 s11, exec_lo
	s_wait_loadcnt 0x0
	v_cmpx_lt_i16_e32 0x7f, v1
	s_xor_b32 s11, exec_lo, s11
	s_cbranch_execz .LBB71_2581
; %bb.2565:
	v_cmp_ne_u16_e32 vcc_lo, 0x80, v1
	s_and_b32 s12, vcc_lo, exec_lo
	s_and_not1_saveexec_b32 s11, s11
	s_cbranch_execnz .LBB71_2582
.LBB71_2566:
	s_or_b32 exec_lo, exec_lo, s11
	v_mov_b64_e32 v[16:17], 0
	s_and_saveexec_b32 s11, s12
	s_cbranch_execz .LBB71_2568
.LBB71_2567:
	v_and_b32_e32 v3, 0xffff, v1
	s_delay_alu instid0(VALU_DEP_1) | instskip(SKIP_1) | instid1(VALU_DEP_2)
	v_dual_lshlrev_b32 v1, 24, v1 :: v_dual_bitop2_b32 v5, 7, v3 bitop3:0x40
	v_bfe_u32 v16, v3, 3, 4
	v_and_b32_e32 v1, 0x80000000, v1
	s_delay_alu instid0(VALU_DEP_3) | instskip(NEXT) | instid1(VALU_DEP_3)
	v_clz_i32_u32_e32 v7, v5
	v_cmp_eq_u32_e32 vcc_lo, 0, v16
	s_delay_alu instid0(VALU_DEP_2) | instskip(NEXT) | instid1(VALU_DEP_1)
	v_min_u32_e32 v7, 32, v7
	v_subrev_nc_u32_e32 v11, 28, v7
	v_sub_nc_u32_e32 v7, 29, v7
	s_delay_alu instid0(VALU_DEP_2) | instskip(NEXT) | instid1(VALU_DEP_2)
	v_lshlrev_b32_e32 v3, v11, v3
	v_cndmask_b32_e32 v7, v16, v7, vcc_lo
	s_delay_alu instid0(VALU_DEP_2) | instskip(NEXT) | instid1(VALU_DEP_1)
	v_and_b32_e32 v3, 7, v3
	v_cndmask_b32_e32 v3, v5, v3, vcc_lo
	s_delay_alu instid0(VALU_DEP_3) | instskip(NEXT) | instid1(VALU_DEP_2)
	v_lshl_add_u32 v5, v7, 23, 0x3b800000
	v_lshlrev_b32_e32 v3, 20, v3
	s_delay_alu instid0(VALU_DEP_1) | instskip(NEXT) | instid1(VALU_DEP_1)
	v_or3_b32 v1, v1, v5, v3
	v_trunc_f32_e32 v1, v1
	s_delay_alu instid0(VALU_DEP_1) | instskip(SKIP_1) | instid1(VALU_DEP_2)
	v_mul_f32_e64 v3, 0x2f800000, |v1|
	v_ashrrev_i32_e32 v16, 31, v1
	v_floor_f32_e32 v3, v3
	s_delay_alu instid0(VALU_DEP_2) | instskip(NEXT) | instid1(VALU_DEP_2)
	v_mov_b32_e32 v17, v16
	v_fma_f32 v5, 0xcf800000, v3, |v1|
	v_cvt_u32_f32_e32 v1, v3
	s_delay_alu instid0(VALU_DEP_2) | instskip(NEXT) | instid1(VALU_DEP_2)
	v_cvt_u32_f32_e32 v3, v5
	v_xor_b32_e32 v27, v1, v16
	s_delay_alu instid0(VALU_DEP_2) | instskip(NEXT) | instid1(VALU_DEP_1)
	v_xor_b32_e32 v26, v3, v16
	v_sub_nc_u64_e32 v[16:17], v[26:27], v[16:17]
.LBB71_2568:
	s_or_b32 exec_lo, exec_lo, s11
.LBB71_2569:
	s_mov_b32 s11, -1
.LBB71_2570:
	s_mov_b32 s12, 0
.LBB71_2571:
	s_delay_alu instid0(SALU_CYCLE_1)
	s_and_b32 vcc_lo, exec_lo, s12
	s_cbranch_vccz .LBB71_2602
; %bb.2572:
	s_cmp_gt_i32 s6, 22
	s_cbranch_scc0 .LBB71_2580
; %bb.2573:
	s_cmp_lt_i32 s6, 24
	s_cbranch_scc1 .LBB71_2583
; %bb.2574:
	s_cmp_gt_i32 s6, 24
	s_cbranch_scc0 .LBB71_2584
; %bb.2575:
	global_load_u8 v1, v[24:25], off
	s_mov_b32 s11, 0
	s_mov_b32 s1, exec_lo
	s_wait_loadcnt 0x0
	v_cmpx_lt_i16_e32 0x7f, v1
	s_xor_b32 s1, exec_lo, s1
	s_cbranch_execz .LBB71_2596
; %bb.2576:
	v_cmp_ne_u16_e32 vcc_lo, 0x80, v1
	s_and_b32 s11, vcc_lo, exec_lo
	s_and_not1_saveexec_b32 s1, s1
	s_cbranch_execnz .LBB71_2597
.LBB71_2577:
	s_or_b32 exec_lo, exec_lo, s1
	v_mov_b64_e32 v[16:17], 0
	s_and_saveexec_b32 s1, s11
	s_cbranch_execz .LBB71_2579
.LBB71_2578:
	v_and_b32_e32 v3, 0xffff, v1
	s_delay_alu instid0(VALU_DEP_1) | instskip(SKIP_1) | instid1(VALU_DEP_2)
	v_dual_lshlrev_b32 v1, 24, v1 :: v_dual_bitop2_b32 v5, 3, v3 bitop3:0x40
	v_bfe_u32 v16, v3, 2, 5
	v_and_b32_e32 v1, 0x80000000, v1
	s_delay_alu instid0(VALU_DEP_3) | instskip(NEXT) | instid1(VALU_DEP_3)
	v_clz_i32_u32_e32 v7, v5
	v_cmp_eq_u32_e32 vcc_lo, 0, v16
	s_delay_alu instid0(VALU_DEP_2) | instskip(NEXT) | instid1(VALU_DEP_1)
	v_min_u32_e32 v7, 32, v7
	v_subrev_nc_u32_e32 v11, 29, v7
	v_sub_nc_u32_e32 v7, 30, v7
	s_delay_alu instid0(VALU_DEP_2) | instskip(NEXT) | instid1(VALU_DEP_2)
	v_lshlrev_b32_e32 v3, v11, v3
	v_cndmask_b32_e32 v7, v16, v7, vcc_lo
	s_delay_alu instid0(VALU_DEP_2) | instskip(NEXT) | instid1(VALU_DEP_1)
	v_and_b32_e32 v3, 3, v3
	v_cndmask_b32_e32 v3, v5, v3, vcc_lo
	s_delay_alu instid0(VALU_DEP_3) | instskip(NEXT) | instid1(VALU_DEP_2)
	v_lshl_add_u32 v5, v7, 23, 0x37800000
	v_lshlrev_b32_e32 v3, 21, v3
	s_delay_alu instid0(VALU_DEP_1) | instskip(NEXT) | instid1(VALU_DEP_1)
	v_or3_b32 v1, v1, v5, v3
	v_trunc_f32_e32 v1, v1
	s_delay_alu instid0(VALU_DEP_1) | instskip(SKIP_1) | instid1(VALU_DEP_2)
	v_mul_f32_e64 v3, 0x2f800000, |v1|
	v_ashrrev_i32_e32 v16, 31, v1
	v_floor_f32_e32 v3, v3
	s_delay_alu instid0(VALU_DEP_2) | instskip(NEXT) | instid1(VALU_DEP_2)
	v_mov_b32_e32 v17, v16
	v_fma_f32 v5, 0xcf800000, v3, |v1|
	v_cvt_u32_f32_e32 v1, v3
	s_delay_alu instid0(VALU_DEP_2) | instskip(NEXT) | instid1(VALU_DEP_2)
	v_cvt_u32_f32_e32 v3, v5
	v_xor_b32_e32 v27, v1, v16
	s_delay_alu instid0(VALU_DEP_2) | instskip(NEXT) | instid1(VALU_DEP_1)
	v_xor_b32_e32 v26, v3, v16
	v_sub_nc_u64_e32 v[16:17], v[26:27], v[16:17]
.LBB71_2579:
	s_or_b32 exec_lo, exec_lo, s1
	s_mov_b32 s1, 0
	s_branch .LBB71_2585
.LBB71_2580:
	s_mov_b32 s1, -1
                                        ; implicit-def: $vgpr16_vgpr17
	s_branch .LBB71_2591
.LBB71_2581:
	s_and_not1_saveexec_b32 s11, s11
	s_cbranch_execz .LBB71_2566
.LBB71_2582:
	v_cmp_ne_u16_e32 vcc_lo, 0, v1
	s_and_not1_b32 s12, s12, exec_lo
	s_and_b32 s13, vcc_lo, exec_lo
	s_delay_alu instid0(SALU_CYCLE_1)
	s_or_b32 s12, s12, s13
	s_or_b32 exec_lo, exec_lo, s11
	v_mov_b64_e32 v[16:17], 0
	s_and_saveexec_b32 s11, s12
	s_cbranch_execnz .LBB71_2567
	s_branch .LBB71_2568
.LBB71_2583:
	s_mov_b32 s1, -1
                                        ; implicit-def: $vgpr16_vgpr17
	s_branch .LBB71_2588
.LBB71_2584:
	s_mov_b32 s1, -1
                                        ; implicit-def: $vgpr16_vgpr17
.LBB71_2585:
	s_delay_alu instid0(SALU_CYCLE_1)
	s_and_b32 vcc_lo, exec_lo, s1
	s_cbranch_vccz .LBB71_2587
; %bb.2586:
	global_load_u8 v1, v[24:25], off
	s_wait_loadcnt 0x0
	v_lshlrev_b32_e32 v1, 24, v1
	s_delay_alu instid0(VALU_DEP_1) | instskip(NEXT) | instid1(VALU_DEP_1)
	v_and_b32_e32 v3, 0x7f000000, v1
	v_clz_i32_u32_e32 v5, v3
	v_add_nc_u32_e32 v11, 0x1000000, v3
	v_cmp_ne_u32_e32 vcc_lo, 0, v3
	s_delay_alu instid0(VALU_DEP_3) | instskip(NEXT) | instid1(VALU_DEP_1)
	v_min_u32_e32 v5, 32, v5
	v_sub_nc_u32_e64 v5, v5, 4 clamp
	s_delay_alu instid0(VALU_DEP_1) | instskip(NEXT) | instid1(VALU_DEP_1)
	v_dual_lshlrev_b32 v7, v5, v3 :: v_dual_lshlrev_b32 v5, 23, v5
	v_lshrrev_b32_e32 v7, 4, v7
	s_delay_alu instid0(VALU_DEP_1) | instskip(NEXT) | instid1(VALU_DEP_1)
	v_dual_sub_nc_u32 v5, v7, v5 :: v_dual_ashrrev_i32 v7, 8, v11
	v_add_nc_u32_e32 v5, 0x3c000000, v5
	s_delay_alu instid0(VALU_DEP_1) | instskip(NEXT) | instid1(VALU_DEP_1)
	v_and_or_b32 v5, 0x7f800000, v7, v5
	v_cndmask_b32_e32 v3, 0, v5, vcc_lo
	s_delay_alu instid0(VALU_DEP_1) | instskip(NEXT) | instid1(VALU_DEP_1)
	v_and_or_b32 v1, 0x80000000, v1, v3
	v_trunc_f32_e32 v1, v1
	s_delay_alu instid0(VALU_DEP_1) | instskip(SKIP_1) | instid1(VALU_DEP_2)
	v_mul_f32_e64 v3, 0x2f800000, |v1|
	v_ashrrev_i32_e32 v16, 31, v1
	v_floor_f32_e32 v3, v3
	s_delay_alu instid0(VALU_DEP_2) | instskip(NEXT) | instid1(VALU_DEP_2)
	v_mov_b32_e32 v17, v16
	v_fma_f32 v5, 0xcf800000, v3, |v1|
	v_cvt_u32_f32_e32 v1, v3
	s_delay_alu instid0(VALU_DEP_2) | instskip(NEXT) | instid1(VALU_DEP_2)
	v_cvt_u32_f32_e32 v3, v5
	v_xor_b32_e32 v27, v1, v16
	s_delay_alu instid0(VALU_DEP_2) | instskip(NEXT) | instid1(VALU_DEP_1)
	v_xor_b32_e32 v26, v3, v16
	v_sub_nc_u64_e32 v[16:17], v[26:27], v[16:17]
.LBB71_2587:
	s_mov_b32 s1, 0
.LBB71_2588:
	s_delay_alu instid0(SALU_CYCLE_1)
	s_and_not1_b32 vcc_lo, exec_lo, s1
	s_cbranch_vccnz .LBB71_2590
; %bb.2589:
	global_load_u8 v1, v[24:25], off
	s_wait_loadcnt 0x0
	v_lshlrev_b32_e32 v3, 25, v1
	v_lshlrev_b16 v1, 8, v1
	s_delay_alu instid0(VALU_DEP_1) | instskip(SKIP_1) | instid1(VALU_DEP_2)
	v_and_or_b32 v7, 0x7f00, v1, 0.5
	v_bfe_i32 v1, v1, 0, 16
	v_add_f32_e32 v7, -0.5, v7
	v_lshrrev_b32_e32 v5, 4, v3
	v_cmp_gt_u32_e32 vcc_lo, 0x8000000, v3
	s_delay_alu instid0(VALU_DEP_2) | instskip(NEXT) | instid1(VALU_DEP_1)
	v_or_b32_e32 v5, 0x70000000, v5
	v_mul_f32_e32 v5, 0x7800000, v5
	s_delay_alu instid0(VALU_DEP_1) | instskip(NEXT) | instid1(VALU_DEP_1)
	v_cndmask_b32_e32 v3, v5, v7, vcc_lo
	v_and_or_b32 v1, 0x80000000, v1, v3
	s_delay_alu instid0(VALU_DEP_1) | instskip(NEXT) | instid1(VALU_DEP_1)
	v_trunc_f32_e32 v1, v1
	v_mul_f32_e64 v3, 0x2f800000, |v1|
	v_ashrrev_i32_e32 v16, 31, v1
	s_delay_alu instid0(VALU_DEP_2) | instskip(NEXT) | instid1(VALU_DEP_2)
	v_floor_f32_e32 v3, v3
	v_mov_b32_e32 v17, v16
	s_delay_alu instid0(VALU_DEP_2) | instskip(SKIP_1) | instid1(VALU_DEP_2)
	v_fma_f32 v5, 0xcf800000, v3, |v1|
	v_cvt_u32_f32_e32 v1, v3
	v_cvt_u32_f32_e32 v3, v5
	s_delay_alu instid0(VALU_DEP_2) | instskip(NEXT) | instid1(VALU_DEP_2)
	v_xor_b32_e32 v27, v1, v16
	v_xor_b32_e32 v26, v3, v16
	s_delay_alu instid0(VALU_DEP_1)
	v_sub_nc_u64_e32 v[16:17], v[26:27], v[16:17]
.LBB71_2590:
	s_mov_b32 s1, 0
	s_mov_b32 s11, -1
.LBB71_2591:
	s_and_not1_b32 vcc_lo, exec_lo, s1
	s_mov_b32 s1, 0
	s_cbranch_vccnz .LBB71_2602
; %bb.2592:
	s_cmp_gt_i32 s6, 14
	s_cbranch_scc0 .LBB71_2595
; %bb.2593:
	s_cmp_eq_u32 s6, 15
	s_cbranch_scc0 .LBB71_2598
; %bb.2594:
	global_load_u16 v1, v[24:25], off
	s_mov_b32 s0, 0
	s_mov_b32 s11, -1
	s_wait_loadcnt 0x0
	v_lshlrev_b32_e32 v1, 16, v1
	s_delay_alu instid0(VALU_DEP_1) | instskip(NEXT) | instid1(VALU_DEP_1)
	v_trunc_f32_e32 v1, v1
	v_mul_f32_e64 v3, 0x2f800000, |v1|
	v_ashrrev_i32_e32 v16, 31, v1
	s_delay_alu instid0(VALU_DEP_2) | instskip(NEXT) | instid1(VALU_DEP_2)
	v_floor_f32_e32 v3, v3
	v_mov_b32_e32 v17, v16
	s_delay_alu instid0(VALU_DEP_2) | instskip(SKIP_1) | instid1(VALU_DEP_2)
	v_fma_f32 v5, 0xcf800000, v3, |v1|
	v_cvt_u32_f32_e32 v1, v3
	v_cvt_u32_f32_e32 v3, v5
	s_delay_alu instid0(VALU_DEP_2) | instskip(NEXT) | instid1(VALU_DEP_2)
	v_xor_b32_e32 v27, v1, v16
	v_xor_b32_e32 v26, v3, v16
	s_delay_alu instid0(VALU_DEP_1)
	v_sub_nc_u64_e32 v[16:17], v[26:27], v[16:17]
	s_branch .LBB71_2600
.LBB71_2595:
	s_mov_b32 s1, -1
	s_branch .LBB71_2599
.LBB71_2596:
	s_and_not1_saveexec_b32 s1, s1
	s_cbranch_execz .LBB71_2577
.LBB71_2597:
	v_cmp_ne_u16_e32 vcc_lo, 0, v1
	s_and_not1_b32 s11, s11, exec_lo
	s_and_b32 s12, vcc_lo, exec_lo
	s_delay_alu instid0(SALU_CYCLE_1)
	s_or_b32 s11, s11, s12
	s_or_b32 exec_lo, exec_lo, s1
	v_mov_b64_e32 v[16:17], 0
	s_and_saveexec_b32 s1, s11
	s_cbranch_execnz .LBB71_2578
	s_branch .LBB71_2579
.LBB71_2598:
	s_mov_b32 s0, -1
.LBB71_2599:
                                        ; implicit-def: $vgpr16_vgpr17
.LBB71_2600:
	s_and_b32 vcc_lo, exec_lo, s1
	s_mov_b32 s1, 0
	s_cbranch_vccz .LBB71_2602
; %bb.2601:
	s_cmp_lg_u32 s6, 11
	s_mov_b32 s1, -1
	s_cselect_b32 s0, -1, 0
.LBB71_2602:
	s_delay_alu instid0(SALU_CYCLE_1)
	s_and_b32 vcc_lo, exec_lo, s0
	s_cbranch_vccnz .LBB71_2667
; %bb.2603:
	s_and_not1_b32 vcc_lo, exec_lo, s1
	s_cbranch_vccnz .LBB71_2605
.LBB71_2604:
	global_load_u8 v1, v[24:25], off
	s_mov_b32 s0, 0
	s_mov_b32 s11, -1
	s_wait_loadcnt 0x1
	v_mov_b32_e32 v17, s0
	s_wait_loadcnt 0x0
	v_cmp_ne_u16_e32 vcc_lo, 0, v1
	v_cndmask_b32_e64 v16, 0, 1, vcc_lo
.LBB71_2605:
	s_mov_b32 s0, 0
.LBB71_2606:
	s_delay_alu instid0(SALU_CYCLE_1)
	s_and_b32 vcc_lo, exec_lo, s0
	s_cbranch_vccz .LBB71_2655
; %bb.2607:
	s_cmp_lt_i32 s6, 5
	s_cbranch_scc1 .LBB71_2612
; %bb.2608:
	s_cmp_lt_i32 s6, 8
	s_cbranch_scc1 .LBB71_2613
	;; [unrolled: 3-line block ×3, first 2 shown]
; %bb.2610:
	s_cmp_gt_i32 s6, 9
	s_cbranch_scc0 .LBB71_2615
; %bb.2611:
	s_wait_loadcnt 0x0
	global_load_b64 v[16:17], v[24:25], off
	s_mov_b32 s0, 0
	s_wait_loadcnt 0x0
	v_trunc_f64_e32 v[16:17], v[16:17]
	s_delay_alu instid0(VALU_DEP_1) | instskip(NEXT) | instid1(VALU_DEP_1)
	v_ldexp_f64 v[26:27], v[16:17], 0xffffffe0
	v_floor_f64_e32 v[26:27], v[26:27]
	s_delay_alu instid0(VALU_DEP_1) | instskip(SKIP_1) | instid1(VALU_DEP_2)
	v_fmamk_f64 v[28:29], v[26:27], 0xc1f00000, v[16:17]
	v_cvt_i32_f64_e32 v17, v[26:27]
	v_cvt_u32_f64_e32 v16, v[28:29]
	s_branch .LBB71_2616
.LBB71_2612:
	s_mov_b32 s0, -1
                                        ; implicit-def: $vgpr16_vgpr17
	s_branch .LBB71_2634
.LBB71_2613:
	s_mov_b32 s0, -1
                                        ; implicit-def: $vgpr16_vgpr17
	s_branch .LBB71_2622
.LBB71_2614:
	s_mov_b32 s0, -1
                                        ; implicit-def: $vgpr16_vgpr17
	s_branch .LBB71_2619
.LBB71_2615:
	s_mov_b32 s0, -1
                                        ; implicit-def: $vgpr16_vgpr17
.LBB71_2616:
	s_delay_alu instid0(SALU_CYCLE_1)
	s_and_not1_b32 vcc_lo, exec_lo, s0
	s_cbranch_vccnz .LBB71_2618
; %bb.2617:
	global_load_b32 v1, v[24:25], off
	s_wait_loadcnt 0x0
	v_trunc_f32_e32 v1, v1
	s_delay_alu instid0(VALU_DEP_1) | instskip(SKIP_1) | instid1(VALU_DEP_2)
	v_mul_f32_e64 v3, 0x2f800000, |v1|
	v_ashrrev_i32_e32 v16, 31, v1
	v_floor_f32_e32 v3, v3
	s_delay_alu instid0(VALU_DEP_1) | instskip(SKIP_1) | instid1(VALU_DEP_4)
	v_fma_f32 v5, 0xcf800000, v3, |v1|
	v_cvt_u32_f32_e32 v1, v3
	v_mov_b32_e32 v17, v16
	s_delay_alu instid0(VALU_DEP_3) | instskip(NEXT) | instid1(VALU_DEP_3)
	v_cvt_u32_f32_e32 v3, v5
	v_xor_b32_e32 v27, v1, v16
	s_delay_alu instid0(VALU_DEP_2) | instskip(NEXT) | instid1(VALU_DEP_1)
	v_xor_b32_e32 v26, v3, v16
	v_sub_nc_u64_e32 v[16:17], v[26:27], v[16:17]
.LBB71_2618:
	s_mov_b32 s0, 0
.LBB71_2619:
	s_delay_alu instid0(SALU_CYCLE_1)
	s_and_not1_b32 vcc_lo, exec_lo, s0
	s_cbranch_vccnz .LBB71_2621
; %bb.2620:
	global_load_b32 v1, v[24:25], off
	s_wait_loadcnt 0x0
	v_cvt_f32_f16_e32 v1, v1
	s_delay_alu instid0(VALU_DEP_1) | instskip(NEXT) | instid1(VALU_DEP_1)
	v_cvt_i32_f32_e32 v16, v1
	v_ashrrev_i32_e32 v17, 31, v16
.LBB71_2621:
	s_mov_b32 s0, 0
.LBB71_2622:
	s_delay_alu instid0(SALU_CYCLE_1)
	s_and_not1_b32 vcc_lo, exec_lo, s0
	s_cbranch_vccnz .LBB71_2633
; %bb.2623:
	s_cmp_lt_i32 s6, 6
	s_cbranch_scc1 .LBB71_2626
; %bb.2624:
	s_cmp_gt_i32 s6, 6
	s_cbranch_scc0 .LBB71_2627
; %bb.2625:
	s_wait_loadcnt 0x0
	global_load_b64 v[16:17], v[24:25], off
	s_mov_b32 s0, 0
	s_wait_loadcnt 0x0
	v_trunc_f64_e32 v[16:17], v[16:17]
	s_delay_alu instid0(VALU_DEP_1) | instskip(NEXT) | instid1(VALU_DEP_1)
	v_ldexp_f64 v[26:27], v[16:17], 0xffffffe0
	v_floor_f64_e32 v[26:27], v[26:27]
	s_delay_alu instid0(VALU_DEP_1) | instskip(SKIP_1) | instid1(VALU_DEP_2)
	v_fmamk_f64 v[28:29], v[26:27], 0xc1f00000, v[16:17]
	v_cvt_i32_f64_e32 v17, v[26:27]
	v_cvt_u32_f64_e32 v16, v[28:29]
	s_branch .LBB71_2628
.LBB71_2626:
	s_mov_b32 s0, -1
                                        ; implicit-def: $vgpr16_vgpr17
	s_branch .LBB71_2631
.LBB71_2627:
	s_mov_b32 s0, -1
                                        ; implicit-def: $vgpr16_vgpr17
.LBB71_2628:
	s_delay_alu instid0(SALU_CYCLE_1)
	s_and_not1_b32 vcc_lo, exec_lo, s0
	s_cbranch_vccnz .LBB71_2630
; %bb.2629:
	global_load_b32 v1, v[24:25], off
	s_wait_loadcnt 0x0
	v_trunc_f32_e32 v1, v1
	s_delay_alu instid0(VALU_DEP_1) | instskip(SKIP_1) | instid1(VALU_DEP_2)
	v_mul_f32_e64 v3, 0x2f800000, |v1|
	v_ashrrev_i32_e32 v16, 31, v1
	v_floor_f32_e32 v3, v3
	s_delay_alu instid0(VALU_DEP_1) | instskip(SKIP_1) | instid1(VALU_DEP_4)
	v_fma_f32 v5, 0xcf800000, v3, |v1|
	v_cvt_u32_f32_e32 v1, v3
	v_mov_b32_e32 v17, v16
	s_delay_alu instid0(VALU_DEP_3) | instskip(NEXT) | instid1(VALU_DEP_3)
	v_cvt_u32_f32_e32 v3, v5
	v_xor_b32_e32 v27, v1, v16
	s_delay_alu instid0(VALU_DEP_2) | instskip(NEXT) | instid1(VALU_DEP_1)
	v_xor_b32_e32 v26, v3, v16
	v_sub_nc_u64_e32 v[16:17], v[26:27], v[16:17]
.LBB71_2630:
	s_mov_b32 s0, 0
.LBB71_2631:
	s_delay_alu instid0(SALU_CYCLE_1)
	s_and_not1_b32 vcc_lo, exec_lo, s0
	s_cbranch_vccnz .LBB71_2633
; %bb.2632:
	global_load_u16 v1, v[24:25], off
	s_wait_loadcnt 0x0
	v_cvt_f32_f16_e32 v1, v1
	s_delay_alu instid0(VALU_DEP_1) | instskip(NEXT) | instid1(VALU_DEP_1)
	v_cvt_i32_f32_e32 v16, v1
	v_ashrrev_i32_e32 v17, 31, v16
.LBB71_2633:
	s_mov_b32 s0, 0
.LBB71_2634:
	s_delay_alu instid0(SALU_CYCLE_1)
	s_and_not1_b32 vcc_lo, exec_lo, s0
	s_cbranch_vccnz .LBB71_2654
; %bb.2635:
	s_cmp_lt_i32 s6, 2
	s_cbranch_scc1 .LBB71_2639
; %bb.2636:
	s_cmp_lt_i32 s6, 3
	s_cbranch_scc1 .LBB71_2640
; %bb.2637:
	s_cmp_gt_i32 s6, 3
	s_cbranch_scc0 .LBB71_2641
; %bb.2638:
	s_wait_loadcnt 0x0
	global_load_b64 v[16:17], v[24:25], off
	s_mov_b32 s0, 0
	s_branch .LBB71_2642
.LBB71_2639:
	s_mov_b32 s0, -1
                                        ; implicit-def: $vgpr16_vgpr17
	s_branch .LBB71_2648
.LBB71_2640:
	s_mov_b32 s0, -1
                                        ; implicit-def: $vgpr16_vgpr17
	s_branch .LBB71_2645
.LBB71_2641:
	s_mov_b32 s0, -1
                                        ; implicit-def: $vgpr16_vgpr17
.LBB71_2642:
	s_delay_alu instid0(SALU_CYCLE_1)
	s_and_not1_b32 vcc_lo, exec_lo, s0
	s_cbranch_vccnz .LBB71_2644
; %bb.2643:
	s_wait_loadcnt 0x0
	global_load_b32 v16, v[24:25], off
	s_wait_loadcnt 0x0
	v_ashrrev_i32_e32 v17, 31, v16
.LBB71_2644:
	s_mov_b32 s0, 0
.LBB71_2645:
	s_delay_alu instid0(SALU_CYCLE_1)
	s_and_not1_b32 vcc_lo, exec_lo, s0
	s_cbranch_vccnz .LBB71_2647
; %bb.2646:
	global_load_u16 v1, v[24:25], off
	s_wait_loadcnt 0x0
	v_bfe_i32 v16, v1, 0, 16
	s_delay_alu instid0(VALU_DEP_1)
	v_ashrrev_i32_e32 v17, 31, v16
.LBB71_2647:
	s_mov_b32 s0, 0
.LBB71_2648:
	s_delay_alu instid0(SALU_CYCLE_1)
	s_and_not1_b32 vcc_lo, exec_lo, s0
	s_cbranch_vccnz .LBB71_2654
; %bb.2649:
	s_cmp_gt_i32 s6, 0
	s_mov_b32 s0, 0
	s_cbranch_scc0 .LBB71_2651
; %bb.2650:
	global_load_i8 v1, v[24:25], off
	s_wait_loadcnt 0x0
	v_bfe_i32 v16, v1, 0, 16
	s_delay_alu instid0(VALU_DEP_1)
	v_ashrrev_i32_e32 v17, 31, v16
	s_branch .LBB71_2652
.LBB71_2651:
	s_mov_b32 s0, -1
                                        ; implicit-def: $vgpr16_vgpr17
.LBB71_2652:
	s_delay_alu instid0(SALU_CYCLE_1)
	s_and_not1_b32 vcc_lo, exec_lo, s0
	s_cbranch_vccnz .LBB71_2654
; %bb.2653:
	global_load_u8 v1, v[24:25], off
	s_mov_b32 s0, 0
	s_wait_loadcnt 0x1
	v_mov_b32_e32 v17, s0
	s_wait_loadcnt 0x0
	v_and_b32_e32 v16, 0xffff, v1
.LBB71_2654:
	s_mov_b32 s11, -1
.LBB71_2655:
	s_delay_alu instid0(SALU_CYCLE_1)
	s_and_not1_b32 vcc_lo, exec_lo, s11
	s_cbranch_vccnz .LBB71_3216
; %bb.2656:
	v_mov_b32_e32 v11, 0
	s_cmp_lt_i32 s10, 11
	s_wait_xcnt 0x0
	s_delay_alu instid0(VALU_DEP_1)
	v_add_nc_u64_e32 v[24:25], s[4:5], v[10:11]
	s_cbranch_scc1 .LBB71_2663
; %bb.2657:
	s_cmp_gt_i32 s10, 25
	s_mov_b32 s1, 0
	s_cbranch_scc0 .LBB71_2664
; %bb.2658:
	s_cmp_gt_i32 s10, 28
	s_cbranch_scc0 .LBB71_2665
; %bb.2659:
	s_cmp_gt_i32 s10, 43
	;; [unrolled: 3-line block ×3, first 2 shown]
	s_cbranch_scc0 .LBB71_2668
; %bb.2661:
	s_cmp_eq_u32 s10, 46
	s_mov_b32 s5, 0
	s_cbranch_scc0 .LBB71_2669
; %bb.2662:
	global_load_b32 v1, v[24:25], off
	s_mov_b32 s0, 0
	s_mov_b32 s4, -1
	s_wait_loadcnt 0x0
	v_lshlrev_b32_e32 v1, 16, v1
	s_delay_alu instid0(VALU_DEP_1) | instskip(NEXT) | instid1(VALU_DEP_1)
	v_trunc_f32_e32 v1, v1
	v_mul_f32_e64 v3, 0x2f800000, |v1|
	v_ashrrev_i32_e32 v10, 31, v1
	s_delay_alu instid0(VALU_DEP_2) | instskip(NEXT) | instid1(VALU_DEP_2)
	v_floor_f32_e32 v3, v3
	v_mov_b32_e32 v11, v10
	s_delay_alu instid0(VALU_DEP_2) | instskip(SKIP_1) | instid1(VALU_DEP_2)
	v_fma_f32 v5, 0xcf800000, v3, |v1|
	v_cvt_u32_f32_e32 v1, v3
	v_cvt_u32_f32_e32 v3, v5
	s_delay_alu instid0(VALU_DEP_2) | instskip(NEXT) | instid1(VALU_DEP_2)
	v_xor_b32_e32 v27, v1, v10
	v_xor_b32_e32 v26, v3, v10
	s_delay_alu instid0(VALU_DEP_1)
	v_sub_nc_u64_e32 v[10:11], v[26:27], v[10:11]
	s_branch .LBB71_2671
.LBB71_2663:
	s_mov_b32 s0, -1
	s_mov_b32 s4, 0
                                        ; implicit-def: $vgpr10_vgpr11
	s_branch .LBB71_2733
.LBB71_2664:
	s_mov_b32 s5, -1
	s_mov_b32 s4, 0
	s_mov_b32 s0, 0
                                        ; implicit-def: $vgpr10_vgpr11
	s_branch .LBB71_2698
.LBB71_2665:
	s_mov_b32 s5, -1
	s_mov_b32 s4, 0
	s_mov_b32 s0, 0
                                        ; implicit-def: $vgpr10_vgpr11
	s_branch .LBB71_2681
.LBB71_2666:
	s_mov_b32 s5, -1
	s_mov_b32 s4, 0
	s_mov_b32 s0, 0
                                        ; implicit-def: $vgpr10_vgpr11
	s_branch .LBB71_2676
.LBB71_2667:
	s_or_b32 s9, s9, exec_lo
	s_trap 2
	s_cbranch_execz .LBB71_2604
	s_branch .LBB71_2605
.LBB71_2668:
	s_mov_b32 s5, -1
	s_mov_b32 s4, 0
	s_mov_b32 s0, 0
	s_branch .LBB71_2670
.LBB71_2669:
	s_mov_b32 s0, -1
	s_mov_b32 s4, 0
.LBB71_2670:
                                        ; implicit-def: $vgpr10_vgpr11
.LBB71_2671:
	s_and_b32 vcc_lo, exec_lo, s5
	s_cbranch_vccz .LBB71_2675
; %bb.2672:
	s_cmp_eq_u32 s10, 44
	s_cbranch_scc0 .LBB71_2674
; %bb.2673:
	global_load_u8 v1, v[24:25], off
	s_mov_b32 s0, 0
	s_mov_b32 s4, -1
	s_wait_loadcnt 0x0
	v_lshlrev_b32_e32 v3, 23, v1
	v_cmp_ne_u32_e32 vcc_lo, 0, v1
	s_delay_alu instid0(VALU_DEP_2) | instskip(NEXT) | instid1(VALU_DEP_1)
	v_trunc_f32_e32 v3, v3
	v_mul_f32_e64 v5, 0x2f800000, |v3|
	v_ashrrev_i32_e32 v10, 31, v3
	s_delay_alu instid0(VALU_DEP_2) | instskip(NEXT) | instid1(VALU_DEP_2)
	v_floor_f32_e32 v5, v5
	v_mov_b32_e32 v11, v10
	s_delay_alu instid0(VALU_DEP_2) | instskip(SKIP_1) | instid1(VALU_DEP_2)
	v_fma_f32 v7, 0xcf800000, v5, |v3|
	v_cvt_u32_f32_e32 v3, v5
	v_cvt_u32_f32_e32 v5, v7
	s_delay_alu instid0(VALU_DEP_2) | instskip(NEXT) | instid1(VALU_DEP_2)
	v_xor_b32_e32 v27, v3, v10
	v_xor_b32_e32 v26, v5, v10
	s_delay_alu instid0(VALU_DEP_1) | instskip(NEXT) | instid1(VALU_DEP_1)
	v_sub_nc_u64_e32 v[10:11], v[26:27], v[10:11]
	v_dual_cndmask_b32 v11, 0, v11 :: v_dual_cndmask_b32 v10, 0, v10
	s_branch .LBB71_2675
.LBB71_2674:
	s_mov_b32 s0, -1
                                        ; implicit-def: $vgpr10_vgpr11
.LBB71_2675:
	s_mov_b32 s5, 0
.LBB71_2676:
	s_delay_alu instid0(SALU_CYCLE_1)
	s_and_b32 vcc_lo, exec_lo, s5
	s_cbranch_vccz .LBB71_2680
; %bb.2677:
	s_cmp_eq_u32 s10, 29
	s_cbranch_scc0 .LBB71_2679
; %bb.2678:
	global_load_b64 v[10:11], v[24:25], off
	s_mov_b32 s0, 0
	s_mov_b32 s4, -1
	s_branch .LBB71_2680
.LBB71_2679:
	s_mov_b32 s0, -1
                                        ; implicit-def: $vgpr10_vgpr11
.LBB71_2680:
	s_mov_b32 s5, 0
.LBB71_2681:
	s_delay_alu instid0(SALU_CYCLE_1)
	s_and_b32 vcc_lo, exec_lo, s5
	s_cbranch_vccz .LBB71_2697
; %bb.2682:
	s_cmp_lt_i32 s10, 27
	s_cbranch_scc1 .LBB71_2685
; %bb.2683:
	s_cmp_gt_i32 s10, 27
	s_cbranch_scc0 .LBB71_2686
; %bb.2684:
	s_wait_loadcnt 0x0
	global_load_b32 v10, v[24:25], off
	v_mov_b32_e32 v11, 0
	s_mov_b32 s4, 0
	s_branch .LBB71_2687
.LBB71_2685:
	s_mov_b32 s4, -1
                                        ; implicit-def: $vgpr10_vgpr11
	s_branch .LBB71_2690
.LBB71_2686:
	s_mov_b32 s4, -1
                                        ; implicit-def: $vgpr10_vgpr11
.LBB71_2687:
	s_delay_alu instid0(SALU_CYCLE_1)
	s_and_not1_b32 vcc_lo, exec_lo, s4
	s_cbranch_vccnz .LBB71_2689
; %bb.2688:
	global_load_u16 v1, v[24:25], off
	s_mov_b32 s4, 0
	s_wait_loadcnt 0x1
	v_mov_b32_e32 v11, s4
	s_wait_loadcnt 0x0
	v_and_b32_e32 v10, 0xffff, v1
.LBB71_2689:
	s_mov_b32 s4, 0
.LBB71_2690:
	s_delay_alu instid0(SALU_CYCLE_1)
	s_and_not1_b32 vcc_lo, exec_lo, s4
	s_cbranch_vccnz .LBB71_2696
; %bb.2691:
	global_load_u8 v1, v[24:25], off
	s_mov_b32 s5, 0
	s_mov_b32 s4, exec_lo
	s_wait_loadcnt 0x0
	v_cmpx_lt_i16_e32 0x7f, v1
	s_xor_b32 s4, exec_lo, s4
	s_cbranch_execz .LBB71_2708
; %bb.2692:
	v_cmp_ne_u16_e32 vcc_lo, 0x80, v1
	s_and_b32 s5, vcc_lo, exec_lo
	s_and_not1_saveexec_b32 s4, s4
	s_cbranch_execnz .LBB71_2709
.LBB71_2693:
	s_or_b32 exec_lo, exec_lo, s4
	v_mov_b64_e32 v[10:11], 0
	s_and_saveexec_b32 s4, s5
	s_cbranch_execz .LBB71_2695
.LBB71_2694:
	v_and_b32_e32 v3, 0xffff, v1
	s_delay_alu instid0(VALU_DEP_1) | instskip(SKIP_1) | instid1(VALU_DEP_2)
	v_dual_lshlrev_b32 v1, 24, v1 :: v_dual_bitop2_b32 v5, 7, v3 bitop3:0x40
	v_bfe_u32 v11, v3, 3, 4
	v_and_b32_e32 v1, 0x80000000, v1
	s_delay_alu instid0(VALU_DEP_3) | instskip(NEXT) | instid1(VALU_DEP_3)
	v_clz_i32_u32_e32 v7, v5
	v_cmp_eq_u32_e32 vcc_lo, 0, v11
	s_delay_alu instid0(VALU_DEP_2) | instskip(NEXT) | instid1(VALU_DEP_1)
	v_min_u32_e32 v7, 32, v7
	v_subrev_nc_u32_e32 v10, 28, v7
	v_sub_nc_u32_e32 v7, 29, v7
	s_delay_alu instid0(VALU_DEP_2) | instskip(NEXT) | instid1(VALU_DEP_2)
	v_lshlrev_b32_e32 v3, v10, v3
	v_cndmask_b32_e32 v7, v11, v7, vcc_lo
	s_delay_alu instid0(VALU_DEP_2) | instskip(NEXT) | instid1(VALU_DEP_1)
	v_and_b32_e32 v3, 7, v3
	v_cndmask_b32_e32 v3, v5, v3, vcc_lo
	s_delay_alu instid0(VALU_DEP_3) | instskip(NEXT) | instid1(VALU_DEP_2)
	v_lshl_add_u32 v5, v7, 23, 0x3b800000
	v_lshlrev_b32_e32 v3, 20, v3
	s_delay_alu instid0(VALU_DEP_1) | instskip(NEXT) | instid1(VALU_DEP_1)
	v_or3_b32 v1, v1, v5, v3
	v_trunc_f32_e32 v1, v1
	s_delay_alu instid0(VALU_DEP_1) | instskip(SKIP_1) | instid1(VALU_DEP_2)
	v_mul_f32_e64 v3, 0x2f800000, |v1|
	v_ashrrev_i32_e32 v10, 31, v1
	v_floor_f32_e32 v3, v3
	s_delay_alu instid0(VALU_DEP_2) | instskip(NEXT) | instid1(VALU_DEP_2)
	v_mov_b32_e32 v11, v10
	v_fma_f32 v5, 0xcf800000, v3, |v1|
	v_cvt_u32_f32_e32 v1, v3
	s_delay_alu instid0(VALU_DEP_2) | instskip(NEXT) | instid1(VALU_DEP_2)
	v_cvt_u32_f32_e32 v3, v5
	v_xor_b32_e32 v27, v1, v10
	s_delay_alu instid0(VALU_DEP_2) | instskip(NEXT) | instid1(VALU_DEP_1)
	v_xor_b32_e32 v26, v3, v10
	v_sub_nc_u64_e32 v[10:11], v[26:27], v[10:11]
.LBB71_2695:
	s_or_b32 exec_lo, exec_lo, s4
.LBB71_2696:
	s_mov_b32 s4, -1
.LBB71_2697:
	s_mov_b32 s5, 0
.LBB71_2698:
	s_delay_alu instid0(SALU_CYCLE_1)
	s_and_b32 vcc_lo, exec_lo, s5
	s_cbranch_vccz .LBB71_2729
; %bb.2699:
	s_cmp_gt_i32 s10, 22
	s_cbranch_scc0 .LBB71_2707
; %bb.2700:
	s_cmp_lt_i32 s10, 24
	s_cbranch_scc1 .LBB71_2710
; %bb.2701:
	s_cmp_gt_i32 s10, 24
	s_cbranch_scc0 .LBB71_2711
; %bb.2702:
	global_load_u8 v1, v[24:25], off
	s_mov_b32 s4, 0
	s_mov_b32 s1, exec_lo
	s_wait_loadcnt 0x0
	v_cmpx_lt_i16_e32 0x7f, v1
	s_xor_b32 s1, exec_lo, s1
	s_cbranch_execz .LBB71_2723
; %bb.2703:
	v_cmp_ne_u16_e32 vcc_lo, 0x80, v1
	s_and_b32 s4, vcc_lo, exec_lo
	s_and_not1_saveexec_b32 s1, s1
	s_cbranch_execnz .LBB71_2724
.LBB71_2704:
	s_or_b32 exec_lo, exec_lo, s1
	v_mov_b64_e32 v[10:11], 0
	s_and_saveexec_b32 s1, s4
	s_cbranch_execz .LBB71_2706
.LBB71_2705:
	v_and_b32_e32 v3, 0xffff, v1
	s_delay_alu instid0(VALU_DEP_1) | instskip(SKIP_1) | instid1(VALU_DEP_2)
	v_dual_lshlrev_b32 v1, 24, v1 :: v_dual_bitop2_b32 v5, 3, v3 bitop3:0x40
	v_bfe_u32 v11, v3, 2, 5
	v_and_b32_e32 v1, 0x80000000, v1
	s_delay_alu instid0(VALU_DEP_3) | instskip(NEXT) | instid1(VALU_DEP_3)
	v_clz_i32_u32_e32 v7, v5
	v_cmp_eq_u32_e32 vcc_lo, 0, v11
	s_delay_alu instid0(VALU_DEP_2) | instskip(NEXT) | instid1(VALU_DEP_1)
	v_min_u32_e32 v7, 32, v7
	v_subrev_nc_u32_e32 v10, 29, v7
	v_sub_nc_u32_e32 v7, 30, v7
	s_delay_alu instid0(VALU_DEP_2) | instskip(NEXT) | instid1(VALU_DEP_2)
	v_lshlrev_b32_e32 v3, v10, v3
	v_cndmask_b32_e32 v7, v11, v7, vcc_lo
	s_delay_alu instid0(VALU_DEP_2) | instskip(NEXT) | instid1(VALU_DEP_1)
	v_and_b32_e32 v3, 3, v3
	v_cndmask_b32_e32 v3, v5, v3, vcc_lo
	s_delay_alu instid0(VALU_DEP_3) | instskip(NEXT) | instid1(VALU_DEP_2)
	v_lshl_add_u32 v5, v7, 23, 0x37800000
	v_lshlrev_b32_e32 v3, 21, v3
	s_delay_alu instid0(VALU_DEP_1) | instskip(NEXT) | instid1(VALU_DEP_1)
	v_or3_b32 v1, v1, v5, v3
	v_trunc_f32_e32 v1, v1
	s_delay_alu instid0(VALU_DEP_1) | instskip(SKIP_1) | instid1(VALU_DEP_2)
	v_mul_f32_e64 v3, 0x2f800000, |v1|
	v_ashrrev_i32_e32 v10, 31, v1
	v_floor_f32_e32 v3, v3
	s_delay_alu instid0(VALU_DEP_2) | instskip(NEXT) | instid1(VALU_DEP_2)
	v_mov_b32_e32 v11, v10
	v_fma_f32 v5, 0xcf800000, v3, |v1|
	v_cvt_u32_f32_e32 v1, v3
	s_delay_alu instid0(VALU_DEP_2) | instskip(NEXT) | instid1(VALU_DEP_2)
	v_cvt_u32_f32_e32 v3, v5
	v_xor_b32_e32 v27, v1, v10
	s_delay_alu instid0(VALU_DEP_2) | instskip(NEXT) | instid1(VALU_DEP_1)
	v_xor_b32_e32 v26, v3, v10
	v_sub_nc_u64_e32 v[10:11], v[26:27], v[10:11]
.LBB71_2706:
	s_or_b32 exec_lo, exec_lo, s1
	s_mov_b32 s1, 0
	s_branch .LBB71_2712
.LBB71_2707:
	s_mov_b32 s1, -1
                                        ; implicit-def: $vgpr10_vgpr11
	s_branch .LBB71_2718
.LBB71_2708:
	s_and_not1_saveexec_b32 s4, s4
	s_cbranch_execz .LBB71_2693
.LBB71_2709:
	v_cmp_ne_u16_e32 vcc_lo, 0, v1
	s_and_not1_b32 s5, s5, exec_lo
	s_and_b32 s6, vcc_lo, exec_lo
	s_delay_alu instid0(SALU_CYCLE_1)
	s_or_b32 s5, s5, s6
	s_or_b32 exec_lo, exec_lo, s4
	v_mov_b64_e32 v[10:11], 0
	s_and_saveexec_b32 s4, s5
	s_cbranch_execnz .LBB71_2694
	s_branch .LBB71_2695
.LBB71_2710:
	s_mov_b32 s1, -1
                                        ; implicit-def: $vgpr10_vgpr11
	s_branch .LBB71_2715
.LBB71_2711:
	s_mov_b32 s1, -1
                                        ; implicit-def: $vgpr10_vgpr11
.LBB71_2712:
	s_delay_alu instid0(SALU_CYCLE_1)
	s_and_b32 vcc_lo, exec_lo, s1
	s_cbranch_vccz .LBB71_2714
; %bb.2713:
	global_load_u8 v1, v[24:25], off
	s_wait_loadcnt 0x0
	v_lshlrev_b32_e32 v1, 24, v1
	s_delay_alu instid0(VALU_DEP_1) | instskip(NEXT) | instid1(VALU_DEP_1)
	v_and_b32_e32 v3, 0x7f000000, v1
	v_clz_i32_u32_e32 v5, v3
	v_cmp_ne_u32_e32 vcc_lo, 0, v3
	v_add_nc_u32_e32 v10, 0x1000000, v3
	s_delay_alu instid0(VALU_DEP_3) | instskip(NEXT) | instid1(VALU_DEP_1)
	v_min_u32_e32 v5, 32, v5
	v_sub_nc_u32_e64 v5, v5, 4 clamp
	s_delay_alu instid0(VALU_DEP_1) | instskip(NEXT) | instid1(VALU_DEP_1)
	v_dual_lshlrev_b32 v7, v5, v3 :: v_dual_lshlrev_b32 v5, 23, v5
	v_lshrrev_b32_e32 v7, 4, v7
	s_delay_alu instid0(VALU_DEP_1) | instskip(NEXT) | instid1(VALU_DEP_1)
	v_dual_sub_nc_u32 v5, v7, v5 :: v_dual_ashrrev_i32 v7, 8, v10
	v_add_nc_u32_e32 v5, 0x3c000000, v5
	s_delay_alu instid0(VALU_DEP_1) | instskip(NEXT) | instid1(VALU_DEP_1)
	v_and_or_b32 v5, 0x7f800000, v7, v5
	v_cndmask_b32_e32 v3, 0, v5, vcc_lo
	s_delay_alu instid0(VALU_DEP_1) | instskip(NEXT) | instid1(VALU_DEP_1)
	v_and_or_b32 v1, 0x80000000, v1, v3
	v_trunc_f32_e32 v1, v1
	s_delay_alu instid0(VALU_DEP_1) | instskip(SKIP_1) | instid1(VALU_DEP_2)
	v_mul_f32_e64 v3, 0x2f800000, |v1|
	v_ashrrev_i32_e32 v10, 31, v1
	v_floor_f32_e32 v3, v3
	s_delay_alu instid0(VALU_DEP_1) | instskip(SKIP_1) | instid1(VALU_DEP_4)
	v_fma_f32 v5, 0xcf800000, v3, |v1|
	v_cvt_u32_f32_e32 v1, v3
	v_mov_b32_e32 v11, v10
	s_delay_alu instid0(VALU_DEP_3) | instskip(NEXT) | instid1(VALU_DEP_3)
	v_cvt_u32_f32_e32 v3, v5
	v_xor_b32_e32 v27, v1, v10
	s_delay_alu instid0(VALU_DEP_2) | instskip(NEXT) | instid1(VALU_DEP_1)
	v_xor_b32_e32 v26, v3, v10
	v_sub_nc_u64_e32 v[10:11], v[26:27], v[10:11]
.LBB71_2714:
	s_mov_b32 s1, 0
.LBB71_2715:
	s_delay_alu instid0(SALU_CYCLE_1)
	s_and_not1_b32 vcc_lo, exec_lo, s1
	s_cbranch_vccnz .LBB71_2717
; %bb.2716:
	global_load_u8 v1, v[24:25], off
	s_wait_loadcnt 0x0
	v_lshlrev_b32_e32 v3, 25, v1
	v_lshlrev_b16 v1, 8, v1
	s_delay_alu instid0(VALU_DEP_1) | instskip(SKIP_1) | instid1(VALU_DEP_2)
	v_and_or_b32 v7, 0x7f00, v1, 0.5
	v_bfe_i32 v1, v1, 0, 16
	v_add_f32_e32 v7, -0.5, v7
	v_lshrrev_b32_e32 v5, 4, v3
	v_cmp_gt_u32_e32 vcc_lo, 0x8000000, v3
	s_delay_alu instid0(VALU_DEP_2) | instskip(NEXT) | instid1(VALU_DEP_1)
	v_or_b32_e32 v5, 0x70000000, v5
	v_mul_f32_e32 v5, 0x7800000, v5
	s_delay_alu instid0(VALU_DEP_1) | instskip(NEXT) | instid1(VALU_DEP_1)
	v_cndmask_b32_e32 v3, v5, v7, vcc_lo
	v_and_or_b32 v1, 0x80000000, v1, v3
	s_delay_alu instid0(VALU_DEP_1) | instskip(NEXT) | instid1(VALU_DEP_1)
	v_trunc_f32_e32 v1, v1
	v_mul_f32_e64 v3, 0x2f800000, |v1|
	v_ashrrev_i32_e32 v10, 31, v1
	s_delay_alu instid0(VALU_DEP_2) | instskip(NEXT) | instid1(VALU_DEP_2)
	v_floor_f32_e32 v3, v3
	v_mov_b32_e32 v11, v10
	s_delay_alu instid0(VALU_DEP_2) | instskip(SKIP_1) | instid1(VALU_DEP_2)
	v_fma_f32 v5, 0xcf800000, v3, |v1|
	v_cvt_u32_f32_e32 v1, v3
	v_cvt_u32_f32_e32 v3, v5
	s_delay_alu instid0(VALU_DEP_2) | instskip(NEXT) | instid1(VALU_DEP_2)
	v_xor_b32_e32 v27, v1, v10
	v_xor_b32_e32 v26, v3, v10
	s_delay_alu instid0(VALU_DEP_1)
	v_sub_nc_u64_e32 v[10:11], v[26:27], v[10:11]
.LBB71_2717:
	s_mov_b32 s1, 0
	s_mov_b32 s4, -1
.LBB71_2718:
	s_and_not1_b32 vcc_lo, exec_lo, s1
	s_mov_b32 s1, 0
	s_cbranch_vccnz .LBB71_2729
; %bb.2719:
	s_cmp_gt_i32 s10, 14
	s_cbranch_scc0 .LBB71_2722
; %bb.2720:
	s_cmp_eq_u32 s10, 15
	s_cbranch_scc0 .LBB71_2725
; %bb.2721:
	global_load_u16 v1, v[24:25], off
	s_mov_b32 s0, 0
	s_mov_b32 s4, -1
	s_wait_loadcnt 0x0
	v_lshlrev_b32_e32 v1, 16, v1
	s_delay_alu instid0(VALU_DEP_1) | instskip(NEXT) | instid1(VALU_DEP_1)
	v_trunc_f32_e32 v1, v1
	v_mul_f32_e64 v3, 0x2f800000, |v1|
	v_ashrrev_i32_e32 v10, 31, v1
	s_delay_alu instid0(VALU_DEP_2) | instskip(NEXT) | instid1(VALU_DEP_2)
	v_floor_f32_e32 v3, v3
	v_mov_b32_e32 v11, v10
	s_delay_alu instid0(VALU_DEP_2) | instskip(SKIP_1) | instid1(VALU_DEP_2)
	v_fma_f32 v5, 0xcf800000, v3, |v1|
	v_cvt_u32_f32_e32 v1, v3
	v_cvt_u32_f32_e32 v3, v5
	s_delay_alu instid0(VALU_DEP_2) | instskip(NEXT) | instid1(VALU_DEP_2)
	v_xor_b32_e32 v27, v1, v10
	v_xor_b32_e32 v26, v3, v10
	s_delay_alu instid0(VALU_DEP_1)
	v_sub_nc_u64_e32 v[10:11], v[26:27], v[10:11]
	s_branch .LBB71_2727
.LBB71_2722:
	s_mov_b32 s1, -1
	s_branch .LBB71_2726
.LBB71_2723:
	s_and_not1_saveexec_b32 s1, s1
	s_cbranch_execz .LBB71_2704
.LBB71_2724:
	v_cmp_ne_u16_e32 vcc_lo, 0, v1
	s_and_not1_b32 s4, s4, exec_lo
	s_and_b32 s5, vcc_lo, exec_lo
	s_delay_alu instid0(SALU_CYCLE_1)
	s_or_b32 s4, s4, s5
	s_or_b32 exec_lo, exec_lo, s1
	v_mov_b64_e32 v[10:11], 0
	s_and_saveexec_b32 s1, s4
	s_cbranch_execnz .LBB71_2705
	s_branch .LBB71_2706
.LBB71_2725:
	s_mov_b32 s0, -1
.LBB71_2726:
                                        ; implicit-def: $vgpr10_vgpr11
.LBB71_2727:
	s_and_b32 vcc_lo, exec_lo, s1
	s_mov_b32 s1, 0
	s_cbranch_vccz .LBB71_2729
; %bb.2728:
	s_cmp_lg_u32 s10, 11
	s_mov_b32 s1, -1
	s_cselect_b32 s0, -1, 0
.LBB71_2729:
	s_delay_alu instid0(SALU_CYCLE_1)
	s_and_b32 vcc_lo, exec_lo, s0
	s_cbranch_vccnz .LBB71_3262
; %bb.2730:
	s_and_not1_b32 vcc_lo, exec_lo, s1
	s_cbranch_vccnz .LBB71_2732
.LBB71_2731:
	global_load_u8 v1, v[24:25], off
	s_mov_b32 s0, 0
	s_mov_b32 s4, -1
	s_wait_loadcnt 0x1
	v_mov_b32_e32 v11, s0
	s_wait_loadcnt 0x0
	v_cmp_ne_u16_e32 vcc_lo, 0, v1
	v_cndmask_b32_e64 v10, 0, 1, vcc_lo
.LBB71_2732:
	s_mov_b32 s0, 0
.LBB71_2733:
	s_delay_alu instid0(SALU_CYCLE_1)
	s_and_b32 vcc_lo, exec_lo, s0
	s_cbranch_vccz .LBB71_2782
; %bb.2734:
	s_cmp_lt_i32 s10, 5
	s_cbranch_scc1 .LBB71_2739
; %bb.2735:
	s_cmp_lt_i32 s10, 8
	s_cbranch_scc1 .LBB71_2740
	;; [unrolled: 3-line block ×3, first 2 shown]
; %bb.2737:
	s_cmp_gt_i32 s10, 9
	s_cbranch_scc0 .LBB71_2742
; %bb.2738:
	s_wait_loadcnt 0x0
	global_load_b64 v[10:11], v[24:25], off
	s_mov_b32 s0, 0
	s_wait_loadcnt 0x0
	v_trunc_f64_e32 v[10:11], v[10:11]
	s_delay_alu instid0(VALU_DEP_1) | instskip(NEXT) | instid1(VALU_DEP_1)
	v_ldexp_f64 v[26:27], v[10:11], 0xffffffe0
	v_floor_f64_e32 v[26:27], v[26:27]
	s_delay_alu instid0(VALU_DEP_1) | instskip(SKIP_1) | instid1(VALU_DEP_2)
	v_fmamk_f64 v[28:29], v[26:27], 0xc1f00000, v[10:11]
	v_cvt_i32_f64_e32 v11, v[26:27]
	v_cvt_u32_f64_e32 v10, v[28:29]
	s_branch .LBB71_2743
.LBB71_2739:
	s_mov_b32 s0, -1
                                        ; implicit-def: $vgpr10_vgpr11
	s_branch .LBB71_2761
.LBB71_2740:
	s_mov_b32 s0, -1
                                        ; implicit-def: $vgpr10_vgpr11
	s_branch .LBB71_2749
.LBB71_2741:
	s_mov_b32 s0, -1
                                        ; implicit-def: $vgpr10_vgpr11
	s_branch .LBB71_2746
.LBB71_2742:
	s_mov_b32 s0, -1
                                        ; implicit-def: $vgpr10_vgpr11
.LBB71_2743:
	s_delay_alu instid0(SALU_CYCLE_1)
	s_and_not1_b32 vcc_lo, exec_lo, s0
	s_cbranch_vccnz .LBB71_2745
; %bb.2744:
	global_load_b32 v1, v[24:25], off
	s_wait_loadcnt 0x0
	v_trunc_f32_e32 v1, v1
	s_delay_alu instid0(VALU_DEP_1) | instskip(SKIP_1) | instid1(VALU_DEP_2)
	v_mul_f32_e64 v3, 0x2f800000, |v1|
	v_ashrrev_i32_e32 v10, 31, v1
	v_floor_f32_e32 v3, v3
	s_delay_alu instid0(VALU_DEP_1) | instskip(SKIP_1) | instid1(VALU_DEP_4)
	v_fma_f32 v5, 0xcf800000, v3, |v1|
	v_cvt_u32_f32_e32 v1, v3
	v_mov_b32_e32 v11, v10
	s_delay_alu instid0(VALU_DEP_3) | instskip(NEXT) | instid1(VALU_DEP_3)
	v_cvt_u32_f32_e32 v3, v5
	v_xor_b32_e32 v27, v1, v10
	s_delay_alu instid0(VALU_DEP_2) | instskip(NEXT) | instid1(VALU_DEP_1)
	v_xor_b32_e32 v26, v3, v10
	v_sub_nc_u64_e32 v[10:11], v[26:27], v[10:11]
.LBB71_2745:
	s_mov_b32 s0, 0
.LBB71_2746:
	s_delay_alu instid0(SALU_CYCLE_1)
	s_and_not1_b32 vcc_lo, exec_lo, s0
	s_cbranch_vccnz .LBB71_2748
; %bb.2747:
	global_load_b32 v1, v[24:25], off
	s_wait_loadcnt 0x0
	v_cvt_f32_f16_e32 v1, v1
	s_delay_alu instid0(VALU_DEP_1) | instskip(NEXT) | instid1(VALU_DEP_1)
	v_cvt_i32_f32_e32 v10, v1
	v_ashrrev_i32_e32 v11, 31, v10
.LBB71_2748:
	s_mov_b32 s0, 0
.LBB71_2749:
	s_delay_alu instid0(SALU_CYCLE_1)
	s_and_not1_b32 vcc_lo, exec_lo, s0
	s_cbranch_vccnz .LBB71_2760
; %bb.2750:
	s_cmp_lt_i32 s10, 6
	s_cbranch_scc1 .LBB71_2753
; %bb.2751:
	s_cmp_gt_i32 s10, 6
	s_cbranch_scc0 .LBB71_2754
; %bb.2752:
	s_wait_loadcnt 0x0
	global_load_b64 v[10:11], v[24:25], off
	s_mov_b32 s0, 0
	s_wait_loadcnt 0x0
	v_trunc_f64_e32 v[10:11], v[10:11]
	s_delay_alu instid0(VALU_DEP_1) | instskip(NEXT) | instid1(VALU_DEP_1)
	v_ldexp_f64 v[26:27], v[10:11], 0xffffffe0
	v_floor_f64_e32 v[26:27], v[26:27]
	s_delay_alu instid0(VALU_DEP_1) | instskip(SKIP_1) | instid1(VALU_DEP_2)
	v_fmamk_f64 v[28:29], v[26:27], 0xc1f00000, v[10:11]
	v_cvt_i32_f64_e32 v11, v[26:27]
	v_cvt_u32_f64_e32 v10, v[28:29]
	s_branch .LBB71_2755
.LBB71_2753:
	s_mov_b32 s0, -1
                                        ; implicit-def: $vgpr10_vgpr11
	s_branch .LBB71_2758
.LBB71_2754:
	s_mov_b32 s0, -1
                                        ; implicit-def: $vgpr10_vgpr11
.LBB71_2755:
	s_delay_alu instid0(SALU_CYCLE_1)
	s_and_not1_b32 vcc_lo, exec_lo, s0
	s_cbranch_vccnz .LBB71_2757
; %bb.2756:
	global_load_b32 v1, v[24:25], off
	s_wait_loadcnt 0x0
	v_trunc_f32_e32 v1, v1
	s_delay_alu instid0(VALU_DEP_1) | instskip(SKIP_1) | instid1(VALU_DEP_2)
	v_mul_f32_e64 v3, 0x2f800000, |v1|
	v_ashrrev_i32_e32 v10, 31, v1
	v_floor_f32_e32 v3, v3
	s_delay_alu instid0(VALU_DEP_1) | instskip(SKIP_1) | instid1(VALU_DEP_4)
	v_fma_f32 v5, 0xcf800000, v3, |v1|
	v_cvt_u32_f32_e32 v1, v3
	v_mov_b32_e32 v11, v10
	s_delay_alu instid0(VALU_DEP_3) | instskip(NEXT) | instid1(VALU_DEP_3)
	v_cvt_u32_f32_e32 v3, v5
	v_xor_b32_e32 v27, v1, v10
	s_delay_alu instid0(VALU_DEP_2) | instskip(NEXT) | instid1(VALU_DEP_1)
	v_xor_b32_e32 v26, v3, v10
	v_sub_nc_u64_e32 v[10:11], v[26:27], v[10:11]
.LBB71_2757:
	s_mov_b32 s0, 0
.LBB71_2758:
	s_delay_alu instid0(SALU_CYCLE_1)
	s_and_not1_b32 vcc_lo, exec_lo, s0
	s_cbranch_vccnz .LBB71_2760
; %bb.2759:
	global_load_u16 v1, v[24:25], off
	s_wait_loadcnt 0x0
	v_cvt_f32_f16_e32 v1, v1
	s_delay_alu instid0(VALU_DEP_1) | instskip(NEXT) | instid1(VALU_DEP_1)
	v_cvt_i32_f32_e32 v10, v1
	v_ashrrev_i32_e32 v11, 31, v10
.LBB71_2760:
	s_mov_b32 s0, 0
.LBB71_2761:
	s_delay_alu instid0(SALU_CYCLE_1)
	s_and_not1_b32 vcc_lo, exec_lo, s0
	s_cbranch_vccnz .LBB71_2781
; %bb.2762:
	s_cmp_lt_i32 s10, 2
	s_cbranch_scc1 .LBB71_2766
; %bb.2763:
	s_cmp_lt_i32 s10, 3
	s_cbranch_scc1 .LBB71_2767
; %bb.2764:
	s_cmp_gt_i32 s10, 3
	s_cbranch_scc0 .LBB71_2768
; %bb.2765:
	s_wait_loadcnt 0x0
	global_load_b64 v[10:11], v[24:25], off
	s_mov_b32 s0, 0
	s_branch .LBB71_2769
.LBB71_2766:
	s_mov_b32 s0, -1
                                        ; implicit-def: $vgpr10_vgpr11
	s_branch .LBB71_2775
.LBB71_2767:
	s_mov_b32 s0, -1
                                        ; implicit-def: $vgpr10_vgpr11
	s_branch .LBB71_2772
.LBB71_2768:
	s_mov_b32 s0, -1
                                        ; implicit-def: $vgpr10_vgpr11
.LBB71_2769:
	s_delay_alu instid0(SALU_CYCLE_1)
	s_and_not1_b32 vcc_lo, exec_lo, s0
	s_cbranch_vccnz .LBB71_2771
; %bb.2770:
	s_wait_loadcnt 0x0
	global_load_b32 v10, v[24:25], off
	s_wait_loadcnt 0x0
	v_ashrrev_i32_e32 v11, 31, v10
.LBB71_2771:
	s_mov_b32 s0, 0
.LBB71_2772:
	s_delay_alu instid0(SALU_CYCLE_1)
	s_and_not1_b32 vcc_lo, exec_lo, s0
	s_cbranch_vccnz .LBB71_2774
; %bb.2773:
	global_load_u16 v1, v[24:25], off
	s_wait_loadcnt 0x0
	v_bfe_i32 v10, v1, 0, 16
	s_delay_alu instid0(VALU_DEP_1)
	v_ashrrev_i32_e32 v11, 31, v10
.LBB71_2774:
	s_mov_b32 s0, 0
.LBB71_2775:
	s_delay_alu instid0(SALU_CYCLE_1)
	s_and_not1_b32 vcc_lo, exec_lo, s0
	s_cbranch_vccnz .LBB71_2781
; %bb.2776:
	s_cmp_gt_i32 s10, 0
	s_mov_b32 s0, 0
	s_cbranch_scc0 .LBB71_2778
; %bb.2777:
	global_load_i8 v1, v[24:25], off
	s_wait_loadcnt 0x0
	v_bfe_i32 v10, v1, 0, 16
	s_delay_alu instid0(VALU_DEP_1)
	v_ashrrev_i32_e32 v11, 31, v10
	s_branch .LBB71_2779
.LBB71_2778:
	s_mov_b32 s0, -1
                                        ; implicit-def: $vgpr10_vgpr11
.LBB71_2779:
	s_delay_alu instid0(SALU_CYCLE_1)
	s_and_not1_b32 vcc_lo, exec_lo, s0
	s_cbranch_vccnz .LBB71_2781
; %bb.2780:
	global_load_u8 v1, v[24:25], off
	s_mov_b32 s0, 0
	s_wait_loadcnt 0x1
	v_mov_b32_e32 v11, s0
	s_wait_loadcnt 0x0
	v_and_b32_e32 v10, 0xffff, v1
.LBB71_2781:
	s_mov_b32 s4, -1
.LBB71_2782:
	s_delay_alu instid0(SALU_CYCLE_1)
	s_and_not1_b32 vcc_lo, exec_lo, s4
	s_cbranch_vccnz .LBB71_3216
; %bb.2783:
	s_load_b96 s[4:6], s[2:3], 0x1e8
	v_mov_b32_e32 v7, 0
	s_wait_xcnt 0x0
	s_load_b64 s[2:3], s[2:3], 0x1c8
	s_wait_kmcnt 0x0
	v_mul_u64_e32 v[8:9], s[4:5], v[8:9]
	s_and_b32 s1, s6, 0xff
	v_add_nc_u64_e32 v[6:7], s[2:3], v[6:7]
	s_cmp_lt_i32 s1, 11
	s_wait_loadcnt 0x0
	s_delay_alu instid0(VALU_DEP_2)
	v_mul_u64_e32 v[8:9], v[8:9], v[12:13]
	s_cbranch_scc1 .LBB71_2861
; %bb.2784:
	s_and_b32 s6, 0xffff, s1
	s_mov_b32 s12, -1
	s_mov_b32 s10, 0
	s_cmp_gt_i32 s6, 25
	s_mov_b32 s11, 0
	s_mov_b32 s0, 0
	s_cbranch_scc0 .LBB71_2817
; %bb.2785:
	s_cmp_gt_i32 s6, 28
	s_cbranch_scc0 .LBB71_2800
; %bb.2786:
	s_cmp_gt_i32 s6, 43
	s_cbranch_scc0 .LBB71_2796
; %bb.2787:
	s_cmp_gt_i32 s6, 45
	s_cbranch_scc0 .LBB71_2790
; %bb.2788:
	s_mov_b32 s0, -1
	s_mov_b32 s12, 0
	s_cmp_eq_u32 s6, 46
	s_cbranch_scc0 .LBB71_2790
; %bb.2789:
	s_delay_alu instid0(VALU_DEP_1) | instskip(SKIP_3) | instid1(VALU_DEP_2)
	v_xor_b32_e32 v1, v8, v9
	v_cls_i32_e32 v3, v9
	s_mov_b32 s11, -1
	s_mov_b32 s0, 0
	v_ashrrev_i32_e32 v1, 31, v1
	s_delay_alu instid0(VALU_DEP_1) | instskip(NEXT) | instid1(VALU_DEP_1)
	v_add_nc_u32_e32 v1, 32, v1
	v_add_min_u32_e64 v1, v3, -1, v1
	s_delay_alu instid0(VALU_DEP_1) | instskip(SKIP_1) | instid1(VALU_DEP_2)
	v_lshlrev_b64_e32 v[12:13], v1, v[8:9]
	v_sub_nc_u32_e32 v1, 32, v1
	v_min_u32_e32 v3, 1, v12
	s_delay_alu instid0(VALU_DEP_1) | instskip(NEXT) | instid1(VALU_DEP_1)
	v_or_b32_e32 v3, v13, v3
	v_cvt_f32_i32_e32 v3, v3
	s_delay_alu instid0(VALU_DEP_1) | instskip(NEXT) | instid1(VALU_DEP_1)
	v_ldexp_f32 v1, v3, v1
	v_bfe_u32 v3, v1, 16, 1
	s_delay_alu instid0(VALU_DEP_1) | instskip(NEXT) | instid1(VALU_DEP_1)
	v_add3_u32 v1, v1, v3, 0x7fff
	v_lshrrev_b32_e32 v1, 16, v1
	global_store_b32 v[6:7], v1, off
.LBB71_2790:
	s_and_b32 vcc_lo, exec_lo, s12
	s_cbranch_vccz .LBB71_2795
; %bb.2791:
	s_cmp_eq_u32 s6, 44
	s_mov_b32 s0, -1
	s_cbranch_scc0 .LBB71_2795
; %bb.2792:
	s_wait_xcnt 0x0
	s_delay_alu instid0(VALU_DEP_1) | instskip(SKIP_3) | instid1(VALU_DEP_2)
	v_xor_b32_e32 v1, v8, v9
	v_cls_i32_e32 v3, v9
	s_mov_b32 s11, -1
	s_mov_b32 s12, exec_lo
	v_ashrrev_i32_e32 v1, 31, v1
	s_delay_alu instid0(VALU_DEP_1) | instskip(NEXT) | instid1(VALU_DEP_1)
	v_add_nc_u32_e32 v1, 32, v1
	v_add_min_u32_e64 v1, v3, -1, v1
	s_delay_alu instid0(VALU_DEP_1) | instskip(SKIP_1) | instid1(VALU_DEP_2)
	v_lshlrev_b64_e32 v[12:13], v1, v[8:9]
	v_sub_nc_u32_e32 v1, 32, v1
	v_min_u32_e32 v3, 1, v12
	s_delay_alu instid0(VALU_DEP_1) | instskip(NEXT) | instid1(VALU_DEP_1)
	v_or_b32_e32 v3, v13, v3
	v_cvt_f32_i32_e32 v3, v3
	s_delay_alu instid0(VALU_DEP_1) | instskip(SKIP_1) | instid1(VALU_DEP_2)
	v_ldexp_f32 v1, v3, v1
	v_mov_b32_e32 v3, 0xff
	v_bfe_u32 v5, v1, 23, 8
	s_delay_alu instid0(VALU_DEP_1)
	v_cmpx_ne_u32_e32 0xff, v5
	s_cbranch_execz .LBB71_2794
; %bb.2793:
	v_and_b32_e32 v3, 0x400000, v1
	v_and_or_b32 v5, 0x3fffff, v1, v5
	v_lshrrev_b32_e32 v1, 23, v1
	s_delay_alu instid0(VALU_DEP_3) | instskip(NEXT) | instid1(VALU_DEP_3)
	v_cmp_ne_u32_e32 vcc_lo, 0, v3
	v_cmp_ne_u32_e64 s0, 0, v5
	s_and_b32 s0, vcc_lo, s0
	s_delay_alu instid0(SALU_CYCLE_1) | instskip(NEXT) | instid1(VALU_DEP_1)
	v_cndmask_b32_e64 v3, 0, 1, s0
	v_add_nc_u32_e32 v3, v1, v3
.LBB71_2794:
	s_or_b32 exec_lo, exec_lo, s12
	s_mov_b32 s0, 0
	global_store_b8 v[6:7], v3, off
.LBB71_2795:
	s_mov_b32 s12, 0
.LBB71_2796:
	s_delay_alu instid0(SALU_CYCLE_1)
	s_and_b32 vcc_lo, exec_lo, s12
	s_cbranch_vccz .LBB71_2799
; %bb.2797:
	s_cmp_eq_u32 s6, 29
	s_mov_b32 s0, -1
	s_cbranch_scc0 .LBB71_2799
; %bb.2798:
	s_mov_b32 s0, 0
	s_mov_b32 s11, -1
	global_store_b64 v[6:7], v[8:9], off
.LBB71_2799:
	s_mov_b32 s12, 0
.LBB71_2800:
	s_delay_alu instid0(SALU_CYCLE_1)
	s_and_b32 vcc_lo, exec_lo, s12
	s_cbranch_vccz .LBB71_2816
; %bb.2801:
	s_cmp_lt_i32 s6, 27
	s_mov_b32 s11, -1
	s_cbranch_scc1 .LBB71_2807
; %bb.2802:
	s_cmp_gt_i32 s6, 27
	s_cbranch_scc0 .LBB71_2804
; %bb.2803:
	s_mov_b32 s11, 0
	global_store_b32 v[6:7], v8, off
.LBB71_2804:
	s_and_not1_b32 vcc_lo, exec_lo, s11
	s_cbranch_vccnz .LBB71_2806
; %bb.2805:
	global_store_b16 v[6:7], v8, off
.LBB71_2806:
	s_mov_b32 s11, 0
.LBB71_2807:
	s_delay_alu instid0(SALU_CYCLE_1)
	s_and_not1_b32 vcc_lo, exec_lo, s11
	s_cbranch_vccnz .LBB71_2815
; %bb.2808:
	s_wait_xcnt 0x0
	s_delay_alu instid0(VALU_DEP_1) | instskip(SKIP_3) | instid1(VALU_DEP_3)
	v_xor_b32_e32 v1, v8, v9
	v_cls_i32_e32 v3, v9
	v_mov_b32_e32 v5, 0x80
	s_mov_b32 s11, exec_lo
	v_ashrrev_i32_e32 v1, 31, v1
	s_delay_alu instid0(VALU_DEP_1) | instskip(NEXT) | instid1(VALU_DEP_1)
	v_add_nc_u32_e32 v1, 32, v1
	v_add_min_u32_e64 v1, v3, -1, v1
	s_delay_alu instid0(VALU_DEP_1) | instskip(SKIP_1) | instid1(VALU_DEP_2)
	v_lshlrev_b64_e32 v[12:13], v1, v[8:9]
	v_sub_nc_u32_e32 v1, 32, v1
	v_min_u32_e32 v3, 1, v12
	s_delay_alu instid0(VALU_DEP_1) | instskip(NEXT) | instid1(VALU_DEP_1)
	v_or_b32_e32 v3, v13, v3
	v_cvt_f32_i32_e32 v3, v3
	s_delay_alu instid0(VALU_DEP_1) | instskip(NEXT) | instid1(VALU_DEP_1)
	v_ldexp_f32 v1, v3, v1
	v_and_b32_e32 v3, 0x7fffffff, v1
	s_delay_alu instid0(VALU_DEP_1)
	v_cmpx_gt_u32_e32 0x43800000, v3
	s_cbranch_execz .LBB71_2814
; %bb.2809:
	v_cmp_lt_u32_e32 vcc_lo, 0x3bffffff, v3
	s_mov_b32 s12, 0
                                        ; implicit-def: $vgpr3
	s_and_saveexec_b32 s13, vcc_lo
	s_delay_alu instid0(SALU_CYCLE_1)
	s_xor_b32 s13, exec_lo, s13
	s_cbranch_execz .LBB71_3263
; %bb.2810:
	v_bfe_u32 v3, v1, 20, 1
	s_mov_b32 s12, exec_lo
	s_delay_alu instid0(VALU_DEP_1) | instskip(NEXT) | instid1(VALU_DEP_1)
	v_add3_u32 v3, v1, v3, 0x487ffff
	v_lshrrev_b32_e32 v3, 20, v3
	s_and_not1_saveexec_b32 s13, s13
	s_cbranch_execnz .LBB71_3264
.LBB71_2811:
	s_or_b32 exec_lo, exec_lo, s13
	v_mov_b32_e32 v5, 0
	s_and_saveexec_b32 s13, s12
.LBB71_2812:
	v_lshrrev_b32_e32 v1, 24, v1
	s_delay_alu instid0(VALU_DEP_1)
	v_and_or_b32 v5, 0x80, v1, v3
.LBB71_2813:
	s_or_b32 exec_lo, exec_lo, s13
.LBB71_2814:
	s_delay_alu instid0(SALU_CYCLE_1)
	s_or_b32 exec_lo, exec_lo, s11
	global_store_b8 v[6:7], v5, off
.LBB71_2815:
	s_mov_b32 s11, -1
.LBB71_2816:
	s_mov_b32 s12, 0
.LBB71_2817:
	s_delay_alu instid0(SALU_CYCLE_1)
	s_and_b32 vcc_lo, exec_lo, s12
	s_cbranch_vccz .LBB71_2857
; %bb.2818:
	s_cmp_gt_i32 s6, 22
	s_mov_b32 s10, -1
	s_cbranch_scc0 .LBB71_2850
; %bb.2819:
	s_cmp_lt_i32 s6, 24
	s_cbranch_scc1 .LBB71_2839
; %bb.2820:
	s_cmp_gt_i32 s6, 24
	s_cbranch_scc0 .LBB71_2828
; %bb.2821:
	s_wait_xcnt 0x0
	s_delay_alu instid0(VALU_DEP_1) | instskip(SKIP_3) | instid1(VALU_DEP_3)
	v_xor_b32_e32 v1, v8, v9
	v_cls_i32_e32 v3, v9
	v_mov_b32_e32 v5, 0x80
	s_mov_b32 s10, exec_lo
	v_ashrrev_i32_e32 v1, 31, v1
	s_delay_alu instid0(VALU_DEP_1) | instskip(NEXT) | instid1(VALU_DEP_1)
	v_add_nc_u32_e32 v1, 32, v1
	v_add_min_u32_e64 v1, v3, -1, v1
	s_delay_alu instid0(VALU_DEP_1) | instskip(SKIP_1) | instid1(VALU_DEP_2)
	v_lshlrev_b64_e32 v[12:13], v1, v[8:9]
	v_sub_nc_u32_e32 v1, 32, v1
	v_min_u32_e32 v3, 1, v12
	s_delay_alu instid0(VALU_DEP_1) | instskip(NEXT) | instid1(VALU_DEP_1)
	v_or_b32_e32 v3, v13, v3
	v_cvt_f32_i32_e32 v3, v3
	s_delay_alu instid0(VALU_DEP_1) | instskip(NEXT) | instid1(VALU_DEP_1)
	v_ldexp_f32 v1, v3, v1
	v_and_b32_e32 v3, 0x7fffffff, v1
	s_delay_alu instid0(VALU_DEP_1)
	v_cmpx_gt_u32_e32 0x47800000, v3
	s_cbranch_execz .LBB71_2827
; %bb.2822:
	v_cmp_lt_u32_e32 vcc_lo, 0x37ffffff, v3
	s_mov_b32 s11, 0
                                        ; implicit-def: $vgpr3
	s_and_saveexec_b32 s12, vcc_lo
	s_delay_alu instid0(SALU_CYCLE_1)
	s_xor_b32 s12, exec_lo, s12
	s_cbranch_execz .LBB71_3266
; %bb.2823:
	v_bfe_u32 v3, v1, 21, 1
	s_mov_b32 s11, exec_lo
	s_delay_alu instid0(VALU_DEP_1) | instskip(NEXT) | instid1(VALU_DEP_1)
	v_add3_u32 v3, v1, v3, 0x88fffff
	v_lshrrev_b32_e32 v3, 21, v3
	s_and_not1_saveexec_b32 s12, s12
	s_cbranch_execnz .LBB71_3267
.LBB71_2824:
	s_or_b32 exec_lo, exec_lo, s12
	v_mov_b32_e32 v5, 0
	s_and_saveexec_b32 s12, s11
.LBB71_2825:
	v_lshrrev_b32_e32 v1, 24, v1
	s_delay_alu instid0(VALU_DEP_1)
	v_and_or_b32 v5, 0x80, v1, v3
.LBB71_2826:
	s_or_b32 exec_lo, exec_lo, s12
.LBB71_2827:
	s_delay_alu instid0(SALU_CYCLE_1)
	s_or_b32 exec_lo, exec_lo, s10
	s_mov_b32 s10, 0
	global_store_b8 v[6:7], v5, off
.LBB71_2828:
	s_and_b32 vcc_lo, exec_lo, s10
	s_cbranch_vccz .LBB71_2838
; %bb.2829:
	s_wait_xcnt 0x0
	s_delay_alu instid0(VALU_DEP_1) | instskip(SKIP_2) | instid1(VALU_DEP_2)
	v_xor_b32_e32 v1, v8, v9
	v_cls_i32_e32 v3, v9
	s_mov_b32 s10, exec_lo
	v_ashrrev_i32_e32 v1, 31, v1
	s_delay_alu instid0(VALU_DEP_1) | instskip(NEXT) | instid1(VALU_DEP_1)
	v_add_nc_u32_e32 v1, 32, v1
	v_add_min_u32_e64 v1, v3, -1, v1
	s_delay_alu instid0(VALU_DEP_1) | instskip(SKIP_1) | instid1(VALU_DEP_2)
	v_lshlrev_b64_e32 v[12:13], v1, v[8:9]
	v_sub_nc_u32_e32 v1, 32, v1
	v_min_u32_e32 v3, 1, v12
	s_delay_alu instid0(VALU_DEP_1) | instskip(NEXT) | instid1(VALU_DEP_1)
	v_or_b32_e32 v3, v13, v3
	v_cvt_f32_i32_e32 v3, v3
	s_delay_alu instid0(VALU_DEP_1) | instskip(NEXT) | instid1(VALU_DEP_1)
	v_ldexp_f32 v1, v3, v1
                                        ; implicit-def: $vgpr3
	v_and_b32_e32 v5, 0x7fffffff, v1
	s_delay_alu instid0(VALU_DEP_1)
	v_cmpx_gt_u32_e32 0x43f00000, v5
	s_xor_b32 s10, exec_lo, s10
	s_cbranch_execz .LBB71_2835
; %bb.2830:
	s_mov_b32 s11, exec_lo
                                        ; implicit-def: $vgpr3
	v_cmpx_lt_u32_e32 0x3c7fffff, v5
	s_xor_b32 s11, exec_lo, s11
; %bb.2831:
	v_bfe_u32 v3, v1, 20, 1
	s_delay_alu instid0(VALU_DEP_1) | instskip(NEXT) | instid1(VALU_DEP_1)
	v_add3_u32 v3, v1, v3, 0x407ffff
	v_and_b32_e32 v5, 0xff00000, v3
	v_lshrrev_b32_e32 v3, 20, v3
	s_delay_alu instid0(VALU_DEP_2) | instskip(NEXT) | instid1(VALU_DEP_2)
	v_cmp_ne_u32_e32 vcc_lo, 0x7f00000, v5
	v_cndmask_b32_e32 v3, 0x7e, v3, vcc_lo
; %bb.2832:
	s_and_not1_saveexec_b32 s11, s11
; %bb.2833:
	v_add_f32_e64 v3, 0x46800000, |v1|
; %bb.2834:
	s_or_b32 exec_lo, exec_lo, s11
                                        ; implicit-def: $vgpr5
.LBB71_2835:
	s_and_not1_saveexec_b32 s10, s10
; %bb.2836:
	v_mov_b32_e32 v3, 0x7f
	v_cmp_lt_u32_e32 vcc_lo, 0x7f800000, v5
	s_delay_alu instid0(VALU_DEP_2)
	v_cndmask_b32_e32 v3, 0x7e, v3, vcc_lo
; %bb.2837:
	s_or_b32 exec_lo, exec_lo, s10
	v_lshrrev_b32_e32 v1, 24, v1
	s_delay_alu instid0(VALU_DEP_1)
	v_and_or_b32 v1, 0x80, v1, v3
	global_store_b8 v[6:7], v1, off
.LBB71_2838:
	s_mov_b32 s10, 0
.LBB71_2839:
	s_delay_alu instid0(SALU_CYCLE_1)
	s_and_not1_b32 vcc_lo, exec_lo, s10
	s_cbranch_vccnz .LBB71_2849
; %bb.2840:
	s_wait_xcnt 0x0
	s_delay_alu instid0(VALU_DEP_1) | instskip(SKIP_2) | instid1(VALU_DEP_2)
	v_xor_b32_e32 v1, v8, v9
	v_cls_i32_e32 v3, v9
	s_mov_b32 s10, exec_lo
	v_ashrrev_i32_e32 v1, 31, v1
	s_delay_alu instid0(VALU_DEP_1) | instskip(NEXT) | instid1(VALU_DEP_1)
	v_add_nc_u32_e32 v1, 32, v1
	v_add_min_u32_e64 v1, v3, -1, v1
	s_delay_alu instid0(VALU_DEP_1) | instskip(SKIP_1) | instid1(VALU_DEP_2)
	v_lshlrev_b64_e32 v[12:13], v1, v[8:9]
	v_sub_nc_u32_e32 v1, 32, v1
	v_min_u32_e32 v3, 1, v12
	s_delay_alu instid0(VALU_DEP_1) | instskip(NEXT) | instid1(VALU_DEP_1)
	v_or_b32_e32 v3, v13, v3
	v_cvt_f32_i32_e32 v3, v3
	s_delay_alu instid0(VALU_DEP_1) | instskip(NEXT) | instid1(VALU_DEP_1)
	v_ldexp_f32 v1, v3, v1
                                        ; implicit-def: $vgpr3
	v_and_b32_e32 v5, 0x7fffffff, v1
	s_delay_alu instid0(VALU_DEP_1)
	v_cmpx_gt_u32_e32 0x47800000, v5
	s_xor_b32 s10, exec_lo, s10
	s_cbranch_execz .LBB71_2846
; %bb.2841:
	s_mov_b32 s11, exec_lo
                                        ; implicit-def: $vgpr3
	v_cmpx_lt_u32_e32 0x387fffff, v5
	s_xor_b32 s11, exec_lo, s11
; %bb.2842:
	v_bfe_u32 v3, v1, 21, 1
	s_delay_alu instid0(VALU_DEP_1) | instskip(NEXT) | instid1(VALU_DEP_1)
	v_add3_u32 v3, v1, v3, 0x80fffff
	v_lshrrev_b32_e32 v3, 21, v3
; %bb.2843:
	s_and_not1_saveexec_b32 s11, s11
; %bb.2844:
	v_add_f32_e64 v3, 0x43000000, |v1|
; %bb.2845:
	s_or_b32 exec_lo, exec_lo, s11
                                        ; implicit-def: $vgpr5
.LBB71_2846:
	s_and_not1_saveexec_b32 s10, s10
; %bb.2847:
	v_mov_b32_e32 v3, 0x7f
	v_cmp_lt_u32_e32 vcc_lo, 0x7f800000, v5
	s_delay_alu instid0(VALU_DEP_2)
	v_cndmask_b32_e32 v3, 0x7c, v3, vcc_lo
; %bb.2848:
	s_or_b32 exec_lo, exec_lo, s10
	v_lshrrev_b32_e32 v1, 24, v1
	s_delay_alu instid0(VALU_DEP_1)
	v_and_or_b32 v1, 0x80, v1, v3
	global_store_b8 v[6:7], v1, off
.LBB71_2849:
	s_mov_b32 s10, 0
	s_mov_b32 s11, -1
.LBB71_2850:
	s_and_not1_b32 vcc_lo, exec_lo, s10
	s_mov_b32 s10, 0
	s_cbranch_vccnz .LBB71_2857
; %bb.2851:
	s_cmp_gt_i32 s6, 14
	s_mov_b32 s10, -1
	s_cbranch_scc0 .LBB71_2855
; %bb.2852:
	s_cmp_eq_u32 s6, 15
	s_mov_b32 s0, -1
	s_cbranch_scc0 .LBB71_2854
; %bb.2853:
	s_wait_xcnt 0x0
	s_delay_alu instid0(VALU_DEP_1) | instskip(SKIP_3) | instid1(VALU_DEP_2)
	v_xor_b32_e32 v1, v8, v9
	v_cls_i32_e32 v3, v9
	s_mov_b32 s11, -1
	s_mov_b32 s0, 0
	v_ashrrev_i32_e32 v1, 31, v1
	s_delay_alu instid0(VALU_DEP_1) | instskip(NEXT) | instid1(VALU_DEP_1)
	v_add_nc_u32_e32 v1, 32, v1
	v_add_min_u32_e64 v1, v3, -1, v1
	s_delay_alu instid0(VALU_DEP_1) | instskip(SKIP_1) | instid1(VALU_DEP_2)
	v_lshlrev_b64_e32 v[12:13], v1, v[8:9]
	v_sub_nc_u32_e32 v1, 32, v1
	v_min_u32_e32 v3, 1, v12
	s_delay_alu instid0(VALU_DEP_1) | instskip(NEXT) | instid1(VALU_DEP_1)
	v_or_b32_e32 v3, v13, v3
	v_cvt_f32_i32_e32 v3, v3
	s_delay_alu instid0(VALU_DEP_1) | instskip(NEXT) | instid1(VALU_DEP_1)
	v_ldexp_f32 v1, v3, v1
	v_bfe_u32 v3, v1, 16, 1
	s_delay_alu instid0(VALU_DEP_1)
	v_add3_u32 v1, v1, v3, 0x7fff
	global_store_d16_hi_b16 v[6:7], v1, off
.LBB71_2854:
	s_mov_b32 s10, 0
.LBB71_2855:
	s_delay_alu instid0(SALU_CYCLE_1)
	s_and_b32 vcc_lo, exec_lo, s10
	s_mov_b32 s10, 0
	s_cbranch_vccz .LBB71_2857
; %bb.2856:
	s_cmp_lg_u32 s6, 11
	s_mov_b32 s10, -1
	s_cselect_b32 s0, -1, 0
.LBB71_2857:
	s_delay_alu instid0(SALU_CYCLE_1)
	s_and_b32 vcc_lo, exec_lo, s0
	s_cbranch_vccnz .LBB71_3265
; %bb.2858:
	s_and_not1_b32 vcc_lo, exec_lo, s10
	s_cbranch_vccnz .LBB71_2860
.LBB71_2859:
	s_delay_alu instid0(VALU_DEP_1)
	v_cmp_ne_u64_e32 vcc_lo, 0, v[8:9]
	s_mov_b32 s11, -1
	s_wait_xcnt 0x0
	v_cndmask_b32_e64 v1, 0, 1, vcc_lo
	global_store_b8 v[6:7], v1, off
.LBB71_2860:
	s_mov_b32 s0, 0
	s_branch .LBB71_2862
.LBB71_2861:
	s_mov_b32 s0, -1
	s_mov_b32 s11, 0
.LBB71_2862:
	s_and_b32 vcc_lo, exec_lo, s0
	s_cbranch_vccz .LBB71_2901
; %bb.2863:
	s_and_b32 s0, 0xffff, s1
	s_mov_b32 s6, -1
	s_cmp_lt_i32 s0, 5
	s_cbranch_scc1 .LBB71_2884
; %bb.2864:
	s_cmp_lt_i32 s0, 8
	s_cbranch_scc1 .LBB71_2874
; %bb.2865:
	;; [unrolled: 3-line block ×3, first 2 shown]
	s_cmp_gt_i32 s0, 9
	s_cbranch_scc0 .LBB71_2868
; %bb.2867:
	s_delay_alu instid0(VALU_DEP_1) | instskip(NEXT) | instid1(VALU_DEP_2)
	v_cvt_f64_i32_e32 v[12:13], v9
	v_cvt_f64_u32_e32 v[24:25], v8
	s_mov_b32 s6, 0
	v_mov_b32_e32 v26, 0
	s_delay_alu instid0(VALU_DEP_1) | instskip(NEXT) | instid1(VALU_DEP_4)
	v_mov_b32_e32 v27, v26
	v_ldexp_f64 v[12:13], v[12:13], 32
	s_delay_alu instid0(VALU_DEP_1)
	v_add_f64_e32 v[24:25], v[12:13], v[24:25]
	global_store_b128 v[6:7], v[24:27], off
.LBB71_2868:
	s_and_not1_b32 vcc_lo, exec_lo, s6
	s_cbranch_vccnz .LBB71_2870
; %bb.2869:
	s_wait_xcnt 0x0
	s_delay_alu instid0(VALU_DEP_1) | instskip(SKIP_1) | instid1(VALU_DEP_2)
	v_xor_b32_e32 v1, v8, v9
	v_cls_i32_e32 v3, v9
	v_ashrrev_i32_e32 v1, 31, v1
	s_delay_alu instid0(VALU_DEP_1) | instskip(NEXT) | instid1(VALU_DEP_1)
	v_add_nc_u32_e32 v1, 32, v1
	v_add_min_u32_e64 v1, v3, -1, v1
	s_delay_alu instid0(VALU_DEP_1) | instskip(SKIP_1) | instid1(VALU_DEP_2)
	v_lshlrev_b64_e32 v[12:13], v1, v[8:9]
	v_sub_nc_u32_e32 v1, 32, v1
	v_min_u32_e32 v3, 1, v12
	s_delay_alu instid0(VALU_DEP_1) | instskip(NEXT) | instid1(VALU_DEP_1)
	v_dual_mov_b32 v13, 0 :: v_dual_bitop2_b32 v3, v13, v3 bitop3:0x54
	v_cvt_f32_i32_e32 v3, v3
	s_delay_alu instid0(VALU_DEP_1)
	v_ldexp_f32 v12, v3, v1
	global_store_b64 v[6:7], v[12:13], off
.LBB71_2870:
	s_mov_b32 s6, 0
.LBB71_2871:
	s_delay_alu instid0(SALU_CYCLE_1)
	s_and_not1_b32 vcc_lo, exec_lo, s6
	s_cbranch_vccnz .LBB71_2873
; %bb.2872:
	s_wait_xcnt 0x0
	s_delay_alu instid0(VALU_DEP_1) | instskip(SKIP_1) | instid1(VALU_DEP_2)
	v_xor_b32_e32 v1, v8, v9
	v_cls_i32_e32 v3, v9
	v_ashrrev_i32_e32 v1, 31, v1
	s_delay_alu instid0(VALU_DEP_1) | instskip(NEXT) | instid1(VALU_DEP_1)
	v_add_nc_u32_e32 v1, 32, v1
	v_add_min_u32_e64 v1, v3, -1, v1
	s_delay_alu instid0(VALU_DEP_1) | instskip(SKIP_1) | instid1(VALU_DEP_2)
	v_lshlrev_b64_e32 v[12:13], v1, v[8:9]
	v_sub_nc_u32_e32 v1, 32, v1
	v_min_u32_e32 v3, 1, v12
	s_delay_alu instid0(VALU_DEP_1) | instskip(NEXT) | instid1(VALU_DEP_1)
	v_or_b32_e32 v3, v13, v3
	v_cvt_f32_i32_e32 v3, v3
	s_delay_alu instid0(VALU_DEP_1) | instskip(NEXT) | instid1(VALU_DEP_1)
	v_ldexp_f32 v1, v3, v1
	v_cvt_f16_f32_e32 v1, v1
	s_delay_alu instid0(VALU_DEP_1)
	v_and_b32_e32 v1, 0xffff, v1
	global_store_b32 v[6:7], v1, off
.LBB71_2873:
	s_mov_b32 s6, 0
.LBB71_2874:
	s_delay_alu instid0(SALU_CYCLE_1)
	s_and_not1_b32 vcc_lo, exec_lo, s6
	s_cbranch_vccnz .LBB71_2883
; %bb.2875:
	s_cmp_lt_i32 s0, 6
	s_mov_b32 s6, -1
	s_cbranch_scc1 .LBB71_2881
; %bb.2876:
	s_cmp_gt_i32 s0, 6
	s_cbranch_scc0 .LBB71_2878
; %bb.2877:
	s_wait_xcnt 0x0
	s_delay_alu instid0(VALU_DEP_1) | instskip(NEXT) | instid1(VALU_DEP_2)
	v_cvt_f64_i32_e32 v[12:13], v9
	v_cvt_f64_u32_e32 v[24:25], v8
	s_mov_b32 s6, 0
	s_delay_alu instid0(VALU_DEP_2) | instskip(NEXT) | instid1(VALU_DEP_1)
	v_ldexp_f64 v[12:13], v[12:13], 32
	v_add_f64_e32 v[12:13], v[12:13], v[24:25]
	global_store_b64 v[6:7], v[12:13], off
.LBB71_2878:
	s_and_not1_b32 vcc_lo, exec_lo, s6
	s_cbranch_vccnz .LBB71_2880
; %bb.2879:
	s_wait_xcnt 0x0
	s_delay_alu instid0(VALU_DEP_1) | instskip(SKIP_1) | instid1(VALU_DEP_2)
	v_xor_b32_e32 v1, v8, v9
	v_cls_i32_e32 v3, v9
	v_ashrrev_i32_e32 v1, 31, v1
	s_delay_alu instid0(VALU_DEP_1) | instskip(NEXT) | instid1(VALU_DEP_1)
	v_add_nc_u32_e32 v1, 32, v1
	v_add_min_u32_e64 v1, v3, -1, v1
	s_delay_alu instid0(VALU_DEP_1) | instskip(SKIP_1) | instid1(VALU_DEP_2)
	v_lshlrev_b64_e32 v[12:13], v1, v[8:9]
	v_sub_nc_u32_e32 v1, 32, v1
	v_min_u32_e32 v3, 1, v12
	s_delay_alu instid0(VALU_DEP_1) | instskip(NEXT) | instid1(VALU_DEP_1)
	v_or_b32_e32 v3, v13, v3
	v_cvt_f32_i32_e32 v3, v3
	s_delay_alu instid0(VALU_DEP_1)
	v_ldexp_f32 v1, v3, v1
	global_store_b32 v[6:7], v1, off
.LBB71_2880:
	s_mov_b32 s6, 0
.LBB71_2881:
	s_delay_alu instid0(SALU_CYCLE_1)
	s_and_not1_b32 vcc_lo, exec_lo, s6
	s_cbranch_vccnz .LBB71_2883
; %bb.2882:
	s_wait_xcnt 0x0
	s_delay_alu instid0(VALU_DEP_1) | instskip(SKIP_1) | instid1(VALU_DEP_2)
	v_xor_b32_e32 v1, v8, v9
	v_cls_i32_e32 v3, v9
	v_ashrrev_i32_e32 v1, 31, v1
	s_delay_alu instid0(VALU_DEP_1) | instskip(NEXT) | instid1(VALU_DEP_1)
	v_add_nc_u32_e32 v1, 32, v1
	v_add_min_u32_e64 v1, v3, -1, v1
	s_delay_alu instid0(VALU_DEP_1) | instskip(SKIP_1) | instid1(VALU_DEP_2)
	v_lshlrev_b64_e32 v[12:13], v1, v[8:9]
	v_sub_nc_u32_e32 v1, 32, v1
	v_min_u32_e32 v3, 1, v12
	s_delay_alu instid0(VALU_DEP_1) | instskip(NEXT) | instid1(VALU_DEP_1)
	v_or_b32_e32 v3, v13, v3
	v_cvt_f32_i32_e32 v3, v3
	s_delay_alu instid0(VALU_DEP_1) | instskip(NEXT) | instid1(VALU_DEP_1)
	v_ldexp_f32 v1, v3, v1
	v_cvt_f16_f32_e32 v1, v1
	global_store_b16 v[6:7], v1, off
.LBB71_2883:
	s_mov_b32 s6, 0
.LBB71_2884:
	s_delay_alu instid0(SALU_CYCLE_1)
	s_and_not1_b32 vcc_lo, exec_lo, s6
	s_cbranch_vccnz .LBB71_2900
; %bb.2885:
	s_cmp_lt_i32 s0, 2
	s_mov_b32 s6, -1
	s_cbranch_scc1 .LBB71_2895
; %bb.2886:
	s_cmp_lt_i32 s0, 3
	s_cbranch_scc1 .LBB71_2892
; %bb.2887:
	s_cmp_gt_i32 s0, 3
	s_cbranch_scc0 .LBB71_2889
; %bb.2888:
	s_mov_b32 s6, 0
	global_store_b64 v[6:7], v[8:9], off
.LBB71_2889:
	s_and_not1_b32 vcc_lo, exec_lo, s6
	s_cbranch_vccnz .LBB71_2891
; %bb.2890:
	global_store_b32 v[6:7], v8, off
.LBB71_2891:
	s_mov_b32 s6, 0
.LBB71_2892:
	s_delay_alu instid0(SALU_CYCLE_1)
	s_and_not1_b32 vcc_lo, exec_lo, s6
	s_cbranch_vccnz .LBB71_2894
; %bb.2893:
	global_store_b16 v[6:7], v8, off
.LBB71_2894:
	s_mov_b32 s6, 0
.LBB71_2895:
	s_delay_alu instid0(SALU_CYCLE_1)
	s_and_not1_b32 vcc_lo, exec_lo, s6
	s_cbranch_vccnz .LBB71_2900
; %bb.2896:
	s_cmp_gt_i32 s0, 0
	s_mov_b32 s0, -1
	s_cbranch_scc0 .LBB71_2898
; %bb.2897:
	s_mov_b32 s0, 0
	global_store_b8 v[6:7], v8, off
.LBB71_2898:
	s_and_not1_b32 vcc_lo, exec_lo, s0
	s_cbranch_vccnz .LBB71_2900
; %bb.2899:
	global_store_b8 v[6:7], v8, off
.LBB71_2900:
	s_mov_b32 s11, -1
.LBB71_2901:
	s_delay_alu instid0(SALU_CYCLE_1)
	s_and_not1_b32 vcc_lo, exec_lo, s11
	s_cbranch_vccnz .LBB71_3216
; %bb.2902:
	s_wait_xcnt 0x0
	v_mul_u64_e32 v[6:7], s[4:5], v[14:15]
	v_mov_b32_e32 v5, 0
	s_and_b32 s6, 0xffff, s1
	s_delay_alu instid0(SALU_CYCLE_1) | instskip(NEXT) | instid1(VALU_DEP_1)
	s_cmp_lt_i32 s6, 11
	v_add_nc_u64_e32 v[4:5], s[2:3], v[4:5]
	s_delay_alu instid0(VALU_DEP_3)
	v_mul_u64_e32 v[6:7], v[6:7], v[18:19]
	s_cbranch_scc1 .LBB71_2980
; %bb.2903:
	s_mov_b32 s12, -1
	s_mov_b32 s10, 0
	s_cmp_gt_i32 s6, 25
	s_mov_b32 s11, 0
	s_mov_b32 s0, 0
	s_cbranch_scc0 .LBB71_2936
; %bb.2904:
	s_cmp_gt_i32 s6, 28
	s_cbranch_scc0 .LBB71_2919
; %bb.2905:
	s_cmp_gt_i32 s6, 43
	;; [unrolled: 3-line block ×3, first 2 shown]
	s_cbranch_scc0 .LBB71_2909
; %bb.2907:
	s_mov_b32 s0, -1
	s_mov_b32 s12, 0
	s_cmp_eq_u32 s6, 46
	s_cbranch_scc0 .LBB71_2909
; %bb.2908:
	s_delay_alu instid0(VALU_DEP_1) | instskip(SKIP_3) | instid1(VALU_DEP_2)
	v_xor_b32_e32 v1, v6, v7
	v_cls_i32_e32 v3, v7
	s_mov_b32 s11, -1
	s_mov_b32 s0, 0
	v_ashrrev_i32_e32 v1, 31, v1
	s_delay_alu instid0(VALU_DEP_1) | instskip(NEXT) | instid1(VALU_DEP_1)
	v_add_nc_u32_e32 v1, 32, v1
	v_add_min_u32_e64 v1, v3, -1, v1
	s_delay_alu instid0(VALU_DEP_1) | instskip(SKIP_1) | instid1(VALU_DEP_2)
	v_lshlrev_b64_e32 v[8:9], v1, v[6:7]
	v_sub_nc_u32_e32 v1, 32, v1
	v_min_u32_e32 v3, 1, v8
	s_delay_alu instid0(VALU_DEP_1) | instskip(NEXT) | instid1(VALU_DEP_1)
	v_or_b32_e32 v3, v9, v3
	v_cvt_f32_i32_e32 v3, v3
	s_delay_alu instid0(VALU_DEP_1) | instskip(NEXT) | instid1(VALU_DEP_1)
	v_ldexp_f32 v1, v3, v1
	v_bfe_u32 v3, v1, 16, 1
	s_delay_alu instid0(VALU_DEP_1) | instskip(NEXT) | instid1(VALU_DEP_1)
	v_add3_u32 v1, v1, v3, 0x7fff
	v_lshrrev_b32_e32 v1, 16, v1
	global_store_b32 v[4:5], v1, off
.LBB71_2909:
	s_and_b32 vcc_lo, exec_lo, s12
	s_cbranch_vccz .LBB71_2914
; %bb.2910:
	s_cmp_eq_u32 s6, 44
	s_mov_b32 s0, -1
	s_cbranch_scc0 .LBB71_2914
; %bb.2911:
	s_wait_xcnt 0x0
	s_delay_alu instid0(VALU_DEP_1) | instskip(SKIP_3) | instid1(VALU_DEP_2)
	v_xor_b32_e32 v1, v6, v7
	v_cls_i32_e32 v3, v7
	s_mov_b32 s11, -1
	s_mov_b32 s12, exec_lo
	v_ashrrev_i32_e32 v1, 31, v1
	s_delay_alu instid0(VALU_DEP_1) | instskip(NEXT) | instid1(VALU_DEP_1)
	v_add_nc_u32_e32 v1, 32, v1
	v_add_min_u32_e64 v1, v3, -1, v1
	s_delay_alu instid0(VALU_DEP_1) | instskip(SKIP_1) | instid1(VALU_DEP_2)
	v_lshlrev_b64_e32 v[8:9], v1, v[6:7]
	v_sub_nc_u32_e32 v1, 32, v1
	v_min_u32_e32 v3, 1, v8
	s_delay_alu instid0(VALU_DEP_1) | instskip(NEXT) | instid1(VALU_DEP_1)
	v_or_b32_e32 v3, v9, v3
	v_cvt_f32_i32_e32 v3, v3
	s_delay_alu instid0(VALU_DEP_1) | instskip(SKIP_1) | instid1(VALU_DEP_2)
	v_ldexp_f32 v1, v3, v1
	v_mov_b32_e32 v3, 0xff
	v_bfe_u32 v8, v1, 23, 8
	s_delay_alu instid0(VALU_DEP_1)
	v_cmpx_ne_u32_e32 0xff, v8
	s_cbranch_execz .LBB71_2913
; %bb.2912:
	v_and_b32_e32 v3, 0x400000, v1
	v_and_or_b32 v8, 0x3fffff, v1, v8
	v_lshrrev_b32_e32 v1, 23, v1
	s_delay_alu instid0(VALU_DEP_3) | instskip(NEXT) | instid1(VALU_DEP_3)
	v_cmp_ne_u32_e32 vcc_lo, 0, v3
	v_cmp_ne_u32_e64 s0, 0, v8
	s_and_b32 s0, vcc_lo, s0
	s_delay_alu instid0(SALU_CYCLE_1) | instskip(NEXT) | instid1(VALU_DEP_1)
	v_cndmask_b32_e64 v3, 0, 1, s0
	v_add_nc_u32_e32 v3, v1, v3
.LBB71_2913:
	s_or_b32 exec_lo, exec_lo, s12
	s_mov_b32 s0, 0
	global_store_b8 v[4:5], v3, off
.LBB71_2914:
	s_mov_b32 s12, 0
.LBB71_2915:
	s_delay_alu instid0(SALU_CYCLE_1)
	s_and_b32 vcc_lo, exec_lo, s12
	s_cbranch_vccz .LBB71_2918
; %bb.2916:
	s_cmp_eq_u32 s6, 29
	s_mov_b32 s0, -1
	s_cbranch_scc0 .LBB71_2918
; %bb.2917:
	s_mov_b32 s0, 0
	s_mov_b32 s11, -1
	global_store_b64 v[4:5], v[6:7], off
.LBB71_2918:
	s_mov_b32 s12, 0
.LBB71_2919:
	s_delay_alu instid0(SALU_CYCLE_1)
	s_and_b32 vcc_lo, exec_lo, s12
	s_cbranch_vccz .LBB71_2935
; %bb.2920:
	s_cmp_lt_i32 s6, 27
	s_mov_b32 s11, -1
	s_cbranch_scc1 .LBB71_2926
; %bb.2921:
	s_cmp_gt_i32 s6, 27
	s_cbranch_scc0 .LBB71_2923
; %bb.2922:
	s_mov_b32 s11, 0
	global_store_b32 v[4:5], v6, off
.LBB71_2923:
	s_and_not1_b32 vcc_lo, exec_lo, s11
	s_cbranch_vccnz .LBB71_2925
; %bb.2924:
	global_store_b16 v[4:5], v6, off
.LBB71_2925:
	s_mov_b32 s11, 0
.LBB71_2926:
	s_delay_alu instid0(SALU_CYCLE_1)
	s_and_not1_b32 vcc_lo, exec_lo, s11
	s_cbranch_vccnz .LBB71_2934
; %bb.2927:
	s_wait_xcnt 0x0
	s_delay_alu instid0(VALU_DEP_1) | instskip(SKIP_2) | instid1(VALU_DEP_2)
	v_xor_b32_e32 v1, v6, v7
	v_cls_i32_e32 v3, v7
	s_mov_b32 s11, exec_lo
	v_ashrrev_i32_e32 v1, 31, v1
	s_delay_alu instid0(VALU_DEP_1) | instskip(NEXT) | instid1(VALU_DEP_1)
	v_add_nc_u32_e32 v1, 32, v1
	v_add_min_u32_e64 v1, v3, -1, v1
	s_delay_alu instid0(VALU_DEP_1) | instskip(SKIP_1) | instid1(VALU_DEP_2)
	v_lshlrev_b64_e32 v[8:9], v1, v[6:7]
	v_sub_nc_u32_e32 v1, 32, v1
	v_min_u32_e32 v3, 1, v8
	v_mov_b32_e32 v8, 0x80
	s_delay_alu instid0(VALU_DEP_2) | instskip(NEXT) | instid1(VALU_DEP_1)
	v_or_b32_e32 v3, v9, v3
	v_cvt_f32_i32_e32 v3, v3
	s_delay_alu instid0(VALU_DEP_1) | instskip(NEXT) | instid1(VALU_DEP_1)
	v_ldexp_f32 v1, v3, v1
	v_and_b32_e32 v3, 0x7fffffff, v1
	s_delay_alu instid0(VALU_DEP_1)
	v_cmpx_gt_u32_e32 0x43800000, v3
	s_cbranch_execz .LBB71_2933
; %bb.2928:
	v_cmp_lt_u32_e32 vcc_lo, 0x3bffffff, v3
	s_mov_b32 s12, 0
                                        ; implicit-def: $vgpr3
	s_and_saveexec_b32 s13, vcc_lo
	s_delay_alu instid0(SALU_CYCLE_1)
	s_xor_b32 s13, exec_lo, s13
	s_cbranch_execz .LBB71_3268
; %bb.2929:
	v_bfe_u32 v3, v1, 20, 1
	s_mov_b32 s12, exec_lo
	s_delay_alu instid0(VALU_DEP_1) | instskip(NEXT) | instid1(VALU_DEP_1)
	v_add3_u32 v3, v1, v3, 0x487ffff
	v_lshrrev_b32_e32 v3, 20, v3
	s_and_not1_saveexec_b32 s13, s13
	s_cbranch_execnz .LBB71_3269
.LBB71_2930:
	s_or_b32 exec_lo, exec_lo, s13
	v_mov_b32_e32 v8, 0
	s_and_saveexec_b32 s13, s12
.LBB71_2931:
	v_lshrrev_b32_e32 v1, 24, v1
	s_delay_alu instid0(VALU_DEP_1)
	v_and_or_b32 v8, 0x80, v1, v3
.LBB71_2932:
	s_or_b32 exec_lo, exec_lo, s13
.LBB71_2933:
	s_delay_alu instid0(SALU_CYCLE_1)
	s_or_b32 exec_lo, exec_lo, s11
	global_store_b8 v[4:5], v8, off
.LBB71_2934:
	s_mov_b32 s11, -1
.LBB71_2935:
	s_mov_b32 s12, 0
.LBB71_2936:
	s_delay_alu instid0(SALU_CYCLE_1)
	s_and_b32 vcc_lo, exec_lo, s12
	s_cbranch_vccz .LBB71_2976
; %bb.2937:
	s_cmp_gt_i32 s6, 22
	s_mov_b32 s10, -1
	s_cbranch_scc0 .LBB71_2969
; %bb.2938:
	s_cmp_lt_i32 s6, 24
	s_cbranch_scc1 .LBB71_2958
; %bb.2939:
	s_cmp_gt_i32 s6, 24
	s_cbranch_scc0 .LBB71_2947
; %bb.2940:
	s_wait_xcnt 0x0
	s_delay_alu instid0(VALU_DEP_1) | instskip(SKIP_2) | instid1(VALU_DEP_2)
	v_xor_b32_e32 v1, v6, v7
	v_cls_i32_e32 v3, v7
	s_mov_b32 s10, exec_lo
	v_ashrrev_i32_e32 v1, 31, v1
	s_delay_alu instid0(VALU_DEP_1) | instskip(NEXT) | instid1(VALU_DEP_1)
	v_add_nc_u32_e32 v1, 32, v1
	v_add_min_u32_e64 v1, v3, -1, v1
	s_delay_alu instid0(VALU_DEP_1) | instskip(SKIP_1) | instid1(VALU_DEP_2)
	v_lshlrev_b64_e32 v[8:9], v1, v[6:7]
	v_sub_nc_u32_e32 v1, 32, v1
	v_min_u32_e32 v3, 1, v8
	v_mov_b32_e32 v8, 0x80
	s_delay_alu instid0(VALU_DEP_2) | instskip(NEXT) | instid1(VALU_DEP_1)
	v_or_b32_e32 v3, v9, v3
	v_cvt_f32_i32_e32 v3, v3
	s_delay_alu instid0(VALU_DEP_1) | instskip(NEXT) | instid1(VALU_DEP_1)
	v_ldexp_f32 v1, v3, v1
	v_and_b32_e32 v3, 0x7fffffff, v1
	s_delay_alu instid0(VALU_DEP_1)
	v_cmpx_gt_u32_e32 0x47800000, v3
	s_cbranch_execz .LBB71_2946
; %bb.2941:
	v_cmp_lt_u32_e32 vcc_lo, 0x37ffffff, v3
	s_mov_b32 s11, 0
                                        ; implicit-def: $vgpr3
	s_and_saveexec_b32 s12, vcc_lo
	s_delay_alu instid0(SALU_CYCLE_1)
	s_xor_b32 s12, exec_lo, s12
	s_cbranch_execz .LBB71_3271
; %bb.2942:
	v_bfe_u32 v3, v1, 21, 1
	s_mov_b32 s11, exec_lo
	s_delay_alu instid0(VALU_DEP_1) | instskip(NEXT) | instid1(VALU_DEP_1)
	v_add3_u32 v3, v1, v3, 0x88fffff
	v_lshrrev_b32_e32 v3, 21, v3
	s_and_not1_saveexec_b32 s12, s12
	s_cbranch_execnz .LBB71_3272
.LBB71_2943:
	s_or_b32 exec_lo, exec_lo, s12
	v_mov_b32_e32 v8, 0
	s_and_saveexec_b32 s12, s11
.LBB71_2944:
	v_lshrrev_b32_e32 v1, 24, v1
	s_delay_alu instid0(VALU_DEP_1)
	v_and_or_b32 v8, 0x80, v1, v3
.LBB71_2945:
	s_or_b32 exec_lo, exec_lo, s12
.LBB71_2946:
	s_delay_alu instid0(SALU_CYCLE_1)
	s_or_b32 exec_lo, exec_lo, s10
	s_mov_b32 s10, 0
	global_store_b8 v[4:5], v8, off
.LBB71_2947:
	s_and_b32 vcc_lo, exec_lo, s10
	s_cbranch_vccz .LBB71_2957
; %bb.2948:
	s_wait_xcnt 0x0
	s_delay_alu instid0(VALU_DEP_1) | instskip(SKIP_2) | instid1(VALU_DEP_2)
	v_xor_b32_e32 v1, v6, v7
	v_cls_i32_e32 v3, v7
	s_mov_b32 s10, exec_lo
	v_ashrrev_i32_e32 v1, 31, v1
	s_delay_alu instid0(VALU_DEP_1) | instskip(NEXT) | instid1(VALU_DEP_1)
	v_add_nc_u32_e32 v1, 32, v1
	v_add_min_u32_e64 v1, v3, -1, v1
	s_delay_alu instid0(VALU_DEP_1) | instskip(SKIP_1) | instid1(VALU_DEP_2)
	v_lshlrev_b64_e32 v[8:9], v1, v[6:7]
	v_sub_nc_u32_e32 v1, 32, v1
	v_min_u32_e32 v3, 1, v8
	s_delay_alu instid0(VALU_DEP_1) | instskip(NEXT) | instid1(VALU_DEP_1)
	v_or_b32_e32 v3, v9, v3
	v_cvt_f32_i32_e32 v3, v3
	s_delay_alu instid0(VALU_DEP_1) | instskip(NEXT) | instid1(VALU_DEP_1)
	v_ldexp_f32 v1, v3, v1
                                        ; implicit-def: $vgpr3
	v_and_b32_e32 v8, 0x7fffffff, v1
	s_delay_alu instid0(VALU_DEP_1)
	v_cmpx_gt_u32_e32 0x43f00000, v8
	s_xor_b32 s10, exec_lo, s10
	s_cbranch_execz .LBB71_2954
; %bb.2949:
	s_mov_b32 s11, exec_lo
                                        ; implicit-def: $vgpr3
	v_cmpx_lt_u32_e32 0x3c7fffff, v8
	s_xor_b32 s11, exec_lo, s11
; %bb.2950:
	v_bfe_u32 v3, v1, 20, 1
	s_delay_alu instid0(VALU_DEP_1) | instskip(NEXT) | instid1(VALU_DEP_1)
	v_add3_u32 v3, v1, v3, 0x407ffff
	v_and_b32_e32 v8, 0xff00000, v3
	v_lshrrev_b32_e32 v3, 20, v3
	s_delay_alu instid0(VALU_DEP_2) | instskip(NEXT) | instid1(VALU_DEP_2)
	v_cmp_ne_u32_e32 vcc_lo, 0x7f00000, v8
	v_cndmask_b32_e32 v3, 0x7e, v3, vcc_lo
; %bb.2951:
	s_and_not1_saveexec_b32 s11, s11
; %bb.2952:
	v_add_f32_e64 v3, 0x46800000, |v1|
; %bb.2953:
	s_or_b32 exec_lo, exec_lo, s11
                                        ; implicit-def: $vgpr8
.LBB71_2954:
	s_and_not1_saveexec_b32 s10, s10
; %bb.2955:
	v_mov_b32_e32 v3, 0x7f
	v_cmp_lt_u32_e32 vcc_lo, 0x7f800000, v8
	s_delay_alu instid0(VALU_DEP_2)
	v_cndmask_b32_e32 v3, 0x7e, v3, vcc_lo
; %bb.2956:
	s_or_b32 exec_lo, exec_lo, s10
	v_lshrrev_b32_e32 v1, 24, v1
	s_delay_alu instid0(VALU_DEP_1)
	v_and_or_b32 v1, 0x80, v1, v3
	global_store_b8 v[4:5], v1, off
.LBB71_2957:
	s_mov_b32 s10, 0
.LBB71_2958:
	s_delay_alu instid0(SALU_CYCLE_1)
	s_and_not1_b32 vcc_lo, exec_lo, s10
	s_cbranch_vccnz .LBB71_2968
; %bb.2959:
	s_wait_xcnt 0x0
	s_delay_alu instid0(VALU_DEP_1) | instskip(SKIP_2) | instid1(VALU_DEP_2)
	v_xor_b32_e32 v1, v6, v7
	v_cls_i32_e32 v3, v7
	s_mov_b32 s10, exec_lo
	v_ashrrev_i32_e32 v1, 31, v1
	s_delay_alu instid0(VALU_DEP_1) | instskip(NEXT) | instid1(VALU_DEP_1)
	v_add_nc_u32_e32 v1, 32, v1
	v_add_min_u32_e64 v1, v3, -1, v1
	s_delay_alu instid0(VALU_DEP_1) | instskip(SKIP_1) | instid1(VALU_DEP_2)
	v_lshlrev_b64_e32 v[8:9], v1, v[6:7]
	v_sub_nc_u32_e32 v1, 32, v1
	v_min_u32_e32 v3, 1, v8
	s_delay_alu instid0(VALU_DEP_1) | instskip(NEXT) | instid1(VALU_DEP_1)
	v_or_b32_e32 v3, v9, v3
	v_cvt_f32_i32_e32 v3, v3
	s_delay_alu instid0(VALU_DEP_1) | instskip(NEXT) | instid1(VALU_DEP_1)
	v_ldexp_f32 v1, v3, v1
                                        ; implicit-def: $vgpr3
	v_and_b32_e32 v8, 0x7fffffff, v1
	s_delay_alu instid0(VALU_DEP_1)
	v_cmpx_gt_u32_e32 0x47800000, v8
	s_xor_b32 s10, exec_lo, s10
	s_cbranch_execz .LBB71_2965
; %bb.2960:
	s_mov_b32 s11, exec_lo
                                        ; implicit-def: $vgpr3
	v_cmpx_lt_u32_e32 0x387fffff, v8
	s_xor_b32 s11, exec_lo, s11
; %bb.2961:
	v_bfe_u32 v3, v1, 21, 1
	s_delay_alu instid0(VALU_DEP_1) | instskip(NEXT) | instid1(VALU_DEP_1)
	v_add3_u32 v3, v1, v3, 0x80fffff
	v_lshrrev_b32_e32 v3, 21, v3
; %bb.2962:
	s_and_not1_saveexec_b32 s11, s11
; %bb.2963:
	v_add_f32_e64 v3, 0x43000000, |v1|
; %bb.2964:
	s_or_b32 exec_lo, exec_lo, s11
                                        ; implicit-def: $vgpr8
.LBB71_2965:
	s_and_not1_saveexec_b32 s10, s10
; %bb.2966:
	v_mov_b32_e32 v3, 0x7f
	v_cmp_lt_u32_e32 vcc_lo, 0x7f800000, v8
	s_delay_alu instid0(VALU_DEP_2)
	v_cndmask_b32_e32 v3, 0x7c, v3, vcc_lo
; %bb.2967:
	s_or_b32 exec_lo, exec_lo, s10
	v_lshrrev_b32_e32 v1, 24, v1
	s_delay_alu instid0(VALU_DEP_1)
	v_and_or_b32 v1, 0x80, v1, v3
	global_store_b8 v[4:5], v1, off
.LBB71_2968:
	s_mov_b32 s10, 0
	s_mov_b32 s11, -1
.LBB71_2969:
	s_and_not1_b32 vcc_lo, exec_lo, s10
	s_mov_b32 s10, 0
	s_cbranch_vccnz .LBB71_2976
; %bb.2970:
	s_cmp_gt_i32 s6, 14
	s_mov_b32 s10, -1
	s_cbranch_scc0 .LBB71_2974
; %bb.2971:
	s_cmp_eq_u32 s6, 15
	s_mov_b32 s0, -1
	s_cbranch_scc0 .LBB71_2973
; %bb.2972:
	s_wait_xcnt 0x0
	s_delay_alu instid0(VALU_DEP_1) | instskip(SKIP_3) | instid1(VALU_DEP_2)
	v_xor_b32_e32 v1, v6, v7
	v_cls_i32_e32 v3, v7
	s_mov_b32 s11, -1
	s_mov_b32 s0, 0
	v_ashrrev_i32_e32 v1, 31, v1
	s_delay_alu instid0(VALU_DEP_1) | instskip(NEXT) | instid1(VALU_DEP_1)
	v_add_nc_u32_e32 v1, 32, v1
	v_add_min_u32_e64 v1, v3, -1, v1
	s_delay_alu instid0(VALU_DEP_1) | instskip(SKIP_1) | instid1(VALU_DEP_2)
	v_lshlrev_b64_e32 v[8:9], v1, v[6:7]
	v_sub_nc_u32_e32 v1, 32, v1
	v_min_u32_e32 v3, 1, v8
	s_delay_alu instid0(VALU_DEP_1) | instskip(NEXT) | instid1(VALU_DEP_1)
	v_or_b32_e32 v3, v9, v3
	v_cvt_f32_i32_e32 v3, v3
	s_delay_alu instid0(VALU_DEP_1) | instskip(NEXT) | instid1(VALU_DEP_1)
	v_ldexp_f32 v1, v3, v1
	v_bfe_u32 v3, v1, 16, 1
	s_delay_alu instid0(VALU_DEP_1)
	v_add3_u32 v1, v1, v3, 0x7fff
	global_store_d16_hi_b16 v[4:5], v1, off
.LBB71_2973:
	s_mov_b32 s10, 0
.LBB71_2974:
	s_delay_alu instid0(SALU_CYCLE_1)
	s_and_b32 vcc_lo, exec_lo, s10
	s_mov_b32 s10, 0
	s_cbranch_vccz .LBB71_2976
; %bb.2975:
	s_cmp_lg_u32 s6, 11
	s_mov_b32 s10, -1
	s_cselect_b32 s0, -1, 0
.LBB71_2976:
	s_delay_alu instid0(SALU_CYCLE_1)
	s_and_b32 vcc_lo, exec_lo, s0
	s_cbranch_vccnz .LBB71_3270
; %bb.2977:
	s_and_not1_b32 vcc_lo, exec_lo, s10
	s_cbranch_vccnz .LBB71_2979
.LBB71_2978:
	s_delay_alu instid0(VALU_DEP_1)
	v_cmp_ne_u64_e32 vcc_lo, 0, v[6:7]
	s_mov_b32 s11, -1
	s_wait_xcnt 0x0
	v_cndmask_b32_e64 v1, 0, 1, vcc_lo
	global_store_b8 v[4:5], v1, off
.LBB71_2979:
	s_mov_b32 s0, 0
	s_branch .LBB71_2981
.LBB71_2980:
	s_mov_b32 s0, -1
	s_mov_b32 s11, 0
.LBB71_2981:
	s_and_b32 vcc_lo, exec_lo, s0
	s_cbranch_vccz .LBB71_3020
; %bb.2982:
	s_cmp_lt_i32 s6, 5
	s_mov_b32 s0, -1
	s_cbranch_scc1 .LBB71_3003
; %bb.2983:
	s_cmp_lt_i32 s6, 8
	s_cbranch_scc1 .LBB71_2993
; %bb.2984:
	s_cmp_lt_i32 s6, 9
	s_cbranch_scc1 .LBB71_2990
; %bb.2985:
	s_cmp_gt_i32 s6, 9
	s_cbranch_scc0 .LBB71_2987
; %bb.2986:
	s_wait_xcnt 0x0
	s_delay_alu instid0(VALU_DEP_1) | instskip(NEXT) | instid1(VALU_DEP_2)
	v_cvt_f64_i32_e32 v[8:9], v7
	v_cvt_f64_u32_e32 v[12:13], v6
	s_mov_b32 s0, 0
	v_mov_b32_e32 v14, 0
	s_delay_alu instid0(VALU_DEP_1) | instskip(NEXT) | instid1(VALU_DEP_4)
	v_mov_b32_e32 v15, v14
	v_ldexp_f64 v[8:9], v[8:9], 32
	s_delay_alu instid0(VALU_DEP_1)
	v_add_f64_e32 v[12:13], v[8:9], v[12:13]
	global_store_b128 v[4:5], v[12:15], off
.LBB71_2987:
	s_and_not1_b32 vcc_lo, exec_lo, s0
	s_cbranch_vccnz .LBB71_2989
; %bb.2988:
	s_wait_xcnt 0x0
	s_delay_alu instid0(VALU_DEP_1) | instskip(SKIP_1) | instid1(VALU_DEP_2)
	v_xor_b32_e32 v1, v6, v7
	v_cls_i32_e32 v3, v7
	v_ashrrev_i32_e32 v1, 31, v1
	s_delay_alu instid0(VALU_DEP_1) | instskip(NEXT) | instid1(VALU_DEP_1)
	v_add_nc_u32_e32 v1, 32, v1
	v_add_min_u32_e64 v1, v3, -1, v1
	s_delay_alu instid0(VALU_DEP_1) | instskip(SKIP_1) | instid1(VALU_DEP_2)
	v_lshlrev_b64_e32 v[8:9], v1, v[6:7]
	v_sub_nc_u32_e32 v1, 32, v1
	v_min_u32_e32 v3, 1, v8
	s_delay_alu instid0(VALU_DEP_1) | instskip(NEXT) | instid1(VALU_DEP_1)
	v_dual_mov_b32 v9, 0 :: v_dual_bitop2_b32 v3, v9, v3 bitop3:0x54
	v_cvt_f32_i32_e32 v3, v3
	s_delay_alu instid0(VALU_DEP_1)
	v_ldexp_f32 v8, v3, v1
	global_store_b64 v[4:5], v[8:9], off
.LBB71_2989:
	s_mov_b32 s0, 0
.LBB71_2990:
	s_delay_alu instid0(SALU_CYCLE_1)
	s_and_not1_b32 vcc_lo, exec_lo, s0
	s_cbranch_vccnz .LBB71_2992
; %bb.2991:
	s_wait_xcnt 0x0
	s_delay_alu instid0(VALU_DEP_1) | instskip(SKIP_1) | instid1(VALU_DEP_2)
	v_xor_b32_e32 v1, v6, v7
	v_cls_i32_e32 v3, v7
	v_ashrrev_i32_e32 v1, 31, v1
	s_delay_alu instid0(VALU_DEP_1) | instskip(NEXT) | instid1(VALU_DEP_1)
	v_add_nc_u32_e32 v1, 32, v1
	v_add_min_u32_e64 v1, v3, -1, v1
	s_delay_alu instid0(VALU_DEP_1) | instskip(SKIP_1) | instid1(VALU_DEP_2)
	v_lshlrev_b64_e32 v[8:9], v1, v[6:7]
	v_sub_nc_u32_e32 v1, 32, v1
	v_min_u32_e32 v3, 1, v8
	s_delay_alu instid0(VALU_DEP_1) | instskip(NEXT) | instid1(VALU_DEP_1)
	v_or_b32_e32 v3, v9, v3
	v_cvt_f32_i32_e32 v3, v3
	s_delay_alu instid0(VALU_DEP_1) | instskip(NEXT) | instid1(VALU_DEP_1)
	v_ldexp_f32 v1, v3, v1
	v_cvt_f16_f32_e32 v1, v1
	s_delay_alu instid0(VALU_DEP_1)
	v_and_b32_e32 v1, 0xffff, v1
	global_store_b32 v[4:5], v1, off
.LBB71_2992:
	s_mov_b32 s0, 0
.LBB71_2993:
	s_delay_alu instid0(SALU_CYCLE_1)
	s_and_not1_b32 vcc_lo, exec_lo, s0
	s_cbranch_vccnz .LBB71_3002
; %bb.2994:
	s_cmp_lt_i32 s6, 6
	s_mov_b32 s0, -1
	s_cbranch_scc1 .LBB71_3000
; %bb.2995:
	s_cmp_gt_i32 s6, 6
	s_cbranch_scc0 .LBB71_2997
; %bb.2996:
	s_wait_xcnt 0x0
	s_delay_alu instid0(VALU_DEP_1) | instskip(NEXT) | instid1(VALU_DEP_2)
	v_cvt_f64_i32_e32 v[8:9], v7
	v_cvt_f64_u32_e32 v[12:13], v6
	s_mov_b32 s0, 0
	s_delay_alu instid0(VALU_DEP_2) | instskip(NEXT) | instid1(VALU_DEP_1)
	v_ldexp_f64 v[8:9], v[8:9], 32
	v_add_f64_e32 v[8:9], v[8:9], v[12:13]
	global_store_b64 v[4:5], v[8:9], off
.LBB71_2997:
	s_and_not1_b32 vcc_lo, exec_lo, s0
	s_cbranch_vccnz .LBB71_2999
; %bb.2998:
	s_wait_xcnt 0x0
	s_delay_alu instid0(VALU_DEP_1) | instskip(SKIP_1) | instid1(VALU_DEP_2)
	v_xor_b32_e32 v1, v6, v7
	v_cls_i32_e32 v3, v7
	v_ashrrev_i32_e32 v1, 31, v1
	s_delay_alu instid0(VALU_DEP_1) | instskip(NEXT) | instid1(VALU_DEP_1)
	v_add_nc_u32_e32 v1, 32, v1
	v_add_min_u32_e64 v1, v3, -1, v1
	s_delay_alu instid0(VALU_DEP_1) | instskip(SKIP_1) | instid1(VALU_DEP_2)
	v_lshlrev_b64_e32 v[8:9], v1, v[6:7]
	v_sub_nc_u32_e32 v1, 32, v1
	v_min_u32_e32 v3, 1, v8
	s_delay_alu instid0(VALU_DEP_1) | instskip(NEXT) | instid1(VALU_DEP_1)
	v_or_b32_e32 v3, v9, v3
	v_cvt_f32_i32_e32 v3, v3
	s_delay_alu instid0(VALU_DEP_1)
	v_ldexp_f32 v1, v3, v1
	global_store_b32 v[4:5], v1, off
.LBB71_2999:
	s_mov_b32 s0, 0
.LBB71_3000:
	s_delay_alu instid0(SALU_CYCLE_1)
	s_and_not1_b32 vcc_lo, exec_lo, s0
	s_cbranch_vccnz .LBB71_3002
; %bb.3001:
	s_wait_xcnt 0x0
	s_delay_alu instid0(VALU_DEP_1) | instskip(SKIP_1) | instid1(VALU_DEP_2)
	v_xor_b32_e32 v1, v6, v7
	v_cls_i32_e32 v3, v7
	v_ashrrev_i32_e32 v1, 31, v1
	s_delay_alu instid0(VALU_DEP_1) | instskip(NEXT) | instid1(VALU_DEP_1)
	v_add_nc_u32_e32 v1, 32, v1
	v_add_min_u32_e64 v1, v3, -1, v1
	s_delay_alu instid0(VALU_DEP_1) | instskip(SKIP_1) | instid1(VALU_DEP_2)
	v_lshlrev_b64_e32 v[8:9], v1, v[6:7]
	v_sub_nc_u32_e32 v1, 32, v1
	v_min_u32_e32 v3, 1, v8
	s_delay_alu instid0(VALU_DEP_1) | instskip(NEXT) | instid1(VALU_DEP_1)
	v_or_b32_e32 v3, v9, v3
	v_cvt_f32_i32_e32 v3, v3
	s_delay_alu instid0(VALU_DEP_1) | instskip(NEXT) | instid1(VALU_DEP_1)
	v_ldexp_f32 v1, v3, v1
	v_cvt_f16_f32_e32 v1, v1
	global_store_b16 v[4:5], v1, off
.LBB71_3002:
	s_mov_b32 s0, 0
.LBB71_3003:
	s_delay_alu instid0(SALU_CYCLE_1)
	s_and_not1_b32 vcc_lo, exec_lo, s0
	s_cbranch_vccnz .LBB71_3019
; %bb.3004:
	s_cmp_lt_i32 s6, 2
	s_mov_b32 s0, -1
	s_cbranch_scc1 .LBB71_3014
; %bb.3005:
	s_cmp_lt_i32 s6, 3
	s_cbranch_scc1 .LBB71_3011
; %bb.3006:
	s_cmp_gt_i32 s6, 3
	s_cbranch_scc0 .LBB71_3008
; %bb.3007:
	s_mov_b32 s0, 0
	global_store_b64 v[4:5], v[6:7], off
.LBB71_3008:
	s_and_not1_b32 vcc_lo, exec_lo, s0
	s_cbranch_vccnz .LBB71_3010
; %bb.3009:
	global_store_b32 v[4:5], v6, off
.LBB71_3010:
	s_mov_b32 s0, 0
.LBB71_3011:
	s_delay_alu instid0(SALU_CYCLE_1)
	s_and_not1_b32 vcc_lo, exec_lo, s0
	s_cbranch_vccnz .LBB71_3013
; %bb.3012:
	global_store_b16 v[4:5], v6, off
.LBB71_3013:
	s_mov_b32 s0, 0
.LBB71_3014:
	s_delay_alu instid0(SALU_CYCLE_1)
	s_and_not1_b32 vcc_lo, exec_lo, s0
	s_cbranch_vccnz .LBB71_3019
; %bb.3015:
	s_cmp_gt_i32 s6, 0
	s_mov_b32 s0, -1
	s_cbranch_scc0 .LBB71_3017
; %bb.3016:
	s_mov_b32 s0, 0
	global_store_b8 v[4:5], v6, off
.LBB71_3017:
	s_and_not1_b32 vcc_lo, exec_lo, s0
	s_cbranch_vccnz .LBB71_3019
; %bb.3018:
	global_store_b8 v[4:5], v6, off
.LBB71_3019:
	s_mov_b32 s11, -1
.LBB71_3020:
	s_delay_alu instid0(SALU_CYCLE_1)
	s_and_not1_b32 vcc_lo, exec_lo, s11
	s_cbranch_vccnz .LBB71_3216
; %bb.3021:
	s_wait_xcnt 0x0
	v_mul_u64_e32 v[4:5], s[4:5], v[22:23]
	v_mov_b32_e32 v3, 0
	s_cmp_lt_i32 s6, 11
	s_delay_alu instid0(VALU_DEP_1) | instskip(NEXT) | instid1(VALU_DEP_3)
	v_add_nc_u64_e32 v[2:3], s[2:3], v[2:3]
	v_mul_u64_e32 v[4:5], v[4:5], v[20:21]
	s_cbranch_scc1 .LBB71_3099
; %bb.3022:
	s_mov_b32 s12, -1
	s_mov_b32 s10, 0
	s_cmp_gt_i32 s6, 25
	s_mov_b32 s11, 0
	s_mov_b32 s0, 0
	s_cbranch_scc0 .LBB71_3055
; %bb.3023:
	s_cmp_gt_i32 s6, 28
	s_cbranch_scc0 .LBB71_3038
; %bb.3024:
	s_cmp_gt_i32 s6, 43
	;; [unrolled: 3-line block ×3, first 2 shown]
	s_cbranch_scc0 .LBB71_3028
; %bb.3026:
	s_mov_b32 s0, -1
	s_mov_b32 s12, 0
	s_cmp_eq_u32 s6, 46
	s_cbranch_scc0 .LBB71_3028
; %bb.3027:
	s_delay_alu instid0(VALU_DEP_1) | instskip(SKIP_3) | instid1(VALU_DEP_2)
	v_xor_b32_e32 v1, v4, v5
	v_cls_i32_e32 v6, v5
	s_mov_b32 s11, -1
	s_mov_b32 s0, 0
	v_ashrrev_i32_e32 v1, 31, v1
	s_delay_alu instid0(VALU_DEP_1) | instskip(NEXT) | instid1(VALU_DEP_1)
	v_add_nc_u32_e32 v1, 32, v1
	v_add_min_u32_e64 v1, v6, -1, v1
	s_delay_alu instid0(VALU_DEP_1) | instskip(SKIP_1) | instid1(VALU_DEP_2)
	v_lshlrev_b64_e32 v[6:7], v1, v[4:5]
	v_sub_nc_u32_e32 v1, 32, v1
	v_min_u32_e32 v6, 1, v6
	s_delay_alu instid0(VALU_DEP_1) | instskip(NEXT) | instid1(VALU_DEP_1)
	v_or_b32_e32 v6, v7, v6
	v_cvt_f32_i32_e32 v6, v6
	s_delay_alu instid0(VALU_DEP_1) | instskip(NEXT) | instid1(VALU_DEP_1)
	v_ldexp_f32 v1, v6, v1
	v_bfe_u32 v6, v1, 16, 1
	s_delay_alu instid0(VALU_DEP_1) | instskip(NEXT) | instid1(VALU_DEP_1)
	v_add3_u32 v1, v1, v6, 0x7fff
	v_lshrrev_b32_e32 v1, 16, v1
	global_store_b32 v[2:3], v1, off
.LBB71_3028:
	s_and_b32 vcc_lo, exec_lo, s12
	s_cbranch_vccz .LBB71_3033
; %bb.3029:
	s_cmp_eq_u32 s6, 44
	s_mov_b32 s0, -1
	s_cbranch_scc0 .LBB71_3033
; %bb.3030:
	s_wait_xcnt 0x0
	s_delay_alu instid0(VALU_DEP_1) | instskip(SKIP_3) | instid1(VALU_DEP_2)
	v_xor_b32_e32 v1, v4, v5
	v_cls_i32_e32 v6, v5
	s_mov_b32 s11, -1
	s_mov_b32 s12, exec_lo
	v_ashrrev_i32_e32 v1, 31, v1
	s_delay_alu instid0(VALU_DEP_1) | instskip(NEXT) | instid1(VALU_DEP_1)
	v_add_nc_u32_e32 v1, 32, v1
	v_add_min_u32_e64 v1, v6, -1, v1
	s_delay_alu instid0(VALU_DEP_1) | instskip(SKIP_1) | instid1(VALU_DEP_2)
	v_lshlrev_b64_e32 v[6:7], v1, v[4:5]
	v_sub_nc_u32_e32 v1, 32, v1
	v_min_u32_e32 v6, 1, v6
	s_delay_alu instid0(VALU_DEP_1) | instskip(NEXT) | instid1(VALU_DEP_1)
	v_or_b32_e32 v6, v7, v6
	v_cvt_f32_i32_e32 v6, v6
	s_delay_alu instid0(VALU_DEP_1) | instskip(SKIP_1) | instid1(VALU_DEP_2)
	v_ldexp_f32 v1, v6, v1
	v_mov_b32_e32 v6, 0xff
	v_bfe_u32 v7, v1, 23, 8
	s_delay_alu instid0(VALU_DEP_1)
	v_cmpx_ne_u32_e32 0xff, v7
	s_cbranch_execz .LBB71_3032
; %bb.3031:
	v_and_b32_e32 v6, 0x400000, v1
	v_and_or_b32 v7, 0x3fffff, v1, v7
	v_lshrrev_b32_e32 v1, 23, v1
	s_delay_alu instid0(VALU_DEP_3) | instskip(NEXT) | instid1(VALU_DEP_3)
	v_cmp_ne_u32_e32 vcc_lo, 0, v6
	v_cmp_ne_u32_e64 s0, 0, v7
	s_and_b32 s0, vcc_lo, s0
	s_delay_alu instid0(SALU_CYCLE_1) | instskip(NEXT) | instid1(VALU_DEP_1)
	v_cndmask_b32_e64 v6, 0, 1, s0
	v_add_nc_u32_e32 v6, v1, v6
.LBB71_3032:
	s_or_b32 exec_lo, exec_lo, s12
	s_mov_b32 s0, 0
	global_store_b8 v[2:3], v6, off
.LBB71_3033:
	s_mov_b32 s12, 0
.LBB71_3034:
	s_delay_alu instid0(SALU_CYCLE_1)
	s_and_b32 vcc_lo, exec_lo, s12
	s_cbranch_vccz .LBB71_3037
; %bb.3035:
	s_cmp_eq_u32 s6, 29
	s_mov_b32 s0, -1
	s_cbranch_scc0 .LBB71_3037
; %bb.3036:
	s_mov_b32 s0, 0
	s_mov_b32 s11, -1
	global_store_b64 v[2:3], v[4:5], off
.LBB71_3037:
	s_mov_b32 s12, 0
.LBB71_3038:
	s_delay_alu instid0(SALU_CYCLE_1)
	s_and_b32 vcc_lo, exec_lo, s12
	s_cbranch_vccz .LBB71_3054
; %bb.3039:
	s_cmp_lt_i32 s6, 27
	s_mov_b32 s11, -1
	s_cbranch_scc1 .LBB71_3045
; %bb.3040:
	s_cmp_gt_i32 s6, 27
	s_cbranch_scc0 .LBB71_3042
; %bb.3041:
	s_mov_b32 s11, 0
	global_store_b32 v[2:3], v4, off
.LBB71_3042:
	s_and_not1_b32 vcc_lo, exec_lo, s11
	s_cbranch_vccnz .LBB71_3044
; %bb.3043:
	global_store_b16 v[2:3], v4, off
.LBB71_3044:
	s_mov_b32 s11, 0
.LBB71_3045:
	s_delay_alu instid0(SALU_CYCLE_1)
	s_and_not1_b32 vcc_lo, exec_lo, s11
	s_cbranch_vccnz .LBB71_3053
; %bb.3046:
	s_wait_xcnt 0x0
	s_delay_alu instid0(VALU_DEP_1) | instskip(SKIP_2) | instid1(VALU_DEP_2)
	v_xor_b32_e32 v1, v4, v5
	v_cls_i32_e32 v6, v5
	s_mov_b32 s11, exec_lo
	v_ashrrev_i32_e32 v1, 31, v1
	s_delay_alu instid0(VALU_DEP_1) | instskip(NEXT) | instid1(VALU_DEP_1)
	v_add_nc_u32_e32 v1, 32, v1
	v_add_min_u32_e64 v1, v6, -1, v1
	s_delay_alu instid0(VALU_DEP_1) | instskip(SKIP_1) | instid1(VALU_DEP_2)
	v_lshlrev_b64_e32 v[6:7], v1, v[4:5]
	v_sub_nc_u32_e32 v1, 32, v1
	v_min_u32_e32 v6, 1, v6
	s_delay_alu instid0(VALU_DEP_1) | instskip(SKIP_1) | instid1(VALU_DEP_2)
	v_or_b32_e32 v6, v7, v6
	v_mov_b32_e32 v7, 0x80
	v_cvt_f32_i32_e32 v6, v6
	s_delay_alu instid0(VALU_DEP_1) | instskip(NEXT) | instid1(VALU_DEP_1)
	v_ldexp_f32 v1, v6, v1
	v_and_b32_e32 v6, 0x7fffffff, v1
	s_delay_alu instid0(VALU_DEP_1)
	v_cmpx_gt_u32_e32 0x43800000, v6
	s_cbranch_execz .LBB71_3052
; %bb.3047:
	v_cmp_lt_u32_e32 vcc_lo, 0x3bffffff, v6
	s_mov_b32 s12, 0
                                        ; implicit-def: $vgpr6
	s_and_saveexec_b32 s13, vcc_lo
	s_delay_alu instid0(SALU_CYCLE_1)
	s_xor_b32 s13, exec_lo, s13
	s_cbranch_execz .LBB71_3273
; %bb.3048:
	v_bfe_u32 v6, v1, 20, 1
	s_mov_b32 s12, exec_lo
	s_delay_alu instid0(VALU_DEP_1) | instskip(NEXT) | instid1(VALU_DEP_1)
	v_add3_u32 v6, v1, v6, 0x487ffff
	v_lshrrev_b32_e32 v6, 20, v6
	s_and_not1_saveexec_b32 s13, s13
	s_cbranch_execnz .LBB71_3274
.LBB71_3049:
	s_or_b32 exec_lo, exec_lo, s13
	v_mov_b32_e32 v7, 0
	s_and_saveexec_b32 s13, s12
.LBB71_3050:
	v_lshrrev_b32_e32 v1, 24, v1
	s_delay_alu instid0(VALU_DEP_1)
	v_and_or_b32 v7, 0x80, v1, v6
.LBB71_3051:
	s_or_b32 exec_lo, exec_lo, s13
.LBB71_3052:
	s_delay_alu instid0(SALU_CYCLE_1)
	s_or_b32 exec_lo, exec_lo, s11
	global_store_b8 v[2:3], v7, off
.LBB71_3053:
	s_mov_b32 s11, -1
.LBB71_3054:
	s_mov_b32 s12, 0
.LBB71_3055:
	s_delay_alu instid0(SALU_CYCLE_1)
	s_and_b32 vcc_lo, exec_lo, s12
	s_cbranch_vccz .LBB71_3095
; %bb.3056:
	s_cmp_gt_i32 s6, 22
	s_mov_b32 s10, -1
	s_cbranch_scc0 .LBB71_3088
; %bb.3057:
	s_cmp_lt_i32 s6, 24
	s_cbranch_scc1 .LBB71_3077
; %bb.3058:
	s_cmp_gt_i32 s6, 24
	s_cbranch_scc0 .LBB71_3066
; %bb.3059:
	s_wait_xcnt 0x0
	s_delay_alu instid0(VALU_DEP_1) | instskip(SKIP_2) | instid1(VALU_DEP_2)
	v_xor_b32_e32 v1, v4, v5
	v_cls_i32_e32 v6, v5
	s_mov_b32 s10, exec_lo
	v_ashrrev_i32_e32 v1, 31, v1
	s_delay_alu instid0(VALU_DEP_1) | instskip(NEXT) | instid1(VALU_DEP_1)
	v_add_nc_u32_e32 v1, 32, v1
	v_add_min_u32_e64 v1, v6, -1, v1
	s_delay_alu instid0(VALU_DEP_1) | instskip(SKIP_1) | instid1(VALU_DEP_2)
	v_lshlrev_b64_e32 v[6:7], v1, v[4:5]
	v_sub_nc_u32_e32 v1, 32, v1
	v_min_u32_e32 v6, 1, v6
	s_delay_alu instid0(VALU_DEP_1) | instskip(SKIP_1) | instid1(VALU_DEP_2)
	v_or_b32_e32 v6, v7, v6
	v_mov_b32_e32 v7, 0x80
	v_cvt_f32_i32_e32 v6, v6
	s_delay_alu instid0(VALU_DEP_1) | instskip(NEXT) | instid1(VALU_DEP_1)
	v_ldexp_f32 v1, v6, v1
	v_and_b32_e32 v6, 0x7fffffff, v1
	s_delay_alu instid0(VALU_DEP_1)
	v_cmpx_gt_u32_e32 0x47800000, v6
	s_cbranch_execz .LBB71_3065
; %bb.3060:
	v_cmp_lt_u32_e32 vcc_lo, 0x37ffffff, v6
	s_mov_b32 s11, 0
                                        ; implicit-def: $vgpr6
	s_and_saveexec_b32 s12, vcc_lo
	s_delay_alu instid0(SALU_CYCLE_1)
	s_xor_b32 s12, exec_lo, s12
	s_cbranch_execz .LBB71_3276
; %bb.3061:
	v_bfe_u32 v6, v1, 21, 1
	s_mov_b32 s11, exec_lo
	s_delay_alu instid0(VALU_DEP_1) | instskip(NEXT) | instid1(VALU_DEP_1)
	v_add3_u32 v6, v1, v6, 0x88fffff
	v_lshrrev_b32_e32 v6, 21, v6
	s_and_not1_saveexec_b32 s12, s12
	s_cbranch_execnz .LBB71_3277
.LBB71_3062:
	s_or_b32 exec_lo, exec_lo, s12
	v_mov_b32_e32 v7, 0
	s_and_saveexec_b32 s12, s11
.LBB71_3063:
	v_lshrrev_b32_e32 v1, 24, v1
	s_delay_alu instid0(VALU_DEP_1)
	v_and_or_b32 v7, 0x80, v1, v6
.LBB71_3064:
	s_or_b32 exec_lo, exec_lo, s12
.LBB71_3065:
	s_delay_alu instid0(SALU_CYCLE_1)
	s_or_b32 exec_lo, exec_lo, s10
	s_mov_b32 s10, 0
	global_store_b8 v[2:3], v7, off
.LBB71_3066:
	s_and_b32 vcc_lo, exec_lo, s10
	s_cbranch_vccz .LBB71_3076
; %bb.3067:
	s_wait_xcnt 0x0
	s_delay_alu instid0(VALU_DEP_1) | instskip(SKIP_2) | instid1(VALU_DEP_2)
	v_xor_b32_e32 v1, v4, v5
	v_cls_i32_e32 v6, v5
	s_mov_b32 s10, exec_lo
	v_ashrrev_i32_e32 v1, 31, v1
	s_delay_alu instid0(VALU_DEP_1) | instskip(NEXT) | instid1(VALU_DEP_1)
	v_add_nc_u32_e32 v1, 32, v1
	v_add_min_u32_e64 v1, v6, -1, v1
	s_delay_alu instid0(VALU_DEP_1) | instskip(SKIP_1) | instid1(VALU_DEP_2)
	v_lshlrev_b64_e32 v[6:7], v1, v[4:5]
	v_sub_nc_u32_e32 v1, 32, v1
	v_min_u32_e32 v6, 1, v6
	s_delay_alu instid0(VALU_DEP_1) | instskip(NEXT) | instid1(VALU_DEP_1)
	v_or_b32_e32 v6, v7, v6
	v_cvt_f32_i32_e32 v6, v6
	s_delay_alu instid0(VALU_DEP_1) | instskip(NEXT) | instid1(VALU_DEP_1)
	v_ldexp_f32 v1, v6, v1
                                        ; implicit-def: $vgpr6
	v_and_b32_e32 v7, 0x7fffffff, v1
	s_delay_alu instid0(VALU_DEP_1)
	v_cmpx_gt_u32_e32 0x43f00000, v7
	s_xor_b32 s10, exec_lo, s10
	s_cbranch_execz .LBB71_3073
; %bb.3068:
	s_mov_b32 s11, exec_lo
                                        ; implicit-def: $vgpr6
	v_cmpx_lt_u32_e32 0x3c7fffff, v7
	s_xor_b32 s11, exec_lo, s11
; %bb.3069:
	v_bfe_u32 v6, v1, 20, 1
	s_delay_alu instid0(VALU_DEP_1) | instskip(NEXT) | instid1(VALU_DEP_1)
	v_add3_u32 v6, v1, v6, 0x407ffff
	v_and_b32_e32 v7, 0xff00000, v6
	v_lshrrev_b32_e32 v6, 20, v6
	s_delay_alu instid0(VALU_DEP_2) | instskip(NEXT) | instid1(VALU_DEP_2)
	v_cmp_ne_u32_e32 vcc_lo, 0x7f00000, v7
	v_cndmask_b32_e32 v6, 0x7e, v6, vcc_lo
; %bb.3070:
	s_and_not1_saveexec_b32 s11, s11
; %bb.3071:
	v_add_f32_e64 v6, 0x46800000, |v1|
; %bb.3072:
	s_or_b32 exec_lo, exec_lo, s11
                                        ; implicit-def: $vgpr7
.LBB71_3073:
	s_and_not1_saveexec_b32 s10, s10
; %bb.3074:
	v_mov_b32_e32 v6, 0x7f
	v_cmp_lt_u32_e32 vcc_lo, 0x7f800000, v7
	s_delay_alu instid0(VALU_DEP_2)
	v_cndmask_b32_e32 v6, 0x7e, v6, vcc_lo
; %bb.3075:
	s_or_b32 exec_lo, exec_lo, s10
	v_lshrrev_b32_e32 v1, 24, v1
	s_delay_alu instid0(VALU_DEP_1)
	v_and_or_b32 v1, 0x80, v1, v6
	global_store_b8 v[2:3], v1, off
.LBB71_3076:
	s_mov_b32 s10, 0
.LBB71_3077:
	s_delay_alu instid0(SALU_CYCLE_1)
	s_and_not1_b32 vcc_lo, exec_lo, s10
	s_cbranch_vccnz .LBB71_3087
; %bb.3078:
	s_wait_xcnt 0x0
	s_delay_alu instid0(VALU_DEP_1) | instskip(SKIP_2) | instid1(VALU_DEP_2)
	v_xor_b32_e32 v1, v4, v5
	v_cls_i32_e32 v6, v5
	s_mov_b32 s10, exec_lo
	v_ashrrev_i32_e32 v1, 31, v1
	s_delay_alu instid0(VALU_DEP_1) | instskip(NEXT) | instid1(VALU_DEP_1)
	v_add_nc_u32_e32 v1, 32, v1
	v_add_min_u32_e64 v1, v6, -1, v1
	s_delay_alu instid0(VALU_DEP_1) | instskip(SKIP_1) | instid1(VALU_DEP_2)
	v_lshlrev_b64_e32 v[6:7], v1, v[4:5]
	v_sub_nc_u32_e32 v1, 32, v1
	v_min_u32_e32 v6, 1, v6
	s_delay_alu instid0(VALU_DEP_1) | instskip(NEXT) | instid1(VALU_DEP_1)
	v_or_b32_e32 v6, v7, v6
	v_cvt_f32_i32_e32 v6, v6
	s_delay_alu instid0(VALU_DEP_1) | instskip(NEXT) | instid1(VALU_DEP_1)
	v_ldexp_f32 v1, v6, v1
                                        ; implicit-def: $vgpr6
	v_and_b32_e32 v7, 0x7fffffff, v1
	s_delay_alu instid0(VALU_DEP_1)
	v_cmpx_gt_u32_e32 0x47800000, v7
	s_xor_b32 s10, exec_lo, s10
	s_cbranch_execz .LBB71_3084
; %bb.3079:
	s_mov_b32 s11, exec_lo
                                        ; implicit-def: $vgpr6
	v_cmpx_lt_u32_e32 0x387fffff, v7
	s_xor_b32 s11, exec_lo, s11
; %bb.3080:
	v_bfe_u32 v6, v1, 21, 1
	s_delay_alu instid0(VALU_DEP_1) | instskip(NEXT) | instid1(VALU_DEP_1)
	v_add3_u32 v6, v1, v6, 0x80fffff
	v_lshrrev_b32_e32 v6, 21, v6
; %bb.3081:
	s_and_not1_saveexec_b32 s11, s11
; %bb.3082:
	v_add_f32_e64 v6, 0x43000000, |v1|
; %bb.3083:
	s_or_b32 exec_lo, exec_lo, s11
                                        ; implicit-def: $vgpr7
.LBB71_3084:
	s_and_not1_saveexec_b32 s10, s10
; %bb.3085:
	v_mov_b32_e32 v6, 0x7f
	v_cmp_lt_u32_e32 vcc_lo, 0x7f800000, v7
	s_delay_alu instid0(VALU_DEP_2)
	v_cndmask_b32_e32 v6, 0x7c, v6, vcc_lo
; %bb.3086:
	s_or_b32 exec_lo, exec_lo, s10
	v_lshrrev_b32_e32 v1, 24, v1
	s_delay_alu instid0(VALU_DEP_1)
	v_and_or_b32 v1, 0x80, v1, v6
	global_store_b8 v[2:3], v1, off
.LBB71_3087:
	s_mov_b32 s10, 0
	s_mov_b32 s11, -1
.LBB71_3088:
	s_and_not1_b32 vcc_lo, exec_lo, s10
	s_mov_b32 s10, 0
	s_cbranch_vccnz .LBB71_3095
; %bb.3089:
	s_cmp_gt_i32 s6, 14
	s_mov_b32 s10, -1
	s_cbranch_scc0 .LBB71_3093
; %bb.3090:
	s_cmp_eq_u32 s6, 15
	s_mov_b32 s0, -1
	s_cbranch_scc0 .LBB71_3092
; %bb.3091:
	s_wait_xcnt 0x0
	s_delay_alu instid0(VALU_DEP_1) | instskip(SKIP_3) | instid1(VALU_DEP_2)
	v_xor_b32_e32 v1, v4, v5
	v_cls_i32_e32 v6, v5
	s_mov_b32 s11, -1
	s_mov_b32 s0, 0
	v_ashrrev_i32_e32 v1, 31, v1
	s_delay_alu instid0(VALU_DEP_1) | instskip(NEXT) | instid1(VALU_DEP_1)
	v_add_nc_u32_e32 v1, 32, v1
	v_add_min_u32_e64 v1, v6, -1, v1
	s_delay_alu instid0(VALU_DEP_1) | instskip(SKIP_1) | instid1(VALU_DEP_2)
	v_lshlrev_b64_e32 v[6:7], v1, v[4:5]
	v_sub_nc_u32_e32 v1, 32, v1
	v_min_u32_e32 v6, 1, v6
	s_delay_alu instid0(VALU_DEP_1) | instskip(NEXT) | instid1(VALU_DEP_1)
	v_or_b32_e32 v6, v7, v6
	v_cvt_f32_i32_e32 v6, v6
	s_delay_alu instid0(VALU_DEP_1) | instskip(NEXT) | instid1(VALU_DEP_1)
	v_ldexp_f32 v1, v6, v1
	v_bfe_u32 v6, v1, 16, 1
	s_delay_alu instid0(VALU_DEP_1)
	v_add3_u32 v1, v1, v6, 0x7fff
	global_store_d16_hi_b16 v[2:3], v1, off
.LBB71_3092:
	s_mov_b32 s10, 0
.LBB71_3093:
	s_delay_alu instid0(SALU_CYCLE_1)
	s_and_b32 vcc_lo, exec_lo, s10
	s_mov_b32 s10, 0
	s_cbranch_vccz .LBB71_3095
; %bb.3094:
	s_cmp_lg_u32 s6, 11
	s_mov_b32 s10, -1
	s_cselect_b32 s0, -1, 0
.LBB71_3095:
	s_delay_alu instid0(SALU_CYCLE_1)
	s_and_b32 vcc_lo, exec_lo, s0
	s_cbranch_vccnz .LBB71_3275
; %bb.3096:
	s_and_not1_b32 vcc_lo, exec_lo, s10
	s_cbranch_vccnz .LBB71_3098
.LBB71_3097:
	s_delay_alu instid0(VALU_DEP_1)
	v_cmp_ne_u64_e32 vcc_lo, 0, v[4:5]
	s_mov_b32 s11, -1
	s_wait_xcnt 0x0
	v_cndmask_b32_e64 v1, 0, 1, vcc_lo
	global_store_b8 v[2:3], v1, off
.LBB71_3098:
	s_mov_b32 s0, 0
	s_branch .LBB71_3100
.LBB71_3099:
	s_mov_b32 s0, -1
	s_mov_b32 s11, 0
.LBB71_3100:
	s_and_b32 vcc_lo, exec_lo, s0
	s_cbranch_vccz .LBB71_3139
; %bb.3101:
	s_cmp_lt_i32 s6, 5
	s_mov_b32 s0, -1
	s_cbranch_scc1 .LBB71_3122
; %bb.3102:
	s_cmp_lt_i32 s6, 8
	s_cbranch_scc1 .LBB71_3112
; %bb.3103:
	s_cmp_lt_i32 s6, 9
	s_cbranch_scc1 .LBB71_3109
; %bb.3104:
	s_cmp_gt_i32 s6, 9
	s_cbranch_scc0 .LBB71_3106
; %bb.3105:
	s_wait_xcnt 0x0
	s_delay_alu instid0(VALU_DEP_1) | instskip(NEXT) | instid1(VALU_DEP_2)
	v_cvt_f64_i32_e32 v[6:7], v5
	v_cvt_f64_u32_e32 v[8:9], v4
	s_mov_b32 s0, 0
	s_delay_alu instid0(VALU_DEP_2) | instskip(NEXT) | instid1(VALU_DEP_1)
	v_ldexp_f64 v[6:7], v[6:7], 32
	v_dual_add_f64 v[6:7], v[6:7], v[8:9] :: v_dual_mov_b32 v8, 0
	s_delay_alu instid0(VALU_DEP_1)
	v_mov_b32_e32 v9, v8
	global_store_b128 v[2:3], v[6:9], off
.LBB71_3106:
	s_and_not1_b32 vcc_lo, exec_lo, s0
	s_cbranch_vccnz .LBB71_3108
; %bb.3107:
	s_wait_xcnt 0x0
	s_delay_alu instid0(VALU_DEP_1) | instskip(SKIP_1) | instid1(VALU_DEP_2)
	v_xor_b32_e32 v1, v4, v5
	v_cls_i32_e32 v6, v5
	v_ashrrev_i32_e32 v1, 31, v1
	s_delay_alu instid0(VALU_DEP_1) | instskip(NEXT) | instid1(VALU_DEP_1)
	v_add_nc_u32_e32 v1, 32, v1
	v_add_min_u32_e64 v1, v6, -1, v1
	s_delay_alu instid0(VALU_DEP_1) | instskip(SKIP_1) | instid1(VALU_DEP_2)
	v_lshlrev_b64_e32 v[6:7], v1, v[4:5]
	v_sub_nc_u32_e32 v1, 32, v1
	v_min_u32_e32 v6, 1, v6
	s_delay_alu instid0(VALU_DEP_1) | instskip(NEXT) | instid1(VALU_DEP_1)
	v_dual_mov_b32 v7, 0 :: v_dual_bitop2_b32 v6, v7, v6 bitop3:0x54
	v_cvt_f32_i32_e32 v6, v6
	s_delay_alu instid0(VALU_DEP_1)
	v_ldexp_f32 v6, v6, v1
	global_store_b64 v[2:3], v[6:7], off
.LBB71_3108:
	s_mov_b32 s0, 0
.LBB71_3109:
	s_delay_alu instid0(SALU_CYCLE_1)
	s_and_not1_b32 vcc_lo, exec_lo, s0
	s_cbranch_vccnz .LBB71_3111
; %bb.3110:
	s_wait_xcnt 0x0
	s_delay_alu instid0(VALU_DEP_1) | instskip(SKIP_1) | instid1(VALU_DEP_2)
	v_xor_b32_e32 v1, v4, v5
	v_cls_i32_e32 v6, v5
	v_ashrrev_i32_e32 v1, 31, v1
	s_delay_alu instid0(VALU_DEP_1) | instskip(NEXT) | instid1(VALU_DEP_1)
	v_add_nc_u32_e32 v1, 32, v1
	v_add_min_u32_e64 v1, v6, -1, v1
	s_delay_alu instid0(VALU_DEP_1) | instskip(SKIP_1) | instid1(VALU_DEP_2)
	v_lshlrev_b64_e32 v[6:7], v1, v[4:5]
	v_sub_nc_u32_e32 v1, 32, v1
	v_min_u32_e32 v6, 1, v6
	s_delay_alu instid0(VALU_DEP_1) | instskip(NEXT) | instid1(VALU_DEP_1)
	v_or_b32_e32 v6, v7, v6
	v_cvt_f32_i32_e32 v6, v6
	s_delay_alu instid0(VALU_DEP_1) | instskip(NEXT) | instid1(VALU_DEP_1)
	v_ldexp_f32 v1, v6, v1
	v_cvt_f16_f32_e32 v1, v1
	s_delay_alu instid0(VALU_DEP_1)
	v_and_b32_e32 v1, 0xffff, v1
	global_store_b32 v[2:3], v1, off
.LBB71_3111:
	s_mov_b32 s0, 0
.LBB71_3112:
	s_delay_alu instid0(SALU_CYCLE_1)
	s_and_not1_b32 vcc_lo, exec_lo, s0
	s_cbranch_vccnz .LBB71_3121
; %bb.3113:
	s_cmp_lt_i32 s6, 6
	s_mov_b32 s0, -1
	s_cbranch_scc1 .LBB71_3119
; %bb.3114:
	s_cmp_gt_i32 s6, 6
	s_cbranch_scc0 .LBB71_3116
; %bb.3115:
	s_wait_xcnt 0x0
	s_delay_alu instid0(VALU_DEP_1) | instskip(NEXT) | instid1(VALU_DEP_2)
	v_cvt_f64_i32_e32 v[6:7], v5
	v_cvt_f64_u32_e32 v[8:9], v4
	s_mov_b32 s0, 0
	s_delay_alu instid0(VALU_DEP_2) | instskip(NEXT) | instid1(VALU_DEP_1)
	v_ldexp_f64 v[6:7], v[6:7], 32
	v_add_f64_e32 v[6:7], v[6:7], v[8:9]
	global_store_b64 v[2:3], v[6:7], off
.LBB71_3116:
	s_and_not1_b32 vcc_lo, exec_lo, s0
	s_cbranch_vccnz .LBB71_3118
; %bb.3117:
	s_wait_xcnt 0x0
	s_delay_alu instid0(VALU_DEP_1) | instskip(SKIP_1) | instid1(VALU_DEP_2)
	v_xor_b32_e32 v1, v4, v5
	v_cls_i32_e32 v6, v5
	v_ashrrev_i32_e32 v1, 31, v1
	s_delay_alu instid0(VALU_DEP_1) | instskip(NEXT) | instid1(VALU_DEP_1)
	v_add_nc_u32_e32 v1, 32, v1
	v_add_min_u32_e64 v1, v6, -1, v1
	s_delay_alu instid0(VALU_DEP_1) | instskip(SKIP_1) | instid1(VALU_DEP_2)
	v_lshlrev_b64_e32 v[6:7], v1, v[4:5]
	v_sub_nc_u32_e32 v1, 32, v1
	v_min_u32_e32 v6, 1, v6
	s_delay_alu instid0(VALU_DEP_1) | instskip(NEXT) | instid1(VALU_DEP_1)
	v_or_b32_e32 v6, v7, v6
	v_cvt_f32_i32_e32 v6, v6
	s_delay_alu instid0(VALU_DEP_1)
	v_ldexp_f32 v1, v6, v1
	global_store_b32 v[2:3], v1, off
.LBB71_3118:
	s_mov_b32 s0, 0
.LBB71_3119:
	s_delay_alu instid0(SALU_CYCLE_1)
	s_and_not1_b32 vcc_lo, exec_lo, s0
	s_cbranch_vccnz .LBB71_3121
; %bb.3120:
	s_wait_xcnt 0x0
	s_delay_alu instid0(VALU_DEP_1) | instskip(SKIP_1) | instid1(VALU_DEP_2)
	v_xor_b32_e32 v1, v4, v5
	v_cls_i32_e32 v6, v5
	v_ashrrev_i32_e32 v1, 31, v1
	s_delay_alu instid0(VALU_DEP_1) | instskip(NEXT) | instid1(VALU_DEP_1)
	v_add_nc_u32_e32 v1, 32, v1
	v_add_min_u32_e64 v1, v6, -1, v1
	s_delay_alu instid0(VALU_DEP_1) | instskip(SKIP_1) | instid1(VALU_DEP_2)
	v_lshlrev_b64_e32 v[6:7], v1, v[4:5]
	v_sub_nc_u32_e32 v1, 32, v1
	v_min_u32_e32 v6, 1, v6
	s_delay_alu instid0(VALU_DEP_1) | instskip(NEXT) | instid1(VALU_DEP_1)
	v_or_b32_e32 v6, v7, v6
	v_cvt_f32_i32_e32 v6, v6
	s_delay_alu instid0(VALU_DEP_1) | instskip(NEXT) | instid1(VALU_DEP_1)
	v_ldexp_f32 v1, v6, v1
	v_cvt_f16_f32_e32 v1, v1
	global_store_b16 v[2:3], v1, off
.LBB71_3121:
	s_mov_b32 s0, 0
.LBB71_3122:
	s_delay_alu instid0(SALU_CYCLE_1)
	s_and_not1_b32 vcc_lo, exec_lo, s0
	s_cbranch_vccnz .LBB71_3138
; %bb.3123:
	s_cmp_lt_i32 s6, 2
	s_mov_b32 s0, -1
	s_cbranch_scc1 .LBB71_3133
; %bb.3124:
	s_cmp_lt_i32 s6, 3
	s_cbranch_scc1 .LBB71_3130
; %bb.3125:
	s_cmp_gt_i32 s6, 3
	s_cbranch_scc0 .LBB71_3127
; %bb.3126:
	s_mov_b32 s0, 0
	global_store_b64 v[2:3], v[4:5], off
.LBB71_3127:
	s_and_not1_b32 vcc_lo, exec_lo, s0
	s_cbranch_vccnz .LBB71_3129
; %bb.3128:
	global_store_b32 v[2:3], v4, off
.LBB71_3129:
	s_mov_b32 s0, 0
.LBB71_3130:
	s_delay_alu instid0(SALU_CYCLE_1)
	s_and_not1_b32 vcc_lo, exec_lo, s0
	s_cbranch_vccnz .LBB71_3132
; %bb.3131:
	global_store_b16 v[2:3], v4, off
.LBB71_3132:
	s_mov_b32 s0, 0
.LBB71_3133:
	s_delay_alu instid0(SALU_CYCLE_1)
	s_and_not1_b32 vcc_lo, exec_lo, s0
	s_cbranch_vccnz .LBB71_3138
; %bb.3134:
	s_cmp_gt_i32 s6, 0
	s_mov_b32 s0, -1
	s_cbranch_scc0 .LBB71_3136
; %bb.3135:
	s_mov_b32 s0, 0
	global_store_b8 v[2:3], v4, off
.LBB71_3136:
	s_and_not1_b32 vcc_lo, exec_lo, s0
	s_cbranch_vccnz .LBB71_3138
; %bb.3137:
	global_store_b8 v[2:3], v4, off
.LBB71_3138:
	s_mov_b32 s11, -1
.LBB71_3139:
	s_delay_alu instid0(SALU_CYCLE_1)
	s_and_not1_b32 vcc_lo, exec_lo, s11
	s_cbranch_vccnz .LBB71_3216
; %bb.3140:
	s_wait_xcnt 0x0
	v_mul_u64_e32 v[2:3], s[4:5], v[16:17]
	v_mov_b32_e32 v1, 0
	s_cmp_lt_i32 s6, 11
	s_delay_alu instid0(VALU_DEP_2) | instskip(NEXT) | instid1(VALU_DEP_2)
	v_mul_u64_e32 v[4:5], v[2:3], v[10:11]
	v_add_nc_u64_e32 v[2:3], s[2:3], v[0:1]
	s_cbranch_scc1 .LBB71_3261
; %bb.3141:
	s_mov_b32 s3, -1
	s_mov_b32 s2, 0
	s_cmp_gt_i32 s6, 25
	s_mov_b32 s0, 0
	s_cbranch_scc0 .LBB71_3174
; %bb.3142:
	s_cmp_gt_i32 s6, 28
	s_cbranch_scc0 .LBB71_3158
; %bb.3143:
	s_cmp_gt_i32 s6, 43
	;; [unrolled: 3-line block ×3, first 2 shown]
	s_cbranch_scc0 .LBB71_3148
; %bb.3145:
	s_cmp_eq_u32 s6, 46
	s_mov_b32 s0, -1
	s_cbranch_scc0 .LBB71_3147
; %bb.3146:
	s_delay_alu instid0(VALU_DEP_2) | instskip(SKIP_2) | instid1(VALU_DEP_2)
	v_xor_b32_e32 v0, v4, v5
	v_cls_i32_e32 v1, v5
	s_mov_b32 s0, 0
	v_ashrrev_i32_e32 v0, 31, v0
	s_delay_alu instid0(VALU_DEP_1) | instskip(NEXT) | instid1(VALU_DEP_1)
	v_add_nc_u32_e32 v0, 32, v0
	v_add_min_u32_e64 v6, v1, -1, v0
	s_delay_alu instid0(VALU_DEP_1) | instskip(NEXT) | instid1(VALU_DEP_1)
	v_lshlrev_b64_e32 v[0:1], v6, v[4:5]
	v_min_u32_e32 v0, 1, v0
	s_delay_alu instid0(VALU_DEP_1) | instskip(NEXT) | instid1(VALU_DEP_1)
	v_dual_sub_nc_u32 v1, 32, v6 :: v_dual_bitop2_b32 v0, v1, v0 bitop3:0x54
	v_cvt_f32_i32_e32 v0, v0
	s_delay_alu instid0(VALU_DEP_1) | instskip(NEXT) | instid1(VALU_DEP_1)
	v_ldexp_f32 v0, v0, v1
	v_bfe_u32 v1, v0, 16, 1
	s_delay_alu instid0(VALU_DEP_1) | instskip(NEXT) | instid1(VALU_DEP_1)
	v_add3_u32 v0, v0, v1, 0x7fff
	v_lshrrev_b32_e32 v0, 16, v0
	global_store_b32 v[2:3], v0, off
.LBB71_3147:
	s_mov_b32 s3, 0
.LBB71_3148:
	s_delay_alu instid0(SALU_CYCLE_1)
	s_and_b32 vcc_lo, exec_lo, s3
	s_cbranch_vccz .LBB71_3153
; %bb.3149:
	s_cmp_eq_u32 s6, 44
	s_mov_b32 s0, -1
	s_cbranch_scc0 .LBB71_3153
; %bb.3150:
	s_wait_xcnt 0x0
	s_delay_alu instid0(VALU_DEP_2) | instskip(SKIP_2) | instid1(VALU_DEP_2)
	v_xor_b32_e32 v0, v4, v5
	v_cls_i32_e32 v1, v5
	s_mov_b32 s3, exec_lo
	v_ashrrev_i32_e32 v0, 31, v0
	s_delay_alu instid0(VALU_DEP_1) | instskip(NEXT) | instid1(VALU_DEP_1)
	v_add_nc_u32_e32 v0, 32, v0
	v_add_min_u32_e64 v6, v1, -1, v0
	s_delay_alu instid0(VALU_DEP_1) | instskip(NEXT) | instid1(VALU_DEP_1)
	v_lshlrev_b64_e32 v[0:1], v6, v[4:5]
	v_min_u32_e32 v0, 1, v0
	s_delay_alu instid0(VALU_DEP_1) | instskip(NEXT) | instid1(VALU_DEP_1)
	v_dual_sub_nc_u32 v1, 32, v6 :: v_dual_bitop2_b32 v0, v1, v0 bitop3:0x54
	v_cvt_f32_i32_e32 v0, v0
	s_delay_alu instid0(VALU_DEP_1) | instskip(SKIP_1) | instid1(VALU_DEP_2)
	v_ldexp_f32 v0, v0, v1
	v_mov_b32_e32 v1, 0xff
	v_bfe_u32 v6, v0, 23, 8
	s_delay_alu instid0(VALU_DEP_1)
	v_cmpx_ne_u32_e32 0xff, v6
	s_cbranch_execz .LBB71_3152
; %bb.3151:
	v_and_b32_e32 v1, 0x400000, v0
	v_and_or_b32 v6, 0x3fffff, v0, v6
	v_lshrrev_b32_e32 v0, 23, v0
	s_delay_alu instid0(VALU_DEP_3) | instskip(NEXT) | instid1(VALU_DEP_3)
	v_cmp_ne_u32_e32 vcc_lo, 0, v1
	v_cmp_ne_u32_e64 s0, 0, v6
	s_and_b32 s0, vcc_lo, s0
	s_delay_alu instid0(SALU_CYCLE_1) | instskip(NEXT) | instid1(VALU_DEP_1)
	v_cndmask_b32_e64 v1, 0, 1, s0
	v_add_nc_u32_e32 v1, v0, v1
.LBB71_3152:
	s_or_b32 exec_lo, exec_lo, s3
	s_mov_b32 s0, 0
	global_store_b8 v[2:3], v1, off
.LBB71_3153:
	s_mov_b32 s3, 0
.LBB71_3154:
	s_delay_alu instid0(SALU_CYCLE_1)
	s_and_b32 vcc_lo, exec_lo, s3
	s_cbranch_vccz .LBB71_3157
; %bb.3155:
	s_cmp_eq_u32 s6, 29
	s_mov_b32 s0, -1
	s_cbranch_scc0 .LBB71_3157
; %bb.3156:
	s_mov_b32 s0, 0
	global_store_b64 v[2:3], v[4:5], off
.LBB71_3157:
	s_mov_b32 s3, 0
.LBB71_3158:
	s_delay_alu instid0(SALU_CYCLE_1)
	s_and_b32 vcc_lo, exec_lo, s3
	s_cbranch_vccz .LBB71_3173
; %bb.3159:
	s_cmp_lt_i32 s6, 27
	s_mov_b32 s3, -1
	s_cbranch_scc1 .LBB71_3165
; %bb.3160:
	s_cmp_gt_i32 s6, 27
	s_cbranch_scc0 .LBB71_3162
; %bb.3161:
	s_mov_b32 s3, 0
	global_store_b32 v[2:3], v4, off
.LBB71_3162:
	s_and_not1_b32 vcc_lo, exec_lo, s3
	s_cbranch_vccnz .LBB71_3164
; %bb.3163:
	global_store_b16 v[2:3], v4, off
.LBB71_3164:
	s_mov_b32 s3, 0
.LBB71_3165:
	s_delay_alu instid0(SALU_CYCLE_1)
	s_and_not1_b32 vcc_lo, exec_lo, s3
	s_cbranch_vccnz .LBB71_3173
; %bb.3166:
	s_wait_xcnt 0x0
	s_delay_alu instid0(VALU_DEP_2) | instskip(SKIP_2) | instid1(VALU_DEP_2)
	v_xor_b32_e32 v0, v4, v5
	v_cls_i32_e32 v1, v5
	s_mov_b32 s3, exec_lo
	v_ashrrev_i32_e32 v0, 31, v0
	s_delay_alu instid0(VALU_DEP_1) | instskip(NEXT) | instid1(VALU_DEP_1)
	v_add_nc_u32_e32 v0, 32, v0
	v_add_min_u32_e64 v6, v1, -1, v0
	s_delay_alu instid0(VALU_DEP_1) | instskip(NEXT) | instid1(VALU_DEP_1)
	v_lshlrev_b64_e32 v[0:1], v6, v[4:5]
	v_min_u32_e32 v0, 1, v0
	s_delay_alu instid0(VALU_DEP_1) | instskip(SKIP_1) | instid1(VALU_DEP_2)
	v_dual_sub_nc_u32 v1, 32, v6 :: v_dual_bitop2_b32 v0, v1, v0 bitop3:0x54
	v_mov_b32_e32 v6, 0x80
	v_cvt_f32_i32_e32 v0, v0
	s_delay_alu instid0(VALU_DEP_1) | instskip(NEXT) | instid1(VALU_DEP_1)
	v_ldexp_f32 v0, v0, v1
	v_and_b32_e32 v1, 0x7fffffff, v0
	s_delay_alu instid0(VALU_DEP_1)
	v_cmpx_gt_u32_e32 0x43800000, v1
	s_cbranch_execz .LBB71_3172
; %bb.3167:
	v_cmp_lt_u32_e32 vcc_lo, 0x3bffffff, v1
	s_mov_b32 s4, 0
                                        ; implicit-def: $vgpr1
	s_and_saveexec_b32 s5, vcc_lo
	s_delay_alu instid0(SALU_CYCLE_1)
	s_xor_b32 s5, exec_lo, s5
	s_cbranch_execz .LBB71_3278
; %bb.3168:
	v_bfe_u32 v1, v0, 20, 1
	s_mov_b32 s4, exec_lo
	s_delay_alu instid0(VALU_DEP_1) | instskip(NEXT) | instid1(VALU_DEP_1)
	v_add3_u32 v1, v0, v1, 0x487ffff
	v_lshrrev_b32_e32 v1, 20, v1
	s_and_not1_saveexec_b32 s5, s5
	s_cbranch_execnz .LBB71_3279
.LBB71_3169:
	s_or_b32 exec_lo, exec_lo, s5
	v_mov_b32_e32 v6, 0
	s_and_saveexec_b32 s5, s4
.LBB71_3170:
	v_lshrrev_b32_e32 v0, 24, v0
	s_delay_alu instid0(VALU_DEP_1)
	v_and_or_b32 v6, 0x80, v0, v1
.LBB71_3171:
	s_or_b32 exec_lo, exec_lo, s5
.LBB71_3172:
	s_delay_alu instid0(SALU_CYCLE_1)
	s_or_b32 exec_lo, exec_lo, s3
	global_store_b8 v[2:3], v6, off
.LBB71_3173:
	s_mov_b32 s3, 0
.LBB71_3174:
	s_delay_alu instid0(SALU_CYCLE_1)
	s_and_b32 vcc_lo, exec_lo, s3
	s_cbranch_vccz .LBB71_3214
; %bb.3175:
	s_cmp_gt_i32 s6, 22
	s_mov_b32 s2, -1
	s_cbranch_scc0 .LBB71_3207
; %bb.3176:
	s_cmp_lt_i32 s6, 24
	s_cbranch_scc1 .LBB71_3196
; %bb.3177:
	s_cmp_gt_i32 s6, 24
	s_cbranch_scc0 .LBB71_3185
; %bb.3178:
	s_wait_xcnt 0x0
	s_delay_alu instid0(VALU_DEP_2) | instskip(SKIP_2) | instid1(VALU_DEP_2)
	v_xor_b32_e32 v0, v4, v5
	v_cls_i32_e32 v1, v5
	s_mov_b32 s2, exec_lo
	v_ashrrev_i32_e32 v0, 31, v0
	s_delay_alu instid0(VALU_DEP_1) | instskip(NEXT) | instid1(VALU_DEP_1)
	v_add_nc_u32_e32 v0, 32, v0
	v_add_min_u32_e64 v6, v1, -1, v0
	s_delay_alu instid0(VALU_DEP_1) | instskip(NEXT) | instid1(VALU_DEP_1)
	v_lshlrev_b64_e32 v[0:1], v6, v[4:5]
	v_min_u32_e32 v0, 1, v0
	s_delay_alu instid0(VALU_DEP_1) | instskip(SKIP_1) | instid1(VALU_DEP_2)
	v_dual_sub_nc_u32 v1, 32, v6 :: v_dual_bitop2_b32 v0, v1, v0 bitop3:0x54
	v_mov_b32_e32 v6, 0x80
	v_cvt_f32_i32_e32 v0, v0
	s_delay_alu instid0(VALU_DEP_1) | instskip(NEXT) | instid1(VALU_DEP_1)
	v_ldexp_f32 v0, v0, v1
	v_and_b32_e32 v1, 0x7fffffff, v0
	s_delay_alu instid0(VALU_DEP_1)
	v_cmpx_gt_u32_e32 0x47800000, v1
	s_cbranch_execz .LBB71_3184
; %bb.3179:
	v_cmp_lt_u32_e32 vcc_lo, 0x37ffffff, v1
	s_mov_b32 s3, 0
                                        ; implicit-def: $vgpr1
	s_and_saveexec_b32 s4, vcc_lo
	s_delay_alu instid0(SALU_CYCLE_1)
	s_xor_b32 s4, exec_lo, s4
	s_cbranch_execz .LBB71_3281
; %bb.3180:
	v_bfe_u32 v1, v0, 21, 1
	s_mov_b32 s3, exec_lo
	s_delay_alu instid0(VALU_DEP_1) | instskip(NEXT) | instid1(VALU_DEP_1)
	v_add3_u32 v1, v0, v1, 0x88fffff
	v_lshrrev_b32_e32 v1, 21, v1
	s_and_not1_saveexec_b32 s4, s4
	s_cbranch_execnz .LBB71_3282
.LBB71_3181:
	s_or_b32 exec_lo, exec_lo, s4
	v_mov_b32_e32 v6, 0
	s_and_saveexec_b32 s4, s3
.LBB71_3182:
	v_lshrrev_b32_e32 v0, 24, v0
	s_delay_alu instid0(VALU_DEP_1)
	v_and_or_b32 v6, 0x80, v0, v1
.LBB71_3183:
	s_or_b32 exec_lo, exec_lo, s4
.LBB71_3184:
	s_delay_alu instid0(SALU_CYCLE_1)
	s_or_b32 exec_lo, exec_lo, s2
	s_mov_b32 s2, 0
	global_store_b8 v[2:3], v6, off
.LBB71_3185:
	s_and_b32 vcc_lo, exec_lo, s2
	s_cbranch_vccz .LBB71_3195
; %bb.3186:
	s_wait_xcnt 0x0
	s_delay_alu instid0(VALU_DEP_2) | instskip(SKIP_2) | instid1(VALU_DEP_2)
	v_xor_b32_e32 v0, v4, v5
	v_cls_i32_e32 v1, v5
	s_mov_b32 s2, exec_lo
	v_ashrrev_i32_e32 v0, 31, v0
	s_delay_alu instid0(VALU_DEP_1) | instskip(NEXT) | instid1(VALU_DEP_1)
	v_add_nc_u32_e32 v0, 32, v0
	v_add_min_u32_e64 v6, v1, -1, v0
	s_delay_alu instid0(VALU_DEP_1) | instskip(NEXT) | instid1(VALU_DEP_1)
	v_lshlrev_b64_e32 v[0:1], v6, v[4:5]
	v_min_u32_e32 v0, 1, v0
	s_delay_alu instid0(VALU_DEP_1) | instskip(NEXT) | instid1(VALU_DEP_1)
	v_dual_sub_nc_u32 v1, 32, v6 :: v_dual_bitop2_b32 v0, v1, v0 bitop3:0x54
	v_cvt_f32_i32_e32 v0, v0
	s_delay_alu instid0(VALU_DEP_1) | instskip(NEXT) | instid1(VALU_DEP_1)
	v_ldexp_f32 v0, v0, v1
                                        ; implicit-def: $vgpr1
	v_and_b32_e32 v6, 0x7fffffff, v0
	s_delay_alu instid0(VALU_DEP_1)
	v_cmpx_gt_u32_e32 0x43f00000, v6
	s_xor_b32 s2, exec_lo, s2
	s_cbranch_execz .LBB71_3192
; %bb.3187:
	s_mov_b32 s3, exec_lo
                                        ; implicit-def: $vgpr1
	v_cmpx_lt_u32_e32 0x3c7fffff, v6
	s_xor_b32 s3, exec_lo, s3
; %bb.3188:
	v_bfe_u32 v1, v0, 20, 1
	s_delay_alu instid0(VALU_DEP_1) | instskip(NEXT) | instid1(VALU_DEP_1)
	v_add3_u32 v1, v0, v1, 0x407ffff
	v_and_b32_e32 v6, 0xff00000, v1
	v_lshrrev_b32_e32 v1, 20, v1
	s_delay_alu instid0(VALU_DEP_2) | instskip(NEXT) | instid1(VALU_DEP_2)
	v_cmp_ne_u32_e32 vcc_lo, 0x7f00000, v6
	v_cndmask_b32_e32 v1, 0x7e, v1, vcc_lo
; %bb.3189:
	s_and_not1_saveexec_b32 s3, s3
; %bb.3190:
	v_add_f32_e64 v1, 0x46800000, |v0|
; %bb.3191:
	s_or_b32 exec_lo, exec_lo, s3
                                        ; implicit-def: $vgpr6
.LBB71_3192:
	s_and_not1_saveexec_b32 s2, s2
; %bb.3193:
	v_mov_b32_e32 v1, 0x7f
	v_cmp_lt_u32_e32 vcc_lo, 0x7f800000, v6
	s_delay_alu instid0(VALU_DEP_2)
	v_cndmask_b32_e32 v1, 0x7e, v1, vcc_lo
; %bb.3194:
	s_or_b32 exec_lo, exec_lo, s2
	v_lshrrev_b32_e32 v0, 24, v0
	s_delay_alu instid0(VALU_DEP_1)
	v_and_or_b32 v0, 0x80, v0, v1
	global_store_b8 v[2:3], v0, off
.LBB71_3195:
	s_mov_b32 s2, 0
.LBB71_3196:
	s_delay_alu instid0(SALU_CYCLE_1)
	s_and_not1_b32 vcc_lo, exec_lo, s2
	s_cbranch_vccnz .LBB71_3206
; %bb.3197:
	s_wait_xcnt 0x0
	s_delay_alu instid0(VALU_DEP_2) | instskip(SKIP_2) | instid1(VALU_DEP_2)
	v_xor_b32_e32 v0, v4, v5
	v_cls_i32_e32 v1, v5
	s_mov_b32 s2, exec_lo
	v_ashrrev_i32_e32 v0, 31, v0
	s_delay_alu instid0(VALU_DEP_1) | instskip(NEXT) | instid1(VALU_DEP_1)
	v_add_nc_u32_e32 v0, 32, v0
	v_add_min_u32_e64 v6, v1, -1, v0
	s_delay_alu instid0(VALU_DEP_1) | instskip(NEXT) | instid1(VALU_DEP_1)
	v_lshlrev_b64_e32 v[0:1], v6, v[4:5]
	v_min_u32_e32 v0, 1, v0
	s_delay_alu instid0(VALU_DEP_1) | instskip(NEXT) | instid1(VALU_DEP_1)
	v_dual_sub_nc_u32 v1, 32, v6 :: v_dual_bitop2_b32 v0, v1, v0 bitop3:0x54
	v_cvt_f32_i32_e32 v0, v0
	s_delay_alu instid0(VALU_DEP_1) | instskip(NEXT) | instid1(VALU_DEP_1)
	v_ldexp_f32 v0, v0, v1
                                        ; implicit-def: $vgpr1
	v_and_b32_e32 v6, 0x7fffffff, v0
	s_delay_alu instid0(VALU_DEP_1)
	v_cmpx_gt_u32_e32 0x47800000, v6
	s_xor_b32 s2, exec_lo, s2
	s_cbranch_execz .LBB71_3203
; %bb.3198:
	s_mov_b32 s3, exec_lo
                                        ; implicit-def: $vgpr1
	v_cmpx_lt_u32_e32 0x387fffff, v6
	s_xor_b32 s3, exec_lo, s3
; %bb.3199:
	v_bfe_u32 v1, v0, 21, 1
	s_delay_alu instid0(VALU_DEP_1) | instskip(NEXT) | instid1(VALU_DEP_1)
	v_add3_u32 v1, v0, v1, 0x80fffff
	v_lshrrev_b32_e32 v1, 21, v1
; %bb.3200:
	s_and_not1_saveexec_b32 s3, s3
; %bb.3201:
	v_add_f32_e64 v1, 0x43000000, |v0|
; %bb.3202:
	s_or_b32 exec_lo, exec_lo, s3
                                        ; implicit-def: $vgpr6
.LBB71_3203:
	s_and_not1_saveexec_b32 s2, s2
; %bb.3204:
	v_mov_b32_e32 v1, 0x7f
	v_cmp_lt_u32_e32 vcc_lo, 0x7f800000, v6
	s_delay_alu instid0(VALU_DEP_2)
	v_cndmask_b32_e32 v1, 0x7c, v1, vcc_lo
; %bb.3205:
	s_or_b32 exec_lo, exec_lo, s2
	v_lshrrev_b32_e32 v0, 24, v0
	s_delay_alu instid0(VALU_DEP_1)
	v_and_or_b32 v0, 0x80, v0, v1
	global_store_b8 v[2:3], v0, off
.LBB71_3206:
	s_mov_b32 s2, 0
.LBB71_3207:
	s_delay_alu instid0(SALU_CYCLE_1)
	s_and_not1_b32 vcc_lo, exec_lo, s2
	s_mov_b32 s2, 0
	s_cbranch_vccnz .LBB71_3214
; %bb.3208:
	s_cmp_gt_i32 s6, 14
	s_mov_b32 s2, -1
	s_cbranch_scc0 .LBB71_3212
; %bb.3209:
	s_cmp_eq_u32 s6, 15
	s_mov_b32 s0, -1
	s_cbranch_scc0 .LBB71_3211
; %bb.3210:
	s_wait_xcnt 0x0
	s_delay_alu instid0(VALU_DEP_2) | instskip(SKIP_2) | instid1(VALU_DEP_2)
	v_xor_b32_e32 v0, v4, v5
	v_cls_i32_e32 v1, v5
	s_mov_b32 s0, 0
	v_ashrrev_i32_e32 v0, 31, v0
	s_delay_alu instid0(VALU_DEP_1) | instskip(NEXT) | instid1(VALU_DEP_1)
	v_add_nc_u32_e32 v0, 32, v0
	v_add_min_u32_e64 v6, v1, -1, v0
	s_delay_alu instid0(VALU_DEP_1) | instskip(NEXT) | instid1(VALU_DEP_1)
	v_lshlrev_b64_e32 v[0:1], v6, v[4:5]
	v_min_u32_e32 v0, 1, v0
	s_delay_alu instid0(VALU_DEP_1) | instskip(NEXT) | instid1(VALU_DEP_1)
	v_dual_sub_nc_u32 v1, 32, v6 :: v_dual_bitop2_b32 v0, v1, v0 bitop3:0x54
	v_cvt_f32_i32_e32 v0, v0
	s_delay_alu instid0(VALU_DEP_1) | instskip(NEXT) | instid1(VALU_DEP_1)
	v_ldexp_f32 v0, v0, v1
	v_bfe_u32 v1, v0, 16, 1
	s_delay_alu instid0(VALU_DEP_1)
	v_add3_u32 v0, v0, v1, 0x7fff
	global_store_d16_hi_b16 v[2:3], v0, off
.LBB71_3211:
	s_mov_b32 s2, 0
.LBB71_3212:
	s_delay_alu instid0(SALU_CYCLE_1)
	s_and_b32 vcc_lo, exec_lo, s2
	s_mov_b32 s2, 0
	s_cbranch_vccz .LBB71_3214
; %bb.3213:
	s_cmp_lg_u32 s6, 11
	s_mov_b32 s2, -1
	s_cselect_b32 s0, -1, 0
.LBB71_3214:
	s_delay_alu instid0(SALU_CYCLE_1)
	s_and_b32 vcc_lo, exec_lo, s0
	s_cbranch_vccnz .LBB71_3280
.LBB71_3215:
	s_mov_b32 s0, 0
	s_branch .LBB71_3217
.LBB71_3216:
	s_mov_b32 s0, 0
	s_wait_xcnt 0x0
	s_mov_b32 s2, 0
                                        ; implicit-def: $vgpr2_vgpr3
                                        ; implicit-def: $sgpr1
                                        ; implicit-def: $vgpr4_vgpr5
.LBB71_3217:
	s_and_not1_b32 s3, s7, exec_lo
	s_and_b32 s4, s9, exec_lo
	s_and_b32 s0, s0, exec_lo
	;; [unrolled: 1-line block ×3, first 2 shown]
	s_or_b32 s7, s3, s4
.LBB71_3218:
	s_wait_xcnt 0x0
	s_or_b32 exec_lo, exec_lo, s8
	s_and_saveexec_b32 s2, s7
	s_cbranch_execz .LBB71_3221
; %bb.3219:
	; divergent unreachable
	s_or_b32 exec_lo, exec_lo, s2
	s_and_saveexec_b32 s2, s33
	s_delay_alu instid0(SALU_CYCLE_1)
	s_xor_b32 s2, exec_lo, s2
	s_cbranch_execnz .LBB71_3222
.LBB71_3220:
	s_or_b32 exec_lo, exec_lo, s2
	s_and_saveexec_b32 s2, s0
	s_cbranch_execnz .LBB71_3223
	s_branch .LBB71_3260
.LBB71_3221:
	s_or_b32 exec_lo, exec_lo, s2
	s_and_saveexec_b32 s2, s33
	s_delay_alu instid0(SALU_CYCLE_1)
	s_xor_b32 s2, exec_lo, s2
	s_cbranch_execz .LBB71_3220
.LBB71_3222:
	s_wait_loadcnt 0x0
	s_delay_alu instid0(VALU_DEP_1)
	v_cmp_ne_u64_e32 vcc_lo, 0, v[4:5]
	v_cndmask_b32_e64 v0, 0, 1, vcc_lo
	global_store_b8 v[2:3], v0, off
	s_wait_xcnt 0x0
	s_or_b32 exec_lo, exec_lo, s2
	s_and_saveexec_b32 s2, s0
	s_cbranch_execz .LBB71_3260
.LBB71_3223:
	s_sext_i32_i16 s2, s1
	s_mov_b32 s0, -1
	s_cmp_lt_i32 s2, 5
	s_cbranch_scc1 .LBB71_3244
; %bb.3224:
	s_cmp_lt_i32 s2, 8
	s_cbranch_scc1 .LBB71_3234
; %bb.3225:
	;; [unrolled: 3-line block ×3, first 2 shown]
	s_cmp_gt_i32 s2, 9
	s_cbranch_scc0 .LBB71_3228
; %bb.3227:
	s_wait_loadcnt 0x0
	v_cvt_f64_i32_e32 v[0:1], v5
	v_cvt_f64_u32_e32 v[6:7], v4
	s_mov_b32 s0, 0
	v_mov_b32_e32 v8, 0
	s_delay_alu instid0(VALU_DEP_1) | instskip(NEXT) | instid1(VALU_DEP_4)
	v_mov_b32_e32 v9, v8
	v_ldexp_f64 v[0:1], v[0:1], 32
	s_delay_alu instid0(VALU_DEP_1)
	v_add_f64_e32 v[6:7], v[0:1], v[6:7]
	global_store_b128 v[2:3], v[6:9], off
.LBB71_3228:
	s_and_not1_b32 vcc_lo, exec_lo, s0
	s_cbranch_vccnz .LBB71_3230
; %bb.3229:
	s_wait_loadcnt 0x0
	v_xor_b32_e32 v0, v4, v5
	v_cls_i32_e32 v1, v5
	s_delay_alu instid0(VALU_DEP_2) | instskip(NEXT) | instid1(VALU_DEP_1)
	v_ashrrev_i32_e32 v0, 31, v0
	v_add_nc_u32_e32 v0, 32, v0
	s_wait_xcnt 0x0
	s_delay_alu instid0(VALU_DEP_1) | instskip(NEXT) | instid1(VALU_DEP_1)
	v_add_min_u32_e64 v6, v1, -1, v0
	v_lshlrev_b64_e32 v[0:1], v6, v[4:5]
	s_delay_alu instid0(VALU_DEP_1) | instskip(NEXT) | instid1(VALU_DEP_1)
	v_min_u32_e32 v0, 1, v0
	v_dual_sub_nc_u32 v1, 32, v6 :: v_dual_bitop2_b32 v0, v1, v0 bitop3:0x54
	s_delay_alu instid0(VALU_DEP_1) | instskip(NEXT) | instid1(VALU_DEP_1)
	v_cvt_f32_i32_e32 v0, v0
	v_ldexp_f32 v0, v0, v1
	v_mov_b32_e32 v1, 0
	global_store_b64 v[2:3], v[0:1], off
.LBB71_3230:
	s_mov_b32 s0, 0
.LBB71_3231:
	s_delay_alu instid0(SALU_CYCLE_1)
	s_and_not1_b32 vcc_lo, exec_lo, s0
	s_cbranch_vccnz .LBB71_3233
; %bb.3232:
	s_wait_loadcnt 0x0
	v_xor_b32_e32 v0, v4, v5
	v_cls_i32_e32 v1, v5
	s_delay_alu instid0(VALU_DEP_2) | instskip(NEXT) | instid1(VALU_DEP_1)
	v_ashrrev_i32_e32 v0, 31, v0
	v_add_nc_u32_e32 v0, 32, v0
	s_delay_alu instid0(VALU_DEP_1) | instskip(NEXT) | instid1(VALU_DEP_1)
	v_add_min_u32_e64 v6, v1, -1, v0
	v_lshlrev_b64_e32 v[0:1], v6, v[4:5]
	s_delay_alu instid0(VALU_DEP_1) | instskip(NEXT) | instid1(VALU_DEP_1)
	v_min_u32_e32 v0, 1, v0
	v_dual_sub_nc_u32 v1, 32, v6 :: v_dual_bitop2_b32 v0, v1, v0 bitop3:0x54
	s_delay_alu instid0(VALU_DEP_1) | instskip(NEXT) | instid1(VALU_DEP_1)
	v_cvt_f32_i32_e32 v0, v0
	v_ldexp_f32 v0, v0, v1
	s_delay_alu instid0(VALU_DEP_1) | instskip(NEXT) | instid1(VALU_DEP_1)
	v_cvt_f16_f32_e32 v0, v0
	v_and_b32_e32 v0, 0xffff, v0
	global_store_b32 v[2:3], v0, off
.LBB71_3233:
	s_mov_b32 s0, 0
.LBB71_3234:
	s_delay_alu instid0(SALU_CYCLE_1)
	s_and_not1_b32 vcc_lo, exec_lo, s0
	s_cbranch_vccnz .LBB71_3243
; %bb.3235:
	s_sext_i32_i16 s2, s1
	s_mov_b32 s0, -1
	s_cmp_lt_i32 s2, 6
	s_cbranch_scc1 .LBB71_3241
; %bb.3236:
	s_cmp_gt_i32 s2, 6
	s_cbranch_scc0 .LBB71_3238
; %bb.3237:
	s_wait_loadcnt 0x0
	v_cvt_f64_i32_e32 v[0:1], v5
	v_cvt_f64_u32_e32 v[6:7], v4
	s_mov_b32 s0, 0
	s_delay_alu instid0(VALU_DEP_2) | instskip(NEXT) | instid1(VALU_DEP_1)
	v_ldexp_f64 v[0:1], v[0:1], 32
	v_add_f64_e32 v[0:1], v[0:1], v[6:7]
	global_store_b64 v[2:3], v[0:1], off
.LBB71_3238:
	s_and_not1_b32 vcc_lo, exec_lo, s0
	s_cbranch_vccnz .LBB71_3240
; %bb.3239:
	s_wait_loadcnt 0x0
	v_xor_b32_e32 v0, v4, v5
	v_cls_i32_e32 v1, v5
	s_delay_alu instid0(VALU_DEP_2) | instskip(NEXT) | instid1(VALU_DEP_1)
	v_ashrrev_i32_e32 v0, 31, v0
	v_add_nc_u32_e32 v0, 32, v0
	s_delay_alu instid0(VALU_DEP_1) | instskip(NEXT) | instid1(VALU_DEP_1)
	v_add_min_u32_e64 v6, v1, -1, v0
	v_lshlrev_b64_e32 v[0:1], v6, v[4:5]
	s_delay_alu instid0(VALU_DEP_1) | instskip(NEXT) | instid1(VALU_DEP_1)
	v_min_u32_e32 v0, 1, v0
	v_dual_sub_nc_u32 v1, 32, v6 :: v_dual_bitop2_b32 v0, v1, v0 bitop3:0x54
	s_delay_alu instid0(VALU_DEP_1) | instskip(NEXT) | instid1(VALU_DEP_1)
	v_cvt_f32_i32_e32 v0, v0
	v_ldexp_f32 v0, v0, v1
	global_store_b32 v[2:3], v0, off
.LBB71_3240:
	s_mov_b32 s0, 0
.LBB71_3241:
	s_delay_alu instid0(SALU_CYCLE_1)
	s_and_not1_b32 vcc_lo, exec_lo, s0
	s_cbranch_vccnz .LBB71_3243
; %bb.3242:
	s_wait_loadcnt 0x0
	v_xor_b32_e32 v0, v4, v5
	v_cls_i32_e32 v1, v5
	s_delay_alu instid0(VALU_DEP_2) | instskip(NEXT) | instid1(VALU_DEP_1)
	v_ashrrev_i32_e32 v0, 31, v0
	v_add_nc_u32_e32 v0, 32, v0
	s_delay_alu instid0(VALU_DEP_1) | instskip(NEXT) | instid1(VALU_DEP_1)
	v_add_min_u32_e64 v6, v1, -1, v0
	v_lshlrev_b64_e32 v[0:1], v6, v[4:5]
	s_delay_alu instid0(VALU_DEP_1) | instskip(NEXT) | instid1(VALU_DEP_1)
	v_min_u32_e32 v0, 1, v0
	v_dual_sub_nc_u32 v1, 32, v6 :: v_dual_bitop2_b32 v0, v1, v0 bitop3:0x54
	s_delay_alu instid0(VALU_DEP_1) | instskip(NEXT) | instid1(VALU_DEP_1)
	v_cvt_f32_i32_e32 v0, v0
	v_ldexp_f32 v0, v0, v1
	s_delay_alu instid0(VALU_DEP_1)
	v_cvt_f16_f32_e32 v0, v0
	global_store_b16 v[2:3], v0, off
.LBB71_3243:
	s_mov_b32 s0, 0
.LBB71_3244:
	s_delay_alu instid0(SALU_CYCLE_1)
	s_and_not1_b32 vcc_lo, exec_lo, s0
	s_cbranch_vccnz .LBB71_3260
; %bb.3245:
	s_sext_i32_i16 s2, s1
	s_mov_b32 s0, -1
	s_cmp_lt_i32 s2, 2
	s_cbranch_scc1 .LBB71_3255
; %bb.3246:
	s_cmp_lt_i32 s2, 3
	s_cbranch_scc1 .LBB71_3252
; %bb.3247:
	s_cmp_gt_i32 s2, 3
	s_cbranch_scc0 .LBB71_3249
; %bb.3248:
	s_mov_b32 s0, 0
	s_wait_loadcnt 0x0
	global_store_b64 v[2:3], v[4:5], off
.LBB71_3249:
	s_and_not1_b32 vcc_lo, exec_lo, s0
	s_cbranch_vccnz .LBB71_3251
; %bb.3250:
	s_wait_loadcnt 0x0
	global_store_b32 v[2:3], v4, off
.LBB71_3251:
	s_mov_b32 s0, 0
.LBB71_3252:
	s_delay_alu instid0(SALU_CYCLE_1)
	s_and_not1_b32 vcc_lo, exec_lo, s0
	s_cbranch_vccnz .LBB71_3254
; %bb.3253:
	s_wait_loadcnt 0x0
	global_store_b16 v[2:3], v4, off
.LBB71_3254:
	s_mov_b32 s0, 0
.LBB71_3255:
	s_delay_alu instid0(SALU_CYCLE_1)
	s_and_not1_b32 vcc_lo, exec_lo, s0
	s_cbranch_vccnz .LBB71_3260
; %bb.3256:
	s_sext_i32_i16 s0, s1
	s_delay_alu instid0(SALU_CYCLE_1)
	s_cmp_gt_i32 s0, 0
	s_mov_b32 s0, -1
	s_cbranch_scc0 .LBB71_3258
; %bb.3257:
	s_mov_b32 s0, 0
	s_wait_loadcnt 0x0
	global_store_b8 v[2:3], v4, off
.LBB71_3258:
	s_and_not1_b32 vcc_lo, exec_lo, s0
	s_cbranch_vccnz .LBB71_3260
; %bb.3259:
	s_wait_loadcnt 0x0
	global_store_b8 v[2:3], v4, off
	s_endpgm
.LBB71_3260:
	s_endpgm
.LBB71_3261:
	s_mov_b32 s2, 0
	s_mov_b32 s0, -1
	s_branch .LBB71_3217
.LBB71_3262:
	s_or_b32 s9, s9, exec_lo
	s_trap 2
	s_cbranch_execz .LBB71_2731
	s_branch .LBB71_2732
.LBB71_3263:
	s_and_not1_saveexec_b32 s13, s13
	s_cbranch_execz .LBB71_2811
.LBB71_3264:
	v_add_f32_e64 v3, 0x46000000, |v1|
	s_and_not1_b32 s12, s12, exec_lo
	s_delay_alu instid0(VALU_DEP_1) | instskip(NEXT) | instid1(VALU_DEP_1)
	v_and_b32_e32 v3, 0xff, v3
	v_cmp_ne_u32_e32 vcc_lo, 0, v3
	s_and_b32 s14, vcc_lo, exec_lo
	s_delay_alu instid0(SALU_CYCLE_1)
	s_or_b32 s12, s12, s14
	s_or_b32 exec_lo, exec_lo, s13
	v_mov_b32_e32 v5, 0
	s_and_saveexec_b32 s13, s12
	s_cbranch_execnz .LBB71_2812
	s_branch .LBB71_2813
.LBB71_3265:
	s_or_b32 s9, s9, exec_lo
	s_trap 2
	s_cbranch_execz .LBB71_2859
	s_branch .LBB71_2860
.LBB71_3266:
	s_and_not1_saveexec_b32 s12, s12
	s_cbranch_execz .LBB71_2824
.LBB71_3267:
	v_add_f32_e64 v3, 0x42800000, |v1|
	s_and_not1_b32 s11, s11, exec_lo
	s_delay_alu instid0(VALU_DEP_1) | instskip(NEXT) | instid1(VALU_DEP_1)
	v_and_b32_e32 v3, 0xff, v3
	v_cmp_ne_u32_e32 vcc_lo, 0, v3
	s_and_b32 s13, vcc_lo, exec_lo
	s_delay_alu instid0(SALU_CYCLE_1)
	s_or_b32 s11, s11, s13
	s_or_b32 exec_lo, exec_lo, s12
	v_mov_b32_e32 v5, 0
	s_and_saveexec_b32 s12, s11
	s_cbranch_execnz .LBB71_2825
	s_branch .LBB71_2826
.LBB71_3268:
	s_and_not1_saveexec_b32 s13, s13
	s_cbranch_execz .LBB71_2930
.LBB71_3269:
	v_add_f32_e64 v3, 0x46000000, |v1|
	s_and_not1_b32 s12, s12, exec_lo
	s_delay_alu instid0(VALU_DEP_1) | instskip(NEXT) | instid1(VALU_DEP_1)
	v_and_b32_e32 v3, 0xff, v3
	v_cmp_ne_u32_e32 vcc_lo, 0, v3
	s_and_b32 s14, vcc_lo, exec_lo
	s_delay_alu instid0(SALU_CYCLE_1)
	s_or_b32 s12, s12, s14
	s_or_b32 exec_lo, exec_lo, s13
	v_mov_b32_e32 v8, 0
	s_and_saveexec_b32 s13, s12
	s_cbranch_execnz .LBB71_2931
	s_branch .LBB71_2932
.LBB71_3270:
	s_or_b32 s9, s9, exec_lo
	s_trap 2
	s_cbranch_execz .LBB71_2978
	s_branch .LBB71_2979
.LBB71_3271:
	s_and_not1_saveexec_b32 s12, s12
	s_cbranch_execz .LBB71_2943
.LBB71_3272:
	v_add_f32_e64 v3, 0x42800000, |v1|
	s_and_not1_b32 s11, s11, exec_lo
	s_delay_alu instid0(VALU_DEP_1) | instskip(NEXT) | instid1(VALU_DEP_1)
	v_and_b32_e32 v3, 0xff, v3
	v_cmp_ne_u32_e32 vcc_lo, 0, v3
	s_and_b32 s13, vcc_lo, exec_lo
	s_delay_alu instid0(SALU_CYCLE_1)
	s_or_b32 s11, s11, s13
	s_or_b32 exec_lo, exec_lo, s12
	v_mov_b32_e32 v8, 0
	s_and_saveexec_b32 s12, s11
	s_cbranch_execnz .LBB71_2944
	s_branch .LBB71_2945
.LBB71_3273:
	s_and_not1_saveexec_b32 s13, s13
	s_cbranch_execz .LBB71_3049
.LBB71_3274:
	v_add_f32_e64 v6, 0x46000000, |v1|
	s_and_not1_b32 s12, s12, exec_lo
	s_delay_alu instid0(VALU_DEP_1) | instskip(NEXT) | instid1(VALU_DEP_1)
	v_and_b32_e32 v6, 0xff, v6
	v_cmp_ne_u32_e32 vcc_lo, 0, v6
	s_and_b32 s14, vcc_lo, exec_lo
	s_delay_alu instid0(SALU_CYCLE_1)
	s_or_b32 s12, s12, s14
	s_or_b32 exec_lo, exec_lo, s13
	v_mov_b32_e32 v7, 0
	s_and_saveexec_b32 s13, s12
	s_cbranch_execnz .LBB71_3050
	s_branch .LBB71_3051
.LBB71_3275:
	s_or_b32 s9, s9, exec_lo
	s_trap 2
	s_cbranch_execz .LBB71_3097
	s_branch .LBB71_3098
.LBB71_3276:
	s_and_not1_saveexec_b32 s12, s12
	s_cbranch_execz .LBB71_3062
.LBB71_3277:
	v_add_f32_e64 v6, 0x42800000, |v1|
	s_and_not1_b32 s11, s11, exec_lo
	s_delay_alu instid0(VALU_DEP_1) | instskip(NEXT) | instid1(VALU_DEP_1)
	v_and_b32_e32 v6, 0xff, v6
	v_cmp_ne_u32_e32 vcc_lo, 0, v6
	s_and_b32 s13, vcc_lo, exec_lo
	s_delay_alu instid0(SALU_CYCLE_1)
	s_or_b32 s11, s11, s13
	s_or_b32 exec_lo, exec_lo, s12
	v_mov_b32_e32 v7, 0
	s_and_saveexec_b32 s12, s11
	s_cbranch_execnz .LBB71_3063
	s_branch .LBB71_3064
.LBB71_3278:
	s_and_not1_saveexec_b32 s5, s5
	s_cbranch_execz .LBB71_3169
.LBB71_3279:
	v_add_f32_e64 v1, 0x46000000, |v0|
	s_and_not1_b32 s4, s4, exec_lo
	s_delay_alu instid0(VALU_DEP_1) | instskip(NEXT) | instid1(VALU_DEP_1)
	v_and_b32_e32 v1, 0xff, v1
	v_cmp_ne_u32_e32 vcc_lo, 0, v1
	s_and_b32 s10, vcc_lo, exec_lo
	s_delay_alu instid0(SALU_CYCLE_1)
	s_or_b32 s4, s4, s10
	s_or_b32 exec_lo, exec_lo, s5
	v_mov_b32_e32 v6, 0
	s_and_saveexec_b32 s5, s4
	s_cbranch_execnz .LBB71_3170
	s_branch .LBB71_3171
.LBB71_3280:
	s_mov_b32 s2, 0
	s_or_b32 s9, s9, exec_lo
	s_trap 2
	s_branch .LBB71_3215
.LBB71_3281:
	s_and_not1_saveexec_b32 s4, s4
	s_cbranch_execz .LBB71_3181
.LBB71_3282:
	v_add_f32_e64 v1, 0x42800000, |v0|
	s_and_not1_b32 s3, s3, exec_lo
	s_delay_alu instid0(VALU_DEP_1) | instskip(NEXT) | instid1(VALU_DEP_1)
	v_and_b32_e32 v1, 0xff, v1
	v_cmp_ne_u32_e32 vcc_lo, 0, v1
	s_and_b32 s5, vcc_lo, exec_lo
	s_delay_alu instid0(SALU_CYCLE_1)
	s_or_b32 s3, s3, s5
	s_or_b32 exec_lo, exec_lo, s4
	v_mov_b32_e32 v6, 0
	s_and_saveexec_b32 s4, s3
	s_cbranch_execnz .LBB71_3182
	s_branch .LBB71_3183
	.section	.rodata,"a",@progbits
	.p2align	6, 0x0
	.amdhsa_kernel _ZN2at6native32elementwise_kernel_manual_unrollILi128ELi4EZNS0_15gpu_kernel_implIZZZNS0_12_GLOBAL__N_116addr_kernel_cudaERNS_14TensorIteratorERKN3c106ScalarES9_ENKUlvE_clEvENKUlvE2_clEvEUllllE_EEvRNS_18TensorIteratorBaseERKT_EUlibE0_EEviT1_
		.amdhsa_group_segment_fixed_size 0
		.amdhsa_private_segment_fixed_size 0
		.amdhsa_kernarg_size 512
		.amdhsa_user_sgpr_count 2
		.amdhsa_user_sgpr_dispatch_ptr 0
		.amdhsa_user_sgpr_queue_ptr 0
		.amdhsa_user_sgpr_kernarg_segment_ptr 1
		.amdhsa_user_sgpr_dispatch_id 0
		.amdhsa_user_sgpr_kernarg_preload_length 0
		.amdhsa_user_sgpr_kernarg_preload_offset 0
		.amdhsa_user_sgpr_private_segment_size 0
		.amdhsa_wavefront_size32 1
		.amdhsa_uses_dynamic_stack 0
		.amdhsa_enable_private_segment 0
		.amdhsa_system_sgpr_workgroup_id_x 1
		.amdhsa_system_sgpr_workgroup_id_y 0
		.amdhsa_system_sgpr_workgroup_id_z 0
		.amdhsa_system_sgpr_workgroup_info 0
		.amdhsa_system_vgpr_workitem_id 0
		.amdhsa_next_free_vgpr 30
		.amdhsa_next_free_sgpr 64
		.amdhsa_named_barrier_count 0
		.amdhsa_reserve_vcc 1
		.amdhsa_float_round_mode_32 0
		.amdhsa_float_round_mode_16_64 0
		.amdhsa_float_denorm_mode_32 3
		.amdhsa_float_denorm_mode_16_64 3
		.amdhsa_fp16_overflow 0
		.amdhsa_memory_ordered 1
		.amdhsa_forward_progress 1
		.amdhsa_inst_pref_size 255
		.amdhsa_round_robin_scheduling 0
		.amdhsa_exception_fp_ieee_invalid_op 0
		.amdhsa_exception_fp_denorm_src 0
		.amdhsa_exception_fp_ieee_div_zero 0
		.amdhsa_exception_fp_ieee_overflow 0
		.amdhsa_exception_fp_ieee_underflow 0
		.amdhsa_exception_fp_ieee_inexact 0
		.amdhsa_exception_int_div_zero 0
	.end_amdhsa_kernel
	.section	.text._ZN2at6native32elementwise_kernel_manual_unrollILi128ELi4EZNS0_15gpu_kernel_implIZZZNS0_12_GLOBAL__N_116addr_kernel_cudaERNS_14TensorIteratorERKN3c106ScalarES9_ENKUlvE_clEvENKUlvE2_clEvEUllllE_EEvRNS_18TensorIteratorBaseERKT_EUlibE0_EEviT1_,"axG",@progbits,_ZN2at6native32elementwise_kernel_manual_unrollILi128ELi4EZNS0_15gpu_kernel_implIZZZNS0_12_GLOBAL__N_116addr_kernel_cudaERNS_14TensorIteratorERKN3c106ScalarES9_ENKUlvE_clEvENKUlvE2_clEvEUllllE_EEvRNS_18TensorIteratorBaseERKT_EUlibE0_EEviT1_,comdat
.Lfunc_end71:
	.size	_ZN2at6native32elementwise_kernel_manual_unrollILi128ELi4EZNS0_15gpu_kernel_implIZZZNS0_12_GLOBAL__N_116addr_kernel_cudaERNS_14TensorIteratorERKN3c106ScalarES9_ENKUlvE_clEvENKUlvE2_clEvEUllllE_EEvRNS_18TensorIteratorBaseERKT_EUlibE0_EEviT1_, .Lfunc_end71-_ZN2at6native32elementwise_kernel_manual_unrollILi128ELi4EZNS0_15gpu_kernel_implIZZZNS0_12_GLOBAL__N_116addr_kernel_cudaERNS_14TensorIteratorERKN3c106ScalarES9_ENKUlvE_clEvENKUlvE2_clEvEUllllE_EEvRNS_18TensorIteratorBaseERKT_EUlibE0_EEviT1_
                                        ; -- End function
	.set _ZN2at6native32elementwise_kernel_manual_unrollILi128ELi4EZNS0_15gpu_kernel_implIZZZNS0_12_GLOBAL__N_116addr_kernel_cudaERNS_14TensorIteratorERKN3c106ScalarES9_ENKUlvE_clEvENKUlvE2_clEvEUllllE_EEvRNS_18TensorIteratorBaseERKT_EUlibE0_EEviT1_.num_vgpr, 30
	.set _ZN2at6native32elementwise_kernel_manual_unrollILi128ELi4EZNS0_15gpu_kernel_implIZZZNS0_12_GLOBAL__N_116addr_kernel_cudaERNS_14TensorIteratorERKN3c106ScalarES9_ENKUlvE_clEvENKUlvE2_clEvEUllllE_EEvRNS_18TensorIteratorBaseERKT_EUlibE0_EEviT1_.num_agpr, 0
	.set _ZN2at6native32elementwise_kernel_manual_unrollILi128ELi4EZNS0_15gpu_kernel_implIZZZNS0_12_GLOBAL__N_116addr_kernel_cudaERNS_14TensorIteratorERKN3c106ScalarES9_ENKUlvE_clEvENKUlvE2_clEvEUllllE_EEvRNS_18TensorIteratorBaseERKT_EUlibE0_EEviT1_.numbered_sgpr, 64
	.set _ZN2at6native32elementwise_kernel_manual_unrollILi128ELi4EZNS0_15gpu_kernel_implIZZZNS0_12_GLOBAL__N_116addr_kernel_cudaERNS_14TensorIteratorERKN3c106ScalarES9_ENKUlvE_clEvENKUlvE2_clEvEUllllE_EEvRNS_18TensorIteratorBaseERKT_EUlibE0_EEviT1_.num_named_barrier, 0
	.set _ZN2at6native32elementwise_kernel_manual_unrollILi128ELi4EZNS0_15gpu_kernel_implIZZZNS0_12_GLOBAL__N_116addr_kernel_cudaERNS_14TensorIteratorERKN3c106ScalarES9_ENKUlvE_clEvENKUlvE2_clEvEUllllE_EEvRNS_18TensorIteratorBaseERKT_EUlibE0_EEviT1_.private_seg_size, 0
	.set _ZN2at6native32elementwise_kernel_manual_unrollILi128ELi4EZNS0_15gpu_kernel_implIZZZNS0_12_GLOBAL__N_116addr_kernel_cudaERNS_14TensorIteratorERKN3c106ScalarES9_ENKUlvE_clEvENKUlvE2_clEvEUllllE_EEvRNS_18TensorIteratorBaseERKT_EUlibE0_EEviT1_.uses_vcc, 1
	.set _ZN2at6native32elementwise_kernel_manual_unrollILi128ELi4EZNS0_15gpu_kernel_implIZZZNS0_12_GLOBAL__N_116addr_kernel_cudaERNS_14TensorIteratorERKN3c106ScalarES9_ENKUlvE_clEvENKUlvE2_clEvEUllllE_EEvRNS_18TensorIteratorBaseERKT_EUlibE0_EEviT1_.uses_flat_scratch, 0
	.set _ZN2at6native32elementwise_kernel_manual_unrollILi128ELi4EZNS0_15gpu_kernel_implIZZZNS0_12_GLOBAL__N_116addr_kernel_cudaERNS_14TensorIteratorERKN3c106ScalarES9_ENKUlvE_clEvENKUlvE2_clEvEUllllE_EEvRNS_18TensorIteratorBaseERKT_EUlibE0_EEviT1_.has_dyn_sized_stack, 0
	.set _ZN2at6native32elementwise_kernel_manual_unrollILi128ELi4EZNS0_15gpu_kernel_implIZZZNS0_12_GLOBAL__N_116addr_kernel_cudaERNS_14TensorIteratorERKN3c106ScalarES9_ENKUlvE_clEvENKUlvE2_clEvEUllllE_EEvRNS_18TensorIteratorBaseERKT_EUlibE0_EEviT1_.has_recursion, 0
	.set _ZN2at6native32elementwise_kernel_manual_unrollILi128ELi4EZNS0_15gpu_kernel_implIZZZNS0_12_GLOBAL__N_116addr_kernel_cudaERNS_14TensorIteratorERKN3c106ScalarES9_ENKUlvE_clEvENKUlvE2_clEvEUllllE_EEvRNS_18TensorIteratorBaseERKT_EUlibE0_EEviT1_.has_indirect_call, 0
	.section	.AMDGPU.csdata,"",@progbits
; Kernel info:
; codeLenInByte = 78552
; TotalNumSgprs: 66
; NumVgprs: 30
; ScratchSize: 0
; MemoryBound: 1
; FloatMode: 240
; IeeeMode: 1
; LDSByteSize: 0 bytes/workgroup (compile time only)
; SGPRBlocks: 0
; VGPRBlocks: 1
; NumSGPRsForWavesPerEU: 66
; NumVGPRsForWavesPerEU: 30
; NamedBarCnt: 0
; Occupancy: 16
; WaveLimiterHint : 1
; COMPUTE_PGM_RSRC2:SCRATCH_EN: 0
; COMPUTE_PGM_RSRC2:USER_SGPR: 2
; COMPUTE_PGM_RSRC2:TRAP_HANDLER: 0
; COMPUTE_PGM_RSRC2:TGID_X_EN: 1
; COMPUTE_PGM_RSRC2:TGID_Y_EN: 0
; COMPUTE_PGM_RSRC2:TGID_Z_EN: 0
; COMPUTE_PGM_RSRC2:TIDIG_COMP_CNT: 0
	.section	.text._ZN2at6native29vectorized_elementwise_kernelILi16EZZZNS0_12_GLOBAL__N_116addr_kernel_cudaERNS_14TensorIteratorERKN3c106ScalarES8_ENKUlvE_clEvENKUlvE2_clEvEUllllE0_St5arrayIPcLm4EEEEviT0_T1_,"axG",@progbits,_ZN2at6native29vectorized_elementwise_kernelILi16EZZZNS0_12_GLOBAL__N_116addr_kernel_cudaERNS_14TensorIteratorERKN3c106ScalarES8_ENKUlvE_clEvENKUlvE2_clEvEUllllE0_St5arrayIPcLm4EEEEviT0_T1_,comdat
	.globl	_ZN2at6native29vectorized_elementwise_kernelILi16EZZZNS0_12_GLOBAL__N_116addr_kernel_cudaERNS_14TensorIteratorERKN3c106ScalarES8_ENKUlvE_clEvENKUlvE2_clEvEUllllE0_St5arrayIPcLm4EEEEviT0_T1_ ; -- Begin function _ZN2at6native29vectorized_elementwise_kernelILi16EZZZNS0_12_GLOBAL__N_116addr_kernel_cudaERNS_14TensorIteratorERKN3c106ScalarES8_ENKUlvE_clEvENKUlvE2_clEvEUllllE0_St5arrayIPcLm4EEEEviT0_T1_
	.p2align	8
	.type	_ZN2at6native29vectorized_elementwise_kernelILi16EZZZNS0_12_GLOBAL__N_116addr_kernel_cudaERNS_14TensorIteratorERKN3c106ScalarES8_ENKUlvE_clEvENKUlvE2_clEvEUllllE0_St5arrayIPcLm4EEEEviT0_T1_,@function
_ZN2at6native29vectorized_elementwise_kernelILi16EZZZNS0_12_GLOBAL__N_116addr_kernel_cudaERNS_14TensorIteratorERKN3c106ScalarES8_ENKUlvE_clEvENKUlvE2_clEvEUllllE0_St5arrayIPcLm4EEEEviT0_T1_: ; @_ZN2at6native29vectorized_elementwise_kernelILi16EZZZNS0_12_GLOBAL__N_116addr_kernel_cudaERNS_14TensorIteratorERKN3c106ScalarES8_ENKUlvE_clEvENKUlvE2_clEvEUllllE0_St5arrayIPcLm4EEEEviT0_T1_
; %bb.0:
	s_clause 0x2
	s_load_b32 s3, s[0:1], 0x0
	s_load_b256 s[4:11], s[0:1], 0x8
	s_load_b128 s[12:15], s[0:1], 0x28
	s_wait_xcnt 0x0
	s_bfe_u32 s0, ttmp6, 0x4000c
	s_and_b32 s1, ttmp6, 15
	s_add_co_i32 s0, s0, 1
	s_getreg_b32 s2, hwreg(HW_REG_IB_STS2, 6, 4)
	s_mul_i32 s0, ttmp9, s0
	s_delay_alu instid0(SALU_CYCLE_1) | instskip(SKIP_2) | instid1(SALU_CYCLE_1)
	s_add_co_i32 s1, s1, s0
	s_cmp_eq_u32 s2, 0
	s_cselect_b32 s0, ttmp9, s1
	s_lshl_b32 s2, s0, 10
	s_mov_b32 s0, -1
	s_wait_kmcnt 0x0
	s_sub_co_i32 s1, s3, s2
	s_delay_alu instid0(SALU_CYCLE_1)
	s_cmp_gt_i32 s1, 0x3ff
	s_cbranch_scc0 .LBB72_2
; %bb.1:
	s_ashr_i32 s3, s2, 31
	v_lshlrev_b32_e32 v1, 5, v0
	s_lshl_b64 s[16:17], s[2:3], 3
	s_mov_b32 s0, 0
	s_add_nc_u64 s[18:19], s[10:11], s[16:17]
	s_add_nc_u64 s[20:21], s[12:13], s[16:17]
	s_clause 0x3
	global_load_b128 v[2:5], v1, s[18:19]
	global_load_b128 v[6:9], v1, s[20:21]
	global_load_b128 v[10:13], v1, s[18:19] offset:16
	global_load_b128 v[14:17], v1, s[20:21] offset:16
	s_wait_xcnt 0x1
	s_add_nc_u64 s[18:19], s[14:15], s[16:17]
	s_clause 0x1
	global_load_b128 v[18:21], v1, s[18:19]
	global_load_b128 v[22:25], v1, s[18:19] offset:16
	s_add_nc_u64 s[16:17], s[8:9], s[16:17]
	s_wait_loadcnt 0x5
	v_mul_u64_e32 v[2:3], s[4:5], v[2:3]
	s_wait_loadcnt 0x4
	v_mul_u64_e32 v[26:27], s[6:7], v[6:7]
	v_mul_u64_e32 v[4:5], s[4:5], v[4:5]
	;; [unrolled: 1-line block ×3, first 2 shown]
	s_wait_loadcnt 0x3
	v_mul_u64_e32 v[6:7], s[4:5], v[10:11]
	s_wait_loadcnt 0x2
	v_mul_u64_e32 v[10:11], s[6:7], v[14:15]
	v_mul_u64_e32 v[8:9], s[4:5], v[12:13]
	;; [unrolled: 1-line block ×3, first 2 shown]
	s_wait_loadcnt 0x1
	v_mad_nc_u64_u32 v[2:3], v26, v18, v[2:3]
	v_mad_nc_u64_u32 v[4:5], v28, v20, v[4:5]
	s_wait_loadcnt 0x0
	v_mad_nc_u64_u32 v[6:7], v10, v22, v[6:7]
	s_delay_alu instid0(VALU_DEP_4) | instskip(NEXT) | instid1(VALU_DEP_4)
	v_mad_nc_u64_u32 v[8:9], v12, v24, v[8:9]
	v_mad_u32 v3, v27, v18, v3
	s_delay_alu instid0(VALU_DEP_4) | instskip(NEXT) | instid1(VALU_DEP_4)
	v_mad_u32 v5, v29, v20, v5
	v_mad_u32 v7, v11, v22, v7
	s_delay_alu instid0(VALU_DEP_4) | instskip(NEXT) | instid1(VALU_DEP_4)
	v_mad_u32 v9, v13, v24, v9
	;; [unrolled: 3-line block ×3, first 2 shown]
	v_mad_u32 v7, v10, v23, v7
	s_delay_alu instid0(VALU_DEP_4)
	v_mad_u32 v9, v12, v25, v9
	s_clause 0x1
	global_store_b128 v1, v[2:5], s[16:17]
	global_store_b128 v1, v[6:9], s[16:17] offset:16
.LBB72_2:
	s_and_not1_b32 vcc_lo, exec_lo, s0
	s_cbranch_vccnz .LBB72_23
; %bb.3:
	s_wait_xcnt 0x1
	v_mov_b64_e32 v[2:3], 0
	s_wait_xcnt 0x0
	v_mov_b64_e32 v[6:7], 0
	v_mov_b64_e32 v[10:11], 0
	;; [unrolled: 1-line block ×3, first 2 shown]
	v_cmp_gt_i32_e32 vcc_lo, s1, v0
	v_dual_mov_b32 v26, v0 :: v_dual_bitop2_b32 v1, s2, v0 bitop3:0x54
	v_or_b32_e32 v28, 0x100, v0
	s_and_saveexec_b32 s0, vcc_lo
	s_cbranch_execz .LBB72_5
; %bb.4:
	s_clause 0x2
	global_load_b64 v[6:7], v1, s[10:11] scale_offset
	global_load_b64 v[10:11], v1, s[12:13] scale_offset
	;; [unrolled: 1-line block ×3, first 2 shown]
	v_or_b32_e32 v26, 0x100, v0
.LBB72_5:
	s_wait_xcnt 0x0
	s_or_b32 exec_lo, exec_lo, s0
	v_mov_b64_e32 v[14:15], 0
	v_mov_b64_e32 v[12:13], 0
	s_mov_b32 s3, exec_lo
	v_cmpx_gt_i32_e64 s1, v26
	s_cbranch_execz .LBB72_7
; %bb.6:
	v_add_nc_u32_e32 v4, s2, v26
	v_add_nc_u32_e32 v26, 0x100, v26
	s_clause 0x2
	global_load_b64 v[2:3], v4, s[10:11] scale_offset
	global_load_b64 v[14:15], v4, s[12:13] scale_offset
	;; [unrolled: 1-line block ×3, first 2 shown]
.LBB72_7:
	s_wait_xcnt 0x0
	s_or_b32 exec_lo, exec_lo, s3
	v_mov_b64_e32 v[4:5], 0
	v_mov_b64_e32 v[16:17], 0
	;; [unrolled: 1-line block ×4, first 2 shown]
	s_mov_b32 s3, exec_lo
	v_cmpx_gt_i32_e64 s1, v26
	s_cbranch_execz .LBB72_9
; %bb.8:
	v_add_nc_u32_e32 v22, s2, v26
	v_add_nc_u32_e32 v26, 0x100, v26
	s_clause 0x2
	global_load_b64 v[16:17], v22, s[10:11] scale_offset
	global_load_b64 v[20:21], v22, s[12:13] scale_offset
	;; [unrolled: 1-line block ×3, first 2 shown]
.LBB72_9:
	s_wait_xcnt 0x0
	s_or_b32 exec_lo, exec_lo, s3
	v_mov_b64_e32 v[24:25], 0
	v_mov_b64_e32 v[22:23], 0
	s_mov_b32 s3, exec_lo
	v_cmpx_gt_i32_e64 s1, v26
	s_cbranch_execz .LBB72_11
; %bb.10:
	v_add_nc_u32_e32 v26, s2, v26
	s_clause 0x2
	global_load_b64 v[4:5], v26, s[10:11] scale_offset
	global_load_b64 v[24:25], v26, s[12:13] scale_offset
	;; [unrolled: 1-line block ×3, first 2 shown]
	s_wait_xcnt 0x0
	s_or_b32 exec_lo, exec_lo, s3
                                        ; implicit-def: $vgpr26_vgpr27
	s_and_saveexec_b32 s0, vcc_lo
	s_cbranch_execz .LBB72_13
	s_branch .LBB72_12
.LBB72_11:
	s_or_b32 exec_lo, exec_lo, s3
                                        ; implicit-def: $vgpr26_vgpr27
	s_and_saveexec_b32 s0, vcc_lo
	s_cbranch_execz .LBB72_13
.LBB72_12:
	s_wait_loadcnt 0x2
	v_mul_u64_e32 v[6:7], s[4:5], v[6:7]
	s_wait_loadcnt 0x1
	v_mul_u64_e32 v[10:11], s[6:7], v[10:11]
	s_wait_loadcnt 0x0
	s_delay_alu instid0(VALU_DEP_1) | instskip(NEXT) | instid1(VALU_DEP_1)
	v_mad_nc_u64_u32 v[26:27], v10, v8, v[6:7]
	v_mad_u32 v6, v11, v8, v27
	s_delay_alu instid0(VALU_DEP_1)
	v_mad_u32 v27, v10, v9, v6
.LBB72_13:
	s_or_b32 exec_lo, exec_lo, s0
	s_delay_alu instid0(SALU_CYCLE_1)
	s_mov_b32 s3, exec_lo
                                        ; implicit-def: $vgpr6_vgpr7
	v_cmpx_gt_i32_e64 s1, v28
	s_cbranch_execz .LBB72_15
; %bb.14:
	s_wait_loadcnt 0x2
	v_mul_u64_e32 v[2:3], s[4:5], v[2:3]
	s_wait_loadcnt 0x0
	v_mul_u64_e32 v[8:9], s[6:7], v[14:15]
	s_delay_alu instid0(VALU_DEP_1) | instskip(NEXT) | instid1(VALU_DEP_1)
	v_mad_nc_u64_u32 v[6:7], v8, v12, v[2:3]
	v_mad_u32 v2, v9, v12, v7
	s_delay_alu instid0(VALU_DEP_1)
	v_mad_u32 v7, v8, v13, v2
.LBB72_15:
	s_or_b32 exec_lo, exec_lo, s3
	s_wait_loadcnt 0x2
	v_or_b32_e32 v2, 0x200, v0
	s_delay_alu instid0(VALU_DEP_1)
	v_cmp_gt_i32_e64 s0, s1, v2
                                        ; implicit-def: $vgpr2_vgpr3
	s_and_saveexec_b32 s3, s0
	s_cbranch_execz .LBB72_17
; %bb.16:
	v_mul_u64_e32 v[2:3], s[4:5], v[16:17]
	s_wait_loadcnt 0x0
	v_mul_u64_e32 v[8:9], s[6:7], v[20:21]
	s_delay_alu instid0(VALU_DEP_1) | instskip(NEXT) | instid1(VALU_DEP_1)
	v_mad_nc_u64_u32 v[2:3], v8, v18, v[2:3]
	v_mad_u32 v3, v9, v18, v3
	s_delay_alu instid0(VALU_DEP_1)
	v_mad_u32 v3, v8, v19, v3
.LBB72_17:
	s_or_b32 exec_lo, exec_lo, s3
	s_wait_loadcnt 0x0
	v_or_b32_e32 v8, 0x300, v0
	s_delay_alu instid0(VALU_DEP_1)
	v_cmp_gt_i32_e64 s0, s1, v8
                                        ; implicit-def: $vgpr8_vgpr9
	s_and_saveexec_b32 s3, s0
	s_cbranch_execz .LBB72_24
; %bb.18:
	v_mul_u64_e32 v[4:5], s[4:5], v[4:5]
	v_mul_u64_e32 v[10:11], s[6:7], v[24:25]
	s_delay_alu instid0(VALU_DEP_1) | instskip(NEXT) | instid1(VALU_DEP_1)
	v_mad_nc_u64_u32 v[8:9], v10, v22, v[4:5]
	v_mad_u32 v4, v11, v22, v9
	s_delay_alu instid0(VALU_DEP_1) | instskip(SKIP_2) | instid1(SALU_CYCLE_1)
	v_mad_u32 v9, v10, v23, v4
	s_or_b32 exec_lo, exec_lo, s3
	s_and_saveexec_b32 s0, vcc_lo
	s_xor_b32 s0, exec_lo, s0
	s_cbranch_execnz .LBB72_25
.LBB72_19:
	s_or_b32 exec_lo, exec_lo, s0
	s_delay_alu instid0(SALU_CYCLE_1)
	s_mov_b32 s0, exec_lo
	v_cmpx_gt_i32_e64 s1, v0
	s_cbranch_execz .LBB72_26
.LBB72_20:
	v_add_nc_u32_e32 v1, s2, v0
	v_add_nc_u32_e32 v0, 0x100, v0
	global_store_b64 v1, v[6:7], s[8:9] scale_offset
	s_wait_xcnt 0x0
	s_or_b32 exec_lo, exec_lo, s0
	s_delay_alu instid0(SALU_CYCLE_1)
	s_mov_b32 s0, exec_lo
	v_cmpx_gt_i32_e64 s1, v0
	s_cbranch_execnz .LBB72_27
.LBB72_21:
	s_or_b32 exec_lo, exec_lo, s0
	s_delay_alu instid0(SALU_CYCLE_1)
	s_mov_b32 s0, exec_lo
	v_cmpx_gt_i32_e64 s1, v0
	s_cbranch_execz .LBB72_23
.LBB72_22:
	v_add_nc_u32_e32 v0, s2, v0
	global_store_b64 v0, v[8:9], s[8:9] scale_offset
.LBB72_23:
	s_endpgm
.LBB72_24:
	s_or_b32 exec_lo, exec_lo, s3
	s_and_saveexec_b32 s0, vcc_lo
	s_delay_alu instid0(SALU_CYCLE_1)
	s_xor_b32 s0, exec_lo, s0
	s_cbranch_execz .LBB72_19
.LBB72_25:
	v_mov_b32_e32 v0, v28
	global_store_b64 v1, v[26:27], s[8:9] scale_offset
	s_wait_xcnt 0x0
	s_or_b32 exec_lo, exec_lo, s0
	s_delay_alu instid0(SALU_CYCLE_1)
	s_mov_b32 s0, exec_lo
	v_cmpx_gt_i32_e64 s1, v0
	s_cbranch_execnz .LBB72_20
.LBB72_26:
	s_or_b32 exec_lo, exec_lo, s0
	s_delay_alu instid0(SALU_CYCLE_1)
	s_mov_b32 s0, exec_lo
	v_cmpx_gt_i32_e64 s1, v0
	s_cbranch_execz .LBB72_21
.LBB72_27:
	v_add_nc_u32_e32 v1, s2, v0
	v_add_nc_u32_e32 v0, 0x100, v0
	global_store_b64 v1, v[2:3], s[8:9] scale_offset
	s_wait_xcnt 0x0
	s_or_b32 exec_lo, exec_lo, s0
	s_delay_alu instid0(SALU_CYCLE_1)
	s_mov_b32 s0, exec_lo
	v_cmpx_gt_i32_e64 s1, v0
	s_cbranch_execnz .LBB72_22
	s_branch .LBB72_23
	.section	.rodata,"a",@progbits
	.p2align	6, 0x0
	.amdhsa_kernel _ZN2at6native29vectorized_elementwise_kernelILi16EZZZNS0_12_GLOBAL__N_116addr_kernel_cudaERNS_14TensorIteratorERKN3c106ScalarES8_ENKUlvE_clEvENKUlvE2_clEvEUllllE0_St5arrayIPcLm4EEEEviT0_T1_
		.amdhsa_group_segment_fixed_size 0
		.amdhsa_private_segment_fixed_size 0
		.amdhsa_kernarg_size 56
		.amdhsa_user_sgpr_count 2
		.amdhsa_user_sgpr_dispatch_ptr 0
		.amdhsa_user_sgpr_queue_ptr 0
		.amdhsa_user_sgpr_kernarg_segment_ptr 1
		.amdhsa_user_sgpr_dispatch_id 0
		.amdhsa_user_sgpr_kernarg_preload_length 0
		.amdhsa_user_sgpr_kernarg_preload_offset 0
		.amdhsa_user_sgpr_private_segment_size 0
		.amdhsa_wavefront_size32 1
		.amdhsa_uses_dynamic_stack 0
		.amdhsa_enable_private_segment 0
		.amdhsa_system_sgpr_workgroup_id_x 1
		.amdhsa_system_sgpr_workgroup_id_y 0
		.amdhsa_system_sgpr_workgroup_id_z 0
		.amdhsa_system_sgpr_workgroup_info 0
		.amdhsa_system_vgpr_workitem_id 0
		.amdhsa_next_free_vgpr 30
		.amdhsa_next_free_sgpr 22
		.amdhsa_named_barrier_count 0
		.amdhsa_reserve_vcc 1
		.amdhsa_float_round_mode_32 0
		.amdhsa_float_round_mode_16_64 0
		.amdhsa_float_denorm_mode_32 3
		.amdhsa_float_denorm_mode_16_64 3
		.amdhsa_fp16_overflow 0
		.amdhsa_memory_ordered 1
		.amdhsa_forward_progress 1
		.amdhsa_inst_pref_size 11
		.amdhsa_round_robin_scheduling 0
		.amdhsa_exception_fp_ieee_invalid_op 0
		.amdhsa_exception_fp_denorm_src 0
		.amdhsa_exception_fp_ieee_div_zero 0
		.amdhsa_exception_fp_ieee_overflow 0
		.amdhsa_exception_fp_ieee_underflow 0
		.amdhsa_exception_fp_ieee_inexact 0
		.amdhsa_exception_int_div_zero 0
	.end_amdhsa_kernel
	.section	.text._ZN2at6native29vectorized_elementwise_kernelILi16EZZZNS0_12_GLOBAL__N_116addr_kernel_cudaERNS_14TensorIteratorERKN3c106ScalarES8_ENKUlvE_clEvENKUlvE2_clEvEUllllE0_St5arrayIPcLm4EEEEviT0_T1_,"axG",@progbits,_ZN2at6native29vectorized_elementwise_kernelILi16EZZZNS0_12_GLOBAL__N_116addr_kernel_cudaERNS_14TensorIteratorERKN3c106ScalarES8_ENKUlvE_clEvENKUlvE2_clEvEUllllE0_St5arrayIPcLm4EEEEviT0_T1_,comdat
.Lfunc_end72:
	.size	_ZN2at6native29vectorized_elementwise_kernelILi16EZZZNS0_12_GLOBAL__N_116addr_kernel_cudaERNS_14TensorIteratorERKN3c106ScalarES8_ENKUlvE_clEvENKUlvE2_clEvEUllllE0_St5arrayIPcLm4EEEEviT0_T1_, .Lfunc_end72-_ZN2at6native29vectorized_elementwise_kernelILi16EZZZNS0_12_GLOBAL__N_116addr_kernel_cudaERNS_14TensorIteratorERKN3c106ScalarES8_ENKUlvE_clEvENKUlvE2_clEvEUllllE0_St5arrayIPcLm4EEEEviT0_T1_
                                        ; -- End function
	.set _ZN2at6native29vectorized_elementwise_kernelILi16EZZZNS0_12_GLOBAL__N_116addr_kernel_cudaERNS_14TensorIteratorERKN3c106ScalarES8_ENKUlvE_clEvENKUlvE2_clEvEUllllE0_St5arrayIPcLm4EEEEviT0_T1_.num_vgpr, 30
	.set _ZN2at6native29vectorized_elementwise_kernelILi16EZZZNS0_12_GLOBAL__N_116addr_kernel_cudaERNS_14TensorIteratorERKN3c106ScalarES8_ENKUlvE_clEvENKUlvE2_clEvEUllllE0_St5arrayIPcLm4EEEEviT0_T1_.num_agpr, 0
	.set _ZN2at6native29vectorized_elementwise_kernelILi16EZZZNS0_12_GLOBAL__N_116addr_kernel_cudaERNS_14TensorIteratorERKN3c106ScalarES8_ENKUlvE_clEvENKUlvE2_clEvEUllllE0_St5arrayIPcLm4EEEEviT0_T1_.numbered_sgpr, 22
	.set _ZN2at6native29vectorized_elementwise_kernelILi16EZZZNS0_12_GLOBAL__N_116addr_kernel_cudaERNS_14TensorIteratorERKN3c106ScalarES8_ENKUlvE_clEvENKUlvE2_clEvEUllllE0_St5arrayIPcLm4EEEEviT0_T1_.num_named_barrier, 0
	.set _ZN2at6native29vectorized_elementwise_kernelILi16EZZZNS0_12_GLOBAL__N_116addr_kernel_cudaERNS_14TensorIteratorERKN3c106ScalarES8_ENKUlvE_clEvENKUlvE2_clEvEUllllE0_St5arrayIPcLm4EEEEviT0_T1_.private_seg_size, 0
	.set _ZN2at6native29vectorized_elementwise_kernelILi16EZZZNS0_12_GLOBAL__N_116addr_kernel_cudaERNS_14TensorIteratorERKN3c106ScalarES8_ENKUlvE_clEvENKUlvE2_clEvEUllllE0_St5arrayIPcLm4EEEEviT0_T1_.uses_vcc, 1
	.set _ZN2at6native29vectorized_elementwise_kernelILi16EZZZNS0_12_GLOBAL__N_116addr_kernel_cudaERNS_14TensorIteratorERKN3c106ScalarES8_ENKUlvE_clEvENKUlvE2_clEvEUllllE0_St5arrayIPcLm4EEEEviT0_T1_.uses_flat_scratch, 0
	.set _ZN2at6native29vectorized_elementwise_kernelILi16EZZZNS0_12_GLOBAL__N_116addr_kernel_cudaERNS_14TensorIteratorERKN3c106ScalarES8_ENKUlvE_clEvENKUlvE2_clEvEUllllE0_St5arrayIPcLm4EEEEviT0_T1_.has_dyn_sized_stack, 0
	.set _ZN2at6native29vectorized_elementwise_kernelILi16EZZZNS0_12_GLOBAL__N_116addr_kernel_cudaERNS_14TensorIteratorERKN3c106ScalarES8_ENKUlvE_clEvENKUlvE2_clEvEUllllE0_St5arrayIPcLm4EEEEviT0_T1_.has_recursion, 0
	.set _ZN2at6native29vectorized_elementwise_kernelILi16EZZZNS0_12_GLOBAL__N_116addr_kernel_cudaERNS_14TensorIteratorERKN3c106ScalarES8_ENKUlvE_clEvENKUlvE2_clEvEUllllE0_St5arrayIPcLm4EEEEviT0_T1_.has_indirect_call, 0
	.section	.AMDGPU.csdata,"",@progbits
; Kernel info:
; codeLenInByte = 1376
; TotalNumSgprs: 24
; NumVgprs: 30
; ScratchSize: 0
; MemoryBound: 0
; FloatMode: 240
; IeeeMode: 1
; LDSByteSize: 0 bytes/workgroup (compile time only)
; SGPRBlocks: 0
; VGPRBlocks: 1
; NumSGPRsForWavesPerEU: 24
; NumVGPRsForWavesPerEU: 30
; NamedBarCnt: 0
; Occupancy: 16
; WaveLimiterHint : 0
; COMPUTE_PGM_RSRC2:SCRATCH_EN: 0
; COMPUTE_PGM_RSRC2:USER_SGPR: 2
; COMPUTE_PGM_RSRC2:TRAP_HANDLER: 0
; COMPUTE_PGM_RSRC2:TGID_X_EN: 1
; COMPUTE_PGM_RSRC2:TGID_Y_EN: 0
; COMPUTE_PGM_RSRC2:TGID_Z_EN: 0
; COMPUTE_PGM_RSRC2:TIDIG_COMP_CNT: 0
	.section	.text._ZN2at6native29vectorized_elementwise_kernelILi8EZZZNS0_12_GLOBAL__N_116addr_kernel_cudaERNS_14TensorIteratorERKN3c106ScalarES8_ENKUlvE_clEvENKUlvE2_clEvEUllllE0_St5arrayIPcLm4EEEEviT0_T1_,"axG",@progbits,_ZN2at6native29vectorized_elementwise_kernelILi8EZZZNS0_12_GLOBAL__N_116addr_kernel_cudaERNS_14TensorIteratorERKN3c106ScalarES8_ENKUlvE_clEvENKUlvE2_clEvEUllllE0_St5arrayIPcLm4EEEEviT0_T1_,comdat
	.globl	_ZN2at6native29vectorized_elementwise_kernelILi8EZZZNS0_12_GLOBAL__N_116addr_kernel_cudaERNS_14TensorIteratorERKN3c106ScalarES8_ENKUlvE_clEvENKUlvE2_clEvEUllllE0_St5arrayIPcLm4EEEEviT0_T1_ ; -- Begin function _ZN2at6native29vectorized_elementwise_kernelILi8EZZZNS0_12_GLOBAL__N_116addr_kernel_cudaERNS_14TensorIteratorERKN3c106ScalarES8_ENKUlvE_clEvENKUlvE2_clEvEUllllE0_St5arrayIPcLm4EEEEviT0_T1_
	.p2align	8
	.type	_ZN2at6native29vectorized_elementwise_kernelILi8EZZZNS0_12_GLOBAL__N_116addr_kernel_cudaERNS_14TensorIteratorERKN3c106ScalarES8_ENKUlvE_clEvENKUlvE2_clEvEUllllE0_St5arrayIPcLm4EEEEviT0_T1_,@function
_ZN2at6native29vectorized_elementwise_kernelILi8EZZZNS0_12_GLOBAL__N_116addr_kernel_cudaERNS_14TensorIteratorERKN3c106ScalarES8_ENKUlvE_clEvENKUlvE2_clEvEUllllE0_St5arrayIPcLm4EEEEviT0_T1_: ; @_ZN2at6native29vectorized_elementwise_kernelILi8EZZZNS0_12_GLOBAL__N_116addr_kernel_cudaERNS_14TensorIteratorERKN3c106ScalarES8_ENKUlvE_clEvENKUlvE2_clEvEUllllE0_St5arrayIPcLm4EEEEviT0_T1_
; %bb.0:
	s_clause 0x2
	s_load_b32 s3, s[0:1], 0x0
	s_load_b256 s[4:11], s[0:1], 0x8
	s_load_b128 s[12:15], s[0:1], 0x28
	s_wait_xcnt 0x0
	s_bfe_u32 s0, ttmp6, 0x4000c
	s_and_b32 s1, ttmp6, 15
	s_add_co_i32 s0, s0, 1
	s_getreg_b32 s2, hwreg(HW_REG_IB_STS2, 6, 4)
	s_mul_i32 s0, ttmp9, s0
	s_delay_alu instid0(SALU_CYCLE_1) | instskip(SKIP_2) | instid1(SALU_CYCLE_1)
	s_add_co_i32 s1, s1, s0
	s_cmp_eq_u32 s2, 0
	s_cselect_b32 s0, ttmp9, s1
	s_lshl_b32 s2, s0, 10
	s_mov_b32 s0, -1
	s_wait_kmcnt 0x0
	s_sub_co_i32 s1, s3, s2
	s_delay_alu instid0(SALU_CYCLE_1)
	s_cmp_gt_i32 s1, 0x3ff
	s_cbranch_scc0 .LBB73_2
; %bb.1:
	s_ashr_i32 s3, s2, 31
	v_lshlrev_b32_e32 v1, 5, v0
	s_lshl_b64 s[16:17], s[2:3], 3
	s_mov_b32 s0, 0
	s_add_nc_u64 s[18:19], s[10:11], s[16:17]
	s_add_nc_u64 s[20:21], s[12:13], s[16:17]
	s_clause 0x3
	global_load_b128 v[2:5], v1, s[18:19]
	global_load_b128 v[6:9], v1, s[20:21]
	global_load_b128 v[10:13], v1, s[18:19] offset:16
	global_load_b128 v[14:17], v1, s[20:21] offset:16
	s_wait_xcnt 0x1
	s_add_nc_u64 s[18:19], s[14:15], s[16:17]
	s_clause 0x1
	global_load_b128 v[18:21], v1, s[18:19]
	global_load_b128 v[22:25], v1, s[18:19] offset:16
	s_add_nc_u64 s[16:17], s[8:9], s[16:17]
	s_wait_loadcnt 0x5
	v_mul_u64_e32 v[2:3], s[4:5], v[2:3]
	s_wait_loadcnt 0x4
	v_mul_u64_e32 v[26:27], s[6:7], v[6:7]
	v_mul_u64_e32 v[4:5], s[4:5], v[4:5]
	;; [unrolled: 1-line block ×3, first 2 shown]
	s_wait_loadcnt 0x3
	v_mul_u64_e32 v[6:7], s[4:5], v[10:11]
	s_wait_loadcnt 0x2
	v_mul_u64_e32 v[10:11], s[6:7], v[14:15]
	v_mul_u64_e32 v[8:9], s[4:5], v[12:13]
	;; [unrolled: 1-line block ×3, first 2 shown]
	s_wait_loadcnt 0x1
	v_mad_nc_u64_u32 v[2:3], v26, v18, v[2:3]
	v_mad_nc_u64_u32 v[4:5], v28, v20, v[4:5]
	s_wait_loadcnt 0x0
	v_mad_nc_u64_u32 v[6:7], v10, v22, v[6:7]
	s_delay_alu instid0(VALU_DEP_4) | instskip(NEXT) | instid1(VALU_DEP_4)
	v_mad_nc_u64_u32 v[8:9], v12, v24, v[8:9]
	v_mad_u32 v3, v27, v18, v3
	s_delay_alu instid0(VALU_DEP_4) | instskip(NEXT) | instid1(VALU_DEP_4)
	v_mad_u32 v5, v29, v20, v5
	v_mad_u32 v7, v11, v22, v7
	s_delay_alu instid0(VALU_DEP_4) | instskip(NEXT) | instid1(VALU_DEP_4)
	v_mad_u32 v9, v13, v24, v9
	;; [unrolled: 3-line block ×3, first 2 shown]
	v_mad_u32 v7, v10, v23, v7
	s_delay_alu instid0(VALU_DEP_4)
	v_mad_u32 v9, v12, v25, v9
	s_clause 0x1
	global_store_b128 v1, v[2:5], s[16:17]
	global_store_b128 v1, v[6:9], s[16:17] offset:16
.LBB73_2:
	s_and_not1_b32 vcc_lo, exec_lo, s0
	s_cbranch_vccnz .LBB73_23
; %bb.3:
	s_wait_xcnt 0x1
	v_mov_b64_e32 v[2:3], 0
	s_wait_xcnt 0x0
	v_mov_b64_e32 v[6:7], 0
	v_mov_b64_e32 v[10:11], 0
	;; [unrolled: 1-line block ×3, first 2 shown]
	v_cmp_gt_i32_e32 vcc_lo, s1, v0
	v_dual_mov_b32 v26, v0 :: v_dual_bitop2_b32 v1, s2, v0 bitop3:0x54
	v_or_b32_e32 v28, 0x100, v0
	s_and_saveexec_b32 s0, vcc_lo
	s_cbranch_execz .LBB73_5
; %bb.4:
	s_clause 0x2
	global_load_b64 v[6:7], v1, s[10:11] scale_offset
	global_load_b64 v[10:11], v1, s[12:13] scale_offset
	global_load_b64 v[8:9], v1, s[14:15] scale_offset
	v_or_b32_e32 v26, 0x100, v0
.LBB73_5:
	s_wait_xcnt 0x0
	s_or_b32 exec_lo, exec_lo, s0
	v_mov_b64_e32 v[14:15], 0
	v_mov_b64_e32 v[12:13], 0
	s_mov_b32 s3, exec_lo
	v_cmpx_gt_i32_e64 s1, v26
	s_cbranch_execz .LBB73_7
; %bb.6:
	v_add_nc_u32_e32 v4, s2, v26
	v_add_nc_u32_e32 v26, 0x100, v26
	s_clause 0x2
	global_load_b64 v[2:3], v4, s[10:11] scale_offset
	global_load_b64 v[14:15], v4, s[12:13] scale_offset
	;; [unrolled: 1-line block ×3, first 2 shown]
.LBB73_7:
	s_wait_xcnt 0x0
	s_or_b32 exec_lo, exec_lo, s3
	v_mov_b64_e32 v[4:5], 0
	v_mov_b64_e32 v[16:17], 0
	;; [unrolled: 1-line block ×4, first 2 shown]
	s_mov_b32 s3, exec_lo
	v_cmpx_gt_i32_e64 s1, v26
	s_cbranch_execz .LBB73_9
; %bb.8:
	v_add_nc_u32_e32 v22, s2, v26
	v_add_nc_u32_e32 v26, 0x100, v26
	s_clause 0x2
	global_load_b64 v[16:17], v22, s[10:11] scale_offset
	global_load_b64 v[20:21], v22, s[12:13] scale_offset
	global_load_b64 v[18:19], v22, s[14:15] scale_offset
.LBB73_9:
	s_wait_xcnt 0x0
	s_or_b32 exec_lo, exec_lo, s3
	v_mov_b64_e32 v[24:25], 0
	v_mov_b64_e32 v[22:23], 0
	s_mov_b32 s3, exec_lo
	v_cmpx_gt_i32_e64 s1, v26
	s_cbranch_execz .LBB73_11
; %bb.10:
	v_add_nc_u32_e32 v26, s2, v26
	s_clause 0x2
	global_load_b64 v[4:5], v26, s[10:11] scale_offset
	global_load_b64 v[24:25], v26, s[12:13] scale_offset
	;; [unrolled: 1-line block ×3, first 2 shown]
	s_wait_xcnt 0x0
	s_or_b32 exec_lo, exec_lo, s3
                                        ; implicit-def: $vgpr26_vgpr27
	s_and_saveexec_b32 s0, vcc_lo
	s_cbranch_execz .LBB73_13
	s_branch .LBB73_12
.LBB73_11:
	s_or_b32 exec_lo, exec_lo, s3
                                        ; implicit-def: $vgpr26_vgpr27
	s_and_saveexec_b32 s0, vcc_lo
	s_cbranch_execz .LBB73_13
.LBB73_12:
	s_wait_loadcnt 0x2
	v_mul_u64_e32 v[6:7], s[4:5], v[6:7]
	s_wait_loadcnt 0x1
	v_mul_u64_e32 v[10:11], s[6:7], v[10:11]
	s_wait_loadcnt 0x0
	s_delay_alu instid0(VALU_DEP_1) | instskip(NEXT) | instid1(VALU_DEP_1)
	v_mad_nc_u64_u32 v[26:27], v10, v8, v[6:7]
	v_mad_u32 v6, v11, v8, v27
	s_delay_alu instid0(VALU_DEP_1)
	v_mad_u32 v27, v10, v9, v6
.LBB73_13:
	s_or_b32 exec_lo, exec_lo, s0
	s_delay_alu instid0(SALU_CYCLE_1)
	s_mov_b32 s3, exec_lo
                                        ; implicit-def: $vgpr6_vgpr7
	v_cmpx_gt_i32_e64 s1, v28
	s_cbranch_execz .LBB73_15
; %bb.14:
	s_wait_loadcnt 0x2
	v_mul_u64_e32 v[2:3], s[4:5], v[2:3]
	s_wait_loadcnt 0x0
	v_mul_u64_e32 v[8:9], s[6:7], v[14:15]
	s_delay_alu instid0(VALU_DEP_1) | instskip(NEXT) | instid1(VALU_DEP_1)
	v_mad_nc_u64_u32 v[6:7], v8, v12, v[2:3]
	v_mad_u32 v2, v9, v12, v7
	s_delay_alu instid0(VALU_DEP_1)
	v_mad_u32 v7, v8, v13, v2
.LBB73_15:
	s_or_b32 exec_lo, exec_lo, s3
	s_wait_loadcnt 0x2
	v_or_b32_e32 v2, 0x200, v0
	s_delay_alu instid0(VALU_DEP_1)
	v_cmp_gt_i32_e64 s0, s1, v2
                                        ; implicit-def: $vgpr2_vgpr3
	s_and_saveexec_b32 s3, s0
	s_cbranch_execz .LBB73_17
; %bb.16:
	v_mul_u64_e32 v[2:3], s[4:5], v[16:17]
	s_wait_loadcnt 0x0
	v_mul_u64_e32 v[8:9], s[6:7], v[20:21]
	s_delay_alu instid0(VALU_DEP_1) | instskip(NEXT) | instid1(VALU_DEP_1)
	v_mad_nc_u64_u32 v[2:3], v8, v18, v[2:3]
	v_mad_u32 v3, v9, v18, v3
	s_delay_alu instid0(VALU_DEP_1)
	v_mad_u32 v3, v8, v19, v3
.LBB73_17:
	s_or_b32 exec_lo, exec_lo, s3
	s_wait_loadcnt 0x0
	v_or_b32_e32 v8, 0x300, v0
	s_delay_alu instid0(VALU_DEP_1)
	v_cmp_gt_i32_e64 s0, s1, v8
                                        ; implicit-def: $vgpr8_vgpr9
	s_and_saveexec_b32 s3, s0
	s_cbranch_execz .LBB73_24
; %bb.18:
	v_mul_u64_e32 v[4:5], s[4:5], v[4:5]
	v_mul_u64_e32 v[10:11], s[6:7], v[24:25]
	s_delay_alu instid0(VALU_DEP_1) | instskip(NEXT) | instid1(VALU_DEP_1)
	v_mad_nc_u64_u32 v[8:9], v10, v22, v[4:5]
	v_mad_u32 v4, v11, v22, v9
	s_delay_alu instid0(VALU_DEP_1) | instskip(SKIP_2) | instid1(SALU_CYCLE_1)
	v_mad_u32 v9, v10, v23, v4
	s_or_b32 exec_lo, exec_lo, s3
	s_and_saveexec_b32 s0, vcc_lo
	s_xor_b32 s0, exec_lo, s0
	s_cbranch_execnz .LBB73_25
.LBB73_19:
	s_or_b32 exec_lo, exec_lo, s0
	s_delay_alu instid0(SALU_CYCLE_1)
	s_mov_b32 s0, exec_lo
	v_cmpx_gt_i32_e64 s1, v0
	s_cbranch_execz .LBB73_26
.LBB73_20:
	v_add_nc_u32_e32 v1, s2, v0
	v_add_nc_u32_e32 v0, 0x100, v0
	global_store_b64 v1, v[6:7], s[8:9] scale_offset
	s_wait_xcnt 0x0
	s_or_b32 exec_lo, exec_lo, s0
	s_delay_alu instid0(SALU_CYCLE_1)
	s_mov_b32 s0, exec_lo
	v_cmpx_gt_i32_e64 s1, v0
	s_cbranch_execnz .LBB73_27
.LBB73_21:
	s_or_b32 exec_lo, exec_lo, s0
	s_delay_alu instid0(SALU_CYCLE_1)
	s_mov_b32 s0, exec_lo
	v_cmpx_gt_i32_e64 s1, v0
	s_cbranch_execz .LBB73_23
.LBB73_22:
	v_add_nc_u32_e32 v0, s2, v0
	global_store_b64 v0, v[8:9], s[8:9] scale_offset
.LBB73_23:
	s_endpgm
.LBB73_24:
	s_or_b32 exec_lo, exec_lo, s3
	s_and_saveexec_b32 s0, vcc_lo
	s_delay_alu instid0(SALU_CYCLE_1)
	s_xor_b32 s0, exec_lo, s0
	s_cbranch_execz .LBB73_19
.LBB73_25:
	v_mov_b32_e32 v0, v28
	global_store_b64 v1, v[26:27], s[8:9] scale_offset
	s_wait_xcnt 0x0
	s_or_b32 exec_lo, exec_lo, s0
	s_delay_alu instid0(SALU_CYCLE_1)
	s_mov_b32 s0, exec_lo
	v_cmpx_gt_i32_e64 s1, v0
	s_cbranch_execnz .LBB73_20
.LBB73_26:
	s_or_b32 exec_lo, exec_lo, s0
	s_delay_alu instid0(SALU_CYCLE_1)
	s_mov_b32 s0, exec_lo
	v_cmpx_gt_i32_e64 s1, v0
	s_cbranch_execz .LBB73_21
.LBB73_27:
	v_add_nc_u32_e32 v1, s2, v0
	v_add_nc_u32_e32 v0, 0x100, v0
	global_store_b64 v1, v[2:3], s[8:9] scale_offset
	s_wait_xcnt 0x0
	s_or_b32 exec_lo, exec_lo, s0
	s_delay_alu instid0(SALU_CYCLE_1)
	s_mov_b32 s0, exec_lo
	v_cmpx_gt_i32_e64 s1, v0
	s_cbranch_execnz .LBB73_22
	s_branch .LBB73_23
	.section	.rodata,"a",@progbits
	.p2align	6, 0x0
	.amdhsa_kernel _ZN2at6native29vectorized_elementwise_kernelILi8EZZZNS0_12_GLOBAL__N_116addr_kernel_cudaERNS_14TensorIteratorERKN3c106ScalarES8_ENKUlvE_clEvENKUlvE2_clEvEUllllE0_St5arrayIPcLm4EEEEviT0_T1_
		.amdhsa_group_segment_fixed_size 0
		.amdhsa_private_segment_fixed_size 0
		.amdhsa_kernarg_size 56
		.amdhsa_user_sgpr_count 2
		.amdhsa_user_sgpr_dispatch_ptr 0
		.amdhsa_user_sgpr_queue_ptr 0
		.amdhsa_user_sgpr_kernarg_segment_ptr 1
		.amdhsa_user_sgpr_dispatch_id 0
		.amdhsa_user_sgpr_kernarg_preload_length 0
		.amdhsa_user_sgpr_kernarg_preload_offset 0
		.amdhsa_user_sgpr_private_segment_size 0
		.amdhsa_wavefront_size32 1
		.amdhsa_uses_dynamic_stack 0
		.amdhsa_enable_private_segment 0
		.amdhsa_system_sgpr_workgroup_id_x 1
		.amdhsa_system_sgpr_workgroup_id_y 0
		.amdhsa_system_sgpr_workgroup_id_z 0
		.amdhsa_system_sgpr_workgroup_info 0
		.amdhsa_system_vgpr_workitem_id 0
		.amdhsa_next_free_vgpr 30
		.amdhsa_next_free_sgpr 22
		.amdhsa_named_barrier_count 0
		.amdhsa_reserve_vcc 1
		.amdhsa_float_round_mode_32 0
		.amdhsa_float_round_mode_16_64 0
		.amdhsa_float_denorm_mode_32 3
		.amdhsa_float_denorm_mode_16_64 3
		.amdhsa_fp16_overflow 0
		.amdhsa_memory_ordered 1
		.amdhsa_forward_progress 1
		.amdhsa_inst_pref_size 11
		.amdhsa_round_robin_scheduling 0
		.amdhsa_exception_fp_ieee_invalid_op 0
		.amdhsa_exception_fp_denorm_src 0
		.amdhsa_exception_fp_ieee_div_zero 0
		.amdhsa_exception_fp_ieee_overflow 0
		.amdhsa_exception_fp_ieee_underflow 0
		.amdhsa_exception_fp_ieee_inexact 0
		.amdhsa_exception_int_div_zero 0
	.end_amdhsa_kernel
	.section	.text._ZN2at6native29vectorized_elementwise_kernelILi8EZZZNS0_12_GLOBAL__N_116addr_kernel_cudaERNS_14TensorIteratorERKN3c106ScalarES8_ENKUlvE_clEvENKUlvE2_clEvEUllllE0_St5arrayIPcLm4EEEEviT0_T1_,"axG",@progbits,_ZN2at6native29vectorized_elementwise_kernelILi8EZZZNS0_12_GLOBAL__N_116addr_kernel_cudaERNS_14TensorIteratorERKN3c106ScalarES8_ENKUlvE_clEvENKUlvE2_clEvEUllllE0_St5arrayIPcLm4EEEEviT0_T1_,comdat
.Lfunc_end73:
	.size	_ZN2at6native29vectorized_elementwise_kernelILi8EZZZNS0_12_GLOBAL__N_116addr_kernel_cudaERNS_14TensorIteratorERKN3c106ScalarES8_ENKUlvE_clEvENKUlvE2_clEvEUllllE0_St5arrayIPcLm4EEEEviT0_T1_, .Lfunc_end73-_ZN2at6native29vectorized_elementwise_kernelILi8EZZZNS0_12_GLOBAL__N_116addr_kernel_cudaERNS_14TensorIteratorERKN3c106ScalarES8_ENKUlvE_clEvENKUlvE2_clEvEUllllE0_St5arrayIPcLm4EEEEviT0_T1_
                                        ; -- End function
	.set _ZN2at6native29vectorized_elementwise_kernelILi8EZZZNS0_12_GLOBAL__N_116addr_kernel_cudaERNS_14TensorIteratorERKN3c106ScalarES8_ENKUlvE_clEvENKUlvE2_clEvEUllllE0_St5arrayIPcLm4EEEEviT0_T1_.num_vgpr, 30
	.set _ZN2at6native29vectorized_elementwise_kernelILi8EZZZNS0_12_GLOBAL__N_116addr_kernel_cudaERNS_14TensorIteratorERKN3c106ScalarES8_ENKUlvE_clEvENKUlvE2_clEvEUllllE0_St5arrayIPcLm4EEEEviT0_T1_.num_agpr, 0
	.set _ZN2at6native29vectorized_elementwise_kernelILi8EZZZNS0_12_GLOBAL__N_116addr_kernel_cudaERNS_14TensorIteratorERKN3c106ScalarES8_ENKUlvE_clEvENKUlvE2_clEvEUllllE0_St5arrayIPcLm4EEEEviT0_T1_.numbered_sgpr, 22
	.set _ZN2at6native29vectorized_elementwise_kernelILi8EZZZNS0_12_GLOBAL__N_116addr_kernel_cudaERNS_14TensorIteratorERKN3c106ScalarES8_ENKUlvE_clEvENKUlvE2_clEvEUllllE0_St5arrayIPcLm4EEEEviT0_T1_.num_named_barrier, 0
	.set _ZN2at6native29vectorized_elementwise_kernelILi8EZZZNS0_12_GLOBAL__N_116addr_kernel_cudaERNS_14TensorIteratorERKN3c106ScalarES8_ENKUlvE_clEvENKUlvE2_clEvEUllllE0_St5arrayIPcLm4EEEEviT0_T1_.private_seg_size, 0
	.set _ZN2at6native29vectorized_elementwise_kernelILi8EZZZNS0_12_GLOBAL__N_116addr_kernel_cudaERNS_14TensorIteratorERKN3c106ScalarES8_ENKUlvE_clEvENKUlvE2_clEvEUllllE0_St5arrayIPcLm4EEEEviT0_T1_.uses_vcc, 1
	.set _ZN2at6native29vectorized_elementwise_kernelILi8EZZZNS0_12_GLOBAL__N_116addr_kernel_cudaERNS_14TensorIteratorERKN3c106ScalarES8_ENKUlvE_clEvENKUlvE2_clEvEUllllE0_St5arrayIPcLm4EEEEviT0_T1_.uses_flat_scratch, 0
	.set _ZN2at6native29vectorized_elementwise_kernelILi8EZZZNS0_12_GLOBAL__N_116addr_kernel_cudaERNS_14TensorIteratorERKN3c106ScalarES8_ENKUlvE_clEvENKUlvE2_clEvEUllllE0_St5arrayIPcLm4EEEEviT0_T1_.has_dyn_sized_stack, 0
	.set _ZN2at6native29vectorized_elementwise_kernelILi8EZZZNS0_12_GLOBAL__N_116addr_kernel_cudaERNS_14TensorIteratorERKN3c106ScalarES8_ENKUlvE_clEvENKUlvE2_clEvEUllllE0_St5arrayIPcLm4EEEEviT0_T1_.has_recursion, 0
	.set _ZN2at6native29vectorized_elementwise_kernelILi8EZZZNS0_12_GLOBAL__N_116addr_kernel_cudaERNS_14TensorIteratorERKN3c106ScalarES8_ENKUlvE_clEvENKUlvE2_clEvEUllllE0_St5arrayIPcLm4EEEEviT0_T1_.has_indirect_call, 0
	.section	.AMDGPU.csdata,"",@progbits
; Kernel info:
; codeLenInByte = 1376
; TotalNumSgprs: 24
; NumVgprs: 30
; ScratchSize: 0
; MemoryBound: 0
; FloatMode: 240
; IeeeMode: 1
; LDSByteSize: 0 bytes/workgroup (compile time only)
; SGPRBlocks: 0
; VGPRBlocks: 1
; NumSGPRsForWavesPerEU: 24
; NumVGPRsForWavesPerEU: 30
; NamedBarCnt: 0
; Occupancy: 16
; WaveLimiterHint : 0
; COMPUTE_PGM_RSRC2:SCRATCH_EN: 0
; COMPUTE_PGM_RSRC2:USER_SGPR: 2
; COMPUTE_PGM_RSRC2:TRAP_HANDLER: 0
; COMPUTE_PGM_RSRC2:TGID_X_EN: 1
; COMPUTE_PGM_RSRC2:TGID_Y_EN: 0
; COMPUTE_PGM_RSRC2:TGID_Z_EN: 0
; COMPUTE_PGM_RSRC2:TIDIG_COMP_CNT: 0
	.section	.text._ZN2at6native29vectorized_elementwise_kernelILi4EZZZNS0_12_GLOBAL__N_116addr_kernel_cudaERNS_14TensorIteratorERKN3c106ScalarES8_ENKUlvE_clEvENKUlvE2_clEvEUllllE0_St5arrayIPcLm4EEEEviT0_T1_,"axG",@progbits,_ZN2at6native29vectorized_elementwise_kernelILi4EZZZNS0_12_GLOBAL__N_116addr_kernel_cudaERNS_14TensorIteratorERKN3c106ScalarES8_ENKUlvE_clEvENKUlvE2_clEvEUllllE0_St5arrayIPcLm4EEEEviT0_T1_,comdat
	.globl	_ZN2at6native29vectorized_elementwise_kernelILi4EZZZNS0_12_GLOBAL__N_116addr_kernel_cudaERNS_14TensorIteratorERKN3c106ScalarES8_ENKUlvE_clEvENKUlvE2_clEvEUllllE0_St5arrayIPcLm4EEEEviT0_T1_ ; -- Begin function _ZN2at6native29vectorized_elementwise_kernelILi4EZZZNS0_12_GLOBAL__N_116addr_kernel_cudaERNS_14TensorIteratorERKN3c106ScalarES8_ENKUlvE_clEvENKUlvE2_clEvEUllllE0_St5arrayIPcLm4EEEEviT0_T1_
	.p2align	8
	.type	_ZN2at6native29vectorized_elementwise_kernelILi4EZZZNS0_12_GLOBAL__N_116addr_kernel_cudaERNS_14TensorIteratorERKN3c106ScalarES8_ENKUlvE_clEvENKUlvE2_clEvEUllllE0_St5arrayIPcLm4EEEEviT0_T1_,@function
_ZN2at6native29vectorized_elementwise_kernelILi4EZZZNS0_12_GLOBAL__N_116addr_kernel_cudaERNS_14TensorIteratorERKN3c106ScalarES8_ENKUlvE_clEvENKUlvE2_clEvEUllllE0_St5arrayIPcLm4EEEEviT0_T1_: ; @_ZN2at6native29vectorized_elementwise_kernelILi4EZZZNS0_12_GLOBAL__N_116addr_kernel_cudaERNS_14TensorIteratorERKN3c106ScalarES8_ENKUlvE_clEvENKUlvE2_clEvEUllllE0_St5arrayIPcLm4EEEEviT0_T1_
; %bb.0:
	s_clause 0x2
	s_load_b32 s3, s[0:1], 0x0
	s_load_b256 s[4:11], s[0:1], 0x8
	s_load_b128 s[12:15], s[0:1], 0x28
	s_wait_xcnt 0x0
	s_bfe_u32 s0, ttmp6, 0x4000c
	s_and_b32 s1, ttmp6, 15
	s_add_co_i32 s0, s0, 1
	s_getreg_b32 s2, hwreg(HW_REG_IB_STS2, 6, 4)
	s_mul_i32 s0, ttmp9, s0
	s_delay_alu instid0(SALU_CYCLE_1) | instskip(SKIP_2) | instid1(SALU_CYCLE_1)
	s_add_co_i32 s1, s1, s0
	s_cmp_eq_u32 s2, 0
	s_cselect_b32 s0, ttmp9, s1
	s_lshl_b32 s2, s0, 10
	s_mov_b32 s0, -1
	s_wait_kmcnt 0x0
	s_sub_co_i32 s1, s3, s2
	s_delay_alu instid0(SALU_CYCLE_1)
	s_cmp_gt_i32 s1, 0x3ff
	s_cbranch_scc0 .LBB74_2
; %bb.1:
	s_ashr_i32 s3, s2, 31
	v_lshlrev_b32_e32 v1, 5, v0
	s_lshl_b64 s[16:17], s[2:3], 3
	s_mov_b32 s0, 0
	s_add_nc_u64 s[18:19], s[10:11], s[16:17]
	s_add_nc_u64 s[20:21], s[12:13], s[16:17]
	s_clause 0x3
	global_load_b128 v[2:5], v1, s[18:19]
	global_load_b128 v[6:9], v1, s[20:21]
	global_load_b128 v[10:13], v1, s[18:19] offset:16
	global_load_b128 v[14:17], v1, s[20:21] offset:16
	s_wait_xcnt 0x1
	s_add_nc_u64 s[18:19], s[14:15], s[16:17]
	s_clause 0x1
	global_load_b128 v[18:21], v1, s[18:19]
	global_load_b128 v[22:25], v1, s[18:19] offset:16
	s_add_nc_u64 s[16:17], s[8:9], s[16:17]
	s_wait_loadcnt 0x5
	v_mul_u64_e32 v[2:3], s[4:5], v[2:3]
	s_wait_loadcnt 0x4
	v_mul_u64_e32 v[26:27], s[6:7], v[6:7]
	v_mul_u64_e32 v[4:5], s[4:5], v[4:5]
	;; [unrolled: 1-line block ×3, first 2 shown]
	s_wait_loadcnt 0x3
	v_mul_u64_e32 v[6:7], s[4:5], v[10:11]
	s_wait_loadcnt 0x2
	v_mul_u64_e32 v[10:11], s[6:7], v[14:15]
	v_mul_u64_e32 v[8:9], s[4:5], v[12:13]
	;; [unrolled: 1-line block ×3, first 2 shown]
	s_wait_loadcnt 0x1
	v_mad_nc_u64_u32 v[2:3], v26, v18, v[2:3]
	v_mad_nc_u64_u32 v[4:5], v28, v20, v[4:5]
	s_wait_loadcnt 0x0
	v_mad_nc_u64_u32 v[6:7], v10, v22, v[6:7]
	s_delay_alu instid0(VALU_DEP_4) | instskip(NEXT) | instid1(VALU_DEP_4)
	v_mad_nc_u64_u32 v[8:9], v12, v24, v[8:9]
	v_mad_u32 v3, v27, v18, v3
	s_delay_alu instid0(VALU_DEP_4) | instskip(NEXT) | instid1(VALU_DEP_4)
	v_mad_u32 v5, v29, v20, v5
	v_mad_u32 v7, v11, v22, v7
	s_delay_alu instid0(VALU_DEP_4) | instskip(NEXT) | instid1(VALU_DEP_4)
	v_mad_u32 v9, v13, v24, v9
	;; [unrolled: 3-line block ×3, first 2 shown]
	v_mad_u32 v7, v10, v23, v7
	s_delay_alu instid0(VALU_DEP_4)
	v_mad_u32 v9, v12, v25, v9
	s_clause 0x1
	global_store_b128 v1, v[2:5], s[16:17]
	global_store_b128 v1, v[6:9], s[16:17] offset:16
.LBB74_2:
	s_and_not1_b32 vcc_lo, exec_lo, s0
	s_cbranch_vccnz .LBB74_23
; %bb.3:
	s_wait_xcnt 0x1
	v_mov_b64_e32 v[2:3], 0
	s_wait_xcnt 0x0
	v_mov_b64_e32 v[6:7], 0
	v_mov_b64_e32 v[10:11], 0
	v_mov_b64_e32 v[8:9], 0
	v_cmp_gt_i32_e32 vcc_lo, s1, v0
	v_dual_mov_b32 v26, v0 :: v_dual_bitop2_b32 v1, s2, v0 bitop3:0x54
	v_or_b32_e32 v28, 0x100, v0
	s_and_saveexec_b32 s0, vcc_lo
	s_cbranch_execz .LBB74_5
; %bb.4:
	s_clause 0x2
	global_load_b64 v[6:7], v1, s[10:11] scale_offset
	global_load_b64 v[10:11], v1, s[12:13] scale_offset
	;; [unrolled: 1-line block ×3, first 2 shown]
	v_or_b32_e32 v26, 0x100, v0
.LBB74_5:
	s_wait_xcnt 0x0
	s_or_b32 exec_lo, exec_lo, s0
	v_mov_b64_e32 v[14:15], 0
	v_mov_b64_e32 v[12:13], 0
	s_mov_b32 s3, exec_lo
	v_cmpx_gt_i32_e64 s1, v26
	s_cbranch_execz .LBB74_7
; %bb.6:
	v_add_nc_u32_e32 v4, s2, v26
	v_add_nc_u32_e32 v26, 0x100, v26
	s_clause 0x2
	global_load_b64 v[2:3], v4, s[10:11] scale_offset
	global_load_b64 v[14:15], v4, s[12:13] scale_offset
	;; [unrolled: 1-line block ×3, first 2 shown]
.LBB74_7:
	s_wait_xcnt 0x0
	s_or_b32 exec_lo, exec_lo, s3
	v_mov_b64_e32 v[4:5], 0
	v_mov_b64_e32 v[16:17], 0
	;; [unrolled: 1-line block ×4, first 2 shown]
	s_mov_b32 s3, exec_lo
	v_cmpx_gt_i32_e64 s1, v26
	s_cbranch_execz .LBB74_9
; %bb.8:
	v_add_nc_u32_e32 v22, s2, v26
	v_add_nc_u32_e32 v26, 0x100, v26
	s_clause 0x2
	global_load_b64 v[16:17], v22, s[10:11] scale_offset
	global_load_b64 v[20:21], v22, s[12:13] scale_offset
	;; [unrolled: 1-line block ×3, first 2 shown]
.LBB74_9:
	s_wait_xcnt 0x0
	s_or_b32 exec_lo, exec_lo, s3
	v_mov_b64_e32 v[24:25], 0
	v_mov_b64_e32 v[22:23], 0
	s_mov_b32 s3, exec_lo
	v_cmpx_gt_i32_e64 s1, v26
	s_cbranch_execz .LBB74_11
; %bb.10:
	v_add_nc_u32_e32 v26, s2, v26
	s_clause 0x2
	global_load_b64 v[4:5], v26, s[10:11] scale_offset
	global_load_b64 v[24:25], v26, s[12:13] scale_offset
	;; [unrolled: 1-line block ×3, first 2 shown]
	s_wait_xcnt 0x0
	s_or_b32 exec_lo, exec_lo, s3
                                        ; implicit-def: $vgpr26_vgpr27
	s_and_saveexec_b32 s0, vcc_lo
	s_cbranch_execz .LBB74_13
	s_branch .LBB74_12
.LBB74_11:
	s_or_b32 exec_lo, exec_lo, s3
                                        ; implicit-def: $vgpr26_vgpr27
	s_and_saveexec_b32 s0, vcc_lo
	s_cbranch_execz .LBB74_13
.LBB74_12:
	s_wait_loadcnt 0x2
	v_mul_u64_e32 v[6:7], s[4:5], v[6:7]
	s_wait_loadcnt 0x1
	v_mul_u64_e32 v[10:11], s[6:7], v[10:11]
	s_wait_loadcnt 0x0
	s_delay_alu instid0(VALU_DEP_1) | instskip(NEXT) | instid1(VALU_DEP_1)
	v_mad_nc_u64_u32 v[26:27], v10, v8, v[6:7]
	v_mad_u32 v6, v11, v8, v27
	s_delay_alu instid0(VALU_DEP_1)
	v_mad_u32 v27, v10, v9, v6
.LBB74_13:
	s_or_b32 exec_lo, exec_lo, s0
	s_delay_alu instid0(SALU_CYCLE_1)
	s_mov_b32 s3, exec_lo
                                        ; implicit-def: $vgpr6_vgpr7
	v_cmpx_gt_i32_e64 s1, v28
	s_cbranch_execz .LBB74_15
; %bb.14:
	s_wait_loadcnt 0x2
	v_mul_u64_e32 v[2:3], s[4:5], v[2:3]
	s_wait_loadcnt 0x0
	v_mul_u64_e32 v[8:9], s[6:7], v[14:15]
	s_delay_alu instid0(VALU_DEP_1) | instskip(NEXT) | instid1(VALU_DEP_1)
	v_mad_nc_u64_u32 v[6:7], v8, v12, v[2:3]
	v_mad_u32 v2, v9, v12, v7
	s_delay_alu instid0(VALU_DEP_1)
	v_mad_u32 v7, v8, v13, v2
.LBB74_15:
	s_or_b32 exec_lo, exec_lo, s3
	s_wait_loadcnt 0x2
	v_or_b32_e32 v2, 0x200, v0
	s_delay_alu instid0(VALU_DEP_1)
	v_cmp_gt_i32_e64 s0, s1, v2
                                        ; implicit-def: $vgpr2_vgpr3
	s_and_saveexec_b32 s3, s0
	s_cbranch_execz .LBB74_17
; %bb.16:
	v_mul_u64_e32 v[2:3], s[4:5], v[16:17]
	s_wait_loadcnt 0x0
	v_mul_u64_e32 v[8:9], s[6:7], v[20:21]
	s_delay_alu instid0(VALU_DEP_1) | instskip(NEXT) | instid1(VALU_DEP_1)
	v_mad_nc_u64_u32 v[2:3], v8, v18, v[2:3]
	v_mad_u32 v3, v9, v18, v3
	s_delay_alu instid0(VALU_DEP_1)
	v_mad_u32 v3, v8, v19, v3
.LBB74_17:
	s_or_b32 exec_lo, exec_lo, s3
	s_wait_loadcnt 0x0
	v_or_b32_e32 v8, 0x300, v0
	s_delay_alu instid0(VALU_DEP_1)
	v_cmp_gt_i32_e64 s0, s1, v8
                                        ; implicit-def: $vgpr8_vgpr9
	s_and_saveexec_b32 s3, s0
	s_cbranch_execz .LBB74_24
; %bb.18:
	v_mul_u64_e32 v[4:5], s[4:5], v[4:5]
	v_mul_u64_e32 v[10:11], s[6:7], v[24:25]
	s_delay_alu instid0(VALU_DEP_1) | instskip(NEXT) | instid1(VALU_DEP_1)
	v_mad_nc_u64_u32 v[8:9], v10, v22, v[4:5]
	v_mad_u32 v4, v11, v22, v9
	s_delay_alu instid0(VALU_DEP_1) | instskip(SKIP_2) | instid1(SALU_CYCLE_1)
	v_mad_u32 v9, v10, v23, v4
	s_or_b32 exec_lo, exec_lo, s3
	s_and_saveexec_b32 s0, vcc_lo
	s_xor_b32 s0, exec_lo, s0
	s_cbranch_execnz .LBB74_25
.LBB74_19:
	s_or_b32 exec_lo, exec_lo, s0
	s_delay_alu instid0(SALU_CYCLE_1)
	s_mov_b32 s0, exec_lo
	v_cmpx_gt_i32_e64 s1, v0
	s_cbranch_execz .LBB74_26
.LBB74_20:
	v_add_nc_u32_e32 v1, s2, v0
	v_add_nc_u32_e32 v0, 0x100, v0
	global_store_b64 v1, v[6:7], s[8:9] scale_offset
	s_wait_xcnt 0x0
	s_or_b32 exec_lo, exec_lo, s0
	s_delay_alu instid0(SALU_CYCLE_1)
	s_mov_b32 s0, exec_lo
	v_cmpx_gt_i32_e64 s1, v0
	s_cbranch_execnz .LBB74_27
.LBB74_21:
	s_or_b32 exec_lo, exec_lo, s0
	s_delay_alu instid0(SALU_CYCLE_1)
	s_mov_b32 s0, exec_lo
	v_cmpx_gt_i32_e64 s1, v0
	s_cbranch_execz .LBB74_23
.LBB74_22:
	v_add_nc_u32_e32 v0, s2, v0
	global_store_b64 v0, v[8:9], s[8:9] scale_offset
.LBB74_23:
	s_endpgm
.LBB74_24:
	s_or_b32 exec_lo, exec_lo, s3
	s_and_saveexec_b32 s0, vcc_lo
	s_delay_alu instid0(SALU_CYCLE_1)
	s_xor_b32 s0, exec_lo, s0
	s_cbranch_execz .LBB74_19
.LBB74_25:
	v_mov_b32_e32 v0, v28
	global_store_b64 v1, v[26:27], s[8:9] scale_offset
	s_wait_xcnt 0x0
	s_or_b32 exec_lo, exec_lo, s0
	s_delay_alu instid0(SALU_CYCLE_1)
	s_mov_b32 s0, exec_lo
	v_cmpx_gt_i32_e64 s1, v0
	s_cbranch_execnz .LBB74_20
.LBB74_26:
	s_or_b32 exec_lo, exec_lo, s0
	s_delay_alu instid0(SALU_CYCLE_1)
	s_mov_b32 s0, exec_lo
	v_cmpx_gt_i32_e64 s1, v0
	s_cbranch_execz .LBB74_21
.LBB74_27:
	v_add_nc_u32_e32 v1, s2, v0
	v_add_nc_u32_e32 v0, 0x100, v0
	global_store_b64 v1, v[2:3], s[8:9] scale_offset
	s_wait_xcnt 0x0
	s_or_b32 exec_lo, exec_lo, s0
	s_delay_alu instid0(SALU_CYCLE_1)
	s_mov_b32 s0, exec_lo
	v_cmpx_gt_i32_e64 s1, v0
	s_cbranch_execnz .LBB74_22
	s_branch .LBB74_23
	.section	.rodata,"a",@progbits
	.p2align	6, 0x0
	.amdhsa_kernel _ZN2at6native29vectorized_elementwise_kernelILi4EZZZNS0_12_GLOBAL__N_116addr_kernel_cudaERNS_14TensorIteratorERKN3c106ScalarES8_ENKUlvE_clEvENKUlvE2_clEvEUllllE0_St5arrayIPcLm4EEEEviT0_T1_
		.amdhsa_group_segment_fixed_size 0
		.amdhsa_private_segment_fixed_size 0
		.amdhsa_kernarg_size 56
		.amdhsa_user_sgpr_count 2
		.amdhsa_user_sgpr_dispatch_ptr 0
		.amdhsa_user_sgpr_queue_ptr 0
		.amdhsa_user_sgpr_kernarg_segment_ptr 1
		.amdhsa_user_sgpr_dispatch_id 0
		.amdhsa_user_sgpr_kernarg_preload_length 0
		.amdhsa_user_sgpr_kernarg_preload_offset 0
		.amdhsa_user_sgpr_private_segment_size 0
		.amdhsa_wavefront_size32 1
		.amdhsa_uses_dynamic_stack 0
		.amdhsa_enable_private_segment 0
		.amdhsa_system_sgpr_workgroup_id_x 1
		.amdhsa_system_sgpr_workgroup_id_y 0
		.amdhsa_system_sgpr_workgroup_id_z 0
		.amdhsa_system_sgpr_workgroup_info 0
		.amdhsa_system_vgpr_workitem_id 0
		.amdhsa_next_free_vgpr 30
		.amdhsa_next_free_sgpr 22
		.amdhsa_named_barrier_count 0
		.amdhsa_reserve_vcc 1
		.amdhsa_float_round_mode_32 0
		.amdhsa_float_round_mode_16_64 0
		.amdhsa_float_denorm_mode_32 3
		.amdhsa_float_denorm_mode_16_64 3
		.amdhsa_fp16_overflow 0
		.amdhsa_memory_ordered 1
		.amdhsa_forward_progress 1
		.amdhsa_inst_pref_size 11
		.amdhsa_round_robin_scheduling 0
		.amdhsa_exception_fp_ieee_invalid_op 0
		.amdhsa_exception_fp_denorm_src 0
		.amdhsa_exception_fp_ieee_div_zero 0
		.amdhsa_exception_fp_ieee_overflow 0
		.amdhsa_exception_fp_ieee_underflow 0
		.amdhsa_exception_fp_ieee_inexact 0
		.amdhsa_exception_int_div_zero 0
	.end_amdhsa_kernel
	.section	.text._ZN2at6native29vectorized_elementwise_kernelILi4EZZZNS0_12_GLOBAL__N_116addr_kernel_cudaERNS_14TensorIteratorERKN3c106ScalarES8_ENKUlvE_clEvENKUlvE2_clEvEUllllE0_St5arrayIPcLm4EEEEviT0_T1_,"axG",@progbits,_ZN2at6native29vectorized_elementwise_kernelILi4EZZZNS0_12_GLOBAL__N_116addr_kernel_cudaERNS_14TensorIteratorERKN3c106ScalarES8_ENKUlvE_clEvENKUlvE2_clEvEUllllE0_St5arrayIPcLm4EEEEviT0_T1_,comdat
.Lfunc_end74:
	.size	_ZN2at6native29vectorized_elementwise_kernelILi4EZZZNS0_12_GLOBAL__N_116addr_kernel_cudaERNS_14TensorIteratorERKN3c106ScalarES8_ENKUlvE_clEvENKUlvE2_clEvEUllllE0_St5arrayIPcLm4EEEEviT0_T1_, .Lfunc_end74-_ZN2at6native29vectorized_elementwise_kernelILi4EZZZNS0_12_GLOBAL__N_116addr_kernel_cudaERNS_14TensorIteratorERKN3c106ScalarES8_ENKUlvE_clEvENKUlvE2_clEvEUllllE0_St5arrayIPcLm4EEEEviT0_T1_
                                        ; -- End function
	.set _ZN2at6native29vectorized_elementwise_kernelILi4EZZZNS0_12_GLOBAL__N_116addr_kernel_cudaERNS_14TensorIteratorERKN3c106ScalarES8_ENKUlvE_clEvENKUlvE2_clEvEUllllE0_St5arrayIPcLm4EEEEviT0_T1_.num_vgpr, 30
	.set _ZN2at6native29vectorized_elementwise_kernelILi4EZZZNS0_12_GLOBAL__N_116addr_kernel_cudaERNS_14TensorIteratorERKN3c106ScalarES8_ENKUlvE_clEvENKUlvE2_clEvEUllllE0_St5arrayIPcLm4EEEEviT0_T1_.num_agpr, 0
	.set _ZN2at6native29vectorized_elementwise_kernelILi4EZZZNS0_12_GLOBAL__N_116addr_kernel_cudaERNS_14TensorIteratorERKN3c106ScalarES8_ENKUlvE_clEvENKUlvE2_clEvEUllllE0_St5arrayIPcLm4EEEEviT0_T1_.numbered_sgpr, 22
	.set _ZN2at6native29vectorized_elementwise_kernelILi4EZZZNS0_12_GLOBAL__N_116addr_kernel_cudaERNS_14TensorIteratorERKN3c106ScalarES8_ENKUlvE_clEvENKUlvE2_clEvEUllllE0_St5arrayIPcLm4EEEEviT0_T1_.num_named_barrier, 0
	.set _ZN2at6native29vectorized_elementwise_kernelILi4EZZZNS0_12_GLOBAL__N_116addr_kernel_cudaERNS_14TensorIteratorERKN3c106ScalarES8_ENKUlvE_clEvENKUlvE2_clEvEUllllE0_St5arrayIPcLm4EEEEviT0_T1_.private_seg_size, 0
	.set _ZN2at6native29vectorized_elementwise_kernelILi4EZZZNS0_12_GLOBAL__N_116addr_kernel_cudaERNS_14TensorIteratorERKN3c106ScalarES8_ENKUlvE_clEvENKUlvE2_clEvEUllllE0_St5arrayIPcLm4EEEEviT0_T1_.uses_vcc, 1
	.set _ZN2at6native29vectorized_elementwise_kernelILi4EZZZNS0_12_GLOBAL__N_116addr_kernel_cudaERNS_14TensorIteratorERKN3c106ScalarES8_ENKUlvE_clEvENKUlvE2_clEvEUllllE0_St5arrayIPcLm4EEEEviT0_T1_.uses_flat_scratch, 0
	.set _ZN2at6native29vectorized_elementwise_kernelILi4EZZZNS0_12_GLOBAL__N_116addr_kernel_cudaERNS_14TensorIteratorERKN3c106ScalarES8_ENKUlvE_clEvENKUlvE2_clEvEUllllE0_St5arrayIPcLm4EEEEviT0_T1_.has_dyn_sized_stack, 0
	.set _ZN2at6native29vectorized_elementwise_kernelILi4EZZZNS0_12_GLOBAL__N_116addr_kernel_cudaERNS_14TensorIteratorERKN3c106ScalarES8_ENKUlvE_clEvENKUlvE2_clEvEUllllE0_St5arrayIPcLm4EEEEviT0_T1_.has_recursion, 0
	.set _ZN2at6native29vectorized_elementwise_kernelILi4EZZZNS0_12_GLOBAL__N_116addr_kernel_cudaERNS_14TensorIteratorERKN3c106ScalarES8_ENKUlvE_clEvENKUlvE2_clEvEUllllE0_St5arrayIPcLm4EEEEviT0_T1_.has_indirect_call, 0
	.section	.AMDGPU.csdata,"",@progbits
; Kernel info:
; codeLenInByte = 1376
; TotalNumSgprs: 24
; NumVgprs: 30
; ScratchSize: 0
; MemoryBound: 0
; FloatMode: 240
; IeeeMode: 1
; LDSByteSize: 0 bytes/workgroup (compile time only)
; SGPRBlocks: 0
; VGPRBlocks: 1
; NumSGPRsForWavesPerEU: 24
; NumVGPRsForWavesPerEU: 30
; NamedBarCnt: 0
; Occupancy: 16
; WaveLimiterHint : 0
; COMPUTE_PGM_RSRC2:SCRATCH_EN: 0
; COMPUTE_PGM_RSRC2:USER_SGPR: 2
; COMPUTE_PGM_RSRC2:TRAP_HANDLER: 0
; COMPUTE_PGM_RSRC2:TGID_X_EN: 1
; COMPUTE_PGM_RSRC2:TGID_Y_EN: 0
; COMPUTE_PGM_RSRC2:TGID_Z_EN: 0
; COMPUTE_PGM_RSRC2:TIDIG_COMP_CNT: 0
	.section	.text._ZN2at6native29vectorized_elementwise_kernelILi2EZZZNS0_12_GLOBAL__N_116addr_kernel_cudaERNS_14TensorIteratorERKN3c106ScalarES8_ENKUlvE_clEvENKUlvE2_clEvEUllllE0_St5arrayIPcLm4EEEEviT0_T1_,"axG",@progbits,_ZN2at6native29vectorized_elementwise_kernelILi2EZZZNS0_12_GLOBAL__N_116addr_kernel_cudaERNS_14TensorIteratorERKN3c106ScalarES8_ENKUlvE_clEvENKUlvE2_clEvEUllllE0_St5arrayIPcLm4EEEEviT0_T1_,comdat
	.globl	_ZN2at6native29vectorized_elementwise_kernelILi2EZZZNS0_12_GLOBAL__N_116addr_kernel_cudaERNS_14TensorIteratorERKN3c106ScalarES8_ENKUlvE_clEvENKUlvE2_clEvEUllllE0_St5arrayIPcLm4EEEEviT0_T1_ ; -- Begin function _ZN2at6native29vectorized_elementwise_kernelILi2EZZZNS0_12_GLOBAL__N_116addr_kernel_cudaERNS_14TensorIteratorERKN3c106ScalarES8_ENKUlvE_clEvENKUlvE2_clEvEUllllE0_St5arrayIPcLm4EEEEviT0_T1_
	.p2align	8
	.type	_ZN2at6native29vectorized_elementwise_kernelILi2EZZZNS0_12_GLOBAL__N_116addr_kernel_cudaERNS_14TensorIteratorERKN3c106ScalarES8_ENKUlvE_clEvENKUlvE2_clEvEUllllE0_St5arrayIPcLm4EEEEviT0_T1_,@function
_ZN2at6native29vectorized_elementwise_kernelILi2EZZZNS0_12_GLOBAL__N_116addr_kernel_cudaERNS_14TensorIteratorERKN3c106ScalarES8_ENKUlvE_clEvENKUlvE2_clEvEUllllE0_St5arrayIPcLm4EEEEviT0_T1_: ; @_ZN2at6native29vectorized_elementwise_kernelILi2EZZZNS0_12_GLOBAL__N_116addr_kernel_cudaERNS_14TensorIteratorERKN3c106ScalarES8_ENKUlvE_clEvENKUlvE2_clEvEUllllE0_St5arrayIPcLm4EEEEviT0_T1_
; %bb.0:
	s_clause 0x2
	s_load_b32 s3, s[0:1], 0x0
	s_load_b256 s[4:11], s[0:1], 0x8
	s_load_b128 s[12:15], s[0:1], 0x28
	s_wait_xcnt 0x0
	s_bfe_u32 s0, ttmp6, 0x4000c
	s_and_b32 s1, ttmp6, 15
	s_add_co_i32 s0, s0, 1
	s_getreg_b32 s2, hwreg(HW_REG_IB_STS2, 6, 4)
	s_mul_i32 s0, ttmp9, s0
	s_delay_alu instid0(SALU_CYCLE_1) | instskip(SKIP_2) | instid1(SALU_CYCLE_1)
	s_add_co_i32 s1, s1, s0
	s_cmp_eq_u32 s2, 0
	s_cselect_b32 s0, ttmp9, s1
	s_lshl_b32 s2, s0, 10
	s_mov_b32 s0, -1
	s_wait_kmcnt 0x0
	s_sub_co_i32 s1, s3, s2
	s_delay_alu instid0(SALU_CYCLE_1)
	s_cmp_gt_i32 s1, 0x3ff
	s_cbranch_scc0 .LBB75_2
; %bb.1:
	s_ashr_i32 s3, s2, 31
	s_mov_b32 s0, 0
	s_lshl_b64 s[16:17], s[2:3], 3
	s_delay_alu instid0(SALU_CYCLE_1)
	s_add_nc_u64 s[18:19], s[10:11], s[16:17]
	s_add_nc_u64 s[20:21], s[12:13], s[16:17]
	s_clause 0x3
	global_load_b128 v[2:5], v0, s[18:19] scale_offset
	global_load_b128 v[6:9], v0, s[20:21] scale_offset
	global_load_b128 v[10:13], v0, s[18:19] offset:4096 scale_offset
	global_load_b128 v[14:17], v0, s[20:21] offset:4096 scale_offset
	s_wait_xcnt 0x1
	s_add_nc_u64 s[18:19], s[14:15], s[16:17]
	s_clause 0x1
	global_load_b128 v[18:21], v0, s[18:19] scale_offset
	global_load_b128 v[22:25], v0, s[18:19] offset:4096 scale_offset
	s_add_nc_u64 s[16:17], s[8:9], s[16:17]
	s_wait_loadcnt 0x5
	v_mul_u64_e32 v[2:3], s[4:5], v[2:3]
	s_wait_loadcnt 0x4
	v_mul_u64_e32 v[26:27], s[6:7], v[6:7]
	v_mul_u64_e32 v[4:5], s[4:5], v[4:5]
	;; [unrolled: 1-line block ×3, first 2 shown]
	s_wait_loadcnt 0x3
	v_mul_u64_e32 v[6:7], s[4:5], v[10:11]
	s_wait_loadcnt 0x2
	v_mul_u64_e32 v[10:11], s[6:7], v[14:15]
	v_mul_u64_e32 v[8:9], s[4:5], v[12:13]
	;; [unrolled: 1-line block ×3, first 2 shown]
	s_wait_loadcnt 0x1
	v_mad_nc_u64_u32 v[2:3], v26, v18, v[2:3]
	v_mad_nc_u64_u32 v[4:5], v28, v20, v[4:5]
	s_wait_loadcnt 0x0
	v_mad_nc_u64_u32 v[6:7], v10, v22, v[6:7]
	s_delay_alu instid0(VALU_DEP_4) | instskip(NEXT) | instid1(VALU_DEP_4)
	v_mad_nc_u64_u32 v[8:9], v12, v24, v[8:9]
	v_mad_u32 v1, v27, v18, v3
	s_delay_alu instid0(VALU_DEP_4) | instskip(NEXT) | instid1(VALU_DEP_4)
	v_mad_u32 v5, v29, v20, v5
	v_mad_u32 v7, v11, v22, v7
	s_delay_alu instid0(VALU_DEP_4) | instskip(NEXT) | instid1(VALU_DEP_4)
	v_mad_u32 v9, v13, v24, v9
	;; [unrolled: 3-line block ×3, first 2 shown]
	v_mad_u32 v7, v10, v23, v7
	s_delay_alu instid0(VALU_DEP_4)
	v_mad_u32 v9, v12, v25, v9
	s_clause 0x1
	global_store_b128 v0, v[2:5], s[16:17] scale_offset
	global_store_b128 v0, v[6:9], s[16:17] offset:4096 scale_offset
.LBB75_2:
	s_and_not1_b32 vcc_lo, exec_lo, s0
	s_cbranch_vccnz .LBB75_23
; %bb.3:
	s_wait_xcnt 0x1
	v_mov_b64_e32 v[2:3], 0
	s_wait_xcnt 0x0
	v_mov_b64_e32 v[6:7], 0
	v_mov_b64_e32 v[10:11], 0
	;; [unrolled: 1-line block ×3, first 2 shown]
	v_cmp_gt_i32_e32 vcc_lo, s1, v0
	v_dual_mov_b32 v26, v0 :: v_dual_bitop2_b32 v1, s2, v0 bitop3:0x54
	v_or_b32_e32 v28, 0x100, v0
	s_and_saveexec_b32 s0, vcc_lo
	s_cbranch_execz .LBB75_5
; %bb.4:
	s_clause 0x2
	global_load_b64 v[6:7], v1, s[10:11] scale_offset
	global_load_b64 v[10:11], v1, s[12:13] scale_offset
	;; [unrolled: 1-line block ×3, first 2 shown]
	v_or_b32_e32 v26, 0x100, v0
.LBB75_5:
	s_wait_xcnt 0x0
	s_or_b32 exec_lo, exec_lo, s0
	v_mov_b64_e32 v[14:15], 0
	v_mov_b64_e32 v[12:13], 0
	s_mov_b32 s3, exec_lo
	v_cmpx_gt_i32_e64 s1, v26
	s_cbranch_execz .LBB75_7
; %bb.6:
	v_add_nc_u32_e32 v4, s2, v26
	v_add_nc_u32_e32 v26, 0x100, v26
	s_clause 0x2
	global_load_b64 v[2:3], v4, s[10:11] scale_offset
	global_load_b64 v[14:15], v4, s[12:13] scale_offset
	;; [unrolled: 1-line block ×3, first 2 shown]
.LBB75_7:
	s_wait_xcnt 0x0
	s_or_b32 exec_lo, exec_lo, s3
	v_mov_b64_e32 v[4:5], 0
	v_mov_b64_e32 v[16:17], 0
	;; [unrolled: 1-line block ×4, first 2 shown]
	s_mov_b32 s3, exec_lo
	v_cmpx_gt_i32_e64 s1, v26
	s_cbranch_execz .LBB75_9
; %bb.8:
	v_add_nc_u32_e32 v22, s2, v26
	v_add_nc_u32_e32 v26, 0x100, v26
	s_clause 0x2
	global_load_b64 v[16:17], v22, s[10:11] scale_offset
	global_load_b64 v[20:21], v22, s[12:13] scale_offset
	;; [unrolled: 1-line block ×3, first 2 shown]
.LBB75_9:
	s_wait_xcnt 0x0
	s_or_b32 exec_lo, exec_lo, s3
	v_mov_b64_e32 v[24:25], 0
	v_mov_b64_e32 v[22:23], 0
	s_mov_b32 s3, exec_lo
	v_cmpx_gt_i32_e64 s1, v26
	s_cbranch_execz .LBB75_11
; %bb.10:
	v_add_nc_u32_e32 v26, s2, v26
	s_clause 0x2
	global_load_b64 v[4:5], v26, s[10:11] scale_offset
	global_load_b64 v[24:25], v26, s[12:13] scale_offset
	;; [unrolled: 1-line block ×3, first 2 shown]
	s_wait_xcnt 0x0
	s_or_b32 exec_lo, exec_lo, s3
                                        ; implicit-def: $vgpr26_vgpr27
	s_and_saveexec_b32 s0, vcc_lo
	s_cbranch_execz .LBB75_13
	s_branch .LBB75_12
.LBB75_11:
	s_or_b32 exec_lo, exec_lo, s3
                                        ; implicit-def: $vgpr26_vgpr27
	s_and_saveexec_b32 s0, vcc_lo
	s_cbranch_execz .LBB75_13
.LBB75_12:
	s_wait_loadcnt 0x2
	v_mul_u64_e32 v[6:7], s[4:5], v[6:7]
	s_wait_loadcnt 0x1
	v_mul_u64_e32 v[10:11], s[6:7], v[10:11]
	s_wait_loadcnt 0x0
	s_delay_alu instid0(VALU_DEP_1) | instskip(NEXT) | instid1(VALU_DEP_1)
	v_mad_nc_u64_u32 v[26:27], v10, v8, v[6:7]
	v_mad_u32 v6, v11, v8, v27
	s_delay_alu instid0(VALU_DEP_1)
	v_mad_u32 v27, v10, v9, v6
.LBB75_13:
	s_or_b32 exec_lo, exec_lo, s0
	s_delay_alu instid0(SALU_CYCLE_1)
	s_mov_b32 s3, exec_lo
                                        ; implicit-def: $vgpr6_vgpr7
	v_cmpx_gt_i32_e64 s1, v28
	s_cbranch_execz .LBB75_15
; %bb.14:
	s_wait_loadcnt 0x2
	v_mul_u64_e32 v[2:3], s[4:5], v[2:3]
	s_wait_loadcnt 0x0
	v_mul_u64_e32 v[8:9], s[6:7], v[14:15]
	s_delay_alu instid0(VALU_DEP_1) | instskip(NEXT) | instid1(VALU_DEP_1)
	v_mad_nc_u64_u32 v[6:7], v8, v12, v[2:3]
	v_mad_u32 v2, v9, v12, v7
	s_delay_alu instid0(VALU_DEP_1)
	v_mad_u32 v7, v8, v13, v2
.LBB75_15:
	s_or_b32 exec_lo, exec_lo, s3
	s_wait_loadcnt 0x2
	v_or_b32_e32 v2, 0x200, v0
	s_delay_alu instid0(VALU_DEP_1)
	v_cmp_gt_i32_e64 s0, s1, v2
                                        ; implicit-def: $vgpr2_vgpr3
	s_and_saveexec_b32 s3, s0
	s_cbranch_execz .LBB75_17
; %bb.16:
	v_mul_u64_e32 v[2:3], s[4:5], v[16:17]
	s_wait_loadcnt 0x0
	v_mul_u64_e32 v[8:9], s[6:7], v[20:21]
	s_delay_alu instid0(VALU_DEP_1) | instskip(NEXT) | instid1(VALU_DEP_1)
	v_mad_nc_u64_u32 v[2:3], v8, v18, v[2:3]
	v_mad_u32 v3, v9, v18, v3
	s_delay_alu instid0(VALU_DEP_1)
	v_mad_u32 v3, v8, v19, v3
.LBB75_17:
	s_or_b32 exec_lo, exec_lo, s3
	s_wait_loadcnt 0x0
	v_or_b32_e32 v8, 0x300, v0
	s_delay_alu instid0(VALU_DEP_1)
	v_cmp_gt_i32_e64 s0, s1, v8
                                        ; implicit-def: $vgpr8_vgpr9
	s_and_saveexec_b32 s3, s0
	s_cbranch_execz .LBB75_24
; %bb.18:
	v_mul_u64_e32 v[4:5], s[4:5], v[4:5]
	v_mul_u64_e32 v[10:11], s[6:7], v[24:25]
	s_delay_alu instid0(VALU_DEP_1) | instskip(NEXT) | instid1(VALU_DEP_1)
	v_mad_nc_u64_u32 v[8:9], v10, v22, v[4:5]
	v_mad_u32 v4, v11, v22, v9
	s_delay_alu instid0(VALU_DEP_1) | instskip(SKIP_2) | instid1(SALU_CYCLE_1)
	v_mad_u32 v9, v10, v23, v4
	s_or_b32 exec_lo, exec_lo, s3
	s_and_saveexec_b32 s0, vcc_lo
	s_xor_b32 s0, exec_lo, s0
	s_cbranch_execnz .LBB75_25
.LBB75_19:
	s_or_b32 exec_lo, exec_lo, s0
	s_delay_alu instid0(SALU_CYCLE_1)
	s_mov_b32 s0, exec_lo
	v_cmpx_gt_i32_e64 s1, v0
	s_cbranch_execz .LBB75_26
.LBB75_20:
	v_add_nc_u32_e32 v1, s2, v0
	v_add_nc_u32_e32 v0, 0x100, v0
	global_store_b64 v1, v[6:7], s[8:9] scale_offset
	s_wait_xcnt 0x0
	s_or_b32 exec_lo, exec_lo, s0
	s_delay_alu instid0(SALU_CYCLE_1)
	s_mov_b32 s0, exec_lo
	v_cmpx_gt_i32_e64 s1, v0
	s_cbranch_execnz .LBB75_27
.LBB75_21:
	s_or_b32 exec_lo, exec_lo, s0
	s_delay_alu instid0(SALU_CYCLE_1)
	s_mov_b32 s0, exec_lo
	v_cmpx_gt_i32_e64 s1, v0
	s_cbranch_execz .LBB75_23
.LBB75_22:
	v_add_nc_u32_e32 v0, s2, v0
	global_store_b64 v0, v[8:9], s[8:9] scale_offset
.LBB75_23:
	s_endpgm
.LBB75_24:
	s_or_b32 exec_lo, exec_lo, s3
	s_and_saveexec_b32 s0, vcc_lo
	s_delay_alu instid0(SALU_CYCLE_1)
	s_xor_b32 s0, exec_lo, s0
	s_cbranch_execz .LBB75_19
.LBB75_25:
	v_mov_b32_e32 v0, v28
	global_store_b64 v1, v[26:27], s[8:9] scale_offset
	s_wait_xcnt 0x0
	s_or_b32 exec_lo, exec_lo, s0
	s_delay_alu instid0(SALU_CYCLE_1)
	s_mov_b32 s0, exec_lo
	v_cmpx_gt_i32_e64 s1, v0
	s_cbranch_execnz .LBB75_20
.LBB75_26:
	s_or_b32 exec_lo, exec_lo, s0
	s_delay_alu instid0(SALU_CYCLE_1)
	s_mov_b32 s0, exec_lo
	v_cmpx_gt_i32_e64 s1, v0
	s_cbranch_execz .LBB75_21
.LBB75_27:
	v_add_nc_u32_e32 v1, s2, v0
	v_add_nc_u32_e32 v0, 0x100, v0
	global_store_b64 v1, v[2:3], s[8:9] scale_offset
	s_wait_xcnt 0x0
	s_or_b32 exec_lo, exec_lo, s0
	s_delay_alu instid0(SALU_CYCLE_1)
	s_mov_b32 s0, exec_lo
	v_cmpx_gt_i32_e64 s1, v0
	s_cbranch_execnz .LBB75_22
	s_branch .LBB75_23
	.section	.rodata,"a",@progbits
	.p2align	6, 0x0
	.amdhsa_kernel _ZN2at6native29vectorized_elementwise_kernelILi2EZZZNS0_12_GLOBAL__N_116addr_kernel_cudaERNS_14TensorIteratorERKN3c106ScalarES8_ENKUlvE_clEvENKUlvE2_clEvEUllllE0_St5arrayIPcLm4EEEEviT0_T1_
		.amdhsa_group_segment_fixed_size 0
		.amdhsa_private_segment_fixed_size 0
		.amdhsa_kernarg_size 56
		.amdhsa_user_sgpr_count 2
		.amdhsa_user_sgpr_dispatch_ptr 0
		.amdhsa_user_sgpr_queue_ptr 0
		.amdhsa_user_sgpr_kernarg_segment_ptr 1
		.amdhsa_user_sgpr_dispatch_id 0
		.amdhsa_user_sgpr_kernarg_preload_length 0
		.amdhsa_user_sgpr_kernarg_preload_offset 0
		.amdhsa_user_sgpr_private_segment_size 0
		.amdhsa_wavefront_size32 1
		.amdhsa_uses_dynamic_stack 0
		.amdhsa_enable_private_segment 0
		.amdhsa_system_sgpr_workgroup_id_x 1
		.amdhsa_system_sgpr_workgroup_id_y 0
		.amdhsa_system_sgpr_workgroup_id_z 0
		.amdhsa_system_sgpr_workgroup_info 0
		.amdhsa_system_vgpr_workitem_id 0
		.amdhsa_next_free_vgpr 30
		.amdhsa_next_free_sgpr 22
		.amdhsa_named_barrier_count 0
		.amdhsa_reserve_vcc 1
		.amdhsa_float_round_mode_32 0
		.amdhsa_float_round_mode_16_64 0
		.amdhsa_float_denorm_mode_32 3
		.amdhsa_float_denorm_mode_16_64 3
		.amdhsa_fp16_overflow 0
		.amdhsa_memory_ordered 1
		.amdhsa_forward_progress 1
		.amdhsa_inst_pref_size 11
		.amdhsa_round_robin_scheduling 0
		.amdhsa_exception_fp_ieee_invalid_op 0
		.amdhsa_exception_fp_denorm_src 0
		.amdhsa_exception_fp_ieee_div_zero 0
		.amdhsa_exception_fp_ieee_overflow 0
		.amdhsa_exception_fp_ieee_underflow 0
		.amdhsa_exception_fp_ieee_inexact 0
		.amdhsa_exception_int_div_zero 0
	.end_amdhsa_kernel
	.section	.text._ZN2at6native29vectorized_elementwise_kernelILi2EZZZNS0_12_GLOBAL__N_116addr_kernel_cudaERNS_14TensorIteratorERKN3c106ScalarES8_ENKUlvE_clEvENKUlvE2_clEvEUllllE0_St5arrayIPcLm4EEEEviT0_T1_,"axG",@progbits,_ZN2at6native29vectorized_elementwise_kernelILi2EZZZNS0_12_GLOBAL__N_116addr_kernel_cudaERNS_14TensorIteratorERKN3c106ScalarES8_ENKUlvE_clEvENKUlvE2_clEvEUllllE0_St5arrayIPcLm4EEEEviT0_T1_,comdat
.Lfunc_end75:
	.size	_ZN2at6native29vectorized_elementwise_kernelILi2EZZZNS0_12_GLOBAL__N_116addr_kernel_cudaERNS_14TensorIteratorERKN3c106ScalarES8_ENKUlvE_clEvENKUlvE2_clEvEUllllE0_St5arrayIPcLm4EEEEviT0_T1_, .Lfunc_end75-_ZN2at6native29vectorized_elementwise_kernelILi2EZZZNS0_12_GLOBAL__N_116addr_kernel_cudaERNS_14TensorIteratorERKN3c106ScalarES8_ENKUlvE_clEvENKUlvE2_clEvEUllllE0_St5arrayIPcLm4EEEEviT0_T1_
                                        ; -- End function
	.set _ZN2at6native29vectorized_elementwise_kernelILi2EZZZNS0_12_GLOBAL__N_116addr_kernel_cudaERNS_14TensorIteratorERKN3c106ScalarES8_ENKUlvE_clEvENKUlvE2_clEvEUllllE0_St5arrayIPcLm4EEEEviT0_T1_.num_vgpr, 30
	.set _ZN2at6native29vectorized_elementwise_kernelILi2EZZZNS0_12_GLOBAL__N_116addr_kernel_cudaERNS_14TensorIteratorERKN3c106ScalarES8_ENKUlvE_clEvENKUlvE2_clEvEUllllE0_St5arrayIPcLm4EEEEviT0_T1_.num_agpr, 0
	.set _ZN2at6native29vectorized_elementwise_kernelILi2EZZZNS0_12_GLOBAL__N_116addr_kernel_cudaERNS_14TensorIteratorERKN3c106ScalarES8_ENKUlvE_clEvENKUlvE2_clEvEUllllE0_St5arrayIPcLm4EEEEviT0_T1_.numbered_sgpr, 22
	.set _ZN2at6native29vectorized_elementwise_kernelILi2EZZZNS0_12_GLOBAL__N_116addr_kernel_cudaERNS_14TensorIteratorERKN3c106ScalarES8_ENKUlvE_clEvENKUlvE2_clEvEUllllE0_St5arrayIPcLm4EEEEviT0_T1_.num_named_barrier, 0
	.set _ZN2at6native29vectorized_elementwise_kernelILi2EZZZNS0_12_GLOBAL__N_116addr_kernel_cudaERNS_14TensorIteratorERKN3c106ScalarES8_ENKUlvE_clEvENKUlvE2_clEvEUllllE0_St5arrayIPcLm4EEEEviT0_T1_.private_seg_size, 0
	.set _ZN2at6native29vectorized_elementwise_kernelILi2EZZZNS0_12_GLOBAL__N_116addr_kernel_cudaERNS_14TensorIteratorERKN3c106ScalarES8_ENKUlvE_clEvENKUlvE2_clEvEUllllE0_St5arrayIPcLm4EEEEviT0_T1_.uses_vcc, 1
	.set _ZN2at6native29vectorized_elementwise_kernelILi2EZZZNS0_12_GLOBAL__N_116addr_kernel_cudaERNS_14TensorIteratorERKN3c106ScalarES8_ENKUlvE_clEvENKUlvE2_clEvEUllllE0_St5arrayIPcLm4EEEEviT0_T1_.uses_flat_scratch, 0
	.set _ZN2at6native29vectorized_elementwise_kernelILi2EZZZNS0_12_GLOBAL__N_116addr_kernel_cudaERNS_14TensorIteratorERKN3c106ScalarES8_ENKUlvE_clEvENKUlvE2_clEvEUllllE0_St5arrayIPcLm4EEEEviT0_T1_.has_dyn_sized_stack, 0
	.set _ZN2at6native29vectorized_elementwise_kernelILi2EZZZNS0_12_GLOBAL__N_116addr_kernel_cudaERNS_14TensorIteratorERKN3c106ScalarES8_ENKUlvE_clEvENKUlvE2_clEvEUllllE0_St5arrayIPcLm4EEEEviT0_T1_.has_recursion, 0
	.set _ZN2at6native29vectorized_elementwise_kernelILi2EZZZNS0_12_GLOBAL__N_116addr_kernel_cudaERNS_14TensorIteratorERKN3c106ScalarES8_ENKUlvE_clEvENKUlvE2_clEvEUllllE0_St5arrayIPcLm4EEEEviT0_T1_.has_indirect_call, 0
	.section	.AMDGPU.csdata,"",@progbits
; Kernel info:
; codeLenInByte = 1376
; TotalNumSgprs: 24
; NumVgprs: 30
; ScratchSize: 0
; MemoryBound: 0
; FloatMode: 240
; IeeeMode: 1
; LDSByteSize: 0 bytes/workgroup (compile time only)
; SGPRBlocks: 0
; VGPRBlocks: 1
; NumSGPRsForWavesPerEU: 24
; NumVGPRsForWavesPerEU: 30
; NamedBarCnt: 0
; Occupancy: 16
; WaveLimiterHint : 1
; COMPUTE_PGM_RSRC2:SCRATCH_EN: 0
; COMPUTE_PGM_RSRC2:USER_SGPR: 2
; COMPUTE_PGM_RSRC2:TRAP_HANDLER: 0
; COMPUTE_PGM_RSRC2:TGID_X_EN: 1
; COMPUTE_PGM_RSRC2:TGID_Y_EN: 0
; COMPUTE_PGM_RSRC2:TGID_Z_EN: 0
; COMPUTE_PGM_RSRC2:TIDIG_COMP_CNT: 0
	.section	.text._ZN2at6native27unrolled_elementwise_kernelIZZZNS0_12_GLOBAL__N_116addr_kernel_cudaERNS_14TensorIteratorERKN3c106ScalarES8_ENKUlvE_clEvENKUlvE2_clEvEUllllE0_St5arrayIPcLm4EELi4E23TrivialOffsetCalculatorILi3EjESF_ILi1EjENS0_6memory15LoadWithoutCastENSI_16StoreWithoutCastEEEviT_T0_T2_T3_T4_T5_,"axG",@progbits,_ZN2at6native27unrolled_elementwise_kernelIZZZNS0_12_GLOBAL__N_116addr_kernel_cudaERNS_14TensorIteratorERKN3c106ScalarES8_ENKUlvE_clEvENKUlvE2_clEvEUllllE0_St5arrayIPcLm4EELi4E23TrivialOffsetCalculatorILi3EjESF_ILi1EjENS0_6memory15LoadWithoutCastENSI_16StoreWithoutCastEEEviT_T0_T2_T3_T4_T5_,comdat
	.globl	_ZN2at6native27unrolled_elementwise_kernelIZZZNS0_12_GLOBAL__N_116addr_kernel_cudaERNS_14TensorIteratorERKN3c106ScalarES8_ENKUlvE_clEvENKUlvE2_clEvEUllllE0_St5arrayIPcLm4EELi4E23TrivialOffsetCalculatorILi3EjESF_ILi1EjENS0_6memory15LoadWithoutCastENSI_16StoreWithoutCastEEEviT_T0_T2_T3_T4_T5_ ; -- Begin function _ZN2at6native27unrolled_elementwise_kernelIZZZNS0_12_GLOBAL__N_116addr_kernel_cudaERNS_14TensorIteratorERKN3c106ScalarES8_ENKUlvE_clEvENKUlvE2_clEvEUllllE0_St5arrayIPcLm4EELi4E23TrivialOffsetCalculatorILi3EjESF_ILi1EjENS0_6memory15LoadWithoutCastENSI_16StoreWithoutCastEEEviT_T0_T2_T3_T4_T5_
	.p2align	8
	.type	_ZN2at6native27unrolled_elementwise_kernelIZZZNS0_12_GLOBAL__N_116addr_kernel_cudaERNS_14TensorIteratorERKN3c106ScalarES8_ENKUlvE_clEvENKUlvE2_clEvEUllllE0_St5arrayIPcLm4EELi4E23TrivialOffsetCalculatorILi3EjESF_ILi1EjENS0_6memory15LoadWithoutCastENSI_16StoreWithoutCastEEEviT_T0_T2_T3_T4_T5_,@function
_ZN2at6native27unrolled_elementwise_kernelIZZZNS0_12_GLOBAL__N_116addr_kernel_cudaERNS_14TensorIteratorERKN3c106ScalarES8_ENKUlvE_clEvENKUlvE2_clEvEUllllE0_St5arrayIPcLm4EELi4E23TrivialOffsetCalculatorILi3EjESF_ILi1EjENS0_6memory15LoadWithoutCastENSI_16StoreWithoutCastEEEviT_T0_T2_T3_T4_T5_: ; @_ZN2at6native27unrolled_elementwise_kernelIZZZNS0_12_GLOBAL__N_116addr_kernel_cudaERNS_14TensorIteratorERKN3c106ScalarES8_ENKUlvE_clEvENKUlvE2_clEvEUllllE0_St5arrayIPcLm4EELi4E23TrivialOffsetCalculatorILi3EjESF_ILi1EjENS0_6memory15LoadWithoutCastENSI_16StoreWithoutCastEEEviT_T0_T2_T3_T4_T5_
; %bb.0:
	s_load_b32 s2, s[0:1], 0x0
	s_bfe_u32 s16, ttmp6, 0x4000c
	s_clause 0x1
	s_load_b256 s[4:11], s[0:1], 0x8
	s_load_b128 s[12:15], s[0:1], 0x28
	s_add_co_i32 s16, s16, 1
	s_and_b32 s3, ttmp6, 15
	s_wait_xcnt 0x0
	s_mul_i32 s0, ttmp9, s16
	s_getreg_b32 s17, hwreg(HW_REG_IB_STS2, 6, 4)
	s_add_co_i32 s3, s3, s0
	s_cmp_eq_u32 s17, 0
	v_mov_b64_e32 v[2:3], 0
	s_cselect_b32 s0, ttmp9, s3
	v_mov_b64_e32 v[4:5], 0
	s_lshl_b32 s1, s0, 10
	v_mov_b64_e32 v[8:9], 0
	v_mov_b64_e32 v[10:11], 0
	v_or_b32_e32 v1, 0x100, v0
	v_dual_mov_b32 v26, v0 :: v_dual_bitop2_b32 v28, s1, v0 bitop3:0x54
	s_wait_kmcnt 0x0
	s_sub_co_i32 s2, s2, s1
	s_delay_alu instid0(SALU_CYCLE_1)
	v_cmp_gt_i32_e32 vcc_lo, s2, v0
	s_and_saveexec_b32 s0, vcc_lo
	s_cbranch_execz .LBB76_2
; %bb.1:
	s_clause 0x2
	global_load_b64 v[4:5], v28, s[10:11] scale_offset
	global_load_b64 v[8:9], v28, s[12:13] scale_offset
	;; [unrolled: 1-line block ×3, first 2 shown]
	v_or_b32_e32 v26, 0x100, v0
.LBB76_2:
	s_wait_xcnt 0x0
	s_or_b32 exec_lo, exec_lo, s0
	v_mov_b64_e32 v[14:15], 0
	v_mov_b64_e32 v[12:13], 0
	s_mov_b32 s3, exec_lo
	v_cmpx_gt_i32_e64 s2, v26
	s_cbranch_execz .LBB76_4
; %bb.3:
	v_add_nc_u32_e32 v6, s1, v26
	v_add_nc_u32_e32 v26, 0x100, v26
	s_clause 0x2
	global_load_b64 v[2:3], v6, s[10:11] scale_offset
	global_load_b64 v[14:15], v6, s[12:13] scale_offset
	;; [unrolled: 1-line block ×3, first 2 shown]
.LBB76_4:
	s_wait_xcnt 0x0
	s_or_b32 exec_lo, exec_lo, s3
	v_mov_b64_e32 v[6:7], 0
	v_mov_b64_e32 v[16:17], 0
	;; [unrolled: 1-line block ×4, first 2 shown]
	s_mov_b32 s3, exec_lo
	v_cmpx_gt_i32_e64 s2, v26
	s_cbranch_execz .LBB76_6
; %bb.5:
	v_add_nc_u32_e32 v22, s1, v26
	v_add_nc_u32_e32 v26, 0x100, v26
	s_clause 0x2
	global_load_b64 v[16:17], v22, s[10:11] scale_offset
	global_load_b64 v[20:21], v22, s[12:13] scale_offset
	;; [unrolled: 1-line block ×3, first 2 shown]
.LBB76_6:
	s_wait_xcnt 0x0
	s_or_b32 exec_lo, exec_lo, s3
	v_mov_b64_e32 v[24:25], 0
	v_mov_b64_e32 v[22:23], 0
	s_mov_b32 s3, exec_lo
	v_cmpx_gt_i32_e64 s2, v26
	s_cbranch_execz .LBB76_8
; %bb.7:
	v_add_nc_u32_e32 v26, s1, v26
	s_clause 0x2
	global_load_b64 v[6:7], v26, s[10:11] scale_offset
	global_load_b64 v[24:25], v26, s[12:13] scale_offset
	;; [unrolled: 1-line block ×3, first 2 shown]
	s_wait_xcnt 0x0
	s_or_b32 exec_lo, exec_lo, s3
                                        ; implicit-def: $vgpr26_vgpr27
	s_and_saveexec_b32 s0, vcc_lo
	s_cbranch_execz .LBB76_10
	s_branch .LBB76_9
.LBB76_8:
	s_or_b32 exec_lo, exec_lo, s3
                                        ; implicit-def: $vgpr26_vgpr27
	s_and_saveexec_b32 s0, vcc_lo
	s_cbranch_execz .LBB76_10
.LBB76_9:
	s_wait_loadcnt 0x2
	v_mul_u64_e32 v[4:5], s[4:5], v[4:5]
	s_wait_loadcnt 0x1
	v_mul_u64_e32 v[8:9], s[6:7], v[8:9]
	s_wait_loadcnt 0x0
	s_delay_alu instid0(VALU_DEP_1) | instskip(NEXT) | instid1(VALU_DEP_1)
	v_mad_nc_u64_u32 v[26:27], v8, v10, v[4:5]
	v_mad_u32 v4, v9, v10, v27
	s_delay_alu instid0(VALU_DEP_1)
	v_mad_u32 v27, v8, v11, v4
.LBB76_10:
	s_or_b32 exec_lo, exec_lo, s0
	s_delay_alu instid0(SALU_CYCLE_1)
	s_mov_b32 s3, exec_lo
                                        ; implicit-def: $vgpr4_vgpr5
	v_cmpx_gt_i32_e64 s2, v1
	s_cbranch_execz .LBB76_12
; %bb.11:
	s_wait_loadcnt 0x2
	v_mul_u64_e32 v[2:3], s[4:5], v[2:3]
	s_wait_loadcnt 0x1
	v_mul_u64_e32 v[8:9], s[6:7], v[14:15]
	s_wait_loadcnt 0x0
	s_delay_alu instid0(VALU_DEP_1) | instskip(NEXT) | instid1(VALU_DEP_1)
	v_mad_nc_u64_u32 v[4:5], v8, v12, v[2:3]
	v_mad_u32 v2, v9, v12, v5
	s_delay_alu instid0(VALU_DEP_1)
	v_mad_u32 v5, v8, v13, v2
.LBB76_12:
	s_or_b32 exec_lo, exec_lo, s3
	s_wait_loadcnt 0x2
	v_or_b32_e32 v2, 0x200, v0
	s_delay_alu instid0(VALU_DEP_1)
	v_cmp_gt_i32_e64 s0, s2, v2
                                        ; implicit-def: $vgpr2_vgpr3
	s_and_saveexec_b32 s3, s0
	s_cbranch_execz .LBB76_14
; %bb.13:
	v_mul_u64_e32 v[2:3], s[4:5], v[16:17]
	s_wait_loadcnt 0x1
	v_mul_u64_e32 v[8:9], s[6:7], v[20:21]
	s_wait_loadcnt 0x0
	s_delay_alu instid0(VALU_DEP_1) | instskip(NEXT) | instid1(VALU_DEP_1)
	v_mad_nc_u64_u32 v[2:3], v8, v18, v[2:3]
	v_mad_u32 v3, v9, v18, v3
	s_delay_alu instid0(VALU_DEP_1)
	v_mad_u32 v3, v8, v19, v3
.LBB76_14:
	s_or_b32 exec_lo, exec_lo, s3
	s_wait_loadcnt 0x1
	v_or_b32_e32 v8, 0x300, v0
	s_delay_alu instid0(VALU_DEP_1)
	v_cmp_gt_i32_e64 s0, s2, v8
                                        ; implicit-def: $vgpr8_vgpr9
	s_and_saveexec_b32 s3, s0
	s_cbranch_execz .LBB76_20
; %bb.15:
	v_mul_u64_e32 v[6:7], s[4:5], v[6:7]
	s_wait_loadcnt 0x0
	v_mul_u64_e32 v[10:11], s[6:7], v[24:25]
	s_delay_alu instid0(VALU_DEP_1) | instskip(NEXT) | instid1(VALU_DEP_1)
	v_mad_nc_u64_u32 v[8:9], v10, v22, v[6:7]
	v_mad_u32 v6, v11, v22, v9
	s_delay_alu instid0(VALU_DEP_1) | instskip(SKIP_2) | instid1(SALU_CYCLE_1)
	v_mad_u32 v9, v10, v23, v6
	s_or_b32 exec_lo, exec_lo, s3
	s_and_saveexec_b32 s0, vcc_lo
	s_xor_b32 s0, exec_lo, s0
	s_cbranch_execnz .LBB76_21
.LBB76_16:
	s_or_b32 exec_lo, exec_lo, s0
	s_delay_alu instid0(SALU_CYCLE_1)
	s_mov_b32 s0, exec_lo
	v_cmpx_gt_i32_e64 s2, v0
	s_cbranch_execz .LBB76_22
.LBB76_17:
	v_add_nc_u32_e32 v1, 0x100, v0
	s_delay_alu instid0(VALU_DEP_1) | instskip(SKIP_3) | instid1(SALU_CYCLE_1)
	v_dual_add_nc_u32 v6, s1, v0 :: v_dual_mov_b32 v0, v1
	global_store_b64 v6, v[4:5], s[8:9] scale_offset
	s_wait_xcnt 0x0
	s_or_b32 exec_lo, exec_lo, s0
	s_mov_b32 s0, exec_lo
	v_cmpx_gt_i32_e64 s2, v0
	s_cbranch_execnz .LBB76_23
.LBB76_18:
	s_or_b32 exec_lo, exec_lo, s0
	s_delay_alu instid0(SALU_CYCLE_1)
	s_mov_b32 s0, exec_lo
	v_cmpx_gt_i32_e64 s2, v0
	s_cbranch_execz .LBB76_24
.LBB76_19:
	v_add_nc_u32_e32 v0, s1, v0
	global_store_b64 v0, v[8:9], s[8:9] scale_offset
	s_endpgm
.LBB76_20:
	s_or_b32 exec_lo, exec_lo, s3
	s_and_saveexec_b32 s0, vcc_lo
	s_delay_alu instid0(SALU_CYCLE_1)
	s_xor_b32 s0, exec_lo, s0
	s_cbranch_execz .LBB76_16
.LBB76_21:
	v_mov_b32_e32 v0, v1
	global_store_b64 v28, v[26:27], s[8:9] scale_offset
	s_wait_xcnt 0x0
	s_or_b32 exec_lo, exec_lo, s0
	s_delay_alu instid0(SALU_CYCLE_1)
	s_mov_b32 s0, exec_lo
	v_cmpx_gt_i32_e64 s2, v0
	s_cbranch_execnz .LBB76_17
.LBB76_22:
	s_or_b32 exec_lo, exec_lo, s0
	s_delay_alu instid0(SALU_CYCLE_1)
	s_mov_b32 s0, exec_lo
	v_cmpx_gt_i32_e64 s2, v0
	s_cbranch_execz .LBB76_18
.LBB76_23:
	v_add_nc_u32_e32 v1, 0x100, v0
	s_delay_alu instid0(VALU_DEP_1) | instskip(SKIP_3) | instid1(SALU_CYCLE_1)
	v_dual_add_nc_u32 v4, s1, v0 :: v_dual_mov_b32 v0, v1
	global_store_b64 v4, v[2:3], s[8:9] scale_offset
	s_wait_xcnt 0x0
	s_or_b32 exec_lo, exec_lo, s0
	s_mov_b32 s0, exec_lo
	v_cmpx_gt_i32_e64 s2, v0
	s_cbranch_execnz .LBB76_19
.LBB76_24:
	s_endpgm
	.section	.rodata,"a",@progbits
	.p2align	6, 0x0
	.amdhsa_kernel _ZN2at6native27unrolled_elementwise_kernelIZZZNS0_12_GLOBAL__N_116addr_kernel_cudaERNS_14TensorIteratorERKN3c106ScalarES8_ENKUlvE_clEvENKUlvE2_clEvEUllllE0_St5arrayIPcLm4EELi4E23TrivialOffsetCalculatorILi3EjESF_ILi1EjENS0_6memory15LoadWithoutCastENSI_16StoreWithoutCastEEEviT_T0_T2_T3_T4_T5_
		.amdhsa_group_segment_fixed_size 0
		.amdhsa_private_segment_fixed_size 0
		.amdhsa_kernarg_size 60
		.amdhsa_user_sgpr_count 2
		.amdhsa_user_sgpr_dispatch_ptr 0
		.amdhsa_user_sgpr_queue_ptr 0
		.amdhsa_user_sgpr_kernarg_segment_ptr 1
		.amdhsa_user_sgpr_dispatch_id 0
		.amdhsa_user_sgpr_kernarg_preload_length 0
		.amdhsa_user_sgpr_kernarg_preload_offset 0
		.amdhsa_user_sgpr_private_segment_size 0
		.amdhsa_wavefront_size32 1
		.amdhsa_uses_dynamic_stack 0
		.amdhsa_enable_private_segment 0
		.amdhsa_system_sgpr_workgroup_id_x 1
		.amdhsa_system_sgpr_workgroup_id_y 0
		.amdhsa_system_sgpr_workgroup_id_z 0
		.amdhsa_system_sgpr_workgroup_info 0
		.amdhsa_system_vgpr_workitem_id 0
		.amdhsa_next_free_vgpr 29
		.amdhsa_next_free_sgpr 18
		.amdhsa_named_barrier_count 0
		.amdhsa_reserve_vcc 1
		.amdhsa_float_round_mode_32 0
		.amdhsa_float_round_mode_16_64 0
		.amdhsa_float_denorm_mode_32 3
		.amdhsa_float_denorm_mode_16_64 3
		.amdhsa_fp16_overflow 0
		.amdhsa_memory_ordered 1
		.amdhsa_forward_progress 1
		.amdhsa_inst_pref_size 9
		.amdhsa_round_robin_scheduling 0
		.amdhsa_exception_fp_ieee_invalid_op 0
		.amdhsa_exception_fp_denorm_src 0
		.amdhsa_exception_fp_ieee_div_zero 0
		.amdhsa_exception_fp_ieee_overflow 0
		.amdhsa_exception_fp_ieee_underflow 0
		.amdhsa_exception_fp_ieee_inexact 0
		.amdhsa_exception_int_div_zero 0
	.end_amdhsa_kernel
	.section	.text._ZN2at6native27unrolled_elementwise_kernelIZZZNS0_12_GLOBAL__N_116addr_kernel_cudaERNS_14TensorIteratorERKN3c106ScalarES8_ENKUlvE_clEvENKUlvE2_clEvEUllllE0_St5arrayIPcLm4EELi4E23TrivialOffsetCalculatorILi3EjESF_ILi1EjENS0_6memory15LoadWithoutCastENSI_16StoreWithoutCastEEEviT_T0_T2_T3_T4_T5_,"axG",@progbits,_ZN2at6native27unrolled_elementwise_kernelIZZZNS0_12_GLOBAL__N_116addr_kernel_cudaERNS_14TensorIteratorERKN3c106ScalarES8_ENKUlvE_clEvENKUlvE2_clEvEUllllE0_St5arrayIPcLm4EELi4E23TrivialOffsetCalculatorILi3EjESF_ILi1EjENS0_6memory15LoadWithoutCastENSI_16StoreWithoutCastEEEviT_T0_T2_T3_T4_T5_,comdat
.Lfunc_end76:
	.size	_ZN2at6native27unrolled_elementwise_kernelIZZZNS0_12_GLOBAL__N_116addr_kernel_cudaERNS_14TensorIteratorERKN3c106ScalarES8_ENKUlvE_clEvENKUlvE2_clEvEUllllE0_St5arrayIPcLm4EELi4E23TrivialOffsetCalculatorILi3EjESF_ILi1EjENS0_6memory15LoadWithoutCastENSI_16StoreWithoutCastEEEviT_T0_T2_T3_T4_T5_, .Lfunc_end76-_ZN2at6native27unrolled_elementwise_kernelIZZZNS0_12_GLOBAL__N_116addr_kernel_cudaERNS_14TensorIteratorERKN3c106ScalarES8_ENKUlvE_clEvENKUlvE2_clEvEUllllE0_St5arrayIPcLm4EELi4E23TrivialOffsetCalculatorILi3EjESF_ILi1EjENS0_6memory15LoadWithoutCastENSI_16StoreWithoutCastEEEviT_T0_T2_T3_T4_T5_
                                        ; -- End function
	.set _ZN2at6native27unrolled_elementwise_kernelIZZZNS0_12_GLOBAL__N_116addr_kernel_cudaERNS_14TensorIteratorERKN3c106ScalarES8_ENKUlvE_clEvENKUlvE2_clEvEUllllE0_St5arrayIPcLm4EELi4E23TrivialOffsetCalculatorILi3EjESF_ILi1EjENS0_6memory15LoadWithoutCastENSI_16StoreWithoutCastEEEviT_T0_T2_T3_T4_T5_.num_vgpr, 29
	.set _ZN2at6native27unrolled_elementwise_kernelIZZZNS0_12_GLOBAL__N_116addr_kernel_cudaERNS_14TensorIteratorERKN3c106ScalarES8_ENKUlvE_clEvENKUlvE2_clEvEUllllE0_St5arrayIPcLm4EELi4E23TrivialOffsetCalculatorILi3EjESF_ILi1EjENS0_6memory15LoadWithoutCastENSI_16StoreWithoutCastEEEviT_T0_T2_T3_T4_T5_.num_agpr, 0
	.set _ZN2at6native27unrolled_elementwise_kernelIZZZNS0_12_GLOBAL__N_116addr_kernel_cudaERNS_14TensorIteratorERKN3c106ScalarES8_ENKUlvE_clEvENKUlvE2_clEvEUllllE0_St5arrayIPcLm4EELi4E23TrivialOffsetCalculatorILi3EjESF_ILi1EjENS0_6memory15LoadWithoutCastENSI_16StoreWithoutCastEEEviT_T0_T2_T3_T4_T5_.numbered_sgpr, 18
	.set _ZN2at6native27unrolled_elementwise_kernelIZZZNS0_12_GLOBAL__N_116addr_kernel_cudaERNS_14TensorIteratorERKN3c106ScalarES8_ENKUlvE_clEvENKUlvE2_clEvEUllllE0_St5arrayIPcLm4EELi4E23TrivialOffsetCalculatorILi3EjESF_ILi1EjENS0_6memory15LoadWithoutCastENSI_16StoreWithoutCastEEEviT_T0_T2_T3_T4_T5_.num_named_barrier, 0
	.set _ZN2at6native27unrolled_elementwise_kernelIZZZNS0_12_GLOBAL__N_116addr_kernel_cudaERNS_14TensorIteratorERKN3c106ScalarES8_ENKUlvE_clEvENKUlvE2_clEvEUllllE0_St5arrayIPcLm4EELi4E23TrivialOffsetCalculatorILi3EjESF_ILi1EjENS0_6memory15LoadWithoutCastENSI_16StoreWithoutCastEEEviT_T0_T2_T3_T4_T5_.private_seg_size, 0
	.set _ZN2at6native27unrolled_elementwise_kernelIZZZNS0_12_GLOBAL__N_116addr_kernel_cudaERNS_14TensorIteratorERKN3c106ScalarES8_ENKUlvE_clEvENKUlvE2_clEvEUllllE0_St5arrayIPcLm4EELi4E23TrivialOffsetCalculatorILi3EjESF_ILi1EjENS0_6memory15LoadWithoutCastENSI_16StoreWithoutCastEEEviT_T0_T2_T3_T4_T5_.uses_vcc, 1
	.set _ZN2at6native27unrolled_elementwise_kernelIZZZNS0_12_GLOBAL__N_116addr_kernel_cudaERNS_14TensorIteratorERKN3c106ScalarES8_ENKUlvE_clEvENKUlvE2_clEvEUllllE0_St5arrayIPcLm4EELi4E23TrivialOffsetCalculatorILi3EjESF_ILi1EjENS0_6memory15LoadWithoutCastENSI_16StoreWithoutCastEEEviT_T0_T2_T3_T4_T5_.uses_flat_scratch, 0
	.set _ZN2at6native27unrolled_elementwise_kernelIZZZNS0_12_GLOBAL__N_116addr_kernel_cudaERNS_14TensorIteratorERKN3c106ScalarES8_ENKUlvE_clEvENKUlvE2_clEvEUllllE0_St5arrayIPcLm4EELi4E23TrivialOffsetCalculatorILi3EjESF_ILi1EjENS0_6memory15LoadWithoutCastENSI_16StoreWithoutCastEEEviT_T0_T2_T3_T4_T5_.has_dyn_sized_stack, 0
	.set _ZN2at6native27unrolled_elementwise_kernelIZZZNS0_12_GLOBAL__N_116addr_kernel_cudaERNS_14TensorIteratorERKN3c106ScalarES8_ENKUlvE_clEvENKUlvE2_clEvEUllllE0_St5arrayIPcLm4EELi4E23TrivialOffsetCalculatorILi3EjESF_ILi1EjENS0_6memory15LoadWithoutCastENSI_16StoreWithoutCastEEEviT_T0_T2_T3_T4_T5_.has_recursion, 0
	.set _ZN2at6native27unrolled_elementwise_kernelIZZZNS0_12_GLOBAL__N_116addr_kernel_cudaERNS_14TensorIteratorERKN3c106ScalarES8_ENKUlvE_clEvENKUlvE2_clEvEUllllE0_St5arrayIPcLm4EELi4E23TrivialOffsetCalculatorILi3EjESF_ILi1EjENS0_6memory15LoadWithoutCastENSI_16StoreWithoutCastEEEviT_T0_T2_T3_T4_T5_.has_indirect_call, 0
	.section	.AMDGPU.csdata,"",@progbits
; Kernel info:
; codeLenInByte = 1052
; TotalNumSgprs: 20
; NumVgprs: 29
; ScratchSize: 0
; MemoryBound: 0
; FloatMode: 240
; IeeeMode: 1
; LDSByteSize: 0 bytes/workgroup (compile time only)
; SGPRBlocks: 0
; VGPRBlocks: 1
; NumSGPRsForWavesPerEU: 20
; NumVGPRsForWavesPerEU: 29
; NamedBarCnt: 0
; Occupancy: 16
; WaveLimiterHint : 0
; COMPUTE_PGM_RSRC2:SCRATCH_EN: 0
; COMPUTE_PGM_RSRC2:USER_SGPR: 2
; COMPUTE_PGM_RSRC2:TRAP_HANDLER: 0
; COMPUTE_PGM_RSRC2:TGID_X_EN: 1
; COMPUTE_PGM_RSRC2:TGID_Y_EN: 0
; COMPUTE_PGM_RSRC2:TGID_Z_EN: 0
; COMPUTE_PGM_RSRC2:TIDIG_COMP_CNT: 0
	.section	.text._ZN2at6native32elementwise_kernel_manual_unrollILi128ELi4EZNS0_22gpu_kernel_impl_nocastIZZZNS0_12_GLOBAL__N_116addr_kernel_cudaERNS_14TensorIteratorERKN3c106ScalarES9_ENKUlvE_clEvENKUlvE2_clEvEUllllE0_EEvRNS_18TensorIteratorBaseERKT_EUlibE_EEviT1_,"axG",@progbits,_ZN2at6native32elementwise_kernel_manual_unrollILi128ELi4EZNS0_22gpu_kernel_impl_nocastIZZZNS0_12_GLOBAL__N_116addr_kernel_cudaERNS_14TensorIteratorERKN3c106ScalarES9_ENKUlvE_clEvENKUlvE2_clEvEUllllE0_EEvRNS_18TensorIteratorBaseERKT_EUlibE_EEviT1_,comdat
	.globl	_ZN2at6native32elementwise_kernel_manual_unrollILi128ELi4EZNS0_22gpu_kernel_impl_nocastIZZZNS0_12_GLOBAL__N_116addr_kernel_cudaERNS_14TensorIteratorERKN3c106ScalarES9_ENKUlvE_clEvENKUlvE2_clEvEUllllE0_EEvRNS_18TensorIteratorBaseERKT_EUlibE_EEviT1_ ; -- Begin function _ZN2at6native32elementwise_kernel_manual_unrollILi128ELi4EZNS0_22gpu_kernel_impl_nocastIZZZNS0_12_GLOBAL__N_116addr_kernel_cudaERNS_14TensorIteratorERKN3c106ScalarES9_ENKUlvE_clEvENKUlvE2_clEvEUllllE0_EEvRNS_18TensorIteratorBaseERKT_EUlibE_EEviT1_
	.p2align	8
	.type	_ZN2at6native32elementwise_kernel_manual_unrollILi128ELi4EZNS0_22gpu_kernel_impl_nocastIZZZNS0_12_GLOBAL__N_116addr_kernel_cudaERNS_14TensorIteratorERKN3c106ScalarES9_ENKUlvE_clEvENKUlvE2_clEvEUllllE0_EEvRNS_18TensorIteratorBaseERKT_EUlibE_EEviT1_,@function
_ZN2at6native32elementwise_kernel_manual_unrollILi128ELi4EZNS0_22gpu_kernel_impl_nocastIZZZNS0_12_GLOBAL__N_116addr_kernel_cudaERNS_14TensorIteratorERKN3c106ScalarES9_ENKUlvE_clEvENKUlvE2_clEvEUllllE0_EEvRNS_18TensorIteratorBaseERKT_EUlibE_EEviT1_: ; @_ZN2at6native32elementwise_kernel_manual_unrollILi128ELi4EZNS0_22gpu_kernel_impl_nocastIZZZNS0_12_GLOBAL__N_116addr_kernel_cudaERNS_14TensorIteratorERKN3c106ScalarES9_ENKUlvE_clEvENKUlvE2_clEvEUllllE0_EEvRNS_18TensorIteratorBaseERKT_EUlibE_EEviT1_
; %bb.0:
	s_clause 0x1
	s_load_b32 s33, s[0:1], 0x8
	s_load_b32 s43, s[0:1], 0x0
	s_bfe_u32 s2, ttmp6, 0x4000c
	s_and_b32 s3, ttmp6, 15
	s_add_co_i32 s2, s2, 1
	s_getreg_b32 s4, hwreg(HW_REG_IB_STS2, 6, 4)
	s_mul_i32 s2, ttmp9, s2
	s_add_nc_u64 s[24:25], s[0:1], 8
	s_add_co_i32 s3, s3, s2
	s_cmp_eq_u32 s4, 0
	s_mov_b32 s29, 0
	s_cselect_b32 s2, ttmp9, s3
	s_wait_xcnt 0x0
	s_mov_b32 s0, exec_lo
	v_lshl_or_b32 v0, s2, 9, v0
	s_delay_alu instid0(VALU_DEP_1) | instskip(SKIP_2) | instid1(SALU_CYCLE_1)
	v_or_b32_e32 v5, 0x180, v0
	s_wait_kmcnt 0x0
	s_add_co_i32 s38, s33, -1
	s_cmp_gt_u32 s38, 1
	s_cselect_b32 s39, -1, 0
	v_cmpx_le_i32_e64 s43, v5
	s_xor_b32 s40, exec_lo, s0
	s_cbranch_execz .LBB77_54
; %bb.1:
	s_clause 0x4
	s_load_b128 s[20:23], s[24:25], 0x4
	s_load_b64 s[26:27], s[24:25], 0x14
	s_load_b256 s[8:15], s[24:25], 0xc4
	s_load_b128 s[16:19], s[24:25], 0x1e8
	s_load_b256 s[0:7], s[24:25], 0x1c8
	s_cmp_lg_u32 s33, 0
	s_mov_b32 s31, s29
	s_cselect_b32 s44, -1, 0
	s_min_u32 s42, s38, 15
	s_cmp_gt_u32 s33, 1
	s_cselect_b32 s41, -1, 0
	s_wait_kmcnt 0x0
	s_mov_b32 s28, s21
	s_mov_b32 s30, s26
	s_mov_b32 s21, exec_lo
	v_cmpx_gt_i32_e64 s43, v0
	s_cbranch_execnz .LBB77_5
; %bb.2:
	s_or_b32 exec_lo, exec_lo, s21
	s_delay_alu instid0(SALU_CYCLE_1)
	s_mov_b32 s21, exec_lo
	v_cmpx_gt_i32_e64 s43, v0
	s_cbranch_execnz .LBB77_17
.LBB77_3:
	s_or_b32 exec_lo, exec_lo, s21
	s_delay_alu instid0(SALU_CYCLE_1)
	s_mov_b32 s21, exec_lo
	v_cmpx_gt_i32_e64 s43, v0
	s_cbranch_execnz .LBB77_29
.LBB77_4:
	s_or_b32 exec_lo, exec_lo, s21
	s_delay_alu instid0(SALU_CYCLE_1)
	s_mov_b32 s21, exec_lo
	v_cmpx_gt_i32_e64 s43, v0
	s_cbranch_execnz .LBB77_41
	s_branch .LBB77_53
.LBB77_5:
	s_and_not1_b32 vcc_lo, exec_lo, s39
	s_cbranch_vccnz .LBB77_11
; %bb.6:
	s_and_not1_b32 vcc_lo, exec_lo, s44
	s_cbranch_vccnz .LBB77_12
; %bb.7:
	v_dual_mov_b32 v6, 0 :: v_dual_mov_b32 v1, v0
	v_dual_mov_b32 v7, 0 :: v_dual_mov_b32 v4, 0
	v_mov_b32_e32 v5, 0
	s_add_co_i32 s26, s42, 1
	s_mov_b64 s[34:35], 0xffffffffffffffe0
	s_and_b32 s26, s26, 30
	s_add_nc_u64 s[34:35], s[24:25], s[34:35]
	s_mov_b64 s[36:37], s[24:25]
.LBB77_8:                               ; =>This Inner Loop Header: Depth=1
	s_clause 0x1
	s_load_b128 s[56:59], s[36:37], 0x4
	s_load_b64 s[46:47], s[36:37], 0x14
	s_load_b256 s[48:55], s[34:35], 0xe4
	s_add_co_i32 s26, s26, -2
	s_wait_xcnt 0x0
	s_add_nc_u64 s[36:37], s[36:37], 24
	s_cmp_lg_u32 s26, 0
	s_add_nc_u64 s[34:35], s[34:35], 32
	s_wait_kmcnt 0x0
	v_mul_hi_u32 v2, s57, v1
	s_delay_alu instid0(VALU_DEP_1) | instskip(NEXT) | instid1(VALU_DEP_1)
	v_add_nc_u32_e32 v2, v1, v2
	v_lshrrev_b32_e32 v2, s58, v2
	s_delay_alu instid0(VALU_DEP_1) | instskip(SKIP_1) | instid1(VALU_DEP_1)
	v_mul_hi_u32 v3, s46, v2
	v_mul_lo_u32 v8, v2, s56
	v_dual_add_nc_u32 v3, v2, v3 :: v_dual_sub_nc_u32 v8, v1, v8
	s_delay_alu instid0(VALU_DEP_1) | instskip(NEXT) | instid1(VALU_DEP_2)
	v_lshrrev_b32_e32 v1, s47, v3
	v_mad_u32 v5, v8, s49, v5
	v_mad_u32 v4, v8, s48, v4
	;; [unrolled: 1-line block ×4, first 2 shown]
	v_mul_lo_u32 v3, v1, s59
	s_delay_alu instid0(VALU_DEP_1) | instskip(NEXT) | instid1(VALU_DEP_1)
	v_sub_nc_u32_e32 v2, v2, v3
	v_mad_u32 v5, v2, s53, v5
	v_mad_u32 v4, v2, s52, v4
	;; [unrolled: 1-line block ×4, first 2 shown]
	s_cbranch_scc1 .LBB77_8
; %bb.9:
	s_bitcmp1_b32 s42, 0
	s_cselect_b32 s26, -1, 0
	s_delay_alu instid0(SALU_CYCLE_1)
	s_and_b32 vcc_lo, exec_lo, s26
	s_cbranch_vccnz .LBB77_13
; %bb.10:
	s_load_b96 s[52:54], s[36:37], 0x4
	s_load_b128 s[48:51], s[34:35], 0xe4
	s_wait_kmcnt 0x0
	v_mul_hi_u32 v2, s53, v1
	s_delay_alu instid0(VALU_DEP_1) | instskip(NEXT) | instid1(VALU_DEP_1)
	v_add_nc_u32_e32 v2, v1, v2
	v_lshrrev_b32_e32 v2, s54, v2
	s_delay_alu instid0(VALU_DEP_1) | instskip(NEXT) | instid1(VALU_DEP_1)
	v_mul_lo_u32 v2, v2, s52
	v_sub_nc_u32_e32 v1, v1, v2
	s_delay_alu instid0(VALU_DEP_1)
	v_mad_u32 v4, v1, s48, v4
	v_mad_u32 v5, v1, s49, v5
	;; [unrolled: 1-line block ×4, first 2 shown]
	s_cbranch_execz .LBB77_14
	s_branch .LBB77_16
.LBB77_11:
                                        ; implicit-def: $vgpr5
                                        ; implicit-def: $vgpr4
                                        ; implicit-def: $vgpr7
                                        ; implicit-def: $vgpr6
	s_branch .LBB77_14
.LBB77_12:
	v_dual_mov_b32 v5, 0 :: v_dual_mov_b32 v4, 0
	v_dual_mov_b32 v7, 0 :: v_dual_mov_b32 v6, 0
.LBB77_13:
	s_cbranch_execnz .LBB77_16
.LBB77_14:
	v_mov_b32_e32 v1, 0
	s_and_not1_b32 vcc_lo, exec_lo, s41
	s_delay_alu instid0(VALU_DEP_1) | instskip(NEXT) | instid1(VALU_DEP_1)
	v_mul_u64_e32 v[2:3], s[28:29], v[0:1]
	v_add_nc_u32_e32 v2, v0, v3
	s_delay_alu instid0(VALU_DEP_1) | instskip(NEXT) | instid1(VALU_DEP_1)
	v_lshrrev_b32_e32 v2, s22, v2
	v_mul_lo_u32 v3, v2, s20
	s_delay_alu instid0(VALU_DEP_1) | instskip(NEXT) | instid1(VALU_DEP_1)
	v_sub_nc_u32_e32 v3, v0, v3
	v_mul_lo_u32 v5, v3, s9
	v_mul_lo_u32 v4, v3, s8
	;; [unrolled: 1-line block ×4, first 2 shown]
	s_cbranch_vccnz .LBB77_16
; %bb.15:
	v_mov_b32_e32 v3, v1
	s_delay_alu instid0(VALU_DEP_1) | instskip(NEXT) | instid1(VALU_DEP_1)
	v_mul_u64_e32 v[8:9], s[30:31], v[2:3]
	v_add_nc_u32_e32 v1, v2, v9
	s_delay_alu instid0(VALU_DEP_1) | instskip(NEXT) | instid1(VALU_DEP_1)
	v_lshrrev_b32_e32 v1, s27, v1
	v_mul_lo_u32 v1, v1, s23
	s_delay_alu instid0(VALU_DEP_1) | instskip(NEXT) | instid1(VALU_DEP_1)
	v_sub_nc_u32_e32 v1, v2, v1
	v_mad_u32 v4, v1, s12, v4
	v_mad_u32 v5, v1, s13, v5
	;; [unrolled: 1-line block ×4, first 2 shown]
.LBB77_16:
	global_load_b64 v[2:3], v5, s[2:3]
	global_load_b64 v[8:9], v6, s[4:5]
	global_load_b64 v[10:11], v7, s[6:7]
	v_add_nc_u32_e32 v0, 0x80, v0
	s_wait_loadcnt 0x2
	v_mul_u64_e32 v[2:3], s[16:17], v[2:3]
	s_wait_loadcnt 0x1
	s_wait_xcnt 0x0
	v_mul_u64_e32 v[6:7], s[18:19], v[8:9]
	s_wait_loadcnt 0x0
	s_delay_alu instid0(VALU_DEP_1) | instskip(NEXT) | instid1(VALU_DEP_1)
	v_mad_nc_u64_u32 v[2:3], v6, v10, v[2:3]
	v_mad_u32 v1, v7, v10, v3
	s_delay_alu instid0(VALU_DEP_1) | instskip(SKIP_3) | instid1(SALU_CYCLE_1)
	v_mad_u32 v3, v6, v11, v1
	global_store_b64 v4, v[2:3], s[0:1]
	s_wait_xcnt 0x0
	s_or_b32 exec_lo, exec_lo, s21
	s_mov_b32 s21, exec_lo
	v_cmpx_gt_i32_e64 s43, v0
	s_cbranch_execz .LBB77_3
.LBB77_17:
	s_and_not1_b32 vcc_lo, exec_lo, s39
	s_cbranch_vccnz .LBB77_23
; %bb.18:
	s_and_not1_b32 vcc_lo, exec_lo, s44
	s_cbranch_vccnz .LBB77_24
; %bb.19:
	v_dual_mov_b32 v5, 0 :: v_dual_mov_b32 v1, v0
	v_dual_mov_b32 v7, 0 :: v_dual_mov_b32 v4, 0
	v_mov_b32_e32 v6, 0
	s_add_co_i32 s26, s42, 1
	s_mov_b64 s[34:35], 0xffffffffffffffe0
	s_and_b32 s26, s26, 30
	s_add_nc_u64 s[34:35], s[24:25], s[34:35]
	s_mov_b64 s[36:37], s[24:25]
.LBB77_20:                              ; =>This Inner Loop Header: Depth=1
	s_clause 0x1
	s_load_b128 s[56:59], s[36:37], 0x4
	s_load_b64 s[46:47], s[36:37], 0x14
	s_load_b256 s[48:55], s[34:35], 0xe4
	s_add_co_i32 s26, s26, -2
	s_wait_xcnt 0x0
	s_add_nc_u64 s[36:37], s[36:37], 24
	s_cmp_eq_u32 s26, 0
	s_add_nc_u64 s[34:35], s[34:35], 32
	s_wait_kmcnt 0x0
	v_mul_hi_u32 v2, s57, v1
	s_delay_alu instid0(VALU_DEP_1) | instskip(NEXT) | instid1(VALU_DEP_1)
	v_add_nc_u32_e32 v2, v1, v2
	v_lshrrev_b32_e32 v2, s58, v2
	s_delay_alu instid0(VALU_DEP_1) | instskip(SKIP_1) | instid1(VALU_DEP_1)
	v_mul_hi_u32 v3, s46, v2
	v_mul_lo_u32 v8, v2, s56
	v_dual_add_nc_u32 v3, v2, v3 :: v_dual_sub_nc_u32 v8, v1, v8
	s_delay_alu instid0(VALU_DEP_1) | instskip(NEXT) | instid1(VALU_DEP_2)
	v_lshrrev_b32_e32 v1, s47, v3
	v_mad_u32 v6, v8, s49, v6
	v_mad_u32 v4, v8, s48, v4
	v_mad_u32 v7, v8, s51, v7
	v_mad_u32 v5, v8, s50, v5
	v_mul_lo_u32 v3, v1, s59
	s_delay_alu instid0(VALU_DEP_1) | instskip(NEXT) | instid1(VALU_DEP_1)
	v_sub_nc_u32_e32 v2, v2, v3
	v_mad_u32 v6, v2, s53, v6
	v_mad_u32 v4, v2, s52, v4
	;; [unrolled: 1-line block ×4, first 2 shown]
	s_cbranch_scc0 .LBB77_20
; %bb.21:
	s_bitcmp1_b32 s42, 0
	s_cselect_b32 s26, -1, 0
	s_delay_alu instid0(SALU_CYCLE_1)
	s_and_b32 vcc_lo, exec_lo, s26
	s_cbranch_vccnz .LBB77_25
; %bb.22:
	s_load_b96 s[52:54], s[36:37], 0x4
	s_load_b128 s[48:51], s[34:35], 0xe4
	s_wait_kmcnt 0x0
	v_mul_hi_u32 v2, s53, v1
	s_delay_alu instid0(VALU_DEP_1) | instskip(NEXT) | instid1(VALU_DEP_1)
	v_add_nc_u32_e32 v2, v1, v2
	v_lshrrev_b32_e32 v2, s54, v2
	s_delay_alu instid0(VALU_DEP_1) | instskip(NEXT) | instid1(VALU_DEP_1)
	v_mul_lo_u32 v2, v2, s52
	v_sub_nc_u32_e32 v1, v1, v2
	s_delay_alu instid0(VALU_DEP_1)
	v_mad_u32 v4, v1, s48, v4
	v_mad_u32 v6, v1, s49, v6
	;; [unrolled: 1-line block ×4, first 2 shown]
	s_branch .LBB77_25
.LBB77_23:
                                        ; implicit-def: $vgpr6
                                        ; implicit-def: $vgpr4
                                        ; implicit-def: $vgpr7
                                        ; implicit-def: $vgpr5
	s_branch .LBB77_26
.LBB77_24:
	v_dual_mov_b32 v6, 0 :: v_dual_mov_b32 v4, 0
	v_dual_mov_b32 v7, 0 :: v_dual_mov_b32 v5, 0
.LBB77_25:
	s_cbranch_execnz .LBB77_28
.LBB77_26:
	v_mov_b32_e32 v1, 0
	s_and_not1_b32 vcc_lo, exec_lo, s41
	s_delay_alu instid0(VALU_DEP_1) | instskip(NEXT) | instid1(VALU_DEP_1)
	v_mul_u64_e32 v[2:3], s[28:29], v[0:1]
	v_add_nc_u32_e32 v2, v0, v3
	s_delay_alu instid0(VALU_DEP_1) | instskip(NEXT) | instid1(VALU_DEP_1)
	v_lshrrev_b32_e32 v2, s22, v2
	v_mul_lo_u32 v3, v2, s20
	s_delay_alu instid0(VALU_DEP_1) | instskip(NEXT) | instid1(VALU_DEP_1)
	v_sub_nc_u32_e32 v3, v0, v3
	v_mul_lo_u32 v6, v3, s9
	v_mul_lo_u32 v4, v3, s8
	;; [unrolled: 1-line block ×4, first 2 shown]
	s_cbranch_vccnz .LBB77_28
; %bb.27:
	v_mov_b32_e32 v3, v1
	s_delay_alu instid0(VALU_DEP_1) | instskip(NEXT) | instid1(VALU_DEP_1)
	v_mul_u64_e32 v[8:9], s[30:31], v[2:3]
	v_add_nc_u32_e32 v1, v2, v9
	s_delay_alu instid0(VALU_DEP_1) | instskip(NEXT) | instid1(VALU_DEP_1)
	v_lshrrev_b32_e32 v1, s27, v1
	v_mul_lo_u32 v1, v1, s23
	s_delay_alu instid0(VALU_DEP_1) | instskip(NEXT) | instid1(VALU_DEP_1)
	v_sub_nc_u32_e32 v1, v2, v1
	v_mad_u32 v4, v1, s12, v4
	v_mad_u32 v6, v1, s13, v6
	;; [unrolled: 1-line block ×4, first 2 shown]
.LBB77_28:
	global_load_b64 v[2:3], v6, s[2:3]
	global_load_b64 v[8:9], v5, s[4:5]
	;; [unrolled: 1-line block ×3, first 2 shown]
	v_add_nc_u32_e32 v0, 0x80, v0
	s_wait_loadcnt 0x2
	v_mul_u64_e32 v[2:3], s[16:17], v[2:3]
	s_wait_loadcnt 0x1
	s_wait_xcnt 0x0
	v_mul_u64_e32 v[6:7], s[18:19], v[8:9]
	s_wait_loadcnt 0x0
	s_delay_alu instid0(VALU_DEP_1) | instskip(NEXT) | instid1(VALU_DEP_1)
	v_mad_nc_u64_u32 v[2:3], v6, v10, v[2:3]
	v_mad_u32 v1, v7, v10, v3
	s_delay_alu instid0(VALU_DEP_1) | instskip(SKIP_3) | instid1(SALU_CYCLE_1)
	v_mad_u32 v3, v6, v11, v1
	global_store_b64 v4, v[2:3], s[0:1]
	s_wait_xcnt 0x0
	s_or_b32 exec_lo, exec_lo, s21
	s_mov_b32 s21, exec_lo
	v_cmpx_gt_i32_e64 s43, v0
	s_cbranch_execz .LBB77_4
.LBB77_29:
	s_and_not1_b32 vcc_lo, exec_lo, s39
	s_cbranch_vccnz .LBB77_35
; %bb.30:
	s_and_not1_b32 vcc_lo, exec_lo, s44
	s_cbranch_vccnz .LBB77_36
; %bb.31:
	v_dual_mov_b32 v6, 0 :: v_dual_mov_b32 v1, v0
	v_dual_mov_b32 v7, 0 :: v_dual_mov_b32 v4, 0
	v_mov_b32_e32 v5, 0
	s_add_co_i32 s26, s42, 1
	s_mov_b64 s[34:35], 0xffffffffffffffe0
	s_and_b32 s26, s26, 30
	s_add_nc_u64 s[34:35], s[24:25], s[34:35]
	s_mov_b64 s[36:37], s[24:25]
.LBB77_32:                              ; =>This Inner Loop Header: Depth=1
	s_clause 0x1
	s_load_b128 s[56:59], s[36:37], 0x4
	s_load_b64 s[46:47], s[36:37], 0x14
	s_load_b256 s[48:55], s[34:35], 0xe4
	s_add_co_i32 s26, s26, -2
	s_wait_xcnt 0x0
	s_add_nc_u64 s[36:37], s[36:37], 24
	s_cmp_eq_u32 s26, 0
	s_add_nc_u64 s[34:35], s[34:35], 32
	s_wait_kmcnt 0x0
	v_mul_hi_u32 v2, s57, v1
	s_delay_alu instid0(VALU_DEP_1) | instskip(NEXT) | instid1(VALU_DEP_1)
	v_add_nc_u32_e32 v2, v1, v2
	v_lshrrev_b32_e32 v2, s58, v2
	s_delay_alu instid0(VALU_DEP_1) | instskip(SKIP_1) | instid1(VALU_DEP_1)
	v_mul_hi_u32 v3, s46, v2
	v_mul_lo_u32 v8, v2, s56
	v_dual_add_nc_u32 v3, v2, v3 :: v_dual_sub_nc_u32 v8, v1, v8
	s_delay_alu instid0(VALU_DEP_1) | instskip(NEXT) | instid1(VALU_DEP_2)
	v_lshrrev_b32_e32 v1, s47, v3
	v_mad_u32 v5, v8, s49, v5
	v_mad_u32 v4, v8, s48, v4
	;; [unrolled: 1-line block ×4, first 2 shown]
	v_mul_lo_u32 v3, v1, s59
	s_delay_alu instid0(VALU_DEP_1) | instskip(NEXT) | instid1(VALU_DEP_1)
	v_sub_nc_u32_e32 v2, v2, v3
	v_mad_u32 v5, v2, s53, v5
	v_mad_u32 v4, v2, s52, v4
	v_mad_u32 v7, v2, s55, v7
	v_mad_u32 v6, v2, s54, v6
	s_cbranch_scc0 .LBB77_32
; %bb.33:
	s_bitcmp1_b32 s42, 0
	s_cselect_b32 s26, -1, 0
	s_delay_alu instid0(SALU_CYCLE_1)
	s_and_b32 vcc_lo, exec_lo, s26
	s_cbranch_vccnz .LBB77_37
; %bb.34:
	s_load_b96 s[52:54], s[36:37], 0x4
	s_load_b128 s[48:51], s[34:35], 0xe4
	s_wait_kmcnt 0x0
	v_mul_hi_u32 v2, s53, v1
	s_delay_alu instid0(VALU_DEP_1) | instskip(NEXT) | instid1(VALU_DEP_1)
	v_add_nc_u32_e32 v2, v1, v2
	v_lshrrev_b32_e32 v2, s54, v2
	s_delay_alu instid0(VALU_DEP_1) | instskip(NEXT) | instid1(VALU_DEP_1)
	v_mul_lo_u32 v2, v2, s52
	v_sub_nc_u32_e32 v1, v1, v2
	s_delay_alu instid0(VALU_DEP_1)
	v_mad_u32 v4, v1, s48, v4
	v_mad_u32 v5, v1, s49, v5
	;; [unrolled: 1-line block ×4, first 2 shown]
	s_branch .LBB77_37
.LBB77_35:
                                        ; implicit-def: $vgpr5
                                        ; implicit-def: $vgpr4
                                        ; implicit-def: $vgpr7
                                        ; implicit-def: $vgpr6
	s_branch .LBB77_38
.LBB77_36:
	v_dual_mov_b32 v5, 0 :: v_dual_mov_b32 v4, 0
	v_dual_mov_b32 v7, 0 :: v_dual_mov_b32 v6, 0
.LBB77_37:
	s_cbranch_execnz .LBB77_40
.LBB77_38:
	v_mov_b32_e32 v1, 0
	s_and_not1_b32 vcc_lo, exec_lo, s41
	s_delay_alu instid0(VALU_DEP_1) | instskip(NEXT) | instid1(VALU_DEP_1)
	v_mul_u64_e32 v[2:3], s[28:29], v[0:1]
	v_add_nc_u32_e32 v2, v0, v3
	s_delay_alu instid0(VALU_DEP_1) | instskip(NEXT) | instid1(VALU_DEP_1)
	v_lshrrev_b32_e32 v2, s22, v2
	v_mul_lo_u32 v3, v2, s20
	s_delay_alu instid0(VALU_DEP_1) | instskip(NEXT) | instid1(VALU_DEP_1)
	v_sub_nc_u32_e32 v3, v0, v3
	v_mul_lo_u32 v5, v3, s9
	v_mul_lo_u32 v4, v3, s8
	;; [unrolled: 1-line block ×4, first 2 shown]
	s_cbranch_vccnz .LBB77_40
; %bb.39:
	v_mov_b32_e32 v3, v1
	s_delay_alu instid0(VALU_DEP_1) | instskip(NEXT) | instid1(VALU_DEP_1)
	v_mul_u64_e32 v[8:9], s[30:31], v[2:3]
	v_add_nc_u32_e32 v1, v2, v9
	s_delay_alu instid0(VALU_DEP_1) | instskip(NEXT) | instid1(VALU_DEP_1)
	v_lshrrev_b32_e32 v1, s27, v1
	v_mul_lo_u32 v1, v1, s23
	s_delay_alu instid0(VALU_DEP_1) | instskip(NEXT) | instid1(VALU_DEP_1)
	v_sub_nc_u32_e32 v1, v2, v1
	v_mad_u32 v4, v1, s12, v4
	v_mad_u32 v5, v1, s13, v5
	;; [unrolled: 1-line block ×4, first 2 shown]
.LBB77_40:
	global_load_b64 v[2:3], v5, s[2:3]
	global_load_b64 v[8:9], v6, s[4:5]
	;; [unrolled: 1-line block ×3, first 2 shown]
	v_add_nc_u32_e32 v0, 0x80, v0
	s_wait_loadcnt 0x2
	v_mul_u64_e32 v[2:3], s[16:17], v[2:3]
	s_wait_loadcnt 0x1
	s_wait_xcnt 0x0
	v_mul_u64_e32 v[6:7], s[18:19], v[8:9]
	s_wait_loadcnt 0x0
	s_delay_alu instid0(VALU_DEP_1) | instskip(NEXT) | instid1(VALU_DEP_1)
	v_mad_nc_u64_u32 v[2:3], v6, v10, v[2:3]
	v_mad_u32 v1, v7, v10, v3
	s_delay_alu instid0(VALU_DEP_1) | instskip(SKIP_3) | instid1(SALU_CYCLE_1)
	v_mad_u32 v3, v6, v11, v1
	global_store_b64 v4, v[2:3], s[0:1]
	s_wait_xcnt 0x0
	s_or_b32 exec_lo, exec_lo, s21
	s_mov_b32 s21, exec_lo
	v_cmpx_gt_i32_e64 s43, v0
	s_cbranch_execz .LBB77_53
.LBB77_41:
	s_and_not1_b32 vcc_lo, exec_lo, s39
	s_cbranch_vccnz .LBB77_47
; %bb.42:
	s_and_not1_b32 vcc_lo, exec_lo, s44
	s_cbranch_vccnz .LBB77_48
; %bb.43:
	v_dual_mov_b32 v5, 0 :: v_dual_mov_b32 v1, v0
	v_dual_mov_b32 v7, 0 :: v_dual_mov_b32 v4, 0
	v_mov_b32_e32 v6, 0
	s_add_co_i32 s26, s42, 1
	s_mov_b64 s[34:35], 0xffffffffffffffe0
	s_and_b32 s26, s26, 30
	s_add_nc_u64 s[34:35], s[24:25], s[34:35]
	s_mov_b64 s[36:37], s[24:25]
.LBB77_44:                              ; =>This Inner Loop Header: Depth=1
	s_clause 0x1
	s_load_b128 s[52:55], s[36:37], 0x4
	s_load_b64 s[56:57], s[36:37], 0x14
	s_load_b256 s[44:51], s[34:35], 0xe4
	s_add_co_i32 s26, s26, -2
	s_wait_xcnt 0x0
	s_add_nc_u64 s[36:37], s[36:37], 24
	s_cmp_eq_u32 s26, 0
	s_add_nc_u64 s[34:35], s[34:35], 32
	s_wait_kmcnt 0x0
	v_mul_hi_u32 v2, s53, v1
	s_delay_alu instid0(VALU_DEP_1) | instskip(NEXT) | instid1(VALU_DEP_1)
	v_add_nc_u32_e32 v2, v1, v2
	v_lshrrev_b32_e32 v2, s54, v2
	s_delay_alu instid0(VALU_DEP_1) | instskip(SKIP_1) | instid1(VALU_DEP_1)
	v_mul_hi_u32 v3, s56, v2
	v_mul_lo_u32 v8, v2, s52
	v_dual_add_nc_u32 v3, v2, v3 :: v_dual_sub_nc_u32 v8, v1, v8
	s_delay_alu instid0(VALU_DEP_1) | instskip(NEXT) | instid1(VALU_DEP_2)
	v_lshrrev_b32_e32 v1, s57, v3
	v_mad_u32 v6, v8, s45, v6
	v_mad_u32 v4, v8, s44, v4
	;; [unrolled: 1-line block ×4, first 2 shown]
	v_mul_lo_u32 v3, v1, s55
	s_delay_alu instid0(VALU_DEP_1) | instskip(NEXT) | instid1(VALU_DEP_1)
	v_sub_nc_u32_e32 v2, v2, v3
	v_mad_u32 v6, v2, s49, v6
	v_mad_u32 v4, v2, s48, v4
	;; [unrolled: 1-line block ×4, first 2 shown]
	s_cbranch_scc0 .LBB77_44
; %bb.45:
	s_bitcmp1_b32 s42, 0
	s_cselect_b32 s26, -1, 0
	s_delay_alu instid0(SALU_CYCLE_1)
	s_and_b32 vcc_lo, exec_lo, s26
	s_cbranch_vccnz .LBB77_49
; %bb.46:
	s_load_b96 s[48:50], s[36:37], 0x4
	s_load_b128 s[44:47], s[34:35], 0xe4
	s_wait_kmcnt 0x0
	v_mul_hi_u32 v2, s49, v1
	s_delay_alu instid0(VALU_DEP_1) | instskip(NEXT) | instid1(VALU_DEP_1)
	v_add_nc_u32_e32 v2, v1, v2
	v_lshrrev_b32_e32 v2, s50, v2
	s_delay_alu instid0(VALU_DEP_1) | instskip(NEXT) | instid1(VALU_DEP_1)
	v_mul_lo_u32 v2, v2, s48
	v_sub_nc_u32_e32 v1, v1, v2
	s_delay_alu instid0(VALU_DEP_1)
	v_mad_u32 v4, v1, s44, v4
	v_mad_u32 v6, v1, s45, v6
	;; [unrolled: 1-line block ×4, first 2 shown]
	s_branch .LBB77_49
.LBB77_47:
                                        ; implicit-def: $vgpr6
                                        ; implicit-def: $vgpr4
                                        ; implicit-def: $vgpr7
                                        ; implicit-def: $vgpr5
	s_branch .LBB77_50
.LBB77_48:
	v_dual_mov_b32 v6, 0 :: v_dual_mov_b32 v4, 0
	v_dual_mov_b32 v7, 0 :: v_dual_mov_b32 v5, 0
.LBB77_49:
	s_cbranch_execnz .LBB77_52
.LBB77_50:
	v_mov_b32_e32 v1, 0
	s_and_not1_b32 vcc_lo, exec_lo, s41
	s_delay_alu instid0(VALU_DEP_1) | instskip(NEXT) | instid1(VALU_DEP_1)
	v_mul_u64_e32 v[2:3], s[28:29], v[0:1]
	v_add_nc_u32_e32 v2, v0, v3
	s_delay_alu instid0(VALU_DEP_1) | instskip(NEXT) | instid1(VALU_DEP_1)
	v_lshrrev_b32_e32 v2, s22, v2
	v_mul_lo_u32 v3, v2, s20
	s_delay_alu instid0(VALU_DEP_1) | instskip(NEXT) | instid1(VALU_DEP_1)
	v_sub_nc_u32_e32 v0, v0, v3
	v_mul_lo_u32 v6, v0, s9
	v_mul_lo_u32 v4, v0, s8
	;; [unrolled: 1-line block ×4, first 2 shown]
	s_cbranch_vccnz .LBB77_52
; %bb.51:
	v_mov_b32_e32 v3, v1
	s_delay_alu instid0(VALU_DEP_1) | instskip(NEXT) | instid1(VALU_DEP_1)
	v_mul_u64_e32 v[0:1], s[30:31], v[2:3]
	v_add_nc_u32_e32 v0, v2, v1
	s_delay_alu instid0(VALU_DEP_1) | instskip(NEXT) | instid1(VALU_DEP_1)
	v_lshrrev_b32_e32 v0, s27, v0
	v_mul_lo_u32 v0, v0, s23
	s_delay_alu instid0(VALU_DEP_1) | instskip(NEXT) | instid1(VALU_DEP_1)
	v_sub_nc_u32_e32 v0, v2, v0
	v_mad_u32 v4, v0, s12, v4
	v_mad_u32 v6, v0, s13, v6
	;; [unrolled: 1-line block ×4, first 2 shown]
.LBB77_52:
	global_load_b64 v[0:1], v6, s[2:3]
	global_load_b64 v[2:3], v5, s[4:5]
	;; [unrolled: 1-line block ×3, first 2 shown]
	s_wait_loadcnt 0x2
	v_mul_u64_e32 v[0:1], s[16:17], v[0:1]
	s_wait_loadcnt 0x1
	v_mul_u64_e32 v[2:3], s[18:19], v[2:3]
	s_wait_loadcnt 0x0
	s_delay_alu instid0(VALU_DEP_1) | instskip(NEXT) | instid1(VALU_DEP_1)
	v_mad_nc_u64_u32 v[0:1], v2, v8, v[0:1]
	v_mad_u32 v1, v3, v8, v1
	s_delay_alu instid0(VALU_DEP_1)
	v_mad_u32 v1, v2, v9, v1
	global_store_b64 v4, v[0:1], s[0:1]
.LBB77_53:
	s_wait_xcnt 0x0
	s_or_b32 exec_lo, exec_lo, s21
                                        ; implicit-def: $vgpr5
                                        ; implicit-def: $vgpr0
.LBB77_54:
	s_and_not1_saveexec_b32 s0, s40
	s_cbranch_execz .LBB77_61
; %bb.55:
	v_cndmask_b32_e64 v10, 0, 1, s39
	s_and_not1_b32 vcc_lo, exec_lo, s39
	s_cbranch_vccnz .LBB77_62
; %bb.56:
	s_cmp_lg_u32 s33, 0
	s_mov_b32 s4, 0
	s_cbranch_scc0 .LBB77_66
; %bb.57:
	s_min_u32 s5, s38, 15
	v_dual_mov_b32 v2, 0 :: v_dual_mov_b32 v6, v0
	v_dual_mov_b32 v4, 0 :: v_dual_mov_b32 v1, 0
	v_mov_b32_e32 v3, 0
	s_add_co_i32 s2, s5, 1
	s_mov_b64 s[0:1], 0xffffffffffffffe0
	s_and_b32 s6, s2, 30
	s_add_nc_u64 s[0:1], s[24:25], s[0:1]
	s_mov_b64 s[2:3], s[24:25]
.LBB77_58:                              ; =>This Inner Loop Header: Depth=1
	s_clause 0x1
	s_load_b128 s[16:19], s[2:3], 0x4
	s_load_b64 s[20:21], s[2:3], 0x14
	s_load_b256 s[8:15], s[0:1], 0xe4
	s_add_co_i32 s6, s6, -2
	s_wait_xcnt 0x0
	s_add_nc_u64 s[2:3], s[2:3], 24
	s_cmp_lg_u32 s6, 0
	s_add_nc_u64 s[0:1], s[0:1], 32
	s_wait_kmcnt 0x0
	v_mul_hi_u32 v7, s17, v6
	s_delay_alu instid0(VALU_DEP_1) | instskip(NEXT) | instid1(VALU_DEP_1)
	v_add_nc_u32_e32 v7, v6, v7
	v_lshrrev_b32_e32 v7, s18, v7
	s_delay_alu instid0(VALU_DEP_1) | instskip(SKIP_1) | instid1(VALU_DEP_1)
	v_mul_hi_u32 v8, s20, v7
	v_mul_lo_u32 v9, v7, s16
	v_dual_add_nc_u32 v8, v7, v8 :: v_dual_sub_nc_u32 v9, v6, v9
	s_delay_alu instid0(VALU_DEP_1) | instskip(NEXT) | instid1(VALU_DEP_2)
	v_lshrrev_b32_e32 v6, s21, v8
	v_mad_u32 v3, v9, s9, v3
	v_mad_u32 v1, v9, s8, v1
	;; [unrolled: 1-line block ×4, first 2 shown]
	v_mul_lo_u32 v8, v6, s19
	s_delay_alu instid0(VALU_DEP_1) | instskip(NEXT) | instid1(VALU_DEP_1)
	v_sub_nc_u32_e32 v7, v7, v8
	v_mad_u32 v3, v7, s13, v3
	v_mad_u32 v1, v7, s12, v1
	;; [unrolled: 1-line block ×4, first 2 shown]
	s_cbranch_scc1 .LBB77_58
; %bb.59:
	s_bitcmp1_b32 s5, 0
	s_cselect_b32 s5, -1, 0
	s_delay_alu instid0(SALU_CYCLE_1)
	s_and_b32 vcc_lo, exec_lo, s5
	s_cbranch_vccnz .LBB77_63
; %bb.60:
	s_load_b96 s[12:14], s[2:3], 0x4
	s_load_b128 s[8:11], s[0:1], 0xe4
	s_wait_kmcnt 0x0
	v_mul_hi_u32 v7, s13, v6
	s_delay_alu instid0(VALU_DEP_1) | instskip(NEXT) | instid1(VALU_DEP_1)
	v_add_nc_u32_e32 v7, v6, v7
	v_lshrrev_b32_e32 v7, s14, v7
	s_delay_alu instid0(VALU_DEP_1) | instskip(NEXT) | instid1(VALU_DEP_1)
	v_mul_lo_u32 v7, v7, s12
	v_sub_nc_u32_e32 v6, v6, v7
	s_delay_alu instid0(VALU_DEP_1)
	v_mad_u32 v1, v6, s8, v1
	v_mad_u32 v3, v6, s9, v3
	;; [unrolled: 1-line block ×4, first 2 shown]
	s_and_not1_b32 vcc_lo, exec_lo, s4
	s_cbranch_vccz .LBB77_64
	s_branch .LBB77_67
.LBB77_61:
	s_endpgm
.LBB77_62:
	s_mov_b32 s4, -1
                                        ; implicit-def: $vgpr3
                                        ; implicit-def: $vgpr1
                                        ; implicit-def: $vgpr4
                                        ; implicit-def: $vgpr2
.LBB77_63:
	s_delay_alu instid0(SALU_CYCLE_1)
	s_and_not1_b32 vcc_lo, exec_lo, s4
	s_cbranch_vccnz .LBB77_67
.LBB77_64:
	s_clause 0x1
	s_load_b96 s[4:6], s[24:25], 0x4
	s_load_b128 s[0:3], s[24:25], 0xc4
	s_cmp_lt_u32 s33, 2
	s_wait_kmcnt 0x0
	v_mul_hi_u32 v1, s5, v0
	s_delay_alu instid0(VALU_DEP_1) | instskip(NEXT) | instid1(VALU_DEP_1)
	v_add_nc_u32_e32 v1, v0, v1
	v_lshrrev_b32_e32 v6, s6, v1
	s_delay_alu instid0(VALU_DEP_1) | instskip(NEXT) | instid1(VALU_DEP_1)
	v_mul_lo_u32 v1, v6, s4
	v_sub_nc_u32_e32 v2, v0, v1
	s_delay_alu instid0(VALU_DEP_1)
	v_mul_lo_u32 v3, v2, s1
	v_mul_lo_u32 v1, v2, s0
	;; [unrolled: 1-line block ×4, first 2 shown]
	s_cbranch_scc1 .LBB77_67
; %bb.65:
	s_clause 0x1
	s_load_b96 s[4:6], s[24:25], 0x10
	s_load_b128 s[0:3], s[24:25], 0xd4
	s_wait_kmcnt 0x0
	v_mul_hi_u32 v7, s5, v6
	s_delay_alu instid0(VALU_DEP_1) | instskip(NEXT) | instid1(VALU_DEP_1)
	v_add_nc_u32_e32 v7, v6, v7
	v_lshrrev_b32_e32 v7, s6, v7
	s_delay_alu instid0(VALU_DEP_1) | instskip(NEXT) | instid1(VALU_DEP_1)
	v_mul_lo_u32 v7, v7, s4
	v_sub_nc_u32_e32 v6, v6, v7
	s_delay_alu instid0(VALU_DEP_1)
	v_mad_u32 v1, v6, s0, v1
	v_mad_u32 v3, v6, s1, v3
	;; [unrolled: 1-line block ×4, first 2 shown]
	s_branch .LBB77_67
.LBB77_66:
	v_dual_mov_b32 v3, 0 :: v_dual_mov_b32 v1, 0
	v_dual_mov_b32 v4, 0 :: v_dual_mov_b32 v2, 0
	s_and_not1_b32 vcc_lo, exec_lo, s4
	s_cbranch_vccz .LBB77_64
.LBB77_67:
	v_cmp_ne_u32_e32 vcc_lo, 1, v10
	v_add_nc_u32_e32 v11, 0x80, v0
	s_cbranch_vccnz .LBB77_73
; %bb.68:
	s_cmp_lg_u32 s33, 0
	s_mov_b32 s4, 0
	s_cbranch_scc0 .LBB77_77
; %bb.69:
	s_min_u32 s5, s38, 15
	v_dual_mov_b32 v9, 0 :: v_dual_mov_b32 v12, v11
	v_dual_mov_b32 v8, 0 :: v_dual_mov_b32 v6, 0
	v_mov_b32_e32 v7, 0
	s_add_co_i32 s2, s5, 1
	s_mov_b64 s[0:1], 0xffffffffffffffe0
	s_and_b32 s6, s2, 30
	s_add_nc_u64 s[0:1], s[24:25], s[0:1]
	s_mov_b64 s[2:3], s[24:25]
.LBB77_70:                              ; =>This Inner Loop Header: Depth=1
	s_clause 0x1
	s_load_b128 s[16:19], s[2:3], 0x4
	s_load_b64 s[20:21], s[2:3], 0x14
	s_load_b256 s[8:15], s[0:1], 0xe4
	s_add_co_i32 s6, s6, -2
	s_wait_xcnt 0x0
	s_add_nc_u64 s[2:3], s[2:3], 24
	s_cmp_lg_u32 s6, 0
	s_add_nc_u64 s[0:1], s[0:1], 32
	s_wait_kmcnt 0x0
	v_mul_hi_u32 v13, s17, v12
	s_delay_alu instid0(VALU_DEP_1) | instskip(NEXT) | instid1(VALU_DEP_1)
	v_add_nc_u32_e32 v13, v12, v13
	v_lshrrev_b32_e32 v13, s18, v13
	s_delay_alu instid0(VALU_DEP_1) | instskip(SKIP_1) | instid1(VALU_DEP_1)
	v_mul_hi_u32 v14, s20, v13
	v_mul_lo_u32 v15, v13, s16
	v_dual_add_nc_u32 v14, v13, v14 :: v_dual_sub_nc_u32 v15, v12, v15
	s_delay_alu instid0(VALU_DEP_1) | instskip(NEXT) | instid1(VALU_DEP_2)
	v_lshrrev_b32_e32 v12, s21, v14
	v_mad_u32 v7, v15, s9, v7
	v_mad_u32 v6, v15, s8, v6
	;; [unrolled: 1-line block ×4, first 2 shown]
	v_mul_lo_u32 v14, v12, s19
	s_delay_alu instid0(VALU_DEP_1) | instskip(NEXT) | instid1(VALU_DEP_1)
	v_sub_nc_u32_e32 v13, v13, v14
	v_mad_u32 v7, v13, s13, v7
	v_mad_u32 v6, v13, s12, v6
	;; [unrolled: 1-line block ×4, first 2 shown]
	s_cbranch_scc1 .LBB77_70
; %bb.71:
	s_bitcmp1_b32 s5, 0
	s_cselect_b32 s5, -1, 0
	s_delay_alu instid0(SALU_CYCLE_1)
	s_and_b32 vcc_lo, exec_lo, s5
	s_cbranch_vccnz .LBB77_74
; %bb.72:
	s_load_b96 s[12:14], s[2:3], 0x4
	s_load_b128 s[8:11], s[0:1], 0xe4
	s_wait_kmcnt 0x0
	v_mul_hi_u32 v13, s13, v12
	s_delay_alu instid0(VALU_DEP_1) | instskip(NEXT) | instid1(VALU_DEP_1)
	v_add_nc_u32_e32 v13, v12, v13
	v_lshrrev_b32_e32 v13, s14, v13
	s_delay_alu instid0(VALU_DEP_1) | instskip(NEXT) | instid1(VALU_DEP_1)
	v_mul_lo_u32 v13, v13, s12
	v_sub_nc_u32_e32 v12, v12, v13
	s_delay_alu instid0(VALU_DEP_1)
	v_mad_u32 v6, v12, s8, v6
	v_mad_u32 v7, v12, s9, v7
	v_mad_u32 v9, v12, s10, v9
	v_mad_u32 v8, v12, s11, v8
	s_and_not1_b32 vcc_lo, exec_lo, s4
	s_cbranch_vccz .LBB77_75
	s_branch .LBB77_78
.LBB77_73:
	s_mov_b32 s4, -1
                                        ; implicit-def: $vgpr7
                                        ; implicit-def: $vgpr6
                                        ; implicit-def: $vgpr8
                                        ; implicit-def: $vgpr9
.LBB77_74:
	s_delay_alu instid0(SALU_CYCLE_1)
	s_and_not1_b32 vcc_lo, exec_lo, s4
	s_cbranch_vccnz .LBB77_78
.LBB77_75:
	s_clause 0x1
	s_load_b96 s[4:6], s[24:25], 0x4
	s_load_b128 s[0:3], s[24:25], 0xc4
	s_cmp_lt_u32 s33, 2
	s_wait_kmcnt 0x0
	v_mul_hi_u32 v6, s5, v11
	s_delay_alu instid0(VALU_DEP_1) | instskip(NEXT) | instid1(VALU_DEP_1)
	v_add_nc_u32_e32 v6, v11, v6
	v_lshrrev_b32_e32 v12, s6, v6
	s_delay_alu instid0(VALU_DEP_1) | instskip(NEXT) | instid1(VALU_DEP_1)
	v_mul_lo_u32 v6, v12, s4
	v_sub_nc_u32_e32 v9, v11, v6
	s_delay_alu instid0(VALU_DEP_1)
	v_mul_lo_u32 v7, v9, s1
	v_mul_lo_u32 v6, v9, s0
	;; [unrolled: 1-line block ×4, first 2 shown]
	s_cbranch_scc1 .LBB77_78
; %bb.76:
	s_clause 0x1
	s_load_b96 s[4:6], s[24:25], 0x10
	s_load_b128 s[0:3], s[24:25], 0xd4
	s_wait_kmcnt 0x0
	v_mul_hi_u32 v11, s5, v12
	s_delay_alu instid0(VALU_DEP_1) | instskip(NEXT) | instid1(VALU_DEP_1)
	v_add_nc_u32_e32 v11, v12, v11
	v_lshrrev_b32_e32 v11, s6, v11
	s_delay_alu instid0(VALU_DEP_1) | instskip(NEXT) | instid1(VALU_DEP_1)
	v_mul_lo_u32 v11, v11, s4
	v_sub_nc_u32_e32 v11, v12, v11
	s_delay_alu instid0(VALU_DEP_1)
	v_mad_u32 v6, v11, s0, v6
	v_mad_u32 v7, v11, s1, v7
	;; [unrolled: 1-line block ×4, first 2 shown]
	s_branch .LBB77_78
.LBB77_77:
	v_dual_mov_b32 v7, 0 :: v_dual_mov_b32 v6, 0
	v_dual_mov_b32 v8, 0 :: v_dual_mov_b32 v9, 0
	s_and_not1_b32 vcc_lo, exec_lo, s4
	s_cbranch_vccz .LBB77_75
.LBB77_78:
	v_cmp_ne_u32_e32 vcc_lo, 1, v10
	v_add_nc_u32_e32 v14, 0x100, v0
	s_cbranch_vccnz .LBB77_84
; %bb.79:
	s_cmp_lg_u32 s33, 0
	s_mov_b32 s4, 0
	s_cbranch_scc0 .LBB77_88
; %bb.80:
	s_min_u32 s5, s38, 15
	v_dual_mov_b32 v13, 0 :: v_dual_mov_b32 v15, v14
	v_dual_mov_b32 v12, 0 :: v_dual_mov_b32 v0, 0
	v_mov_b32_e32 v11, 0
	s_add_co_i32 s2, s5, 1
	s_mov_b64 s[0:1], 0xffffffffffffffe0
	s_and_b32 s6, s2, 30
	s_add_nc_u64 s[0:1], s[24:25], s[0:1]
	s_mov_b64 s[2:3], s[24:25]
.LBB77_81:                              ; =>This Inner Loop Header: Depth=1
	s_clause 0x1
	s_load_b128 s[16:19], s[2:3], 0x4
	s_load_b64 s[20:21], s[2:3], 0x14
	s_load_b256 s[8:15], s[0:1], 0xe4
	s_add_co_i32 s6, s6, -2
	s_wait_xcnt 0x0
	s_add_nc_u64 s[2:3], s[2:3], 24
	s_cmp_lg_u32 s6, 0
	s_add_nc_u64 s[0:1], s[0:1], 32
	s_wait_kmcnt 0x0
	v_mul_hi_u32 v16, s17, v15
	s_delay_alu instid0(VALU_DEP_1) | instskip(NEXT) | instid1(VALU_DEP_1)
	v_add_nc_u32_e32 v16, v15, v16
	v_lshrrev_b32_e32 v16, s18, v16
	s_delay_alu instid0(VALU_DEP_1) | instskip(SKIP_1) | instid1(VALU_DEP_1)
	v_mul_hi_u32 v17, s20, v16
	v_mul_lo_u32 v18, v16, s16
	v_dual_add_nc_u32 v17, v16, v17 :: v_dual_sub_nc_u32 v18, v15, v18
	s_delay_alu instid0(VALU_DEP_1) | instskip(NEXT) | instid1(VALU_DEP_2)
	v_lshrrev_b32_e32 v15, s21, v17
	v_mad_u32 v11, v18, s9, v11
	v_mad_u32 v0, v18, s8, v0
	;; [unrolled: 1-line block ×4, first 2 shown]
	v_mul_lo_u32 v17, v15, s19
	s_delay_alu instid0(VALU_DEP_1) | instskip(NEXT) | instid1(VALU_DEP_1)
	v_sub_nc_u32_e32 v16, v16, v17
	v_mad_u32 v11, v16, s13, v11
	v_mad_u32 v0, v16, s12, v0
	;; [unrolled: 1-line block ×4, first 2 shown]
	s_cbranch_scc1 .LBB77_81
; %bb.82:
	s_bitcmp1_b32 s5, 0
	s_cselect_b32 s5, -1, 0
	s_delay_alu instid0(SALU_CYCLE_1)
	s_and_b32 vcc_lo, exec_lo, s5
	s_cbranch_vccnz .LBB77_85
; %bb.83:
	s_load_b96 s[12:14], s[2:3], 0x4
	s_load_b128 s[8:11], s[0:1], 0xe4
	s_wait_kmcnt 0x0
	v_mul_hi_u32 v16, s13, v15
	s_delay_alu instid0(VALU_DEP_1) | instskip(NEXT) | instid1(VALU_DEP_1)
	v_add_nc_u32_e32 v16, v15, v16
	v_lshrrev_b32_e32 v16, s14, v16
	s_delay_alu instid0(VALU_DEP_1) | instskip(NEXT) | instid1(VALU_DEP_1)
	v_mul_lo_u32 v16, v16, s12
	v_sub_nc_u32_e32 v15, v15, v16
	s_delay_alu instid0(VALU_DEP_1)
	v_mad_u32 v0, v15, s8, v0
	v_mad_u32 v11, v15, s9, v11
	;; [unrolled: 1-line block ×4, first 2 shown]
	s_and_not1_b32 vcc_lo, exec_lo, s4
	s_cbranch_vccz .LBB77_86
	s_branch .LBB77_89
.LBB77_84:
	s_mov_b32 s4, -1
                                        ; implicit-def: $vgpr11
                                        ; implicit-def: $vgpr0
                                        ; implicit-def: $vgpr12
                                        ; implicit-def: $vgpr13
.LBB77_85:
	s_delay_alu instid0(SALU_CYCLE_1)
	s_and_not1_b32 vcc_lo, exec_lo, s4
	s_cbranch_vccnz .LBB77_89
.LBB77_86:
	s_clause 0x1
	s_load_b96 s[4:6], s[24:25], 0x4
	s_load_b128 s[0:3], s[24:25], 0xc4
	s_cmp_lt_u32 s33, 2
	s_wait_kmcnt 0x0
	v_mul_hi_u32 v0, s5, v14
	s_delay_alu instid0(VALU_DEP_1) | instskip(NEXT) | instid1(VALU_DEP_1)
	v_add_nc_u32_e32 v0, v14, v0
	v_lshrrev_b32_e32 v15, s6, v0
	s_delay_alu instid0(VALU_DEP_1) | instskip(NEXT) | instid1(VALU_DEP_1)
	v_mul_lo_u32 v0, v15, s4
	v_sub_nc_u32_e32 v13, v14, v0
	s_delay_alu instid0(VALU_DEP_1)
	v_mul_lo_u32 v11, v13, s1
	v_mul_lo_u32 v0, v13, s0
	;; [unrolled: 1-line block ×4, first 2 shown]
	s_cbranch_scc1 .LBB77_89
; %bb.87:
	s_clause 0x1
	s_load_b96 s[4:6], s[24:25], 0x10
	s_load_b128 s[0:3], s[24:25], 0xd4
	s_wait_kmcnt 0x0
	v_mul_hi_u32 v14, s5, v15
	s_delay_alu instid0(VALU_DEP_1) | instskip(NEXT) | instid1(VALU_DEP_1)
	v_add_nc_u32_e32 v14, v15, v14
	v_lshrrev_b32_e32 v14, s6, v14
	s_delay_alu instid0(VALU_DEP_1) | instskip(NEXT) | instid1(VALU_DEP_1)
	v_mul_lo_u32 v14, v14, s4
	v_sub_nc_u32_e32 v14, v15, v14
	s_delay_alu instid0(VALU_DEP_1)
	v_mad_u32 v0, v14, s0, v0
	v_mad_u32 v11, v14, s1, v11
	;; [unrolled: 1-line block ×4, first 2 shown]
	s_branch .LBB77_89
.LBB77_88:
	v_dual_mov_b32 v11, 0 :: v_dual_mov_b32 v0, 0
	v_dual_mov_b32 v12, 0 :: v_dual_mov_b32 v13, 0
	s_and_not1_b32 vcc_lo, exec_lo, s4
	s_cbranch_vccz .LBB77_86
.LBB77_89:
	v_cmp_ne_u32_e32 vcc_lo, 1, v10
	s_cbranch_vccnz .LBB77_95
; %bb.90:
	s_cmp_lg_u32 s33, 0
	s_mov_b32 s4, 0
	s_cbranch_scc0 .LBB77_99
; %bb.91:
	s_min_u32 s5, s38, 15
	v_dual_mov_b32 v15, 0 :: v_dual_mov_b32 v17, v5
	v_dual_mov_b32 v16, 0 :: v_dual_mov_b32 v10, 0
	v_mov_b32_e32 v14, 0
	s_add_co_i32 s2, s5, 1
	s_mov_b64 s[0:1], 0xffffffffffffffe0
	s_and_b32 s6, s2, 30
	s_add_nc_u64 s[0:1], s[24:25], s[0:1]
	s_mov_b64 s[2:3], s[24:25]
.LBB77_92:                              ; =>This Inner Loop Header: Depth=1
	s_clause 0x1
	s_load_b128 s[16:19], s[2:3], 0x4
	s_load_b64 s[20:21], s[2:3], 0x14
	s_load_b256 s[8:15], s[0:1], 0xe4
	s_add_co_i32 s6, s6, -2
	s_wait_xcnt 0x0
	s_add_nc_u64 s[2:3], s[2:3], 24
	s_cmp_lg_u32 s6, 0
	s_add_nc_u64 s[0:1], s[0:1], 32
	s_wait_kmcnt 0x0
	v_mul_hi_u32 v18, s17, v17
	s_delay_alu instid0(VALU_DEP_1) | instskip(NEXT) | instid1(VALU_DEP_1)
	v_add_nc_u32_e32 v18, v17, v18
	v_lshrrev_b32_e32 v18, s18, v18
	s_delay_alu instid0(VALU_DEP_1) | instskip(SKIP_1) | instid1(VALU_DEP_1)
	v_mul_hi_u32 v19, s20, v18
	v_mul_lo_u32 v20, v18, s16
	v_dual_add_nc_u32 v19, v18, v19 :: v_dual_sub_nc_u32 v20, v17, v20
	s_delay_alu instid0(VALU_DEP_1) | instskip(NEXT) | instid1(VALU_DEP_2)
	v_lshrrev_b32_e32 v17, s21, v19
	v_mad_u32 v14, v20, s9, v14
	v_mad_u32 v10, v20, s8, v10
	;; [unrolled: 1-line block ×4, first 2 shown]
	v_mul_lo_u32 v19, v17, s19
	s_delay_alu instid0(VALU_DEP_1) | instskip(NEXT) | instid1(VALU_DEP_1)
	v_sub_nc_u32_e32 v18, v18, v19
	v_mad_u32 v14, v18, s13, v14
	v_mad_u32 v10, v18, s12, v10
	;; [unrolled: 1-line block ×4, first 2 shown]
	s_cbranch_scc1 .LBB77_92
; %bb.93:
	s_bitcmp1_b32 s5, 0
	s_cselect_b32 s5, -1, 0
	s_delay_alu instid0(SALU_CYCLE_1)
	s_and_b32 vcc_lo, exec_lo, s5
	s_cbranch_vccnz .LBB77_96
; %bb.94:
	s_load_b96 s[12:14], s[2:3], 0x4
	s_load_b128 s[8:11], s[0:1], 0xe4
	s_wait_kmcnt 0x0
	v_mul_hi_u32 v18, s13, v17
	s_delay_alu instid0(VALU_DEP_1) | instskip(NEXT) | instid1(VALU_DEP_1)
	v_add_nc_u32_e32 v18, v17, v18
	v_lshrrev_b32_e32 v18, s14, v18
	s_delay_alu instid0(VALU_DEP_1) | instskip(NEXT) | instid1(VALU_DEP_1)
	v_mul_lo_u32 v18, v18, s12
	v_sub_nc_u32_e32 v17, v17, v18
	s_delay_alu instid0(VALU_DEP_1)
	v_mad_u32 v10, v17, s8, v10
	v_mad_u32 v14, v17, s9, v14
	;; [unrolled: 1-line block ×4, first 2 shown]
	s_and_not1_b32 vcc_lo, exec_lo, s4
	s_cbranch_vccz .LBB77_97
	s_branch .LBB77_100
.LBB77_95:
	s_mov_b32 s4, -1
                                        ; implicit-def: $vgpr14
                                        ; implicit-def: $vgpr10
                                        ; implicit-def: $vgpr16
                                        ; implicit-def: $vgpr15
.LBB77_96:
	s_delay_alu instid0(SALU_CYCLE_1)
	s_and_not1_b32 vcc_lo, exec_lo, s4
	s_cbranch_vccnz .LBB77_100
.LBB77_97:
	s_clause 0x1
	s_load_b96 s[4:6], s[24:25], 0x4
	s_load_b128 s[0:3], s[24:25], 0xc4
	s_cmp_lt_u32 s33, 2
	s_wait_kmcnt 0x0
	v_mul_hi_u32 v10, s5, v5
	s_delay_alu instid0(VALU_DEP_1) | instskip(NEXT) | instid1(VALU_DEP_1)
	v_add_nc_u32_e32 v10, v5, v10
	v_lshrrev_b32_e32 v17, s6, v10
	s_delay_alu instid0(VALU_DEP_1) | instskip(NEXT) | instid1(VALU_DEP_1)
	v_mul_lo_u32 v10, v17, s4
	v_sub_nc_u32_e32 v5, v5, v10
	s_delay_alu instid0(VALU_DEP_1)
	v_mul_lo_u32 v14, v5, s1
	v_mul_lo_u32 v10, v5, s0
	;; [unrolled: 1-line block ×4, first 2 shown]
	s_cbranch_scc1 .LBB77_100
; %bb.98:
	s_clause 0x1
	s_load_b96 s[4:6], s[24:25], 0x10
	s_load_b128 s[0:3], s[24:25], 0xd4
	s_wait_kmcnt 0x0
	v_mul_hi_u32 v5, s5, v17
	s_delay_alu instid0(VALU_DEP_1) | instskip(NEXT) | instid1(VALU_DEP_1)
	v_add_nc_u32_e32 v5, v17, v5
	v_lshrrev_b32_e32 v5, s6, v5
	s_delay_alu instid0(VALU_DEP_1) | instskip(NEXT) | instid1(VALU_DEP_1)
	v_mul_lo_u32 v5, v5, s4
	v_sub_nc_u32_e32 v5, v17, v5
	s_delay_alu instid0(VALU_DEP_1)
	v_mad_u32 v10, v5, s0, v10
	v_mad_u32 v14, v5, s1, v14
	;; [unrolled: 1-line block ×4, first 2 shown]
	s_branch .LBB77_100
.LBB77_99:
	v_dual_mov_b32 v14, 0 :: v_dual_mov_b32 v10, 0
	v_dual_mov_b32 v16, 0 :: v_dual_mov_b32 v15, 0
	s_and_not1_b32 vcc_lo, exec_lo, s4
	s_cbranch_vccz .LBB77_97
.LBB77_100:
	s_load_b256 s[0:7], s[24:25], 0x1c8
	s_wait_kmcnt 0x0
	global_load_b64 v[18:19], v3, s[2:3]
	global_load_b64 v[20:21], v2, s[4:5]
	global_load_b64 v[22:23], v7, s[2:3]
	global_load_b64 v[24:25], v9, s[4:5]
	global_load_b64 v[26:27], v11, s[2:3]
	global_load_b64 v[28:29], v13, s[4:5]
	global_load_b64 v[30:31], v14, s[2:3]
	global_load_b64 v[32:33], v15, s[4:5]
	s_clause 0x3
	global_load_b64 v[34:35], v4, s[6:7]
	global_load_b64 v[36:37], v8, s[6:7]
	;; [unrolled: 1-line block ×4, first 2 shown]
	s_wait_xcnt 0x0
	s_load_b128 s[4:7], s[24:25], 0x1e8
	s_wait_loadcnt 0xb
	s_wait_kmcnt 0x0
	v_mul_u64_e32 v[2:3], s[4:5], v[18:19]
	s_wait_loadcnt 0xa
	v_mul_u64_e32 v[4:5], s[6:7], v[20:21]
	s_wait_loadcnt 0x9
	;; [unrolled: 2-line block ×8, first 2 shown]
	v_mad_nc_u64_u32 v[2:3], v4, v34, v[2:3]
	s_wait_loadcnt 0x2
	v_mad_nc_u64_u32 v[8:9], v12, v36, v[8:9]
	s_wait_loadcnt 0x1
	;; [unrolled: 2-line block ×3, first 2 shown]
	s_delay_alu instid0(VALU_DEP_4) | instskip(NEXT) | instid1(VALU_DEP_4)
	v_mad_nc_u64_u32 v[18:19], v20, v40, v[18:19]
	v_mad_u32 v3, v5, v34, v3
	s_delay_alu instid0(VALU_DEP_4) | instskip(NEXT) | instid1(VALU_DEP_4)
	v_mad_u32 v5, v13, v36, v9
	v_mad_u32 v7, v17, v38, v15
	s_delay_alu instid0(VALU_DEP_4) | instskip(NEXT) | instid1(VALU_DEP_4)
	v_mad_u32 v11, v21, v40, v19
	;; [unrolled: 3-line block ×3, first 2 shown]
	v_mad_u32 v15, v16, v39, v7
	s_delay_alu instid0(VALU_DEP_4)
	v_mad_u32 v19, v20, v41, v11
	s_clause 0x3
	global_store_b64 v1, v[2:3], s[0:1]
	global_store_b64 v6, v[8:9], s[0:1]
	;; [unrolled: 1-line block ×4, first 2 shown]
	s_endpgm
	.section	.rodata,"a",@progbits
	.p2align	6, 0x0
	.amdhsa_kernel _ZN2at6native32elementwise_kernel_manual_unrollILi128ELi4EZNS0_22gpu_kernel_impl_nocastIZZZNS0_12_GLOBAL__N_116addr_kernel_cudaERNS_14TensorIteratorERKN3c106ScalarES9_ENKUlvE_clEvENKUlvE2_clEvEUllllE0_EEvRNS_18TensorIteratorBaseERKT_EUlibE_EEviT1_
		.amdhsa_group_segment_fixed_size 0
		.amdhsa_private_segment_fixed_size 0
		.amdhsa_kernarg_size 512
		.amdhsa_user_sgpr_count 2
		.amdhsa_user_sgpr_dispatch_ptr 0
		.amdhsa_user_sgpr_queue_ptr 0
		.amdhsa_user_sgpr_kernarg_segment_ptr 1
		.amdhsa_user_sgpr_dispatch_id 0
		.amdhsa_user_sgpr_kernarg_preload_length 0
		.amdhsa_user_sgpr_kernarg_preload_offset 0
		.amdhsa_user_sgpr_private_segment_size 0
		.amdhsa_wavefront_size32 1
		.amdhsa_uses_dynamic_stack 0
		.amdhsa_enable_private_segment 0
		.amdhsa_system_sgpr_workgroup_id_x 1
		.amdhsa_system_sgpr_workgroup_id_y 0
		.amdhsa_system_sgpr_workgroup_id_z 0
		.amdhsa_system_sgpr_workgroup_info 0
		.amdhsa_system_vgpr_workitem_id 0
		.amdhsa_next_free_vgpr 42
		.amdhsa_next_free_sgpr 60
		.amdhsa_named_barrier_count 0
		.amdhsa_reserve_vcc 1
		.amdhsa_float_round_mode_32 0
		.amdhsa_float_round_mode_16_64 0
		.amdhsa_float_denorm_mode_32 3
		.amdhsa_float_denorm_mode_16_64 3
		.amdhsa_fp16_overflow 0
		.amdhsa_memory_ordered 1
		.amdhsa_forward_progress 1
		.amdhsa_inst_pref_size 48
		.amdhsa_round_robin_scheduling 0
		.amdhsa_exception_fp_ieee_invalid_op 0
		.amdhsa_exception_fp_denorm_src 0
		.amdhsa_exception_fp_ieee_div_zero 0
		.amdhsa_exception_fp_ieee_overflow 0
		.amdhsa_exception_fp_ieee_underflow 0
		.amdhsa_exception_fp_ieee_inexact 0
		.amdhsa_exception_int_div_zero 0
	.end_amdhsa_kernel
	.section	.text._ZN2at6native32elementwise_kernel_manual_unrollILi128ELi4EZNS0_22gpu_kernel_impl_nocastIZZZNS0_12_GLOBAL__N_116addr_kernel_cudaERNS_14TensorIteratorERKN3c106ScalarES9_ENKUlvE_clEvENKUlvE2_clEvEUllllE0_EEvRNS_18TensorIteratorBaseERKT_EUlibE_EEviT1_,"axG",@progbits,_ZN2at6native32elementwise_kernel_manual_unrollILi128ELi4EZNS0_22gpu_kernel_impl_nocastIZZZNS0_12_GLOBAL__N_116addr_kernel_cudaERNS_14TensorIteratorERKN3c106ScalarES9_ENKUlvE_clEvENKUlvE2_clEvEUllllE0_EEvRNS_18TensorIteratorBaseERKT_EUlibE_EEviT1_,comdat
.Lfunc_end77:
	.size	_ZN2at6native32elementwise_kernel_manual_unrollILi128ELi4EZNS0_22gpu_kernel_impl_nocastIZZZNS0_12_GLOBAL__N_116addr_kernel_cudaERNS_14TensorIteratorERKN3c106ScalarES9_ENKUlvE_clEvENKUlvE2_clEvEUllllE0_EEvRNS_18TensorIteratorBaseERKT_EUlibE_EEviT1_, .Lfunc_end77-_ZN2at6native32elementwise_kernel_manual_unrollILi128ELi4EZNS0_22gpu_kernel_impl_nocastIZZZNS0_12_GLOBAL__N_116addr_kernel_cudaERNS_14TensorIteratorERKN3c106ScalarES9_ENKUlvE_clEvENKUlvE2_clEvEUllllE0_EEvRNS_18TensorIteratorBaseERKT_EUlibE_EEviT1_
                                        ; -- End function
	.set _ZN2at6native32elementwise_kernel_manual_unrollILi128ELi4EZNS0_22gpu_kernel_impl_nocastIZZZNS0_12_GLOBAL__N_116addr_kernel_cudaERNS_14TensorIteratorERKN3c106ScalarES9_ENKUlvE_clEvENKUlvE2_clEvEUllllE0_EEvRNS_18TensorIteratorBaseERKT_EUlibE_EEviT1_.num_vgpr, 42
	.set _ZN2at6native32elementwise_kernel_manual_unrollILi128ELi4EZNS0_22gpu_kernel_impl_nocastIZZZNS0_12_GLOBAL__N_116addr_kernel_cudaERNS_14TensorIteratorERKN3c106ScalarES9_ENKUlvE_clEvENKUlvE2_clEvEUllllE0_EEvRNS_18TensorIteratorBaseERKT_EUlibE_EEviT1_.num_agpr, 0
	.set _ZN2at6native32elementwise_kernel_manual_unrollILi128ELi4EZNS0_22gpu_kernel_impl_nocastIZZZNS0_12_GLOBAL__N_116addr_kernel_cudaERNS_14TensorIteratorERKN3c106ScalarES9_ENKUlvE_clEvENKUlvE2_clEvEUllllE0_EEvRNS_18TensorIteratorBaseERKT_EUlibE_EEviT1_.numbered_sgpr, 60
	.set _ZN2at6native32elementwise_kernel_manual_unrollILi128ELi4EZNS0_22gpu_kernel_impl_nocastIZZZNS0_12_GLOBAL__N_116addr_kernel_cudaERNS_14TensorIteratorERKN3c106ScalarES9_ENKUlvE_clEvENKUlvE2_clEvEUllllE0_EEvRNS_18TensorIteratorBaseERKT_EUlibE_EEviT1_.num_named_barrier, 0
	.set _ZN2at6native32elementwise_kernel_manual_unrollILi128ELi4EZNS0_22gpu_kernel_impl_nocastIZZZNS0_12_GLOBAL__N_116addr_kernel_cudaERNS_14TensorIteratorERKN3c106ScalarES9_ENKUlvE_clEvENKUlvE2_clEvEUllllE0_EEvRNS_18TensorIteratorBaseERKT_EUlibE_EEviT1_.private_seg_size, 0
	.set _ZN2at6native32elementwise_kernel_manual_unrollILi128ELi4EZNS0_22gpu_kernel_impl_nocastIZZZNS0_12_GLOBAL__N_116addr_kernel_cudaERNS_14TensorIteratorERKN3c106ScalarES9_ENKUlvE_clEvENKUlvE2_clEvEUllllE0_EEvRNS_18TensorIteratorBaseERKT_EUlibE_EEviT1_.uses_vcc, 1
	.set _ZN2at6native32elementwise_kernel_manual_unrollILi128ELi4EZNS0_22gpu_kernel_impl_nocastIZZZNS0_12_GLOBAL__N_116addr_kernel_cudaERNS_14TensorIteratorERKN3c106ScalarES9_ENKUlvE_clEvENKUlvE2_clEvEUllllE0_EEvRNS_18TensorIteratorBaseERKT_EUlibE_EEviT1_.uses_flat_scratch, 0
	.set _ZN2at6native32elementwise_kernel_manual_unrollILi128ELi4EZNS0_22gpu_kernel_impl_nocastIZZZNS0_12_GLOBAL__N_116addr_kernel_cudaERNS_14TensorIteratorERKN3c106ScalarES9_ENKUlvE_clEvENKUlvE2_clEvEUllllE0_EEvRNS_18TensorIteratorBaseERKT_EUlibE_EEviT1_.has_dyn_sized_stack, 0
	.set _ZN2at6native32elementwise_kernel_manual_unrollILi128ELi4EZNS0_22gpu_kernel_impl_nocastIZZZNS0_12_GLOBAL__N_116addr_kernel_cudaERNS_14TensorIteratorERKN3c106ScalarES9_ENKUlvE_clEvENKUlvE2_clEvEUllllE0_EEvRNS_18TensorIteratorBaseERKT_EUlibE_EEviT1_.has_recursion, 0
	.set _ZN2at6native32elementwise_kernel_manual_unrollILi128ELi4EZNS0_22gpu_kernel_impl_nocastIZZZNS0_12_GLOBAL__N_116addr_kernel_cudaERNS_14TensorIteratorERKN3c106ScalarES9_ENKUlvE_clEvENKUlvE2_clEvEUllllE0_EEvRNS_18TensorIteratorBaseERKT_EUlibE_EEviT1_.has_indirect_call, 0
	.section	.AMDGPU.csdata,"",@progbits
; Kernel info:
; codeLenInByte = 6060
; TotalNumSgprs: 62
; NumVgprs: 42
; ScratchSize: 0
; MemoryBound: 0
; FloatMode: 240
; IeeeMode: 1
; LDSByteSize: 0 bytes/workgroup (compile time only)
; SGPRBlocks: 0
; VGPRBlocks: 2
; NumSGPRsForWavesPerEU: 62
; NumVGPRsForWavesPerEU: 42
; NamedBarCnt: 0
; Occupancy: 16
; WaveLimiterHint : 1
; COMPUTE_PGM_RSRC2:SCRATCH_EN: 0
; COMPUTE_PGM_RSRC2:USER_SGPR: 2
; COMPUTE_PGM_RSRC2:TRAP_HANDLER: 0
; COMPUTE_PGM_RSRC2:TGID_X_EN: 1
; COMPUTE_PGM_RSRC2:TGID_Y_EN: 0
; COMPUTE_PGM_RSRC2:TGID_Z_EN: 0
; COMPUTE_PGM_RSRC2:TIDIG_COMP_CNT: 0
	.section	.text._ZN2at6native32elementwise_kernel_manual_unrollILi128ELi4EZNS0_15gpu_kernel_implIZZZNS0_12_GLOBAL__N_116addr_kernel_cudaERNS_14TensorIteratorERKN3c106ScalarES9_ENKUlvE_clEvENKUlvE2_clEvEUllllE0_EEvRNS_18TensorIteratorBaseERKT_EUlibE_EEviT1_,"axG",@progbits,_ZN2at6native32elementwise_kernel_manual_unrollILi128ELi4EZNS0_15gpu_kernel_implIZZZNS0_12_GLOBAL__N_116addr_kernel_cudaERNS_14TensorIteratorERKN3c106ScalarES9_ENKUlvE_clEvENKUlvE2_clEvEUllllE0_EEvRNS_18TensorIteratorBaseERKT_EUlibE_EEviT1_,comdat
	.globl	_ZN2at6native32elementwise_kernel_manual_unrollILi128ELi4EZNS0_15gpu_kernel_implIZZZNS0_12_GLOBAL__N_116addr_kernel_cudaERNS_14TensorIteratorERKN3c106ScalarES9_ENKUlvE_clEvENKUlvE2_clEvEUllllE0_EEvRNS_18TensorIteratorBaseERKT_EUlibE_EEviT1_ ; -- Begin function _ZN2at6native32elementwise_kernel_manual_unrollILi128ELi4EZNS0_15gpu_kernel_implIZZZNS0_12_GLOBAL__N_116addr_kernel_cudaERNS_14TensorIteratorERKN3c106ScalarES9_ENKUlvE_clEvENKUlvE2_clEvEUllllE0_EEvRNS_18TensorIteratorBaseERKT_EUlibE_EEviT1_
	.p2align	8
	.type	_ZN2at6native32elementwise_kernel_manual_unrollILi128ELi4EZNS0_15gpu_kernel_implIZZZNS0_12_GLOBAL__N_116addr_kernel_cudaERNS_14TensorIteratorERKN3c106ScalarES9_ENKUlvE_clEvENKUlvE2_clEvEUllllE0_EEvRNS_18TensorIteratorBaseERKT_EUlibE_EEviT1_,@function
_ZN2at6native32elementwise_kernel_manual_unrollILi128ELi4EZNS0_15gpu_kernel_implIZZZNS0_12_GLOBAL__N_116addr_kernel_cudaERNS_14TensorIteratorERKN3c106ScalarES9_ENKUlvE_clEvENKUlvE2_clEvEUllllE0_EEvRNS_18TensorIteratorBaseERKT_EUlibE_EEviT1_: ; @_ZN2at6native32elementwise_kernel_manual_unrollILi128ELi4EZNS0_15gpu_kernel_implIZZZNS0_12_GLOBAL__N_116addr_kernel_cudaERNS_14TensorIteratorERKN3c106ScalarES9_ENKUlvE_clEvENKUlvE2_clEvEUllllE0_EEvRNS_18TensorIteratorBaseERKT_EUlibE_EEviT1_
; %bb.0:
	s_load_b32 s2, s[0:1], 0x48
	s_bfe_u32 s3, ttmp6, 0x4000c
	s_clause 0x2
	s_load_b256 s[12:19], s[0:1], 0x28
	s_load_b32 s24, s[0:1], 0x0
	s_load_b256 s[4:11], s[0:1], 0x8
	s_add_co_i32 s3, s3, 1
	s_and_b32 s20, ttmp6, 15
	s_wait_xcnt 0x0
	s_mul_i32 s0, ttmp9, s3
	s_getreg_b32 s22, hwreg(HW_REG_IB_STS2, 6, 4)
	s_add_co_i32 s20, s20, s0
	s_mov_b32 s23, 0
	s_wait_kmcnt 0x0
	s_lshr_b32 s3, s2, 16
	s_lshr_b32 s21, s2, 8
	;; [unrolled: 1-line block ×3, first 2 shown]
	s_cmp_eq_u32 s22, 0
	s_cselect_b32 s0, ttmp9, s20
	s_mov_b32 s20, 0
	v_lshl_or_b32 v26, s0, 9, v0
	s_mov_b32 s0, exec_lo
	s_delay_alu instid0(VALU_DEP_1) | instskip(NEXT) | instid1(VALU_DEP_1)
	v_or_b32_e32 v0, 0x180, v26
	v_cmpx_le_i32_e64 s24, v0
	s_xor_b32 s22, exec_lo, s0
	s_cbranch_execz .LBB78_2015
; %bb.1:
	s_mov_b32 s33, -1
	s_mov_b32 s29, 0
	s_mov_b32 s27, 0
	;; [unrolled: 1-line block ×4, first 2 shown]
	s_mov_b32 s28, exec_lo
	v_cmpx_gt_i32_e64 s24, v26
	s_cbranch_execz .LBB78_500
; %bb.2:
	v_mul_lo_u32 v0, v26, s13
	s_and_b32 s0, s21, 0xff
	s_delay_alu instid0(SALU_CYCLE_1) | instskip(NEXT) | instid1(VALU_DEP_1)
	s_cmp_lt_i32 s0, 11
	v_ashrrev_i32_e32 v1, 31, v0
	s_delay_alu instid0(VALU_DEP_1)
	v_add_nc_u64_e32 v[2:3], s[6:7], v[0:1]
	s_cbranch_scc1 .LBB78_9
; %bb.3:
	s_and_b32 s23, 0xffff, s0
	s_delay_alu instid0(SALU_CYCLE_1)
	s_cmp_gt_i32 s23, 25
	s_cbranch_scc0 .LBB78_18
; %bb.4:
	s_cmp_gt_i32 s23, 28
	s_cbranch_scc0 .LBB78_28
; %bb.5:
	;; [unrolled: 3-line block ×4, first 2 shown]
	s_cmp_eq_u32 s23, 46
	s_cbranch_scc0 .LBB78_37
; %bb.8:
	global_load_b32 v0, v[2:3], off
	s_mov_b32 s25, -1
	s_wait_loadcnt 0x0
	v_lshlrev_b32_e32 v0, 16, v0
	s_delay_alu instid0(VALU_DEP_1) | instskip(NEXT) | instid1(VALU_DEP_1)
	v_trunc_f32_e32 v0, v0
	v_mul_f32_e64 v1, 0x2f800000, |v0|
	s_delay_alu instid0(VALU_DEP_1) | instskip(NEXT) | instid1(VALU_DEP_1)
	v_floor_f32_e32 v1, v1
	v_fma_f32 v4, 0xcf800000, v1, |v0|
	v_ashrrev_i32_e32 v0, 31, v0
	v_cvt_u32_f32_e32 v5, v1
	s_delay_alu instid0(VALU_DEP_3) | instskip(NEXT) | instid1(VALU_DEP_2)
	v_cvt_u32_f32_e32 v4, v4
	v_dual_mov_b32 v1, v0 :: v_dual_bitop2_b32 v5, v5, v0 bitop3:0x14
	s_delay_alu instid0(VALU_DEP_2) | instskip(NEXT) | instid1(VALU_DEP_1)
	v_xor_b32_e32 v4, v4, v0
	v_sub_nc_u64_e32 v[0:1], v[4:5], v[0:1]
	s_branch .LBB78_39
.LBB78_9:
                                        ; implicit-def: $vgpr0_vgpr1
	s_cbranch_execnz .LBB78_101
.LBB78_10:
	s_and_not1_b32 vcc_lo, exec_lo, s25
	s_cbranch_vccnz .LBB78_148
.LBB78_11:
	s_wait_xcnt 0x0
	v_mul_lo_u32 v2, v26, s14
	s_and_b32 s0, s3, 0xff
	s_delay_alu instid0(SALU_CYCLE_1) | instskip(NEXT) | instid1(VALU_DEP_1)
	s_cmp_lt_i32 s0, 11
	v_ashrrev_i32_e32 v3, 31, v2
	s_delay_alu instid0(VALU_DEP_1)
	v_add_nc_u64_e32 v[4:5], s[8:9], v[2:3]
	s_cbranch_scc1 .LBB78_19
; %bb.12:
	s_and_b32 s23, 0xffff, s0
	s_delay_alu instid0(SALU_CYCLE_1)
	s_cmp_gt_i32 s23, 25
	s_cbranch_scc0 .LBB78_29
; %bb.13:
	s_cmp_gt_i32 s23, 28
	s_cbranch_scc0 .LBB78_32
; %bb.14:
	;; [unrolled: 3-line block ×4, first 2 shown]
	s_cmp_eq_u32 s23, 46
	s_mov_b32 s30, 0
	s_cbranch_scc0 .LBB78_149
; %bb.17:
	global_load_b32 v2, v[4:5], off
	s_mov_b32 s25, -1
	s_mov_b32 s26, 0
	s_wait_loadcnt 0x0
	v_lshlrev_b32_e32 v2, 16, v2
	s_delay_alu instid0(VALU_DEP_1) | instskip(NEXT) | instid1(VALU_DEP_1)
	v_trunc_f32_e32 v2, v2
	v_mul_f32_e64 v3, 0x2f800000, |v2|
	s_delay_alu instid0(VALU_DEP_1) | instskip(NEXT) | instid1(VALU_DEP_1)
	v_floor_f32_e32 v3, v3
	v_fma_f32 v6, 0xcf800000, v3, |v2|
	v_ashrrev_i32_e32 v2, 31, v2
	v_cvt_u32_f32_e32 v7, v3
	s_delay_alu instid0(VALU_DEP_3) | instskip(NEXT) | instid1(VALU_DEP_2)
	v_cvt_u32_f32_e32 v6, v6
	v_dual_mov_b32 v3, v2 :: v_dual_bitop2_b32 v7, v7, v2 bitop3:0x14
	s_delay_alu instid0(VALU_DEP_2) | instskip(NEXT) | instid1(VALU_DEP_1)
	v_xor_b32_e32 v6, v6, v2
	v_sub_nc_u64_e32 v[2:3], v[6:7], v[2:3]
	s_branch .LBB78_151
.LBB78_18:
                                        ; implicit-def: $vgpr0_vgpr1
	s_cbranch_execnz .LBB78_68
	s_branch .LBB78_100
.LBB78_19:
	s_mov_b32 s26, 0
	s_mov_b32 s25, 0
                                        ; implicit-def: $vgpr2_vgpr3
	s_cbranch_execnz .LBB78_213
.LBB78_20:
	s_and_not1_b32 vcc_lo, exec_lo, s25
	s_cbranch_vccnz .LBB78_261
.LBB78_21:
	s_wait_xcnt 0x0
	v_mul_lo_u32 v4, v26, s15
	s_and_b32 s0, 0xffff, s1
	s_delay_alu instid0(SALU_CYCLE_1) | instskip(NEXT) | instid1(VALU_DEP_1)
	s_cmp_lt_i32 s0, 11
	v_ashrrev_i32_e32 v5, 31, v4
	s_delay_alu instid0(VALU_DEP_1)
	v_add_nc_u64_e32 v[4:5], s[10:11], v[4:5]
	s_cbranch_scc1 .LBB78_30
; %bb.22:
	s_cmp_gt_i32 s0, 25
	s_cbranch_scc0 .LBB78_33
; %bb.23:
	s_cmp_gt_i32 s0, 28
	s_cbranch_scc0 .LBB78_36
	;; [unrolled: 3-line block ×4, first 2 shown]
; %bb.26:
	s_cmp_eq_u32 s0, 46
	s_mov_b32 s30, 0
	s_cbranch_scc0 .LBB78_262
; %bb.27:
	global_load_b32 v6, v[4:5], off
	s_mov_b32 s23, -1
	s_mov_b32 s25, 0
	s_wait_loadcnt 0x0
	v_lshlrev_b32_e32 v6, 16, v6
	s_delay_alu instid0(VALU_DEP_1) | instskip(NEXT) | instid1(VALU_DEP_1)
	v_trunc_f32_e32 v6, v6
	v_mul_f32_e64 v7, 0x2f800000, |v6|
	s_delay_alu instid0(VALU_DEP_1) | instskip(NEXT) | instid1(VALU_DEP_1)
	v_floor_f32_e32 v7, v7
	v_fma_f32 v8, 0xcf800000, v7, |v6|
	v_ashrrev_i32_e32 v6, 31, v6
	v_cvt_u32_f32_e32 v9, v7
	s_delay_alu instid0(VALU_DEP_3) | instskip(NEXT) | instid1(VALU_DEP_2)
	v_cvt_u32_f32_e32 v8, v8
	v_dual_mov_b32 v7, v6 :: v_dual_bitop2_b32 v9, v9, v6 bitop3:0x14
	s_delay_alu instid0(VALU_DEP_2) | instskip(NEXT) | instid1(VALU_DEP_1)
	v_xor_b32_e32 v8, v8, v6
	v_sub_nc_u64_e32 v[6:7], v[8:9], v[6:7]
	s_branch .LBB78_264
.LBB78_28:
	s_mov_b32 s26, -1
                                        ; implicit-def: $vgpr0_vgpr1
	s_branch .LBB78_51
.LBB78_29:
	s_mov_b32 s30, -1
	s_mov_b32 s26, 0
	s_mov_b32 s25, 0
                                        ; implicit-def: $vgpr2_vgpr3
	s_branch .LBB78_179
.LBB78_30:
	s_mov_b32 s30, -1
	s_mov_b32 s25, 0
	s_mov_b32 s23, 0
                                        ; implicit-def: $vgpr6_vgpr7
	s_branch .LBB78_325
.LBB78_31:
	s_mov_b32 s26, -1
                                        ; implicit-def: $vgpr0_vgpr1
	s_branch .LBB78_46
.LBB78_32:
	s_mov_b32 s30, -1
	s_mov_b32 s26, 0
	s_mov_b32 s25, 0
                                        ; implicit-def: $vgpr2_vgpr3
	s_branch .LBB78_162
.LBB78_33:
	s_mov_b32 s30, -1
	s_mov_b32 s25, 0
	s_mov_b32 s23, 0
                                        ; implicit-def: $vgpr6_vgpr7
	s_branch .LBB78_291
.LBB78_34:
	s_mov_b32 s26, -1
	s_branch .LBB78_38
.LBB78_35:
	s_mov_b32 s30, -1
	s_mov_b32 s26, 0
	s_mov_b32 s25, 0
                                        ; implicit-def: $vgpr2_vgpr3
	s_branch .LBB78_157
.LBB78_36:
	s_mov_b32 s30, -1
	s_mov_b32 s25, 0
	s_mov_b32 s23, 0
                                        ; implicit-def: $vgpr6_vgpr7
	s_branch .LBB78_274
.LBB78_37:
	s_mov_b32 s27, -1
.LBB78_38:
                                        ; implicit-def: $vgpr0_vgpr1
.LBB78_39:
	s_and_b32 vcc_lo, exec_lo, s26
	s_cbranch_vccz .LBB78_45
; %bb.40:
	s_cmp_eq_u32 s23, 44
	s_cbranch_scc0 .LBB78_44
; %bb.41:
	global_load_u8 v6, v[2:3], off
	s_mov_b32 s27, 0
	s_mov_b32 s25, -1
	s_wait_loadcnt 0x0
	v_cmp_ne_u32_e32 vcc_lo, 0, v6
	v_lshlrev_b32_e32 v0, 23, v6
	s_delay_alu instid0(VALU_DEP_1) | instskip(NEXT) | instid1(VALU_DEP_1)
	v_trunc_f32_e32 v0, v0
	v_mul_f32_e64 v1, 0x2f800000, |v0|
	s_delay_alu instid0(VALU_DEP_1) | instskip(NEXT) | instid1(VALU_DEP_1)
	v_floor_f32_e32 v1, v1
	v_fma_f32 v4, 0xcf800000, v1, |v0|
	v_ashrrev_i32_e32 v0, 31, v0
	v_cvt_u32_f32_e32 v5, v1
	s_delay_alu instid0(VALU_DEP_3) | instskip(NEXT) | instid1(VALU_DEP_2)
	v_cvt_u32_f32_e32 v4, v4
	v_dual_mov_b32 v1, v0 :: v_dual_bitop2_b32 v5, v5, v0 bitop3:0x14
	s_delay_alu instid0(VALU_DEP_2) | instskip(NEXT) | instid1(VALU_DEP_1)
	v_xor_b32_e32 v4, v4, v0
	v_sub_nc_u64_e32 v[0:1], v[4:5], v[0:1]
	s_delay_alu instid0(VALU_DEP_1)
	v_dual_cndmask_b32 v1, 0, v1 :: v_dual_cndmask_b32 v0, 0, v0
	s_branch .LBB78_45
.LBB78_42:
	s_mov_b32 s30, -1
	s_mov_b32 s26, 0
	s_branch .LBB78_150
.LBB78_43:
	s_mov_b32 s30, -1
	s_mov_b32 s25, 0
	s_mov_b32 s23, 0
                                        ; implicit-def: $vgpr6_vgpr7
	s_branch .LBB78_269
.LBB78_44:
	s_mov_b32 s27, -1
                                        ; implicit-def: $vgpr0_vgpr1
.LBB78_45:
	s_mov_b32 s26, 0
.LBB78_46:
	s_delay_alu instid0(SALU_CYCLE_1)
	s_and_b32 vcc_lo, exec_lo, s26
	s_cbranch_vccz .LBB78_50
; %bb.47:
	s_cmp_eq_u32 s23, 29
	s_cbranch_scc0 .LBB78_49
; %bb.48:
	global_load_b64 v[0:1], v[2:3], off
	s_mov_b32 s25, -1
	s_mov_b32 s27, 0
	s_branch .LBB78_50
.LBB78_49:
	s_mov_b32 s27, -1
                                        ; implicit-def: $vgpr0_vgpr1
.LBB78_50:
	s_mov_b32 s26, 0
.LBB78_51:
	s_delay_alu instid0(SALU_CYCLE_1)
	s_and_b32 vcc_lo, exec_lo, s26
	s_cbranch_vccz .LBB78_67
; %bb.52:
	s_cmp_lt_i32 s23, 27
	s_cbranch_scc1 .LBB78_55
; %bb.53:
	s_cmp_gt_i32 s23, 27
	s_cbranch_scc0 .LBB78_56
; %bb.54:
	s_wait_loadcnt 0x0
	global_load_b32 v0, v[2:3], off
	v_mov_b32_e32 v1, 0
	s_mov_b32 s25, 0
	s_branch .LBB78_57
.LBB78_55:
	s_mov_b32 s25, -1
                                        ; implicit-def: $vgpr0_vgpr1
	s_branch .LBB78_60
.LBB78_56:
	s_mov_b32 s25, -1
                                        ; implicit-def: $vgpr0_vgpr1
.LBB78_57:
	s_delay_alu instid0(SALU_CYCLE_1)
	s_and_not1_b32 vcc_lo, exec_lo, s25
	s_cbranch_vccnz .LBB78_59
; %bb.58:
	s_wait_loadcnt 0x0
	global_load_u16 v0, v[2:3], off
	s_mov_b32 s25, 0
	s_delay_alu instid0(SALU_CYCLE_1)
	v_mov_b32_e32 v1, s25
	s_wait_loadcnt 0x0
	v_and_b32_e32 v0, 0xffff, v0
.LBB78_59:
	s_mov_b32 s25, 0
.LBB78_60:
	s_delay_alu instid0(SALU_CYCLE_1)
	s_and_not1_b32 vcc_lo, exec_lo, s25
	s_cbranch_vccnz .LBB78_66
; %bb.61:
	global_load_u8 v4, v[2:3], off
	s_mov_b32 s26, 0
	s_mov_b32 s25, exec_lo
	s_wait_loadcnt 0x0
	v_cmpx_lt_i16_e32 0x7f, v4
	s_xor_b32 s25, exec_lo, s25
	s_cbranch_execz .LBB78_77
; %bb.62:
	v_cmp_ne_u16_e32 vcc_lo, 0x80, v4
	s_and_b32 s26, vcc_lo, exec_lo
	s_and_not1_saveexec_b32 s25, s25
	s_cbranch_execnz .LBB78_78
.LBB78_63:
	s_or_b32 exec_lo, exec_lo, s25
	v_mov_b64_e32 v[0:1], 0
	s_and_saveexec_b32 s25, s26
	s_cbranch_execz .LBB78_65
.LBB78_64:
	v_and_b32_e32 v0, 0xffff, v4
	s_delay_alu instid0(VALU_DEP_1) | instskip(SKIP_1) | instid1(VALU_DEP_2)
	v_and_b32_e32 v1, 7, v0
	v_bfe_u32 v7, v0, 3, 4
	v_clz_i32_u32_e32 v5, v1
	s_delay_alu instid0(VALU_DEP_2) | instskip(NEXT) | instid1(VALU_DEP_2)
	v_cmp_eq_u32_e32 vcc_lo, 0, v7
	v_min_u32_e32 v5, 32, v5
	s_delay_alu instid0(VALU_DEP_1) | instskip(NEXT) | instid1(VALU_DEP_1)
	v_subrev_nc_u32_e32 v6, 28, v5
	v_dual_lshlrev_b32 v0, v6, v0 :: v_dual_sub_nc_u32 v5, 29, v5
	s_delay_alu instid0(VALU_DEP_1) | instskip(NEXT) | instid1(VALU_DEP_2)
	v_and_b32_e32 v0, 7, v0
	v_dual_cndmask_b32 v5, v7, v5 :: v_dual_lshlrev_b32 v4, 24, v4
	s_delay_alu instid0(VALU_DEP_2) | instskip(NEXT) | instid1(VALU_DEP_2)
	v_cndmask_b32_e32 v0, v1, v0, vcc_lo
	v_and_b32_e32 v1, 0x80000000, v4
	s_delay_alu instid0(VALU_DEP_3) | instskip(NEXT) | instid1(VALU_DEP_3)
	v_lshl_add_u32 v4, v5, 23, 0x3b800000
	v_lshlrev_b32_e32 v0, 20, v0
	s_delay_alu instid0(VALU_DEP_1) | instskip(NEXT) | instid1(VALU_DEP_1)
	v_or3_b32 v0, v1, v4, v0
	v_trunc_f32_e32 v0, v0
	s_delay_alu instid0(VALU_DEP_1) | instskip(NEXT) | instid1(VALU_DEP_1)
	v_mul_f32_e64 v1, 0x2f800000, |v0|
	v_floor_f32_e32 v1, v1
	s_delay_alu instid0(VALU_DEP_1) | instskip(SKIP_2) | instid1(VALU_DEP_3)
	v_fma_f32 v4, 0xcf800000, v1, |v0|
	v_ashrrev_i32_e32 v0, 31, v0
	v_cvt_u32_f32_e32 v5, v1
	v_cvt_u32_f32_e32 v4, v4
	s_delay_alu instid0(VALU_DEP_2) | instskip(NEXT) | instid1(VALU_DEP_2)
	v_dual_mov_b32 v1, v0 :: v_dual_bitop2_b32 v5, v5, v0 bitop3:0x14
	v_xor_b32_e32 v4, v4, v0
	s_delay_alu instid0(VALU_DEP_1)
	v_sub_nc_u64_e32 v[0:1], v[4:5], v[0:1]
.LBB78_65:
	s_or_b32 exec_lo, exec_lo, s25
.LBB78_66:
	s_mov_b32 s25, -1
.LBB78_67:
	s_branch .LBB78_100
.LBB78_68:
	s_cmp_gt_i32 s23, 22
	s_cbranch_scc0 .LBB78_76
; %bb.69:
	s_cmp_lt_i32 s23, 24
	s_cbranch_scc1 .LBB78_79
; %bb.70:
	s_cmp_gt_i32 s23, 24
	s_cbranch_scc0 .LBB78_80
; %bb.71:
	global_load_u8 v4, v[2:3], off
	s_mov_b32 s26, 0
	s_mov_b32 s25, exec_lo
	s_wait_loadcnt 0x0
	v_cmpx_lt_i16_e32 0x7f, v4
	s_xor_b32 s25, exec_lo, s25
	s_cbranch_execz .LBB78_92
; %bb.72:
	v_cmp_ne_u16_e32 vcc_lo, 0x80, v4
	s_and_b32 s26, vcc_lo, exec_lo
	s_and_not1_saveexec_b32 s25, s25
	s_cbranch_execnz .LBB78_93
.LBB78_73:
	s_or_b32 exec_lo, exec_lo, s25
	v_mov_b64_e32 v[0:1], 0
	s_and_saveexec_b32 s25, s26
	s_cbranch_execz .LBB78_75
.LBB78_74:
	v_and_b32_e32 v0, 0xffff, v4
	s_delay_alu instid0(VALU_DEP_1) | instskip(SKIP_1) | instid1(VALU_DEP_2)
	v_and_b32_e32 v1, 3, v0
	v_bfe_u32 v7, v0, 2, 5
	v_clz_i32_u32_e32 v5, v1
	s_delay_alu instid0(VALU_DEP_2) | instskip(NEXT) | instid1(VALU_DEP_2)
	v_cmp_eq_u32_e32 vcc_lo, 0, v7
	v_min_u32_e32 v5, 32, v5
	s_delay_alu instid0(VALU_DEP_1) | instskip(NEXT) | instid1(VALU_DEP_1)
	v_subrev_nc_u32_e32 v6, 29, v5
	v_dual_lshlrev_b32 v0, v6, v0 :: v_dual_sub_nc_u32 v5, 30, v5
	s_delay_alu instid0(VALU_DEP_1) | instskip(NEXT) | instid1(VALU_DEP_2)
	v_and_b32_e32 v0, 3, v0
	v_dual_cndmask_b32 v5, v7, v5 :: v_dual_lshlrev_b32 v4, 24, v4
	s_delay_alu instid0(VALU_DEP_2) | instskip(NEXT) | instid1(VALU_DEP_2)
	v_cndmask_b32_e32 v0, v1, v0, vcc_lo
	v_and_b32_e32 v1, 0x80000000, v4
	s_delay_alu instid0(VALU_DEP_3) | instskip(NEXT) | instid1(VALU_DEP_3)
	v_lshl_add_u32 v4, v5, 23, 0x37800000
	v_lshlrev_b32_e32 v0, 21, v0
	s_delay_alu instid0(VALU_DEP_1) | instskip(NEXT) | instid1(VALU_DEP_1)
	v_or3_b32 v0, v1, v4, v0
	v_trunc_f32_e32 v0, v0
	s_delay_alu instid0(VALU_DEP_1) | instskip(NEXT) | instid1(VALU_DEP_1)
	v_mul_f32_e64 v1, 0x2f800000, |v0|
	v_floor_f32_e32 v1, v1
	s_delay_alu instid0(VALU_DEP_1) | instskip(SKIP_2) | instid1(VALU_DEP_3)
	v_fma_f32 v4, 0xcf800000, v1, |v0|
	v_ashrrev_i32_e32 v0, 31, v0
	v_cvt_u32_f32_e32 v5, v1
	v_cvt_u32_f32_e32 v4, v4
	s_delay_alu instid0(VALU_DEP_2) | instskip(NEXT) | instid1(VALU_DEP_2)
	v_dual_mov_b32 v1, v0 :: v_dual_bitop2_b32 v5, v5, v0 bitop3:0x14
	v_xor_b32_e32 v4, v4, v0
	s_delay_alu instid0(VALU_DEP_1)
	v_sub_nc_u64_e32 v[0:1], v[4:5], v[0:1]
.LBB78_75:
	s_or_b32 exec_lo, exec_lo, s25
	s_mov_b32 s25, 0
	s_branch .LBB78_81
.LBB78_76:
	s_mov_b32 s26, -1
                                        ; implicit-def: $vgpr0_vgpr1
	s_branch .LBB78_87
.LBB78_77:
	s_and_not1_saveexec_b32 s25, s25
	s_cbranch_execz .LBB78_63
.LBB78_78:
	v_cmp_ne_u16_e32 vcc_lo, 0, v4
	s_and_not1_b32 s26, s26, exec_lo
	s_and_b32 s30, vcc_lo, exec_lo
	s_delay_alu instid0(SALU_CYCLE_1)
	s_or_b32 s26, s26, s30
	s_or_b32 exec_lo, exec_lo, s25
	v_mov_b64_e32 v[0:1], 0
	s_and_saveexec_b32 s25, s26
	s_cbranch_execnz .LBB78_64
	s_branch .LBB78_65
.LBB78_79:
	s_mov_b32 s25, -1
                                        ; implicit-def: $vgpr0_vgpr1
	s_branch .LBB78_84
.LBB78_80:
	s_mov_b32 s25, -1
                                        ; implicit-def: $vgpr0_vgpr1
.LBB78_81:
	s_delay_alu instid0(SALU_CYCLE_1)
	s_and_b32 vcc_lo, exec_lo, s25
	s_cbranch_vccz .LBB78_83
; %bb.82:
	s_wait_loadcnt 0x0
	global_load_u8 v0, v[2:3], off
	s_wait_loadcnt 0x0
	v_lshlrev_b32_e32 v0, 24, v0
	s_delay_alu instid0(VALU_DEP_1) | instskip(NEXT) | instid1(VALU_DEP_1)
	v_and_b32_e32 v1, 0x7f000000, v0
	v_clz_i32_u32_e32 v4, v1
	v_cmp_ne_u32_e32 vcc_lo, 0, v1
	v_add_nc_u32_e32 v6, 0x1000000, v1
	s_delay_alu instid0(VALU_DEP_3) | instskip(NEXT) | instid1(VALU_DEP_1)
	v_min_u32_e32 v4, 32, v4
	v_sub_nc_u32_e64 v4, v4, 4 clamp
	s_delay_alu instid0(VALU_DEP_1) | instskip(NEXT) | instid1(VALU_DEP_1)
	v_dual_lshlrev_b32 v5, v4, v1 :: v_dual_lshlrev_b32 v4, 23, v4
	v_lshrrev_b32_e32 v5, 4, v5
	s_delay_alu instid0(VALU_DEP_1) | instskip(NEXT) | instid1(VALU_DEP_1)
	v_dual_sub_nc_u32 v4, v5, v4 :: v_dual_ashrrev_i32 v5, 8, v6
	v_add_nc_u32_e32 v4, 0x3c000000, v4
	s_delay_alu instid0(VALU_DEP_1) | instskip(NEXT) | instid1(VALU_DEP_1)
	v_and_or_b32 v4, 0x7f800000, v5, v4
	v_cndmask_b32_e32 v1, 0, v4, vcc_lo
	s_delay_alu instid0(VALU_DEP_1) | instskip(NEXT) | instid1(VALU_DEP_1)
	v_and_or_b32 v0, 0x80000000, v0, v1
	v_trunc_f32_e32 v0, v0
	s_delay_alu instid0(VALU_DEP_1) | instskip(NEXT) | instid1(VALU_DEP_1)
	v_mul_f32_e64 v1, 0x2f800000, |v0|
	v_floor_f32_e32 v1, v1
	s_delay_alu instid0(VALU_DEP_1) | instskip(SKIP_2) | instid1(VALU_DEP_3)
	v_fma_f32 v4, 0xcf800000, v1, |v0|
	v_ashrrev_i32_e32 v0, 31, v0
	v_cvt_u32_f32_e32 v5, v1
	v_cvt_u32_f32_e32 v4, v4
	s_delay_alu instid0(VALU_DEP_2) | instskip(NEXT) | instid1(VALU_DEP_2)
	v_dual_mov_b32 v1, v0 :: v_dual_bitop2_b32 v5, v5, v0 bitop3:0x14
	v_xor_b32_e32 v4, v4, v0
	s_delay_alu instid0(VALU_DEP_1)
	v_sub_nc_u64_e32 v[0:1], v[4:5], v[0:1]
.LBB78_83:
	s_mov_b32 s25, 0
.LBB78_84:
	s_delay_alu instid0(SALU_CYCLE_1)
	s_and_not1_b32 vcc_lo, exec_lo, s25
	s_cbranch_vccnz .LBB78_86
; %bb.85:
	s_wait_loadcnt 0x0
	global_load_u8 v0, v[2:3], off
	s_wait_loadcnt 0x0
	v_lshlrev_b32_e32 v1, 25, v0
	v_lshlrev_b16 v0, 8, v0
	s_delay_alu instid0(VALU_DEP_1) | instskip(SKIP_1) | instid1(VALU_DEP_2)
	v_and_or_b32 v5, 0x7f00, v0, 0.5
	v_bfe_i32 v0, v0, 0, 16
	v_add_f32_e32 v5, -0.5, v5
	v_lshrrev_b32_e32 v4, 4, v1
	v_cmp_gt_u32_e32 vcc_lo, 0x8000000, v1
	s_delay_alu instid0(VALU_DEP_2) | instskip(NEXT) | instid1(VALU_DEP_1)
	v_or_b32_e32 v4, 0x70000000, v4
	v_mul_f32_e32 v4, 0x7800000, v4
	s_delay_alu instid0(VALU_DEP_1) | instskip(NEXT) | instid1(VALU_DEP_1)
	v_cndmask_b32_e32 v1, v4, v5, vcc_lo
	v_and_or_b32 v0, 0x80000000, v0, v1
	s_delay_alu instid0(VALU_DEP_1) | instskip(NEXT) | instid1(VALU_DEP_1)
	v_trunc_f32_e32 v0, v0
	v_mul_f32_e64 v1, 0x2f800000, |v0|
	s_delay_alu instid0(VALU_DEP_1) | instskip(NEXT) | instid1(VALU_DEP_1)
	v_floor_f32_e32 v1, v1
	v_fma_f32 v4, 0xcf800000, v1, |v0|
	v_ashrrev_i32_e32 v0, 31, v0
	v_cvt_u32_f32_e32 v5, v1
	s_delay_alu instid0(VALU_DEP_3) | instskip(NEXT) | instid1(VALU_DEP_2)
	v_cvt_u32_f32_e32 v4, v4
	v_dual_mov_b32 v1, v0 :: v_dual_bitop2_b32 v5, v5, v0 bitop3:0x14
	s_delay_alu instid0(VALU_DEP_2) | instskip(NEXT) | instid1(VALU_DEP_1)
	v_xor_b32_e32 v4, v4, v0
	v_sub_nc_u64_e32 v[0:1], v[4:5], v[0:1]
.LBB78_86:
	s_mov_b32 s26, 0
	s_mov_b32 s25, -1
.LBB78_87:
	s_and_not1_b32 vcc_lo, exec_lo, s26
	s_cbranch_vccnz .LBB78_100
; %bb.88:
	s_cmp_gt_i32 s23, 14
	s_cbranch_scc0 .LBB78_91
; %bb.89:
	s_cmp_eq_u32 s23, 15
	s_cbranch_scc0 .LBB78_94
; %bb.90:
	s_wait_loadcnt 0x0
	global_load_u16 v0, v[2:3], off
	s_mov_b32 s25, -1
	s_mov_b32 s27, 0
	s_wait_loadcnt 0x0
	v_lshlrev_b32_e32 v0, 16, v0
	s_delay_alu instid0(VALU_DEP_1) | instskip(NEXT) | instid1(VALU_DEP_1)
	v_trunc_f32_e32 v0, v0
	v_mul_f32_e64 v1, 0x2f800000, |v0|
	s_delay_alu instid0(VALU_DEP_1) | instskip(NEXT) | instid1(VALU_DEP_1)
	v_floor_f32_e32 v1, v1
	v_fma_f32 v4, 0xcf800000, v1, |v0|
	v_ashrrev_i32_e32 v0, 31, v0
	v_cvt_u32_f32_e32 v5, v1
	s_delay_alu instid0(VALU_DEP_3) | instskip(NEXT) | instid1(VALU_DEP_2)
	v_cvt_u32_f32_e32 v4, v4
	v_dual_mov_b32 v1, v0 :: v_dual_bitop2_b32 v5, v5, v0 bitop3:0x14
	s_delay_alu instid0(VALU_DEP_2) | instskip(NEXT) | instid1(VALU_DEP_1)
	v_xor_b32_e32 v4, v4, v0
	v_sub_nc_u64_e32 v[0:1], v[4:5], v[0:1]
	s_branch .LBB78_95
.LBB78_91:
	s_mov_b32 s26, -1
                                        ; implicit-def: $vgpr0_vgpr1
	s_branch .LBB78_96
.LBB78_92:
	s_and_not1_saveexec_b32 s25, s25
	s_cbranch_execz .LBB78_73
.LBB78_93:
	v_cmp_ne_u16_e32 vcc_lo, 0, v4
	s_and_not1_b32 s26, s26, exec_lo
	s_and_b32 s30, vcc_lo, exec_lo
	s_delay_alu instid0(SALU_CYCLE_1)
	s_or_b32 s26, s26, s30
	s_or_b32 exec_lo, exec_lo, s25
	v_mov_b64_e32 v[0:1], 0
	s_and_saveexec_b32 s25, s26
	s_cbranch_execnz .LBB78_74
	s_branch .LBB78_75
.LBB78_94:
	s_mov_b32 s27, -1
                                        ; implicit-def: $vgpr0_vgpr1
.LBB78_95:
	s_mov_b32 s26, 0
.LBB78_96:
	s_delay_alu instid0(SALU_CYCLE_1)
	s_and_b32 vcc_lo, exec_lo, s26
	s_cbranch_vccz .LBB78_100
; %bb.97:
	s_cmp_eq_u32 s23, 11
	s_cbranch_scc0 .LBB78_99
; %bb.98:
	s_wait_loadcnt 0x0
	global_load_u8 v0, v[2:3], off
	s_mov_b32 s27, 0
	s_mov_b32 s25, -1
	v_mov_b32_e32 v1, s27
	s_wait_loadcnt 0x0
	v_cmp_ne_u16_e32 vcc_lo, 0, v0
	v_cndmask_b32_e64 v0, 0, 1, vcc_lo
	s_branch .LBB78_100
.LBB78_99:
	s_mov_b32 s27, -1
                                        ; implicit-def: $vgpr0_vgpr1
.LBB78_100:
	s_branch .LBB78_10
.LBB78_101:
	s_and_b32 s0, 0xffff, s0
	s_delay_alu instid0(SALU_CYCLE_1)
	s_cmp_lt_i32 s0, 5
	s_cbranch_scc1 .LBB78_106
; %bb.102:
	s_cmp_lt_i32 s0, 8
	s_cbranch_scc1 .LBB78_107
; %bb.103:
	s_cmp_lt_i32 s0, 9
	s_cbranch_scc1 .LBB78_108
; %bb.104:
	s_cmp_gt_i32 s0, 9
	s_cbranch_scc0 .LBB78_109
; %bb.105:
	s_wait_loadcnt 0x0
	global_load_b64 v[0:1], v[2:3], off
	s_mov_b32 s23, 0
	s_wait_loadcnt 0x0
	v_trunc_f64_e32 v[0:1], v[0:1]
	s_delay_alu instid0(VALU_DEP_1) | instskip(NEXT) | instid1(VALU_DEP_1)
	v_ldexp_f64 v[4:5], v[0:1], 0xffffffe0
	v_floor_f64_e32 v[4:5], v[4:5]
	s_delay_alu instid0(VALU_DEP_1) | instskip(SKIP_1) | instid1(VALU_DEP_2)
	v_fmamk_f64 v[6:7], v[4:5], 0xc1f00000, v[0:1]
	v_cvt_i32_f64_e32 v1, v[4:5]
	v_cvt_u32_f64_e32 v0, v[6:7]
	s_branch .LBB78_110
.LBB78_106:
                                        ; implicit-def: $vgpr0_vgpr1
	s_branch .LBB78_128
.LBB78_107:
	s_mov_b32 s23, -1
                                        ; implicit-def: $vgpr0_vgpr1
	s_branch .LBB78_116
.LBB78_108:
	s_mov_b32 s23, -1
                                        ; implicit-def: $vgpr0_vgpr1
	s_branch .LBB78_113
.LBB78_109:
	s_mov_b32 s23, -1
                                        ; implicit-def: $vgpr0_vgpr1
.LBB78_110:
	s_delay_alu instid0(SALU_CYCLE_1)
	s_and_not1_b32 vcc_lo, exec_lo, s23
	s_cbranch_vccnz .LBB78_112
; %bb.111:
	s_wait_loadcnt 0x0
	global_load_b32 v0, v[2:3], off
	s_wait_loadcnt 0x0
	v_trunc_f32_e32 v0, v0
	s_delay_alu instid0(VALU_DEP_1) | instskip(NEXT) | instid1(VALU_DEP_1)
	v_mul_f32_e64 v1, 0x2f800000, |v0|
	v_floor_f32_e32 v1, v1
	s_delay_alu instid0(VALU_DEP_1) | instskip(SKIP_2) | instid1(VALU_DEP_3)
	v_fma_f32 v4, 0xcf800000, v1, |v0|
	v_ashrrev_i32_e32 v0, 31, v0
	v_cvt_u32_f32_e32 v5, v1
	v_cvt_u32_f32_e32 v4, v4
	s_delay_alu instid0(VALU_DEP_2) | instskip(NEXT) | instid1(VALU_DEP_2)
	v_dual_mov_b32 v1, v0 :: v_dual_bitop2_b32 v5, v5, v0 bitop3:0x14
	v_xor_b32_e32 v4, v4, v0
	s_delay_alu instid0(VALU_DEP_1)
	v_sub_nc_u64_e32 v[0:1], v[4:5], v[0:1]
.LBB78_112:
	s_mov_b32 s23, 0
.LBB78_113:
	s_delay_alu instid0(SALU_CYCLE_1)
	s_and_not1_b32 vcc_lo, exec_lo, s23
	s_cbranch_vccnz .LBB78_115
; %bb.114:
	s_wait_loadcnt 0x0
	global_load_b32 v0, v[2:3], off
	s_wait_loadcnt 0x0
	v_cvt_f32_f16_e32 v0, v0
	s_delay_alu instid0(VALU_DEP_1) | instskip(NEXT) | instid1(VALU_DEP_1)
	v_cvt_i32_f32_e32 v0, v0
	v_ashrrev_i32_e32 v1, 31, v0
.LBB78_115:
	s_mov_b32 s23, 0
.LBB78_116:
	s_delay_alu instid0(SALU_CYCLE_1)
	s_and_not1_b32 vcc_lo, exec_lo, s23
	s_cbranch_vccnz .LBB78_127
; %bb.117:
	s_cmp_lt_i32 s0, 6
	s_cbranch_scc1 .LBB78_120
; %bb.118:
	s_cmp_gt_i32 s0, 6
	s_cbranch_scc0 .LBB78_121
; %bb.119:
	s_wait_loadcnt 0x0
	global_load_b64 v[0:1], v[2:3], off
	s_mov_b32 s23, 0
	s_wait_loadcnt 0x0
	v_trunc_f64_e32 v[0:1], v[0:1]
	s_delay_alu instid0(VALU_DEP_1) | instskip(NEXT) | instid1(VALU_DEP_1)
	v_ldexp_f64 v[4:5], v[0:1], 0xffffffe0
	v_floor_f64_e32 v[4:5], v[4:5]
	s_delay_alu instid0(VALU_DEP_1) | instskip(SKIP_1) | instid1(VALU_DEP_2)
	v_fmamk_f64 v[6:7], v[4:5], 0xc1f00000, v[0:1]
	v_cvt_i32_f64_e32 v1, v[4:5]
	v_cvt_u32_f64_e32 v0, v[6:7]
	s_branch .LBB78_122
.LBB78_120:
	s_mov_b32 s23, -1
                                        ; implicit-def: $vgpr0_vgpr1
	s_branch .LBB78_125
.LBB78_121:
	s_mov_b32 s23, -1
                                        ; implicit-def: $vgpr0_vgpr1
.LBB78_122:
	s_delay_alu instid0(SALU_CYCLE_1)
	s_and_not1_b32 vcc_lo, exec_lo, s23
	s_cbranch_vccnz .LBB78_124
; %bb.123:
	s_wait_loadcnt 0x0
	global_load_b32 v0, v[2:3], off
	s_wait_loadcnt 0x0
	v_trunc_f32_e32 v0, v0
	s_delay_alu instid0(VALU_DEP_1) | instskip(NEXT) | instid1(VALU_DEP_1)
	v_mul_f32_e64 v1, 0x2f800000, |v0|
	v_floor_f32_e32 v1, v1
	s_delay_alu instid0(VALU_DEP_1) | instskip(SKIP_2) | instid1(VALU_DEP_3)
	v_fma_f32 v4, 0xcf800000, v1, |v0|
	v_ashrrev_i32_e32 v0, 31, v0
	v_cvt_u32_f32_e32 v5, v1
	v_cvt_u32_f32_e32 v4, v4
	s_delay_alu instid0(VALU_DEP_2) | instskip(NEXT) | instid1(VALU_DEP_2)
	v_dual_mov_b32 v1, v0 :: v_dual_bitop2_b32 v5, v5, v0 bitop3:0x14
	v_xor_b32_e32 v4, v4, v0
	s_delay_alu instid0(VALU_DEP_1)
	v_sub_nc_u64_e32 v[0:1], v[4:5], v[0:1]
.LBB78_124:
	s_mov_b32 s23, 0
.LBB78_125:
	s_delay_alu instid0(SALU_CYCLE_1)
	s_and_not1_b32 vcc_lo, exec_lo, s23
	s_cbranch_vccnz .LBB78_127
; %bb.126:
	s_wait_loadcnt 0x0
	global_load_u16 v0, v[2:3], off
	s_wait_loadcnt 0x0
	v_cvt_f32_f16_e32 v0, v0
	s_delay_alu instid0(VALU_DEP_1) | instskip(NEXT) | instid1(VALU_DEP_1)
	v_cvt_i32_f32_e32 v0, v0
	v_ashrrev_i32_e32 v1, 31, v0
.LBB78_127:
	s_cbranch_execnz .LBB78_147
.LBB78_128:
	s_cmp_lt_i32 s0, 2
	s_cbranch_scc1 .LBB78_132
; %bb.129:
	s_cmp_lt_i32 s0, 3
	s_cbranch_scc1 .LBB78_133
; %bb.130:
	s_cmp_gt_i32 s0, 3
	s_cbranch_scc0 .LBB78_134
; %bb.131:
	s_wait_loadcnt 0x0
	global_load_b64 v[0:1], v[2:3], off
	s_mov_b32 s23, 0
	s_branch .LBB78_135
.LBB78_132:
	s_mov_b32 s23, -1
                                        ; implicit-def: $vgpr0_vgpr1
	s_branch .LBB78_141
.LBB78_133:
	s_mov_b32 s23, -1
                                        ; implicit-def: $vgpr0_vgpr1
	s_branch .LBB78_138
.LBB78_134:
	s_mov_b32 s23, -1
                                        ; implicit-def: $vgpr0_vgpr1
.LBB78_135:
	s_delay_alu instid0(SALU_CYCLE_1)
	s_and_not1_b32 vcc_lo, exec_lo, s23
	s_cbranch_vccnz .LBB78_137
; %bb.136:
	s_wait_loadcnt 0x0
	global_load_b32 v0, v[2:3], off
	s_wait_loadcnt 0x0
	v_ashrrev_i32_e32 v1, 31, v0
.LBB78_137:
	s_mov_b32 s23, 0
.LBB78_138:
	s_delay_alu instid0(SALU_CYCLE_1)
	s_and_not1_b32 vcc_lo, exec_lo, s23
	s_cbranch_vccnz .LBB78_140
; %bb.139:
	s_wait_loadcnt 0x0
	global_load_u16 v0, v[2:3], off
	s_wait_loadcnt 0x0
	v_bfe_i32 v0, v0, 0, 16
	s_delay_alu instid0(VALU_DEP_1)
	v_ashrrev_i32_e32 v1, 31, v0
.LBB78_140:
	s_mov_b32 s23, 0
.LBB78_141:
	s_delay_alu instid0(SALU_CYCLE_1)
	s_and_not1_b32 vcc_lo, exec_lo, s23
	s_cbranch_vccnz .LBB78_147
; %bb.142:
	s_cmp_gt_i32 s0, 0
	s_mov_b32 s0, 0
	s_cbranch_scc0 .LBB78_144
; %bb.143:
	s_wait_loadcnt 0x0
	global_load_i8 v0, v[2:3], off
	s_wait_loadcnt 0x0
	v_bfe_i32 v0, v0, 0, 16
	s_delay_alu instid0(VALU_DEP_1)
	v_ashrrev_i32_e32 v1, 31, v0
	s_branch .LBB78_145
.LBB78_144:
	s_mov_b32 s0, -1
                                        ; implicit-def: $vgpr0_vgpr1
.LBB78_145:
	s_delay_alu instid0(SALU_CYCLE_1)
	s_and_not1_b32 vcc_lo, exec_lo, s0
	s_cbranch_vccnz .LBB78_147
; %bb.146:
	s_wait_loadcnt 0x0
	global_load_u8 v0, v[2:3], off
	s_mov_b32 s0, 0
	s_delay_alu instid0(SALU_CYCLE_1)
	v_mov_b32_e32 v1, s0
	s_wait_loadcnt 0x0
	v_and_b32_e32 v0, 0xffff, v0
.LBB78_147:
	s_branch .LBB78_11
.LBB78_148:
	s_mov_b32 s0, 0
	s_mov_b32 s25, 0
	;; [unrolled: 1-line block ×3, first 2 shown]
	s_branch .LBB78_498
.LBB78_149:
	s_mov_b32 s26, -1
.LBB78_150:
	s_mov_b32 s25, 0
                                        ; implicit-def: $vgpr2_vgpr3
.LBB78_151:
	s_and_b32 vcc_lo, exec_lo, s30
	s_cbranch_vccz .LBB78_156
; %bb.152:
	s_cmp_eq_u32 s23, 44
	s_cbranch_scc0 .LBB78_155
; %bb.153:
	global_load_u8 v8, v[4:5], off
	s_mov_b32 s26, 0
	s_mov_b32 s25, -1
	s_wait_loadcnt 0x0
	v_cmp_ne_u32_e32 vcc_lo, 0, v8
	v_lshlrev_b32_e32 v2, 23, v8
	s_delay_alu instid0(VALU_DEP_1) | instskip(NEXT) | instid1(VALU_DEP_1)
	v_trunc_f32_e32 v2, v2
	v_mul_f32_e64 v3, 0x2f800000, |v2|
	s_delay_alu instid0(VALU_DEP_1) | instskip(NEXT) | instid1(VALU_DEP_1)
	v_floor_f32_e32 v3, v3
	v_fma_f32 v6, 0xcf800000, v3, |v2|
	v_ashrrev_i32_e32 v2, 31, v2
	v_cvt_u32_f32_e32 v7, v3
	s_delay_alu instid0(VALU_DEP_3) | instskip(NEXT) | instid1(VALU_DEP_2)
	v_cvt_u32_f32_e32 v6, v6
	v_dual_mov_b32 v3, v2 :: v_dual_bitop2_b32 v7, v7, v2 bitop3:0x14
	s_delay_alu instid0(VALU_DEP_2) | instskip(NEXT) | instid1(VALU_DEP_1)
	v_xor_b32_e32 v6, v6, v2
	v_sub_nc_u64_e32 v[2:3], v[6:7], v[2:3]
	s_delay_alu instid0(VALU_DEP_1)
	v_dual_cndmask_b32 v3, 0, v3 :: v_dual_cndmask_b32 v2, 0, v2
	s_branch .LBB78_156
.LBB78_154:
	s_mov_b32 s30, -1
	s_mov_b32 s25, 0
	s_branch .LBB78_263
.LBB78_155:
	s_mov_b32 s26, -1
                                        ; implicit-def: $vgpr2_vgpr3
.LBB78_156:
	s_mov_b32 s30, 0
.LBB78_157:
	s_delay_alu instid0(SALU_CYCLE_1)
	s_and_b32 vcc_lo, exec_lo, s30
	s_cbranch_vccz .LBB78_161
; %bb.158:
	s_cmp_eq_u32 s23, 29
	s_cbranch_scc0 .LBB78_160
; %bb.159:
	global_load_b64 v[2:3], v[4:5], off
	s_mov_b32 s25, -1
	s_mov_b32 s26, 0
	s_branch .LBB78_161
.LBB78_160:
	s_mov_b32 s26, -1
                                        ; implicit-def: $vgpr2_vgpr3
.LBB78_161:
	s_mov_b32 s30, 0
.LBB78_162:
	s_delay_alu instid0(SALU_CYCLE_1)
	s_and_b32 vcc_lo, exec_lo, s30
	s_cbranch_vccz .LBB78_178
; %bb.163:
	s_cmp_lt_i32 s23, 27
	s_cbranch_scc1 .LBB78_166
; %bb.164:
	s_cmp_gt_i32 s23, 27
	s_cbranch_scc0 .LBB78_167
; %bb.165:
	s_wait_loadcnt 0x0
	global_load_b32 v2, v[4:5], off
	v_mov_b32_e32 v3, 0
	s_mov_b32 s25, 0
	s_branch .LBB78_168
.LBB78_166:
	s_mov_b32 s25, -1
                                        ; implicit-def: $vgpr2_vgpr3
	s_branch .LBB78_171
.LBB78_167:
	s_mov_b32 s25, -1
                                        ; implicit-def: $vgpr2_vgpr3
.LBB78_168:
	s_delay_alu instid0(SALU_CYCLE_1)
	s_and_not1_b32 vcc_lo, exec_lo, s25
	s_cbranch_vccnz .LBB78_170
; %bb.169:
	s_wait_loadcnt 0x0
	global_load_u16 v2, v[4:5], off
	s_mov_b32 s25, 0
	s_delay_alu instid0(SALU_CYCLE_1)
	v_mov_b32_e32 v3, s25
	s_wait_loadcnt 0x0
	v_and_b32_e32 v2, 0xffff, v2
.LBB78_170:
	s_mov_b32 s25, 0
.LBB78_171:
	s_delay_alu instid0(SALU_CYCLE_1)
	s_and_not1_b32 vcc_lo, exec_lo, s25
	s_cbranch_vccnz .LBB78_177
; %bb.172:
	global_load_u8 v6, v[4:5], off
	s_mov_b32 s30, 0
	s_mov_b32 s25, exec_lo
	s_wait_loadcnt 0x0
	v_cmpx_lt_i16_e32 0x7f, v6
	s_xor_b32 s25, exec_lo, s25
	s_cbranch_execz .LBB78_189
; %bb.173:
	v_cmp_ne_u16_e32 vcc_lo, 0x80, v6
	s_and_b32 s30, vcc_lo, exec_lo
	s_and_not1_saveexec_b32 s25, s25
	s_cbranch_execnz .LBB78_190
.LBB78_174:
	s_or_b32 exec_lo, exec_lo, s25
	v_mov_b64_e32 v[2:3], 0
	s_and_saveexec_b32 s25, s30
	s_cbranch_execz .LBB78_176
.LBB78_175:
	v_and_b32_e32 v2, 0xffff, v6
	s_delay_alu instid0(VALU_DEP_1) | instskip(SKIP_1) | instid1(VALU_DEP_2)
	v_and_b32_e32 v3, 7, v2
	v_bfe_u32 v9, v2, 3, 4
	v_clz_i32_u32_e32 v7, v3
	s_delay_alu instid0(VALU_DEP_2) | instskip(NEXT) | instid1(VALU_DEP_2)
	v_cmp_eq_u32_e32 vcc_lo, 0, v9
	v_min_u32_e32 v7, 32, v7
	s_delay_alu instid0(VALU_DEP_1) | instskip(NEXT) | instid1(VALU_DEP_1)
	v_subrev_nc_u32_e32 v8, 28, v7
	v_dual_lshlrev_b32 v2, v8, v2 :: v_dual_sub_nc_u32 v7, 29, v7
	s_delay_alu instid0(VALU_DEP_1) | instskip(NEXT) | instid1(VALU_DEP_2)
	v_and_b32_e32 v2, 7, v2
	v_dual_cndmask_b32 v7, v9, v7 :: v_dual_lshlrev_b32 v6, 24, v6
	s_delay_alu instid0(VALU_DEP_2) | instskip(NEXT) | instid1(VALU_DEP_2)
	v_cndmask_b32_e32 v2, v3, v2, vcc_lo
	v_and_b32_e32 v3, 0x80000000, v6
	s_delay_alu instid0(VALU_DEP_3) | instskip(NEXT) | instid1(VALU_DEP_3)
	v_lshl_add_u32 v6, v7, 23, 0x3b800000
	v_lshlrev_b32_e32 v2, 20, v2
	s_delay_alu instid0(VALU_DEP_1) | instskip(NEXT) | instid1(VALU_DEP_1)
	v_or3_b32 v2, v3, v6, v2
	v_trunc_f32_e32 v2, v2
	s_delay_alu instid0(VALU_DEP_1) | instskip(NEXT) | instid1(VALU_DEP_1)
	v_mul_f32_e64 v3, 0x2f800000, |v2|
	v_floor_f32_e32 v3, v3
	s_delay_alu instid0(VALU_DEP_1) | instskip(SKIP_2) | instid1(VALU_DEP_3)
	v_fma_f32 v6, 0xcf800000, v3, |v2|
	v_ashrrev_i32_e32 v2, 31, v2
	v_cvt_u32_f32_e32 v7, v3
	v_cvt_u32_f32_e32 v6, v6
	s_delay_alu instid0(VALU_DEP_2) | instskip(NEXT) | instid1(VALU_DEP_2)
	v_dual_mov_b32 v3, v2 :: v_dual_bitop2_b32 v7, v7, v2 bitop3:0x14
	v_xor_b32_e32 v6, v6, v2
	s_delay_alu instid0(VALU_DEP_1)
	v_sub_nc_u64_e32 v[2:3], v[6:7], v[2:3]
.LBB78_176:
	s_or_b32 exec_lo, exec_lo, s25
.LBB78_177:
	s_mov_b32 s25, -1
.LBB78_178:
	s_mov_b32 s30, 0
.LBB78_179:
	s_delay_alu instid0(SALU_CYCLE_1)
	s_and_b32 vcc_lo, exec_lo, s30
	s_cbranch_vccz .LBB78_212
; %bb.180:
	s_cmp_gt_i32 s23, 22
	s_cbranch_scc0 .LBB78_188
; %bb.181:
	s_cmp_lt_i32 s23, 24
	s_cbranch_scc1 .LBB78_191
; %bb.182:
	s_cmp_gt_i32 s23, 24
	s_cbranch_scc0 .LBB78_192
; %bb.183:
	global_load_u8 v6, v[4:5], off
	s_mov_b32 s30, 0
	s_mov_b32 s25, exec_lo
	s_wait_loadcnt 0x0
	v_cmpx_lt_i16_e32 0x7f, v6
	s_xor_b32 s25, exec_lo, s25
	s_cbranch_execz .LBB78_204
; %bb.184:
	v_cmp_ne_u16_e32 vcc_lo, 0x80, v6
	s_and_b32 s30, vcc_lo, exec_lo
	s_and_not1_saveexec_b32 s25, s25
	s_cbranch_execnz .LBB78_205
.LBB78_185:
	s_or_b32 exec_lo, exec_lo, s25
	v_mov_b64_e32 v[2:3], 0
	s_and_saveexec_b32 s25, s30
	s_cbranch_execz .LBB78_187
.LBB78_186:
	v_and_b32_e32 v2, 0xffff, v6
	s_delay_alu instid0(VALU_DEP_1) | instskip(SKIP_1) | instid1(VALU_DEP_2)
	v_and_b32_e32 v3, 3, v2
	v_bfe_u32 v9, v2, 2, 5
	v_clz_i32_u32_e32 v7, v3
	s_delay_alu instid0(VALU_DEP_2) | instskip(NEXT) | instid1(VALU_DEP_2)
	v_cmp_eq_u32_e32 vcc_lo, 0, v9
	v_min_u32_e32 v7, 32, v7
	s_delay_alu instid0(VALU_DEP_1) | instskip(NEXT) | instid1(VALU_DEP_1)
	v_subrev_nc_u32_e32 v8, 29, v7
	v_dual_lshlrev_b32 v2, v8, v2 :: v_dual_sub_nc_u32 v7, 30, v7
	s_delay_alu instid0(VALU_DEP_1) | instskip(NEXT) | instid1(VALU_DEP_2)
	v_and_b32_e32 v2, 3, v2
	v_dual_cndmask_b32 v7, v9, v7 :: v_dual_lshlrev_b32 v6, 24, v6
	s_delay_alu instid0(VALU_DEP_2) | instskip(NEXT) | instid1(VALU_DEP_2)
	v_cndmask_b32_e32 v2, v3, v2, vcc_lo
	v_and_b32_e32 v3, 0x80000000, v6
	s_delay_alu instid0(VALU_DEP_3) | instskip(NEXT) | instid1(VALU_DEP_3)
	v_lshl_add_u32 v6, v7, 23, 0x37800000
	v_lshlrev_b32_e32 v2, 21, v2
	s_delay_alu instid0(VALU_DEP_1) | instskip(NEXT) | instid1(VALU_DEP_1)
	v_or3_b32 v2, v3, v6, v2
	v_trunc_f32_e32 v2, v2
	s_delay_alu instid0(VALU_DEP_1) | instskip(NEXT) | instid1(VALU_DEP_1)
	v_mul_f32_e64 v3, 0x2f800000, |v2|
	v_floor_f32_e32 v3, v3
	s_delay_alu instid0(VALU_DEP_1) | instskip(SKIP_2) | instid1(VALU_DEP_3)
	v_fma_f32 v6, 0xcf800000, v3, |v2|
	v_ashrrev_i32_e32 v2, 31, v2
	v_cvt_u32_f32_e32 v7, v3
	v_cvt_u32_f32_e32 v6, v6
	s_delay_alu instid0(VALU_DEP_2) | instskip(NEXT) | instid1(VALU_DEP_2)
	v_dual_mov_b32 v3, v2 :: v_dual_bitop2_b32 v7, v7, v2 bitop3:0x14
	v_xor_b32_e32 v6, v6, v2
	s_delay_alu instid0(VALU_DEP_1)
	v_sub_nc_u64_e32 v[2:3], v[6:7], v[2:3]
.LBB78_187:
	s_or_b32 exec_lo, exec_lo, s25
	s_mov_b32 s25, 0
	s_branch .LBB78_193
.LBB78_188:
	s_mov_b32 s30, -1
                                        ; implicit-def: $vgpr2_vgpr3
	s_branch .LBB78_199
.LBB78_189:
	s_and_not1_saveexec_b32 s25, s25
	s_cbranch_execz .LBB78_174
.LBB78_190:
	v_cmp_ne_u16_e32 vcc_lo, 0, v6
	s_and_not1_b32 s30, s30, exec_lo
	s_and_b32 s31, vcc_lo, exec_lo
	s_delay_alu instid0(SALU_CYCLE_1)
	s_or_b32 s30, s30, s31
	s_or_b32 exec_lo, exec_lo, s25
	v_mov_b64_e32 v[2:3], 0
	s_and_saveexec_b32 s25, s30
	s_cbranch_execnz .LBB78_175
	s_branch .LBB78_176
.LBB78_191:
	s_mov_b32 s25, -1
                                        ; implicit-def: $vgpr2_vgpr3
	s_branch .LBB78_196
.LBB78_192:
	s_mov_b32 s25, -1
                                        ; implicit-def: $vgpr2_vgpr3
.LBB78_193:
	s_delay_alu instid0(SALU_CYCLE_1)
	s_and_b32 vcc_lo, exec_lo, s25
	s_cbranch_vccz .LBB78_195
; %bb.194:
	s_wait_loadcnt 0x0
	global_load_u8 v2, v[4:5], off
	s_wait_loadcnt 0x0
	v_lshlrev_b32_e32 v2, 24, v2
	s_delay_alu instid0(VALU_DEP_1) | instskip(NEXT) | instid1(VALU_DEP_1)
	v_and_b32_e32 v3, 0x7f000000, v2
	v_clz_i32_u32_e32 v6, v3
	v_cmp_ne_u32_e32 vcc_lo, 0, v3
	v_add_nc_u32_e32 v8, 0x1000000, v3
	s_delay_alu instid0(VALU_DEP_3) | instskip(NEXT) | instid1(VALU_DEP_1)
	v_min_u32_e32 v6, 32, v6
	v_sub_nc_u32_e64 v6, v6, 4 clamp
	s_delay_alu instid0(VALU_DEP_1) | instskip(NEXT) | instid1(VALU_DEP_1)
	v_dual_lshlrev_b32 v7, v6, v3 :: v_dual_lshlrev_b32 v6, 23, v6
	v_lshrrev_b32_e32 v7, 4, v7
	s_delay_alu instid0(VALU_DEP_1) | instskip(NEXT) | instid1(VALU_DEP_1)
	v_dual_sub_nc_u32 v6, v7, v6 :: v_dual_ashrrev_i32 v7, 8, v8
	v_add_nc_u32_e32 v6, 0x3c000000, v6
	s_delay_alu instid0(VALU_DEP_1) | instskip(NEXT) | instid1(VALU_DEP_1)
	v_and_or_b32 v6, 0x7f800000, v7, v6
	v_cndmask_b32_e32 v3, 0, v6, vcc_lo
	s_delay_alu instid0(VALU_DEP_1) | instskip(NEXT) | instid1(VALU_DEP_1)
	v_and_or_b32 v2, 0x80000000, v2, v3
	v_trunc_f32_e32 v2, v2
	s_delay_alu instid0(VALU_DEP_1) | instskip(NEXT) | instid1(VALU_DEP_1)
	v_mul_f32_e64 v3, 0x2f800000, |v2|
	v_floor_f32_e32 v3, v3
	s_delay_alu instid0(VALU_DEP_1) | instskip(SKIP_2) | instid1(VALU_DEP_3)
	v_fma_f32 v6, 0xcf800000, v3, |v2|
	v_ashrrev_i32_e32 v2, 31, v2
	v_cvt_u32_f32_e32 v7, v3
	v_cvt_u32_f32_e32 v6, v6
	s_delay_alu instid0(VALU_DEP_2) | instskip(NEXT) | instid1(VALU_DEP_2)
	v_dual_mov_b32 v3, v2 :: v_dual_bitop2_b32 v7, v7, v2 bitop3:0x14
	v_xor_b32_e32 v6, v6, v2
	s_delay_alu instid0(VALU_DEP_1)
	v_sub_nc_u64_e32 v[2:3], v[6:7], v[2:3]
.LBB78_195:
	s_mov_b32 s25, 0
.LBB78_196:
	s_delay_alu instid0(SALU_CYCLE_1)
	s_and_not1_b32 vcc_lo, exec_lo, s25
	s_cbranch_vccnz .LBB78_198
; %bb.197:
	s_wait_loadcnt 0x0
	global_load_u8 v2, v[4:5], off
	s_wait_loadcnt 0x0
	v_lshlrev_b32_e32 v3, 25, v2
	v_lshlrev_b16 v2, 8, v2
	s_delay_alu instid0(VALU_DEP_1) | instskip(SKIP_1) | instid1(VALU_DEP_2)
	v_and_or_b32 v7, 0x7f00, v2, 0.5
	v_bfe_i32 v2, v2, 0, 16
	v_add_f32_e32 v7, -0.5, v7
	v_lshrrev_b32_e32 v6, 4, v3
	v_cmp_gt_u32_e32 vcc_lo, 0x8000000, v3
	s_delay_alu instid0(VALU_DEP_2) | instskip(NEXT) | instid1(VALU_DEP_1)
	v_or_b32_e32 v6, 0x70000000, v6
	v_mul_f32_e32 v6, 0x7800000, v6
	s_delay_alu instid0(VALU_DEP_1) | instskip(NEXT) | instid1(VALU_DEP_1)
	v_cndmask_b32_e32 v3, v6, v7, vcc_lo
	v_and_or_b32 v2, 0x80000000, v2, v3
	s_delay_alu instid0(VALU_DEP_1) | instskip(NEXT) | instid1(VALU_DEP_1)
	v_trunc_f32_e32 v2, v2
	v_mul_f32_e64 v3, 0x2f800000, |v2|
	s_delay_alu instid0(VALU_DEP_1) | instskip(NEXT) | instid1(VALU_DEP_1)
	v_floor_f32_e32 v3, v3
	v_fma_f32 v6, 0xcf800000, v3, |v2|
	v_ashrrev_i32_e32 v2, 31, v2
	v_cvt_u32_f32_e32 v7, v3
	s_delay_alu instid0(VALU_DEP_3) | instskip(NEXT) | instid1(VALU_DEP_2)
	v_cvt_u32_f32_e32 v6, v6
	v_dual_mov_b32 v3, v2 :: v_dual_bitop2_b32 v7, v7, v2 bitop3:0x14
	s_delay_alu instid0(VALU_DEP_2) | instskip(NEXT) | instid1(VALU_DEP_1)
	v_xor_b32_e32 v6, v6, v2
	v_sub_nc_u64_e32 v[2:3], v[6:7], v[2:3]
.LBB78_198:
	s_mov_b32 s30, 0
	s_mov_b32 s25, -1
.LBB78_199:
	s_and_not1_b32 vcc_lo, exec_lo, s30
	s_cbranch_vccnz .LBB78_212
; %bb.200:
	s_cmp_gt_i32 s23, 14
	s_cbranch_scc0 .LBB78_203
; %bb.201:
	s_cmp_eq_u32 s23, 15
	s_cbranch_scc0 .LBB78_206
; %bb.202:
	s_wait_loadcnt 0x0
	global_load_u16 v2, v[4:5], off
	s_mov_b32 s25, -1
	s_mov_b32 s26, 0
	s_wait_loadcnt 0x0
	v_lshlrev_b32_e32 v2, 16, v2
	s_delay_alu instid0(VALU_DEP_1) | instskip(NEXT) | instid1(VALU_DEP_1)
	v_trunc_f32_e32 v2, v2
	v_mul_f32_e64 v3, 0x2f800000, |v2|
	s_delay_alu instid0(VALU_DEP_1) | instskip(NEXT) | instid1(VALU_DEP_1)
	v_floor_f32_e32 v3, v3
	v_fma_f32 v6, 0xcf800000, v3, |v2|
	v_ashrrev_i32_e32 v2, 31, v2
	v_cvt_u32_f32_e32 v7, v3
	s_delay_alu instid0(VALU_DEP_3) | instskip(NEXT) | instid1(VALU_DEP_2)
	v_cvt_u32_f32_e32 v6, v6
	v_dual_mov_b32 v3, v2 :: v_dual_bitop2_b32 v7, v7, v2 bitop3:0x14
	s_delay_alu instid0(VALU_DEP_2) | instskip(NEXT) | instid1(VALU_DEP_1)
	v_xor_b32_e32 v6, v6, v2
	v_sub_nc_u64_e32 v[2:3], v[6:7], v[2:3]
	s_branch .LBB78_207
.LBB78_203:
	s_mov_b32 s30, -1
                                        ; implicit-def: $vgpr2_vgpr3
	s_branch .LBB78_208
.LBB78_204:
	s_and_not1_saveexec_b32 s25, s25
	s_cbranch_execz .LBB78_185
.LBB78_205:
	v_cmp_ne_u16_e32 vcc_lo, 0, v6
	s_and_not1_b32 s30, s30, exec_lo
	s_and_b32 s31, vcc_lo, exec_lo
	s_delay_alu instid0(SALU_CYCLE_1)
	s_or_b32 s30, s30, s31
	s_or_b32 exec_lo, exec_lo, s25
	v_mov_b64_e32 v[2:3], 0
	s_and_saveexec_b32 s25, s30
	s_cbranch_execnz .LBB78_186
	s_branch .LBB78_187
.LBB78_206:
	s_mov_b32 s26, -1
                                        ; implicit-def: $vgpr2_vgpr3
.LBB78_207:
	s_mov_b32 s30, 0
.LBB78_208:
	s_delay_alu instid0(SALU_CYCLE_1)
	s_and_b32 vcc_lo, exec_lo, s30
	s_cbranch_vccz .LBB78_212
; %bb.209:
	s_cmp_eq_u32 s23, 11
	s_cbranch_scc0 .LBB78_211
; %bb.210:
	s_wait_loadcnt 0x0
	global_load_u8 v2, v[4:5], off
	s_mov_b32 s26, 0
	s_mov_b32 s25, -1
	v_mov_b32_e32 v3, s26
	s_wait_loadcnt 0x0
	v_cmp_ne_u16_e32 vcc_lo, 0, v2
	v_cndmask_b32_e64 v2, 0, 1, vcc_lo
	s_branch .LBB78_212
.LBB78_211:
	s_mov_b32 s26, -1
                                        ; implicit-def: $vgpr2_vgpr3
.LBB78_212:
	s_branch .LBB78_20
.LBB78_213:
	s_and_b32 s0, 0xffff, s0
	s_delay_alu instid0(SALU_CYCLE_1)
	s_cmp_lt_i32 s0, 5
	s_cbranch_scc1 .LBB78_218
; %bb.214:
	s_cmp_lt_i32 s0, 8
	s_cbranch_scc1 .LBB78_219
; %bb.215:
	;; [unrolled: 3-line block ×3, first 2 shown]
	s_cmp_gt_i32 s0, 9
	s_cbranch_scc0 .LBB78_221
; %bb.217:
	s_wait_loadcnt 0x0
	global_load_b64 v[2:3], v[4:5], off
	s_mov_b32 s23, 0
	s_wait_loadcnt 0x0
	v_trunc_f64_e32 v[2:3], v[2:3]
	s_delay_alu instid0(VALU_DEP_1) | instskip(NEXT) | instid1(VALU_DEP_1)
	v_ldexp_f64 v[6:7], v[2:3], 0xffffffe0
	v_floor_f64_e32 v[6:7], v[6:7]
	s_delay_alu instid0(VALU_DEP_1) | instskip(SKIP_1) | instid1(VALU_DEP_2)
	v_fmamk_f64 v[8:9], v[6:7], 0xc1f00000, v[2:3]
	v_cvt_i32_f64_e32 v3, v[6:7]
	v_cvt_u32_f64_e32 v2, v[8:9]
	s_branch .LBB78_222
.LBB78_218:
	s_mov_b32 s23, -1
                                        ; implicit-def: $vgpr2_vgpr3
	s_branch .LBB78_240
.LBB78_219:
	s_mov_b32 s23, -1
                                        ; implicit-def: $vgpr2_vgpr3
	s_branch .LBB78_228
.LBB78_220:
	s_mov_b32 s23, -1
                                        ; implicit-def: $vgpr2_vgpr3
	s_branch .LBB78_225
.LBB78_221:
	s_mov_b32 s23, -1
                                        ; implicit-def: $vgpr2_vgpr3
.LBB78_222:
	s_delay_alu instid0(SALU_CYCLE_1)
	s_and_not1_b32 vcc_lo, exec_lo, s23
	s_cbranch_vccnz .LBB78_224
; %bb.223:
	s_wait_loadcnt 0x0
	global_load_b32 v2, v[4:5], off
	s_wait_loadcnt 0x0
	v_trunc_f32_e32 v2, v2
	s_delay_alu instid0(VALU_DEP_1) | instskip(NEXT) | instid1(VALU_DEP_1)
	v_mul_f32_e64 v3, 0x2f800000, |v2|
	v_floor_f32_e32 v3, v3
	s_delay_alu instid0(VALU_DEP_1) | instskip(SKIP_2) | instid1(VALU_DEP_3)
	v_fma_f32 v6, 0xcf800000, v3, |v2|
	v_ashrrev_i32_e32 v2, 31, v2
	v_cvt_u32_f32_e32 v7, v3
	v_cvt_u32_f32_e32 v6, v6
	s_delay_alu instid0(VALU_DEP_2) | instskip(NEXT) | instid1(VALU_DEP_2)
	v_dual_mov_b32 v3, v2 :: v_dual_bitop2_b32 v7, v7, v2 bitop3:0x14
	v_xor_b32_e32 v6, v6, v2
	s_delay_alu instid0(VALU_DEP_1)
	v_sub_nc_u64_e32 v[2:3], v[6:7], v[2:3]
.LBB78_224:
	s_mov_b32 s23, 0
.LBB78_225:
	s_delay_alu instid0(SALU_CYCLE_1)
	s_and_not1_b32 vcc_lo, exec_lo, s23
	s_cbranch_vccnz .LBB78_227
; %bb.226:
	s_wait_loadcnt 0x0
	global_load_b32 v2, v[4:5], off
	s_wait_loadcnt 0x0
	v_cvt_f32_f16_e32 v2, v2
	s_delay_alu instid0(VALU_DEP_1) | instskip(NEXT) | instid1(VALU_DEP_1)
	v_cvt_i32_f32_e32 v2, v2
	v_ashrrev_i32_e32 v3, 31, v2
.LBB78_227:
	s_mov_b32 s23, 0
.LBB78_228:
	s_delay_alu instid0(SALU_CYCLE_1)
	s_and_not1_b32 vcc_lo, exec_lo, s23
	s_cbranch_vccnz .LBB78_239
; %bb.229:
	s_cmp_lt_i32 s0, 6
	s_cbranch_scc1 .LBB78_232
; %bb.230:
	s_cmp_gt_i32 s0, 6
	s_cbranch_scc0 .LBB78_233
; %bb.231:
	s_wait_loadcnt 0x0
	global_load_b64 v[2:3], v[4:5], off
	s_mov_b32 s23, 0
	s_wait_loadcnt 0x0
	v_trunc_f64_e32 v[2:3], v[2:3]
	s_delay_alu instid0(VALU_DEP_1) | instskip(NEXT) | instid1(VALU_DEP_1)
	v_ldexp_f64 v[6:7], v[2:3], 0xffffffe0
	v_floor_f64_e32 v[6:7], v[6:7]
	s_delay_alu instid0(VALU_DEP_1) | instskip(SKIP_1) | instid1(VALU_DEP_2)
	v_fmamk_f64 v[8:9], v[6:7], 0xc1f00000, v[2:3]
	v_cvt_i32_f64_e32 v3, v[6:7]
	v_cvt_u32_f64_e32 v2, v[8:9]
	s_branch .LBB78_234
.LBB78_232:
	s_mov_b32 s23, -1
                                        ; implicit-def: $vgpr2_vgpr3
	s_branch .LBB78_237
.LBB78_233:
	s_mov_b32 s23, -1
                                        ; implicit-def: $vgpr2_vgpr3
.LBB78_234:
	s_delay_alu instid0(SALU_CYCLE_1)
	s_and_not1_b32 vcc_lo, exec_lo, s23
	s_cbranch_vccnz .LBB78_236
; %bb.235:
	s_wait_loadcnt 0x0
	global_load_b32 v2, v[4:5], off
	s_wait_loadcnt 0x0
	v_trunc_f32_e32 v2, v2
	s_delay_alu instid0(VALU_DEP_1) | instskip(NEXT) | instid1(VALU_DEP_1)
	v_mul_f32_e64 v3, 0x2f800000, |v2|
	v_floor_f32_e32 v3, v3
	s_delay_alu instid0(VALU_DEP_1) | instskip(SKIP_2) | instid1(VALU_DEP_3)
	v_fma_f32 v6, 0xcf800000, v3, |v2|
	v_ashrrev_i32_e32 v2, 31, v2
	v_cvt_u32_f32_e32 v7, v3
	v_cvt_u32_f32_e32 v6, v6
	s_delay_alu instid0(VALU_DEP_2) | instskip(NEXT) | instid1(VALU_DEP_2)
	v_dual_mov_b32 v3, v2 :: v_dual_bitop2_b32 v7, v7, v2 bitop3:0x14
	v_xor_b32_e32 v6, v6, v2
	s_delay_alu instid0(VALU_DEP_1)
	v_sub_nc_u64_e32 v[2:3], v[6:7], v[2:3]
.LBB78_236:
	s_mov_b32 s23, 0
.LBB78_237:
	s_delay_alu instid0(SALU_CYCLE_1)
	s_and_not1_b32 vcc_lo, exec_lo, s23
	s_cbranch_vccnz .LBB78_239
; %bb.238:
	s_wait_loadcnt 0x0
	global_load_u16 v2, v[4:5], off
	s_wait_loadcnt 0x0
	v_cvt_f32_f16_e32 v2, v2
	s_delay_alu instid0(VALU_DEP_1) | instskip(NEXT) | instid1(VALU_DEP_1)
	v_cvt_i32_f32_e32 v2, v2
	v_ashrrev_i32_e32 v3, 31, v2
.LBB78_239:
	s_mov_b32 s23, 0
.LBB78_240:
	s_delay_alu instid0(SALU_CYCLE_1)
	s_and_not1_b32 vcc_lo, exec_lo, s23
	s_cbranch_vccnz .LBB78_260
; %bb.241:
	s_cmp_lt_i32 s0, 2
	s_cbranch_scc1 .LBB78_245
; %bb.242:
	s_cmp_lt_i32 s0, 3
	s_cbranch_scc1 .LBB78_246
; %bb.243:
	s_cmp_gt_i32 s0, 3
	s_cbranch_scc0 .LBB78_247
; %bb.244:
	s_wait_loadcnt 0x0
	global_load_b64 v[2:3], v[4:5], off
	s_mov_b32 s23, 0
	s_branch .LBB78_248
.LBB78_245:
	s_mov_b32 s23, -1
                                        ; implicit-def: $vgpr2_vgpr3
	s_branch .LBB78_254
.LBB78_246:
	s_mov_b32 s23, -1
                                        ; implicit-def: $vgpr2_vgpr3
	s_branch .LBB78_251
.LBB78_247:
	s_mov_b32 s23, -1
                                        ; implicit-def: $vgpr2_vgpr3
.LBB78_248:
	s_delay_alu instid0(SALU_CYCLE_1)
	s_and_not1_b32 vcc_lo, exec_lo, s23
	s_cbranch_vccnz .LBB78_250
; %bb.249:
	s_wait_loadcnt 0x0
	global_load_b32 v2, v[4:5], off
	s_wait_loadcnt 0x0
	v_ashrrev_i32_e32 v3, 31, v2
.LBB78_250:
	s_mov_b32 s23, 0
.LBB78_251:
	s_delay_alu instid0(SALU_CYCLE_1)
	s_and_not1_b32 vcc_lo, exec_lo, s23
	s_cbranch_vccnz .LBB78_253
; %bb.252:
	s_wait_loadcnt 0x0
	global_load_u16 v2, v[4:5], off
	s_wait_loadcnt 0x0
	v_bfe_i32 v2, v2, 0, 16
	s_delay_alu instid0(VALU_DEP_1)
	v_ashrrev_i32_e32 v3, 31, v2
.LBB78_253:
	s_mov_b32 s23, 0
.LBB78_254:
	s_delay_alu instid0(SALU_CYCLE_1)
	s_and_not1_b32 vcc_lo, exec_lo, s23
	s_cbranch_vccnz .LBB78_260
; %bb.255:
	s_cmp_gt_i32 s0, 0
	s_mov_b32 s0, 0
	s_cbranch_scc0 .LBB78_257
; %bb.256:
	s_wait_loadcnt 0x0
	global_load_i8 v2, v[4:5], off
	s_wait_loadcnt 0x0
	v_bfe_i32 v2, v2, 0, 16
	s_delay_alu instid0(VALU_DEP_1)
	v_ashrrev_i32_e32 v3, 31, v2
	s_branch .LBB78_258
.LBB78_257:
	s_mov_b32 s0, -1
                                        ; implicit-def: $vgpr2_vgpr3
.LBB78_258:
	s_delay_alu instid0(SALU_CYCLE_1)
	s_and_not1_b32 vcc_lo, exec_lo, s0
	s_cbranch_vccnz .LBB78_260
; %bb.259:
	s_wait_loadcnt 0x0
	global_load_u8 v2, v[4:5], off
	s_mov_b32 s0, 0
	s_delay_alu instid0(SALU_CYCLE_1)
	v_mov_b32_e32 v3, s0
	s_wait_loadcnt 0x0
	v_and_b32_e32 v2, 0xffff, v2
.LBB78_260:
	s_branch .LBB78_21
.LBB78_261:
	s_mov_b32 s0, 0
	s_mov_b32 s25, 0
	s_branch .LBB78_498
.LBB78_262:
	s_mov_b32 s25, -1
.LBB78_263:
	s_mov_b32 s23, 0
                                        ; implicit-def: $vgpr6_vgpr7
.LBB78_264:
	s_and_b32 vcc_lo, exec_lo, s30
	s_cbranch_vccz .LBB78_268
; %bb.265:
	s_cmp_eq_u32 s0, 44
	s_cbranch_scc0 .LBB78_267
; %bb.266:
	global_load_u8 v10, v[4:5], off
	s_mov_b32 s25, 0
	s_mov_b32 s23, -1
	s_wait_loadcnt 0x0
	v_cmp_ne_u32_e32 vcc_lo, 0, v10
	v_lshlrev_b32_e32 v6, 23, v10
	s_delay_alu instid0(VALU_DEP_1) | instskip(NEXT) | instid1(VALU_DEP_1)
	v_trunc_f32_e32 v6, v6
	v_mul_f32_e64 v7, 0x2f800000, |v6|
	s_delay_alu instid0(VALU_DEP_1) | instskip(NEXT) | instid1(VALU_DEP_1)
	v_floor_f32_e32 v7, v7
	v_fma_f32 v8, 0xcf800000, v7, |v6|
	v_ashrrev_i32_e32 v6, 31, v6
	v_cvt_u32_f32_e32 v9, v7
	s_delay_alu instid0(VALU_DEP_3) | instskip(NEXT) | instid1(VALU_DEP_2)
	v_cvt_u32_f32_e32 v8, v8
	v_dual_mov_b32 v7, v6 :: v_dual_bitop2_b32 v9, v9, v6 bitop3:0x14
	s_delay_alu instid0(VALU_DEP_2) | instskip(NEXT) | instid1(VALU_DEP_1)
	v_xor_b32_e32 v8, v8, v6
	v_sub_nc_u64_e32 v[6:7], v[8:9], v[6:7]
	s_delay_alu instid0(VALU_DEP_1)
	v_dual_cndmask_b32 v7, 0, v7 :: v_dual_cndmask_b32 v6, 0, v6
	s_branch .LBB78_268
.LBB78_267:
	s_mov_b32 s25, -1
                                        ; implicit-def: $vgpr6_vgpr7
.LBB78_268:
	s_mov_b32 s30, 0
.LBB78_269:
	s_delay_alu instid0(SALU_CYCLE_1)
	s_and_b32 vcc_lo, exec_lo, s30
	s_cbranch_vccz .LBB78_273
; %bb.270:
	s_cmp_eq_u32 s0, 29
	s_cbranch_scc0 .LBB78_272
; %bb.271:
	global_load_b64 v[6:7], v[4:5], off
	s_mov_b32 s23, -1
	s_mov_b32 s25, 0
	s_branch .LBB78_273
.LBB78_272:
	s_mov_b32 s25, -1
                                        ; implicit-def: $vgpr6_vgpr7
.LBB78_273:
	s_mov_b32 s30, 0
.LBB78_274:
	s_delay_alu instid0(SALU_CYCLE_1)
	s_and_b32 vcc_lo, exec_lo, s30
	s_cbranch_vccz .LBB78_290
; %bb.275:
	s_cmp_lt_i32 s0, 27
	s_cbranch_scc1 .LBB78_278
; %bb.276:
	s_cmp_gt_i32 s0, 27
	s_cbranch_scc0 .LBB78_279
; %bb.277:
	s_wait_loadcnt 0x0
	global_load_b32 v6, v[4:5], off
	v_mov_b32_e32 v7, 0
	s_mov_b32 s23, 0
	s_branch .LBB78_280
.LBB78_278:
	s_mov_b32 s23, -1
                                        ; implicit-def: $vgpr6_vgpr7
	s_branch .LBB78_283
.LBB78_279:
	s_mov_b32 s23, -1
                                        ; implicit-def: $vgpr6_vgpr7
.LBB78_280:
	s_delay_alu instid0(SALU_CYCLE_1)
	s_and_not1_b32 vcc_lo, exec_lo, s23
	s_cbranch_vccnz .LBB78_282
; %bb.281:
	s_wait_loadcnt 0x0
	global_load_u16 v6, v[4:5], off
	s_mov_b32 s23, 0
	s_delay_alu instid0(SALU_CYCLE_1)
	v_mov_b32_e32 v7, s23
	s_wait_loadcnt 0x0
	v_and_b32_e32 v6, 0xffff, v6
.LBB78_282:
	s_mov_b32 s23, 0
.LBB78_283:
	s_delay_alu instid0(SALU_CYCLE_1)
	s_and_not1_b32 vcc_lo, exec_lo, s23
	s_cbranch_vccnz .LBB78_289
; %bb.284:
	global_load_u8 v8, v[4:5], off
	s_mov_b32 s30, 0
	s_mov_b32 s23, exec_lo
	s_wait_loadcnt 0x0
	v_cmpx_lt_i16_e32 0x7f, v8
	s_xor_b32 s23, exec_lo, s23
	s_cbranch_execz .LBB78_301
; %bb.285:
	v_cmp_ne_u16_e32 vcc_lo, 0x80, v8
	s_and_b32 s30, vcc_lo, exec_lo
	s_and_not1_saveexec_b32 s23, s23
	s_cbranch_execnz .LBB78_302
.LBB78_286:
	s_or_b32 exec_lo, exec_lo, s23
	v_mov_b64_e32 v[6:7], 0
	s_and_saveexec_b32 s23, s30
	s_cbranch_execz .LBB78_288
.LBB78_287:
	v_and_b32_e32 v6, 0xffff, v8
	s_delay_alu instid0(VALU_DEP_1) | instskip(SKIP_1) | instid1(VALU_DEP_2)
	v_and_b32_e32 v7, 7, v6
	v_bfe_u32 v11, v6, 3, 4
	v_clz_i32_u32_e32 v9, v7
	s_delay_alu instid0(VALU_DEP_2) | instskip(NEXT) | instid1(VALU_DEP_2)
	v_cmp_eq_u32_e32 vcc_lo, 0, v11
	v_min_u32_e32 v9, 32, v9
	s_delay_alu instid0(VALU_DEP_1) | instskip(NEXT) | instid1(VALU_DEP_1)
	v_subrev_nc_u32_e32 v10, 28, v9
	v_dual_lshlrev_b32 v6, v10, v6 :: v_dual_sub_nc_u32 v9, 29, v9
	s_delay_alu instid0(VALU_DEP_1) | instskip(NEXT) | instid1(VALU_DEP_2)
	v_dual_lshlrev_b32 v8, 24, v8 :: v_dual_bitop2_b32 v6, 7, v6 bitop3:0x40
	v_cndmask_b32_e32 v9, v11, v9, vcc_lo
	s_delay_alu instid0(VALU_DEP_2) | instskip(NEXT) | instid1(VALU_DEP_3)
	v_cndmask_b32_e32 v6, v7, v6, vcc_lo
	v_and_b32_e32 v7, 0x80000000, v8
	s_delay_alu instid0(VALU_DEP_3) | instskip(NEXT) | instid1(VALU_DEP_3)
	v_lshl_add_u32 v8, v9, 23, 0x3b800000
	v_lshlrev_b32_e32 v6, 20, v6
	s_delay_alu instid0(VALU_DEP_1) | instskip(NEXT) | instid1(VALU_DEP_1)
	v_or3_b32 v6, v7, v8, v6
	v_trunc_f32_e32 v6, v6
	s_delay_alu instid0(VALU_DEP_1) | instskip(NEXT) | instid1(VALU_DEP_1)
	v_mul_f32_e64 v7, 0x2f800000, |v6|
	v_floor_f32_e32 v7, v7
	s_delay_alu instid0(VALU_DEP_1) | instskip(SKIP_2) | instid1(VALU_DEP_3)
	v_fma_f32 v8, 0xcf800000, v7, |v6|
	v_ashrrev_i32_e32 v6, 31, v6
	v_cvt_u32_f32_e32 v9, v7
	v_cvt_u32_f32_e32 v8, v8
	s_delay_alu instid0(VALU_DEP_2) | instskip(NEXT) | instid1(VALU_DEP_2)
	v_dual_mov_b32 v7, v6 :: v_dual_bitop2_b32 v9, v9, v6 bitop3:0x14
	v_xor_b32_e32 v8, v8, v6
	s_delay_alu instid0(VALU_DEP_1)
	v_sub_nc_u64_e32 v[6:7], v[8:9], v[6:7]
.LBB78_288:
	s_or_b32 exec_lo, exec_lo, s23
.LBB78_289:
	s_mov_b32 s23, -1
.LBB78_290:
	s_mov_b32 s30, 0
.LBB78_291:
	s_delay_alu instid0(SALU_CYCLE_1)
	s_and_b32 vcc_lo, exec_lo, s30
	s_cbranch_vccz .LBB78_324
; %bb.292:
	s_cmp_gt_i32 s0, 22
	s_cbranch_scc0 .LBB78_300
; %bb.293:
	s_cmp_lt_i32 s0, 24
	s_cbranch_scc1 .LBB78_303
; %bb.294:
	s_cmp_gt_i32 s0, 24
	s_cbranch_scc0 .LBB78_304
; %bb.295:
	global_load_u8 v8, v[4:5], off
	s_mov_b32 s30, 0
	s_mov_b32 s23, exec_lo
	s_wait_loadcnt 0x0
	v_cmpx_lt_i16_e32 0x7f, v8
	s_xor_b32 s23, exec_lo, s23
	s_cbranch_execz .LBB78_316
; %bb.296:
	v_cmp_ne_u16_e32 vcc_lo, 0x80, v8
	s_and_b32 s30, vcc_lo, exec_lo
	s_and_not1_saveexec_b32 s23, s23
	s_cbranch_execnz .LBB78_317
.LBB78_297:
	s_or_b32 exec_lo, exec_lo, s23
	v_mov_b64_e32 v[6:7], 0
	s_and_saveexec_b32 s23, s30
	s_cbranch_execz .LBB78_299
.LBB78_298:
	v_and_b32_e32 v6, 0xffff, v8
	s_delay_alu instid0(VALU_DEP_1) | instskip(SKIP_1) | instid1(VALU_DEP_2)
	v_and_b32_e32 v7, 3, v6
	v_bfe_u32 v11, v6, 2, 5
	v_clz_i32_u32_e32 v9, v7
	s_delay_alu instid0(VALU_DEP_2) | instskip(NEXT) | instid1(VALU_DEP_2)
	v_cmp_eq_u32_e32 vcc_lo, 0, v11
	v_min_u32_e32 v9, 32, v9
	s_delay_alu instid0(VALU_DEP_1) | instskip(NEXT) | instid1(VALU_DEP_1)
	v_subrev_nc_u32_e32 v10, 29, v9
	v_dual_lshlrev_b32 v6, v10, v6 :: v_dual_sub_nc_u32 v9, 30, v9
	s_delay_alu instid0(VALU_DEP_1) | instskip(NEXT) | instid1(VALU_DEP_2)
	v_dual_lshlrev_b32 v8, 24, v8 :: v_dual_bitop2_b32 v6, 3, v6 bitop3:0x40
	v_cndmask_b32_e32 v9, v11, v9, vcc_lo
	s_delay_alu instid0(VALU_DEP_2) | instskip(NEXT) | instid1(VALU_DEP_3)
	v_cndmask_b32_e32 v6, v7, v6, vcc_lo
	v_and_b32_e32 v7, 0x80000000, v8
	s_delay_alu instid0(VALU_DEP_3) | instskip(NEXT) | instid1(VALU_DEP_3)
	v_lshl_add_u32 v8, v9, 23, 0x37800000
	v_lshlrev_b32_e32 v6, 21, v6
	s_delay_alu instid0(VALU_DEP_1) | instskip(NEXT) | instid1(VALU_DEP_1)
	v_or3_b32 v6, v7, v8, v6
	v_trunc_f32_e32 v6, v6
	s_delay_alu instid0(VALU_DEP_1) | instskip(NEXT) | instid1(VALU_DEP_1)
	v_mul_f32_e64 v7, 0x2f800000, |v6|
	v_floor_f32_e32 v7, v7
	s_delay_alu instid0(VALU_DEP_1) | instskip(SKIP_2) | instid1(VALU_DEP_3)
	v_fma_f32 v8, 0xcf800000, v7, |v6|
	v_ashrrev_i32_e32 v6, 31, v6
	v_cvt_u32_f32_e32 v9, v7
	v_cvt_u32_f32_e32 v8, v8
	s_delay_alu instid0(VALU_DEP_2) | instskip(NEXT) | instid1(VALU_DEP_2)
	v_dual_mov_b32 v7, v6 :: v_dual_bitop2_b32 v9, v9, v6 bitop3:0x14
	v_xor_b32_e32 v8, v8, v6
	s_delay_alu instid0(VALU_DEP_1)
	v_sub_nc_u64_e32 v[6:7], v[8:9], v[6:7]
.LBB78_299:
	s_or_b32 exec_lo, exec_lo, s23
	s_mov_b32 s23, 0
	s_branch .LBB78_305
.LBB78_300:
	s_mov_b32 s30, -1
                                        ; implicit-def: $vgpr6_vgpr7
	s_branch .LBB78_311
.LBB78_301:
	s_and_not1_saveexec_b32 s23, s23
	s_cbranch_execz .LBB78_286
.LBB78_302:
	v_cmp_ne_u16_e32 vcc_lo, 0, v8
	s_and_not1_b32 s30, s30, exec_lo
	s_and_b32 s31, vcc_lo, exec_lo
	s_delay_alu instid0(SALU_CYCLE_1)
	s_or_b32 s30, s30, s31
	s_or_b32 exec_lo, exec_lo, s23
	v_mov_b64_e32 v[6:7], 0
	s_and_saveexec_b32 s23, s30
	s_cbranch_execnz .LBB78_287
	s_branch .LBB78_288
.LBB78_303:
	s_mov_b32 s23, -1
                                        ; implicit-def: $vgpr6_vgpr7
	s_branch .LBB78_308
.LBB78_304:
	s_mov_b32 s23, -1
                                        ; implicit-def: $vgpr6_vgpr7
.LBB78_305:
	s_delay_alu instid0(SALU_CYCLE_1)
	s_and_b32 vcc_lo, exec_lo, s23
	s_cbranch_vccz .LBB78_307
; %bb.306:
	s_wait_loadcnt 0x0
	global_load_u8 v6, v[4:5], off
	s_wait_loadcnt 0x0
	v_lshlrev_b32_e32 v6, 24, v6
	s_delay_alu instid0(VALU_DEP_1) | instskip(NEXT) | instid1(VALU_DEP_1)
	v_and_b32_e32 v7, 0x7f000000, v6
	v_clz_i32_u32_e32 v8, v7
	v_cmp_ne_u32_e32 vcc_lo, 0, v7
	v_add_nc_u32_e32 v10, 0x1000000, v7
	s_delay_alu instid0(VALU_DEP_3) | instskip(NEXT) | instid1(VALU_DEP_1)
	v_min_u32_e32 v8, 32, v8
	v_sub_nc_u32_e64 v8, v8, 4 clamp
	s_delay_alu instid0(VALU_DEP_1) | instskip(NEXT) | instid1(VALU_DEP_1)
	v_dual_lshlrev_b32 v9, v8, v7 :: v_dual_lshlrev_b32 v8, 23, v8
	v_lshrrev_b32_e32 v9, 4, v9
	s_delay_alu instid0(VALU_DEP_1) | instskip(NEXT) | instid1(VALU_DEP_1)
	v_dual_sub_nc_u32 v8, v9, v8 :: v_dual_ashrrev_i32 v9, 8, v10
	v_add_nc_u32_e32 v8, 0x3c000000, v8
	s_delay_alu instid0(VALU_DEP_1) | instskip(NEXT) | instid1(VALU_DEP_1)
	v_and_or_b32 v8, 0x7f800000, v9, v8
	v_cndmask_b32_e32 v7, 0, v8, vcc_lo
	s_delay_alu instid0(VALU_DEP_1) | instskip(NEXT) | instid1(VALU_DEP_1)
	v_and_or_b32 v6, 0x80000000, v6, v7
	v_trunc_f32_e32 v6, v6
	s_delay_alu instid0(VALU_DEP_1) | instskip(NEXT) | instid1(VALU_DEP_1)
	v_mul_f32_e64 v7, 0x2f800000, |v6|
	v_floor_f32_e32 v7, v7
	s_delay_alu instid0(VALU_DEP_1) | instskip(SKIP_2) | instid1(VALU_DEP_3)
	v_fma_f32 v8, 0xcf800000, v7, |v6|
	v_ashrrev_i32_e32 v6, 31, v6
	v_cvt_u32_f32_e32 v9, v7
	v_cvt_u32_f32_e32 v8, v8
	s_delay_alu instid0(VALU_DEP_2) | instskip(NEXT) | instid1(VALU_DEP_2)
	v_dual_mov_b32 v7, v6 :: v_dual_bitop2_b32 v9, v9, v6 bitop3:0x14
	v_xor_b32_e32 v8, v8, v6
	s_delay_alu instid0(VALU_DEP_1)
	v_sub_nc_u64_e32 v[6:7], v[8:9], v[6:7]
.LBB78_307:
	s_mov_b32 s23, 0
.LBB78_308:
	s_delay_alu instid0(SALU_CYCLE_1)
	s_and_not1_b32 vcc_lo, exec_lo, s23
	s_cbranch_vccnz .LBB78_310
; %bb.309:
	s_wait_loadcnt 0x0
	global_load_u8 v6, v[4:5], off
	s_wait_loadcnt 0x0
	v_lshlrev_b32_e32 v7, 25, v6
	v_lshlrev_b16 v6, 8, v6
	s_delay_alu instid0(VALU_DEP_1) | instskip(SKIP_1) | instid1(VALU_DEP_2)
	v_and_or_b32 v9, 0x7f00, v6, 0.5
	v_bfe_i32 v6, v6, 0, 16
	v_dual_add_f32 v9, -0.5, v9 :: v_dual_lshrrev_b32 v8, 4, v7
	v_cmp_gt_u32_e32 vcc_lo, 0x8000000, v7
	s_delay_alu instid0(VALU_DEP_2) | instskip(NEXT) | instid1(VALU_DEP_1)
	v_or_b32_e32 v8, 0x70000000, v8
	v_mul_f32_e32 v8, 0x7800000, v8
	s_delay_alu instid0(VALU_DEP_1) | instskip(NEXT) | instid1(VALU_DEP_1)
	v_cndmask_b32_e32 v7, v8, v9, vcc_lo
	v_and_or_b32 v6, 0x80000000, v6, v7
	s_delay_alu instid0(VALU_DEP_1) | instskip(NEXT) | instid1(VALU_DEP_1)
	v_trunc_f32_e32 v6, v6
	v_mul_f32_e64 v7, 0x2f800000, |v6|
	s_delay_alu instid0(VALU_DEP_1) | instskip(NEXT) | instid1(VALU_DEP_1)
	v_floor_f32_e32 v7, v7
	v_fma_f32 v8, 0xcf800000, v7, |v6|
	v_ashrrev_i32_e32 v6, 31, v6
	v_cvt_u32_f32_e32 v9, v7
	s_delay_alu instid0(VALU_DEP_3) | instskip(NEXT) | instid1(VALU_DEP_2)
	v_cvt_u32_f32_e32 v8, v8
	v_dual_mov_b32 v7, v6 :: v_dual_bitop2_b32 v9, v9, v6 bitop3:0x14
	s_delay_alu instid0(VALU_DEP_2) | instskip(NEXT) | instid1(VALU_DEP_1)
	v_xor_b32_e32 v8, v8, v6
	v_sub_nc_u64_e32 v[6:7], v[8:9], v[6:7]
.LBB78_310:
	s_mov_b32 s30, 0
	s_mov_b32 s23, -1
.LBB78_311:
	s_and_not1_b32 vcc_lo, exec_lo, s30
	s_cbranch_vccnz .LBB78_324
; %bb.312:
	s_cmp_gt_i32 s0, 14
	s_cbranch_scc0 .LBB78_315
; %bb.313:
	s_cmp_eq_u32 s0, 15
	s_cbranch_scc0 .LBB78_318
; %bb.314:
	s_wait_loadcnt 0x0
	global_load_u16 v6, v[4:5], off
	s_mov_b32 s23, -1
	s_mov_b32 s25, 0
	s_wait_loadcnt 0x0
	v_lshlrev_b32_e32 v6, 16, v6
	s_delay_alu instid0(VALU_DEP_1) | instskip(NEXT) | instid1(VALU_DEP_1)
	v_trunc_f32_e32 v6, v6
	v_mul_f32_e64 v7, 0x2f800000, |v6|
	s_delay_alu instid0(VALU_DEP_1) | instskip(NEXT) | instid1(VALU_DEP_1)
	v_floor_f32_e32 v7, v7
	v_fma_f32 v8, 0xcf800000, v7, |v6|
	v_ashrrev_i32_e32 v6, 31, v6
	v_cvt_u32_f32_e32 v9, v7
	s_delay_alu instid0(VALU_DEP_3) | instskip(NEXT) | instid1(VALU_DEP_2)
	v_cvt_u32_f32_e32 v8, v8
	v_dual_mov_b32 v7, v6 :: v_dual_bitop2_b32 v9, v9, v6 bitop3:0x14
	s_delay_alu instid0(VALU_DEP_2) | instskip(NEXT) | instid1(VALU_DEP_1)
	v_xor_b32_e32 v8, v8, v6
	v_sub_nc_u64_e32 v[6:7], v[8:9], v[6:7]
	s_branch .LBB78_319
.LBB78_315:
	s_mov_b32 s30, -1
                                        ; implicit-def: $vgpr6_vgpr7
	s_branch .LBB78_320
.LBB78_316:
	s_and_not1_saveexec_b32 s23, s23
	s_cbranch_execz .LBB78_297
.LBB78_317:
	v_cmp_ne_u16_e32 vcc_lo, 0, v8
	s_and_not1_b32 s30, s30, exec_lo
	s_and_b32 s31, vcc_lo, exec_lo
	s_delay_alu instid0(SALU_CYCLE_1)
	s_or_b32 s30, s30, s31
	s_or_b32 exec_lo, exec_lo, s23
	v_mov_b64_e32 v[6:7], 0
	s_and_saveexec_b32 s23, s30
	s_cbranch_execnz .LBB78_298
	s_branch .LBB78_299
.LBB78_318:
	s_mov_b32 s25, -1
                                        ; implicit-def: $vgpr6_vgpr7
.LBB78_319:
	s_mov_b32 s30, 0
.LBB78_320:
	s_delay_alu instid0(SALU_CYCLE_1)
	s_and_b32 vcc_lo, exec_lo, s30
	s_cbranch_vccz .LBB78_324
; %bb.321:
	s_cmp_eq_u32 s0, 11
	s_cbranch_scc0 .LBB78_323
; %bb.322:
	s_wait_loadcnt 0x0
	global_load_u8 v6, v[4:5], off
	s_mov_b32 s25, 0
	s_mov_b32 s23, -1
	v_mov_b32_e32 v7, s25
	s_wait_loadcnt 0x0
	v_cmp_ne_u16_e32 vcc_lo, 0, v6
	v_cndmask_b32_e64 v6, 0, 1, vcc_lo
	s_branch .LBB78_324
.LBB78_323:
	s_mov_b32 s25, -1
                                        ; implicit-def: $vgpr6_vgpr7
.LBB78_324:
	s_mov_b32 s30, 0
.LBB78_325:
	s_delay_alu instid0(SALU_CYCLE_1)
	s_and_b32 vcc_lo, exec_lo, s30
	s_cbranch_vccz .LBB78_374
; %bb.326:
	s_cmp_lt_i32 s0, 5
	s_cbranch_scc1 .LBB78_331
; %bb.327:
	s_cmp_lt_i32 s0, 8
	s_cbranch_scc1 .LBB78_332
	;; [unrolled: 3-line block ×3, first 2 shown]
; %bb.329:
	s_cmp_gt_i32 s0, 9
	s_cbranch_scc0 .LBB78_334
; %bb.330:
	s_wait_loadcnt 0x0
	global_load_b64 v[6:7], v[4:5], off
	s_mov_b32 s23, 0
	s_wait_loadcnt 0x0
	v_trunc_f64_e32 v[6:7], v[6:7]
	s_delay_alu instid0(VALU_DEP_1) | instskip(NEXT) | instid1(VALU_DEP_1)
	v_ldexp_f64 v[8:9], v[6:7], 0xffffffe0
	v_floor_f64_e32 v[8:9], v[8:9]
	s_delay_alu instid0(VALU_DEP_1) | instskip(SKIP_1) | instid1(VALU_DEP_2)
	v_fmamk_f64 v[10:11], v[8:9], 0xc1f00000, v[6:7]
	v_cvt_i32_f64_e32 v7, v[8:9]
	v_cvt_u32_f64_e32 v6, v[10:11]
	s_branch .LBB78_335
.LBB78_331:
	s_mov_b32 s23, -1
                                        ; implicit-def: $vgpr6_vgpr7
	s_branch .LBB78_353
.LBB78_332:
	s_mov_b32 s23, -1
                                        ; implicit-def: $vgpr6_vgpr7
	s_branch .LBB78_341
.LBB78_333:
	s_mov_b32 s23, -1
                                        ; implicit-def: $vgpr6_vgpr7
	s_branch .LBB78_338
.LBB78_334:
	s_mov_b32 s23, -1
                                        ; implicit-def: $vgpr6_vgpr7
.LBB78_335:
	s_delay_alu instid0(SALU_CYCLE_1)
	s_and_not1_b32 vcc_lo, exec_lo, s23
	s_cbranch_vccnz .LBB78_337
; %bb.336:
	s_wait_loadcnt 0x0
	global_load_b32 v6, v[4:5], off
	s_wait_loadcnt 0x0
	v_trunc_f32_e32 v6, v6
	s_delay_alu instid0(VALU_DEP_1) | instskip(NEXT) | instid1(VALU_DEP_1)
	v_mul_f32_e64 v7, 0x2f800000, |v6|
	v_floor_f32_e32 v7, v7
	s_delay_alu instid0(VALU_DEP_1) | instskip(SKIP_2) | instid1(VALU_DEP_3)
	v_fma_f32 v8, 0xcf800000, v7, |v6|
	v_ashrrev_i32_e32 v6, 31, v6
	v_cvt_u32_f32_e32 v9, v7
	v_cvt_u32_f32_e32 v8, v8
	s_delay_alu instid0(VALU_DEP_2) | instskip(NEXT) | instid1(VALU_DEP_2)
	v_dual_mov_b32 v7, v6 :: v_dual_bitop2_b32 v9, v9, v6 bitop3:0x14
	v_xor_b32_e32 v8, v8, v6
	s_delay_alu instid0(VALU_DEP_1)
	v_sub_nc_u64_e32 v[6:7], v[8:9], v[6:7]
.LBB78_337:
	s_mov_b32 s23, 0
.LBB78_338:
	s_delay_alu instid0(SALU_CYCLE_1)
	s_and_not1_b32 vcc_lo, exec_lo, s23
	s_cbranch_vccnz .LBB78_340
; %bb.339:
	s_wait_loadcnt 0x0
	global_load_b32 v6, v[4:5], off
	s_wait_loadcnt 0x0
	v_cvt_f32_f16_e32 v6, v6
	s_delay_alu instid0(VALU_DEP_1) | instskip(NEXT) | instid1(VALU_DEP_1)
	v_cvt_i32_f32_e32 v6, v6
	v_ashrrev_i32_e32 v7, 31, v6
.LBB78_340:
	s_mov_b32 s23, 0
.LBB78_341:
	s_delay_alu instid0(SALU_CYCLE_1)
	s_and_not1_b32 vcc_lo, exec_lo, s23
	s_cbranch_vccnz .LBB78_352
; %bb.342:
	s_cmp_lt_i32 s0, 6
	s_cbranch_scc1 .LBB78_345
; %bb.343:
	s_cmp_gt_i32 s0, 6
	s_cbranch_scc0 .LBB78_346
; %bb.344:
	s_wait_loadcnt 0x0
	global_load_b64 v[6:7], v[4:5], off
	s_mov_b32 s23, 0
	s_wait_loadcnt 0x0
	v_trunc_f64_e32 v[6:7], v[6:7]
	s_delay_alu instid0(VALU_DEP_1) | instskip(NEXT) | instid1(VALU_DEP_1)
	v_ldexp_f64 v[8:9], v[6:7], 0xffffffe0
	v_floor_f64_e32 v[8:9], v[8:9]
	s_delay_alu instid0(VALU_DEP_1) | instskip(SKIP_1) | instid1(VALU_DEP_2)
	v_fmamk_f64 v[10:11], v[8:9], 0xc1f00000, v[6:7]
	v_cvt_i32_f64_e32 v7, v[8:9]
	v_cvt_u32_f64_e32 v6, v[10:11]
	s_branch .LBB78_347
.LBB78_345:
	s_mov_b32 s23, -1
                                        ; implicit-def: $vgpr6_vgpr7
	s_branch .LBB78_350
.LBB78_346:
	s_mov_b32 s23, -1
                                        ; implicit-def: $vgpr6_vgpr7
.LBB78_347:
	s_delay_alu instid0(SALU_CYCLE_1)
	s_and_not1_b32 vcc_lo, exec_lo, s23
	s_cbranch_vccnz .LBB78_349
; %bb.348:
	s_wait_loadcnt 0x0
	global_load_b32 v6, v[4:5], off
	s_wait_loadcnt 0x0
	v_trunc_f32_e32 v6, v6
	s_delay_alu instid0(VALU_DEP_1) | instskip(NEXT) | instid1(VALU_DEP_1)
	v_mul_f32_e64 v7, 0x2f800000, |v6|
	v_floor_f32_e32 v7, v7
	s_delay_alu instid0(VALU_DEP_1) | instskip(SKIP_2) | instid1(VALU_DEP_3)
	v_fma_f32 v8, 0xcf800000, v7, |v6|
	v_ashrrev_i32_e32 v6, 31, v6
	v_cvt_u32_f32_e32 v9, v7
	v_cvt_u32_f32_e32 v8, v8
	s_delay_alu instid0(VALU_DEP_2) | instskip(NEXT) | instid1(VALU_DEP_2)
	v_dual_mov_b32 v7, v6 :: v_dual_bitop2_b32 v9, v9, v6 bitop3:0x14
	v_xor_b32_e32 v8, v8, v6
	s_delay_alu instid0(VALU_DEP_1)
	v_sub_nc_u64_e32 v[6:7], v[8:9], v[6:7]
.LBB78_349:
	s_mov_b32 s23, 0
.LBB78_350:
	s_delay_alu instid0(SALU_CYCLE_1)
	s_and_not1_b32 vcc_lo, exec_lo, s23
	s_cbranch_vccnz .LBB78_352
; %bb.351:
	s_wait_loadcnt 0x0
	global_load_u16 v6, v[4:5], off
	s_wait_loadcnt 0x0
	v_cvt_f32_f16_e32 v6, v6
	s_delay_alu instid0(VALU_DEP_1) | instskip(NEXT) | instid1(VALU_DEP_1)
	v_cvt_i32_f32_e32 v6, v6
	v_ashrrev_i32_e32 v7, 31, v6
.LBB78_352:
	s_mov_b32 s23, 0
.LBB78_353:
	s_delay_alu instid0(SALU_CYCLE_1)
	s_and_not1_b32 vcc_lo, exec_lo, s23
	s_cbranch_vccnz .LBB78_373
; %bb.354:
	s_cmp_lt_i32 s0, 2
	s_cbranch_scc1 .LBB78_358
; %bb.355:
	s_cmp_lt_i32 s0, 3
	s_cbranch_scc1 .LBB78_359
; %bb.356:
	s_cmp_gt_i32 s0, 3
	s_cbranch_scc0 .LBB78_360
; %bb.357:
	s_wait_loadcnt 0x0
	global_load_b64 v[6:7], v[4:5], off
	s_mov_b32 s23, 0
	s_branch .LBB78_361
.LBB78_358:
	s_mov_b32 s23, -1
                                        ; implicit-def: $vgpr6_vgpr7
	s_branch .LBB78_367
.LBB78_359:
	s_mov_b32 s23, -1
                                        ; implicit-def: $vgpr6_vgpr7
	s_branch .LBB78_364
.LBB78_360:
	s_mov_b32 s23, -1
                                        ; implicit-def: $vgpr6_vgpr7
.LBB78_361:
	s_delay_alu instid0(SALU_CYCLE_1)
	s_and_not1_b32 vcc_lo, exec_lo, s23
	s_cbranch_vccnz .LBB78_363
; %bb.362:
	s_wait_loadcnt 0x0
	global_load_b32 v6, v[4:5], off
	s_wait_loadcnt 0x0
	v_ashrrev_i32_e32 v7, 31, v6
.LBB78_363:
	s_mov_b32 s23, 0
.LBB78_364:
	s_delay_alu instid0(SALU_CYCLE_1)
	s_and_not1_b32 vcc_lo, exec_lo, s23
	s_cbranch_vccnz .LBB78_366
; %bb.365:
	s_wait_loadcnt 0x0
	global_load_u16 v6, v[4:5], off
	s_wait_loadcnt 0x0
	v_bfe_i32 v6, v6, 0, 16
	s_delay_alu instid0(VALU_DEP_1)
	v_ashrrev_i32_e32 v7, 31, v6
.LBB78_366:
	s_mov_b32 s23, 0
.LBB78_367:
	s_delay_alu instid0(SALU_CYCLE_1)
	s_and_not1_b32 vcc_lo, exec_lo, s23
	s_cbranch_vccnz .LBB78_373
; %bb.368:
	s_cmp_gt_i32 s0, 0
	s_mov_b32 s0, 0
	s_cbranch_scc0 .LBB78_370
; %bb.369:
	s_wait_loadcnt 0x0
	global_load_i8 v6, v[4:5], off
	s_wait_loadcnt 0x0
	v_bfe_i32 v6, v6, 0, 16
	s_delay_alu instid0(VALU_DEP_1)
	v_ashrrev_i32_e32 v7, 31, v6
	s_branch .LBB78_371
.LBB78_370:
	s_mov_b32 s0, -1
                                        ; implicit-def: $vgpr6_vgpr7
.LBB78_371:
	s_delay_alu instid0(SALU_CYCLE_1)
	s_and_not1_b32 vcc_lo, exec_lo, s0
	s_cbranch_vccnz .LBB78_373
; %bb.372:
	global_load_u8 v4, v[4:5], off
	s_mov_b32 s0, 0
	s_wait_loadcnt 0x1
	v_mov_b32_e32 v7, s0
	s_wait_loadcnt 0x0
	v_and_b32_e32 v6, 0xffff, v4
.LBB78_373:
	s_mov_b32 s23, -1
.LBB78_374:
	s_delay_alu instid0(SALU_CYCLE_1)
	s_and_not1_b32 vcc_lo, exec_lo, s23
	s_cbranch_vccnz .LBB78_382
; %bb.375:
	s_wait_loadcnt 0x0
	v_mul_u64_e32 v[0:1], s[16:17], v[0:1]
	v_mul_u64_e32 v[2:3], s[18:19], v[2:3]
	v_mul_lo_u32 v4, v26, s12
	s_and_b32 s23, s2, 0xff
	s_delay_alu instid0(SALU_CYCLE_1) | instskip(NEXT) | instid1(VALU_DEP_1)
	s_cmp_lt_i32 s23, 11
	v_ashrrev_i32_e32 v5, 31, v4
	s_delay_alu instid0(VALU_DEP_3) | instskip(NEXT) | instid1(VALU_DEP_1)
	v_mad_nc_u64_u32 v[0:1], v2, v6, v[0:1]
	v_mad_u32 v1, v3, v6, v1
	s_delay_alu instid0(VALU_DEP_1) | instskip(NEXT) | instid1(VALU_DEP_4)
	v_mad_u32 v1, v2, v7, v1
	v_add_nc_u64_e32 v[2:3], s[4:5], v[4:5]
	s_cbranch_scc1 .LBB78_383
; %bb.376:
	s_and_b32 s30, 0xffff, s23
	s_delay_alu instid0(SALU_CYCLE_1)
	s_cmp_gt_i32 s30, 25
	s_cbranch_scc0 .LBB78_384
; %bb.377:
	s_cmp_gt_i32 s30, 28
	s_cbranch_scc0 .LBB78_385
; %bb.378:
	;; [unrolled: 3-line block ×4, first 2 shown]
	s_mov_b32 s33, 0
	s_mov_b32 s0, -1
	s_cmp_eq_u32 s30, 46
	s_mov_b32 s31, 0
	s_cbranch_scc0 .LBB78_388
; %bb.381:
	v_xor_b32_e32 v4, v0, v1
	v_cls_i32_e32 v5, v1
	s_mov_b32 s31, -1
	s_mov_b32 s0, 0
	s_delay_alu instid0(VALU_DEP_2) | instskip(NEXT) | instid1(VALU_DEP_1)
	v_ashrrev_i32_e32 v4, 31, v4
	v_add_nc_u32_e32 v4, 32, v4
	s_delay_alu instid0(VALU_DEP_1) | instskip(NEXT) | instid1(VALU_DEP_1)
	v_add_min_u32_e64 v6, v5, -1, v4
	v_lshlrev_b64_e32 v[4:5], v6, v[0:1]
	s_delay_alu instid0(VALU_DEP_1) | instskip(NEXT) | instid1(VALU_DEP_1)
	v_min_u32_e32 v4, 1, v4
	v_dual_sub_nc_u32 v5, 32, v6 :: v_dual_bitop2_b32 v4, v5, v4 bitop3:0x54
	s_delay_alu instid0(VALU_DEP_1) | instskip(NEXT) | instid1(VALU_DEP_1)
	v_cvt_f32_i32_e32 v4, v4
	v_ldexp_f32 v4, v4, v5
	s_delay_alu instid0(VALU_DEP_1) | instskip(NEXT) | instid1(VALU_DEP_1)
	v_bfe_u32 v5, v4, 16, 1
	v_add3_u32 v4, v4, v5, 0x7fff
	s_delay_alu instid0(VALU_DEP_1)
	v_lshrrev_b32_e32 v4, 16, v4
	global_store_b32 v[2:3], v4, off
	s_branch .LBB78_388
.LBB78_382:
	s_mov_b32 s0, 0
	s_branch .LBB78_498
.LBB78_383:
	s_mov_b32 s30, -1
	s_mov_b32 s0, 0
	s_mov_b32 s31, 0
	s_branch .LBB78_457
.LBB78_384:
	s_mov_b32 s0, 0
	s_mov_b32 s31, 0
	s_branch .LBB78_415
.LBB78_385:
	s_mov_b32 s0, 0
	s_mov_b32 s31, 0
	s_branch .LBB78_398
.LBB78_386:
	s_mov_b32 s0, 0
	s_mov_b32 s31, 0
	s_branch .LBB78_394
.LBB78_387:
	s_mov_b32 s0, 0
	s_mov_b32 s31, 0
.LBB78_388:
	s_and_b32 vcc_lo, exec_lo, s33
	s_cbranch_vccz .LBB78_393
; %bb.389:
	s_cmp_eq_u32 s30, 44
	s_mov_b32 s0, -1
	s_cbranch_scc0 .LBB78_393
; %bb.390:
	s_wait_xcnt 0x0
	v_xor_b32_e32 v4, v0, v1
	v_cls_i32_e32 v5, v1
	s_mov_b32 s31, -1
	s_mov_b32 s33, exec_lo
	s_delay_alu instid0(VALU_DEP_2) | instskip(NEXT) | instid1(VALU_DEP_1)
	v_ashrrev_i32_e32 v4, 31, v4
	v_add_nc_u32_e32 v4, 32, v4
	s_delay_alu instid0(VALU_DEP_1) | instskip(NEXT) | instid1(VALU_DEP_1)
	v_add_min_u32_e64 v6, v5, -1, v4
	v_lshlrev_b64_e32 v[4:5], v6, v[0:1]
	s_delay_alu instid0(VALU_DEP_1) | instskip(NEXT) | instid1(VALU_DEP_1)
	v_min_u32_e32 v4, 1, v4
	v_dual_sub_nc_u32 v5, 32, v6 :: v_dual_bitop2_b32 v4, v5, v4 bitop3:0x54
	s_delay_alu instid0(VALU_DEP_1) | instskip(NEXT) | instid1(VALU_DEP_1)
	v_cvt_f32_i32_e32 v4, v4
	v_ldexp_f32 v4, v4, v5
	v_mov_b32_e32 v5, 0xff
	s_delay_alu instid0(VALU_DEP_2) | instskip(NEXT) | instid1(VALU_DEP_1)
	v_bfe_u32 v6, v4, 23, 8
	v_cmpx_ne_u32_e32 0xff, v6
	s_cbranch_execz .LBB78_392
; %bb.391:
	v_and_b32_e32 v5, 0x400000, v4
	v_and_or_b32 v6, 0x3fffff, v4, v6
	v_lshrrev_b32_e32 v4, 23, v4
	s_delay_alu instid0(VALU_DEP_3) | instskip(NEXT) | instid1(VALU_DEP_3)
	v_cmp_ne_u32_e32 vcc_lo, 0, v5
	v_cmp_ne_u32_e64 s0, 0, v6
	s_and_b32 s0, vcc_lo, s0
	s_delay_alu instid0(SALU_CYCLE_1) | instskip(NEXT) | instid1(VALU_DEP_1)
	v_cndmask_b32_e64 v5, 0, 1, s0
	v_add_nc_u32_e32 v5, v4, v5
.LBB78_392:
	s_or_b32 exec_lo, exec_lo, s33
	s_mov_b32 s0, 0
	global_store_b8 v[2:3], v5, off
.LBB78_393:
	s_mov_b32 s33, 0
.LBB78_394:
	s_delay_alu instid0(SALU_CYCLE_1)
	s_and_b32 vcc_lo, exec_lo, s33
	s_cbranch_vccz .LBB78_397
; %bb.395:
	s_cmp_eq_u32 s30, 29
	s_mov_b32 s0, -1
	s_cbranch_scc0 .LBB78_397
; %bb.396:
	s_mov_b32 s31, -1
	s_mov_b32 s0, 0
	global_store_b64 v[2:3], v[0:1], off
.LBB78_397:
	s_mov_b32 s33, 0
.LBB78_398:
	s_delay_alu instid0(SALU_CYCLE_1)
	s_and_b32 vcc_lo, exec_lo, s33
	s_cbranch_vccz .LBB78_414
; %bb.399:
	s_cmp_lt_i32 s30, 27
	s_mov_b32 s31, -1
	s_cbranch_scc1 .LBB78_405
; %bb.400:
	s_cmp_gt_i32 s30, 27
	s_cbranch_scc0 .LBB78_402
; %bb.401:
	s_mov_b32 s31, 0
	global_store_b32 v[2:3], v0, off
.LBB78_402:
	s_and_not1_b32 vcc_lo, exec_lo, s31
	s_cbranch_vccnz .LBB78_404
; %bb.403:
	global_store_b16 v[2:3], v0, off
.LBB78_404:
	s_mov_b32 s31, 0
.LBB78_405:
	s_delay_alu instid0(SALU_CYCLE_1)
	s_and_not1_b32 vcc_lo, exec_lo, s31
	s_cbranch_vccnz .LBB78_413
; %bb.406:
	s_wait_xcnt 0x0
	v_xor_b32_e32 v4, v0, v1
	v_cls_i32_e32 v5, v1
	s_mov_b32 s31, exec_lo
	s_delay_alu instid0(VALU_DEP_2) | instskip(NEXT) | instid1(VALU_DEP_1)
	v_ashrrev_i32_e32 v4, 31, v4
	v_add_nc_u32_e32 v4, 32, v4
	s_delay_alu instid0(VALU_DEP_1) | instskip(NEXT) | instid1(VALU_DEP_1)
	v_add_min_u32_e64 v6, v5, -1, v4
	v_lshlrev_b64_e32 v[4:5], v6, v[0:1]
	s_delay_alu instid0(VALU_DEP_1) | instskip(NEXT) | instid1(VALU_DEP_1)
	v_min_u32_e32 v4, 1, v4
	v_dual_sub_nc_u32 v5, 32, v6 :: v_dual_bitop2_b32 v4, v5, v4 bitop3:0x54
	v_mov_b32_e32 v6, 0x80
	s_delay_alu instid0(VALU_DEP_2) | instskip(NEXT) | instid1(VALU_DEP_1)
	v_cvt_f32_i32_e32 v4, v4
	v_ldexp_f32 v4, v4, v5
	s_delay_alu instid0(VALU_DEP_1) | instskip(NEXT) | instid1(VALU_DEP_1)
	v_and_b32_e32 v5, 0x7fffffff, v4
	v_cmpx_gt_u32_e32 0x43800000, v5
	s_cbranch_execz .LBB78_412
; %bb.407:
	v_cmp_lt_u32_e32 vcc_lo, 0x3bffffff, v5
	s_mov_b32 s33, 0
                                        ; implicit-def: $vgpr5
	s_and_saveexec_b32 s34, vcc_lo
	s_delay_alu instid0(SALU_CYCLE_1)
	s_xor_b32 s34, exec_lo, s34
	s_cbranch_execz .LBB78_642
; %bb.408:
	v_bfe_u32 v5, v4, 20, 1
	s_mov_b32 s33, exec_lo
	s_delay_alu instid0(VALU_DEP_1) | instskip(NEXT) | instid1(VALU_DEP_1)
	v_add3_u32 v5, v4, v5, 0x487ffff
	v_lshrrev_b32_e32 v5, 20, v5
	s_and_not1_saveexec_b32 s34, s34
	s_cbranch_execnz .LBB78_643
.LBB78_409:
	s_or_b32 exec_lo, exec_lo, s34
	v_mov_b32_e32 v6, 0
	s_and_saveexec_b32 s34, s33
.LBB78_410:
	v_lshrrev_b32_e32 v4, 24, v4
	s_delay_alu instid0(VALU_DEP_1)
	v_and_or_b32 v6, 0x80, v4, v5
.LBB78_411:
	s_or_b32 exec_lo, exec_lo, s34
.LBB78_412:
	s_delay_alu instid0(SALU_CYCLE_1)
	s_or_b32 exec_lo, exec_lo, s31
	global_store_b8 v[2:3], v6, off
.LBB78_413:
	s_mov_b32 s31, -1
.LBB78_414:
	s_mov_b32 s33, 0
.LBB78_415:
	s_delay_alu instid0(SALU_CYCLE_1)
	s_and_b32 vcc_lo, exec_lo, s33
	s_cbranch_vccz .LBB78_456
; %bb.416:
	s_cmp_gt_i32 s30, 22
	s_mov_b32 s33, -1
	s_cbranch_scc0 .LBB78_448
; %bb.417:
	s_cmp_lt_i32 s30, 24
	s_mov_b32 s31, -1
	s_cbranch_scc1 .LBB78_437
; %bb.418:
	s_cmp_gt_i32 s30, 24
	s_cbranch_scc0 .LBB78_426
; %bb.419:
	s_wait_xcnt 0x0
	v_xor_b32_e32 v4, v0, v1
	v_cls_i32_e32 v5, v1
	s_mov_b32 s31, exec_lo
	s_delay_alu instid0(VALU_DEP_2) | instskip(NEXT) | instid1(VALU_DEP_1)
	v_ashrrev_i32_e32 v4, 31, v4
	v_add_nc_u32_e32 v4, 32, v4
	s_delay_alu instid0(VALU_DEP_1) | instskip(NEXT) | instid1(VALU_DEP_1)
	v_add_min_u32_e64 v6, v5, -1, v4
	v_lshlrev_b64_e32 v[4:5], v6, v[0:1]
	s_delay_alu instid0(VALU_DEP_1) | instskip(NEXT) | instid1(VALU_DEP_1)
	v_min_u32_e32 v4, 1, v4
	v_dual_sub_nc_u32 v5, 32, v6 :: v_dual_bitop2_b32 v4, v5, v4 bitop3:0x54
	v_mov_b32_e32 v6, 0x80
	s_delay_alu instid0(VALU_DEP_2) | instskip(NEXT) | instid1(VALU_DEP_1)
	v_cvt_f32_i32_e32 v4, v4
	v_ldexp_f32 v4, v4, v5
	s_delay_alu instid0(VALU_DEP_1) | instskip(NEXT) | instid1(VALU_DEP_1)
	v_and_b32_e32 v5, 0x7fffffff, v4
	v_cmpx_gt_u32_e32 0x47800000, v5
	s_cbranch_execz .LBB78_425
; %bb.420:
	v_cmp_lt_u32_e32 vcc_lo, 0x37ffffff, v5
	s_mov_b32 s33, 0
                                        ; implicit-def: $vgpr5
	s_and_saveexec_b32 s34, vcc_lo
	s_delay_alu instid0(SALU_CYCLE_1)
	s_xor_b32 s34, exec_lo, s34
	s_cbranch_execz .LBB78_770
; %bb.421:
	v_bfe_u32 v5, v4, 21, 1
	s_mov_b32 s33, exec_lo
	s_delay_alu instid0(VALU_DEP_1) | instskip(NEXT) | instid1(VALU_DEP_1)
	v_add3_u32 v5, v4, v5, 0x88fffff
	v_lshrrev_b32_e32 v5, 21, v5
	s_and_not1_saveexec_b32 s34, s34
	s_cbranch_execnz .LBB78_771
.LBB78_422:
	s_or_b32 exec_lo, exec_lo, s34
	v_mov_b32_e32 v6, 0
	s_and_saveexec_b32 s34, s33
.LBB78_423:
	v_lshrrev_b32_e32 v4, 24, v4
	s_delay_alu instid0(VALU_DEP_1)
	v_and_or_b32 v6, 0x80, v4, v5
.LBB78_424:
	s_or_b32 exec_lo, exec_lo, s34
.LBB78_425:
	s_delay_alu instid0(SALU_CYCLE_1)
	s_or_b32 exec_lo, exec_lo, s31
	s_mov_b32 s31, 0
	global_store_b8 v[2:3], v6, off
.LBB78_426:
	s_and_b32 vcc_lo, exec_lo, s31
	s_cbranch_vccz .LBB78_436
; %bb.427:
	s_wait_xcnt 0x0
	v_xor_b32_e32 v4, v0, v1
	v_cls_i32_e32 v5, v1
	s_mov_b32 s31, exec_lo
	s_delay_alu instid0(VALU_DEP_2) | instskip(NEXT) | instid1(VALU_DEP_1)
	v_ashrrev_i32_e32 v4, 31, v4
	v_add_nc_u32_e32 v4, 32, v4
	s_delay_alu instid0(VALU_DEP_1) | instskip(NEXT) | instid1(VALU_DEP_1)
	v_add_min_u32_e64 v6, v5, -1, v4
	v_lshlrev_b64_e32 v[4:5], v6, v[0:1]
	s_delay_alu instid0(VALU_DEP_1) | instskip(NEXT) | instid1(VALU_DEP_1)
	v_min_u32_e32 v4, 1, v4
	v_dual_sub_nc_u32 v5, 32, v6 :: v_dual_bitop2_b32 v4, v5, v4 bitop3:0x54
	s_delay_alu instid0(VALU_DEP_1) | instskip(NEXT) | instid1(VALU_DEP_1)
	v_cvt_f32_i32_e32 v4, v4
	v_ldexp_f32 v4, v4, v5
                                        ; implicit-def: $vgpr5
	s_delay_alu instid0(VALU_DEP_1) | instskip(NEXT) | instid1(VALU_DEP_1)
	v_and_b32_e32 v6, 0x7fffffff, v4
	v_cmpx_gt_u32_e32 0x43f00000, v6
	s_xor_b32 s31, exec_lo, s31
	s_cbranch_execz .LBB78_433
; %bb.428:
	s_mov_b32 s33, exec_lo
                                        ; implicit-def: $vgpr5
	v_cmpx_lt_u32_e32 0x3c7fffff, v6
	s_xor_b32 s33, exec_lo, s33
; %bb.429:
	v_bfe_u32 v5, v4, 20, 1
	s_delay_alu instid0(VALU_DEP_1) | instskip(NEXT) | instid1(VALU_DEP_1)
	v_add3_u32 v5, v4, v5, 0x407ffff
	v_and_b32_e32 v6, 0xff00000, v5
	v_lshrrev_b32_e32 v5, 20, v5
	s_delay_alu instid0(VALU_DEP_2) | instskip(NEXT) | instid1(VALU_DEP_2)
	v_cmp_ne_u32_e32 vcc_lo, 0x7f00000, v6
	v_cndmask_b32_e32 v5, 0x7e, v5, vcc_lo
; %bb.430:
	s_and_not1_saveexec_b32 s33, s33
; %bb.431:
	v_add_f32_e64 v5, 0x46800000, |v4|
; %bb.432:
	s_or_b32 exec_lo, exec_lo, s33
                                        ; implicit-def: $vgpr6
.LBB78_433:
	s_and_not1_saveexec_b32 s31, s31
; %bb.434:
	v_mov_b32_e32 v5, 0x7f
	v_cmp_lt_u32_e32 vcc_lo, 0x7f800000, v6
	s_delay_alu instid0(VALU_DEP_2)
	v_cndmask_b32_e32 v5, 0x7e, v5, vcc_lo
; %bb.435:
	s_or_b32 exec_lo, exec_lo, s31
	v_lshrrev_b32_e32 v4, 24, v4
	s_delay_alu instid0(VALU_DEP_1)
	v_and_or_b32 v4, 0x80, v4, v5
	global_store_b8 v[2:3], v4, off
.LBB78_436:
	s_mov_b32 s31, 0
.LBB78_437:
	s_delay_alu instid0(SALU_CYCLE_1)
	s_and_not1_b32 vcc_lo, exec_lo, s31
	s_cbranch_vccnz .LBB78_447
; %bb.438:
	s_wait_xcnt 0x0
	v_xor_b32_e32 v4, v0, v1
	v_cls_i32_e32 v5, v1
	s_mov_b32 s31, exec_lo
	s_delay_alu instid0(VALU_DEP_2) | instskip(NEXT) | instid1(VALU_DEP_1)
	v_ashrrev_i32_e32 v4, 31, v4
	v_add_nc_u32_e32 v4, 32, v4
	s_delay_alu instid0(VALU_DEP_1) | instskip(NEXT) | instid1(VALU_DEP_1)
	v_add_min_u32_e64 v6, v5, -1, v4
	v_lshlrev_b64_e32 v[4:5], v6, v[0:1]
	s_delay_alu instid0(VALU_DEP_1) | instskip(NEXT) | instid1(VALU_DEP_1)
	v_min_u32_e32 v4, 1, v4
	v_dual_sub_nc_u32 v5, 32, v6 :: v_dual_bitop2_b32 v4, v5, v4 bitop3:0x54
	s_delay_alu instid0(VALU_DEP_1) | instskip(NEXT) | instid1(VALU_DEP_1)
	v_cvt_f32_i32_e32 v4, v4
	v_ldexp_f32 v4, v4, v5
                                        ; implicit-def: $vgpr5
	s_delay_alu instid0(VALU_DEP_1) | instskip(NEXT) | instid1(VALU_DEP_1)
	v_and_b32_e32 v6, 0x7fffffff, v4
	v_cmpx_gt_u32_e32 0x47800000, v6
	s_xor_b32 s31, exec_lo, s31
	s_cbranch_execz .LBB78_444
; %bb.439:
	s_mov_b32 s33, exec_lo
                                        ; implicit-def: $vgpr5
	v_cmpx_lt_u32_e32 0x387fffff, v6
	s_xor_b32 s33, exec_lo, s33
; %bb.440:
	v_bfe_u32 v5, v4, 21, 1
	s_delay_alu instid0(VALU_DEP_1) | instskip(NEXT) | instid1(VALU_DEP_1)
	v_add3_u32 v5, v4, v5, 0x80fffff
	v_lshrrev_b32_e32 v5, 21, v5
; %bb.441:
	s_and_not1_saveexec_b32 s33, s33
; %bb.442:
	v_add_f32_e64 v5, 0x43000000, |v4|
; %bb.443:
	s_or_b32 exec_lo, exec_lo, s33
                                        ; implicit-def: $vgpr6
.LBB78_444:
	s_and_not1_saveexec_b32 s31, s31
; %bb.445:
	v_mov_b32_e32 v5, 0x7f
	v_cmp_lt_u32_e32 vcc_lo, 0x7f800000, v6
	s_delay_alu instid0(VALU_DEP_2)
	v_cndmask_b32_e32 v5, 0x7c, v5, vcc_lo
; %bb.446:
	s_or_b32 exec_lo, exec_lo, s31
	v_lshrrev_b32_e32 v4, 24, v4
	s_delay_alu instid0(VALU_DEP_1)
	v_and_or_b32 v4, 0x80, v4, v5
	global_store_b8 v[2:3], v4, off
.LBB78_447:
	s_mov_b32 s33, 0
	s_mov_b32 s31, -1
.LBB78_448:
	s_and_not1_b32 vcc_lo, exec_lo, s33
	s_cbranch_vccnz .LBB78_456
; %bb.449:
	s_cmp_gt_i32 s30, 14
	s_mov_b32 s33, -1
	s_cbranch_scc0 .LBB78_453
; %bb.450:
	s_cmp_eq_u32 s30, 15
	s_mov_b32 s0, -1
	s_cbranch_scc0 .LBB78_452
; %bb.451:
	s_wait_xcnt 0x0
	v_xor_b32_e32 v4, v0, v1
	v_cls_i32_e32 v5, v1
	s_mov_b32 s31, -1
	s_mov_b32 s0, 0
	s_delay_alu instid0(VALU_DEP_2) | instskip(NEXT) | instid1(VALU_DEP_1)
	v_ashrrev_i32_e32 v4, 31, v4
	v_add_nc_u32_e32 v4, 32, v4
	s_delay_alu instid0(VALU_DEP_1) | instskip(NEXT) | instid1(VALU_DEP_1)
	v_add_min_u32_e64 v6, v5, -1, v4
	v_lshlrev_b64_e32 v[4:5], v6, v[0:1]
	s_delay_alu instid0(VALU_DEP_1) | instskip(NEXT) | instid1(VALU_DEP_1)
	v_min_u32_e32 v4, 1, v4
	v_dual_sub_nc_u32 v5, 32, v6 :: v_dual_bitop2_b32 v4, v5, v4 bitop3:0x54
	s_delay_alu instid0(VALU_DEP_1) | instskip(NEXT) | instid1(VALU_DEP_1)
	v_cvt_f32_i32_e32 v4, v4
	v_ldexp_f32 v4, v4, v5
	s_delay_alu instid0(VALU_DEP_1) | instskip(NEXT) | instid1(VALU_DEP_1)
	v_bfe_u32 v5, v4, 16, 1
	v_add3_u32 v4, v4, v5, 0x7fff
	global_store_d16_hi_b16 v[2:3], v4, off
.LBB78_452:
	s_mov_b32 s33, 0
.LBB78_453:
	s_delay_alu instid0(SALU_CYCLE_1)
	s_and_b32 vcc_lo, exec_lo, s33
	s_cbranch_vccz .LBB78_456
; %bb.454:
	s_cmp_eq_u32 s30, 11
	s_mov_b32 s0, -1
	s_cbranch_scc0 .LBB78_456
; %bb.455:
	v_cmp_ne_u64_e32 vcc_lo, 0, v[0:1]
	s_mov_b32 s31, -1
	s_mov_b32 s0, 0
	s_wait_xcnt 0x0
	v_cndmask_b32_e64 v4, 0, 1, vcc_lo
	global_store_b8 v[2:3], v4, off
.LBB78_456:
	s_mov_b32 s30, 0
.LBB78_457:
	s_delay_alu instid0(SALU_CYCLE_1)
	s_and_b32 vcc_lo, exec_lo, s30
	s_cbranch_vccz .LBB78_496
; %bb.458:
	s_and_b32 s23, 0xffff, s23
	s_mov_b32 s30, -1
	s_cmp_lt_i32 s23, 5
	s_cbranch_scc1 .LBB78_479
; %bb.459:
	s_cmp_lt_i32 s23, 8
	s_cbranch_scc1 .LBB78_469
; %bb.460:
	;; [unrolled: 3-line block ×3, first 2 shown]
	s_cmp_gt_i32 s23, 9
	s_cbranch_scc0 .LBB78_463
; %bb.462:
	s_wait_xcnt 0x0
	v_cvt_f64_i32_e32 v[4:5], v1
	v_cvt_f64_u32_e32 v[6:7], v0
	s_mov_b32 s30, 0
	s_delay_alu instid0(VALU_DEP_2) | instskip(NEXT) | instid1(VALU_DEP_1)
	v_ldexp_f64 v[4:5], v[4:5], 32
	v_dual_add_f64 v[4:5], v[4:5], v[6:7] :: v_dual_mov_b32 v6, 0
	s_delay_alu instid0(VALU_DEP_1)
	v_mov_b32_e32 v7, v6
	global_store_b128 v[2:3], v[4:7], off
.LBB78_463:
	s_and_not1_b32 vcc_lo, exec_lo, s30
	s_cbranch_vccnz .LBB78_465
; %bb.464:
	s_wait_xcnt 0x0
	v_xor_b32_e32 v4, v0, v1
	v_cls_i32_e32 v5, v1
	s_delay_alu instid0(VALU_DEP_2) | instskip(NEXT) | instid1(VALU_DEP_1)
	v_ashrrev_i32_e32 v4, 31, v4
	v_add_nc_u32_e32 v4, 32, v4
	s_delay_alu instid0(VALU_DEP_1) | instskip(NEXT) | instid1(VALU_DEP_1)
	v_add_min_u32_e64 v6, v5, -1, v4
	v_lshlrev_b64_e32 v[4:5], v6, v[0:1]
	s_delay_alu instid0(VALU_DEP_1) | instskip(NEXT) | instid1(VALU_DEP_1)
	v_min_u32_e32 v4, 1, v4
	v_dual_sub_nc_u32 v5, 32, v6 :: v_dual_bitop2_b32 v4, v5, v4 bitop3:0x54
	s_delay_alu instid0(VALU_DEP_1) | instskip(NEXT) | instid1(VALU_DEP_1)
	v_cvt_f32_i32_e32 v4, v4
	v_ldexp_f32 v4, v4, v5
	v_mov_b32_e32 v5, 0
	global_store_b64 v[2:3], v[4:5], off
.LBB78_465:
	s_mov_b32 s30, 0
.LBB78_466:
	s_delay_alu instid0(SALU_CYCLE_1)
	s_and_not1_b32 vcc_lo, exec_lo, s30
	s_cbranch_vccnz .LBB78_468
; %bb.467:
	s_wait_xcnt 0x0
	v_xor_b32_e32 v4, v0, v1
	v_cls_i32_e32 v5, v1
	s_delay_alu instid0(VALU_DEP_2) | instskip(NEXT) | instid1(VALU_DEP_1)
	v_ashrrev_i32_e32 v4, 31, v4
	v_add_nc_u32_e32 v4, 32, v4
	s_delay_alu instid0(VALU_DEP_1) | instskip(NEXT) | instid1(VALU_DEP_1)
	v_add_min_u32_e64 v6, v5, -1, v4
	v_lshlrev_b64_e32 v[4:5], v6, v[0:1]
	s_delay_alu instid0(VALU_DEP_1) | instskip(NEXT) | instid1(VALU_DEP_1)
	v_min_u32_e32 v4, 1, v4
	v_dual_sub_nc_u32 v5, 32, v6 :: v_dual_bitop2_b32 v4, v5, v4 bitop3:0x54
	s_delay_alu instid0(VALU_DEP_1) | instskip(NEXT) | instid1(VALU_DEP_1)
	v_cvt_f32_i32_e32 v4, v4
	v_ldexp_f32 v4, v4, v5
	s_delay_alu instid0(VALU_DEP_1) | instskip(NEXT) | instid1(VALU_DEP_1)
	v_cvt_f16_f32_e32 v4, v4
	v_and_b32_e32 v4, 0xffff, v4
	global_store_b32 v[2:3], v4, off
.LBB78_468:
	s_mov_b32 s30, 0
.LBB78_469:
	s_delay_alu instid0(SALU_CYCLE_1)
	s_and_not1_b32 vcc_lo, exec_lo, s30
	s_cbranch_vccnz .LBB78_478
; %bb.470:
	s_cmp_lt_i32 s23, 6
	s_mov_b32 s30, -1
	s_cbranch_scc1 .LBB78_476
; %bb.471:
	s_cmp_gt_i32 s23, 6
	s_cbranch_scc0 .LBB78_473
; %bb.472:
	s_wait_xcnt 0x0
	v_cvt_f64_i32_e32 v[4:5], v1
	v_cvt_f64_u32_e32 v[6:7], v0
	s_mov_b32 s30, 0
	s_delay_alu instid0(VALU_DEP_2) | instskip(NEXT) | instid1(VALU_DEP_1)
	v_ldexp_f64 v[4:5], v[4:5], 32
	v_add_f64_e32 v[4:5], v[4:5], v[6:7]
	global_store_b64 v[2:3], v[4:5], off
.LBB78_473:
	s_and_not1_b32 vcc_lo, exec_lo, s30
	s_cbranch_vccnz .LBB78_475
; %bb.474:
	s_wait_xcnt 0x0
	v_xor_b32_e32 v4, v0, v1
	v_cls_i32_e32 v5, v1
	s_delay_alu instid0(VALU_DEP_2) | instskip(NEXT) | instid1(VALU_DEP_1)
	v_ashrrev_i32_e32 v4, 31, v4
	v_add_nc_u32_e32 v4, 32, v4
	s_delay_alu instid0(VALU_DEP_1) | instskip(NEXT) | instid1(VALU_DEP_1)
	v_add_min_u32_e64 v6, v5, -1, v4
	v_lshlrev_b64_e32 v[4:5], v6, v[0:1]
	s_delay_alu instid0(VALU_DEP_1) | instskip(NEXT) | instid1(VALU_DEP_1)
	v_min_u32_e32 v4, 1, v4
	v_dual_sub_nc_u32 v5, 32, v6 :: v_dual_bitop2_b32 v4, v5, v4 bitop3:0x54
	s_delay_alu instid0(VALU_DEP_1) | instskip(NEXT) | instid1(VALU_DEP_1)
	v_cvt_f32_i32_e32 v4, v4
	v_ldexp_f32 v4, v4, v5
	global_store_b32 v[2:3], v4, off
.LBB78_475:
	s_mov_b32 s30, 0
.LBB78_476:
	s_delay_alu instid0(SALU_CYCLE_1)
	s_and_not1_b32 vcc_lo, exec_lo, s30
	s_cbranch_vccnz .LBB78_478
; %bb.477:
	s_wait_xcnt 0x0
	v_xor_b32_e32 v4, v0, v1
	v_cls_i32_e32 v5, v1
	s_delay_alu instid0(VALU_DEP_2) | instskip(NEXT) | instid1(VALU_DEP_1)
	v_ashrrev_i32_e32 v4, 31, v4
	v_add_nc_u32_e32 v4, 32, v4
	s_delay_alu instid0(VALU_DEP_1) | instskip(NEXT) | instid1(VALU_DEP_1)
	v_add_min_u32_e64 v6, v5, -1, v4
	v_lshlrev_b64_e32 v[4:5], v6, v[0:1]
	s_delay_alu instid0(VALU_DEP_1) | instskip(NEXT) | instid1(VALU_DEP_1)
	v_min_u32_e32 v4, 1, v4
	v_dual_sub_nc_u32 v5, 32, v6 :: v_dual_bitop2_b32 v4, v5, v4 bitop3:0x54
	s_delay_alu instid0(VALU_DEP_1) | instskip(NEXT) | instid1(VALU_DEP_1)
	v_cvt_f32_i32_e32 v4, v4
	v_ldexp_f32 v4, v4, v5
	s_delay_alu instid0(VALU_DEP_1)
	v_cvt_f16_f32_e32 v4, v4
	global_store_b16 v[2:3], v4, off
.LBB78_478:
	s_mov_b32 s30, 0
.LBB78_479:
	s_delay_alu instid0(SALU_CYCLE_1)
	s_and_not1_b32 vcc_lo, exec_lo, s30
	s_cbranch_vccnz .LBB78_495
; %bb.480:
	s_cmp_lt_i32 s23, 2
	s_mov_b32 s30, -1
	s_cbranch_scc1 .LBB78_490
; %bb.481:
	s_cmp_lt_i32 s23, 3
	s_cbranch_scc1 .LBB78_487
; %bb.482:
	s_cmp_gt_i32 s23, 3
	s_cbranch_scc0 .LBB78_484
; %bb.483:
	s_mov_b32 s30, 0
	global_store_b64 v[2:3], v[0:1], off
.LBB78_484:
	s_and_not1_b32 vcc_lo, exec_lo, s30
	s_cbranch_vccnz .LBB78_486
; %bb.485:
	global_store_b32 v[2:3], v0, off
.LBB78_486:
	s_mov_b32 s30, 0
.LBB78_487:
	s_delay_alu instid0(SALU_CYCLE_1)
	s_and_not1_b32 vcc_lo, exec_lo, s30
	s_cbranch_vccnz .LBB78_489
; %bb.488:
	global_store_b16 v[2:3], v0, off
.LBB78_489:
	s_mov_b32 s30, 0
.LBB78_490:
	s_delay_alu instid0(SALU_CYCLE_1)
	s_and_not1_b32 vcc_lo, exec_lo, s30
	s_cbranch_vccnz .LBB78_495
; %bb.491:
	s_cmp_gt_i32 s23, 0
	s_mov_b32 s23, -1
	s_cbranch_scc0 .LBB78_493
; %bb.492:
	s_mov_b32 s23, 0
	global_store_b8 v[2:3], v0, off
.LBB78_493:
	s_and_not1_b32 vcc_lo, exec_lo, s23
	s_cbranch_vccnz .LBB78_495
; %bb.494:
	global_store_b8 v[2:3], v0, off
.LBB78_495:
	s_mov_b32 s31, -1
.LBB78_496:
	s_delay_alu instid0(SALU_CYCLE_1)
	s_and_not1_b32 vcc_lo, exec_lo, s31
	s_cbranch_vccnz .LBB78_498
; %bb.497:
	v_add_nc_u32_e32 v26, 0x80, v26
	s_mov_b32 s30, -1
	s_branch .LBB78_499
.LBB78_498:
	s_mov_b32 s30, 0
                                        ; implicit-def: $vgpr26
.LBB78_499:
	s_and_b32 s23, s0, exec_lo
	s_and_b32 s25, s25, exec_lo
	;; [unrolled: 1-line block ×4, first 2 shown]
	s_or_not1_b32 s33, s30, exec_lo
.LBB78_500:
	s_wait_xcnt 0x0
	s_or_b32 exec_lo, exec_lo, s28
	s_mov_b32 s31, 0
	s_mov_b32 s30, 0
                                        ; implicit-def: $sgpr0
                                        ; implicit-def: $vgpr2_vgpr3
                                        ; implicit-def: $vgpr0_vgpr1
	s_and_saveexec_b32 s28, s33
	s_cbranch_execz .LBB78_509
; %bb.501:
	s_mov_b32 s36, -1
	s_mov_b32 s29, s27
	s_mov_b32 s33, s26
	;; [unrolled: 1-line block ×4, first 2 shown]
	s_mov_b32 s34, exec_lo
	v_cmpx_gt_i32_e64 s24, v26
	s_cbranch_execz .LBB78_1011
; %bb.502:
	s_wait_loadcnt 0x0
	v_mul_lo_u32 v0, v26, s13
	s_and_b32 s0, s21, 0xff
	s_delay_alu instid0(SALU_CYCLE_1) | instskip(NEXT) | instid1(VALU_DEP_1)
	s_cmp_lt_i32 s0, 11
	v_ashrrev_i32_e32 v1, 31, v0
	s_delay_alu instid0(VALU_DEP_1)
	v_add_nc_u64_e32 v[2:3], s[6:7], v[0:1]
	s_cbranch_scc1 .LBB78_512
; %bb.503:
	s_and_b32 s30, 0xffff, s0
	s_delay_alu instid0(SALU_CYCLE_1)
	s_cmp_gt_i32 s30, 25
	s_cbranch_scc0 .LBB78_521
; %bb.504:
	s_cmp_gt_i32 s30, 28
	s_cbranch_scc0 .LBB78_523
; %bb.505:
	;; [unrolled: 3-line block ×4, first 2 shown]
	s_cmp_eq_u32 s30, 46
	s_mov_b32 s33, 0
	s_cbranch_scc0 .LBB78_529
; %bb.508:
	global_load_b32 v0, v[2:3], off
	s_mov_b32 s31, -1
	s_mov_b32 s29, 0
	s_wait_loadcnt 0x0
	v_lshlrev_b32_e32 v0, 16, v0
	s_delay_alu instid0(VALU_DEP_1) | instskip(NEXT) | instid1(VALU_DEP_1)
	v_trunc_f32_e32 v0, v0
	v_mul_f32_e64 v1, 0x2f800000, |v0|
	s_delay_alu instid0(VALU_DEP_1) | instskip(NEXT) | instid1(VALU_DEP_1)
	v_floor_f32_e32 v1, v1
	v_fma_f32 v4, 0xcf800000, v1, |v0|
	v_ashrrev_i32_e32 v0, 31, v0
	v_cvt_u32_f32_e32 v5, v1
	s_delay_alu instid0(VALU_DEP_3) | instskip(NEXT) | instid1(VALU_DEP_2)
	v_cvt_u32_f32_e32 v4, v4
	v_dual_mov_b32 v1, v0 :: v_dual_bitop2_b32 v5, v5, v0 bitop3:0x14
	s_delay_alu instid0(VALU_DEP_2) | instskip(NEXT) | instid1(VALU_DEP_1)
	v_xor_b32_e32 v4, v4, v0
	v_sub_nc_u64_e32 v[0:1], v[4:5], v[0:1]
	s_branch .LBB78_531
.LBB78_509:
	s_or_b32 exec_lo, exec_lo, s28
	s_mov_b32 s24, 0
	s_and_saveexec_b32 s28, s27
	s_cbranch_execnz .LBB78_1599
.LBB78_510:
	s_or_b32 exec_lo, exec_lo, s28
	s_and_saveexec_b32 s27, s29
	s_delay_alu instid0(SALU_CYCLE_1)
	s_xor_b32 s27, exec_lo, s27
	s_cbranch_execz .LBB78_1600
.LBB78_511:
	s_wait_loadcnt 0x0
	global_load_u8 v0, v[2:3], off
	s_mov_b32 s28, 0
	s_or_b32 s30, s30, exec_lo
	v_mov_b32_e32 v1, s28
	s_wait_loadcnt 0x0
	v_cmp_ne_u16_e32 vcc_lo, 0, v0
	v_cndmask_b32_e64 v0, 0, 1, vcc_lo
	s_wait_xcnt 0x0
	s_or_b32 exec_lo, exec_lo, s27
	s_and_saveexec_b32 s27, s31
	s_cbranch_execz .LBB78_1646
	s_branch .LBB78_1601
.LBB78_512:
	s_mov_b32 s31, 0
	s_mov_b32 s29, s27
                                        ; implicit-def: $vgpr0_vgpr1
	s_cbranch_execnz .LBB78_593
.LBB78_513:
	s_and_not1_b32 vcc_lo, exec_lo, s31
	s_cbranch_vccnz .LBB78_641
.LBB78_514:
	s_wait_xcnt 0x0
	v_mul_lo_u32 v2, v26, s14
	s_and_b32 s0, s3, 0xff
	s_delay_alu instid0(SALU_CYCLE_1) | instskip(NEXT) | instid1(VALU_DEP_1)
	s_cmp_lt_i32 s0, 11
	v_ashrrev_i32_e32 v3, 31, v2
	s_delay_alu instid0(VALU_DEP_1)
	v_add_nc_u64_e32 v[4:5], s[8:9], v[2:3]
	s_cbranch_scc1 .LBB78_522
; %bb.515:
	s_and_b32 s30, 0xffff, s0
	s_delay_alu instid0(SALU_CYCLE_1)
	s_cmp_gt_i32 s30, 25
	s_cbranch_scc0 .LBB78_524
; %bb.516:
	s_cmp_gt_i32 s30, 28
	s_cbranch_scc0 .LBB78_526
; %bb.517:
	;; [unrolled: 3-line block ×4, first 2 shown]
	s_cmp_eq_u32 s30, 46
	s_mov_b32 s35, 0
	s_cbranch_scc0 .LBB78_644
; %bb.520:
	global_load_b32 v2, v[4:5], off
	s_mov_b32 s31, -1
	s_mov_b32 s33, 0
	s_wait_loadcnt 0x0
	v_lshlrev_b32_e32 v2, 16, v2
	s_delay_alu instid0(VALU_DEP_1) | instskip(NEXT) | instid1(VALU_DEP_1)
	v_trunc_f32_e32 v2, v2
	v_mul_f32_e64 v3, 0x2f800000, |v2|
	s_delay_alu instid0(VALU_DEP_1) | instskip(NEXT) | instid1(VALU_DEP_1)
	v_floor_f32_e32 v3, v3
	v_fma_f32 v6, 0xcf800000, v3, |v2|
	v_ashrrev_i32_e32 v2, 31, v2
	v_cvt_u32_f32_e32 v7, v3
	s_delay_alu instid0(VALU_DEP_3) | instskip(NEXT) | instid1(VALU_DEP_2)
	v_cvt_u32_f32_e32 v6, v6
	v_dual_mov_b32 v3, v2 :: v_dual_bitop2_b32 v7, v7, v2 bitop3:0x14
	s_delay_alu instid0(VALU_DEP_2) | instskip(NEXT) | instid1(VALU_DEP_1)
	v_xor_b32_e32 v6, v6, v2
	v_sub_nc_u64_e32 v[2:3], v[6:7], v[2:3]
	s_branch .LBB78_646
.LBB78_521:
	s_mov_b32 s33, -1
	s_mov_b32 s31, 0
	s_mov_b32 s29, s27
                                        ; implicit-def: $vgpr0_vgpr1
	s_branch .LBB78_559
.LBB78_522:
	s_mov_b32 s30, -1
	s_mov_b32 s31, 0
	s_mov_b32 s33, s26
                                        ; implicit-def: $vgpr2_vgpr3
	s_branch .LBB78_707
.LBB78_523:
	s_mov_b32 s33, -1
	s_mov_b32 s31, 0
	s_mov_b32 s29, s27
                                        ; implicit-def: $vgpr0_vgpr1
	s_branch .LBB78_542
.LBB78_524:
	s_mov_b32 s35, -1
	s_mov_b32 s31, 0
	s_mov_b32 s33, s26
                                        ; implicit-def: $vgpr2_vgpr3
	s_branch .LBB78_673
.LBB78_525:
	s_mov_b32 s33, -1
	s_mov_b32 s31, 0
	s_mov_b32 s29, s27
                                        ; implicit-def: $vgpr0_vgpr1
	s_branch .LBB78_537
.LBB78_526:
	s_mov_b32 s35, -1
	s_mov_b32 s31, 0
	s_mov_b32 s33, s26
                                        ; implicit-def: $vgpr2_vgpr3
	s_branch .LBB78_656
.LBB78_527:
	s_mov_b32 s33, -1
	s_mov_b32 s31, 0
	s_mov_b32 s29, s27
	s_branch .LBB78_530
.LBB78_528:
	s_mov_b32 s35, -1
	s_mov_b32 s31, 0
	s_mov_b32 s33, s26
                                        ; implicit-def: $vgpr2_vgpr3
	s_branch .LBB78_651
.LBB78_529:
	s_mov_b32 s29, -1
	s_mov_b32 s31, 0
.LBB78_530:
                                        ; implicit-def: $vgpr0_vgpr1
.LBB78_531:
	s_and_b32 vcc_lo, exec_lo, s33
	s_cbranch_vccz .LBB78_536
; %bb.532:
	s_cmp_eq_u32 s30, 44
	s_cbranch_scc0 .LBB78_535
; %bb.533:
	global_load_u8 v6, v[2:3], off
	s_mov_b32 s29, 0
	s_mov_b32 s31, -1
	s_wait_loadcnt 0x0
	v_cmp_ne_u32_e32 vcc_lo, 0, v6
	v_lshlrev_b32_e32 v0, 23, v6
	s_delay_alu instid0(VALU_DEP_1) | instskip(NEXT) | instid1(VALU_DEP_1)
	v_trunc_f32_e32 v0, v0
	v_mul_f32_e64 v1, 0x2f800000, |v0|
	s_delay_alu instid0(VALU_DEP_1) | instskip(NEXT) | instid1(VALU_DEP_1)
	v_floor_f32_e32 v1, v1
	v_fma_f32 v4, 0xcf800000, v1, |v0|
	v_ashrrev_i32_e32 v0, 31, v0
	v_cvt_u32_f32_e32 v5, v1
	s_delay_alu instid0(VALU_DEP_3) | instskip(NEXT) | instid1(VALU_DEP_2)
	v_cvt_u32_f32_e32 v4, v4
	v_dual_mov_b32 v1, v0 :: v_dual_bitop2_b32 v5, v5, v0 bitop3:0x14
	s_delay_alu instid0(VALU_DEP_2) | instskip(NEXT) | instid1(VALU_DEP_1)
	v_xor_b32_e32 v4, v4, v0
	v_sub_nc_u64_e32 v[0:1], v[4:5], v[0:1]
	s_delay_alu instid0(VALU_DEP_1)
	v_dual_cndmask_b32 v1, 0, v1 :: v_dual_cndmask_b32 v0, 0, v0
	s_branch .LBB78_536
.LBB78_534:
	s_mov_b32 s35, -1
	s_mov_b32 s31, 0
	s_mov_b32 s33, s26
	s_branch .LBB78_645
.LBB78_535:
	s_mov_b32 s29, -1
                                        ; implicit-def: $vgpr0_vgpr1
.LBB78_536:
	s_mov_b32 s33, 0
.LBB78_537:
	s_delay_alu instid0(SALU_CYCLE_1)
	s_and_b32 vcc_lo, exec_lo, s33
	s_cbranch_vccz .LBB78_541
; %bb.538:
	s_cmp_eq_u32 s30, 29
	s_cbranch_scc0 .LBB78_540
; %bb.539:
	global_load_b64 v[0:1], v[2:3], off
	s_mov_b32 s31, -1
	s_mov_b32 s29, 0
	s_branch .LBB78_541
.LBB78_540:
	s_mov_b32 s29, -1
                                        ; implicit-def: $vgpr0_vgpr1
.LBB78_541:
	s_mov_b32 s33, 0
.LBB78_542:
	s_delay_alu instid0(SALU_CYCLE_1)
	s_and_b32 vcc_lo, exec_lo, s33
	s_cbranch_vccz .LBB78_558
; %bb.543:
	s_cmp_lt_i32 s30, 27
	s_cbranch_scc1 .LBB78_546
; %bb.544:
	s_cmp_gt_i32 s30, 27
	s_cbranch_scc0 .LBB78_547
; %bb.545:
	s_wait_loadcnt 0x0
	global_load_b32 v0, v[2:3], off
	v_mov_b32_e32 v1, 0
	s_mov_b32 s31, 0
	s_branch .LBB78_548
.LBB78_546:
	s_mov_b32 s31, -1
                                        ; implicit-def: $vgpr0_vgpr1
	s_branch .LBB78_551
.LBB78_547:
	s_mov_b32 s31, -1
                                        ; implicit-def: $vgpr0_vgpr1
.LBB78_548:
	s_delay_alu instid0(SALU_CYCLE_1)
	s_and_not1_b32 vcc_lo, exec_lo, s31
	s_cbranch_vccnz .LBB78_550
; %bb.549:
	s_wait_loadcnt 0x0
	global_load_u16 v0, v[2:3], off
	s_mov_b32 s31, 0
	s_delay_alu instid0(SALU_CYCLE_1)
	v_mov_b32_e32 v1, s31
	s_wait_loadcnt 0x0
	v_and_b32_e32 v0, 0xffff, v0
.LBB78_550:
	s_mov_b32 s31, 0
.LBB78_551:
	s_delay_alu instid0(SALU_CYCLE_1)
	s_and_not1_b32 vcc_lo, exec_lo, s31
	s_cbranch_vccnz .LBB78_557
; %bb.552:
	global_load_u8 v4, v[2:3], off
	s_mov_b32 s33, 0
	s_mov_b32 s31, exec_lo
	s_wait_loadcnt 0x0
	v_cmpx_lt_i16_e32 0x7f, v4
	s_xor_b32 s31, exec_lo, s31
	s_cbranch_execz .LBB78_569
; %bb.553:
	v_cmp_ne_u16_e32 vcc_lo, 0x80, v4
	s_and_b32 s33, vcc_lo, exec_lo
	s_and_not1_saveexec_b32 s31, s31
	s_cbranch_execnz .LBB78_570
.LBB78_554:
	s_or_b32 exec_lo, exec_lo, s31
	v_mov_b64_e32 v[0:1], 0
	s_and_saveexec_b32 s31, s33
	s_cbranch_execz .LBB78_556
.LBB78_555:
	v_and_b32_e32 v0, 0xffff, v4
	s_delay_alu instid0(VALU_DEP_1) | instskip(SKIP_1) | instid1(VALU_DEP_2)
	v_and_b32_e32 v1, 7, v0
	v_bfe_u32 v7, v0, 3, 4
	v_clz_i32_u32_e32 v5, v1
	s_delay_alu instid0(VALU_DEP_2) | instskip(NEXT) | instid1(VALU_DEP_2)
	v_cmp_eq_u32_e32 vcc_lo, 0, v7
	v_min_u32_e32 v5, 32, v5
	s_delay_alu instid0(VALU_DEP_1) | instskip(NEXT) | instid1(VALU_DEP_1)
	v_subrev_nc_u32_e32 v6, 28, v5
	v_dual_lshlrev_b32 v0, v6, v0 :: v_dual_sub_nc_u32 v5, 29, v5
	s_delay_alu instid0(VALU_DEP_1) | instskip(NEXT) | instid1(VALU_DEP_2)
	v_and_b32_e32 v0, 7, v0
	v_dual_cndmask_b32 v5, v7, v5 :: v_dual_lshlrev_b32 v4, 24, v4
	s_delay_alu instid0(VALU_DEP_2) | instskip(NEXT) | instid1(VALU_DEP_2)
	v_cndmask_b32_e32 v0, v1, v0, vcc_lo
	v_and_b32_e32 v1, 0x80000000, v4
	s_delay_alu instid0(VALU_DEP_3) | instskip(NEXT) | instid1(VALU_DEP_3)
	v_lshl_add_u32 v4, v5, 23, 0x3b800000
	v_lshlrev_b32_e32 v0, 20, v0
	s_delay_alu instid0(VALU_DEP_1) | instskip(NEXT) | instid1(VALU_DEP_1)
	v_or3_b32 v0, v1, v4, v0
	v_trunc_f32_e32 v0, v0
	s_delay_alu instid0(VALU_DEP_1) | instskip(NEXT) | instid1(VALU_DEP_1)
	v_mul_f32_e64 v1, 0x2f800000, |v0|
	v_floor_f32_e32 v1, v1
	s_delay_alu instid0(VALU_DEP_1) | instskip(SKIP_2) | instid1(VALU_DEP_3)
	v_fma_f32 v4, 0xcf800000, v1, |v0|
	v_ashrrev_i32_e32 v0, 31, v0
	v_cvt_u32_f32_e32 v5, v1
	v_cvt_u32_f32_e32 v4, v4
	s_delay_alu instid0(VALU_DEP_2) | instskip(NEXT) | instid1(VALU_DEP_2)
	v_dual_mov_b32 v1, v0 :: v_dual_bitop2_b32 v5, v5, v0 bitop3:0x14
	v_xor_b32_e32 v4, v4, v0
	s_delay_alu instid0(VALU_DEP_1)
	v_sub_nc_u64_e32 v[0:1], v[4:5], v[0:1]
.LBB78_556:
	s_or_b32 exec_lo, exec_lo, s31
.LBB78_557:
	s_mov_b32 s31, -1
.LBB78_558:
	s_mov_b32 s33, 0
.LBB78_559:
	s_delay_alu instid0(SALU_CYCLE_1)
	s_and_b32 vcc_lo, exec_lo, s33
	s_cbranch_vccz .LBB78_592
; %bb.560:
	s_cmp_gt_i32 s30, 22
	s_cbranch_scc0 .LBB78_568
; %bb.561:
	s_cmp_lt_i32 s30, 24
	s_cbranch_scc1 .LBB78_571
; %bb.562:
	s_cmp_gt_i32 s30, 24
	s_cbranch_scc0 .LBB78_572
; %bb.563:
	global_load_u8 v4, v[2:3], off
	s_mov_b32 s33, 0
	s_mov_b32 s31, exec_lo
	s_wait_loadcnt 0x0
	v_cmpx_lt_i16_e32 0x7f, v4
	s_xor_b32 s31, exec_lo, s31
	s_cbranch_execz .LBB78_584
; %bb.564:
	v_cmp_ne_u16_e32 vcc_lo, 0x80, v4
	s_and_b32 s33, vcc_lo, exec_lo
	s_and_not1_saveexec_b32 s31, s31
	s_cbranch_execnz .LBB78_585
.LBB78_565:
	s_or_b32 exec_lo, exec_lo, s31
	v_mov_b64_e32 v[0:1], 0
	s_and_saveexec_b32 s31, s33
	s_cbranch_execz .LBB78_567
.LBB78_566:
	v_and_b32_e32 v0, 0xffff, v4
	s_delay_alu instid0(VALU_DEP_1) | instskip(SKIP_1) | instid1(VALU_DEP_2)
	v_and_b32_e32 v1, 3, v0
	v_bfe_u32 v7, v0, 2, 5
	v_clz_i32_u32_e32 v5, v1
	s_delay_alu instid0(VALU_DEP_2) | instskip(NEXT) | instid1(VALU_DEP_2)
	v_cmp_eq_u32_e32 vcc_lo, 0, v7
	v_min_u32_e32 v5, 32, v5
	s_delay_alu instid0(VALU_DEP_1) | instskip(NEXT) | instid1(VALU_DEP_1)
	v_subrev_nc_u32_e32 v6, 29, v5
	v_dual_lshlrev_b32 v0, v6, v0 :: v_dual_sub_nc_u32 v5, 30, v5
	s_delay_alu instid0(VALU_DEP_1) | instskip(NEXT) | instid1(VALU_DEP_2)
	v_and_b32_e32 v0, 3, v0
	v_dual_cndmask_b32 v5, v7, v5 :: v_dual_lshlrev_b32 v4, 24, v4
	s_delay_alu instid0(VALU_DEP_2) | instskip(NEXT) | instid1(VALU_DEP_2)
	v_cndmask_b32_e32 v0, v1, v0, vcc_lo
	v_and_b32_e32 v1, 0x80000000, v4
	s_delay_alu instid0(VALU_DEP_3) | instskip(NEXT) | instid1(VALU_DEP_3)
	v_lshl_add_u32 v4, v5, 23, 0x37800000
	v_lshlrev_b32_e32 v0, 21, v0
	s_delay_alu instid0(VALU_DEP_1) | instskip(NEXT) | instid1(VALU_DEP_1)
	v_or3_b32 v0, v1, v4, v0
	v_trunc_f32_e32 v0, v0
	s_delay_alu instid0(VALU_DEP_1) | instskip(NEXT) | instid1(VALU_DEP_1)
	v_mul_f32_e64 v1, 0x2f800000, |v0|
	v_floor_f32_e32 v1, v1
	s_delay_alu instid0(VALU_DEP_1) | instskip(SKIP_2) | instid1(VALU_DEP_3)
	v_fma_f32 v4, 0xcf800000, v1, |v0|
	v_ashrrev_i32_e32 v0, 31, v0
	v_cvt_u32_f32_e32 v5, v1
	v_cvt_u32_f32_e32 v4, v4
	s_delay_alu instid0(VALU_DEP_2) | instskip(NEXT) | instid1(VALU_DEP_2)
	v_dual_mov_b32 v1, v0 :: v_dual_bitop2_b32 v5, v5, v0 bitop3:0x14
	v_xor_b32_e32 v4, v4, v0
	s_delay_alu instid0(VALU_DEP_1)
	v_sub_nc_u64_e32 v[0:1], v[4:5], v[0:1]
.LBB78_567:
	s_or_b32 exec_lo, exec_lo, s31
	s_mov_b32 s31, 0
	s_branch .LBB78_573
.LBB78_568:
	s_mov_b32 s33, -1
                                        ; implicit-def: $vgpr0_vgpr1
	s_branch .LBB78_579
.LBB78_569:
	s_and_not1_saveexec_b32 s31, s31
	s_cbranch_execz .LBB78_554
.LBB78_570:
	v_cmp_ne_u16_e32 vcc_lo, 0, v4
	s_and_not1_b32 s33, s33, exec_lo
	s_and_b32 s35, vcc_lo, exec_lo
	s_delay_alu instid0(SALU_CYCLE_1)
	s_or_b32 s33, s33, s35
	s_or_b32 exec_lo, exec_lo, s31
	v_mov_b64_e32 v[0:1], 0
	s_and_saveexec_b32 s31, s33
	s_cbranch_execnz .LBB78_555
	s_branch .LBB78_556
.LBB78_571:
	s_mov_b32 s31, -1
                                        ; implicit-def: $vgpr0_vgpr1
	s_branch .LBB78_576
.LBB78_572:
	s_mov_b32 s31, -1
                                        ; implicit-def: $vgpr0_vgpr1
.LBB78_573:
	s_delay_alu instid0(SALU_CYCLE_1)
	s_and_b32 vcc_lo, exec_lo, s31
	s_cbranch_vccz .LBB78_575
; %bb.574:
	s_wait_loadcnt 0x0
	global_load_u8 v0, v[2:3], off
	s_wait_loadcnt 0x0
	v_lshlrev_b32_e32 v0, 24, v0
	s_delay_alu instid0(VALU_DEP_1) | instskip(NEXT) | instid1(VALU_DEP_1)
	v_and_b32_e32 v1, 0x7f000000, v0
	v_clz_i32_u32_e32 v4, v1
	v_cmp_ne_u32_e32 vcc_lo, 0, v1
	v_add_nc_u32_e32 v6, 0x1000000, v1
	s_delay_alu instid0(VALU_DEP_3) | instskip(NEXT) | instid1(VALU_DEP_1)
	v_min_u32_e32 v4, 32, v4
	v_sub_nc_u32_e64 v4, v4, 4 clamp
	s_delay_alu instid0(VALU_DEP_1) | instskip(NEXT) | instid1(VALU_DEP_1)
	v_dual_lshlrev_b32 v5, v4, v1 :: v_dual_lshlrev_b32 v4, 23, v4
	v_lshrrev_b32_e32 v5, 4, v5
	s_delay_alu instid0(VALU_DEP_1) | instskip(NEXT) | instid1(VALU_DEP_1)
	v_dual_sub_nc_u32 v4, v5, v4 :: v_dual_ashrrev_i32 v5, 8, v6
	v_add_nc_u32_e32 v4, 0x3c000000, v4
	s_delay_alu instid0(VALU_DEP_1) | instskip(NEXT) | instid1(VALU_DEP_1)
	v_and_or_b32 v4, 0x7f800000, v5, v4
	v_cndmask_b32_e32 v1, 0, v4, vcc_lo
	s_delay_alu instid0(VALU_DEP_1) | instskip(NEXT) | instid1(VALU_DEP_1)
	v_and_or_b32 v0, 0x80000000, v0, v1
	v_trunc_f32_e32 v0, v0
	s_delay_alu instid0(VALU_DEP_1) | instskip(NEXT) | instid1(VALU_DEP_1)
	v_mul_f32_e64 v1, 0x2f800000, |v0|
	v_floor_f32_e32 v1, v1
	s_delay_alu instid0(VALU_DEP_1) | instskip(SKIP_2) | instid1(VALU_DEP_3)
	v_fma_f32 v4, 0xcf800000, v1, |v0|
	v_ashrrev_i32_e32 v0, 31, v0
	v_cvt_u32_f32_e32 v5, v1
	v_cvt_u32_f32_e32 v4, v4
	s_delay_alu instid0(VALU_DEP_2) | instskip(NEXT) | instid1(VALU_DEP_2)
	v_dual_mov_b32 v1, v0 :: v_dual_bitop2_b32 v5, v5, v0 bitop3:0x14
	v_xor_b32_e32 v4, v4, v0
	s_delay_alu instid0(VALU_DEP_1)
	v_sub_nc_u64_e32 v[0:1], v[4:5], v[0:1]
.LBB78_575:
	s_mov_b32 s31, 0
.LBB78_576:
	s_delay_alu instid0(SALU_CYCLE_1)
	s_and_not1_b32 vcc_lo, exec_lo, s31
	s_cbranch_vccnz .LBB78_578
; %bb.577:
	s_wait_loadcnt 0x0
	global_load_u8 v0, v[2:3], off
	s_wait_loadcnt 0x0
	v_lshlrev_b32_e32 v1, 25, v0
	v_lshlrev_b16 v0, 8, v0
	s_delay_alu instid0(VALU_DEP_1) | instskip(SKIP_1) | instid1(VALU_DEP_2)
	v_and_or_b32 v5, 0x7f00, v0, 0.5
	v_bfe_i32 v0, v0, 0, 16
	v_add_f32_e32 v5, -0.5, v5
	v_lshrrev_b32_e32 v4, 4, v1
	v_cmp_gt_u32_e32 vcc_lo, 0x8000000, v1
	s_delay_alu instid0(VALU_DEP_2) | instskip(NEXT) | instid1(VALU_DEP_1)
	v_or_b32_e32 v4, 0x70000000, v4
	v_mul_f32_e32 v4, 0x7800000, v4
	s_delay_alu instid0(VALU_DEP_1) | instskip(NEXT) | instid1(VALU_DEP_1)
	v_cndmask_b32_e32 v1, v4, v5, vcc_lo
	v_and_or_b32 v0, 0x80000000, v0, v1
	s_delay_alu instid0(VALU_DEP_1) | instskip(NEXT) | instid1(VALU_DEP_1)
	v_trunc_f32_e32 v0, v0
	v_mul_f32_e64 v1, 0x2f800000, |v0|
	s_delay_alu instid0(VALU_DEP_1) | instskip(NEXT) | instid1(VALU_DEP_1)
	v_floor_f32_e32 v1, v1
	v_fma_f32 v4, 0xcf800000, v1, |v0|
	v_ashrrev_i32_e32 v0, 31, v0
	v_cvt_u32_f32_e32 v5, v1
	s_delay_alu instid0(VALU_DEP_3) | instskip(NEXT) | instid1(VALU_DEP_2)
	v_cvt_u32_f32_e32 v4, v4
	v_dual_mov_b32 v1, v0 :: v_dual_bitop2_b32 v5, v5, v0 bitop3:0x14
	s_delay_alu instid0(VALU_DEP_2) | instskip(NEXT) | instid1(VALU_DEP_1)
	v_xor_b32_e32 v4, v4, v0
	v_sub_nc_u64_e32 v[0:1], v[4:5], v[0:1]
.LBB78_578:
	s_mov_b32 s33, 0
	s_mov_b32 s31, -1
.LBB78_579:
	s_and_not1_b32 vcc_lo, exec_lo, s33
	s_cbranch_vccnz .LBB78_592
; %bb.580:
	s_cmp_gt_i32 s30, 14
	s_cbranch_scc0 .LBB78_583
; %bb.581:
	s_cmp_eq_u32 s30, 15
	s_cbranch_scc0 .LBB78_586
; %bb.582:
	s_wait_loadcnt 0x0
	global_load_u16 v0, v[2:3], off
	s_mov_b32 s31, -1
	s_mov_b32 s29, 0
	s_wait_loadcnt 0x0
	v_lshlrev_b32_e32 v0, 16, v0
	s_delay_alu instid0(VALU_DEP_1) | instskip(NEXT) | instid1(VALU_DEP_1)
	v_trunc_f32_e32 v0, v0
	v_mul_f32_e64 v1, 0x2f800000, |v0|
	s_delay_alu instid0(VALU_DEP_1) | instskip(NEXT) | instid1(VALU_DEP_1)
	v_floor_f32_e32 v1, v1
	v_fma_f32 v4, 0xcf800000, v1, |v0|
	v_ashrrev_i32_e32 v0, 31, v0
	v_cvt_u32_f32_e32 v5, v1
	s_delay_alu instid0(VALU_DEP_3) | instskip(NEXT) | instid1(VALU_DEP_2)
	v_cvt_u32_f32_e32 v4, v4
	v_dual_mov_b32 v1, v0 :: v_dual_bitop2_b32 v5, v5, v0 bitop3:0x14
	s_delay_alu instid0(VALU_DEP_2) | instskip(NEXT) | instid1(VALU_DEP_1)
	v_xor_b32_e32 v4, v4, v0
	v_sub_nc_u64_e32 v[0:1], v[4:5], v[0:1]
	s_branch .LBB78_587
.LBB78_583:
	s_mov_b32 s33, -1
                                        ; implicit-def: $vgpr0_vgpr1
	s_branch .LBB78_588
.LBB78_584:
	s_and_not1_saveexec_b32 s31, s31
	s_cbranch_execz .LBB78_565
.LBB78_585:
	v_cmp_ne_u16_e32 vcc_lo, 0, v4
	s_and_not1_b32 s33, s33, exec_lo
	s_and_b32 s35, vcc_lo, exec_lo
	s_delay_alu instid0(SALU_CYCLE_1)
	s_or_b32 s33, s33, s35
	s_or_b32 exec_lo, exec_lo, s31
	v_mov_b64_e32 v[0:1], 0
	s_and_saveexec_b32 s31, s33
	s_cbranch_execnz .LBB78_566
	s_branch .LBB78_567
.LBB78_586:
	s_mov_b32 s29, -1
                                        ; implicit-def: $vgpr0_vgpr1
.LBB78_587:
	s_mov_b32 s33, 0
.LBB78_588:
	s_delay_alu instid0(SALU_CYCLE_1)
	s_and_b32 vcc_lo, exec_lo, s33
	s_cbranch_vccz .LBB78_592
; %bb.589:
	s_cmp_eq_u32 s30, 11
	s_cbranch_scc0 .LBB78_591
; %bb.590:
	s_wait_loadcnt 0x0
	global_load_u8 v0, v[2:3], off
	s_mov_b32 s29, 0
	s_mov_b32 s31, -1
	v_mov_b32_e32 v1, s29
	s_wait_loadcnt 0x0
	v_cmp_ne_u16_e32 vcc_lo, 0, v0
	v_cndmask_b32_e64 v0, 0, 1, vcc_lo
	s_branch .LBB78_592
.LBB78_591:
	s_mov_b32 s29, -1
                                        ; implicit-def: $vgpr0_vgpr1
.LBB78_592:
	s_branch .LBB78_513
.LBB78_593:
	s_and_b32 s0, 0xffff, s0
	s_delay_alu instid0(SALU_CYCLE_1)
	s_cmp_lt_i32 s0, 5
	s_cbranch_scc1 .LBB78_598
; %bb.594:
	s_cmp_lt_i32 s0, 8
	s_cbranch_scc1 .LBB78_599
; %bb.595:
	;; [unrolled: 3-line block ×3, first 2 shown]
	s_cmp_gt_i32 s0, 9
	s_cbranch_scc0 .LBB78_601
; %bb.597:
	s_wait_loadcnt 0x0
	global_load_b64 v[0:1], v[2:3], off
	s_mov_b32 s30, 0
	s_wait_loadcnt 0x0
	v_trunc_f64_e32 v[0:1], v[0:1]
	s_delay_alu instid0(VALU_DEP_1) | instskip(NEXT) | instid1(VALU_DEP_1)
	v_ldexp_f64 v[4:5], v[0:1], 0xffffffe0
	v_floor_f64_e32 v[4:5], v[4:5]
	s_delay_alu instid0(VALU_DEP_1) | instskip(SKIP_1) | instid1(VALU_DEP_2)
	v_fmamk_f64 v[6:7], v[4:5], 0xc1f00000, v[0:1]
	v_cvt_i32_f64_e32 v1, v[4:5]
	v_cvt_u32_f64_e32 v0, v[6:7]
	s_branch .LBB78_602
.LBB78_598:
	s_mov_b32 s30, -1
                                        ; implicit-def: $vgpr0_vgpr1
	s_branch .LBB78_620
.LBB78_599:
	s_mov_b32 s30, -1
                                        ; implicit-def: $vgpr0_vgpr1
	s_branch .LBB78_608
.LBB78_600:
	s_mov_b32 s30, -1
                                        ; implicit-def: $vgpr0_vgpr1
	s_branch .LBB78_605
.LBB78_601:
	s_mov_b32 s30, -1
                                        ; implicit-def: $vgpr0_vgpr1
.LBB78_602:
	s_delay_alu instid0(SALU_CYCLE_1)
	s_and_not1_b32 vcc_lo, exec_lo, s30
	s_cbranch_vccnz .LBB78_604
; %bb.603:
	s_wait_loadcnt 0x0
	global_load_b32 v0, v[2:3], off
	s_wait_loadcnt 0x0
	v_trunc_f32_e32 v0, v0
	s_delay_alu instid0(VALU_DEP_1) | instskip(NEXT) | instid1(VALU_DEP_1)
	v_mul_f32_e64 v1, 0x2f800000, |v0|
	v_floor_f32_e32 v1, v1
	s_delay_alu instid0(VALU_DEP_1) | instskip(SKIP_2) | instid1(VALU_DEP_3)
	v_fma_f32 v4, 0xcf800000, v1, |v0|
	v_ashrrev_i32_e32 v0, 31, v0
	v_cvt_u32_f32_e32 v5, v1
	v_cvt_u32_f32_e32 v4, v4
	s_delay_alu instid0(VALU_DEP_2) | instskip(NEXT) | instid1(VALU_DEP_2)
	v_dual_mov_b32 v1, v0 :: v_dual_bitop2_b32 v5, v5, v0 bitop3:0x14
	v_xor_b32_e32 v4, v4, v0
	s_delay_alu instid0(VALU_DEP_1)
	v_sub_nc_u64_e32 v[0:1], v[4:5], v[0:1]
.LBB78_604:
	s_mov_b32 s30, 0
.LBB78_605:
	s_delay_alu instid0(SALU_CYCLE_1)
	s_and_not1_b32 vcc_lo, exec_lo, s30
	s_cbranch_vccnz .LBB78_607
; %bb.606:
	s_wait_loadcnt 0x0
	global_load_b32 v0, v[2:3], off
	s_wait_loadcnt 0x0
	v_cvt_f32_f16_e32 v0, v0
	s_delay_alu instid0(VALU_DEP_1) | instskip(NEXT) | instid1(VALU_DEP_1)
	v_cvt_i32_f32_e32 v0, v0
	v_ashrrev_i32_e32 v1, 31, v0
.LBB78_607:
	s_mov_b32 s30, 0
.LBB78_608:
	s_delay_alu instid0(SALU_CYCLE_1)
	s_and_not1_b32 vcc_lo, exec_lo, s30
	s_cbranch_vccnz .LBB78_619
; %bb.609:
	s_cmp_lt_i32 s0, 6
	s_cbranch_scc1 .LBB78_612
; %bb.610:
	s_cmp_gt_i32 s0, 6
	s_cbranch_scc0 .LBB78_613
; %bb.611:
	s_wait_loadcnt 0x0
	global_load_b64 v[0:1], v[2:3], off
	s_mov_b32 s30, 0
	s_wait_loadcnt 0x0
	v_trunc_f64_e32 v[0:1], v[0:1]
	s_delay_alu instid0(VALU_DEP_1) | instskip(NEXT) | instid1(VALU_DEP_1)
	v_ldexp_f64 v[4:5], v[0:1], 0xffffffe0
	v_floor_f64_e32 v[4:5], v[4:5]
	s_delay_alu instid0(VALU_DEP_1) | instskip(SKIP_1) | instid1(VALU_DEP_2)
	v_fmamk_f64 v[6:7], v[4:5], 0xc1f00000, v[0:1]
	v_cvt_i32_f64_e32 v1, v[4:5]
	v_cvt_u32_f64_e32 v0, v[6:7]
	s_branch .LBB78_614
.LBB78_612:
	s_mov_b32 s30, -1
                                        ; implicit-def: $vgpr0_vgpr1
	s_branch .LBB78_617
.LBB78_613:
	s_mov_b32 s30, -1
                                        ; implicit-def: $vgpr0_vgpr1
.LBB78_614:
	s_delay_alu instid0(SALU_CYCLE_1)
	s_and_not1_b32 vcc_lo, exec_lo, s30
	s_cbranch_vccnz .LBB78_616
; %bb.615:
	s_wait_loadcnt 0x0
	global_load_b32 v0, v[2:3], off
	s_wait_loadcnt 0x0
	v_trunc_f32_e32 v0, v0
	s_delay_alu instid0(VALU_DEP_1) | instskip(NEXT) | instid1(VALU_DEP_1)
	v_mul_f32_e64 v1, 0x2f800000, |v0|
	v_floor_f32_e32 v1, v1
	s_delay_alu instid0(VALU_DEP_1) | instskip(SKIP_2) | instid1(VALU_DEP_3)
	v_fma_f32 v4, 0xcf800000, v1, |v0|
	v_ashrrev_i32_e32 v0, 31, v0
	v_cvt_u32_f32_e32 v5, v1
	v_cvt_u32_f32_e32 v4, v4
	s_delay_alu instid0(VALU_DEP_2) | instskip(NEXT) | instid1(VALU_DEP_2)
	v_dual_mov_b32 v1, v0 :: v_dual_bitop2_b32 v5, v5, v0 bitop3:0x14
	v_xor_b32_e32 v4, v4, v0
	s_delay_alu instid0(VALU_DEP_1)
	v_sub_nc_u64_e32 v[0:1], v[4:5], v[0:1]
.LBB78_616:
	s_mov_b32 s30, 0
.LBB78_617:
	s_delay_alu instid0(SALU_CYCLE_1)
	s_and_not1_b32 vcc_lo, exec_lo, s30
	s_cbranch_vccnz .LBB78_619
; %bb.618:
	s_wait_loadcnt 0x0
	global_load_u16 v0, v[2:3], off
	s_wait_loadcnt 0x0
	v_cvt_f32_f16_e32 v0, v0
	s_delay_alu instid0(VALU_DEP_1) | instskip(NEXT) | instid1(VALU_DEP_1)
	v_cvt_i32_f32_e32 v0, v0
	v_ashrrev_i32_e32 v1, 31, v0
.LBB78_619:
	s_mov_b32 s30, 0
.LBB78_620:
	s_delay_alu instid0(SALU_CYCLE_1)
	s_and_not1_b32 vcc_lo, exec_lo, s30
	s_cbranch_vccnz .LBB78_640
; %bb.621:
	s_cmp_lt_i32 s0, 2
	s_cbranch_scc1 .LBB78_625
; %bb.622:
	s_cmp_lt_i32 s0, 3
	s_cbranch_scc1 .LBB78_626
; %bb.623:
	s_cmp_gt_i32 s0, 3
	s_cbranch_scc0 .LBB78_627
; %bb.624:
	s_wait_loadcnt 0x0
	global_load_b64 v[0:1], v[2:3], off
	s_mov_b32 s30, 0
	s_branch .LBB78_628
.LBB78_625:
	s_mov_b32 s30, -1
                                        ; implicit-def: $vgpr0_vgpr1
	s_branch .LBB78_634
.LBB78_626:
	s_mov_b32 s30, -1
                                        ; implicit-def: $vgpr0_vgpr1
	s_branch .LBB78_631
.LBB78_627:
	s_mov_b32 s30, -1
                                        ; implicit-def: $vgpr0_vgpr1
.LBB78_628:
	s_delay_alu instid0(SALU_CYCLE_1)
	s_and_not1_b32 vcc_lo, exec_lo, s30
	s_cbranch_vccnz .LBB78_630
; %bb.629:
	s_wait_loadcnt 0x0
	global_load_b32 v0, v[2:3], off
	s_wait_loadcnt 0x0
	v_ashrrev_i32_e32 v1, 31, v0
.LBB78_630:
	s_mov_b32 s30, 0
.LBB78_631:
	s_delay_alu instid0(SALU_CYCLE_1)
	s_and_not1_b32 vcc_lo, exec_lo, s30
	s_cbranch_vccnz .LBB78_633
; %bb.632:
	s_wait_loadcnt 0x0
	global_load_u16 v0, v[2:3], off
	s_wait_loadcnt 0x0
	v_bfe_i32 v0, v0, 0, 16
	s_delay_alu instid0(VALU_DEP_1)
	v_ashrrev_i32_e32 v1, 31, v0
.LBB78_633:
	s_mov_b32 s30, 0
.LBB78_634:
	s_delay_alu instid0(SALU_CYCLE_1)
	s_and_not1_b32 vcc_lo, exec_lo, s30
	s_cbranch_vccnz .LBB78_640
; %bb.635:
	s_cmp_gt_i32 s0, 0
	s_mov_b32 s0, 0
	s_cbranch_scc0 .LBB78_637
; %bb.636:
	s_wait_loadcnt 0x0
	global_load_i8 v0, v[2:3], off
	s_wait_loadcnt 0x0
	v_bfe_i32 v0, v0, 0, 16
	s_delay_alu instid0(VALU_DEP_1)
	v_ashrrev_i32_e32 v1, 31, v0
	s_branch .LBB78_638
.LBB78_637:
	s_mov_b32 s0, -1
                                        ; implicit-def: $vgpr0_vgpr1
.LBB78_638:
	s_delay_alu instid0(SALU_CYCLE_1)
	s_and_not1_b32 vcc_lo, exec_lo, s0
	s_cbranch_vccnz .LBB78_640
; %bb.639:
	s_wait_loadcnt 0x0
	global_load_u8 v0, v[2:3], off
	s_mov_b32 s0, 0
	s_delay_alu instid0(SALU_CYCLE_1)
	v_mov_b32_e32 v1, s0
	s_wait_loadcnt 0x0
	v_and_b32_e32 v0, 0xffff, v0
.LBB78_640:
	s_branch .LBB78_514
.LBB78_641:
	s_mov_b32 s35, 0
	s_mov_b32 s0, s23
	;; [unrolled: 1-line block ×4, first 2 shown]
	s_branch .LBB78_1009
.LBB78_642:
	s_and_not1_saveexec_b32 s34, s34
	s_cbranch_execz .LBB78_409
.LBB78_643:
	v_add_f32_e64 v5, 0x46000000, |v4|
	s_and_not1_b32 s33, s33, exec_lo
	s_delay_alu instid0(VALU_DEP_1) | instskip(NEXT) | instid1(VALU_DEP_1)
	v_and_b32_e32 v5, 0xff, v5
	v_cmp_ne_u32_e32 vcc_lo, 0, v5
	s_and_b32 s35, vcc_lo, exec_lo
	s_delay_alu instid0(SALU_CYCLE_1)
	s_or_b32 s33, s33, s35
	s_or_b32 exec_lo, exec_lo, s34
	v_mov_b32_e32 v6, 0
	s_and_saveexec_b32 s34, s33
	s_cbranch_execnz .LBB78_410
	s_branch .LBB78_411
.LBB78_644:
	s_mov_b32 s33, -1
	s_mov_b32 s31, 0
.LBB78_645:
                                        ; implicit-def: $vgpr2_vgpr3
.LBB78_646:
	s_and_b32 vcc_lo, exec_lo, s35
	s_cbranch_vccz .LBB78_650
; %bb.647:
	s_cmp_eq_u32 s30, 44
	s_cbranch_scc0 .LBB78_649
; %bb.648:
	global_load_u8 v8, v[4:5], off
	s_mov_b32 s33, 0
	s_mov_b32 s31, -1
	s_wait_loadcnt 0x0
	v_cmp_ne_u32_e32 vcc_lo, 0, v8
	v_lshlrev_b32_e32 v2, 23, v8
	s_delay_alu instid0(VALU_DEP_1) | instskip(NEXT) | instid1(VALU_DEP_1)
	v_trunc_f32_e32 v2, v2
	v_mul_f32_e64 v3, 0x2f800000, |v2|
	s_delay_alu instid0(VALU_DEP_1) | instskip(NEXT) | instid1(VALU_DEP_1)
	v_floor_f32_e32 v3, v3
	v_fma_f32 v6, 0xcf800000, v3, |v2|
	v_ashrrev_i32_e32 v2, 31, v2
	v_cvt_u32_f32_e32 v7, v3
	s_delay_alu instid0(VALU_DEP_3) | instskip(NEXT) | instid1(VALU_DEP_2)
	v_cvt_u32_f32_e32 v6, v6
	v_dual_mov_b32 v3, v2 :: v_dual_bitop2_b32 v7, v7, v2 bitop3:0x14
	s_delay_alu instid0(VALU_DEP_2) | instskip(NEXT) | instid1(VALU_DEP_1)
	v_xor_b32_e32 v6, v6, v2
	v_sub_nc_u64_e32 v[2:3], v[6:7], v[2:3]
	s_delay_alu instid0(VALU_DEP_1)
	v_dual_cndmask_b32 v3, 0, v3 :: v_dual_cndmask_b32 v2, 0, v2
	s_branch .LBB78_650
.LBB78_649:
	s_mov_b32 s33, -1
                                        ; implicit-def: $vgpr2_vgpr3
.LBB78_650:
	s_mov_b32 s35, 0
.LBB78_651:
	s_delay_alu instid0(SALU_CYCLE_1)
	s_and_b32 vcc_lo, exec_lo, s35
	s_cbranch_vccz .LBB78_655
; %bb.652:
	s_cmp_eq_u32 s30, 29
	s_cbranch_scc0 .LBB78_654
; %bb.653:
	global_load_b64 v[2:3], v[4:5], off
	s_mov_b32 s31, -1
	s_mov_b32 s33, 0
	s_branch .LBB78_655
.LBB78_654:
	s_mov_b32 s33, -1
                                        ; implicit-def: $vgpr2_vgpr3
.LBB78_655:
	s_mov_b32 s35, 0
.LBB78_656:
	s_delay_alu instid0(SALU_CYCLE_1)
	s_and_b32 vcc_lo, exec_lo, s35
	s_cbranch_vccz .LBB78_672
; %bb.657:
	s_cmp_lt_i32 s30, 27
	s_cbranch_scc1 .LBB78_660
; %bb.658:
	s_cmp_gt_i32 s30, 27
	s_cbranch_scc0 .LBB78_661
; %bb.659:
	s_wait_loadcnt 0x0
	global_load_b32 v2, v[4:5], off
	v_mov_b32_e32 v3, 0
	s_mov_b32 s31, 0
	s_branch .LBB78_662
.LBB78_660:
	s_mov_b32 s31, -1
                                        ; implicit-def: $vgpr2_vgpr3
	s_branch .LBB78_665
.LBB78_661:
	s_mov_b32 s31, -1
                                        ; implicit-def: $vgpr2_vgpr3
.LBB78_662:
	s_delay_alu instid0(SALU_CYCLE_1)
	s_and_not1_b32 vcc_lo, exec_lo, s31
	s_cbranch_vccnz .LBB78_664
; %bb.663:
	s_wait_loadcnt 0x0
	global_load_u16 v2, v[4:5], off
	s_mov_b32 s31, 0
	s_delay_alu instid0(SALU_CYCLE_1)
	v_mov_b32_e32 v3, s31
	s_wait_loadcnt 0x0
	v_and_b32_e32 v2, 0xffff, v2
.LBB78_664:
	s_mov_b32 s31, 0
.LBB78_665:
	s_delay_alu instid0(SALU_CYCLE_1)
	s_and_not1_b32 vcc_lo, exec_lo, s31
	s_cbranch_vccnz .LBB78_671
; %bb.666:
	global_load_u8 v6, v[4:5], off
	s_mov_b32 s35, 0
	s_mov_b32 s31, exec_lo
	s_wait_loadcnt 0x0
	v_cmpx_lt_i16_e32 0x7f, v6
	s_xor_b32 s31, exec_lo, s31
	s_cbranch_execz .LBB78_683
; %bb.667:
	v_cmp_ne_u16_e32 vcc_lo, 0x80, v6
	s_and_b32 s35, vcc_lo, exec_lo
	s_and_not1_saveexec_b32 s31, s31
	s_cbranch_execnz .LBB78_684
.LBB78_668:
	s_or_b32 exec_lo, exec_lo, s31
	v_mov_b64_e32 v[2:3], 0
	s_and_saveexec_b32 s31, s35
	s_cbranch_execz .LBB78_670
.LBB78_669:
	v_and_b32_e32 v2, 0xffff, v6
	s_delay_alu instid0(VALU_DEP_1) | instskip(SKIP_1) | instid1(VALU_DEP_2)
	v_and_b32_e32 v3, 7, v2
	v_bfe_u32 v9, v2, 3, 4
	v_clz_i32_u32_e32 v7, v3
	s_delay_alu instid0(VALU_DEP_2) | instskip(NEXT) | instid1(VALU_DEP_2)
	v_cmp_eq_u32_e32 vcc_lo, 0, v9
	v_min_u32_e32 v7, 32, v7
	s_delay_alu instid0(VALU_DEP_1) | instskip(NEXT) | instid1(VALU_DEP_1)
	v_subrev_nc_u32_e32 v8, 28, v7
	v_dual_lshlrev_b32 v2, v8, v2 :: v_dual_sub_nc_u32 v7, 29, v7
	s_delay_alu instid0(VALU_DEP_1) | instskip(NEXT) | instid1(VALU_DEP_2)
	v_and_b32_e32 v2, 7, v2
	v_dual_cndmask_b32 v7, v9, v7 :: v_dual_lshlrev_b32 v6, 24, v6
	s_delay_alu instid0(VALU_DEP_2) | instskip(NEXT) | instid1(VALU_DEP_2)
	v_cndmask_b32_e32 v2, v3, v2, vcc_lo
	v_and_b32_e32 v3, 0x80000000, v6
	s_delay_alu instid0(VALU_DEP_3) | instskip(NEXT) | instid1(VALU_DEP_3)
	v_lshl_add_u32 v6, v7, 23, 0x3b800000
	v_lshlrev_b32_e32 v2, 20, v2
	s_delay_alu instid0(VALU_DEP_1) | instskip(NEXT) | instid1(VALU_DEP_1)
	v_or3_b32 v2, v3, v6, v2
	v_trunc_f32_e32 v2, v2
	s_delay_alu instid0(VALU_DEP_1) | instskip(NEXT) | instid1(VALU_DEP_1)
	v_mul_f32_e64 v3, 0x2f800000, |v2|
	v_floor_f32_e32 v3, v3
	s_delay_alu instid0(VALU_DEP_1) | instskip(SKIP_2) | instid1(VALU_DEP_3)
	v_fma_f32 v6, 0xcf800000, v3, |v2|
	v_ashrrev_i32_e32 v2, 31, v2
	v_cvt_u32_f32_e32 v7, v3
	v_cvt_u32_f32_e32 v6, v6
	s_delay_alu instid0(VALU_DEP_2) | instskip(NEXT) | instid1(VALU_DEP_2)
	v_dual_mov_b32 v3, v2 :: v_dual_bitop2_b32 v7, v7, v2 bitop3:0x14
	v_xor_b32_e32 v6, v6, v2
	s_delay_alu instid0(VALU_DEP_1)
	v_sub_nc_u64_e32 v[2:3], v[6:7], v[2:3]
.LBB78_670:
	s_or_b32 exec_lo, exec_lo, s31
.LBB78_671:
	s_mov_b32 s31, -1
.LBB78_672:
	s_mov_b32 s35, 0
.LBB78_673:
	s_delay_alu instid0(SALU_CYCLE_1)
	s_and_b32 vcc_lo, exec_lo, s35
	s_cbranch_vccz .LBB78_706
; %bb.674:
	s_cmp_gt_i32 s30, 22
	s_cbranch_scc0 .LBB78_682
; %bb.675:
	s_cmp_lt_i32 s30, 24
	s_cbranch_scc1 .LBB78_685
; %bb.676:
	s_cmp_gt_i32 s30, 24
	s_cbranch_scc0 .LBB78_686
; %bb.677:
	global_load_u8 v6, v[4:5], off
	s_mov_b32 s35, 0
	s_mov_b32 s31, exec_lo
	s_wait_loadcnt 0x0
	v_cmpx_lt_i16_e32 0x7f, v6
	s_xor_b32 s31, exec_lo, s31
	s_cbranch_execz .LBB78_698
; %bb.678:
	v_cmp_ne_u16_e32 vcc_lo, 0x80, v6
	s_and_b32 s35, vcc_lo, exec_lo
	s_and_not1_saveexec_b32 s31, s31
	s_cbranch_execnz .LBB78_699
.LBB78_679:
	s_or_b32 exec_lo, exec_lo, s31
	v_mov_b64_e32 v[2:3], 0
	s_and_saveexec_b32 s31, s35
	s_cbranch_execz .LBB78_681
.LBB78_680:
	v_and_b32_e32 v2, 0xffff, v6
	s_delay_alu instid0(VALU_DEP_1) | instskip(SKIP_1) | instid1(VALU_DEP_2)
	v_and_b32_e32 v3, 3, v2
	v_bfe_u32 v9, v2, 2, 5
	v_clz_i32_u32_e32 v7, v3
	s_delay_alu instid0(VALU_DEP_2) | instskip(NEXT) | instid1(VALU_DEP_2)
	v_cmp_eq_u32_e32 vcc_lo, 0, v9
	v_min_u32_e32 v7, 32, v7
	s_delay_alu instid0(VALU_DEP_1) | instskip(NEXT) | instid1(VALU_DEP_1)
	v_subrev_nc_u32_e32 v8, 29, v7
	v_dual_lshlrev_b32 v2, v8, v2 :: v_dual_sub_nc_u32 v7, 30, v7
	s_delay_alu instid0(VALU_DEP_1) | instskip(NEXT) | instid1(VALU_DEP_2)
	v_and_b32_e32 v2, 3, v2
	v_dual_cndmask_b32 v7, v9, v7 :: v_dual_lshlrev_b32 v6, 24, v6
	s_delay_alu instid0(VALU_DEP_2) | instskip(NEXT) | instid1(VALU_DEP_2)
	v_cndmask_b32_e32 v2, v3, v2, vcc_lo
	v_and_b32_e32 v3, 0x80000000, v6
	s_delay_alu instid0(VALU_DEP_3) | instskip(NEXT) | instid1(VALU_DEP_3)
	v_lshl_add_u32 v6, v7, 23, 0x37800000
	v_lshlrev_b32_e32 v2, 21, v2
	s_delay_alu instid0(VALU_DEP_1) | instskip(NEXT) | instid1(VALU_DEP_1)
	v_or3_b32 v2, v3, v6, v2
	v_trunc_f32_e32 v2, v2
	s_delay_alu instid0(VALU_DEP_1) | instskip(NEXT) | instid1(VALU_DEP_1)
	v_mul_f32_e64 v3, 0x2f800000, |v2|
	v_floor_f32_e32 v3, v3
	s_delay_alu instid0(VALU_DEP_1) | instskip(SKIP_2) | instid1(VALU_DEP_3)
	v_fma_f32 v6, 0xcf800000, v3, |v2|
	v_ashrrev_i32_e32 v2, 31, v2
	v_cvt_u32_f32_e32 v7, v3
	v_cvt_u32_f32_e32 v6, v6
	s_delay_alu instid0(VALU_DEP_2) | instskip(NEXT) | instid1(VALU_DEP_2)
	v_dual_mov_b32 v3, v2 :: v_dual_bitop2_b32 v7, v7, v2 bitop3:0x14
	v_xor_b32_e32 v6, v6, v2
	s_delay_alu instid0(VALU_DEP_1)
	v_sub_nc_u64_e32 v[2:3], v[6:7], v[2:3]
.LBB78_681:
	s_or_b32 exec_lo, exec_lo, s31
	s_mov_b32 s31, 0
	s_branch .LBB78_687
.LBB78_682:
	s_mov_b32 s35, -1
                                        ; implicit-def: $vgpr2_vgpr3
	s_branch .LBB78_693
.LBB78_683:
	s_and_not1_saveexec_b32 s31, s31
	s_cbranch_execz .LBB78_668
.LBB78_684:
	v_cmp_ne_u16_e32 vcc_lo, 0, v6
	s_and_not1_b32 s35, s35, exec_lo
	s_and_b32 s36, vcc_lo, exec_lo
	s_delay_alu instid0(SALU_CYCLE_1)
	s_or_b32 s35, s35, s36
	s_or_b32 exec_lo, exec_lo, s31
	v_mov_b64_e32 v[2:3], 0
	s_and_saveexec_b32 s31, s35
	s_cbranch_execnz .LBB78_669
	s_branch .LBB78_670
.LBB78_685:
	s_mov_b32 s31, -1
                                        ; implicit-def: $vgpr2_vgpr3
	s_branch .LBB78_690
.LBB78_686:
	s_mov_b32 s31, -1
                                        ; implicit-def: $vgpr2_vgpr3
.LBB78_687:
	s_delay_alu instid0(SALU_CYCLE_1)
	s_and_b32 vcc_lo, exec_lo, s31
	s_cbranch_vccz .LBB78_689
; %bb.688:
	s_wait_loadcnt 0x0
	global_load_u8 v2, v[4:5], off
	s_wait_loadcnt 0x0
	v_lshlrev_b32_e32 v2, 24, v2
	s_delay_alu instid0(VALU_DEP_1) | instskip(NEXT) | instid1(VALU_DEP_1)
	v_and_b32_e32 v3, 0x7f000000, v2
	v_clz_i32_u32_e32 v6, v3
	v_cmp_ne_u32_e32 vcc_lo, 0, v3
	v_add_nc_u32_e32 v8, 0x1000000, v3
	s_delay_alu instid0(VALU_DEP_3) | instskip(NEXT) | instid1(VALU_DEP_1)
	v_min_u32_e32 v6, 32, v6
	v_sub_nc_u32_e64 v6, v6, 4 clamp
	s_delay_alu instid0(VALU_DEP_1) | instskip(NEXT) | instid1(VALU_DEP_1)
	v_dual_lshlrev_b32 v7, v6, v3 :: v_dual_lshlrev_b32 v6, 23, v6
	v_lshrrev_b32_e32 v7, 4, v7
	s_delay_alu instid0(VALU_DEP_1) | instskip(NEXT) | instid1(VALU_DEP_1)
	v_dual_sub_nc_u32 v6, v7, v6 :: v_dual_ashrrev_i32 v7, 8, v8
	v_add_nc_u32_e32 v6, 0x3c000000, v6
	s_delay_alu instid0(VALU_DEP_1) | instskip(NEXT) | instid1(VALU_DEP_1)
	v_and_or_b32 v6, 0x7f800000, v7, v6
	v_cndmask_b32_e32 v3, 0, v6, vcc_lo
	s_delay_alu instid0(VALU_DEP_1) | instskip(NEXT) | instid1(VALU_DEP_1)
	v_and_or_b32 v2, 0x80000000, v2, v3
	v_trunc_f32_e32 v2, v2
	s_delay_alu instid0(VALU_DEP_1) | instskip(NEXT) | instid1(VALU_DEP_1)
	v_mul_f32_e64 v3, 0x2f800000, |v2|
	v_floor_f32_e32 v3, v3
	s_delay_alu instid0(VALU_DEP_1) | instskip(SKIP_2) | instid1(VALU_DEP_3)
	v_fma_f32 v6, 0xcf800000, v3, |v2|
	v_ashrrev_i32_e32 v2, 31, v2
	v_cvt_u32_f32_e32 v7, v3
	v_cvt_u32_f32_e32 v6, v6
	s_delay_alu instid0(VALU_DEP_2) | instskip(NEXT) | instid1(VALU_DEP_2)
	v_dual_mov_b32 v3, v2 :: v_dual_bitop2_b32 v7, v7, v2 bitop3:0x14
	v_xor_b32_e32 v6, v6, v2
	s_delay_alu instid0(VALU_DEP_1)
	v_sub_nc_u64_e32 v[2:3], v[6:7], v[2:3]
.LBB78_689:
	s_mov_b32 s31, 0
.LBB78_690:
	s_delay_alu instid0(SALU_CYCLE_1)
	s_and_not1_b32 vcc_lo, exec_lo, s31
	s_cbranch_vccnz .LBB78_692
; %bb.691:
	s_wait_loadcnt 0x0
	global_load_u8 v2, v[4:5], off
	s_wait_loadcnt 0x0
	v_lshlrev_b32_e32 v3, 25, v2
	v_lshlrev_b16 v2, 8, v2
	s_delay_alu instid0(VALU_DEP_1) | instskip(SKIP_1) | instid1(VALU_DEP_2)
	v_and_or_b32 v7, 0x7f00, v2, 0.5
	v_bfe_i32 v2, v2, 0, 16
	v_add_f32_e32 v7, -0.5, v7
	v_lshrrev_b32_e32 v6, 4, v3
	v_cmp_gt_u32_e32 vcc_lo, 0x8000000, v3
	s_delay_alu instid0(VALU_DEP_2) | instskip(NEXT) | instid1(VALU_DEP_1)
	v_or_b32_e32 v6, 0x70000000, v6
	v_mul_f32_e32 v6, 0x7800000, v6
	s_delay_alu instid0(VALU_DEP_1) | instskip(NEXT) | instid1(VALU_DEP_1)
	v_cndmask_b32_e32 v3, v6, v7, vcc_lo
	v_and_or_b32 v2, 0x80000000, v2, v3
	s_delay_alu instid0(VALU_DEP_1) | instskip(NEXT) | instid1(VALU_DEP_1)
	v_trunc_f32_e32 v2, v2
	v_mul_f32_e64 v3, 0x2f800000, |v2|
	s_delay_alu instid0(VALU_DEP_1) | instskip(NEXT) | instid1(VALU_DEP_1)
	v_floor_f32_e32 v3, v3
	v_fma_f32 v6, 0xcf800000, v3, |v2|
	v_ashrrev_i32_e32 v2, 31, v2
	v_cvt_u32_f32_e32 v7, v3
	s_delay_alu instid0(VALU_DEP_3) | instskip(NEXT) | instid1(VALU_DEP_2)
	v_cvt_u32_f32_e32 v6, v6
	v_dual_mov_b32 v3, v2 :: v_dual_bitop2_b32 v7, v7, v2 bitop3:0x14
	s_delay_alu instid0(VALU_DEP_2) | instskip(NEXT) | instid1(VALU_DEP_1)
	v_xor_b32_e32 v6, v6, v2
	v_sub_nc_u64_e32 v[2:3], v[6:7], v[2:3]
.LBB78_692:
	s_mov_b32 s35, 0
	s_mov_b32 s31, -1
.LBB78_693:
	s_and_not1_b32 vcc_lo, exec_lo, s35
	s_cbranch_vccnz .LBB78_706
; %bb.694:
	s_cmp_gt_i32 s30, 14
	s_cbranch_scc0 .LBB78_697
; %bb.695:
	s_cmp_eq_u32 s30, 15
	s_cbranch_scc0 .LBB78_700
; %bb.696:
	s_wait_loadcnt 0x0
	global_load_u16 v2, v[4:5], off
	s_mov_b32 s31, -1
	s_mov_b32 s33, 0
	s_wait_loadcnt 0x0
	v_lshlrev_b32_e32 v2, 16, v2
	s_delay_alu instid0(VALU_DEP_1) | instskip(NEXT) | instid1(VALU_DEP_1)
	v_trunc_f32_e32 v2, v2
	v_mul_f32_e64 v3, 0x2f800000, |v2|
	s_delay_alu instid0(VALU_DEP_1) | instskip(NEXT) | instid1(VALU_DEP_1)
	v_floor_f32_e32 v3, v3
	v_fma_f32 v6, 0xcf800000, v3, |v2|
	v_ashrrev_i32_e32 v2, 31, v2
	v_cvt_u32_f32_e32 v7, v3
	s_delay_alu instid0(VALU_DEP_3) | instskip(NEXT) | instid1(VALU_DEP_2)
	v_cvt_u32_f32_e32 v6, v6
	v_dual_mov_b32 v3, v2 :: v_dual_bitop2_b32 v7, v7, v2 bitop3:0x14
	s_delay_alu instid0(VALU_DEP_2) | instskip(NEXT) | instid1(VALU_DEP_1)
	v_xor_b32_e32 v6, v6, v2
	v_sub_nc_u64_e32 v[2:3], v[6:7], v[2:3]
	s_branch .LBB78_701
.LBB78_697:
	s_mov_b32 s35, -1
                                        ; implicit-def: $vgpr2_vgpr3
	s_branch .LBB78_702
.LBB78_698:
	s_and_not1_saveexec_b32 s31, s31
	s_cbranch_execz .LBB78_679
.LBB78_699:
	v_cmp_ne_u16_e32 vcc_lo, 0, v6
	s_and_not1_b32 s35, s35, exec_lo
	s_and_b32 s36, vcc_lo, exec_lo
	s_delay_alu instid0(SALU_CYCLE_1)
	s_or_b32 s35, s35, s36
	s_or_b32 exec_lo, exec_lo, s31
	v_mov_b64_e32 v[2:3], 0
	s_and_saveexec_b32 s31, s35
	s_cbranch_execnz .LBB78_680
	s_branch .LBB78_681
.LBB78_700:
	s_mov_b32 s33, -1
                                        ; implicit-def: $vgpr2_vgpr3
.LBB78_701:
	s_mov_b32 s35, 0
.LBB78_702:
	s_delay_alu instid0(SALU_CYCLE_1)
	s_and_b32 vcc_lo, exec_lo, s35
	s_cbranch_vccz .LBB78_706
; %bb.703:
	s_cmp_eq_u32 s30, 11
	s_cbranch_scc0 .LBB78_705
; %bb.704:
	s_wait_loadcnt 0x0
	global_load_u8 v2, v[4:5], off
	s_mov_b32 s33, 0
	s_mov_b32 s31, -1
	v_mov_b32_e32 v3, s33
	s_wait_loadcnt 0x0
	v_cmp_ne_u16_e32 vcc_lo, 0, v2
	v_cndmask_b32_e64 v2, 0, 1, vcc_lo
	s_branch .LBB78_706
.LBB78_705:
	s_mov_b32 s33, -1
                                        ; implicit-def: $vgpr2_vgpr3
.LBB78_706:
	s_mov_b32 s30, 0
.LBB78_707:
	s_delay_alu instid0(SALU_CYCLE_1)
	s_and_b32 vcc_lo, exec_lo, s30
	s_cbranch_vccz .LBB78_756
; %bb.708:
	s_and_b32 s0, 0xffff, s0
	s_delay_alu instid0(SALU_CYCLE_1)
	s_cmp_lt_i32 s0, 5
	s_cbranch_scc1 .LBB78_713
; %bb.709:
	s_cmp_lt_i32 s0, 8
	s_cbranch_scc1 .LBB78_714
; %bb.710:
	s_cmp_lt_i32 s0, 9
	s_cbranch_scc1 .LBB78_715
; %bb.711:
	s_cmp_gt_i32 s0, 9
	s_cbranch_scc0 .LBB78_716
; %bb.712:
	s_wait_loadcnt 0x0
	global_load_b64 v[2:3], v[4:5], off
	s_mov_b32 s30, 0
	s_wait_loadcnt 0x0
	v_trunc_f64_e32 v[2:3], v[2:3]
	s_delay_alu instid0(VALU_DEP_1) | instskip(NEXT) | instid1(VALU_DEP_1)
	v_ldexp_f64 v[6:7], v[2:3], 0xffffffe0
	v_floor_f64_e32 v[6:7], v[6:7]
	s_delay_alu instid0(VALU_DEP_1) | instskip(SKIP_1) | instid1(VALU_DEP_2)
	v_fmamk_f64 v[8:9], v[6:7], 0xc1f00000, v[2:3]
	v_cvt_i32_f64_e32 v3, v[6:7]
	v_cvt_u32_f64_e32 v2, v[8:9]
	s_branch .LBB78_717
.LBB78_713:
	s_mov_b32 s30, -1
                                        ; implicit-def: $vgpr2_vgpr3
	s_branch .LBB78_735
.LBB78_714:
	s_mov_b32 s30, -1
                                        ; implicit-def: $vgpr2_vgpr3
	s_branch .LBB78_723
.LBB78_715:
	s_mov_b32 s30, -1
                                        ; implicit-def: $vgpr2_vgpr3
	s_branch .LBB78_720
.LBB78_716:
	s_mov_b32 s30, -1
                                        ; implicit-def: $vgpr2_vgpr3
.LBB78_717:
	s_delay_alu instid0(SALU_CYCLE_1)
	s_and_not1_b32 vcc_lo, exec_lo, s30
	s_cbranch_vccnz .LBB78_719
; %bb.718:
	s_wait_loadcnt 0x0
	global_load_b32 v2, v[4:5], off
	s_wait_loadcnt 0x0
	v_trunc_f32_e32 v2, v2
	s_delay_alu instid0(VALU_DEP_1) | instskip(NEXT) | instid1(VALU_DEP_1)
	v_mul_f32_e64 v3, 0x2f800000, |v2|
	v_floor_f32_e32 v3, v3
	s_delay_alu instid0(VALU_DEP_1) | instskip(SKIP_2) | instid1(VALU_DEP_3)
	v_fma_f32 v6, 0xcf800000, v3, |v2|
	v_ashrrev_i32_e32 v2, 31, v2
	v_cvt_u32_f32_e32 v7, v3
	v_cvt_u32_f32_e32 v6, v6
	s_delay_alu instid0(VALU_DEP_2) | instskip(NEXT) | instid1(VALU_DEP_2)
	v_dual_mov_b32 v3, v2 :: v_dual_bitop2_b32 v7, v7, v2 bitop3:0x14
	v_xor_b32_e32 v6, v6, v2
	s_delay_alu instid0(VALU_DEP_1)
	v_sub_nc_u64_e32 v[2:3], v[6:7], v[2:3]
.LBB78_719:
	s_mov_b32 s30, 0
.LBB78_720:
	s_delay_alu instid0(SALU_CYCLE_1)
	s_and_not1_b32 vcc_lo, exec_lo, s30
	s_cbranch_vccnz .LBB78_722
; %bb.721:
	s_wait_loadcnt 0x0
	global_load_b32 v2, v[4:5], off
	s_wait_loadcnt 0x0
	v_cvt_f32_f16_e32 v2, v2
	s_delay_alu instid0(VALU_DEP_1) | instskip(NEXT) | instid1(VALU_DEP_1)
	v_cvt_i32_f32_e32 v2, v2
	v_ashrrev_i32_e32 v3, 31, v2
.LBB78_722:
	s_mov_b32 s30, 0
.LBB78_723:
	s_delay_alu instid0(SALU_CYCLE_1)
	s_and_not1_b32 vcc_lo, exec_lo, s30
	s_cbranch_vccnz .LBB78_734
; %bb.724:
	s_cmp_lt_i32 s0, 6
	s_cbranch_scc1 .LBB78_727
; %bb.725:
	s_cmp_gt_i32 s0, 6
	s_cbranch_scc0 .LBB78_728
; %bb.726:
	s_wait_loadcnt 0x0
	global_load_b64 v[2:3], v[4:5], off
	s_mov_b32 s30, 0
	s_wait_loadcnt 0x0
	v_trunc_f64_e32 v[2:3], v[2:3]
	s_delay_alu instid0(VALU_DEP_1) | instskip(NEXT) | instid1(VALU_DEP_1)
	v_ldexp_f64 v[6:7], v[2:3], 0xffffffe0
	v_floor_f64_e32 v[6:7], v[6:7]
	s_delay_alu instid0(VALU_DEP_1) | instskip(SKIP_1) | instid1(VALU_DEP_2)
	v_fmamk_f64 v[8:9], v[6:7], 0xc1f00000, v[2:3]
	v_cvt_i32_f64_e32 v3, v[6:7]
	v_cvt_u32_f64_e32 v2, v[8:9]
	s_branch .LBB78_729
.LBB78_727:
	s_mov_b32 s30, -1
                                        ; implicit-def: $vgpr2_vgpr3
	s_branch .LBB78_732
.LBB78_728:
	s_mov_b32 s30, -1
                                        ; implicit-def: $vgpr2_vgpr3
.LBB78_729:
	s_delay_alu instid0(SALU_CYCLE_1)
	s_and_not1_b32 vcc_lo, exec_lo, s30
	s_cbranch_vccnz .LBB78_731
; %bb.730:
	s_wait_loadcnt 0x0
	global_load_b32 v2, v[4:5], off
	s_wait_loadcnt 0x0
	v_trunc_f32_e32 v2, v2
	s_delay_alu instid0(VALU_DEP_1) | instskip(NEXT) | instid1(VALU_DEP_1)
	v_mul_f32_e64 v3, 0x2f800000, |v2|
	v_floor_f32_e32 v3, v3
	s_delay_alu instid0(VALU_DEP_1) | instskip(SKIP_2) | instid1(VALU_DEP_3)
	v_fma_f32 v6, 0xcf800000, v3, |v2|
	v_ashrrev_i32_e32 v2, 31, v2
	v_cvt_u32_f32_e32 v7, v3
	v_cvt_u32_f32_e32 v6, v6
	s_delay_alu instid0(VALU_DEP_2) | instskip(NEXT) | instid1(VALU_DEP_2)
	v_dual_mov_b32 v3, v2 :: v_dual_bitop2_b32 v7, v7, v2 bitop3:0x14
	v_xor_b32_e32 v6, v6, v2
	s_delay_alu instid0(VALU_DEP_1)
	v_sub_nc_u64_e32 v[2:3], v[6:7], v[2:3]
.LBB78_731:
	s_mov_b32 s30, 0
.LBB78_732:
	s_delay_alu instid0(SALU_CYCLE_1)
	s_and_not1_b32 vcc_lo, exec_lo, s30
	s_cbranch_vccnz .LBB78_734
; %bb.733:
	s_wait_loadcnt 0x0
	global_load_u16 v2, v[4:5], off
	s_wait_loadcnt 0x0
	v_cvt_f32_f16_e32 v2, v2
	s_delay_alu instid0(VALU_DEP_1) | instskip(NEXT) | instid1(VALU_DEP_1)
	v_cvt_i32_f32_e32 v2, v2
	v_ashrrev_i32_e32 v3, 31, v2
.LBB78_734:
	s_mov_b32 s30, 0
.LBB78_735:
	s_delay_alu instid0(SALU_CYCLE_1)
	s_and_not1_b32 vcc_lo, exec_lo, s30
	s_cbranch_vccnz .LBB78_755
; %bb.736:
	s_cmp_lt_i32 s0, 2
	s_cbranch_scc1 .LBB78_740
; %bb.737:
	s_cmp_lt_i32 s0, 3
	s_cbranch_scc1 .LBB78_741
; %bb.738:
	s_cmp_gt_i32 s0, 3
	s_cbranch_scc0 .LBB78_742
; %bb.739:
	s_wait_loadcnt 0x0
	global_load_b64 v[2:3], v[4:5], off
	s_mov_b32 s30, 0
	s_branch .LBB78_743
.LBB78_740:
	s_mov_b32 s30, -1
                                        ; implicit-def: $vgpr2_vgpr3
	s_branch .LBB78_749
.LBB78_741:
	s_mov_b32 s30, -1
                                        ; implicit-def: $vgpr2_vgpr3
	s_branch .LBB78_746
.LBB78_742:
	s_mov_b32 s30, -1
                                        ; implicit-def: $vgpr2_vgpr3
.LBB78_743:
	s_delay_alu instid0(SALU_CYCLE_1)
	s_and_not1_b32 vcc_lo, exec_lo, s30
	s_cbranch_vccnz .LBB78_745
; %bb.744:
	s_wait_loadcnt 0x0
	global_load_b32 v2, v[4:5], off
	s_wait_loadcnt 0x0
	v_ashrrev_i32_e32 v3, 31, v2
.LBB78_745:
	s_mov_b32 s30, 0
.LBB78_746:
	s_delay_alu instid0(SALU_CYCLE_1)
	s_and_not1_b32 vcc_lo, exec_lo, s30
	s_cbranch_vccnz .LBB78_748
; %bb.747:
	s_wait_loadcnt 0x0
	global_load_u16 v2, v[4:5], off
	s_wait_loadcnt 0x0
	v_bfe_i32 v2, v2, 0, 16
	s_delay_alu instid0(VALU_DEP_1)
	v_ashrrev_i32_e32 v3, 31, v2
.LBB78_748:
	s_mov_b32 s30, 0
.LBB78_749:
	s_delay_alu instid0(SALU_CYCLE_1)
	s_and_not1_b32 vcc_lo, exec_lo, s30
	s_cbranch_vccnz .LBB78_755
; %bb.750:
	s_cmp_gt_i32 s0, 0
	s_mov_b32 s0, 0
	s_cbranch_scc0 .LBB78_752
; %bb.751:
	s_wait_loadcnt 0x0
	global_load_i8 v2, v[4:5], off
	s_wait_loadcnt 0x0
	v_bfe_i32 v2, v2, 0, 16
	s_delay_alu instid0(VALU_DEP_1)
	v_ashrrev_i32_e32 v3, 31, v2
	s_branch .LBB78_753
.LBB78_752:
	s_mov_b32 s0, -1
                                        ; implicit-def: $vgpr2_vgpr3
.LBB78_753:
	s_delay_alu instid0(SALU_CYCLE_1)
	s_and_not1_b32 vcc_lo, exec_lo, s0
	s_cbranch_vccnz .LBB78_755
; %bb.754:
	s_wait_loadcnt 0x0
	global_load_u8 v2, v[4:5], off
	s_mov_b32 s0, 0
	s_delay_alu instid0(SALU_CYCLE_1)
	v_mov_b32_e32 v3, s0
	s_wait_loadcnt 0x0
	v_and_b32_e32 v2, 0xffff, v2
.LBB78_755:
	s_mov_b32 s31, -1
.LBB78_756:
	s_delay_alu instid0(SALU_CYCLE_1)
	s_and_not1_b32 vcc_lo, exec_lo, s31
	s_cbranch_vccnz .LBB78_764
; %bb.757:
	s_wait_xcnt 0x0
	v_mul_lo_u32 v4, v26, s15
	s_and_b32 s0, 0xffff, s1
	s_delay_alu instid0(SALU_CYCLE_1) | instskip(NEXT) | instid1(VALU_DEP_1)
	s_cmp_lt_i32 s0, 11
	v_ashrrev_i32_e32 v5, 31, v4
	s_delay_alu instid0(VALU_DEP_1)
	v_add_nc_u64_e32 v[4:5], s[10:11], v[4:5]
	s_cbranch_scc1 .LBB78_765
; %bb.758:
	s_cmp_gt_i32 s0, 25
	s_cbranch_scc0 .LBB78_766
; %bb.759:
	s_cmp_gt_i32 s0, 28
	s_cbranch_scc0 .LBB78_767
	;; [unrolled: 3-line block ×4, first 2 shown]
; %bb.762:
	s_cmp_eq_u32 s0, 46
	s_mov_b32 s35, 0
	s_cbranch_scc0 .LBB78_772
; %bb.763:
	global_load_b32 v6, v[4:5], off
	s_mov_b32 s31, -1
	s_mov_b32 s30, 0
	s_wait_loadcnt 0x0
	v_lshlrev_b32_e32 v6, 16, v6
	s_delay_alu instid0(VALU_DEP_1) | instskip(NEXT) | instid1(VALU_DEP_1)
	v_trunc_f32_e32 v6, v6
	v_mul_f32_e64 v7, 0x2f800000, |v6|
	s_delay_alu instid0(VALU_DEP_1) | instskip(NEXT) | instid1(VALU_DEP_1)
	v_floor_f32_e32 v7, v7
	v_fma_f32 v8, 0xcf800000, v7, |v6|
	v_ashrrev_i32_e32 v6, 31, v6
	v_cvt_u32_f32_e32 v9, v7
	s_delay_alu instid0(VALU_DEP_3) | instskip(NEXT) | instid1(VALU_DEP_2)
	v_cvt_u32_f32_e32 v8, v8
	v_dual_mov_b32 v7, v6 :: v_dual_bitop2_b32 v9, v9, v6 bitop3:0x14
	s_delay_alu instid0(VALU_DEP_2) | instskip(NEXT) | instid1(VALU_DEP_1)
	v_xor_b32_e32 v8, v8, v6
	v_sub_nc_u64_e32 v[6:7], v[8:9], v[6:7]
	s_branch .LBB78_774
.LBB78_764:
	s_mov_b32 s35, 0
	s_mov_b32 s0, s23
	;; [unrolled: 1-line block ×3, first 2 shown]
	s_branch .LBB78_1009
.LBB78_765:
	s_mov_b32 s35, -1
	s_mov_b32 s31, 0
	s_mov_b32 s30, s25
                                        ; implicit-def: $vgpr6_vgpr7
	s_branch .LBB78_835
.LBB78_766:
	s_mov_b32 s35, -1
	s_mov_b32 s31, 0
	s_mov_b32 s30, s25
                                        ; implicit-def: $vgpr6_vgpr7
	s_branch .LBB78_801
.LBB78_767:
	s_mov_b32 s35, -1
	s_mov_b32 s31, 0
	s_mov_b32 s30, s25
                                        ; implicit-def: $vgpr6_vgpr7
	s_branch .LBB78_784
.LBB78_768:
	s_mov_b32 s35, -1
	s_mov_b32 s31, 0
	s_mov_b32 s30, s25
                                        ; implicit-def: $vgpr6_vgpr7
	s_branch .LBB78_779
.LBB78_769:
	s_mov_b32 s35, -1
	s_mov_b32 s31, 0
	s_mov_b32 s30, s25
	s_branch .LBB78_773
.LBB78_770:
	s_and_not1_saveexec_b32 s34, s34
	s_cbranch_execz .LBB78_422
.LBB78_771:
	v_add_f32_e64 v5, 0x42800000, |v4|
	s_and_not1_b32 s33, s33, exec_lo
	s_delay_alu instid0(VALU_DEP_1) | instskip(NEXT) | instid1(VALU_DEP_1)
	v_and_b32_e32 v5, 0xff, v5
	v_cmp_ne_u32_e32 vcc_lo, 0, v5
	s_and_b32 s35, vcc_lo, exec_lo
	s_delay_alu instid0(SALU_CYCLE_1)
	s_or_b32 s33, s33, s35
	s_or_b32 exec_lo, exec_lo, s34
	v_mov_b32_e32 v6, 0
	s_and_saveexec_b32 s34, s33
	s_cbranch_execnz .LBB78_423
	s_branch .LBB78_424
.LBB78_772:
	s_mov_b32 s30, -1
	s_mov_b32 s31, 0
.LBB78_773:
                                        ; implicit-def: $vgpr6_vgpr7
.LBB78_774:
	s_and_b32 vcc_lo, exec_lo, s35
	s_cbranch_vccz .LBB78_778
; %bb.775:
	s_cmp_eq_u32 s0, 44
	s_cbranch_scc0 .LBB78_777
; %bb.776:
	global_load_u8 v10, v[4:5], off
	s_mov_b32 s30, 0
	s_mov_b32 s31, -1
	s_wait_loadcnt 0x0
	v_cmp_ne_u32_e32 vcc_lo, 0, v10
	v_lshlrev_b32_e32 v6, 23, v10
	s_delay_alu instid0(VALU_DEP_1) | instskip(NEXT) | instid1(VALU_DEP_1)
	v_trunc_f32_e32 v6, v6
	v_mul_f32_e64 v7, 0x2f800000, |v6|
	s_delay_alu instid0(VALU_DEP_1) | instskip(NEXT) | instid1(VALU_DEP_1)
	v_floor_f32_e32 v7, v7
	v_fma_f32 v8, 0xcf800000, v7, |v6|
	v_ashrrev_i32_e32 v6, 31, v6
	v_cvt_u32_f32_e32 v9, v7
	s_delay_alu instid0(VALU_DEP_3) | instskip(NEXT) | instid1(VALU_DEP_2)
	v_cvt_u32_f32_e32 v8, v8
	v_dual_mov_b32 v7, v6 :: v_dual_bitop2_b32 v9, v9, v6 bitop3:0x14
	s_delay_alu instid0(VALU_DEP_2) | instskip(NEXT) | instid1(VALU_DEP_1)
	v_xor_b32_e32 v8, v8, v6
	v_sub_nc_u64_e32 v[6:7], v[8:9], v[6:7]
	s_delay_alu instid0(VALU_DEP_1)
	v_dual_cndmask_b32 v7, 0, v7 :: v_dual_cndmask_b32 v6, 0, v6
	s_branch .LBB78_778
.LBB78_777:
	s_mov_b32 s30, -1
                                        ; implicit-def: $vgpr6_vgpr7
.LBB78_778:
	s_mov_b32 s35, 0
.LBB78_779:
	s_delay_alu instid0(SALU_CYCLE_1)
	s_and_b32 vcc_lo, exec_lo, s35
	s_cbranch_vccz .LBB78_783
; %bb.780:
	s_cmp_eq_u32 s0, 29
	s_cbranch_scc0 .LBB78_782
; %bb.781:
	global_load_b64 v[6:7], v[4:5], off
	s_mov_b32 s31, -1
	s_mov_b32 s30, 0
	s_branch .LBB78_783
.LBB78_782:
	s_mov_b32 s30, -1
                                        ; implicit-def: $vgpr6_vgpr7
.LBB78_783:
	s_mov_b32 s35, 0
.LBB78_784:
	s_delay_alu instid0(SALU_CYCLE_1)
	s_and_b32 vcc_lo, exec_lo, s35
	s_cbranch_vccz .LBB78_800
; %bb.785:
	s_cmp_lt_i32 s0, 27
	s_cbranch_scc1 .LBB78_788
; %bb.786:
	s_cmp_gt_i32 s0, 27
	s_cbranch_scc0 .LBB78_789
; %bb.787:
	s_wait_loadcnt 0x0
	global_load_b32 v6, v[4:5], off
	v_mov_b32_e32 v7, 0
	s_mov_b32 s31, 0
	s_branch .LBB78_790
.LBB78_788:
	s_mov_b32 s31, -1
                                        ; implicit-def: $vgpr6_vgpr7
	s_branch .LBB78_793
.LBB78_789:
	s_mov_b32 s31, -1
                                        ; implicit-def: $vgpr6_vgpr7
.LBB78_790:
	s_delay_alu instid0(SALU_CYCLE_1)
	s_and_not1_b32 vcc_lo, exec_lo, s31
	s_cbranch_vccnz .LBB78_792
; %bb.791:
	s_wait_loadcnt 0x0
	global_load_u16 v6, v[4:5], off
	s_mov_b32 s31, 0
	s_delay_alu instid0(SALU_CYCLE_1)
	v_mov_b32_e32 v7, s31
	s_wait_loadcnt 0x0
	v_and_b32_e32 v6, 0xffff, v6
.LBB78_792:
	s_mov_b32 s31, 0
.LBB78_793:
	s_delay_alu instid0(SALU_CYCLE_1)
	s_and_not1_b32 vcc_lo, exec_lo, s31
	s_cbranch_vccnz .LBB78_799
; %bb.794:
	global_load_u8 v8, v[4:5], off
	s_mov_b32 s35, 0
	s_mov_b32 s31, exec_lo
	s_wait_loadcnt 0x0
	v_cmpx_lt_i16_e32 0x7f, v8
	s_xor_b32 s31, exec_lo, s31
	s_cbranch_execz .LBB78_811
; %bb.795:
	v_cmp_ne_u16_e32 vcc_lo, 0x80, v8
	s_and_b32 s35, vcc_lo, exec_lo
	s_and_not1_saveexec_b32 s31, s31
	s_cbranch_execnz .LBB78_812
.LBB78_796:
	s_or_b32 exec_lo, exec_lo, s31
	v_mov_b64_e32 v[6:7], 0
	s_and_saveexec_b32 s31, s35
	s_cbranch_execz .LBB78_798
.LBB78_797:
	v_and_b32_e32 v6, 0xffff, v8
	s_delay_alu instid0(VALU_DEP_1) | instskip(SKIP_1) | instid1(VALU_DEP_2)
	v_and_b32_e32 v7, 7, v6
	v_bfe_u32 v11, v6, 3, 4
	v_clz_i32_u32_e32 v9, v7
	s_delay_alu instid0(VALU_DEP_2) | instskip(NEXT) | instid1(VALU_DEP_2)
	v_cmp_eq_u32_e32 vcc_lo, 0, v11
	v_min_u32_e32 v9, 32, v9
	s_delay_alu instid0(VALU_DEP_1) | instskip(NEXT) | instid1(VALU_DEP_1)
	v_subrev_nc_u32_e32 v10, 28, v9
	v_dual_lshlrev_b32 v6, v10, v6 :: v_dual_sub_nc_u32 v9, 29, v9
	s_delay_alu instid0(VALU_DEP_1) | instskip(NEXT) | instid1(VALU_DEP_2)
	v_dual_lshlrev_b32 v8, 24, v8 :: v_dual_bitop2_b32 v6, 7, v6 bitop3:0x40
	v_cndmask_b32_e32 v9, v11, v9, vcc_lo
	s_delay_alu instid0(VALU_DEP_2) | instskip(NEXT) | instid1(VALU_DEP_3)
	v_cndmask_b32_e32 v6, v7, v6, vcc_lo
	v_and_b32_e32 v7, 0x80000000, v8
	s_delay_alu instid0(VALU_DEP_3) | instskip(NEXT) | instid1(VALU_DEP_3)
	v_lshl_add_u32 v8, v9, 23, 0x3b800000
	v_lshlrev_b32_e32 v6, 20, v6
	s_delay_alu instid0(VALU_DEP_1) | instskip(NEXT) | instid1(VALU_DEP_1)
	v_or3_b32 v6, v7, v8, v6
	v_trunc_f32_e32 v6, v6
	s_delay_alu instid0(VALU_DEP_1) | instskip(NEXT) | instid1(VALU_DEP_1)
	v_mul_f32_e64 v7, 0x2f800000, |v6|
	v_floor_f32_e32 v7, v7
	s_delay_alu instid0(VALU_DEP_1) | instskip(SKIP_2) | instid1(VALU_DEP_3)
	v_fma_f32 v8, 0xcf800000, v7, |v6|
	v_ashrrev_i32_e32 v6, 31, v6
	v_cvt_u32_f32_e32 v9, v7
	v_cvt_u32_f32_e32 v8, v8
	s_delay_alu instid0(VALU_DEP_2) | instskip(NEXT) | instid1(VALU_DEP_2)
	v_dual_mov_b32 v7, v6 :: v_dual_bitop2_b32 v9, v9, v6 bitop3:0x14
	v_xor_b32_e32 v8, v8, v6
	s_delay_alu instid0(VALU_DEP_1)
	v_sub_nc_u64_e32 v[6:7], v[8:9], v[6:7]
.LBB78_798:
	s_or_b32 exec_lo, exec_lo, s31
.LBB78_799:
	s_mov_b32 s31, -1
.LBB78_800:
	s_mov_b32 s35, 0
.LBB78_801:
	s_delay_alu instid0(SALU_CYCLE_1)
	s_and_b32 vcc_lo, exec_lo, s35
	s_cbranch_vccz .LBB78_834
; %bb.802:
	s_cmp_gt_i32 s0, 22
	s_cbranch_scc0 .LBB78_810
; %bb.803:
	s_cmp_lt_i32 s0, 24
	s_cbranch_scc1 .LBB78_813
; %bb.804:
	s_cmp_gt_i32 s0, 24
	s_cbranch_scc0 .LBB78_814
; %bb.805:
	global_load_u8 v8, v[4:5], off
	s_mov_b32 s35, 0
	s_mov_b32 s31, exec_lo
	s_wait_loadcnt 0x0
	v_cmpx_lt_i16_e32 0x7f, v8
	s_xor_b32 s31, exec_lo, s31
	s_cbranch_execz .LBB78_826
; %bb.806:
	v_cmp_ne_u16_e32 vcc_lo, 0x80, v8
	s_and_b32 s35, vcc_lo, exec_lo
	s_and_not1_saveexec_b32 s31, s31
	s_cbranch_execnz .LBB78_827
.LBB78_807:
	s_or_b32 exec_lo, exec_lo, s31
	v_mov_b64_e32 v[6:7], 0
	s_and_saveexec_b32 s31, s35
	s_cbranch_execz .LBB78_809
.LBB78_808:
	v_and_b32_e32 v6, 0xffff, v8
	s_delay_alu instid0(VALU_DEP_1) | instskip(SKIP_1) | instid1(VALU_DEP_2)
	v_and_b32_e32 v7, 3, v6
	v_bfe_u32 v11, v6, 2, 5
	v_clz_i32_u32_e32 v9, v7
	s_delay_alu instid0(VALU_DEP_2) | instskip(NEXT) | instid1(VALU_DEP_2)
	v_cmp_eq_u32_e32 vcc_lo, 0, v11
	v_min_u32_e32 v9, 32, v9
	s_delay_alu instid0(VALU_DEP_1) | instskip(NEXT) | instid1(VALU_DEP_1)
	v_subrev_nc_u32_e32 v10, 29, v9
	v_dual_lshlrev_b32 v6, v10, v6 :: v_dual_sub_nc_u32 v9, 30, v9
	s_delay_alu instid0(VALU_DEP_1) | instskip(NEXT) | instid1(VALU_DEP_2)
	v_dual_lshlrev_b32 v8, 24, v8 :: v_dual_bitop2_b32 v6, 3, v6 bitop3:0x40
	v_cndmask_b32_e32 v9, v11, v9, vcc_lo
	s_delay_alu instid0(VALU_DEP_2) | instskip(NEXT) | instid1(VALU_DEP_3)
	v_cndmask_b32_e32 v6, v7, v6, vcc_lo
	v_and_b32_e32 v7, 0x80000000, v8
	s_delay_alu instid0(VALU_DEP_3) | instskip(NEXT) | instid1(VALU_DEP_3)
	v_lshl_add_u32 v8, v9, 23, 0x37800000
	v_lshlrev_b32_e32 v6, 21, v6
	s_delay_alu instid0(VALU_DEP_1) | instskip(NEXT) | instid1(VALU_DEP_1)
	v_or3_b32 v6, v7, v8, v6
	v_trunc_f32_e32 v6, v6
	s_delay_alu instid0(VALU_DEP_1) | instskip(NEXT) | instid1(VALU_DEP_1)
	v_mul_f32_e64 v7, 0x2f800000, |v6|
	v_floor_f32_e32 v7, v7
	s_delay_alu instid0(VALU_DEP_1) | instskip(SKIP_2) | instid1(VALU_DEP_3)
	v_fma_f32 v8, 0xcf800000, v7, |v6|
	v_ashrrev_i32_e32 v6, 31, v6
	v_cvt_u32_f32_e32 v9, v7
	v_cvt_u32_f32_e32 v8, v8
	s_delay_alu instid0(VALU_DEP_2) | instskip(NEXT) | instid1(VALU_DEP_2)
	v_dual_mov_b32 v7, v6 :: v_dual_bitop2_b32 v9, v9, v6 bitop3:0x14
	v_xor_b32_e32 v8, v8, v6
	s_delay_alu instid0(VALU_DEP_1)
	v_sub_nc_u64_e32 v[6:7], v[8:9], v[6:7]
.LBB78_809:
	s_or_b32 exec_lo, exec_lo, s31
	s_mov_b32 s31, 0
	s_branch .LBB78_815
.LBB78_810:
	s_mov_b32 s35, -1
                                        ; implicit-def: $vgpr6_vgpr7
	s_branch .LBB78_821
.LBB78_811:
	s_and_not1_saveexec_b32 s31, s31
	s_cbranch_execz .LBB78_796
.LBB78_812:
	v_cmp_ne_u16_e32 vcc_lo, 0, v8
	s_and_not1_b32 s35, s35, exec_lo
	s_and_b32 s36, vcc_lo, exec_lo
	s_delay_alu instid0(SALU_CYCLE_1)
	s_or_b32 s35, s35, s36
	s_or_b32 exec_lo, exec_lo, s31
	v_mov_b64_e32 v[6:7], 0
	s_and_saveexec_b32 s31, s35
	s_cbranch_execnz .LBB78_797
	s_branch .LBB78_798
.LBB78_813:
	s_mov_b32 s31, -1
                                        ; implicit-def: $vgpr6_vgpr7
	s_branch .LBB78_818
.LBB78_814:
	s_mov_b32 s31, -1
                                        ; implicit-def: $vgpr6_vgpr7
.LBB78_815:
	s_delay_alu instid0(SALU_CYCLE_1)
	s_and_b32 vcc_lo, exec_lo, s31
	s_cbranch_vccz .LBB78_817
; %bb.816:
	s_wait_loadcnt 0x0
	global_load_u8 v6, v[4:5], off
	s_wait_loadcnt 0x0
	v_lshlrev_b32_e32 v6, 24, v6
	s_delay_alu instid0(VALU_DEP_1) | instskip(NEXT) | instid1(VALU_DEP_1)
	v_and_b32_e32 v7, 0x7f000000, v6
	v_clz_i32_u32_e32 v8, v7
	v_cmp_ne_u32_e32 vcc_lo, 0, v7
	v_add_nc_u32_e32 v10, 0x1000000, v7
	s_delay_alu instid0(VALU_DEP_3) | instskip(NEXT) | instid1(VALU_DEP_1)
	v_min_u32_e32 v8, 32, v8
	v_sub_nc_u32_e64 v8, v8, 4 clamp
	s_delay_alu instid0(VALU_DEP_1) | instskip(NEXT) | instid1(VALU_DEP_1)
	v_dual_lshlrev_b32 v9, v8, v7 :: v_dual_lshlrev_b32 v8, 23, v8
	v_lshrrev_b32_e32 v9, 4, v9
	s_delay_alu instid0(VALU_DEP_1) | instskip(NEXT) | instid1(VALU_DEP_1)
	v_dual_sub_nc_u32 v8, v9, v8 :: v_dual_ashrrev_i32 v9, 8, v10
	v_add_nc_u32_e32 v8, 0x3c000000, v8
	s_delay_alu instid0(VALU_DEP_1) | instskip(NEXT) | instid1(VALU_DEP_1)
	v_and_or_b32 v8, 0x7f800000, v9, v8
	v_cndmask_b32_e32 v7, 0, v8, vcc_lo
	s_delay_alu instid0(VALU_DEP_1) | instskip(NEXT) | instid1(VALU_DEP_1)
	v_and_or_b32 v6, 0x80000000, v6, v7
	v_trunc_f32_e32 v6, v6
	s_delay_alu instid0(VALU_DEP_1) | instskip(NEXT) | instid1(VALU_DEP_1)
	v_mul_f32_e64 v7, 0x2f800000, |v6|
	v_floor_f32_e32 v7, v7
	s_delay_alu instid0(VALU_DEP_1) | instskip(SKIP_2) | instid1(VALU_DEP_3)
	v_fma_f32 v8, 0xcf800000, v7, |v6|
	v_ashrrev_i32_e32 v6, 31, v6
	v_cvt_u32_f32_e32 v9, v7
	v_cvt_u32_f32_e32 v8, v8
	s_delay_alu instid0(VALU_DEP_2) | instskip(NEXT) | instid1(VALU_DEP_2)
	v_dual_mov_b32 v7, v6 :: v_dual_bitop2_b32 v9, v9, v6 bitop3:0x14
	v_xor_b32_e32 v8, v8, v6
	s_delay_alu instid0(VALU_DEP_1)
	v_sub_nc_u64_e32 v[6:7], v[8:9], v[6:7]
.LBB78_817:
	s_mov_b32 s31, 0
.LBB78_818:
	s_delay_alu instid0(SALU_CYCLE_1)
	s_and_not1_b32 vcc_lo, exec_lo, s31
	s_cbranch_vccnz .LBB78_820
; %bb.819:
	s_wait_loadcnt 0x0
	global_load_u8 v6, v[4:5], off
	s_wait_loadcnt 0x0
	v_lshlrev_b32_e32 v7, 25, v6
	v_lshlrev_b16 v6, 8, v6
	s_delay_alu instid0(VALU_DEP_1) | instskip(SKIP_1) | instid1(VALU_DEP_2)
	v_and_or_b32 v9, 0x7f00, v6, 0.5
	v_bfe_i32 v6, v6, 0, 16
	v_dual_add_f32 v9, -0.5, v9 :: v_dual_lshrrev_b32 v8, 4, v7
	v_cmp_gt_u32_e32 vcc_lo, 0x8000000, v7
	s_delay_alu instid0(VALU_DEP_2) | instskip(NEXT) | instid1(VALU_DEP_1)
	v_or_b32_e32 v8, 0x70000000, v8
	v_mul_f32_e32 v8, 0x7800000, v8
	s_delay_alu instid0(VALU_DEP_1) | instskip(NEXT) | instid1(VALU_DEP_1)
	v_cndmask_b32_e32 v7, v8, v9, vcc_lo
	v_and_or_b32 v6, 0x80000000, v6, v7
	s_delay_alu instid0(VALU_DEP_1) | instskip(NEXT) | instid1(VALU_DEP_1)
	v_trunc_f32_e32 v6, v6
	v_mul_f32_e64 v7, 0x2f800000, |v6|
	s_delay_alu instid0(VALU_DEP_1) | instskip(NEXT) | instid1(VALU_DEP_1)
	v_floor_f32_e32 v7, v7
	v_fma_f32 v8, 0xcf800000, v7, |v6|
	v_ashrrev_i32_e32 v6, 31, v6
	v_cvt_u32_f32_e32 v9, v7
	s_delay_alu instid0(VALU_DEP_3) | instskip(NEXT) | instid1(VALU_DEP_2)
	v_cvt_u32_f32_e32 v8, v8
	v_dual_mov_b32 v7, v6 :: v_dual_bitop2_b32 v9, v9, v6 bitop3:0x14
	s_delay_alu instid0(VALU_DEP_2) | instskip(NEXT) | instid1(VALU_DEP_1)
	v_xor_b32_e32 v8, v8, v6
	v_sub_nc_u64_e32 v[6:7], v[8:9], v[6:7]
.LBB78_820:
	s_mov_b32 s35, 0
	s_mov_b32 s31, -1
.LBB78_821:
	s_and_not1_b32 vcc_lo, exec_lo, s35
	s_cbranch_vccnz .LBB78_834
; %bb.822:
	s_cmp_gt_i32 s0, 14
	s_cbranch_scc0 .LBB78_825
; %bb.823:
	s_cmp_eq_u32 s0, 15
	s_cbranch_scc0 .LBB78_828
; %bb.824:
	s_wait_loadcnt 0x0
	global_load_u16 v6, v[4:5], off
	s_mov_b32 s31, -1
	s_mov_b32 s30, 0
	s_wait_loadcnt 0x0
	v_lshlrev_b32_e32 v6, 16, v6
	s_delay_alu instid0(VALU_DEP_1) | instskip(NEXT) | instid1(VALU_DEP_1)
	v_trunc_f32_e32 v6, v6
	v_mul_f32_e64 v7, 0x2f800000, |v6|
	s_delay_alu instid0(VALU_DEP_1) | instskip(NEXT) | instid1(VALU_DEP_1)
	v_floor_f32_e32 v7, v7
	v_fma_f32 v8, 0xcf800000, v7, |v6|
	v_ashrrev_i32_e32 v6, 31, v6
	v_cvt_u32_f32_e32 v9, v7
	s_delay_alu instid0(VALU_DEP_3) | instskip(NEXT) | instid1(VALU_DEP_2)
	v_cvt_u32_f32_e32 v8, v8
	v_dual_mov_b32 v7, v6 :: v_dual_bitop2_b32 v9, v9, v6 bitop3:0x14
	s_delay_alu instid0(VALU_DEP_2) | instskip(NEXT) | instid1(VALU_DEP_1)
	v_xor_b32_e32 v8, v8, v6
	v_sub_nc_u64_e32 v[6:7], v[8:9], v[6:7]
	s_branch .LBB78_829
.LBB78_825:
	s_mov_b32 s35, -1
                                        ; implicit-def: $vgpr6_vgpr7
	s_branch .LBB78_830
.LBB78_826:
	s_and_not1_saveexec_b32 s31, s31
	s_cbranch_execz .LBB78_807
.LBB78_827:
	v_cmp_ne_u16_e32 vcc_lo, 0, v8
	s_and_not1_b32 s35, s35, exec_lo
	s_and_b32 s36, vcc_lo, exec_lo
	s_delay_alu instid0(SALU_CYCLE_1)
	s_or_b32 s35, s35, s36
	s_or_b32 exec_lo, exec_lo, s31
	v_mov_b64_e32 v[6:7], 0
	s_and_saveexec_b32 s31, s35
	s_cbranch_execnz .LBB78_808
	s_branch .LBB78_809
.LBB78_828:
	s_mov_b32 s30, -1
                                        ; implicit-def: $vgpr6_vgpr7
.LBB78_829:
	s_mov_b32 s35, 0
.LBB78_830:
	s_delay_alu instid0(SALU_CYCLE_1)
	s_and_b32 vcc_lo, exec_lo, s35
	s_cbranch_vccz .LBB78_834
; %bb.831:
	s_cmp_eq_u32 s0, 11
	s_cbranch_scc0 .LBB78_833
; %bb.832:
	s_wait_loadcnt 0x0
	global_load_u8 v6, v[4:5], off
	s_mov_b32 s30, 0
	s_mov_b32 s31, -1
	v_mov_b32_e32 v7, s30
	s_wait_loadcnt 0x0
	v_cmp_ne_u16_e32 vcc_lo, 0, v6
	v_cndmask_b32_e64 v6, 0, 1, vcc_lo
	s_branch .LBB78_834
.LBB78_833:
	s_mov_b32 s30, -1
                                        ; implicit-def: $vgpr6_vgpr7
.LBB78_834:
	s_mov_b32 s35, 0
.LBB78_835:
	s_delay_alu instid0(SALU_CYCLE_1)
	s_and_b32 vcc_lo, exec_lo, s35
	s_cbranch_vccz .LBB78_884
; %bb.836:
	s_cmp_lt_i32 s0, 5
	s_cbranch_scc1 .LBB78_841
; %bb.837:
	s_cmp_lt_i32 s0, 8
	s_cbranch_scc1 .LBB78_842
	;; [unrolled: 3-line block ×3, first 2 shown]
; %bb.839:
	s_cmp_gt_i32 s0, 9
	s_cbranch_scc0 .LBB78_844
; %bb.840:
	s_wait_loadcnt 0x0
	global_load_b64 v[6:7], v[4:5], off
	s_mov_b32 s31, 0
	s_wait_loadcnt 0x0
	v_trunc_f64_e32 v[6:7], v[6:7]
	s_delay_alu instid0(VALU_DEP_1) | instskip(NEXT) | instid1(VALU_DEP_1)
	v_ldexp_f64 v[8:9], v[6:7], 0xffffffe0
	v_floor_f64_e32 v[8:9], v[8:9]
	s_delay_alu instid0(VALU_DEP_1) | instskip(SKIP_1) | instid1(VALU_DEP_2)
	v_fmamk_f64 v[10:11], v[8:9], 0xc1f00000, v[6:7]
	v_cvt_i32_f64_e32 v7, v[8:9]
	v_cvt_u32_f64_e32 v6, v[10:11]
	s_branch .LBB78_845
.LBB78_841:
	s_mov_b32 s31, -1
                                        ; implicit-def: $vgpr6_vgpr7
	s_branch .LBB78_863
.LBB78_842:
	s_mov_b32 s31, -1
                                        ; implicit-def: $vgpr6_vgpr7
	s_branch .LBB78_851
.LBB78_843:
	s_mov_b32 s31, -1
                                        ; implicit-def: $vgpr6_vgpr7
	s_branch .LBB78_848
.LBB78_844:
	s_mov_b32 s31, -1
                                        ; implicit-def: $vgpr6_vgpr7
.LBB78_845:
	s_delay_alu instid0(SALU_CYCLE_1)
	s_and_not1_b32 vcc_lo, exec_lo, s31
	s_cbranch_vccnz .LBB78_847
; %bb.846:
	s_wait_loadcnt 0x0
	global_load_b32 v6, v[4:5], off
	s_wait_loadcnt 0x0
	v_trunc_f32_e32 v6, v6
	s_delay_alu instid0(VALU_DEP_1) | instskip(NEXT) | instid1(VALU_DEP_1)
	v_mul_f32_e64 v7, 0x2f800000, |v6|
	v_floor_f32_e32 v7, v7
	s_delay_alu instid0(VALU_DEP_1) | instskip(SKIP_2) | instid1(VALU_DEP_3)
	v_fma_f32 v8, 0xcf800000, v7, |v6|
	v_ashrrev_i32_e32 v6, 31, v6
	v_cvt_u32_f32_e32 v9, v7
	v_cvt_u32_f32_e32 v8, v8
	s_delay_alu instid0(VALU_DEP_2) | instskip(NEXT) | instid1(VALU_DEP_2)
	v_dual_mov_b32 v7, v6 :: v_dual_bitop2_b32 v9, v9, v6 bitop3:0x14
	v_xor_b32_e32 v8, v8, v6
	s_delay_alu instid0(VALU_DEP_1)
	v_sub_nc_u64_e32 v[6:7], v[8:9], v[6:7]
.LBB78_847:
	s_mov_b32 s31, 0
.LBB78_848:
	s_delay_alu instid0(SALU_CYCLE_1)
	s_and_not1_b32 vcc_lo, exec_lo, s31
	s_cbranch_vccnz .LBB78_850
; %bb.849:
	s_wait_loadcnt 0x0
	global_load_b32 v6, v[4:5], off
	s_wait_loadcnt 0x0
	v_cvt_f32_f16_e32 v6, v6
	s_delay_alu instid0(VALU_DEP_1) | instskip(NEXT) | instid1(VALU_DEP_1)
	v_cvt_i32_f32_e32 v6, v6
	v_ashrrev_i32_e32 v7, 31, v6
.LBB78_850:
	s_mov_b32 s31, 0
.LBB78_851:
	s_delay_alu instid0(SALU_CYCLE_1)
	s_and_not1_b32 vcc_lo, exec_lo, s31
	s_cbranch_vccnz .LBB78_862
; %bb.852:
	s_cmp_lt_i32 s0, 6
	s_cbranch_scc1 .LBB78_855
; %bb.853:
	s_cmp_gt_i32 s0, 6
	s_cbranch_scc0 .LBB78_856
; %bb.854:
	s_wait_loadcnt 0x0
	global_load_b64 v[6:7], v[4:5], off
	s_mov_b32 s31, 0
	s_wait_loadcnt 0x0
	v_trunc_f64_e32 v[6:7], v[6:7]
	s_delay_alu instid0(VALU_DEP_1) | instskip(NEXT) | instid1(VALU_DEP_1)
	v_ldexp_f64 v[8:9], v[6:7], 0xffffffe0
	v_floor_f64_e32 v[8:9], v[8:9]
	s_delay_alu instid0(VALU_DEP_1) | instskip(SKIP_1) | instid1(VALU_DEP_2)
	v_fmamk_f64 v[10:11], v[8:9], 0xc1f00000, v[6:7]
	v_cvt_i32_f64_e32 v7, v[8:9]
	v_cvt_u32_f64_e32 v6, v[10:11]
	s_branch .LBB78_857
.LBB78_855:
	s_mov_b32 s31, -1
                                        ; implicit-def: $vgpr6_vgpr7
	s_branch .LBB78_860
.LBB78_856:
	s_mov_b32 s31, -1
                                        ; implicit-def: $vgpr6_vgpr7
.LBB78_857:
	s_delay_alu instid0(SALU_CYCLE_1)
	s_and_not1_b32 vcc_lo, exec_lo, s31
	s_cbranch_vccnz .LBB78_859
; %bb.858:
	s_wait_loadcnt 0x0
	global_load_b32 v6, v[4:5], off
	s_wait_loadcnt 0x0
	v_trunc_f32_e32 v6, v6
	s_delay_alu instid0(VALU_DEP_1) | instskip(NEXT) | instid1(VALU_DEP_1)
	v_mul_f32_e64 v7, 0x2f800000, |v6|
	v_floor_f32_e32 v7, v7
	s_delay_alu instid0(VALU_DEP_1) | instskip(SKIP_2) | instid1(VALU_DEP_3)
	v_fma_f32 v8, 0xcf800000, v7, |v6|
	v_ashrrev_i32_e32 v6, 31, v6
	v_cvt_u32_f32_e32 v9, v7
	v_cvt_u32_f32_e32 v8, v8
	s_delay_alu instid0(VALU_DEP_2) | instskip(NEXT) | instid1(VALU_DEP_2)
	v_dual_mov_b32 v7, v6 :: v_dual_bitop2_b32 v9, v9, v6 bitop3:0x14
	v_xor_b32_e32 v8, v8, v6
	s_delay_alu instid0(VALU_DEP_1)
	v_sub_nc_u64_e32 v[6:7], v[8:9], v[6:7]
.LBB78_859:
	s_mov_b32 s31, 0
.LBB78_860:
	s_delay_alu instid0(SALU_CYCLE_1)
	s_and_not1_b32 vcc_lo, exec_lo, s31
	s_cbranch_vccnz .LBB78_862
; %bb.861:
	s_wait_loadcnt 0x0
	global_load_u16 v6, v[4:5], off
	s_wait_loadcnt 0x0
	v_cvt_f32_f16_e32 v6, v6
	s_delay_alu instid0(VALU_DEP_1) | instskip(NEXT) | instid1(VALU_DEP_1)
	v_cvt_i32_f32_e32 v6, v6
	v_ashrrev_i32_e32 v7, 31, v6
.LBB78_862:
	s_mov_b32 s31, 0
.LBB78_863:
	s_delay_alu instid0(SALU_CYCLE_1)
	s_and_not1_b32 vcc_lo, exec_lo, s31
	s_cbranch_vccnz .LBB78_883
; %bb.864:
	s_cmp_lt_i32 s0, 2
	s_cbranch_scc1 .LBB78_868
; %bb.865:
	s_cmp_lt_i32 s0, 3
	s_cbranch_scc1 .LBB78_869
; %bb.866:
	s_cmp_gt_i32 s0, 3
	s_cbranch_scc0 .LBB78_870
; %bb.867:
	s_wait_loadcnt 0x0
	global_load_b64 v[6:7], v[4:5], off
	s_mov_b32 s31, 0
	s_branch .LBB78_871
.LBB78_868:
	s_mov_b32 s31, -1
                                        ; implicit-def: $vgpr6_vgpr7
	s_branch .LBB78_877
.LBB78_869:
	s_mov_b32 s31, -1
                                        ; implicit-def: $vgpr6_vgpr7
	s_branch .LBB78_874
.LBB78_870:
	s_mov_b32 s31, -1
                                        ; implicit-def: $vgpr6_vgpr7
.LBB78_871:
	s_delay_alu instid0(SALU_CYCLE_1)
	s_and_not1_b32 vcc_lo, exec_lo, s31
	s_cbranch_vccnz .LBB78_873
; %bb.872:
	s_wait_loadcnt 0x0
	global_load_b32 v6, v[4:5], off
	s_wait_loadcnt 0x0
	v_ashrrev_i32_e32 v7, 31, v6
.LBB78_873:
	s_mov_b32 s31, 0
.LBB78_874:
	s_delay_alu instid0(SALU_CYCLE_1)
	s_and_not1_b32 vcc_lo, exec_lo, s31
	s_cbranch_vccnz .LBB78_876
; %bb.875:
	s_wait_loadcnt 0x0
	global_load_u16 v6, v[4:5], off
	s_wait_loadcnt 0x0
	v_bfe_i32 v6, v6, 0, 16
	s_delay_alu instid0(VALU_DEP_1)
	v_ashrrev_i32_e32 v7, 31, v6
.LBB78_876:
	s_mov_b32 s31, 0
.LBB78_877:
	s_delay_alu instid0(SALU_CYCLE_1)
	s_and_not1_b32 vcc_lo, exec_lo, s31
	s_cbranch_vccnz .LBB78_883
; %bb.878:
	s_cmp_gt_i32 s0, 0
	s_mov_b32 s0, 0
	s_cbranch_scc0 .LBB78_880
; %bb.879:
	s_wait_loadcnt 0x0
	global_load_i8 v6, v[4:5], off
	s_wait_loadcnt 0x0
	v_bfe_i32 v6, v6, 0, 16
	s_delay_alu instid0(VALU_DEP_1)
	v_ashrrev_i32_e32 v7, 31, v6
	s_branch .LBB78_881
.LBB78_880:
	s_mov_b32 s0, -1
                                        ; implicit-def: $vgpr6_vgpr7
.LBB78_881:
	s_delay_alu instid0(SALU_CYCLE_1)
	s_and_not1_b32 vcc_lo, exec_lo, s0
	s_cbranch_vccnz .LBB78_883
; %bb.882:
	global_load_u8 v4, v[4:5], off
	s_mov_b32 s0, 0
	s_wait_loadcnt 0x1
	v_mov_b32_e32 v7, s0
	s_wait_loadcnt 0x0
	v_and_b32_e32 v6, 0xffff, v4
.LBB78_883:
	s_mov_b32 s31, -1
.LBB78_884:
	s_delay_alu instid0(SALU_CYCLE_1)
	s_and_not1_b32 vcc_lo, exec_lo, s31
	s_cbranch_vccnz .LBB78_892
; %bb.885:
	s_wait_loadcnt 0x0
	v_mul_u64_e32 v[0:1], s[16:17], v[0:1]
	v_mul_u64_e32 v[2:3], s[18:19], v[2:3]
	s_wait_xcnt 0x0
	v_mul_lo_u32 v4, v26, s12
	s_and_b32 s31, s2, 0xff
	s_delay_alu instid0(SALU_CYCLE_1) | instskip(NEXT) | instid1(VALU_DEP_1)
	s_cmp_lt_i32 s31, 11
	v_ashrrev_i32_e32 v5, 31, v4
	s_delay_alu instid0(VALU_DEP_3) | instskip(NEXT) | instid1(VALU_DEP_1)
	v_mad_nc_u64_u32 v[0:1], v2, v6, v[0:1]
	v_mad_u32 v1, v3, v6, v1
	s_delay_alu instid0(VALU_DEP_1) | instskip(NEXT) | instid1(VALU_DEP_4)
	v_mad_u32 v1, v2, v7, v1
	v_add_nc_u64_e32 v[2:3], s[4:5], v[4:5]
	s_cbranch_scc1 .LBB78_893
; %bb.886:
	s_and_b32 s35, 0xffff, s31
	s_delay_alu instid0(SALU_CYCLE_1)
	s_cmp_gt_i32 s35, 25
	s_cbranch_scc0 .LBB78_894
; %bb.887:
	s_cmp_gt_i32 s35, 28
	s_cbranch_scc0 .LBB78_895
; %bb.888:
	;; [unrolled: 3-line block ×4, first 2 shown]
	s_mov_b32 s37, 0
	s_mov_b32 s0, -1
	s_cmp_eq_u32 s35, 46
	s_mov_b32 s36, 0
	s_cbranch_scc0 .LBB78_898
; %bb.891:
	v_xor_b32_e32 v4, v0, v1
	v_cls_i32_e32 v5, v1
	s_mov_b32 s36, -1
	s_mov_b32 s0, 0
	s_delay_alu instid0(VALU_DEP_2) | instskip(NEXT) | instid1(VALU_DEP_1)
	v_ashrrev_i32_e32 v4, 31, v4
	v_add_nc_u32_e32 v4, 32, v4
	s_delay_alu instid0(VALU_DEP_1) | instskip(NEXT) | instid1(VALU_DEP_1)
	v_add_min_u32_e64 v6, v5, -1, v4
	v_lshlrev_b64_e32 v[4:5], v6, v[0:1]
	s_delay_alu instid0(VALU_DEP_1) | instskip(NEXT) | instid1(VALU_DEP_1)
	v_min_u32_e32 v4, 1, v4
	v_dual_sub_nc_u32 v5, 32, v6 :: v_dual_bitop2_b32 v4, v5, v4 bitop3:0x54
	s_delay_alu instid0(VALU_DEP_1) | instskip(NEXT) | instid1(VALU_DEP_1)
	v_cvt_f32_i32_e32 v4, v4
	v_ldexp_f32 v4, v4, v5
	s_delay_alu instid0(VALU_DEP_1) | instskip(NEXT) | instid1(VALU_DEP_1)
	v_bfe_u32 v5, v4, 16, 1
	v_add3_u32 v4, v4, v5, 0x7fff
	s_delay_alu instid0(VALU_DEP_1)
	v_lshrrev_b32_e32 v4, 16, v4
	global_store_b32 v[2:3], v4, off
	s_branch .LBB78_898
.LBB78_892:
	s_mov_b32 s35, 0
	s_mov_b32 s0, s23
	s_branch .LBB78_1009
.LBB78_893:
	s_mov_b32 s35, -1
	s_mov_b32 s36, 0
	s_mov_b32 s0, s23
	s_branch .LBB78_967
.LBB78_894:
	s_mov_b32 s37, -1
	s_mov_b32 s36, 0
	s_mov_b32 s0, s23
	s_branch .LBB78_925
.LBB78_895:
	s_mov_b32 s37, -1
	s_mov_b32 s36, 0
	s_mov_b32 s0, s23
	s_branch .LBB78_908
.LBB78_896:
	s_mov_b32 s37, -1
	s_mov_b32 s36, 0
	s_mov_b32 s0, s23
	s_branch .LBB78_904
.LBB78_897:
	s_mov_b32 s37, -1
	s_mov_b32 s36, 0
	s_mov_b32 s0, s23
.LBB78_898:
	s_and_b32 vcc_lo, exec_lo, s37
	s_cbranch_vccz .LBB78_903
; %bb.899:
	s_cmp_eq_u32 s35, 44
	s_mov_b32 s0, -1
	s_cbranch_scc0 .LBB78_903
; %bb.900:
	s_wait_xcnt 0x0
	v_xor_b32_e32 v4, v0, v1
	v_cls_i32_e32 v5, v1
	s_mov_b32 s36, -1
	s_mov_b32 s37, exec_lo
	s_delay_alu instid0(VALU_DEP_2) | instskip(NEXT) | instid1(VALU_DEP_1)
	v_ashrrev_i32_e32 v4, 31, v4
	v_add_nc_u32_e32 v4, 32, v4
	s_delay_alu instid0(VALU_DEP_1) | instskip(NEXT) | instid1(VALU_DEP_1)
	v_add_min_u32_e64 v6, v5, -1, v4
	v_lshlrev_b64_e32 v[4:5], v6, v[0:1]
	s_delay_alu instid0(VALU_DEP_1) | instskip(NEXT) | instid1(VALU_DEP_1)
	v_min_u32_e32 v4, 1, v4
	v_dual_sub_nc_u32 v5, 32, v6 :: v_dual_bitop2_b32 v4, v5, v4 bitop3:0x54
	s_delay_alu instid0(VALU_DEP_1) | instskip(NEXT) | instid1(VALU_DEP_1)
	v_cvt_f32_i32_e32 v4, v4
	v_ldexp_f32 v4, v4, v5
	v_mov_b32_e32 v5, 0xff
	s_delay_alu instid0(VALU_DEP_2) | instskip(NEXT) | instid1(VALU_DEP_1)
	v_bfe_u32 v6, v4, 23, 8
	v_cmpx_ne_u32_e32 0xff, v6
	s_cbranch_execz .LBB78_902
; %bb.901:
	v_and_b32_e32 v5, 0x400000, v4
	v_and_or_b32 v6, 0x3fffff, v4, v6
	v_lshrrev_b32_e32 v4, 23, v4
	s_delay_alu instid0(VALU_DEP_3) | instskip(NEXT) | instid1(VALU_DEP_3)
	v_cmp_ne_u32_e32 vcc_lo, 0, v5
	v_cmp_ne_u32_e64 s0, 0, v6
	s_and_b32 s0, vcc_lo, s0
	s_delay_alu instid0(SALU_CYCLE_1) | instskip(NEXT) | instid1(VALU_DEP_1)
	v_cndmask_b32_e64 v5, 0, 1, s0
	v_add_nc_u32_e32 v5, v4, v5
.LBB78_902:
	s_or_b32 exec_lo, exec_lo, s37
	s_mov_b32 s0, 0
	global_store_b8 v[2:3], v5, off
.LBB78_903:
	s_mov_b32 s37, 0
.LBB78_904:
	s_delay_alu instid0(SALU_CYCLE_1)
	s_and_b32 vcc_lo, exec_lo, s37
	s_cbranch_vccz .LBB78_907
; %bb.905:
	s_cmp_eq_u32 s35, 29
	s_mov_b32 s0, -1
	s_cbranch_scc0 .LBB78_907
; %bb.906:
	s_mov_b32 s36, -1
	s_mov_b32 s0, 0
	global_store_b64 v[2:3], v[0:1], off
.LBB78_907:
	s_mov_b32 s37, 0
.LBB78_908:
	s_delay_alu instid0(SALU_CYCLE_1)
	s_and_b32 vcc_lo, exec_lo, s37
	s_cbranch_vccz .LBB78_924
; %bb.909:
	s_cmp_lt_i32 s35, 27
	s_mov_b32 s36, -1
	s_cbranch_scc1 .LBB78_915
; %bb.910:
	s_cmp_gt_i32 s35, 27
	s_cbranch_scc0 .LBB78_912
; %bb.911:
	s_mov_b32 s36, 0
	global_store_b32 v[2:3], v0, off
.LBB78_912:
	s_and_not1_b32 vcc_lo, exec_lo, s36
	s_cbranch_vccnz .LBB78_914
; %bb.913:
	global_store_b16 v[2:3], v0, off
.LBB78_914:
	s_mov_b32 s36, 0
.LBB78_915:
	s_delay_alu instid0(SALU_CYCLE_1)
	s_and_not1_b32 vcc_lo, exec_lo, s36
	s_cbranch_vccnz .LBB78_923
; %bb.916:
	s_wait_xcnt 0x0
	v_xor_b32_e32 v4, v0, v1
	v_cls_i32_e32 v5, v1
	s_mov_b32 s36, exec_lo
	s_delay_alu instid0(VALU_DEP_2) | instskip(NEXT) | instid1(VALU_DEP_1)
	v_ashrrev_i32_e32 v4, 31, v4
	v_add_nc_u32_e32 v4, 32, v4
	s_delay_alu instid0(VALU_DEP_1) | instskip(NEXT) | instid1(VALU_DEP_1)
	v_add_min_u32_e64 v6, v5, -1, v4
	v_lshlrev_b64_e32 v[4:5], v6, v[0:1]
	s_delay_alu instid0(VALU_DEP_1) | instskip(NEXT) | instid1(VALU_DEP_1)
	v_min_u32_e32 v4, 1, v4
	v_dual_sub_nc_u32 v5, 32, v6 :: v_dual_bitop2_b32 v4, v5, v4 bitop3:0x54
	v_mov_b32_e32 v6, 0x80
	s_delay_alu instid0(VALU_DEP_2) | instskip(NEXT) | instid1(VALU_DEP_1)
	v_cvt_f32_i32_e32 v4, v4
	v_ldexp_f32 v4, v4, v5
	s_delay_alu instid0(VALU_DEP_1) | instskip(NEXT) | instid1(VALU_DEP_1)
	v_and_b32_e32 v5, 0x7fffffff, v4
	v_cmpx_gt_u32_e32 0x43800000, v5
	s_cbranch_execz .LBB78_922
; %bb.917:
	v_cmp_lt_u32_e32 vcc_lo, 0x3bffffff, v5
	s_mov_b32 s37, 0
                                        ; implicit-def: $vgpr5
	s_and_saveexec_b32 s38, vcc_lo
	s_delay_alu instid0(SALU_CYCLE_1)
	s_xor_b32 s38, exec_lo, s38
	s_cbranch_execz .LBB78_1151
; %bb.918:
	v_bfe_u32 v5, v4, 20, 1
	s_mov_b32 s37, exec_lo
	s_delay_alu instid0(VALU_DEP_1) | instskip(NEXT) | instid1(VALU_DEP_1)
	v_add3_u32 v5, v4, v5, 0x487ffff
	v_lshrrev_b32_e32 v5, 20, v5
	s_and_not1_saveexec_b32 s38, s38
	s_cbranch_execnz .LBB78_1152
.LBB78_919:
	s_or_b32 exec_lo, exec_lo, s38
	v_mov_b32_e32 v6, 0
	s_and_saveexec_b32 s38, s37
.LBB78_920:
	v_lshrrev_b32_e32 v4, 24, v4
	s_delay_alu instid0(VALU_DEP_1)
	v_and_or_b32 v6, 0x80, v4, v5
.LBB78_921:
	s_or_b32 exec_lo, exec_lo, s38
.LBB78_922:
	s_delay_alu instid0(SALU_CYCLE_1)
	s_or_b32 exec_lo, exec_lo, s36
	global_store_b8 v[2:3], v6, off
.LBB78_923:
	s_mov_b32 s36, -1
.LBB78_924:
	s_mov_b32 s37, 0
.LBB78_925:
	s_delay_alu instid0(SALU_CYCLE_1)
	s_and_b32 vcc_lo, exec_lo, s37
	s_cbranch_vccz .LBB78_966
; %bb.926:
	s_cmp_gt_i32 s35, 22
	s_mov_b32 s37, -1
	s_cbranch_scc0 .LBB78_958
; %bb.927:
	s_cmp_lt_i32 s35, 24
	s_mov_b32 s36, -1
	s_cbranch_scc1 .LBB78_947
; %bb.928:
	s_cmp_gt_i32 s35, 24
	s_cbranch_scc0 .LBB78_936
; %bb.929:
	s_wait_xcnt 0x0
	v_xor_b32_e32 v4, v0, v1
	v_cls_i32_e32 v5, v1
	s_mov_b32 s36, exec_lo
	s_delay_alu instid0(VALU_DEP_2) | instskip(NEXT) | instid1(VALU_DEP_1)
	v_ashrrev_i32_e32 v4, 31, v4
	v_add_nc_u32_e32 v4, 32, v4
	s_delay_alu instid0(VALU_DEP_1) | instskip(NEXT) | instid1(VALU_DEP_1)
	v_add_min_u32_e64 v6, v5, -1, v4
	v_lshlrev_b64_e32 v[4:5], v6, v[0:1]
	s_delay_alu instid0(VALU_DEP_1) | instskip(NEXT) | instid1(VALU_DEP_1)
	v_min_u32_e32 v4, 1, v4
	v_dual_sub_nc_u32 v5, 32, v6 :: v_dual_bitop2_b32 v4, v5, v4 bitop3:0x54
	v_mov_b32_e32 v6, 0x80
	s_delay_alu instid0(VALU_DEP_2) | instskip(NEXT) | instid1(VALU_DEP_1)
	v_cvt_f32_i32_e32 v4, v4
	v_ldexp_f32 v4, v4, v5
	s_delay_alu instid0(VALU_DEP_1) | instskip(NEXT) | instid1(VALU_DEP_1)
	v_and_b32_e32 v5, 0x7fffffff, v4
	v_cmpx_gt_u32_e32 0x47800000, v5
	s_cbranch_execz .LBB78_935
; %bb.930:
	v_cmp_lt_u32_e32 vcc_lo, 0x37ffffff, v5
	s_mov_b32 s37, 0
                                        ; implicit-def: $vgpr5
	s_and_saveexec_b32 s38, vcc_lo
	s_delay_alu instid0(SALU_CYCLE_1)
	s_xor_b32 s38, exec_lo, s38
	s_cbranch_execz .LBB78_1279
; %bb.931:
	v_bfe_u32 v5, v4, 21, 1
	s_mov_b32 s37, exec_lo
	s_delay_alu instid0(VALU_DEP_1) | instskip(NEXT) | instid1(VALU_DEP_1)
	v_add3_u32 v5, v4, v5, 0x88fffff
	v_lshrrev_b32_e32 v5, 21, v5
	s_and_not1_saveexec_b32 s38, s38
	s_cbranch_execnz .LBB78_1280
.LBB78_932:
	s_or_b32 exec_lo, exec_lo, s38
	v_mov_b32_e32 v6, 0
	s_and_saveexec_b32 s38, s37
.LBB78_933:
	v_lshrrev_b32_e32 v4, 24, v4
	s_delay_alu instid0(VALU_DEP_1)
	v_and_or_b32 v6, 0x80, v4, v5
.LBB78_934:
	s_or_b32 exec_lo, exec_lo, s38
.LBB78_935:
	s_delay_alu instid0(SALU_CYCLE_1)
	s_or_b32 exec_lo, exec_lo, s36
	s_mov_b32 s36, 0
	global_store_b8 v[2:3], v6, off
.LBB78_936:
	s_and_b32 vcc_lo, exec_lo, s36
	s_cbranch_vccz .LBB78_946
; %bb.937:
	s_wait_xcnt 0x0
	v_xor_b32_e32 v4, v0, v1
	v_cls_i32_e32 v5, v1
	s_mov_b32 s36, exec_lo
	s_delay_alu instid0(VALU_DEP_2) | instskip(NEXT) | instid1(VALU_DEP_1)
	v_ashrrev_i32_e32 v4, 31, v4
	v_add_nc_u32_e32 v4, 32, v4
	s_delay_alu instid0(VALU_DEP_1) | instskip(NEXT) | instid1(VALU_DEP_1)
	v_add_min_u32_e64 v6, v5, -1, v4
	v_lshlrev_b64_e32 v[4:5], v6, v[0:1]
	s_delay_alu instid0(VALU_DEP_1) | instskip(NEXT) | instid1(VALU_DEP_1)
	v_min_u32_e32 v4, 1, v4
	v_dual_sub_nc_u32 v5, 32, v6 :: v_dual_bitop2_b32 v4, v5, v4 bitop3:0x54
	s_delay_alu instid0(VALU_DEP_1) | instskip(NEXT) | instid1(VALU_DEP_1)
	v_cvt_f32_i32_e32 v4, v4
	v_ldexp_f32 v4, v4, v5
                                        ; implicit-def: $vgpr5
	s_delay_alu instid0(VALU_DEP_1) | instskip(NEXT) | instid1(VALU_DEP_1)
	v_and_b32_e32 v6, 0x7fffffff, v4
	v_cmpx_gt_u32_e32 0x43f00000, v6
	s_xor_b32 s36, exec_lo, s36
	s_cbranch_execz .LBB78_943
; %bb.938:
	s_mov_b32 s37, exec_lo
                                        ; implicit-def: $vgpr5
	v_cmpx_lt_u32_e32 0x3c7fffff, v6
	s_xor_b32 s37, exec_lo, s37
; %bb.939:
	v_bfe_u32 v5, v4, 20, 1
	s_delay_alu instid0(VALU_DEP_1) | instskip(NEXT) | instid1(VALU_DEP_1)
	v_add3_u32 v5, v4, v5, 0x407ffff
	v_and_b32_e32 v6, 0xff00000, v5
	v_lshrrev_b32_e32 v5, 20, v5
	s_delay_alu instid0(VALU_DEP_2) | instskip(NEXT) | instid1(VALU_DEP_2)
	v_cmp_ne_u32_e32 vcc_lo, 0x7f00000, v6
	v_cndmask_b32_e32 v5, 0x7e, v5, vcc_lo
; %bb.940:
	s_and_not1_saveexec_b32 s37, s37
; %bb.941:
	v_add_f32_e64 v5, 0x46800000, |v4|
; %bb.942:
	s_or_b32 exec_lo, exec_lo, s37
                                        ; implicit-def: $vgpr6
.LBB78_943:
	s_and_not1_saveexec_b32 s36, s36
; %bb.944:
	v_mov_b32_e32 v5, 0x7f
	v_cmp_lt_u32_e32 vcc_lo, 0x7f800000, v6
	s_delay_alu instid0(VALU_DEP_2)
	v_cndmask_b32_e32 v5, 0x7e, v5, vcc_lo
; %bb.945:
	s_or_b32 exec_lo, exec_lo, s36
	v_lshrrev_b32_e32 v4, 24, v4
	s_delay_alu instid0(VALU_DEP_1)
	v_and_or_b32 v4, 0x80, v4, v5
	global_store_b8 v[2:3], v4, off
.LBB78_946:
	s_mov_b32 s36, 0
.LBB78_947:
	s_delay_alu instid0(SALU_CYCLE_1)
	s_and_not1_b32 vcc_lo, exec_lo, s36
	s_cbranch_vccnz .LBB78_957
; %bb.948:
	s_wait_xcnt 0x0
	v_xor_b32_e32 v4, v0, v1
	v_cls_i32_e32 v5, v1
	s_mov_b32 s36, exec_lo
	s_delay_alu instid0(VALU_DEP_2) | instskip(NEXT) | instid1(VALU_DEP_1)
	v_ashrrev_i32_e32 v4, 31, v4
	v_add_nc_u32_e32 v4, 32, v4
	s_delay_alu instid0(VALU_DEP_1) | instskip(NEXT) | instid1(VALU_DEP_1)
	v_add_min_u32_e64 v6, v5, -1, v4
	v_lshlrev_b64_e32 v[4:5], v6, v[0:1]
	s_delay_alu instid0(VALU_DEP_1) | instskip(NEXT) | instid1(VALU_DEP_1)
	v_min_u32_e32 v4, 1, v4
	v_dual_sub_nc_u32 v5, 32, v6 :: v_dual_bitop2_b32 v4, v5, v4 bitop3:0x54
	s_delay_alu instid0(VALU_DEP_1) | instskip(NEXT) | instid1(VALU_DEP_1)
	v_cvt_f32_i32_e32 v4, v4
	v_ldexp_f32 v4, v4, v5
                                        ; implicit-def: $vgpr5
	s_delay_alu instid0(VALU_DEP_1) | instskip(NEXT) | instid1(VALU_DEP_1)
	v_and_b32_e32 v6, 0x7fffffff, v4
	v_cmpx_gt_u32_e32 0x47800000, v6
	s_xor_b32 s36, exec_lo, s36
	s_cbranch_execz .LBB78_954
; %bb.949:
	s_mov_b32 s37, exec_lo
                                        ; implicit-def: $vgpr5
	v_cmpx_lt_u32_e32 0x387fffff, v6
	s_xor_b32 s37, exec_lo, s37
; %bb.950:
	v_bfe_u32 v5, v4, 21, 1
	s_delay_alu instid0(VALU_DEP_1) | instskip(NEXT) | instid1(VALU_DEP_1)
	v_add3_u32 v5, v4, v5, 0x80fffff
	v_lshrrev_b32_e32 v5, 21, v5
; %bb.951:
	s_and_not1_saveexec_b32 s37, s37
; %bb.952:
	v_add_f32_e64 v5, 0x43000000, |v4|
; %bb.953:
	s_or_b32 exec_lo, exec_lo, s37
                                        ; implicit-def: $vgpr6
.LBB78_954:
	s_and_not1_saveexec_b32 s36, s36
; %bb.955:
	v_mov_b32_e32 v5, 0x7f
	v_cmp_lt_u32_e32 vcc_lo, 0x7f800000, v6
	s_delay_alu instid0(VALU_DEP_2)
	v_cndmask_b32_e32 v5, 0x7c, v5, vcc_lo
; %bb.956:
	s_or_b32 exec_lo, exec_lo, s36
	v_lshrrev_b32_e32 v4, 24, v4
	s_delay_alu instid0(VALU_DEP_1)
	v_and_or_b32 v4, 0x80, v4, v5
	global_store_b8 v[2:3], v4, off
.LBB78_957:
	s_mov_b32 s37, 0
	s_mov_b32 s36, -1
.LBB78_958:
	s_and_not1_b32 vcc_lo, exec_lo, s37
	s_cbranch_vccnz .LBB78_966
; %bb.959:
	s_cmp_gt_i32 s35, 14
	s_mov_b32 s37, -1
	s_cbranch_scc0 .LBB78_963
; %bb.960:
	s_cmp_eq_u32 s35, 15
	s_mov_b32 s0, -1
	s_cbranch_scc0 .LBB78_962
; %bb.961:
	s_wait_xcnt 0x0
	v_xor_b32_e32 v4, v0, v1
	v_cls_i32_e32 v5, v1
	s_mov_b32 s36, -1
	s_mov_b32 s0, 0
	s_delay_alu instid0(VALU_DEP_2) | instskip(NEXT) | instid1(VALU_DEP_1)
	v_ashrrev_i32_e32 v4, 31, v4
	v_add_nc_u32_e32 v4, 32, v4
	s_delay_alu instid0(VALU_DEP_1) | instskip(NEXT) | instid1(VALU_DEP_1)
	v_add_min_u32_e64 v6, v5, -1, v4
	v_lshlrev_b64_e32 v[4:5], v6, v[0:1]
	s_delay_alu instid0(VALU_DEP_1) | instskip(NEXT) | instid1(VALU_DEP_1)
	v_min_u32_e32 v4, 1, v4
	v_dual_sub_nc_u32 v5, 32, v6 :: v_dual_bitop2_b32 v4, v5, v4 bitop3:0x54
	s_delay_alu instid0(VALU_DEP_1) | instskip(NEXT) | instid1(VALU_DEP_1)
	v_cvt_f32_i32_e32 v4, v4
	v_ldexp_f32 v4, v4, v5
	s_delay_alu instid0(VALU_DEP_1) | instskip(NEXT) | instid1(VALU_DEP_1)
	v_bfe_u32 v5, v4, 16, 1
	v_add3_u32 v4, v4, v5, 0x7fff
	global_store_d16_hi_b16 v[2:3], v4, off
.LBB78_962:
	s_mov_b32 s37, 0
.LBB78_963:
	s_delay_alu instid0(SALU_CYCLE_1)
	s_and_b32 vcc_lo, exec_lo, s37
	s_cbranch_vccz .LBB78_966
; %bb.964:
	s_cmp_eq_u32 s35, 11
	s_mov_b32 s0, -1
	s_cbranch_scc0 .LBB78_966
; %bb.965:
	v_cmp_ne_u64_e32 vcc_lo, 0, v[0:1]
	s_mov_b32 s36, -1
	s_mov_b32 s0, 0
	s_wait_xcnt 0x0
	v_cndmask_b32_e64 v4, 0, 1, vcc_lo
	global_store_b8 v[2:3], v4, off
.LBB78_966:
	s_mov_b32 s35, 0
.LBB78_967:
	s_delay_alu instid0(SALU_CYCLE_1)
	s_and_b32 vcc_lo, exec_lo, s35
	s_cbranch_vccz .LBB78_1006
; %bb.968:
	s_and_b32 s31, 0xffff, s31
	s_mov_b32 s35, -1
	s_cmp_lt_i32 s31, 5
	s_cbranch_scc1 .LBB78_989
; %bb.969:
	s_cmp_lt_i32 s31, 8
	s_cbranch_scc1 .LBB78_979
; %bb.970:
	;; [unrolled: 3-line block ×3, first 2 shown]
	s_cmp_gt_i32 s31, 9
	s_cbranch_scc0 .LBB78_973
; %bb.972:
	s_wait_xcnt 0x0
	v_cvt_f64_i32_e32 v[4:5], v1
	v_cvt_f64_u32_e32 v[6:7], v0
	s_mov_b32 s35, 0
	s_delay_alu instid0(VALU_DEP_2) | instskip(NEXT) | instid1(VALU_DEP_1)
	v_ldexp_f64 v[4:5], v[4:5], 32
	v_dual_add_f64 v[4:5], v[4:5], v[6:7] :: v_dual_mov_b32 v6, 0
	s_delay_alu instid0(VALU_DEP_1)
	v_mov_b32_e32 v7, v6
	global_store_b128 v[2:3], v[4:7], off
.LBB78_973:
	s_and_not1_b32 vcc_lo, exec_lo, s35
	s_cbranch_vccnz .LBB78_975
; %bb.974:
	s_wait_xcnt 0x0
	v_xor_b32_e32 v4, v0, v1
	v_cls_i32_e32 v5, v1
	s_delay_alu instid0(VALU_DEP_2) | instskip(NEXT) | instid1(VALU_DEP_1)
	v_ashrrev_i32_e32 v4, 31, v4
	v_add_nc_u32_e32 v4, 32, v4
	s_delay_alu instid0(VALU_DEP_1) | instskip(NEXT) | instid1(VALU_DEP_1)
	v_add_min_u32_e64 v6, v5, -1, v4
	v_lshlrev_b64_e32 v[4:5], v6, v[0:1]
	s_delay_alu instid0(VALU_DEP_1) | instskip(NEXT) | instid1(VALU_DEP_1)
	v_min_u32_e32 v4, 1, v4
	v_dual_sub_nc_u32 v5, 32, v6 :: v_dual_bitop2_b32 v4, v5, v4 bitop3:0x54
	s_delay_alu instid0(VALU_DEP_1) | instskip(NEXT) | instid1(VALU_DEP_1)
	v_cvt_f32_i32_e32 v4, v4
	v_ldexp_f32 v4, v4, v5
	v_mov_b32_e32 v5, 0
	global_store_b64 v[2:3], v[4:5], off
.LBB78_975:
	s_mov_b32 s35, 0
.LBB78_976:
	s_delay_alu instid0(SALU_CYCLE_1)
	s_and_not1_b32 vcc_lo, exec_lo, s35
	s_cbranch_vccnz .LBB78_978
; %bb.977:
	s_wait_xcnt 0x0
	v_xor_b32_e32 v4, v0, v1
	v_cls_i32_e32 v5, v1
	s_delay_alu instid0(VALU_DEP_2) | instskip(NEXT) | instid1(VALU_DEP_1)
	v_ashrrev_i32_e32 v4, 31, v4
	v_add_nc_u32_e32 v4, 32, v4
	s_delay_alu instid0(VALU_DEP_1) | instskip(NEXT) | instid1(VALU_DEP_1)
	v_add_min_u32_e64 v6, v5, -1, v4
	v_lshlrev_b64_e32 v[4:5], v6, v[0:1]
	s_delay_alu instid0(VALU_DEP_1) | instskip(NEXT) | instid1(VALU_DEP_1)
	v_min_u32_e32 v4, 1, v4
	v_dual_sub_nc_u32 v5, 32, v6 :: v_dual_bitop2_b32 v4, v5, v4 bitop3:0x54
	s_delay_alu instid0(VALU_DEP_1) | instskip(NEXT) | instid1(VALU_DEP_1)
	v_cvt_f32_i32_e32 v4, v4
	v_ldexp_f32 v4, v4, v5
	s_delay_alu instid0(VALU_DEP_1) | instskip(NEXT) | instid1(VALU_DEP_1)
	v_cvt_f16_f32_e32 v4, v4
	v_and_b32_e32 v4, 0xffff, v4
	global_store_b32 v[2:3], v4, off
.LBB78_978:
	s_mov_b32 s35, 0
.LBB78_979:
	s_delay_alu instid0(SALU_CYCLE_1)
	s_and_not1_b32 vcc_lo, exec_lo, s35
	s_cbranch_vccnz .LBB78_988
; %bb.980:
	s_cmp_lt_i32 s31, 6
	s_mov_b32 s35, -1
	s_cbranch_scc1 .LBB78_986
; %bb.981:
	s_cmp_gt_i32 s31, 6
	s_cbranch_scc0 .LBB78_983
; %bb.982:
	s_wait_xcnt 0x0
	v_cvt_f64_i32_e32 v[4:5], v1
	v_cvt_f64_u32_e32 v[6:7], v0
	s_mov_b32 s35, 0
	s_delay_alu instid0(VALU_DEP_2) | instskip(NEXT) | instid1(VALU_DEP_1)
	v_ldexp_f64 v[4:5], v[4:5], 32
	v_add_f64_e32 v[4:5], v[4:5], v[6:7]
	global_store_b64 v[2:3], v[4:5], off
.LBB78_983:
	s_and_not1_b32 vcc_lo, exec_lo, s35
	s_cbranch_vccnz .LBB78_985
; %bb.984:
	s_wait_xcnt 0x0
	v_xor_b32_e32 v4, v0, v1
	v_cls_i32_e32 v5, v1
	s_delay_alu instid0(VALU_DEP_2) | instskip(NEXT) | instid1(VALU_DEP_1)
	v_ashrrev_i32_e32 v4, 31, v4
	v_add_nc_u32_e32 v4, 32, v4
	s_delay_alu instid0(VALU_DEP_1) | instskip(NEXT) | instid1(VALU_DEP_1)
	v_add_min_u32_e64 v6, v5, -1, v4
	v_lshlrev_b64_e32 v[4:5], v6, v[0:1]
	s_delay_alu instid0(VALU_DEP_1) | instskip(NEXT) | instid1(VALU_DEP_1)
	v_min_u32_e32 v4, 1, v4
	v_dual_sub_nc_u32 v5, 32, v6 :: v_dual_bitop2_b32 v4, v5, v4 bitop3:0x54
	s_delay_alu instid0(VALU_DEP_1) | instskip(NEXT) | instid1(VALU_DEP_1)
	v_cvt_f32_i32_e32 v4, v4
	v_ldexp_f32 v4, v4, v5
	global_store_b32 v[2:3], v4, off
.LBB78_985:
	s_mov_b32 s35, 0
.LBB78_986:
	s_delay_alu instid0(SALU_CYCLE_1)
	s_and_not1_b32 vcc_lo, exec_lo, s35
	s_cbranch_vccnz .LBB78_988
; %bb.987:
	s_wait_xcnt 0x0
	v_xor_b32_e32 v4, v0, v1
	v_cls_i32_e32 v5, v1
	s_delay_alu instid0(VALU_DEP_2) | instskip(NEXT) | instid1(VALU_DEP_1)
	v_ashrrev_i32_e32 v4, 31, v4
	v_add_nc_u32_e32 v4, 32, v4
	s_delay_alu instid0(VALU_DEP_1) | instskip(NEXT) | instid1(VALU_DEP_1)
	v_add_min_u32_e64 v6, v5, -1, v4
	v_lshlrev_b64_e32 v[4:5], v6, v[0:1]
	s_delay_alu instid0(VALU_DEP_1) | instskip(NEXT) | instid1(VALU_DEP_1)
	v_min_u32_e32 v4, 1, v4
	v_dual_sub_nc_u32 v5, 32, v6 :: v_dual_bitop2_b32 v4, v5, v4 bitop3:0x54
	s_delay_alu instid0(VALU_DEP_1) | instskip(NEXT) | instid1(VALU_DEP_1)
	v_cvt_f32_i32_e32 v4, v4
	v_ldexp_f32 v4, v4, v5
	s_delay_alu instid0(VALU_DEP_1)
	v_cvt_f16_f32_e32 v4, v4
	global_store_b16 v[2:3], v4, off
.LBB78_988:
	s_mov_b32 s35, 0
.LBB78_989:
	s_delay_alu instid0(SALU_CYCLE_1)
	s_and_not1_b32 vcc_lo, exec_lo, s35
	s_cbranch_vccnz .LBB78_1005
; %bb.990:
	s_cmp_lt_i32 s31, 2
	s_mov_b32 s35, -1
	s_cbranch_scc1 .LBB78_1000
; %bb.991:
	s_cmp_lt_i32 s31, 3
	s_cbranch_scc1 .LBB78_997
; %bb.992:
	s_cmp_gt_i32 s31, 3
	s_cbranch_scc0 .LBB78_994
; %bb.993:
	s_mov_b32 s35, 0
	global_store_b64 v[2:3], v[0:1], off
.LBB78_994:
	s_and_not1_b32 vcc_lo, exec_lo, s35
	s_cbranch_vccnz .LBB78_996
; %bb.995:
	global_store_b32 v[2:3], v0, off
.LBB78_996:
	s_mov_b32 s35, 0
.LBB78_997:
	s_delay_alu instid0(SALU_CYCLE_1)
	s_and_not1_b32 vcc_lo, exec_lo, s35
	s_cbranch_vccnz .LBB78_999
; %bb.998:
	global_store_b16 v[2:3], v0, off
.LBB78_999:
	s_mov_b32 s35, 0
.LBB78_1000:
	s_delay_alu instid0(SALU_CYCLE_1)
	s_and_not1_b32 vcc_lo, exec_lo, s35
	s_cbranch_vccnz .LBB78_1005
; %bb.1001:
	s_cmp_gt_i32 s31, 0
	s_mov_b32 s31, -1
	s_cbranch_scc0 .LBB78_1003
; %bb.1002:
	s_mov_b32 s31, 0
	global_store_b8 v[2:3], v0, off
.LBB78_1003:
	s_and_not1_b32 vcc_lo, exec_lo, s31
	s_cbranch_vccnz .LBB78_1005
; %bb.1004:
	global_store_b8 v[2:3], v0, off
.LBB78_1005:
	s_mov_b32 s36, -1
.LBB78_1006:
	s_delay_alu instid0(SALU_CYCLE_1)
	s_and_not1_b32 vcc_lo, exec_lo, s36
	s_cbranch_vccnz .LBB78_1008
; %bb.1007:
	v_add_nc_u32_e32 v26, 0x80, v26
	s_mov_b32 s35, -1
	s_branch .LBB78_1010
.LBB78_1008:
	s_mov_b32 s35, 0
.LBB78_1009:
                                        ; implicit-def: $vgpr26
.LBB78_1010:
	s_and_not1_b32 s31, s23, exec_lo
	s_and_b32 s0, s0, exec_lo
	s_and_not1_b32 s36, s25, exec_lo
	s_and_b32 s37, s30, exec_lo
	s_or_b32 s30, s31, s0
	s_or_b32 s31, s36, s37
	s_and_not1_b32 s0, s26, exec_lo
	s_and_b32 s33, s33, exec_lo
	s_and_not1_b32 s36, s27, exec_lo
	s_and_b32 s29, s29, exec_lo
	s_or_b32 s33, s0, s33
	s_or_b32 s29, s36, s29
	s_or_not1_b32 s36, s35, exec_lo
.LBB78_1011:
	s_wait_xcnt 0x0
	s_or_b32 exec_lo, exec_lo, s34
	s_mov_b32 s35, 0
	s_mov_b32 s37, 0
	;; [unrolled: 1-line block ×3, first 2 shown]
                                        ; implicit-def: $sgpr0
                                        ; implicit-def: $vgpr2_vgpr3
                                        ; implicit-def: $vgpr0_vgpr1
	s_and_saveexec_b32 s34, s36
	s_cbranch_execz .LBB78_1598
; %bb.1012:
	s_mov_b32 s43, -1
	s_mov_b32 s36, s29
	s_mov_b32 s37, s33
	s_mov_b32 s38, s31
	s_mov_b32 s39, s30
	s_mov_b32 s35, exec_lo
	v_cmpx_gt_i32_e64 s24, v26
	s_cbranch_execz .LBB78_1520
; %bb.1013:
	s_wait_loadcnt 0x0
	v_mul_lo_u32 v0, v26, s13
	s_and_b32 s0, s21, 0xff
	s_delay_alu instid0(SALU_CYCLE_1) | instskip(NEXT) | instid1(VALU_DEP_1)
	s_cmp_lt_i32 s0, 11
	v_ashrrev_i32_e32 v1, 31, v0
	s_delay_alu instid0(VALU_DEP_1)
	v_add_nc_u64_e32 v[2:3], s[6:7], v[0:1]
	s_cbranch_scc1 .LBB78_1020
; %bb.1014:
	s_and_b32 s37, 0xffff, s0
	s_delay_alu instid0(SALU_CYCLE_1)
	s_cmp_gt_i32 s37, 25
	s_cbranch_scc0 .LBB78_1021
; %bb.1015:
	s_cmp_gt_i32 s37, 28
	s_cbranch_scc0 .LBB78_1022
; %bb.1016:
	;; [unrolled: 3-line block ×4, first 2 shown]
	s_cmp_eq_u32 s37, 46
	s_mov_b32 s39, 0
	s_cbranch_scc0 .LBB78_1025
; %bb.1019:
	global_load_b32 v0, v[2:3], off
	s_mov_b32 s38, -1
	s_mov_b32 s36, 0
	s_wait_loadcnt 0x0
	v_lshlrev_b32_e32 v0, 16, v0
	s_delay_alu instid0(VALU_DEP_1) | instskip(NEXT) | instid1(VALU_DEP_1)
	v_trunc_f32_e32 v0, v0
	v_mul_f32_e64 v1, 0x2f800000, |v0|
	s_delay_alu instid0(VALU_DEP_1) | instskip(NEXT) | instid1(VALU_DEP_1)
	v_floor_f32_e32 v1, v1
	v_fma_f32 v4, 0xcf800000, v1, |v0|
	v_ashrrev_i32_e32 v0, 31, v0
	v_cvt_u32_f32_e32 v5, v1
	s_delay_alu instid0(VALU_DEP_3) | instskip(NEXT) | instid1(VALU_DEP_2)
	v_cvt_u32_f32_e32 v4, v4
	v_dual_mov_b32 v1, v0 :: v_dual_bitop2_b32 v5, v5, v0 bitop3:0x14
	s_delay_alu instid0(VALU_DEP_2) | instskip(NEXT) | instid1(VALU_DEP_1)
	v_xor_b32_e32 v4, v4, v0
	v_sub_nc_u64_e32 v[0:1], v[4:5], v[0:1]
	s_branch .LBB78_1027
.LBB78_1020:
	s_mov_b32 s37, -1
	s_mov_b32 s38, 0
	s_mov_b32 s36, s29
                                        ; implicit-def: $vgpr0_vgpr1
	s_branch .LBB78_1088
.LBB78_1021:
	s_mov_b32 s39, -1
	s_mov_b32 s38, 0
	s_mov_b32 s36, s29
                                        ; implicit-def: $vgpr0_vgpr1
	s_branch .LBB78_1054
.LBB78_1022:
	s_mov_b32 s39, -1
	s_mov_b32 s38, 0
	s_mov_b32 s36, s29
                                        ; implicit-def: $vgpr0_vgpr1
	s_branch .LBB78_1037
.LBB78_1023:
	s_mov_b32 s39, -1
	s_mov_b32 s38, 0
	s_mov_b32 s36, s29
                                        ; implicit-def: $vgpr0_vgpr1
	s_branch .LBB78_1032
.LBB78_1024:
	s_mov_b32 s39, -1
	s_mov_b32 s38, 0
	s_mov_b32 s36, s29
	s_branch .LBB78_1026
.LBB78_1025:
	s_mov_b32 s36, -1
	s_mov_b32 s38, 0
.LBB78_1026:
                                        ; implicit-def: $vgpr0_vgpr1
.LBB78_1027:
	s_and_b32 vcc_lo, exec_lo, s39
	s_cbranch_vccz .LBB78_1031
; %bb.1028:
	s_cmp_eq_u32 s37, 44
	s_cbranch_scc0 .LBB78_1030
; %bb.1029:
	global_load_u8 v6, v[2:3], off
	s_mov_b32 s36, 0
	s_mov_b32 s38, -1
	s_wait_loadcnt 0x0
	v_cmp_ne_u32_e32 vcc_lo, 0, v6
	v_lshlrev_b32_e32 v0, 23, v6
	s_delay_alu instid0(VALU_DEP_1) | instskip(NEXT) | instid1(VALU_DEP_1)
	v_trunc_f32_e32 v0, v0
	v_mul_f32_e64 v1, 0x2f800000, |v0|
	s_delay_alu instid0(VALU_DEP_1) | instskip(NEXT) | instid1(VALU_DEP_1)
	v_floor_f32_e32 v1, v1
	v_fma_f32 v4, 0xcf800000, v1, |v0|
	v_ashrrev_i32_e32 v0, 31, v0
	v_cvt_u32_f32_e32 v5, v1
	s_delay_alu instid0(VALU_DEP_3) | instskip(NEXT) | instid1(VALU_DEP_2)
	v_cvt_u32_f32_e32 v4, v4
	v_dual_mov_b32 v1, v0 :: v_dual_bitop2_b32 v5, v5, v0 bitop3:0x14
	s_delay_alu instid0(VALU_DEP_2) | instskip(NEXT) | instid1(VALU_DEP_1)
	v_xor_b32_e32 v4, v4, v0
	v_sub_nc_u64_e32 v[0:1], v[4:5], v[0:1]
	s_delay_alu instid0(VALU_DEP_1)
	v_dual_cndmask_b32 v1, 0, v1 :: v_dual_cndmask_b32 v0, 0, v0
	s_branch .LBB78_1031
.LBB78_1030:
	s_mov_b32 s36, -1
                                        ; implicit-def: $vgpr0_vgpr1
.LBB78_1031:
	s_mov_b32 s39, 0
.LBB78_1032:
	s_delay_alu instid0(SALU_CYCLE_1)
	s_and_b32 vcc_lo, exec_lo, s39
	s_cbranch_vccz .LBB78_1036
; %bb.1033:
	s_cmp_eq_u32 s37, 29
	s_cbranch_scc0 .LBB78_1035
; %bb.1034:
	global_load_b64 v[0:1], v[2:3], off
	s_mov_b32 s38, -1
	s_mov_b32 s36, 0
	s_branch .LBB78_1036
.LBB78_1035:
	s_mov_b32 s36, -1
                                        ; implicit-def: $vgpr0_vgpr1
.LBB78_1036:
	s_mov_b32 s39, 0
.LBB78_1037:
	s_delay_alu instid0(SALU_CYCLE_1)
	s_and_b32 vcc_lo, exec_lo, s39
	s_cbranch_vccz .LBB78_1053
; %bb.1038:
	s_cmp_lt_i32 s37, 27
	s_cbranch_scc1 .LBB78_1041
; %bb.1039:
	s_cmp_gt_i32 s37, 27
	s_cbranch_scc0 .LBB78_1042
; %bb.1040:
	s_wait_loadcnt 0x0
	global_load_b32 v0, v[2:3], off
	v_mov_b32_e32 v1, 0
	s_mov_b32 s38, 0
	s_branch .LBB78_1043
.LBB78_1041:
	s_mov_b32 s38, -1
                                        ; implicit-def: $vgpr0_vgpr1
	s_branch .LBB78_1046
.LBB78_1042:
	s_mov_b32 s38, -1
                                        ; implicit-def: $vgpr0_vgpr1
.LBB78_1043:
	s_delay_alu instid0(SALU_CYCLE_1)
	s_and_not1_b32 vcc_lo, exec_lo, s38
	s_cbranch_vccnz .LBB78_1045
; %bb.1044:
	s_wait_loadcnt 0x0
	global_load_u16 v0, v[2:3], off
	s_mov_b32 s38, 0
	s_delay_alu instid0(SALU_CYCLE_1)
	v_mov_b32_e32 v1, s38
	s_wait_loadcnt 0x0
	v_and_b32_e32 v0, 0xffff, v0
.LBB78_1045:
	s_mov_b32 s38, 0
.LBB78_1046:
	s_delay_alu instid0(SALU_CYCLE_1)
	s_and_not1_b32 vcc_lo, exec_lo, s38
	s_cbranch_vccnz .LBB78_1052
; %bb.1047:
	global_load_u8 v4, v[2:3], off
	s_mov_b32 s39, 0
	s_mov_b32 s38, exec_lo
	s_wait_loadcnt 0x0
	v_cmpx_lt_i16_e32 0x7f, v4
	s_xor_b32 s38, exec_lo, s38
	s_cbranch_execz .LBB78_1064
; %bb.1048:
	v_cmp_ne_u16_e32 vcc_lo, 0x80, v4
	s_and_b32 s39, vcc_lo, exec_lo
	s_and_not1_saveexec_b32 s38, s38
	s_cbranch_execnz .LBB78_1065
.LBB78_1049:
	s_or_b32 exec_lo, exec_lo, s38
	v_mov_b64_e32 v[0:1], 0
	s_and_saveexec_b32 s38, s39
	s_cbranch_execz .LBB78_1051
.LBB78_1050:
	v_and_b32_e32 v0, 0xffff, v4
	s_delay_alu instid0(VALU_DEP_1) | instskip(SKIP_1) | instid1(VALU_DEP_2)
	v_and_b32_e32 v1, 7, v0
	v_bfe_u32 v7, v0, 3, 4
	v_clz_i32_u32_e32 v5, v1
	s_delay_alu instid0(VALU_DEP_2) | instskip(NEXT) | instid1(VALU_DEP_2)
	v_cmp_eq_u32_e32 vcc_lo, 0, v7
	v_min_u32_e32 v5, 32, v5
	s_delay_alu instid0(VALU_DEP_1) | instskip(NEXT) | instid1(VALU_DEP_1)
	v_subrev_nc_u32_e32 v6, 28, v5
	v_dual_lshlrev_b32 v0, v6, v0 :: v_dual_sub_nc_u32 v5, 29, v5
	s_delay_alu instid0(VALU_DEP_1) | instskip(NEXT) | instid1(VALU_DEP_2)
	v_and_b32_e32 v0, 7, v0
	v_dual_cndmask_b32 v5, v7, v5 :: v_dual_lshlrev_b32 v4, 24, v4
	s_delay_alu instid0(VALU_DEP_2) | instskip(NEXT) | instid1(VALU_DEP_2)
	v_cndmask_b32_e32 v0, v1, v0, vcc_lo
	v_and_b32_e32 v1, 0x80000000, v4
	s_delay_alu instid0(VALU_DEP_3) | instskip(NEXT) | instid1(VALU_DEP_3)
	v_lshl_add_u32 v4, v5, 23, 0x3b800000
	v_lshlrev_b32_e32 v0, 20, v0
	s_delay_alu instid0(VALU_DEP_1) | instskip(NEXT) | instid1(VALU_DEP_1)
	v_or3_b32 v0, v1, v4, v0
	v_trunc_f32_e32 v0, v0
	s_delay_alu instid0(VALU_DEP_1) | instskip(NEXT) | instid1(VALU_DEP_1)
	v_mul_f32_e64 v1, 0x2f800000, |v0|
	v_floor_f32_e32 v1, v1
	s_delay_alu instid0(VALU_DEP_1) | instskip(SKIP_2) | instid1(VALU_DEP_3)
	v_fma_f32 v4, 0xcf800000, v1, |v0|
	v_ashrrev_i32_e32 v0, 31, v0
	v_cvt_u32_f32_e32 v5, v1
	v_cvt_u32_f32_e32 v4, v4
	s_delay_alu instid0(VALU_DEP_2) | instskip(NEXT) | instid1(VALU_DEP_2)
	v_dual_mov_b32 v1, v0 :: v_dual_bitop2_b32 v5, v5, v0 bitop3:0x14
	v_xor_b32_e32 v4, v4, v0
	s_delay_alu instid0(VALU_DEP_1)
	v_sub_nc_u64_e32 v[0:1], v[4:5], v[0:1]
.LBB78_1051:
	s_or_b32 exec_lo, exec_lo, s38
.LBB78_1052:
	s_mov_b32 s38, -1
.LBB78_1053:
	s_mov_b32 s39, 0
.LBB78_1054:
	s_delay_alu instid0(SALU_CYCLE_1)
	s_and_b32 vcc_lo, exec_lo, s39
	s_cbranch_vccz .LBB78_1087
; %bb.1055:
	s_cmp_gt_i32 s37, 22
	s_cbranch_scc0 .LBB78_1063
; %bb.1056:
	s_cmp_lt_i32 s37, 24
	s_cbranch_scc1 .LBB78_1066
; %bb.1057:
	s_cmp_gt_i32 s37, 24
	s_cbranch_scc0 .LBB78_1067
; %bb.1058:
	global_load_u8 v4, v[2:3], off
	s_mov_b32 s39, 0
	s_mov_b32 s38, exec_lo
	s_wait_loadcnt 0x0
	v_cmpx_lt_i16_e32 0x7f, v4
	s_xor_b32 s38, exec_lo, s38
	s_cbranch_execz .LBB78_1079
; %bb.1059:
	v_cmp_ne_u16_e32 vcc_lo, 0x80, v4
	s_and_b32 s39, vcc_lo, exec_lo
	s_and_not1_saveexec_b32 s38, s38
	s_cbranch_execnz .LBB78_1080
.LBB78_1060:
	s_or_b32 exec_lo, exec_lo, s38
	v_mov_b64_e32 v[0:1], 0
	s_and_saveexec_b32 s38, s39
	s_cbranch_execz .LBB78_1062
.LBB78_1061:
	v_and_b32_e32 v0, 0xffff, v4
	s_delay_alu instid0(VALU_DEP_1) | instskip(SKIP_1) | instid1(VALU_DEP_2)
	v_and_b32_e32 v1, 3, v0
	v_bfe_u32 v7, v0, 2, 5
	v_clz_i32_u32_e32 v5, v1
	s_delay_alu instid0(VALU_DEP_2) | instskip(NEXT) | instid1(VALU_DEP_2)
	v_cmp_eq_u32_e32 vcc_lo, 0, v7
	v_min_u32_e32 v5, 32, v5
	s_delay_alu instid0(VALU_DEP_1) | instskip(NEXT) | instid1(VALU_DEP_1)
	v_subrev_nc_u32_e32 v6, 29, v5
	v_dual_lshlrev_b32 v0, v6, v0 :: v_dual_sub_nc_u32 v5, 30, v5
	s_delay_alu instid0(VALU_DEP_1) | instskip(NEXT) | instid1(VALU_DEP_2)
	v_and_b32_e32 v0, 3, v0
	v_dual_cndmask_b32 v5, v7, v5 :: v_dual_lshlrev_b32 v4, 24, v4
	s_delay_alu instid0(VALU_DEP_2) | instskip(NEXT) | instid1(VALU_DEP_2)
	v_cndmask_b32_e32 v0, v1, v0, vcc_lo
	v_and_b32_e32 v1, 0x80000000, v4
	s_delay_alu instid0(VALU_DEP_3) | instskip(NEXT) | instid1(VALU_DEP_3)
	v_lshl_add_u32 v4, v5, 23, 0x37800000
	v_lshlrev_b32_e32 v0, 21, v0
	s_delay_alu instid0(VALU_DEP_1) | instskip(NEXT) | instid1(VALU_DEP_1)
	v_or3_b32 v0, v1, v4, v0
	v_trunc_f32_e32 v0, v0
	s_delay_alu instid0(VALU_DEP_1) | instskip(NEXT) | instid1(VALU_DEP_1)
	v_mul_f32_e64 v1, 0x2f800000, |v0|
	v_floor_f32_e32 v1, v1
	s_delay_alu instid0(VALU_DEP_1) | instskip(SKIP_2) | instid1(VALU_DEP_3)
	v_fma_f32 v4, 0xcf800000, v1, |v0|
	v_ashrrev_i32_e32 v0, 31, v0
	v_cvt_u32_f32_e32 v5, v1
	v_cvt_u32_f32_e32 v4, v4
	s_delay_alu instid0(VALU_DEP_2) | instskip(NEXT) | instid1(VALU_DEP_2)
	v_dual_mov_b32 v1, v0 :: v_dual_bitop2_b32 v5, v5, v0 bitop3:0x14
	v_xor_b32_e32 v4, v4, v0
	s_delay_alu instid0(VALU_DEP_1)
	v_sub_nc_u64_e32 v[0:1], v[4:5], v[0:1]
.LBB78_1062:
	s_or_b32 exec_lo, exec_lo, s38
	s_mov_b32 s38, 0
	s_branch .LBB78_1068
.LBB78_1063:
	s_mov_b32 s39, -1
                                        ; implicit-def: $vgpr0_vgpr1
	s_branch .LBB78_1074
.LBB78_1064:
	s_and_not1_saveexec_b32 s38, s38
	s_cbranch_execz .LBB78_1049
.LBB78_1065:
	v_cmp_ne_u16_e32 vcc_lo, 0, v4
	s_and_not1_b32 s39, s39, exec_lo
	s_and_b32 s40, vcc_lo, exec_lo
	s_delay_alu instid0(SALU_CYCLE_1)
	s_or_b32 s39, s39, s40
	s_or_b32 exec_lo, exec_lo, s38
	v_mov_b64_e32 v[0:1], 0
	s_and_saveexec_b32 s38, s39
	s_cbranch_execnz .LBB78_1050
	s_branch .LBB78_1051
.LBB78_1066:
	s_mov_b32 s38, -1
                                        ; implicit-def: $vgpr0_vgpr1
	s_branch .LBB78_1071
.LBB78_1067:
	s_mov_b32 s38, -1
                                        ; implicit-def: $vgpr0_vgpr1
.LBB78_1068:
	s_delay_alu instid0(SALU_CYCLE_1)
	s_and_b32 vcc_lo, exec_lo, s38
	s_cbranch_vccz .LBB78_1070
; %bb.1069:
	s_wait_loadcnt 0x0
	global_load_u8 v0, v[2:3], off
	s_wait_loadcnt 0x0
	v_lshlrev_b32_e32 v0, 24, v0
	s_delay_alu instid0(VALU_DEP_1) | instskip(NEXT) | instid1(VALU_DEP_1)
	v_and_b32_e32 v1, 0x7f000000, v0
	v_clz_i32_u32_e32 v4, v1
	v_cmp_ne_u32_e32 vcc_lo, 0, v1
	v_add_nc_u32_e32 v6, 0x1000000, v1
	s_delay_alu instid0(VALU_DEP_3) | instskip(NEXT) | instid1(VALU_DEP_1)
	v_min_u32_e32 v4, 32, v4
	v_sub_nc_u32_e64 v4, v4, 4 clamp
	s_delay_alu instid0(VALU_DEP_1) | instskip(NEXT) | instid1(VALU_DEP_1)
	v_dual_lshlrev_b32 v5, v4, v1 :: v_dual_lshlrev_b32 v4, 23, v4
	v_lshrrev_b32_e32 v5, 4, v5
	s_delay_alu instid0(VALU_DEP_1) | instskip(NEXT) | instid1(VALU_DEP_1)
	v_dual_sub_nc_u32 v4, v5, v4 :: v_dual_ashrrev_i32 v5, 8, v6
	v_add_nc_u32_e32 v4, 0x3c000000, v4
	s_delay_alu instid0(VALU_DEP_1) | instskip(NEXT) | instid1(VALU_DEP_1)
	v_and_or_b32 v4, 0x7f800000, v5, v4
	v_cndmask_b32_e32 v1, 0, v4, vcc_lo
	s_delay_alu instid0(VALU_DEP_1) | instskip(NEXT) | instid1(VALU_DEP_1)
	v_and_or_b32 v0, 0x80000000, v0, v1
	v_trunc_f32_e32 v0, v0
	s_delay_alu instid0(VALU_DEP_1) | instskip(NEXT) | instid1(VALU_DEP_1)
	v_mul_f32_e64 v1, 0x2f800000, |v0|
	v_floor_f32_e32 v1, v1
	s_delay_alu instid0(VALU_DEP_1) | instskip(SKIP_2) | instid1(VALU_DEP_3)
	v_fma_f32 v4, 0xcf800000, v1, |v0|
	v_ashrrev_i32_e32 v0, 31, v0
	v_cvt_u32_f32_e32 v5, v1
	v_cvt_u32_f32_e32 v4, v4
	s_delay_alu instid0(VALU_DEP_2) | instskip(NEXT) | instid1(VALU_DEP_2)
	v_dual_mov_b32 v1, v0 :: v_dual_bitop2_b32 v5, v5, v0 bitop3:0x14
	v_xor_b32_e32 v4, v4, v0
	s_delay_alu instid0(VALU_DEP_1)
	v_sub_nc_u64_e32 v[0:1], v[4:5], v[0:1]
.LBB78_1070:
	s_mov_b32 s38, 0
.LBB78_1071:
	s_delay_alu instid0(SALU_CYCLE_1)
	s_and_not1_b32 vcc_lo, exec_lo, s38
	s_cbranch_vccnz .LBB78_1073
; %bb.1072:
	s_wait_loadcnt 0x0
	global_load_u8 v0, v[2:3], off
	s_wait_loadcnt 0x0
	v_lshlrev_b32_e32 v1, 25, v0
	v_lshlrev_b16 v0, 8, v0
	s_delay_alu instid0(VALU_DEP_1) | instskip(SKIP_1) | instid1(VALU_DEP_2)
	v_and_or_b32 v5, 0x7f00, v0, 0.5
	v_bfe_i32 v0, v0, 0, 16
	v_add_f32_e32 v5, -0.5, v5
	v_lshrrev_b32_e32 v4, 4, v1
	v_cmp_gt_u32_e32 vcc_lo, 0x8000000, v1
	s_delay_alu instid0(VALU_DEP_2) | instskip(NEXT) | instid1(VALU_DEP_1)
	v_or_b32_e32 v4, 0x70000000, v4
	v_mul_f32_e32 v4, 0x7800000, v4
	s_delay_alu instid0(VALU_DEP_1) | instskip(NEXT) | instid1(VALU_DEP_1)
	v_cndmask_b32_e32 v1, v4, v5, vcc_lo
	v_and_or_b32 v0, 0x80000000, v0, v1
	s_delay_alu instid0(VALU_DEP_1) | instskip(NEXT) | instid1(VALU_DEP_1)
	v_trunc_f32_e32 v0, v0
	v_mul_f32_e64 v1, 0x2f800000, |v0|
	s_delay_alu instid0(VALU_DEP_1) | instskip(NEXT) | instid1(VALU_DEP_1)
	v_floor_f32_e32 v1, v1
	v_fma_f32 v4, 0xcf800000, v1, |v0|
	v_ashrrev_i32_e32 v0, 31, v0
	v_cvt_u32_f32_e32 v5, v1
	s_delay_alu instid0(VALU_DEP_3) | instskip(NEXT) | instid1(VALU_DEP_2)
	v_cvt_u32_f32_e32 v4, v4
	v_dual_mov_b32 v1, v0 :: v_dual_bitop2_b32 v5, v5, v0 bitop3:0x14
	s_delay_alu instid0(VALU_DEP_2) | instskip(NEXT) | instid1(VALU_DEP_1)
	v_xor_b32_e32 v4, v4, v0
	v_sub_nc_u64_e32 v[0:1], v[4:5], v[0:1]
.LBB78_1073:
	s_mov_b32 s39, 0
	s_mov_b32 s38, -1
.LBB78_1074:
	s_and_not1_b32 vcc_lo, exec_lo, s39
	s_cbranch_vccnz .LBB78_1087
; %bb.1075:
	s_cmp_gt_i32 s37, 14
	s_cbranch_scc0 .LBB78_1078
; %bb.1076:
	s_cmp_eq_u32 s37, 15
	s_cbranch_scc0 .LBB78_1081
; %bb.1077:
	s_wait_loadcnt 0x0
	global_load_u16 v0, v[2:3], off
	s_mov_b32 s38, -1
	s_mov_b32 s36, 0
	s_wait_loadcnt 0x0
	v_lshlrev_b32_e32 v0, 16, v0
	s_delay_alu instid0(VALU_DEP_1) | instskip(NEXT) | instid1(VALU_DEP_1)
	v_trunc_f32_e32 v0, v0
	v_mul_f32_e64 v1, 0x2f800000, |v0|
	s_delay_alu instid0(VALU_DEP_1) | instskip(NEXT) | instid1(VALU_DEP_1)
	v_floor_f32_e32 v1, v1
	v_fma_f32 v4, 0xcf800000, v1, |v0|
	v_ashrrev_i32_e32 v0, 31, v0
	v_cvt_u32_f32_e32 v5, v1
	s_delay_alu instid0(VALU_DEP_3) | instskip(NEXT) | instid1(VALU_DEP_2)
	v_cvt_u32_f32_e32 v4, v4
	v_dual_mov_b32 v1, v0 :: v_dual_bitop2_b32 v5, v5, v0 bitop3:0x14
	s_delay_alu instid0(VALU_DEP_2) | instskip(NEXT) | instid1(VALU_DEP_1)
	v_xor_b32_e32 v4, v4, v0
	v_sub_nc_u64_e32 v[0:1], v[4:5], v[0:1]
	s_branch .LBB78_1082
.LBB78_1078:
	s_mov_b32 s39, -1
                                        ; implicit-def: $vgpr0_vgpr1
	s_branch .LBB78_1083
.LBB78_1079:
	s_and_not1_saveexec_b32 s38, s38
	s_cbranch_execz .LBB78_1060
.LBB78_1080:
	v_cmp_ne_u16_e32 vcc_lo, 0, v4
	s_and_not1_b32 s39, s39, exec_lo
	s_and_b32 s40, vcc_lo, exec_lo
	s_delay_alu instid0(SALU_CYCLE_1)
	s_or_b32 s39, s39, s40
	s_or_b32 exec_lo, exec_lo, s38
	v_mov_b64_e32 v[0:1], 0
	s_and_saveexec_b32 s38, s39
	s_cbranch_execnz .LBB78_1061
	s_branch .LBB78_1062
.LBB78_1081:
	s_mov_b32 s36, -1
                                        ; implicit-def: $vgpr0_vgpr1
.LBB78_1082:
	s_mov_b32 s39, 0
.LBB78_1083:
	s_delay_alu instid0(SALU_CYCLE_1)
	s_and_b32 vcc_lo, exec_lo, s39
	s_cbranch_vccz .LBB78_1087
; %bb.1084:
	s_cmp_eq_u32 s37, 11
	s_cbranch_scc0 .LBB78_1086
; %bb.1085:
	s_wait_loadcnt 0x0
	global_load_u8 v0, v[2:3], off
	s_mov_b32 s36, 0
	s_mov_b32 s38, -1
	v_mov_b32_e32 v1, s36
	s_wait_loadcnt 0x0
	v_cmp_ne_u16_e32 vcc_lo, 0, v0
	v_cndmask_b32_e64 v0, 0, 1, vcc_lo
	s_branch .LBB78_1087
.LBB78_1086:
	s_mov_b32 s36, -1
                                        ; implicit-def: $vgpr0_vgpr1
.LBB78_1087:
	s_mov_b32 s37, 0
.LBB78_1088:
	s_delay_alu instid0(SALU_CYCLE_1)
	s_and_b32 vcc_lo, exec_lo, s37
	s_cbranch_vccz .LBB78_1137
; %bb.1089:
	s_and_b32 s0, 0xffff, s0
	s_delay_alu instid0(SALU_CYCLE_1)
	s_cmp_lt_i32 s0, 5
	s_cbranch_scc1 .LBB78_1094
; %bb.1090:
	s_cmp_lt_i32 s0, 8
	s_cbranch_scc1 .LBB78_1095
; %bb.1091:
	s_cmp_lt_i32 s0, 9
	s_cbranch_scc1 .LBB78_1096
; %bb.1092:
	s_cmp_gt_i32 s0, 9
	s_cbranch_scc0 .LBB78_1097
; %bb.1093:
	s_wait_loadcnt 0x0
	global_load_b64 v[0:1], v[2:3], off
	s_mov_b32 s37, 0
	s_wait_loadcnt 0x0
	v_trunc_f64_e32 v[0:1], v[0:1]
	s_delay_alu instid0(VALU_DEP_1) | instskip(NEXT) | instid1(VALU_DEP_1)
	v_ldexp_f64 v[4:5], v[0:1], 0xffffffe0
	v_floor_f64_e32 v[4:5], v[4:5]
	s_delay_alu instid0(VALU_DEP_1) | instskip(SKIP_1) | instid1(VALU_DEP_2)
	v_fmamk_f64 v[6:7], v[4:5], 0xc1f00000, v[0:1]
	v_cvt_i32_f64_e32 v1, v[4:5]
	v_cvt_u32_f64_e32 v0, v[6:7]
	s_branch .LBB78_1098
.LBB78_1094:
	s_mov_b32 s37, -1
                                        ; implicit-def: $vgpr0_vgpr1
	s_branch .LBB78_1116
.LBB78_1095:
	s_mov_b32 s37, -1
                                        ; implicit-def: $vgpr0_vgpr1
	s_branch .LBB78_1104
.LBB78_1096:
	s_mov_b32 s37, -1
                                        ; implicit-def: $vgpr0_vgpr1
	s_branch .LBB78_1101
.LBB78_1097:
	s_mov_b32 s37, -1
                                        ; implicit-def: $vgpr0_vgpr1
.LBB78_1098:
	s_delay_alu instid0(SALU_CYCLE_1)
	s_and_not1_b32 vcc_lo, exec_lo, s37
	s_cbranch_vccnz .LBB78_1100
; %bb.1099:
	s_wait_loadcnt 0x0
	global_load_b32 v0, v[2:3], off
	s_wait_loadcnt 0x0
	v_trunc_f32_e32 v0, v0
	s_delay_alu instid0(VALU_DEP_1) | instskip(NEXT) | instid1(VALU_DEP_1)
	v_mul_f32_e64 v1, 0x2f800000, |v0|
	v_floor_f32_e32 v1, v1
	s_delay_alu instid0(VALU_DEP_1) | instskip(SKIP_2) | instid1(VALU_DEP_3)
	v_fma_f32 v4, 0xcf800000, v1, |v0|
	v_ashrrev_i32_e32 v0, 31, v0
	v_cvt_u32_f32_e32 v5, v1
	v_cvt_u32_f32_e32 v4, v4
	s_delay_alu instid0(VALU_DEP_2) | instskip(NEXT) | instid1(VALU_DEP_2)
	v_dual_mov_b32 v1, v0 :: v_dual_bitop2_b32 v5, v5, v0 bitop3:0x14
	v_xor_b32_e32 v4, v4, v0
	s_delay_alu instid0(VALU_DEP_1)
	v_sub_nc_u64_e32 v[0:1], v[4:5], v[0:1]
.LBB78_1100:
	s_mov_b32 s37, 0
.LBB78_1101:
	s_delay_alu instid0(SALU_CYCLE_1)
	s_and_not1_b32 vcc_lo, exec_lo, s37
	s_cbranch_vccnz .LBB78_1103
; %bb.1102:
	s_wait_loadcnt 0x0
	global_load_b32 v0, v[2:3], off
	s_wait_loadcnt 0x0
	v_cvt_f32_f16_e32 v0, v0
	s_delay_alu instid0(VALU_DEP_1) | instskip(NEXT) | instid1(VALU_DEP_1)
	v_cvt_i32_f32_e32 v0, v0
	v_ashrrev_i32_e32 v1, 31, v0
.LBB78_1103:
	s_mov_b32 s37, 0
.LBB78_1104:
	s_delay_alu instid0(SALU_CYCLE_1)
	s_and_not1_b32 vcc_lo, exec_lo, s37
	s_cbranch_vccnz .LBB78_1115
; %bb.1105:
	s_cmp_lt_i32 s0, 6
	s_cbranch_scc1 .LBB78_1108
; %bb.1106:
	s_cmp_gt_i32 s0, 6
	s_cbranch_scc0 .LBB78_1109
; %bb.1107:
	s_wait_loadcnt 0x0
	global_load_b64 v[0:1], v[2:3], off
	s_mov_b32 s37, 0
	s_wait_loadcnt 0x0
	v_trunc_f64_e32 v[0:1], v[0:1]
	s_delay_alu instid0(VALU_DEP_1) | instskip(NEXT) | instid1(VALU_DEP_1)
	v_ldexp_f64 v[4:5], v[0:1], 0xffffffe0
	v_floor_f64_e32 v[4:5], v[4:5]
	s_delay_alu instid0(VALU_DEP_1) | instskip(SKIP_1) | instid1(VALU_DEP_2)
	v_fmamk_f64 v[6:7], v[4:5], 0xc1f00000, v[0:1]
	v_cvt_i32_f64_e32 v1, v[4:5]
	v_cvt_u32_f64_e32 v0, v[6:7]
	s_branch .LBB78_1110
.LBB78_1108:
	s_mov_b32 s37, -1
                                        ; implicit-def: $vgpr0_vgpr1
	s_branch .LBB78_1113
.LBB78_1109:
	s_mov_b32 s37, -1
                                        ; implicit-def: $vgpr0_vgpr1
.LBB78_1110:
	s_delay_alu instid0(SALU_CYCLE_1)
	s_and_not1_b32 vcc_lo, exec_lo, s37
	s_cbranch_vccnz .LBB78_1112
; %bb.1111:
	s_wait_loadcnt 0x0
	global_load_b32 v0, v[2:3], off
	s_wait_loadcnt 0x0
	v_trunc_f32_e32 v0, v0
	s_delay_alu instid0(VALU_DEP_1) | instskip(NEXT) | instid1(VALU_DEP_1)
	v_mul_f32_e64 v1, 0x2f800000, |v0|
	v_floor_f32_e32 v1, v1
	s_delay_alu instid0(VALU_DEP_1) | instskip(SKIP_2) | instid1(VALU_DEP_3)
	v_fma_f32 v4, 0xcf800000, v1, |v0|
	v_ashrrev_i32_e32 v0, 31, v0
	v_cvt_u32_f32_e32 v5, v1
	v_cvt_u32_f32_e32 v4, v4
	s_delay_alu instid0(VALU_DEP_2) | instskip(NEXT) | instid1(VALU_DEP_2)
	v_dual_mov_b32 v1, v0 :: v_dual_bitop2_b32 v5, v5, v0 bitop3:0x14
	v_xor_b32_e32 v4, v4, v0
	s_delay_alu instid0(VALU_DEP_1)
	v_sub_nc_u64_e32 v[0:1], v[4:5], v[0:1]
.LBB78_1112:
	s_mov_b32 s37, 0
.LBB78_1113:
	s_delay_alu instid0(SALU_CYCLE_1)
	s_and_not1_b32 vcc_lo, exec_lo, s37
	s_cbranch_vccnz .LBB78_1115
; %bb.1114:
	s_wait_loadcnt 0x0
	global_load_u16 v0, v[2:3], off
	s_wait_loadcnt 0x0
	v_cvt_f32_f16_e32 v0, v0
	s_delay_alu instid0(VALU_DEP_1) | instskip(NEXT) | instid1(VALU_DEP_1)
	v_cvt_i32_f32_e32 v0, v0
	v_ashrrev_i32_e32 v1, 31, v0
.LBB78_1115:
	s_mov_b32 s37, 0
.LBB78_1116:
	s_delay_alu instid0(SALU_CYCLE_1)
	s_and_not1_b32 vcc_lo, exec_lo, s37
	s_cbranch_vccnz .LBB78_1136
; %bb.1117:
	s_cmp_lt_i32 s0, 2
	s_cbranch_scc1 .LBB78_1121
; %bb.1118:
	s_cmp_lt_i32 s0, 3
	s_cbranch_scc1 .LBB78_1122
; %bb.1119:
	s_cmp_gt_i32 s0, 3
	s_cbranch_scc0 .LBB78_1123
; %bb.1120:
	s_wait_loadcnt 0x0
	global_load_b64 v[0:1], v[2:3], off
	s_mov_b32 s37, 0
	s_branch .LBB78_1124
.LBB78_1121:
	s_mov_b32 s37, -1
                                        ; implicit-def: $vgpr0_vgpr1
	s_branch .LBB78_1130
.LBB78_1122:
	s_mov_b32 s37, -1
                                        ; implicit-def: $vgpr0_vgpr1
	s_branch .LBB78_1127
.LBB78_1123:
	s_mov_b32 s37, -1
                                        ; implicit-def: $vgpr0_vgpr1
.LBB78_1124:
	s_delay_alu instid0(SALU_CYCLE_1)
	s_and_not1_b32 vcc_lo, exec_lo, s37
	s_cbranch_vccnz .LBB78_1126
; %bb.1125:
	s_wait_loadcnt 0x0
	global_load_b32 v0, v[2:3], off
	s_wait_loadcnt 0x0
	v_ashrrev_i32_e32 v1, 31, v0
.LBB78_1126:
	s_mov_b32 s37, 0
.LBB78_1127:
	s_delay_alu instid0(SALU_CYCLE_1)
	s_and_not1_b32 vcc_lo, exec_lo, s37
	s_cbranch_vccnz .LBB78_1129
; %bb.1128:
	s_wait_loadcnt 0x0
	global_load_u16 v0, v[2:3], off
	s_wait_loadcnt 0x0
	v_bfe_i32 v0, v0, 0, 16
	s_delay_alu instid0(VALU_DEP_1)
	v_ashrrev_i32_e32 v1, 31, v0
.LBB78_1129:
	s_mov_b32 s37, 0
.LBB78_1130:
	s_delay_alu instid0(SALU_CYCLE_1)
	s_and_not1_b32 vcc_lo, exec_lo, s37
	s_cbranch_vccnz .LBB78_1136
; %bb.1131:
	s_cmp_gt_i32 s0, 0
	s_mov_b32 s0, 0
	s_cbranch_scc0 .LBB78_1133
; %bb.1132:
	s_wait_loadcnt 0x0
	global_load_i8 v0, v[2:3], off
	s_wait_loadcnt 0x0
	v_bfe_i32 v0, v0, 0, 16
	s_delay_alu instid0(VALU_DEP_1)
	v_ashrrev_i32_e32 v1, 31, v0
	s_branch .LBB78_1134
.LBB78_1133:
	s_mov_b32 s0, -1
                                        ; implicit-def: $vgpr0_vgpr1
.LBB78_1134:
	s_delay_alu instid0(SALU_CYCLE_1)
	s_and_not1_b32 vcc_lo, exec_lo, s0
	s_cbranch_vccnz .LBB78_1136
; %bb.1135:
	s_wait_loadcnt 0x0
	global_load_u8 v0, v[2:3], off
	s_mov_b32 s0, 0
	s_delay_alu instid0(SALU_CYCLE_1)
	v_mov_b32_e32 v1, s0
	s_wait_loadcnt 0x0
	v_and_b32_e32 v0, 0xffff, v0
.LBB78_1136:
	s_mov_b32 s38, -1
.LBB78_1137:
	s_delay_alu instid0(SALU_CYCLE_1)
	s_and_not1_b32 vcc_lo, exec_lo, s38
	s_cbranch_vccnz .LBB78_1145
; %bb.1138:
	s_wait_xcnt 0x0
	v_mul_lo_u32 v2, v26, s14
	s_and_b32 s0, s3, 0xff
	s_delay_alu instid0(SALU_CYCLE_1) | instskip(NEXT) | instid1(VALU_DEP_1)
	s_cmp_lt_i32 s0, 11
	v_ashrrev_i32_e32 v3, 31, v2
	s_delay_alu instid0(VALU_DEP_1)
	v_add_nc_u64_e32 v[4:5], s[8:9], v[2:3]
	s_cbranch_scc1 .LBB78_1146
; %bb.1139:
	s_and_b32 s38, 0xffff, s0
	s_delay_alu instid0(SALU_CYCLE_1)
	s_cmp_gt_i32 s38, 25
	s_cbranch_scc0 .LBB78_1147
; %bb.1140:
	s_cmp_gt_i32 s38, 28
	s_cbranch_scc0 .LBB78_1148
; %bb.1141:
	s_cmp_gt_i32 s38, 43
	s_cbranch_scc0 .LBB78_1149
; %bb.1142:
	s_cmp_gt_i32 s38, 45
	s_cbranch_scc0 .LBB78_1150
; %bb.1143:
	s_cmp_eq_u32 s38, 46
	s_mov_b32 s40, 0
	s_cbranch_scc0 .LBB78_1153
; %bb.1144:
	global_load_b32 v2, v[4:5], off
	s_mov_b32 s39, -1
	s_mov_b32 s37, 0
	s_wait_loadcnt 0x0
	v_lshlrev_b32_e32 v2, 16, v2
	s_delay_alu instid0(VALU_DEP_1) | instskip(NEXT) | instid1(VALU_DEP_1)
	v_trunc_f32_e32 v2, v2
	v_mul_f32_e64 v3, 0x2f800000, |v2|
	s_delay_alu instid0(VALU_DEP_1) | instskip(NEXT) | instid1(VALU_DEP_1)
	v_floor_f32_e32 v3, v3
	v_fma_f32 v6, 0xcf800000, v3, |v2|
	v_ashrrev_i32_e32 v2, 31, v2
	v_cvt_u32_f32_e32 v7, v3
	s_delay_alu instid0(VALU_DEP_3) | instskip(NEXT) | instid1(VALU_DEP_2)
	v_cvt_u32_f32_e32 v6, v6
	v_dual_mov_b32 v3, v2 :: v_dual_bitop2_b32 v7, v7, v2 bitop3:0x14
	s_delay_alu instid0(VALU_DEP_2) | instskip(NEXT) | instid1(VALU_DEP_1)
	v_xor_b32_e32 v6, v6, v2
	v_sub_nc_u64_e32 v[2:3], v[6:7], v[2:3]
	s_branch .LBB78_1155
.LBB78_1145:
	s_mov_b32 s40, 0
	s_mov_b32 s0, s30
	;; [unrolled: 1-line block ×4, first 2 shown]
	s_branch .LBB78_1518
.LBB78_1146:
	s_mov_b32 s38, -1
	s_mov_b32 s39, 0
	s_mov_b32 s37, s33
                                        ; implicit-def: $vgpr2_vgpr3
	s_branch .LBB78_1216
.LBB78_1147:
	s_mov_b32 s40, -1
	s_mov_b32 s39, 0
	s_mov_b32 s37, s33
                                        ; implicit-def: $vgpr2_vgpr3
	s_branch .LBB78_1182
.LBB78_1148:
	s_mov_b32 s40, -1
	s_mov_b32 s39, 0
	s_mov_b32 s37, s33
                                        ; implicit-def: $vgpr2_vgpr3
	s_branch .LBB78_1165
.LBB78_1149:
	s_mov_b32 s40, -1
	s_mov_b32 s39, 0
	s_mov_b32 s37, s33
                                        ; implicit-def: $vgpr2_vgpr3
	s_branch .LBB78_1160
.LBB78_1150:
	s_mov_b32 s40, -1
	s_mov_b32 s39, 0
	s_mov_b32 s37, s33
	s_branch .LBB78_1154
.LBB78_1151:
	s_and_not1_saveexec_b32 s38, s38
	s_cbranch_execz .LBB78_919
.LBB78_1152:
	v_add_f32_e64 v5, 0x46000000, |v4|
	s_and_not1_b32 s37, s37, exec_lo
	s_delay_alu instid0(VALU_DEP_1) | instskip(NEXT) | instid1(VALU_DEP_1)
	v_and_b32_e32 v5, 0xff, v5
	v_cmp_ne_u32_e32 vcc_lo, 0, v5
	s_and_b32 s39, vcc_lo, exec_lo
	s_delay_alu instid0(SALU_CYCLE_1)
	s_or_b32 s37, s37, s39
	s_or_b32 exec_lo, exec_lo, s38
	v_mov_b32_e32 v6, 0
	s_and_saveexec_b32 s38, s37
	s_cbranch_execnz .LBB78_920
	s_branch .LBB78_921
.LBB78_1153:
	s_mov_b32 s37, -1
	s_mov_b32 s39, 0
.LBB78_1154:
                                        ; implicit-def: $vgpr2_vgpr3
.LBB78_1155:
	s_and_b32 vcc_lo, exec_lo, s40
	s_cbranch_vccz .LBB78_1159
; %bb.1156:
	s_cmp_eq_u32 s38, 44
	s_cbranch_scc0 .LBB78_1158
; %bb.1157:
	global_load_u8 v8, v[4:5], off
	s_mov_b32 s37, 0
	s_mov_b32 s39, -1
	s_wait_loadcnt 0x0
	v_cmp_ne_u32_e32 vcc_lo, 0, v8
	v_lshlrev_b32_e32 v2, 23, v8
	s_delay_alu instid0(VALU_DEP_1) | instskip(NEXT) | instid1(VALU_DEP_1)
	v_trunc_f32_e32 v2, v2
	v_mul_f32_e64 v3, 0x2f800000, |v2|
	s_delay_alu instid0(VALU_DEP_1) | instskip(NEXT) | instid1(VALU_DEP_1)
	v_floor_f32_e32 v3, v3
	v_fma_f32 v6, 0xcf800000, v3, |v2|
	v_ashrrev_i32_e32 v2, 31, v2
	v_cvt_u32_f32_e32 v7, v3
	s_delay_alu instid0(VALU_DEP_3) | instskip(NEXT) | instid1(VALU_DEP_2)
	v_cvt_u32_f32_e32 v6, v6
	v_dual_mov_b32 v3, v2 :: v_dual_bitop2_b32 v7, v7, v2 bitop3:0x14
	s_delay_alu instid0(VALU_DEP_2) | instskip(NEXT) | instid1(VALU_DEP_1)
	v_xor_b32_e32 v6, v6, v2
	v_sub_nc_u64_e32 v[2:3], v[6:7], v[2:3]
	s_delay_alu instid0(VALU_DEP_1)
	v_dual_cndmask_b32 v3, 0, v3 :: v_dual_cndmask_b32 v2, 0, v2
	s_branch .LBB78_1159
.LBB78_1158:
	s_mov_b32 s37, -1
                                        ; implicit-def: $vgpr2_vgpr3
.LBB78_1159:
	s_mov_b32 s40, 0
.LBB78_1160:
	s_delay_alu instid0(SALU_CYCLE_1)
	s_and_b32 vcc_lo, exec_lo, s40
	s_cbranch_vccz .LBB78_1164
; %bb.1161:
	s_cmp_eq_u32 s38, 29
	s_cbranch_scc0 .LBB78_1163
; %bb.1162:
	global_load_b64 v[2:3], v[4:5], off
	s_mov_b32 s39, -1
	s_mov_b32 s37, 0
	s_branch .LBB78_1164
.LBB78_1163:
	s_mov_b32 s37, -1
                                        ; implicit-def: $vgpr2_vgpr3
.LBB78_1164:
	s_mov_b32 s40, 0
.LBB78_1165:
	s_delay_alu instid0(SALU_CYCLE_1)
	s_and_b32 vcc_lo, exec_lo, s40
	s_cbranch_vccz .LBB78_1181
; %bb.1166:
	s_cmp_lt_i32 s38, 27
	s_cbranch_scc1 .LBB78_1169
; %bb.1167:
	s_cmp_gt_i32 s38, 27
	s_cbranch_scc0 .LBB78_1170
; %bb.1168:
	s_wait_loadcnt 0x0
	global_load_b32 v2, v[4:5], off
	v_mov_b32_e32 v3, 0
	s_mov_b32 s39, 0
	s_branch .LBB78_1171
.LBB78_1169:
	s_mov_b32 s39, -1
                                        ; implicit-def: $vgpr2_vgpr3
	s_branch .LBB78_1174
.LBB78_1170:
	s_mov_b32 s39, -1
                                        ; implicit-def: $vgpr2_vgpr3
.LBB78_1171:
	s_delay_alu instid0(SALU_CYCLE_1)
	s_and_not1_b32 vcc_lo, exec_lo, s39
	s_cbranch_vccnz .LBB78_1173
; %bb.1172:
	s_wait_loadcnt 0x0
	global_load_u16 v2, v[4:5], off
	s_mov_b32 s39, 0
	s_delay_alu instid0(SALU_CYCLE_1)
	v_mov_b32_e32 v3, s39
	s_wait_loadcnt 0x0
	v_and_b32_e32 v2, 0xffff, v2
.LBB78_1173:
	s_mov_b32 s39, 0
.LBB78_1174:
	s_delay_alu instid0(SALU_CYCLE_1)
	s_and_not1_b32 vcc_lo, exec_lo, s39
	s_cbranch_vccnz .LBB78_1180
; %bb.1175:
	global_load_u8 v6, v[4:5], off
	s_mov_b32 s40, 0
	s_mov_b32 s39, exec_lo
	s_wait_loadcnt 0x0
	v_cmpx_lt_i16_e32 0x7f, v6
	s_xor_b32 s39, exec_lo, s39
	s_cbranch_execz .LBB78_1192
; %bb.1176:
	v_cmp_ne_u16_e32 vcc_lo, 0x80, v6
	s_and_b32 s40, vcc_lo, exec_lo
	s_and_not1_saveexec_b32 s39, s39
	s_cbranch_execnz .LBB78_1193
.LBB78_1177:
	s_or_b32 exec_lo, exec_lo, s39
	v_mov_b64_e32 v[2:3], 0
	s_and_saveexec_b32 s39, s40
	s_cbranch_execz .LBB78_1179
.LBB78_1178:
	v_and_b32_e32 v2, 0xffff, v6
	s_delay_alu instid0(VALU_DEP_1) | instskip(SKIP_1) | instid1(VALU_DEP_2)
	v_and_b32_e32 v3, 7, v2
	v_bfe_u32 v9, v2, 3, 4
	v_clz_i32_u32_e32 v7, v3
	s_delay_alu instid0(VALU_DEP_2) | instskip(NEXT) | instid1(VALU_DEP_2)
	v_cmp_eq_u32_e32 vcc_lo, 0, v9
	v_min_u32_e32 v7, 32, v7
	s_delay_alu instid0(VALU_DEP_1) | instskip(NEXT) | instid1(VALU_DEP_1)
	v_subrev_nc_u32_e32 v8, 28, v7
	v_dual_lshlrev_b32 v2, v8, v2 :: v_dual_sub_nc_u32 v7, 29, v7
	s_delay_alu instid0(VALU_DEP_1) | instskip(NEXT) | instid1(VALU_DEP_2)
	v_and_b32_e32 v2, 7, v2
	v_dual_cndmask_b32 v7, v9, v7 :: v_dual_lshlrev_b32 v6, 24, v6
	s_delay_alu instid0(VALU_DEP_2) | instskip(NEXT) | instid1(VALU_DEP_2)
	v_cndmask_b32_e32 v2, v3, v2, vcc_lo
	v_and_b32_e32 v3, 0x80000000, v6
	s_delay_alu instid0(VALU_DEP_3) | instskip(NEXT) | instid1(VALU_DEP_3)
	v_lshl_add_u32 v6, v7, 23, 0x3b800000
	v_lshlrev_b32_e32 v2, 20, v2
	s_delay_alu instid0(VALU_DEP_1) | instskip(NEXT) | instid1(VALU_DEP_1)
	v_or3_b32 v2, v3, v6, v2
	v_trunc_f32_e32 v2, v2
	s_delay_alu instid0(VALU_DEP_1) | instskip(NEXT) | instid1(VALU_DEP_1)
	v_mul_f32_e64 v3, 0x2f800000, |v2|
	v_floor_f32_e32 v3, v3
	s_delay_alu instid0(VALU_DEP_1) | instskip(SKIP_2) | instid1(VALU_DEP_3)
	v_fma_f32 v6, 0xcf800000, v3, |v2|
	v_ashrrev_i32_e32 v2, 31, v2
	v_cvt_u32_f32_e32 v7, v3
	v_cvt_u32_f32_e32 v6, v6
	s_delay_alu instid0(VALU_DEP_2) | instskip(NEXT) | instid1(VALU_DEP_2)
	v_dual_mov_b32 v3, v2 :: v_dual_bitop2_b32 v7, v7, v2 bitop3:0x14
	v_xor_b32_e32 v6, v6, v2
	s_delay_alu instid0(VALU_DEP_1)
	v_sub_nc_u64_e32 v[2:3], v[6:7], v[2:3]
.LBB78_1179:
	s_or_b32 exec_lo, exec_lo, s39
.LBB78_1180:
	s_mov_b32 s39, -1
.LBB78_1181:
	s_mov_b32 s40, 0
.LBB78_1182:
	s_delay_alu instid0(SALU_CYCLE_1)
	s_and_b32 vcc_lo, exec_lo, s40
	s_cbranch_vccz .LBB78_1215
; %bb.1183:
	s_cmp_gt_i32 s38, 22
	s_cbranch_scc0 .LBB78_1191
; %bb.1184:
	s_cmp_lt_i32 s38, 24
	s_cbranch_scc1 .LBB78_1194
; %bb.1185:
	s_cmp_gt_i32 s38, 24
	s_cbranch_scc0 .LBB78_1195
; %bb.1186:
	global_load_u8 v6, v[4:5], off
	s_mov_b32 s40, 0
	s_mov_b32 s39, exec_lo
	s_wait_loadcnt 0x0
	v_cmpx_lt_i16_e32 0x7f, v6
	s_xor_b32 s39, exec_lo, s39
	s_cbranch_execz .LBB78_1207
; %bb.1187:
	v_cmp_ne_u16_e32 vcc_lo, 0x80, v6
	s_and_b32 s40, vcc_lo, exec_lo
	s_and_not1_saveexec_b32 s39, s39
	s_cbranch_execnz .LBB78_1208
.LBB78_1188:
	s_or_b32 exec_lo, exec_lo, s39
	v_mov_b64_e32 v[2:3], 0
	s_and_saveexec_b32 s39, s40
	s_cbranch_execz .LBB78_1190
.LBB78_1189:
	v_and_b32_e32 v2, 0xffff, v6
	s_delay_alu instid0(VALU_DEP_1) | instskip(SKIP_1) | instid1(VALU_DEP_2)
	v_and_b32_e32 v3, 3, v2
	v_bfe_u32 v9, v2, 2, 5
	v_clz_i32_u32_e32 v7, v3
	s_delay_alu instid0(VALU_DEP_2) | instskip(NEXT) | instid1(VALU_DEP_2)
	v_cmp_eq_u32_e32 vcc_lo, 0, v9
	v_min_u32_e32 v7, 32, v7
	s_delay_alu instid0(VALU_DEP_1) | instskip(NEXT) | instid1(VALU_DEP_1)
	v_subrev_nc_u32_e32 v8, 29, v7
	v_dual_lshlrev_b32 v2, v8, v2 :: v_dual_sub_nc_u32 v7, 30, v7
	s_delay_alu instid0(VALU_DEP_1) | instskip(NEXT) | instid1(VALU_DEP_2)
	v_and_b32_e32 v2, 3, v2
	v_dual_cndmask_b32 v7, v9, v7 :: v_dual_lshlrev_b32 v6, 24, v6
	s_delay_alu instid0(VALU_DEP_2) | instskip(NEXT) | instid1(VALU_DEP_2)
	v_cndmask_b32_e32 v2, v3, v2, vcc_lo
	v_and_b32_e32 v3, 0x80000000, v6
	s_delay_alu instid0(VALU_DEP_3) | instskip(NEXT) | instid1(VALU_DEP_3)
	v_lshl_add_u32 v6, v7, 23, 0x37800000
	v_lshlrev_b32_e32 v2, 21, v2
	s_delay_alu instid0(VALU_DEP_1) | instskip(NEXT) | instid1(VALU_DEP_1)
	v_or3_b32 v2, v3, v6, v2
	v_trunc_f32_e32 v2, v2
	s_delay_alu instid0(VALU_DEP_1) | instskip(NEXT) | instid1(VALU_DEP_1)
	v_mul_f32_e64 v3, 0x2f800000, |v2|
	v_floor_f32_e32 v3, v3
	s_delay_alu instid0(VALU_DEP_1) | instskip(SKIP_2) | instid1(VALU_DEP_3)
	v_fma_f32 v6, 0xcf800000, v3, |v2|
	v_ashrrev_i32_e32 v2, 31, v2
	v_cvt_u32_f32_e32 v7, v3
	v_cvt_u32_f32_e32 v6, v6
	s_delay_alu instid0(VALU_DEP_2) | instskip(NEXT) | instid1(VALU_DEP_2)
	v_dual_mov_b32 v3, v2 :: v_dual_bitop2_b32 v7, v7, v2 bitop3:0x14
	v_xor_b32_e32 v6, v6, v2
	s_delay_alu instid0(VALU_DEP_1)
	v_sub_nc_u64_e32 v[2:3], v[6:7], v[2:3]
.LBB78_1190:
	s_or_b32 exec_lo, exec_lo, s39
	s_mov_b32 s39, 0
	s_branch .LBB78_1196
.LBB78_1191:
	s_mov_b32 s40, -1
                                        ; implicit-def: $vgpr2_vgpr3
	s_branch .LBB78_1202
.LBB78_1192:
	s_and_not1_saveexec_b32 s39, s39
	s_cbranch_execz .LBB78_1177
.LBB78_1193:
	v_cmp_ne_u16_e32 vcc_lo, 0, v6
	s_and_not1_b32 s40, s40, exec_lo
	s_and_b32 s41, vcc_lo, exec_lo
	s_delay_alu instid0(SALU_CYCLE_1)
	s_or_b32 s40, s40, s41
	s_or_b32 exec_lo, exec_lo, s39
	v_mov_b64_e32 v[2:3], 0
	s_and_saveexec_b32 s39, s40
	s_cbranch_execnz .LBB78_1178
	s_branch .LBB78_1179
.LBB78_1194:
	s_mov_b32 s39, -1
                                        ; implicit-def: $vgpr2_vgpr3
	s_branch .LBB78_1199
.LBB78_1195:
	s_mov_b32 s39, -1
                                        ; implicit-def: $vgpr2_vgpr3
.LBB78_1196:
	s_delay_alu instid0(SALU_CYCLE_1)
	s_and_b32 vcc_lo, exec_lo, s39
	s_cbranch_vccz .LBB78_1198
; %bb.1197:
	s_wait_loadcnt 0x0
	global_load_u8 v2, v[4:5], off
	s_wait_loadcnt 0x0
	v_lshlrev_b32_e32 v2, 24, v2
	s_delay_alu instid0(VALU_DEP_1) | instskip(NEXT) | instid1(VALU_DEP_1)
	v_and_b32_e32 v3, 0x7f000000, v2
	v_clz_i32_u32_e32 v6, v3
	v_cmp_ne_u32_e32 vcc_lo, 0, v3
	v_add_nc_u32_e32 v8, 0x1000000, v3
	s_delay_alu instid0(VALU_DEP_3) | instskip(NEXT) | instid1(VALU_DEP_1)
	v_min_u32_e32 v6, 32, v6
	v_sub_nc_u32_e64 v6, v6, 4 clamp
	s_delay_alu instid0(VALU_DEP_1) | instskip(NEXT) | instid1(VALU_DEP_1)
	v_dual_lshlrev_b32 v7, v6, v3 :: v_dual_lshlrev_b32 v6, 23, v6
	v_lshrrev_b32_e32 v7, 4, v7
	s_delay_alu instid0(VALU_DEP_1) | instskip(NEXT) | instid1(VALU_DEP_1)
	v_dual_sub_nc_u32 v6, v7, v6 :: v_dual_ashrrev_i32 v7, 8, v8
	v_add_nc_u32_e32 v6, 0x3c000000, v6
	s_delay_alu instid0(VALU_DEP_1) | instskip(NEXT) | instid1(VALU_DEP_1)
	v_and_or_b32 v6, 0x7f800000, v7, v6
	v_cndmask_b32_e32 v3, 0, v6, vcc_lo
	s_delay_alu instid0(VALU_DEP_1) | instskip(NEXT) | instid1(VALU_DEP_1)
	v_and_or_b32 v2, 0x80000000, v2, v3
	v_trunc_f32_e32 v2, v2
	s_delay_alu instid0(VALU_DEP_1) | instskip(NEXT) | instid1(VALU_DEP_1)
	v_mul_f32_e64 v3, 0x2f800000, |v2|
	v_floor_f32_e32 v3, v3
	s_delay_alu instid0(VALU_DEP_1) | instskip(SKIP_2) | instid1(VALU_DEP_3)
	v_fma_f32 v6, 0xcf800000, v3, |v2|
	v_ashrrev_i32_e32 v2, 31, v2
	v_cvt_u32_f32_e32 v7, v3
	v_cvt_u32_f32_e32 v6, v6
	s_delay_alu instid0(VALU_DEP_2) | instskip(NEXT) | instid1(VALU_DEP_2)
	v_dual_mov_b32 v3, v2 :: v_dual_bitop2_b32 v7, v7, v2 bitop3:0x14
	v_xor_b32_e32 v6, v6, v2
	s_delay_alu instid0(VALU_DEP_1)
	v_sub_nc_u64_e32 v[2:3], v[6:7], v[2:3]
.LBB78_1198:
	s_mov_b32 s39, 0
.LBB78_1199:
	s_delay_alu instid0(SALU_CYCLE_1)
	s_and_not1_b32 vcc_lo, exec_lo, s39
	s_cbranch_vccnz .LBB78_1201
; %bb.1200:
	s_wait_loadcnt 0x0
	global_load_u8 v2, v[4:5], off
	s_wait_loadcnt 0x0
	v_lshlrev_b32_e32 v3, 25, v2
	v_lshlrev_b16 v2, 8, v2
	s_delay_alu instid0(VALU_DEP_1) | instskip(SKIP_1) | instid1(VALU_DEP_2)
	v_and_or_b32 v7, 0x7f00, v2, 0.5
	v_bfe_i32 v2, v2, 0, 16
	v_add_f32_e32 v7, -0.5, v7
	v_lshrrev_b32_e32 v6, 4, v3
	v_cmp_gt_u32_e32 vcc_lo, 0x8000000, v3
	s_delay_alu instid0(VALU_DEP_2) | instskip(NEXT) | instid1(VALU_DEP_1)
	v_or_b32_e32 v6, 0x70000000, v6
	v_mul_f32_e32 v6, 0x7800000, v6
	s_delay_alu instid0(VALU_DEP_1) | instskip(NEXT) | instid1(VALU_DEP_1)
	v_cndmask_b32_e32 v3, v6, v7, vcc_lo
	v_and_or_b32 v2, 0x80000000, v2, v3
	s_delay_alu instid0(VALU_DEP_1) | instskip(NEXT) | instid1(VALU_DEP_1)
	v_trunc_f32_e32 v2, v2
	v_mul_f32_e64 v3, 0x2f800000, |v2|
	s_delay_alu instid0(VALU_DEP_1) | instskip(NEXT) | instid1(VALU_DEP_1)
	v_floor_f32_e32 v3, v3
	v_fma_f32 v6, 0xcf800000, v3, |v2|
	v_ashrrev_i32_e32 v2, 31, v2
	v_cvt_u32_f32_e32 v7, v3
	s_delay_alu instid0(VALU_DEP_3) | instskip(NEXT) | instid1(VALU_DEP_2)
	v_cvt_u32_f32_e32 v6, v6
	v_dual_mov_b32 v3, v2 :: v_dual_bitop2_b32 v7, v7, v2 bitop3:0x14
	s_delay_alu instid0(VALU_DEP_2) | instskip(NEXT) | instid1(VALU_DEP_1)
	v_xor_b32_e32 v6, v6, v2
	v_sub_nc_u64_e32 v[2:3], v[6:7], v[2:3]
.LBB78_1201:
	s_mov_b32 s40, 0
	s_mov_b32 s39, -1
.LBB78_1202:
	s_and_not1_b32 vcc_lo, exec_lo, s40
	s_cbranch_vccnz .LBB78_1215
; %bb.1203:
	s_cmp_gt_i32 s38, 14
	s_cbranch_scc0 .LBB78_1206
; %bb.1204:
	s_cmp_eq_u32 s38, 15
	s_cbranch_scc0 .LBB78_1209
; %bb.1205:
	s_wait_loadcnt 0x0
	global_load_u16 v2, v[4:5], off
	s_mov_b32 s39, -1
	s_mov_b32 s37, 0
	s_wait_loadcnt 0x0
	v_lshlrev_b32_e32 v2, 16, v2
	s_delay_alu instid0(VALU_DEP_1) | instskip(NEXT) | instid1(VALU_DEP_1)
	v_trunc_f32_e32 v2, v2
	v_mul_f32_e64 v3, 0x2f800000, |v2|
	s_delay_alu instid0(VALU_DEP_1) | instskip(NEXT) | instid1(VALU_DEP_1)
	v_floor_f32_e32 v3, v3
	v_fma_f32 v6, 0xcf800000, v3, |v2|
	v_ashrrev_i32_e32 v2, 31, v2
	v_cvt_u32_f32_e32 v7, v3
	s_delay_alu instid0(VALU_DEP_3) | instskip(NEXT) | instid1(VALU_DEP_2)
	v_cvt_u32_f32_e32 v6, v6
	v_dual_mov_b32 v3, v2 :: v_dual_bitop2_b32 v7, v7, v2 bitop3:0x14
	s_delay_alu instid0(VALU_DEP_2) | instskip(NEXT) | instid1(VALU_DEP_1)
	v_xor_b32_e32 v6, v6, v2
	v_sub_nc_u64_e32 v[2:3], v[6:7], v[2:3]
	s_branch .LBB78_1210
.LBB78_1206:
	s_mov_b32 s40, -1
                                        ; implicit-def: $vgpr2_vgpr3
	s_branch .LBB78_1211
.LBB78_1207:
	s_and_not1_saveexec_b32 s39, s39
	s_cbranch_execz .LBB78_1188
.LBB78_1208:
	v_cmp_ne_u16_e32 vcc_lo, 0, v6
	s_and_not1_b32 s40, s40, exec_lo
	s_and_b32 s41, vcc_lo, exec_lo
	s_delay_alu instid0(SALU_CYCLE_1)
	s_or_b32 s40, s40, s41
	s_or_b32 exec_lo, exec_lo, s39
	v_mov_b64_e32 v[2:3], 0
	s_and_saveexec_b32 s39, s40
	s_cbranch_execnz .LBB78_1189
	s_branch .LBB78_1190
.LBB78_1209:
	s_mov_b32 s37, -1
                                        ; implicit-def: $vgpr2_vgpr3
.LBB78_1210:
	s_mov_b32 s40, 0
.LBB78_1211:
	s_delay_alu instid0(SALU_CYCLE_1)
	s_and_b32 vcc_lo, exec_lo, s40
	s_cbranch_vccz .LBB78_1215
; %bb.1212:
	s_cmp_eq_u32 s38, 11
	s_cbranch_scc0 .LBB78_1214
; %bb.1213:
	s_wait_loadcnt 0x0
	global_load_u8 v2, v[4:5], off
	s_mov_b32 s37, 0
	s_mov_b32 s39, -1
	v_mov_b32_e32 v3, s37
	s_wait_loadcnt 0x0
	v_cmp_ne_u16_e32 vcc_lo, 0, v2
	v_cndmask_b32_e64 v2, 0, 1, vcc_lo
	s_branch .LBB78_1215
.LBB78_1214:
	s_mov_b32 s37, -1
                                        ; implicit-def: $vgpr2_vgpr3
.LBB78_1215:
	s_mov_b32 s38, 0
.LBB78_1216:
	s_delay_alu instid0(SALU_CYCLE_1)
	s_and_b32 vcc_lo, exec_lo, s38
	s_cbranch_vccz .LBB78_1265
; %bb.1217:
	s_and_b32 s0, 0xffff, s0
	s_delay_alu instid0(SALU_CYCLE_1)
	s_cmp_lt_i32 s0, 5
	s_cbranch_scc1 .LBB78_1222
; %bb.1218:
	s_cmp_lt_i32 s0, 8
	s_cbranch_scc1 .LBB78_1223
; %bb.1219:
	;; [unrolled: 3-line block ×3, first 2 shown]
	s_cmp_gt_i32 s0, 9
	s_cbranch_scc0 .LBB78_1225
; %bb.1221:
	s_wait_loadcnt 0x0
	global_load_b64 v[2:3], v[4:5], off
	s_mov_b32 s38, 0
	s_wait_loadcnt 0x0
	v_trunc_f64_e32 v[2:3], v[2:3]
	s_delay_alu instid0(VALU_DEP_1) | instskip(NEXT) | instid1(VALU_DEP_1)
	v_ldexp_f64 v[6:7], v[2:3], 0xffffffe0
	v_floor_f64_e32 v[6:7], v[6:7]
	s_delay_alu instid0(VALU_DEP_1) | instskip(SKIP_1) | instid1(VALU_DEP_2)
	v_fmamk_f64 v[8:9], v[6:7], 0xc1f00000, v[2:3]
	v_cvt_i32_f64_e32 v3, v[6:7]
	v_cvt_u32_f64_e32 v2, v[8:9]
	s_branch .LBB78_1226
.LBB78_1222:
	s_mov_b32 s38, -1
                                        ; implicit-def: $vgpr2_vgpr3
	s_branch .LBB78_1244
.LBB78_1223:
	s_mov_b32 s38, -1
                                        ; implicit-def: $vgpr2_vgpr3
	s_branch .LBB78_1232
.LBB78_1224:
	s_mov_b32 s38, -1
                                        ; implicit-def: $vgpr2_vgpr3
	s_branch .LBB78_1229
.LBB78_1225:
	s_mov_b32 s38, -1
                                        ; implicit-def: $vgpr2_vgpr3
.LBB78_1226:
	s_delay_alu instid0(SALU_CYCLE_1)
	s_and_not1_b32 vcc_lo, exec_lo, s38
	s_cbranch_vccnz .LBB78_1228
; %bb.1227:
	s_wait_loadcnt 0x0
	global_load_b32 v2, v[4:5], off
	s_wait_loadcnt 0x0
	v_trunc_f32_e32 v2, v2
	s_delay_alu instid0(VALU_DEP_1) | instskip(NEXT) | instid1(VALU_DEP_1)
	v_mul_f32_e64 v3, 0x2f800000, |v2|
	v_floor_f32_e32 v3, v3
	s_delay_alu instid0(VALU_DEP_1) | instskip(SKIP_2) | instid1(VALU_DEP_3)
	v_fma_f32 v6, 0xcf800000, v3, |v2|
	v_ashrrev_i32_e32 v2, 31, v2
	v_cvt_u32_f32_e32 v7, v3
	v_cvt_u32_f32_e32 v6, v6
	s_delay_alu instid0(VALU_DEP_2) | instskip(NEXT) | instid1(VALU_DEP_2)
	v_dual_mov_b32 v3, v2 :: v_dual_bitop2_b32 v7, v7, v2 bitop3:0x14
	v_xor_b32_e32 v6, v6, v2
	s_delay_alu instid0(VALU_DEP_1)
	v_sub_nc_u64_e32 v[2:3], v[6:7], v[2:3]
.LBB78_1228:
	s_mov_b32 s38, 0
.LBB78_1229:
	s_delay_alu instid0(SALU_CYCLE_1)
	s_and_not1_b32 vcc_lo, exec_lo, s38
	s_cbranch_vccnz .LBB78_1231
; %bb.1230:
	s_wait_loadcnt 0x0
	global_load_b32 v2, v[4:5], off
	s_wait_loadcnt 0x0
	v_cvt_f32_f16_e32 v2, v2
	s_delay_alu instid0(VALU_DEP_1) | instskip(NEXT) | instid1(VALU_DEP_1)
	v_cvt_i32_f32_e32 v2, v2
	v_ashrrev_i32_e32 v3, 31, v2
.LBB78_1231:
	s_mov_b32 s38, 0
.LBB78_1232:
	s_delay_alu instid0(SALU_CYCLE_1)
	s_and_not1_b32 vcc_lo, exec_lo, s38
	s_cbranch_vccnz .LBB78_1243
; %bb.1233:
	s_cmp_lt_i32 s0, 6
	s_cbranch_scc1 .LBB78_1236
; %bb.1234:
	s_cmp_gt_i32 s0, 6
	s_cbranch_scc0 .LBB78_1237
; %bb.1235:
	s_wait_loadcnt 0x0
	global_load_b64 v[2:3], v[4:5], off
	s_mov_b32 s38, 0
	s_wait_loadcnt 0x0
	v_trunc_f64_e32 v[2:3], v[2:3]
	s_delay_alu instid0(VALU_DEP_1) | instskip(NEXT) | instid1(VALU_DEP_1)
	v_ldexp_f64 v[6:7], v[2:3], 0xffffffe0
	v_floor_f64_e32 v[6:7], v[6:7]
	s_delay_alu instid0(VALU_DEP_1) | instskip(SKIP_1) | instid1(VALU_DEP_2)
	v_fmamk_f64 v[8:9], v[6:7], 0xc1f00000, v[2:3]
	v_cvt_i32_f64_e32 v3, v[6:7]
	v_cvt_u32_f64_e32 v2, v[8:9]
	s_branch .LBB78_1238
.LBB78_1236:
	s_mov_b32 s38, -1
                                        ; implicit-def: $vgpr2_vgpr3
	s_branch .LBB78_1241
.LBB78_1237:
	s_mov_b32 s38, -1
                                        ; implicit-def: $vgpr2_vgpr3
.LBB78_1238:
	s_delay_alu instid0(SALU_CYCLE_1)
	s_and_not1_b32 vcc_lo, exec_lo, s38
	s_cbranch_vccnz .LBB78_1240
; %bb.1239:
	s_wait_loadcnt 0x0
	global_load_b32 v2, v[4:5], off
	s_wait_loadcnt 0x0
	v_trunc_f32_e32 v2, v2
	s_delay_alu instid0(VALU_DEP_1) | instskip(NEXT) | instid1(VALU_DEP_1)
	v_mul_f32_e64 v3, 0x2f800000, |v2|
	v_floor_f32_e32 v3, v3
	s_delay_alu instid0(VALU_DEP_1) | instskip(SKIP_2) | instid1(VALU_DEP_3)
	v_fma_f32 v6, 0xcf800000, v3, |v2|
	v_ashrrev_i32_e32 v2, 31, v2
	v_cvt_u32_f32_e32 v7, v3
	v_cvt_u32_f32_e32 v6, v6
	s_delay_alu instid0(VALU_DEP_2) | instskip(NEXT) | instid1(VALU_DEP_2)
	v_dual_mov_b32 v3, v2 :: v_dual_bitop2_b32 v7, v7, v2 bitop3:0x14
	v_xor_b32_e32 v6, v6, v2
	s_delay_alu instid0(VALU_DEP_1)
	v_sub_nc_u64_e32 v[2:3], v[6:7], v[2:3]
.LBB78_1240:
	s_mov_b32 s38, 0
.LBB78_1241:
	s_delay_alu instid0(SALU_CYCLE_1)
	s_and_not1_b32 vcc_lo, exec_lo, s38
	s_cbranch_vccnz .LBB78_1243
; %bb.1242:
	s_wait_loadcnt 0x0
	global_load_u16 v2, v[4:5], off
	s_wait_loadcnt 0x0
	v_cvt_f32_f16_e32 v2, v2
	s_delay_alu instid0(VALU_DEP_1) | instskip(NEXT) | instid1(VALU_DEP_1)
	v_cvt_i32_f32_e32 v2, v2
	v_ashrrev_i32_e32 v3, 31, v2
.LBB78_1243:
	s_mov_b32 s38, 0
.LBB78_1244:
	s_delay_alu instid0(SALU_CYCLE_1)
	s_and_not1_b32 vcc_lo, exec_lo, s38
	s_cbranch_vccnz .LBB78_1264
; %bb.1245:
	s_cmp_lt_i32 s0, 2
	s_cbranch_scc1 .LBB78_1249
; %bb.1246:
	s_cmp_lt_i32 s0, 3
	s_cbranch_scc1 .LBB78_1250
; %bb.1247:
	s_cmp_gt_i32 s0, 3
	s_cbranch_scc0 .LBB78_1251
; %bb.1248:
	s_wait_loadcnt 0x0
	global_load_b64 v[2:3], v[4:5], off
	s_mov_b32 s38, 0
	s_branch .LBB78_1252
.LBB78_1249:
	s_mov_b32 s38, -1
                                        ; implicit-def: $vgpr2_vgpr3
	s_branch .LBB78_1258
.LBB78_1250:
	s_mov_b32 s38, -1
                                        ; implicit-def: $vgpr2_vgpr3
	s_branch .LBB78_1255
.LBB78_1251:
	s_mov_b32 s38, -1
                                        ; implicit-def: $vgpr2_vgpr3
.LBB78_1252:
	s_delay_alu instid0(SALU_CYCLE_1)
	s_and_not1_b32 vcc_lo, exec_lo, s38
	s_cbranch_vccnz .LBB78_1254
; %bb.1253:
	s_wait_loadcnt 0x0
	global_load_b32 v2, v[4:5], off
	s_wait_loadcnt 0x0
	v_ashrrev_i32_e32 v3, 31, v2
.LBB78_1254:
	s_mov_b32 s38, 0
.LBB78_1255:
	s_delay_alu instid0(SALU_CYCLE_1)
	s_and_not1_b32 vcc_lo, exec_lo, s38
	s_cbranch_vccnz .LBB78_1257
; %bb.1256:
	s_wait_loadcnt 0x0
	global_load_u16 v2, v[4:5], off
	s_wait_loadcnt 0x0
	v_bfe_i32 v2, v2, 0, 16
	s_delay_alu instid0(VALU_DEP_1)
	v_ashrrev_i32_e32 v3, 31, v2
.LBB78_1257:
	s_mov_b32 s38, 0
.LBB78_1258:
	s_delay_alu instid0(SALU_CYCLE_1)
	s_and_not1_b32 vcc_lo, exec_lo, s38
	s_cbranch_vccnz .LBB78_1264
; %bb.1259:
	s_cmp_gt_i32 s0, 0
	s_mov_b32 s0, 0
	s_cbranch_scc0 .LBB78_1261
; %bb.1260:
	s_wait_loadcnt 0x0
	global_load_i8 v2, v[4:5], off
	s_wait_loadcnt 0x0
	v_bfe_i32 v2, v2, 0, 16
	s_delay_alu instid0(VALU_DEP_1)
	v_ashrrev_i32_e32 v3, 31, v2
	s_branch .LBB78_1262
.LBB78_1261:
	s_mov_b32 s0, -1
                                        ; implicit-def: $vgpr2_vgpr3
.LBB78_1262:
	s_delay_alu instid0(SALU_CYCLE_1)
	s_and_not1_b32 vcc_lo, exec_lo, s0
	s_cbranch_vccnz .LBB78_1264
; %bb.1263:
	s_wait_loadcnt 0x0
	global_load_u8 v2, v[4:5], off
	s_mov_b32 s0, 0
	s_delay_alu instid0(SALU_CYCLE_1)
	v_mov_b32_e32 v3, s0
	s_wait_loadcnt 0x0
	v_and_b32_e32 v2, 0xffff, v2
.LBB78_1264:
	s_mov_b32 s39, -1
.LBB78_1265:
	s_delay_alu instid0(SALU_CYCLE_1)
	s_and_not1_b32 vcc_lo, exec_lo, s39
	s_cbranch_vccnz .LBB78_1273
; %bb.1266:
	s_wait_xcnt 0x0
	v_mul_lo_u32 v4, v26, s15
	s_and_b32 s0, 0xffff, s1
	s_delay_alu instid0(SALU_CYCLE_1) | instskip(NEXT) | instid1(VALU_DEP_1)
	s_cmp_lt_i32 s0, 11
	v_ashrrev_i32_e32 v5, 31, v4
	s_delay_alu instid0(VALU_DEP_1)
	v_add_nc_u64_e32 v[4:5], s[10:11], v[4:5]
	s_cbranch_scc1 .LBB78_1274
; %bb.1267:
	s_cmp_gt_i32 s0, 25
	s_cbranch_scc0 .LBB78_1275
; %bb.1268:
	s_cmp_gt_i32 s0, 28
	s_cbranch_scc0 .LBB78_1276
	;; [unrolled: 3-line block ×4, first 2 shown]
; %bb.1271:
	s_cmp_eq_u32 s0, 46
	s_mov_b32 s40, 0
	s_cbranch_scc0 .LBB78_1281
; %bb.1272:
	global_load_b32 v6, v[4:5], off
	s_mov_b32 s39, -1
	s_mov_b32 s38, 0
	s_wait_loadcnt 0x0
	v_lshlrev_b32_e32 v6, 16, v6
	s_delay_alu instid0(VALU_DEP_1) | instskip(NEXT) | instid1(VALU_DEP_1)
	v_trunc_f32_e32 v6, v6
	v_mul_f32_e64 v7, 0x2f800000, |v6|
	s_delay_alu instid0(VALU_DEP_1) | instskip(NEXT) | instid1(VALU_DEP_1)
	v_floor_f32_e32 v7, v7
	v_fma_f32 v8, 0xcf800000, v7, |v6|
	v_ashrrev_i32_e32 v6, 31, v6
	v_cvt_u32_f32_e32 v9, v7
	s_delay_alu instid0(VALU_DEP_3) | instskip(NEXT) | instid1(VALU_DEP_2)
	v_cvt_u32_f32_e32 v8, v8
	v_dual_mov_b32 v7, v6 :: v_dual_bitop2_b32 v9, v9, v6 bitop3:0x14
	s_delay_alu instid0(VALU_DEP_2) | instskip(NEXT) | instid1(VALU_DEP_1)
	v_xor_b32_e32 v8, v8, v6
	v_sub_nc_u64_e32 v[6:7], v[8:9], v[6:7]
	s_branch .LBB78_1283
.LBB78_1273:
	s_mov_b32 s40, 0
	s_mov_b32 s0, s30
	;; [unrolled: 1-line block ×3, first 2 shown]
	s_branch .LBB78_1518
.LBB78_1274:
	s_mov_b32 s40, -1
	s_mov_b32 s39, 0
	s_mov_b32 s38, s31
                                        ; implicit-def: $vgpr6_vgpr7
	s_branch .LBB78_1344
.LBB78_1275:
	s_mov_b32 s40, -1
	s_mov_b32 s39, 0
	s_mov_b32 s38, s31
                                        ; implicit-def: $vgpr6_vgpr7
	s_branch .LBB78_1310
.LBB78_1276:
	s_mov_b32 s40, -1
	s_mov_b32 s39, 0
	s_mov_b32 s38, s31
                                        ; implicit-def: $vgpr6_vgpr7
	s_branch .LBB78_1293
.LBB78_1277:
	s_mov_b32 s40, -1
	s_mov_b32 s39, 0
	s_mov_b32 s38, s31
                                        ; implicit-def: $vgpr6_vgpr7
	s_branch .LBB78_1288
.LBB78_1278:
	s_mov_b32 s40, -1
	s_mov_b32 s39, 0
	s_mov_b32 s38, s31
	s_branch .LBB78_1282
.LBB78_1279:
	s_and_not1_saveexec_b32 s38, s38
	s_cbranch_execz .LBB78_932
.LBB78_1280:
	v_add_f32_e64 v5, 0x42800000, |v4|
	s_and_not1_b32 s37, s37, exec_lo
	s_delay_alu instid0(VALU_DEP_1) | instskip(NEXT) | instid1(VALU_DEP_1)
	v_and_b32_e32 v5, 0xff, v5
	v_cmp_ne_u32_e32 vcc_lo, 0, v5
	s_and_b32 s39, vcc_lo, exec_lo
	s_delay_alu instid0(SALU_CYCLE_1)
	s_or_b32 s37, s37, s39
	s_or_b32 exec_lo, exec_lo, s38
	v_mov_b32_e32 v6, 0
	s_and_saveexec_b32 s38, s37
	s_cbranch_execnz .LBB78_933
	s_branch .LBB78_934
.LBB78_1281:
	s_mov_b32 s38, -1
	s_mov_b32 s39, 0
.LBB78_1282:
                                        ; implicit-def: $vgpr6_vgpr7
.LBB78_1283:
	s_and_b32 vcc_lo, exec_lo, s40
	s_cbranch_vccz .LBB78_1287
; %bb.1284:
	s_cmp_eq_u32 s0, 44
	s_cbranch_scc0 .LBB78_1286
; %bb.1285:
	global_load_u8 v10, v[4:5], off
	s_mov_b32 s38, 0
	s_mov_b32 s39, -1
	s_wait_loadcnt 0x0
	v_cmp_ne_u32_e32 vcc_lo, 0, v10
	v_lshlrev_b32_e32 v6, 23, v10
	s_delay_alu instid0(VALU_DEP_1) | instskip(NEXT) | instid1(VALU_DEP_1)
	v_trunc_f32_e32 v6, v6
	v_mul_f32_e64 v7, 0x2f800000, |v6|
	s_delay_alu instid0(VALU_DEP_1) | instskip(NEXT) | instid1(VALU_DEP_1)
	v_floor_f32_e32 v7, v7
	v_fma_f32 v8, 0xcf800000, v7, |v6|
	v_ashrrev_i32_e32 v6, 31, v6
	v_cvt_u32_f32_e32 v9, v7
	s_delay_alu instid0(VALU_DEP_3) | instskip(NEXT) | instid1(VALU_DEP_2)
	v_cvt_u32_f32_e32 v8, v8
	v_dual_mov_b32 v7, v6 :: v_dual_bitop2_b32 v9, v9, v6 bitop3:0x14
	s_delay_alu instid0(VALU_DEP_2) | instskip(NEXT) | instid1(VALU_DEP_1)
	v_xor_b32_e32 v8, v8, v6
	v_sub_nc_u64_e32 v[6:7], v[8:9], v[6:7]
	s_delay_alu instid0(VALU_DEP_1)
	v_dual_cndmask_b32 v7, 0, v7 :: v_dual_cndmask_b32 v6, 0, v6
	s_branch .LBB78_1287
.LBB78_1286:
	s_mov_b32 s38, -1
                                        ; implicit-def: $vgpr6_vgpr7
.LBB78_1287:
	s_mov_b32 s40, 0
.LBB78_1288:
	s_delay_alu instid0(SALU_CYCLE_1)
	s_and_b32 vcc_lo, exec_lo, s40
	s_cbranch_vccz .LBB78_1292
; %bb.1289:
	s_cmp_eq_u32 s0, 29
	s_cbranch_scc0 .LBB78_1291
; %bb.1290:
	global_load_b64 v[6:7], v[4:5], off
	s_mov_b32 s39, -1
	s_mov_b32 s38, 0
	s_branch .LBB78_1292
.LBB78_1291:
	s_mov_b32 s38, -1
                                        ; implicit-def: $vgpr6_vgpr7
.LBB78_1292:
	s_mov_b32 s40, 0
.LBB78_1293:
	s_delay_alu instid0(SALU_CYCLE_1)
	s_and_b32 vcc_lo, exec_lo, s40
	s_cbranch_vccz .LBB78_1309
; %bb.1294:
	s_cmp_lt_i32 s0, 27
	s_cbranch_scc1 .LBB78_1297
; %bb.1295:
	s_cmp_gt_i32 s0, 27
	s_cbranch_scc0 .LBB78_1298
; %bb.1296:
	s_wait_loadcnt 0x0
	global_load_b32 v6, v[4:5], off
	v_mov_b32_e32 v7, 0
	s_mov_b32 s39, 0
	s_branch .LBB78_1299
.LBB78_1297:
	s_mov_b32 s39, -1
                                        ; implicit-def: $vgpr6_vgpr7
	s_branch .LBB78_1302
.LBB78_1298:
	s_mov_b32 s39, -1
                                        ; implicit-def: $vgpr6_vgpr7
.LBB78_1299:
	s_delay_alu instid0(SALU_CYCLE_1)
	s_and_not1_b32 vcc_lo, exec_lo, s39
	s_cbranch_vccnz .LBB78_1301
; %bb.1300:
	s_wait_loadcnt 0x0
	global_load_u16 v6, v[4:5], off
	s_mov_b32 s39, 0
	s_delay_alu instid0(SALU_CYCLE_1)
	v_mov_b32_e32 v7, s39
	s_wait_loadcnt 0x0
	v_and_b32_e32 v6, 0xffff, v6
.LBB78_1301:
	s_mov_b32 s39, 0
.LBB78_1302:
	s_delay_alu instid0(SALU_CYCLE_1)
	s_and_not1_b32 vcc_lo, exec_lo, s39
	s_cbranch_vccnz .LBB78_1308
; %bb.1303:
	global_load_u8 v8, v[4:5], off
	s_mov_b32 s40, 0
	s_mov_b32 s39, exec_lo
	s_wait_loadcnt 0x0
	v_cmpx_lt_i16_e32 0x7f, v8
	s_xor_b32 s39, exec_lo, s39
	s_cbranch_execz .LBB78_1320
; %bb.1304:
	v_cmp_ne_u16_e32 vcc_lo, 0x80, v8
	s_and_b32 s40, vcc_lo, exec_lo
	s_and_not1_saveexec_b32 s39, s39
	s_cbranch_execnz .LBB78_1321
.LBB78_1305:
	s_or_b32 exec_lo, exec_lo, s39
	v_mov_b64_e32 v[6:7], 0
	s_and_saveexec_b32 s39, s40
	s_cbranch_execz .LBB78_1307
.LBB78_1306:
	v_and_b32_e32 v6, 0xffff, v8
	s_delay_alu instid0(VALU_DEP_1) | instskip(SKIP_1) | instid1(VALU_DEP_2)
	v_and_b32_e32 v7, 7, v6
	v_bfe_u32 v11, v6, 3, 4
	v_clz_i32_u32_e32 v9, v7
	s_delay_alu instid0(VALU_DEP_2) | instskip(NEXT) | instid1(VALU_DEP_2)
	v_cmp_eq_u32_e32 vcc_lo, 0, v11
	v_min_u32_e32 v9, 32, v9
	s_delay_alu instid0(VALU_DEP_1) | instskip(NEXT) | instid1(VALU_DEP_1)
	v_subrev_nc_u32_e32 v10, 28, v9
	v_dual_lshlrev_b32 v6, v10, v6 :: v_dual_sub_nc_u32 v9, 29, v9
	s_delay_alu instid0(VALU_DEP_1) | instskip(NEXT) | instid1(VALU_DEP_2)
	v_dual_lshlrev_b32 v8, 24, v8 :: v_dual_bitop2_b32 v6, 7, v6 bitop3:0x40
	v_cndmask_b32_e32 v9, v11, v9, vcc_lo
	s_delay_alu instid0(VALU_DEP_2) | instskip(NEXT) | instid1(VALU_DEP_3)
	v_cndmask_b32_e32 v6, v7, v6, vcc_lo
	v_and_b32_e32 v7, 0x80000000, v8
	s_delay_alu instid0(VALU_DEP_3) | instskip(NEXT) | instid1(VALU_DEP_3)
	v_lshl_add_u32 v8, v9, 23, 0x3b800000
	v_lshlrev_b32_e32 v6, 20, v6
	s_delay_alu instid0(VALU_DEP_1) | instskip(NEXT) | instid1(VALU_DEP_1)
	v_or3_b32 v6, v7, v8, v6
	v_trunc_f32_e32 v6, v6
	s_delay_alu instid0(VALU_DEP_1) | instskip(NEXT) | instid1(VALU_DEP_1)
	v_mul_f32_e64 v7, 0x2f800000, |v6|
	v_floor_f32_e32 v7, v7
	s_delay_alu instid0(VALU_DEP_1) | instskip(SKIP_2) | instid1(VALU_DEP_3)
	v_fma_f32 v8, 0xcf800000, v7, |v6|
	v_ashrrev_i32_e32 v6, 31, v6
	v_cvt_u32_f32_e32 v9, v7
	v_cvt_u32_f32_e32 v8, v8
	s_delay_alu instid0(VALU_DEP_2) | instskip(NEXT) | instid1(VALU_DEP_2)
	v_dual_mov_b32 v7, v6 :: v_dual_bitop2_b32 v9, v9, v6 bitop3:0x14
	v_xor_b32_e32 v8, v8, v6
	s_delay_alu instid0(VALU_DEP_1)
	v_sub_nc_u64_e32 v[6:7], v[8:9], v[6:7]
.LBB78_1307:
	s_or_b32 exec_lo, exec_lo, s39
.LBB78_1308:
	s_mov_b32 s39, -1
.LBB78_1309:
	s_mov_b32 s40, 0
.LBB78_1310:
	s_delay_alu instid0(SALU_CYCLE_1)
	s_and_b32 vcc_lo, exec_lo, s40
	s_cbranch_vccz .LBB78_1343
; %bb.1311:
	s_cmp_gt_i32 s0, 22
	s_cbranch_scc0 .LBB78_1319
; %bb.1312:
	s_cmp_lt_i32 s0, 24
	s_cbranch_scc1 .LBB78_1322
; %bb.1313:
	s_cmp_gt_i32 s0, 24
	s_cbranch_scc0 .LBB78_1323
; %bb.1314:
	global_load_u8 v8, v[4:5], off
	s_mov_b32 s40, 0
	s_mov_b32 s39, exec_lo
	s_wait_loadcnt 0x0
	v_cmpx_lt_i16_e32 0x7f, v8
	s_xor_b32 s39, exec_lo, s39
	s_cbranch_execz .LBB78_1335
; %bb.1315:
	v_cmp_ne_u16_e32 vcc_lo, 0x80, v8
	s_and_b32 s40, vcc_lo, exec_lo
	s_and_not1_saveexec_b32 s39, s39
	s_cbranch_execnz .LBB78_1336
.LBB78_1316:
	s_or_b32 exec_lo, exec_lo, s39
	v_mov_b64_e32 v[6:7], 0
	s_and_saveexec_b32 s39, s40
	s_cbranch_execz .LBB78_1318
.LBB78_1317:
	v_and_b32_e32 v6, 0xffff, v8
	s_delay_alu instid0(VALU_DEP_1) | instskip(SKIP_1) | instid1(VALU_DEP_2)
	v_and_b32_e32 v7, 3, v6
	v_bfe_u32 v11, v6, 2, 5
	v_clz_i32_u32_e32 v9, v7
	s_delay_alu instid0(VALU_DEP_2) | instskip(NEXT) | instid1(VALU_DEP_2)
	v_cmp_eq_u32_e32 vcc_lo, 0, v11
	v_min_u32_e32 v9, 32, v9
	s_delay_alu instid0(VALU_DEP_1) | instskip(NEXT) | instid1(VALU_DEP_1)
	v_subrev_nc_u32_e32 v10, 29, v9
	v_dual_lshlrev_b32 v6, v10, v6 :: v_dual_sub_nc_u32 v9, 30, v9
	s_delay_alu instid0(VALU_DEP_1) | instskip(NEXT) | instid1(VALU_DEP_2)
	v_dual_lshlrev_b32 v8, 24, v8 :: v_dual_bitop2_b32 v6, 3, v6 bitop3:0x40
	v_cndmask_b32_e32 v9, v11, v9, vcc_lo
	s_delay_alu instid0(VALU_DEP_2) | instskip(NEXT) | instid1(VALU_DEP_3)
	v_cndmask_b32_e32 v6, v7, v6, vcc_lo
	v_and_b32_e32 v7, 0x80000000, v8
	s_delay_alu instid0(VALU_DEP_3) | instskip(NEXT) | instid1(VALU_DEP_3)
	v_lshl_add_u32 v8, v9, 23, 0x37800000
	v_lshlrev_b32_e32 v6, 21, v6
	s_delay_alu instid0(VALU_DEP_1) | instskip(NEXT) | instid1(VALU_DEP_1)
	v_or3_b32 v6, v7, v8, v6
	v_trunc_f32_e32 v6, v6
	s_delay_alu instid0(VALU_DEP_1) | instskip(NEXT) | instid1(VALU_DEP_1)
	v_mul_f32_e64 v7, 0x2f800000, |v6|
	v_floor_f32_e32 v7, v7
	s_delay_alu instid0(VALU_DEP_1) | instskip(SKIP_2) | instid1(VALU_DEP_3)
	v_fma_f32 v8, 0xcf800000, v7, |v6|
	v_ashrrev_i32_e32 v6, 31, v6
	v_cvt_u32_f32_e32 v9, v7
	v_cvt_u32_f32_e32 v8, v8
	s_delay_alu instid0(VALU_DEP_2) | instskip(NEXT) | instid1(VALU_DEP_2)
	v_dual_mov_b32 v7, v6 :: v_dual_bitop2_b32 v9, v9, v6 bitop3:0x14
	v_xor_b32_e32 v8, v8, v6
	s_delay_alu instid0(VALU_DEP_1)
	v_sub_nc_u64_e32 v[6:7], v[8:9], v[6:7]
.LBB78_1318:
	s_or_b32 exec_lo, exec_lo, s39
	s_mov_b32 s39, 0
	s_branch .LBB78_1324
.LBB78_1319:
	s_mov_b32 s40, -1
                                        ; implicit-def: $vgpr6_vgpr7
	s_branch .LBB78_1330
.LBB78_1320:
	s_and_not1_saveexec_b32 s39, s39
	s_cbranch_execz .LBB78_1305
.LBB78_1321:
	v_cmp_ne_u16_e32 vcc_lo, 0, v8
	s_and_not1_b32 s40, s40, exec_lo
	s_and_b32 s41, vcc_lo, exec_lo
	s_delay_alu instid0(SALU_CYCLE_1)
	s_or_b32 s40, s40, s41
	s_or_b32 exec_lo, exec_lo, s39
	v_mov_b64_e32 v[6:7], 0
	s_and_saveexec_b32 s39, s40
	s_cbranch_execnz .LBB78_1306
	s_branch .LBB78_1307
.LBB78_1322:
	s_mov_b32 s39, -1
                                        ; implicit-def: $vgpr6_vgpr7
	s_branch .LBB78_1327
.LBB78_1323:
	s_mov_b32 s39, -1
                                        ; implicit-def: $vgpr6_vgpr7
.LBB78_1324:
	s_delay_alu instid0(SALU_CYCLE_1)
	s_and_b32 vcc_lo, exec_lo, s39
	s_cbranch_vccz .LBB78_1326
; %bb.1325:
	s_wait_loadcnt 0x0
	global_load_u8 v6, v[4:5], off
	s_wait_loadcnt 0x0
	v_lshlrev_b32_e32 v6, 24, v6
	s_delay_alu instid0(VALU_DEP_1) | instskip(NEXT) | instid1(VALU_DEP_1)
	v_and_b32_e32 v7, 0x7f000000, v6
	v_clz_i32_u32_e32 v8, v7
	v_cmp_ne_u32_e32 vcc_lo, 0, v7
	v_add_nc_u32_e32 v10, 0x1000000, v7
	s_delay_alu instid0(VALU_DEP_3) | instskip(NEXT) | instid1(VALU_DEP_1)
	v_min_u32_e32 v8, 32, v8
	v_sub_nc_u32_e64 v8, v8, 4 clamp
	s_delay_alu instid0(VALU_DEP_1) | instskip(NEXT) | instid1(VALU_DEP_1)
	v_dual_lshlrev_b32 v9, v8, v7 :: v_dual_lshlrev_b32 v8, 23, v8
	v_lshrrev_b32_e32 v9, 4, v9
	s_delay_alu instid0(VALU_DEP_1) | instskip(NEXT) | instid1(VALU_DEP_1)
	v_dual_sub_nc_u32 v8, v9, v8 :: v_dual_ashrrev_i32 v9, 8, v10
	v_add_nc_u32_e32 v8, 0x3c000000, v8
	s_delay_alu instid0(VALU_DEP_1) | instskip(NEXT) | instid1(VALU_DEP_1)
	v_and_or_b32 v8, 0x7f800000, v9, v8
	v_cndmask_b32_e32 v7, 0, v8, vcc_lo
	s_delay_alu instid0(VALU_DEP_1) | instskip(NEXT) | instid1(VALU_DEP_1)
	v_and_or_b32 v6, 0x80000000, v6, v7
	v_trunc_f32_e32 v6, v6
	s_delay_alu instid0(VALU_DEP_1) | instskip(NEXT) | instid1(VALU_DEP_1)
	v_mul_f32_e64 v7, 0x2f800000, |v6|
	v_floor_f32_e32 v7, v7
	s_delay_alu instid0(VALU_DEP_1) | instskip(SKIP_2) | instid1(VALU_DEP_3)
	v_fma_f32 v8, 0xcf800000, v7, |v6|
	v_ashrrev_i32_e32 v6, 31, v6
	v_cvt_u32_f32_e32 v9, v7
	v_cvt_u32_f32_e32 v8, v8
	s_delay_alu instid0(VALU_DEP_2) | instskip(NEXT) | instid1(VALU_DEP_2)
	v_dual_mov_b32 v7, v6 :: v_dual_bitop2_b32 v9, v9, v6 bitop3:0x14
	v_xor_b32_e32 v8, v8, v6
	s_delay_alu instid0(VALU_DEP_1)
	v_sub_nc_u64_e32 v[6:7], v[8:9], v[6:7]
.LBB78_1326:
	s_mov_b32 s39, 0
.LBB78_1327:
	s_delay_alu instid0(SALU_CYCLE_1)
	s_and_not1_b32 vcc_lo, exec_lo, s39
	s_cbranch_vccnz .LBB78_1329
; %bb.1328:
	s_wait_loadcnt 0x0
	global_load_u8 v6, v[4:5], off
	s_wait_loadcnt 0x0
	v_lshlrev_b32_e32 v7, 25, v6
	v_lshlrev_b16 v6, 8, v6
	s_delay_alu instid0(VALU_DEP_1) | instskip(SKIP_1) | instid1(VALU_DEP_2)
	v_and_or_b32 v9, 0x7f00, v6, 0.5
	v_bfe_i32 v6, v6, 0, 16
	v_dual_add_f32 v9, -0.5, v9 :: v_dual_lshrrev_b32 v8, 4, v7
	v_cmp_gt_u32_e32 vcc_lo, 0x8000000, v7
	s_delay_alu instid0(VALU_DEP_2) | instskip(NEXT) | instid1(VALU_DEP_1)
	v_or_b32_e32 v8, 0x70000000, v8
	v_mul_f32_e32 v8, 0x7800000, v8
	s_delay_alu instid0(VALU_DEP_1) | instskip(NEXT) | instid1(VALU_DEP_1)
	v_cndmask_b32_e32 v7, v8, v9, vcc_lo
	v_and_or_b32 v6, 0x80000000, v6, v7
	s_delay_alu instid0(VALU_DEP_1) | instskip(NEXT) | instid1(VALU_DEP_1)
	v_trunc_f32_e32 v6, v6
	v_mul_f32_e64 v7, 0x2f800000, |v6|
	s_delay_alu instid0(VALU_DEP_1) | instskip(NEXT) | instid1(VALU_DEP_1)
	v_floor_f32_e32 v7, v7
	v_fma_f32 v8, 0xcf800000, v7, |v6|
	v_ashrrev_i32_e32 v6, 31, v6
	v_cvt_u32_f32_e32 v9, v7
	s_delay_alu instid0(VALU_DEP_3) | instskip(NEXT) | instid1(VALU_DEP_2)
	v_cvt_u32_f32_e32 v8, v8
	v_dual_mov_b32 v7, v6 :: v_dual_bitop2_b32 v9, v9, v6 bitop3:0x14
	s_delay_alu instid0(VALU_DEP_2) | instskip(NEXT) | instid1(VALU_DEP_1)
	v_xor_b32_e32 v8, v8, v6
	v_sub_nc_u64_e32 v[6:7], v[8:9], v[6:7]
.LBB78_1329:
	s_mov_b32 s40, 0
	s_mov_b32 s39, -1
.LBB78_1330:
	s_and_not1_b32 vcc_lo, exec_lo, s40
	s_cbranch_vccnz .LBB78_1343
; %bb.1331:
	s_cmp_gt_i32 s0, 14
	s_cbranch_scc0 .LBB78_1334
; %bb.1332:
	s_cmp_eq_u32 s0, 15
	s_cbranch_scc0 .LBB78_1337
; %bb.1333:
	s_wait_loadcnt 0x0
	global_load_u16 v6, v[4:5], off
	s_mov_b32 s39, -1
	s_mov_b32 s38, 0
	s_wait_loadcnt 0x0
	v_lshlrev_b32_e32 v6, 16, v6
	s_delay_alu instid0(VALU_DEP_1) | instskip(NEXT) | instid1(VALU_DEP_1)
	v_trunc_f32_e32 v6, v6
	v_mul_f32_e64 v7, 0x2f800000, |v6|
	s_delay_alu instid0(VALU_DEP_1) | instskip(NEXT) | instid1(VALU_DEP_1)
	v_floor_f32_e32 v7, v7
	v_fma_f32 v8, 0xcf800000, v7, |v6|
	v_ashrrev_i32_e32 v6, 31, v6
	v_cvt_u32_f32_e32 v9, v7
	s_delay_alu instid0(VALU_DEP_3) | instskip(NEXT) | instid1(VALU_DEP_2)
	v_cvt_u32_f32_e32 v8, v8
	v_dual_mov_b32 v7, v6 :: v_dual_bitop2_b32 v9, v9, v6 bitop3:0x14
	s_delay_alu instid0(VALU_DEP_2) | instskip(NEXT) | instid1(VALU_DEP_1)
	v_xor_b32_e32 v8, v8, v6
	v_sub_nc_u64_e32 v[6:7], v[8:9], v[6:7]
	s_branch .LBB78_1338
.LBB78_1334:
	s_mov_b32 s40, -1
                                        ; implicit-def: $vgpr6_vgpr7
	s_branch .LBB78_1339
.LBB78_1335:
	s_and_not1_saveexec_b32 s39, s39
	s_cbranch_execz .LBB78_1316
.LBB78_1336:
	v_cmp_ne_u16_e32 vcc_lo, 0, v8
	s_and_not1_b32 s40, s40, exec_lo
	s_and_b32 s41, vcc_lo, exec_lo
	s_delay_alu instid0(SALU_CYCLE_1)
	s_or_b32 s40, s40, s41
	s_or_b32 exec_lo, exec_lo, s39
	v_mov_b64_e32 v[6:7], 0
	s_and_saveexec_b32 s39, s40
	s_cbranch_execnz .LBB78_1317
	s_branch .LBB78_1318
.LBB78_1337:
	s_mov_b32 s38, -1
                                        ; implicit-def: $vgpr6_vgpr7
.LBB78_1338:
	s_mov_b32 s40, 0
.LBB78_1339:
	s_delay_alu instid0(SALU_CYCLE_1)
	s_and_b32 vcc_lo, exec_lo, s40
	s_cbranch_vccz .LBB78_1343
; %bb.1340:
	s_cmp_eq_u32 s0, 11
	s_cbranch_scc0 .LBB78_1342
; %bb.1341:
	s_wait_loadcnt 0x0
	global_load_u8 v6, v[4:5], off
	s_mov_b32 s38, 0
	s_mov_b32 s39, -1
	v_mov_b32_e32 v7, s38
	s_wait_loadcnt 0x0
	v_cmp_ne_u16_e32 vcc_lo, 0, v6
	v_cndmask_b32_e64 v6, 0, 1, vcc_lo
	s_branch .LBB78_1343
.LBB78_1342:
	s_mov_b32 s38, -1
                                        ; implicit-def: $vgpr6_vgpr7
.LBB78_1343:
	s_mov_b32 s40, 0
.LBB78_1344:
	s_delay_alu instid0(SALU_CYCLE_1)
	s_and_b32 vcc_lo, exec_lo, s40
	s_cbranch_vccz .LBB78_1393
; %bb.1345:
	s_cmp_lt_i32 s0, 5
	s_cbranch_scc1 .LBB78_1350
; %bb.1346:
	s_cmp_lt_i32 s0, 8
	s_cbranch_scc1 .LBB78_1351
	;; [unrolled: 3-line block ×3, first 2 shown]
; %bb.1348:
	s_cmp_gt_i32 s0, 9
	s_cbranch_scc0 .LBB78_1353
; %bb.1349:
	s_wait_loadcnt 0x0
	global_load_b64 v[6:7], v[4:5], off
	s_mov_b32 s39, 0
	s_wait_loadcnt 0x0
	v_trunc_f64_e32 v[6:7], v[6:7]
	s_delay_alu instid0(VALU_DEP_1) | instskip(NEXT) | instid1(VALU_DEP_1)
	v_ldexp_f64 v[8:9], v[6:7], 0xffffffe0
	v_floor_f64_e32 v[8:9], v[8:9]
	s_delay_alu instid0(VALU_DEP_1) | instskip(SKIP_1) | instid1(VALU_DEP_2)
	v_fmamk_f64 v[10:11], v[8:9], 0xc1f00000, v[6:7]
	v_cvt_i32_f64_e32 v7, v[8:9]
	v_cvt_u32_f64_e32 v6, v[10:11]
	s_branch .LBB78_1354
.LBB78_1350:
	s_mov_b32 s39, -1
                                        ; implicit-def: $vgpr6_vgpr7
	s_branch .LBB78_1372
.LBB78_1351:
	s_mov_b32 s39, -1
                                        ; implicit-def: $vgpr6_vgpr7
	s_branch .LBB78_1360
.LBB78_1352:
	s_mov_b32 s39, -1
                                        ; implicit-def: $vgpr6_vgpr7
	s_branch .LBB78_1357
.LBB78_1353:
	s_mov_b32 s39, -1
                                        ; implicit-def: $vgpr6_vgpr7
.LBB78_1354:
	s_delay_alu instid0(SALU_CYCLE_1)
	s_and_not1_b32 vcc_lo, exec_lo, s39
	s_cbranch_vccnz .LBB78_1356
; %bb.1355:
	s_wait_loadcnt 0x0
	global_load_b32 v6, v[4:5], off
	s_wait_loadcnt 0x0
	v_trunc_f32_e32 v6, v6
	s_delay_alu instid0(VALU_DEP_1) | instskip(NEXT) | instid1(VALU_DEP_1)
	v_mul_f32_e64 v7, 0x2f800000, |v6|
	v_floor_f32_e32 v7, v7
	s_delay_alu instid0(VALU_DEP_1) | instskip(SKIP_2) | instid1(VALU_DEP_3)
	v_fma_f32 v8, 0xcf800000, v7, |v6|
	v_ashrrev_i32_e32 v6, 31, v6
	v_cvt_u32_f32_e32 v9, v7
	v_cvt_u32_f32_e32 v8, v8
	s_delay_alu instid0(VALU_DEP_2) | instskip(NEXT) | instid1(VALU_DEP_2)
	v_dual_mov_b32 v7, v6 :: v_dual_bitop2_b32 v9, v9, v6 bitop3:0x14
	v_xor_b32_e32 v8, v8, v6
	s_delay_alu instid0(VALU_DEP_1)
	v_sub_nc_u64_e32 v[6:7], v[8:9], v[6:7]
.LBB78_1356:
	s_mov_b32 s39, 0
.LBB78_1357:
	s_delay_alu instid0(SALU_CYCLE_1)
	s_and_not1_b32 vcc_lo, exec_lo, s39
	s_cbranch_vccnz .LBB78_1359
; %bb.1358:
	s_wait_loadcnt 0x0
	global_load_b32 v6, v[4:5], off
	s_wait_loadcnt 0x0
	v_cvt_f32_f16_e32 v6, v6
	s_delay_alu instid0(VALU_DEP_1) | instskip(NEXT) | instid1(VALU_DEP_1)
	v_cvt_i32_f32_e32 v6, v6
	v_ashrrev_i32_e32 v7, 31, v6
.LBB78_1359:
	s_mov_b32 s39, 0
.LBB78_1360:
	s_delay_alu instid0(SALU_CYCLE_1)
	s_and_not1_b32 vcc_lo, exec_lo, s39
	s_cbranch_vccnz .LBB78_1371
; %bb.1361:
	s_cmp_lt_i32 s0, 6
	s_cbranch_scc1 .LBB78_1364
; %bb.1362:
	s_cmp_gt_i32 s0, 6
	s_cbranch_scc0 .LBB78_1365
; %bb.1363:
	s_wait_loadcnt 0x0
	global_load_b64 v[6:7], v[4:5], off
	s_mov_b32 s39, 0
	s_wait_loadcnt 0x0
	v_trunc_f64_e32 v[6:7], v[6:7]
	s_delay_alu instid0(VALU_DEP_1) | instskip(NEXT) | instid1(VALU_DEP_1)
	v_ldexp_f64 v[8:9], v[6:7], 0xffffffe0
	v_floor_f64_e32 v[8:9], v[8:9]
	s_delay_alu instid0(VALU_DEP_1) | instskip(SKIP_1) | instid1(VALU_DEP_2)
	v_fmamk_f64 v[10:11], v[8:9], 0xc1f00000, v[6:7]
	v_cvt_i32_f64_e32 v7, v[8:9]
	v_cvt_u32_f64_e32 v6, v[10:11]
	s_branch .LBB78_1366
.LBB78_1364:
	s_mov_b32 s39, -1
                                        ; implicit-def: $vgpr6_vgpr7
	s_branch .LBB78_1369
.LBB78_1365:
	s_mov_b32 s39, -1
                                        ; implicit-def: $vgpr6_vgpr7
.LBB78_1366:
	s_delay_alu instid0(SALU_CYCLE_1)
	s_and_not1_b32 vcc_lo, exec_lo, s39
	s_cbranch_vccnz .LBB78_1368
; %bb.1367:
	s_wait_loadcnt 0x0
	global_load_b32 v6, v[4:5], off
	s_wait_loadcnt 0x0
	v_trunc_f32_e32 v6, v6
	s_delay_alu instid0(VALU_DEP_1) | instskip(NEXT) | instid1(VALU_DEP_1)
	v_mul_f32_e64 v7, 0x2f800000, |v6|
	v_floor_f32_e32 v7, v7
	s_delay_alu instid0(VALU_DEP_1) | instskip(SKIP_2) | instid1(VALU_DEP_3)
	v_fma_f32 v8, 0xcf800000, v7, |v6|
	v_ashrrev_i32_e32 v6, 31, v6
	v_cvt_u32_f32_e32 v9, v7
	v_cvt_u32_f32_e32 v8, v8
	s_delay_alu instid0(VALU_DEP_2) | instskip(NEXT) | instid1(VALU_DEP_2)
	v_dual_mov_b32 v7, v6 :: v_dual_bitop2_b32 v9, v9, v6 bitop3:0x14
	v_xor_b32_e32 v8, v8, v6
	s_delay_alu instid0(VALU_DEP_1)
	v_sub_nc_u64_e32 v[6:7], v[8:9], v[6:7]
.LBB78_1368:
	s_mov_b32 s39, 0
.LBB78_1369:
	s_delay_alu instid0(SALU_CYCLE_1)
	s_and_not1_b32 vcc_lo, exec_lo, s39
	s_cbranch_vccnz .LBB78_1371
; %bb.1370:
	s_wait_loadcnt 0x0
	global_load_u16 v6, v[4:5], off
	s_wait_loadcnt 0x0
	v_cvt_f32_f16_e32 v6, v6
	s_delay_alu instid0(VALU_DEP_1) | instskip(NEXT) | instid1(VALU_DEP_1)
	v_cvt_i32_f32_e32 v6, v6
	v_ashrrev_i32_e32 v7, 31, v6
.LBB78_1371:
	s_mov_b32 s39, 0
.LBB78_1372:
	s_delay_alu instid0(SALU_CYCLE_1)
	s_and_not1_b32 vcc_lo, exec_lo, s39
	s_cbranch_vccnz .LBB78_1392
; %bb.1373:
	s_cmp_lt_i32 s0, 2
	s_cbranch_scc1 .LBB78_1377
; %bb.1374:
	s_cmp_lt_i32 s0, 3
	s_cbranch_scc1 .LBB78_1378
; %bb.1375:
	s_cmp_gt_i32 s0, 3
	s_cbranch_scc0 .LBB78_1379
; %bb.1376:
	s_wait_loadcnt 0x0
	global_load_b64 v[6:7], v[4:5], off
	s_mov_b32 s39, 0
	s_branch .LBB78_1380
.LBB78_1377:
	s_mov_b32 s39, -1
                                        ; implicit-def: $vgpr6_vgpr7
	s_branch .LBB78_1386
.LBB78_1378:
	s_mov_b32 s39, -1
                                        ; implicit-def: $vgpr6_vgpr7
	s_branch .LBB78_1383
.LBB78_1379:
	s_mov_b32 s39, -1
                                        ; implicit-def: $vgpr6_vgpr7
.LBB78_1380:
	s_delay_alu instid0(SALU_CYCLE_1)
	s_and_not1_b32 vcc_lo, exec_lo, s39
	s_cbranch_vccnz .LBB78_1382
; %bb.1381:
	s_wait_loadcnt 0x0
	global_load_b32 v6, v[4:5], off
	s_wait_loadcnt 0x0
	v_ashrrev_i32_e32 v7, 31, v6
.LBB78_1382:
	s_mov_b32 s39, 0
.LBB78_1383:
	s_delay_alu instid0(SALU_CYCLE_1)
	s_and_not1_b32 vcc_lo, exec_lo, s39
	s_cbranch_vccnz .LBB78_1385
; %bb.1384:
	s_wait_loadcnt 0x0
	global_load_u16 v6, v[4:5], off
	s_wait_loadcnt 0x0
	v_bfe_i32 v6, v6, 0, 16
	s_delay_alu instid0(VALU_DEP_1)
	v_ashrrev_i32_e32 v7, 31, v6
.LBB78_1385:
	s_mov_b32 s39, 0
.LBB78_1386:
	s_delay_alu instid0(SALU_CYCLE_1)
	s_and_not1_b32 vcc_lo, exec_lo, s39
	s_cbranch_vccnz .LBB78_1392
; %bb.1387:
	s_cmp_gt_i32 s0, 0
	s_mov_b32 s0, 0
	s_cbranch_scc0 .LBB78_1389
; %bb.1388:
	s_wait_loadcnt 0x0
	global_load_i8 v6, v[4:5], off
	s_wait_loadcnt 0x0
	v_bfe_i32 v6, v6, 0, 16
	s_delay_alu instid0(VALU_DEP_1)
	v_ashrrev_i32_e32 v7, 31, v6
	s_branch .LBB78_1390
.LBB78_1389:
	s_mov_b32 s0, -1
                                        ; implicit-def: $vgpr6_vgpr7
.LBB78_1390:
	s_delay_alu instid0(SALU_CYCLE_1)
	s_and_not1_b32 vcc_lo, exec_lo, s0
	s_cbranch_vccnz .LBB78_1392
; %bb.1391:
	global_load_u8 v4, v[4:5], off
	s_mov_b32 s0, 0
	s_wait_loadcnt 0x1
	v_mov_b32_e32 v7, s0
	s_wait_loadcnt 0x0
	v_and_b32_e32 v6, 0xffff, v4
.LBB78_1392:
	s_mov_b32 s39, -1
.LBB78_1393:
	s_delay_alu instid0(SALU_CYCLE_1)
	s_and_not1_b32 vcc_lo, exec_lo, s39
	s_cbranch_vccnz .LBB78_1401
; %bb.1394:
	s_wait_loadcnt 0x0
	v_mul_u64_e32 v[0:1], s[16:17], v[0:1]
	v_mul_u64_e32 v[2:3], s[18:19], v[2:3]
	s_wait_xcnt 0x0
	v_mul_lo_u32 v4, v26, s12
	s_and_b32 s39, s2, 0xff
	s_delay_alu instid0(SALU_CYCLE_1) | instskip(NEXT) | instid1(VALU_DEP_1)
	s_cmp_lt_i32 s39, 11
	v_ashrrev_i32_e32 v5, 31, v4
	s_delay_alu instid0(VALU_DEP_3) | instskip(NEXT) | instid1(VALU_DEP_1)
	v_mad_nc_u64_u32 v[0:1], v2, v6, v[0:1]
	v_mad_u32 v1, v3, v6, v1
	s_delay_alu instid0(VALU_DEP_1) | instskip(NEXT) | instid1(VALU_DEP_4)
	v_mad_u32 v1, v2, v7, v1
	v_add_nc_u64_e32 v[2:3], s[4:5], v[4:5]
	s_cbranch_scc1 .LBB78_1402
; %bb.1395:
	s_and_b32 s40, 0xffff, s39
	s_delay_alu instid0(SALU_CYCLE_1)
	s_cmp_gt_i32 s40, 25
	s_cbranch_scc0 .LBB78_1403
; %bb.1396:
	s_cmp_gt_i32 s40, 28
	s_cbranch_scc0 .LBB78_1404
; %bb.1397:
	;; [unrolled: 3-line block ×4, first 2 shown]
	s_mov_b32 s42, 0
	s_mov_b32 s0, -1
	s_cmp_eq_u32 s40, 46
	s_mov_b32 s41, 0
	s_cbranch_scc0 .LBB78_1407
; %bb.1400:
	v_xor_b32_e32 v4, v0, v1
	v_cls_i32_e32 v5, v1
	s_mov_b32 s41, -1
	s_mov_b32 s0, 0
	s_delay_alu instid0(VALU_DEP_2) | instskip(NEXT) | instid1(VALU_DEP_1)
	v_ashrrev_i32_e32 v4, 31, v4
	v_add_nc_u32_e32 v4, 32, v4
	s_delay_alu instid0(VALU_DEP_1) | instskip(NEXT) | instid1(VALU_DEP_1)
	v_add_min_u32_e64 v6, v5, -1, v4
	v_lshlrev_b64_e32 v[4:5], v6, v[0:1]
	s_delay_alu instid0(VALU_DEP_1) | instskip(NEXT) | instid1(VALU_DEP_1)
	v_min_u32_e32 v4, 1, v4
	v_dual_sub_nc_u32 v5, 32, v6 :: v_dual_bitop2_b32 v4, v5, v4 bitop3:0x54
	s_delay_alu instid0(VALU_DEP_1) | instskip(NEXT) | instid1(VALU_DEP_1)
	v_cvt_f32_i32_e32 v4, v4
	v_ldexp_f32 v4, v4, v5
	s_delay_alu instid0(VALU_DEP_1) | instskip(NEXT) | instid1(VALU_DEP_1)
	v_bfe_u32 v5, v4, 16, 1
	v_add3_u32 v4, v4, v5, 0x7fff
	s_delay_alu instid0(VALU_DEP_1)
	v_lshrrev_b32_e32 v4, 16, v4
	global_store_b32 v[2:3], v4, off
	s_branch .LBB78_1407
.LBB78_1401:
	s_mov_b32 s40, 0
	s_mov_b32 s0, s30
	s_branch .LBB78_1518
.LBB78_1402:
	s_mov_b32 s40, -1
	s_mov_b32 s41, 0
	s_mov_b32 s0, s30
	s_branch .LBB78_1476
.LBB78_1403:
	s_mov_b32 s42, -1
	s_mov_b32 s41, 0
	s_mov_b32 s0, s30
	s_branch .LBB78_1434
.LBB78_1404:
	s_mov_b32 s42, -1
	s_mov_b32 s41, 0
	s_mov_b32 s0, s30
	s_branch .LBB78_1417
.LBB78_1405:
	s_mov_b32 s42, -1
	s_mov_b32 s41, 0
	s_mov_b32 s0, s30
	s_branch .LBB78_1413
.LBB78_1406:
	s_mov_b32 s42, -1
	s_mov_b32 s41, 0
	s_mov_b32 s0, s30
.LBB78_1407:
	s_and_b32 vcc_lo, exec_lo, s42
	s_cbranch_vccz .LBB78_1412
; %bb.1408:
	s_cmp_eq_u32 s40, 44
	s_mov_b32 s0, -1
	s_cbranch_scc0 .LBB78_1412
; %bb.1409:
	s_wait_xcnt 0x0
	v_xor_b32_e32 v4, v0, v1
	v_cls_i32_e32 v5, v1
	s_mov_b32 s41, -1
	s_mov_b32 s42, exec_lo
	s_delay_alu instid0(VALU_DEP_2) | instskip(NEXT) | instid1(VALU_DEP_1)
	v_ashrrev_i32_e32 v4, 31, v4
	v_add_nc_u32_e32 v4, 32, v4
	s_delay_alu instid0(VALU_DEP_1) | instskip(NEXT) | instid1(VALU_DEP_1)
	v_add_min_u32_e64 v6, v5, -1, v4
	v_lshlrev_b64_e32 v[4:5], v6, v[0:1]
	s_delay_alu instid0(VALU_DEP_1) | instskip(NEXT) | instid1(VALU_DEP_1)
	v_min_u32_e32 v4, 1, v4
	v_dual_sub_nc_u32 v5, 32, v6 :: v_dual_bitop2_b32 v4, v5, v4 bitop3:0x54
	s_delay_alu instid0(VALU_DEP_1) | instskip(NEXT) | instid1(VALU_DEP_1)
	v_cvt_f32_i32_e32 v4, v4
	v_ldexp_f32 v4, v4, v5
	v_mov_b32_e32 v5, 0xff
	s_delay_alu instid0(VALU_DEP_2) | instskip(NEXT) | instid1(VALU_DEP_1)
	v_bfe_u32 v6, v4, 23, 8
	v_cmpx_ne_u32_e32 0xff, v6
	s_cbranch_execz .LBB78_1411
; %bb.1410:
	v_and_b32_e32 v5, 0x400000, v4
	v_and_or_b32 v6, 0x3fffff, v4, v6
	v_lshrrev_b32_e32 v4, 23, v4
	s_delay_alu instid0(VALU_DEP_3) | instskip(NEXT) | instid1(VALU_DEP_3)
	v_cmp_ne_u32_e32 vcc_lo, 0, v5
	v_cmp_ne_u32_e64 s0, 0, v6
	s_and_b32 s0, vcc_lo, s0
	s_delay_alu instid0(SALU_CYCLE_1) | instskip(NEXT) | instid1(VALU_DEP_1)
	v_cndmask_b32_e64 v5, 0, 1, s0
	v_add_nc_u32_e32 v5, v4, v5
.LBB78_1411:
	s_or_b32 exec_lo, exec_lo, s42
	s_mov_b32 s0, 0
	global_store_b8 v[2:3], v5, off
.LBB78_1412:
	s_mov_b32 s42, 0
.LBB78_1413:
	s_delay_alu instid0(SALU_CYCLE_1)
	s_and_b32 vcc_lo, exec_lo, s42
	s_cbranch_vccz .LBB78_1416
; %bb.1414:
	s_cmp_eq_u32 s40, 29
	s_mov_b32 s0, -1
	s_cbranch_scc0 .LBB78_1416
; %bb.1415:
	s_mov_b32 s41, -1
	s_mov_b32 s0, 0
	global_store_b64 v[2:3], v[0:1], off
.LBB78_1416:
	s_mov_b32 s42, 0
.LBB78_1417:
	s_delay_alu instid0(SALU_CYCLE_1)
	s_and_b32 vcc_lo, exec_lo, s42
	s_cbranch_vccz .LBB78_1433
; %bb.1418:
	s_cmp_lt_i32 s40, 27
	s_mov_b32 s41, -1
	s_cbranch_scc1 .LBB78_1424
; %bb.1419:
	s_cmp_gt_i32 s40, 27
	s_cbranch_scc0 .LBB78_1421
; %bb.1420:
	s_mov_b32 s41, 0
	global_store_b32 v[2:3], v0, off
.LBB78_1421:
	s_and_not1_b32 vcc_lo, exec_lo, s41
	s_cbranch_vccnz .LBB78_1423
; %bb.1422:
	global_store_b16 v[2:3], v0, off
.LBB78_1423:
	s_mov_b32 s41, 0
.LBB78_1424:
	s_delay_alu instid0(SALU_CYCLE_1)
	s_and_not1_b32 vcc_lo, exec_lo, s41
	s_cbranch_vccnz .LBB78_1432
; %bb.1425:
	s_wait_xcnt 0x0
	v_xor_b32_e32 v4, v0, v1
	v_cls_i32_e32 v5, v1
	s_mov_b32 s41, exec_lo
	s_delay_alu instid0(VALU_DEP_2) | instskip(NEXT) | instid1(VALU_DEP_1)
	v_ashrrev_i32_e32 v4, 31, v4
	v_add_nc_u32_e32 v4, 32, v4
	s_delay_alu instid0(VALU_DEP_1) | instskip(NEXT) | instid1(VALU_DEP_1)
	v_add_min_u32_e64 v6, v5, -1, v4
	v_lshlrev_b64_e32 v[4:5], v6, v[0:1]
	s_delay_alu instid0(VALU_DEP_1) | instskip(NEXT) | instid1(VALU_DEP_1)
	v_min_u32_e32 v4, 1, v4
	v_dual_sub_nc_u32 v5, 32, v6 :: v_dual_bitop2_b32 v4, v5, v4 bitop3:0x54
	v_mov_b32_e32 v6, 0x80
	s_delay_alu instid0(VALU_DEP_2) | instskip(NEXT) | instid1(VALU_DEP_1)
	v_cvt_f32_i32_e32 v4, v4
	v_ldexp_f32 v4, v4, v5
	s_delay_alu instid0(VALU_DEP_1) | instskip(NEXT) | instid1(VALU_DEP_1)
	v_and_b32_e32 v5, 0x7fffffff, v4
	v_cmpx_gt_u32_e32 0x43800000, v5
	s_cbranch_execz .LBB78_1431
; %bb.1426:
	v_cmp_lt_u32_e32 vcc_lo, 0x3bffffff, v5
	s_mov_b32 s42, 0
                                        ; implicit-def: $vgpr5
	s_and_saveexec_b32 s43, vcc_lo
	s_delay_alu instid0(SALU_CYCLE_1)
	s_xor_b32 s43, exec_lo, s43
	s_cbranch_execz .LBB78_2655
; %bb.1427:
	v_bfe_u32 v5, v4, 20, 1
	s_mov_b32 s42, exec_lo
	s_delay_alu instid0(VALU_DEP_1) | instskip(NEXT) | instid1(VALU_DEP_1)
	v_add3_u32 v5, v4, v5, 0x487ffff
	v_lshrrev_b32_e32 v5, 20, v5
	s_and_not1_saveexec_b32 s43, s43
	s_cbranch_execnz .LBB78_2656
.LBB78_1428:
	s_or_b32 exec_lo, exec_lo, s43
	v_mov_b32_e32 v6, 0
	s_and_saveexec_b32 s43, s42
.LBB78_1429:
	v_lshrrev_b32_e32 v4, 24, v4
	s_delay_alu instid0(VALU_DEP_1)
	v_and_or_b32 v6, 0x80, v4, v5
.LBB78_1430:
	s_or_b32 exec_lo, exec_lo, s43
.LBB78_1431:
	s_delay_alu instid0(SALU_CYCLE_1)
	s_or_b32 exec_lo, exec_lo, s41
	global_store_b8 v[2:3], v6, off
.LBB78_1432:
	s_mov_b32 s41, -1
.LBB78_1433:
	s_mov_b32 s42, 0
.LBB78_1434:
	s_delay_alu instid0(SALU_CYCLE_1)
	s_and_b32 vcc_lo, exec_lo, s42
	s_cbranch_vccz .LBB78_1475
; %bb.1435:
	s_cmp_gt_i32 s40, 22
	s_mov_b32 s42, -1
	s_cbranch_scc0 .LBB78_1467
; %bb.1436:
	s_cmp_lt_i32 s40, 24
	s_mov_b32 s41, -1
	s_cbranch_scc1 .LBB78_1456
; %bb.1437:
	s_cmp_gt_i32 s40, 24
	s_cbranch_scc0 .LBB78_1445
; %bb.1438:
	s_wait_xcnt 0x0
	v_xor_b32_e32 v4, v0, v1
	v_cls_i32_e32 v5, v1
	s_mov_b32 s41, exec_lo
	s_delay_alu instid0(VALU_DEP_2) | instskip(NEXT) | instid1(VALU_DEP_1)
	v_ashrrev_i32_e32 v4, 31, v4
	v_add_nc_u32_e32 v4, 32, v4
	s_delay_alu instid0(VALU_DEP_1) | instskip(NEXT) | instid1(VALU_DEP_1)
	v_add_min_u32_e64 v6, v5, -1, v4
	v_lshlrev_b64_e32 v[4:5], v6, v[0:1]
	s_delay_alu instid0(VALU_DEP_1) | instskip(NEXT) | instid1(VALU_DEP_1)
	v_min_u32_e32 v4, 1, v4
	v_dual_sub_nc_u32 v5, 32, v6 :: v_dual_bitop2_b32 v4, v5, v4 bitop3:0x54
	v_mov_b32_e32 v6, 0x80
	s_delay_alu instid0(VALU_DEP_2) | instskip(NEXT) | instid1(VALU_DEP_1)
	v_cvt_f32_i32_e32 v4, v4
	v_ldexp_f32 v4, v4, v5
	s_delay_alu instid0(VALU_DEP_1) | instskip(NEXT) | instid1(VALU_DEP_1)
	v_and_b32_e32 v5, 0x7fffffff, v4
	v_cmpx_gt_u32_e32 0x47800000, v5
	s_cbranch_execz .LBB78_1444
; %bb.1439:
	v_cmp_lt_u32_e32 vcc_lo, 0x37ffffff, v5
	s_mov_b32 s42, 0
                                        ; implicit-def: $vgpr5
	s_and_saveexec_b32 s43, vcc_lo
	s_delay_alu instid0(SALU_CYCLE_1)
	s_xor_b32 s43, exec_lo, s43
	s_cbranch_execz .LBB78_2784
; %bb.1440:
	v_bfe_u32 v5, v4, 21, 1
	s_mov_b32 s42, exec_lo
	s_delay_alu instid0(VALU_DEP_1) | instskip(NEXT) | instid1(VALU_DEP_1)
	v_add3_u32 v5, v4, v5, 0x88fffff
	v_lshrrev_b32_e32 v5, 21, v5
	s_and_not1_saveexec_b32 s43, s43
	s_cbranch_execnz .LBB78_2785
.LBB78_1441:
	s_or_b32 exec_lo, exec_lo, s43
	v_mov_b32_e32 v6, 0
	s_and_saveexec_b32 s43, s42
.LBB78_1442:
	v_lshrrev_b32_e32 v4, 24, v4
	s_delay_alu instid0(VALU_DEP_1)
	v_and_or_b32 v6, 0x80, v4, v5
.LBB78_1443:
	s_or_b32 exec_lo, exec_lo, s43
.LBB78_1444:
	s_delay_alu instid0(SALU_CYCLE_1)
	s_or_b32 exec_lo, exec_lo, s41
	s_mov_b32 s41, 0
	global_store_b8 v[2:3], v6, off
.LBB78_1445:
	s_and_b32 vcc_lo, exec_lo, s41
	s_cbranch_vccz .LBB78_1455
; %bb.1446:
	s_wait_xcnt 0x0
	v_xor_b32_e32 v4, v0, v1
	v_cls_i32_e32 v5, v1
	s_mov_b32 s41, exec_lo
	s_delay_alu instid0(VALU_DEP_2) | instskip(NEXT) | instid1(VALU_DEP_1)
	v_ashrrev_i32_e32 v4, 31, v4
	v_add_nc_u32_e32 v4, 32, v4
	s_delay_alu instid0(VALU_DEP_1) | instskip(NEXT) | instid1(VALU_DEP_1)
	v_add_min_u32_e64 v6, v5, -1, v4
	v_lshlrev_b64_e32 v[4:5], v6, v[0:1]
	s_delay_alu instid0(VALU_DEP_1) | instskip(NEXT) | instid1(VALU_DEP_1)
	v_min_u32_e32 v4, 1, v4
	v_dual_sub_nc_u32 v5, 32, v6 :: v_dual_bitop2_b32 v4, v5, v4 bitop3:0x54
	s_delay_alu instid0(VALU_DEP_1) | instskip(NEXT) | instid1(VALU_DEP_1)
	v_cvt_f32_i32_e32 v4, v4
	v_ldexp_f32 v4, v4, v5
                                        ; implicit-def: $vgpr5
	s_delay_alu instid0(VALU_DEP_1) | instskip(NEXT) | instid1(VALU_DEP_1)
	v_and_b32_e32 v6, 0x7fffffff, v4
	v_cmpx_gt_u32_e32 0x43f00000, v6
	s_xor_b32 s41, exec_lo, s41
	s_cbranch_execz .LBB78_1452
; %bb.1447:
	s_mov_b32 s42, exec_lo
                                        ; implicit-def: $vgpr5
	v_cmpx_lt_u32_e32 0x3c7fffff, v6
	s_xor_b32 s42, exec_lo, s42
; %bb.1448:
	v_bfe_u32 v5, v4, 20, 1
	s_delay_alu instid0(VALU_DEP_1) | instskip(NEXT) | instid1(VALU_DEP_1)
	v_add3_u32 v5, v4, v5, 0x407ffff
	v_and_b32_e32 v6, 0xff00000, v5
	v_lshrrev_b32_e32 v5, 20, v5
	s_delay_alu instid0(VALU_DEP_2) | instskip(NEXT) | instid1(VALU_DEP_2)
	v_cmp_ne_u32_e32 vcc_lo, 0x7f00000, v6
	v_cndmask_b32_e32 v5, 0x7e, v5, vcc_lo
; %bb.1449:
	s_and_not1_saveexec_b32 s42, s42
; %bb.1450:
	v_add_f32_e64 v5, 0x46800000, |v4|
; %bb.1451:
	s_or_b32 exec_lo, exec_lo, s42
                                        ; implicit-def: $vgpr6
.LBB78_1452:
	s_and_not1_saveexec_b32 s41, s41
; %bb.1453:
	v_mov_b32_e32 v5, 0x7f
	v_cmp_lt_u32_e32 vcc_lo, 0x7f800000, v6
	s_delay_alu instid0(VALU_DEP_2)
	v_cndmask_b32_e32 v5, 0x7e, v5, vcc_lo
; %bb.1454:
	s_or_b32 exec_lo, exec_lo, s41
	v_lshrrev_b32_e32 v4, 24, v4
	s_delay_alu instid0(VALU_DEP_1)
	v_and_or_b32 v4, 0x80, v4, v5
	global_store_b8 v[2:3], v4, off
.LBB78_1455:
	s_mov_b32 s41, 0
.LBB78_1456:
	s_delay_alu instid0(SALU_CYCLE_1)
	s_and_not1_b32 vcc_lo, exec_lo, s41
	s_cbranch_vccnz .LBB78_1466
; %bb.1457:
	s_wait_xcnt 0x0
	v_xor_b32_e32 v4, v0, v1
	v_cls_i32_e32 v5, v1
	s_mov_b32 s41, exec_lo
	s_delay_alu instid0(VALU_DEP_2) | instskip(NEXT) | instid1(VALU_DEP_1)
	v_ashrrev_i32_e32 v4, 31, v4
	v_add_nc_u32_e32 v4, 32, v4
	s_delay_alu instid0(VALU_DEP_1) | instskip(NEXT) | instid1(VALU_DEP_1)
	v_add_min_u32_e64 v6, v5, -1, v4
	v_lshlrev_b64_e32 v[4:5], v6, v[0:1]
	s_delay_alu instid0(VALU_DEP_1) | instskip(NEXT) | instid1(VALU_DEP_1)
	v_min_u32_e32 v4, 1, v4
	v_dual_sub_nc_u32 v5, 32, v6 :: v_dual_bitop2_b32 v4, v5, v4 bitop3:0x54
	s_delay_alu instid0(VALU_DEP_1) | instskip(NEXT) | instid1(VALU_DEP_1)
	v_cvt_f32_i32_e32 v4, v4
	v_ldexp_f32 v4, v4, v5
                                        ; implicit-def: $vgpr5
	s_delay_alu instid0(VALU_DEP_1) | instskip(NEXT) | instid1(VALU_DEP_1)
	v_and_b32_e32 v6, 0x7fffffff, v4
	v_cmpx_gt_u32_e32 0x47800000, v6
	s_xor_b32 s41, exec_lo, s41
	s_cbranch_execz .LBB78_1463
; %bb.1458:
	s_mov_b32 s42, exec_lo
                                        ; implicit-def: $vgpr5
	v_cmpx_lt_u32_e32 0x387fffff, v6
	s_xor_b32 s42, exec_lo, s42
; %bb.1459:
	v_bfe_u32 v5, v4, 21, 1
	s_delay_alu instid0(VALU_DEP_1) | instskip(NEXT) | instid1(VALU_DEP_1)
	v_add3_u32 v5, v4, v5, 0x80fffff
	v_lshrrev_b32_e32 v5, 21, v5
; %bb.1460:
	s_and_not1_saveexec_b32 s42, s42
; %bb.1461:
	v_add_f32_e64 v5, 0x43000000, |v4|
; %bb.1462:
	s_or_b32 exec_lo, exec_lo, s42
                                        ; implicit-def: $vgpr6
.LBB78_1463:
	s_and_not1_saveexec_b32 s41, s41
; %bb.1464:
	v_mov_b32_e32 v5, 0x7f
	v_cmp_lt_u32_e32 vcc_lo, 0x7f800000, v6
	s_delay_alu instid0(VALU_DEP_2)
	v_cndmask_b32_e32 v5, 0x7c, v5, vcc_lo
; %bb.1465:
	s_or_b32 exec_lo, exec_lo, s41
	v_lshrrev_b32_e32 v4, 24, v4
	s_delay_alu instid0(VALU_DEP_1)
	v_and_or_b32 v4, 0x80, v4, v5
	global_store_b8 v[2:3], v4, off
.LBB78_1466:
	s_mov_b32 s42, 0
	s_mov_b32 s41, -1
.LBB78_1467:
	s_and_not1_b32 vcc_lo, exec_lo, s42
	s_cbranch_vccnz .LBB78_1475
; %bb.1468:
	s_cmp_gt_i32 s40, 14
	s_mov_b32 s42, -1
	s_cbranch_scc0 .LBB78_1472
; %bb.1469:
	s_cmp_eq_u32 s40, 15
	s_mov_b32 s0, -1
	s_cbranch_scc0 .LBB78_1471
; %bb.1470:
	s_wait_xcnt 0x0
	v_xor_b32_e32 v4, v0, v1
	v_cls_i32_e32 v5, v1
	s_mov_b32 s41, -1
	s_mov_b32 s0, 0
	s_delay_alu instid0(VALU_DEP_2) | instskip(NEXT) | instid1(VALU_DEP_1)
	v_ashrrev_i32_e32 v4, 31, v4
	v_add_nc_u32_e32 v4, 32, v4
	s_delay_alu instid0(VALU_DEP_1) | instskip(NEXT) | instid1(VALU_DEP_1)
	v_add_min_u32_e64 v6, v5, -1, v4
	v_lshlrev_b64_e32 v[4:5], v6, v[0:1]
	s_delay_alu instid0(VALU_DEP_1) | instskip(NEXT) | instid1(VALU_DEP_1)
	v_min_u32_e32 v4, 1, v4
	v_dual_sub_nc_u32 v5, 32, v6 :: v_dual_bitop2_b32 v4, v5, v4 bitop3:0x54
	s_delay_alu instid0(VALU_DEP_1) | instskip(NEXT) | instid1(VALU_DEP_1)
	v_cvt_f32_i32_e32 v4, v4
	v_ldexp_f32 v4, v4, v5
	s_delay_alu instid0(VALU_DEP_1) | instskip(NEXT) | instid1(VALU_DEP_1)
	v_bfe_u32 v5, v4, 16, 1
	v_add3_u32 v4, v4, v5, 0x7fff
	global_store_d16_hi_b16 v[2:3], v4, off
.LBB78_1471:
	s_mov_b32 s42, 0
.LBB78_1472:
	s_delay_alu instid0(SALU_CYCLE_1)
	s_and_b32 vcc_lo, exec_lo, s42
	s_cbranch_vccz .LBB78_1475
; %bb.1473:
	s_cmp_eq_u32 s40, 11
	s_mov_b32 s0, -1
	s_cbranch_scc0 .LBB78_1475
; %bb.1474:
	v_cmp_ne_u64_e32 vcc_lo, 0, v[0:1]
	s_mov_b32 s41, -1
	s_mov_b32 s0, 0
	s_wait_xcnt 0x0
	v_cndmask_b32_e64 v4, 0, 1, vcc_lo
	global_store_b8 v[2:3], v4, off
.LBB78_1475:
	s_mov_b32 s40, 0
.LBB78_1476:
	s_delay_alu instid0(SALU_CYCLE_1)
	s_and_b32 vcc_lo, exec_lo, s40
	s_cbranch_vccz .LBB78_1515
; %bb.1477:
	s_and_b32 s39, 0xffff, s39
	s_mov_b32 s40, -1
	s_cmp_lt_i32 s39, 5
	s_cbranch_scc1 .LBB78_1498
; %bb.1478:
	s_cmp_lt_i32 s39, 8
	s_cbranch_scc1 .LBB78_1488
; %bb.1479:
	;; [unrolled: 3-line block ×3, first 2 shown]
	s_cmp_gt_i32 s39, 9
	s_cbranch_scc0 .LBB78_1482
; %bb.1481:
	s_wait_xcnt 0x0
	v_cvt_f64_i32_e32 v[4:5], v1
	v_cvt_f64_u32_e32 v[6:7], v0
	s_mov_b32 s40, 0
	s_delay_alu instid0(VALU_DEP_2) | instskip(NEXT) | instid1(VALU_DEP_1)
	v_ldexp_f64 v[4:5], v[4:5], 32
	v_dual_add_f64 v[4:5], v[4:5], v[6:7] :: v_dual_mov_b32 v6, 0
	s_delay_alu instid0(VALU_DEP_1)
	v_mov_b32_e32 v7, v6
	global_store_b128 v[2:3], v[4:7], off
.LBB78_1482:
	s_and_not1_b32 vcc_lo, exec_lo, s40
	s_cbranch_vccnz .LBB78_1484
; %bb.1483:
	s_wait_xcnt 0x0
	v_xor_b32_e32 v4, v0, v1
	v_cls_i32_e32 v5, v1
	s_delay_alu instid0(VALU_DEP_2) | instskip(NEXT) | instid1(VALU_DEP_1)
	v_ashrrev_i32_e32 v4, 31, v4
	v_add_nc_u32_e32 v4, 32, v4
	s_delay_alu instid0(VALU_DEP_1) | instskip(NEXT) | instid1(VALU_DEP_1)
	v_add_min_u32_e64 v6, v5, -1, v4
	v_lshlrev_b64_e32 v[4:5], v6, v[0:1]
	s_delay_alu instid0(VALU_DEP_1) | instskip(NEXT) | instid1(VALU_DEP_1)
	v_min_u32_e32 v4, 1, v4
	v_dual_sub_nc_u32 v5, 32, v6 :: v_dual_bitop2_b32 v4, v5, v4 bitop3:0x54
	s_delay_alu instid0(VALU_DEP_1) | instskip(NEXT) | instid1(VALU_DEP_1)
	v_cvt_f32_i32_e32 v4, v4
	v_ldexp_f32 v4, v4, v5
	v_mov_b32_e32 v5, 0
	global_store_b64 v[2:3], v[4:5], off
.LBB78_1484:
	s_mov_b32 s40, 0
.LBB78_1485:
	s_delay_alu instid0(SALU_CYCLE_1)
	s_and_not1_b32 vcc_lo, exec_lo, s40
	s_cbranch_vccnz .LBB78_1487
; %bb.1486:
	s_wait_xcnt 0x0
	v_xor_b32_e32 v4, v0, v1
	v_cls_i32_e32 v5, v1
	s_delay_alu instid0(VALU_DEP_2) | instskip(NEXT) | instid1(VALU_DEP_1)
	v_ashrrev_i32_e32 v4, 31, v4
	v_add_nc_u32_e32 v4, 32, v4
	s_delay_alu instid0(VALU_DEP_1) | instskip(NEXT) | instid1(VALU_DEP_1)
	v_add_min_u32_e64 v6, v5, -1, v4
	v_lshlrev_b64_e32 v[4:5], v6, v[0:1]
	s_delay_alu instid0(VALU_DEP_1) | instskip(NEXT) | instid1(VALU_DEP_1)
	v_min_u32_e32 v4, 1, v4
	v_dual_sub_nc_u32 v5, 32, v6 :: v_dual_bitop2_b32 v4, v5, v4 bitop3:0x54
	s_delay_alu instid0(VALU_DEP_1) | instskip(NEXT) | instid1(VALU_DEP_1)
	v_cvt_f32_i32_e32 v4, v4
	v_ldexp_f32 v4, v4, v5
	s_delay_alu instid0(VALU_DEP_1) | instskip(NEXT) | instid1(VALU_DEP_1)
	v_cvt_f16_f32_e32 v4, v4
	v_and_b32_e32 v4, 0xffff, v4
	global_store_b32 v[2:3], v4, off
.LBB78_1487:
	s_mov_b32 s40, 0
.LBB78_1488:
	s_delay_alu instid0(SALU_CYCLE_1)
	s_and_not1_b32 vcc_lo, exec_lo, s40
	s_cbranch_vccnz .LBB78_1497
; %bb.1489:
	s_cmp_lt_i32 s39, 6
	s_mov_b32 s40, -1
	s_cbranch_scc1 .LBB78_1495
; %bb.1490:
	s_cmp_gt_i32 s39, 6
	s_cbranch_scc0 .LBB78_1492
; %bb.1491:
	s_wait_xcnt 0x0
	v_cvt_f64_i32_e32 v[4:5], v1
	v_cvt_f64_u32_e32 v[6:7], v0
	s_mov_b32 s40, 0
	s_delay_alu instid0(VALU_DEP_2) | instskip(NEXT) | instid1(VALU_DEP_1)
	v_ldexp_f64 v[4:5], v[4:5], 32
	v_add_f64_e32 v[4:5], v[4:5], v[6:7]
	global_store_b64 v[2:3], v[4:5], off
.LBB78_1492:
	s_and_not1_b32 vcc_lo, exec_lo, s40
	s_cbranch_vccnz .LBB78_1494
; %bb.1493:
	s_wait_xcnt 0x0
	v_xor_b32_e32 v4, v0, v1
	v_cls_i32_e32 v5, v1
	s_delay_alu instid0(VALU_DEP_2) | instskip(NEXT) | instid1(VALU_DEP_1)
	v_ashrrev_i32_e32 v4, 31, v4
	v_add_nc_u32_e32 v4, 32, v4
	s_delay_alu instid0(VALU_DEP_1) | instskip(NEXT) | instid1(VALU_DEP_1)
	v_add_min_u32_e64 v6, v5, -1, v4
	v_lshlrev_b64_e32 v[4:5], v6, v[0:1]
	s_delay_alu instid0(VALU_DEP_1) | instskip(NEXT) | instid1(VALU_DEP_1)
	v_min_u32_e32 v4, 1, v4
	v_dual_sub_nc_u32 v5, 32, v6 :: v_dual_bitop2_b32 v4, v5, v4 bitop3:0x54
	s_delay_alu instid0(VALU_DEP_1) | instskip(NEXT) | instid1(VALU_DEP_1)
	v_cvt_f32_i32_e32 v4, v4
	v_ldexp_f32 v4, v4, v5
	global_store_b32 v[2:3], v4, off
.LBB78_1494:
	s_mov_b32 s40, 0
.LBB78_1495:
	s_delay_alu instid0(SALU_CYCLE_1)
	s_and_not1_b32 vcc_lo, exec_lo, s40
	s_cbranch_vccnz .LBB78_1497
; %bb.1496:
	s_wait_xcnt 0x0
	v_xor_b32_e32 v4, v0, v1
	v_cls_i32_e32 v5, v1
	s_delay_alu instid0(VALU_DEP_2) | instskip(NEXT) | instid1(VALU_DEP_1)
	v_ashrrev_i32_e32 v4, 31, v4
	v_add_nc_u32_e32 v4, 32, v4
	s_delay_alu instid0(VALU_DEP_1) | instskip(NEXT) | instid1(VALU_DEP_1)
	v_add_min_u32_e64 v6, v5, -1, v4
	v_lshlrev_b64_e32 v[4:5], v6, v[0:1]
	s_delay_alu instid0(VALU_DEP_1) | instskip(NEXT) | instid1(VALU_DEP_1)
	v_min_u32_e32 v4, 1, v4
	v_dual_sub_nc_u32 v5, 32, v6 :: v_dual_bitop2_b32 v4, v5, v4 bitop3:0x54
	s_delay_alu instid0(VALU_DEP_1) | instskip(NEXT) | instid1(VALU_DEP_1)
	v_cvt_f32_i32_e32 v4, v4
	v_ldexp_f32 v4, v4, v5
	s_delay_alu instid0(VALU_DEP_1)
	v_cvt_f16_f32_e32 v4, v4
	global_store_b16 v[2:3], v4, off
.LBB78_1497:
	s_mov_b32 s40, 0
.LBB78_1498:
	s_delay_alu instid0(SALU_CYCLE_1)
	s_and_not1_b32 vcc_lo, exec_lo, s40
	s_cbranch_vccnz .LBB78_1514
; %bb.1499:
	s_cmp_lt_i32 s39, 2
	s_mov_b32 s40, -1
	s_cbranch_scc1 .LBB78_1509
; %bb.1500:
	s_cmp_lt_i32 s39, 3
	s_cbranch_scc1 .LBB78_1506
; %bb.1501:
	s_cmp_gt_i32 s39, 3
	s_cbranch_scc0 .LBB78_1503
; %bb.1502:
	s_mov_b32 s40, 0
	global_store_b64 v[2:3], v[0:1], off
.LBB78_1503:
	s_and_not1_b32 vcc_lo, exec_lo, s40
	s_cbranch_vccnz .LBB78_1505
; %bb.1504:
	global_store_b32 v[2:3], v0, off
.LBB78_1505:
	s_mov_b32 s40, 0
.LBB78_1506:
	s_delay_alu instid0(SALU_CYCLE_1)
	s_and_not1_b32 vcc_lo, exec_lo, s40
	s_cbranch_vccnz .LBB78_1508
; %bb.1507:
	global_store_b16 v[2:3], v0, off
.LBB78_1508:
	s_mov_b32 s40, 0
.LBB78_1509:
	s_delay_alu instid0(SALU_CYCLE_1)
	s_and_not1_b32 vcc_lo, exec_lo, s40
	s_cbranch_vccnz .LBB78_1514
; %bb.1510:
	s_cmp_gt_i32 s39, 0
	s_mov_b32 s39, -1
	s_cbranch_scc0 .LBB78_1512
; %bb.1511:
	s_mov_b32 s39, 0
	global_store_b8 v[2:3], v0, off
.LBB78_1512:
	s_and_not1_b32 vcc_lo, exec_lo, s39
	s_cbranch_vccnz .LBB78_1514
; %bb.1513:
	global_store_b8 v[2:3], v0, off
.LBB78_1514:
	s_mov_b32 s41, -1
.LBB78_1515:
	s_delay_alu instid0(SALU_CYCLE_1)
	s_and_not1_b32 vcc_lo, exec_lo, s41
	s_cbranch_vccnz .LBB78_1517
; %bb.1516:
	v_add_nc_u32_e32 v26, 0x80, v26
	s_mov_b32 s40, -1
	s_branch .LBB78_1519
.LBB78_1517:
	s_mov_b32 s40, 0
.LBB78_1518:
                                        ; implicit-def: $vgpr26
.LBB78_1519:
	s_and_not1_b32 s39, s30, exec_lo
	s_and_b32 s0, s0, exec_lo
	s_and_not1_b32 s41, s31, exec_lo
	s_and_b32 s38, s38, exec_lo
	s_or_b32 s39, s39, s0
	s_or_b32 s38, s41, s38
	s_and_not1_b32 s0, s33, exec_lo
	s_and_b32 s37, s37, exec_lo
	s_and_not1_b32 s41, s29, exec_lo
	s_and_b32 s36, s36, exec_lo
	s_or_b32 s37, s0, s37
	s_or_b32 s36, s41, s36
	s_or_not1_b32 s43, s40, exec_lo
.LBB78_1520:
	s_wait_xcnt 0x0
	s_or_b32 exec_lo, exec_lo, s35
	s_mov_b32 s40, 0
	s_mov_b32 s41, 0
	;; [unrolled: 1-line block ×3, first 2 shown]
                                        ; implicit-def: $sgpr0
                                        ; implicit-def: $vgpr2_vgpr3
                                        ; implicit-def: $vgpr0_vgpr1
	s_and_saveexec_b32 s35, s43
	s_cbranch_execz .LBB78_1597
; %bb.1521:
	v_cmp_gt_i32_e32 vcc_lo, s24, v26
	s_mov_b32 s44, s36
	s_mov_b32 s43, 0
	;; [unrolled: 1-line block ×3, first 2 shown]
                                        ; implicit-def: $sgpr0
                                        ; implicit-def: $vgpr2_vgpr3
                                        ; implicit-def: $vgpr0_vgpr1
	s_and_saveexec_b32 s24, vcc_lo
	s_cbranch_execz .LBB78_1596
; %bb.1522:
	s_wait_loadcnt 0x0
	v_mul_lo_u32 v0, v26, s13
	s_and_b32 s0, s21, 0xff
	s_delay_alu instid0(SALU_CYCLE_1) | instskip(NEXT) | instid1(VALU_DEP_1)
	s_cmp_lt_i32 s0, 11
	v_ashrrev_i32_e32 v1, 31, v0
	s_delay_alu instid0(VALU_DEP_1)
	v_add_nc_u64_e32 v[2:3], s[6:7], v[0:1]
	s_cbranch_scc1 .LBB78_1529
; %bb.1523:
	s_and_b32 s40, 0xffff, s0
	s_delay_alu instid0(SALU_CYCLE_1)
	s_cmp_gt_i32 s40, 25
	s_cbranch_scc0 .LBB78_1530
; %bb.1524:
	s_cmp_gt_i32 s40, 28
	s_cbranch_scc0 .LBB78_1531
; %bb.1525:
	s_cmp_gt_i32 s40, 43
	s_cbranch_scc0 .LBB78_1532
; %bb.1526:
	s_cmp_gt_i32 s40, 45
	s_cbranch_scc0 .LBB78_1533
; %bb.1527:
	s_cmp_eq_u32 s40, 46
	s_mov_b32 s44, 0
	s_cbranch_scc0 .LBB78_1534
; %bb.1528:
	global_load_b32 v0, v[2:3], off
	s_mov_b32 s43, -1
	s_wait_loadcnt 0x0
	v_lshlrev_b32_e32 v0, 16, v0
	s_delay_alu instid0(VALU_DEP_1) | instskip(NEXT) | instid1(VALU_DEP_1)
	v_trunc_f32_e32 v0, v0
	v_mul_f32_e64 v1, 0x2f800000, |v0|
	s_delay_alu instid0(VALU_DEP_1) | instskip(NEXT) | instid1(VALU_DEP_1)
	v_floor_f32_e32 v1, v1
	v_fma_f32 v4, 0xcf800000, v1, |v0|
	v_ashrrev_i32_e32 v0, 31, v0
	v_cvt_u32_f32_e32 v5, v1
	s_delay_alu instid0(VALU_DEP_3) | instskip(NEXT) | instid1(VALU_DEP_2)
	v_cvt_u32_f32_e32 v4, v4
	v_dual_mov_b32 v1, v0 :: v_dual_bitop2_b32 v5, v5, v0 bitop3:0x14
	s_delay_alu instid0(VALU_DEP_2) | instskip(NEXT) | instid1(VALU_DEP_1)
	v_xor_b32_e32 v4, v4, v0
	v_sub_nc_u64_e32 v[0:1], v[4:5], v[0:1]
	s_branch .LBB78_1536
.LBB78_1529:
	s_mov_b32 s40, -1
	s_mov_b32 s41, s36
                                        ; implicit-def: $vgpr0_vgpr1
	s_branch .LBB78_1595
.LBB78_1530:
	s_mov_b32 s44, -1
	s_mov_b32 s41, s36
                                        ; implicit-def: $vgpr0_vgpr1
	s_branch .LBB78_1563
.LBB78_1531:
	s_mov_b32 s44, -1
	s_mov_b32 s41, s36
                                        ; implicit-def: $vgpr0_vgpr1
	s_branch .LBB78_1546
.LBB78_1532:
	s_mov_b32 s44, -1
	s_mov_b32 s41, s36
                                        ; implicit-def: $vgpr0_vgpr1
	s_branch .LBB78_1541
.LBB78_1533:
	s_mov_b32 s44, -1
	s_mov_b32 s41, s36
	s_branch .LBB78_1535
.LBB78_1534:
	s_mov_b32 s41, -1
.LBB78_1535:
                                        ; implicit-def: $vgpr0_vgpr1
.LBB78_1536:
	s_and_b32 vcc_lo, exec_lo, s44
	s_cbranch_vccz .LBB78_1540
; %bb.1537:
	s_cmp_eq_u32 s40, 44
	s_cbranch_scc0 .LBB78_1539
; %bb.1538:
	global_load_u8 v6, v[2:3], off
	s_mov_b32 s41, 0
	s_mov_b32 s43, -1
	s_wait_loadcnt 0x0
	v_cmp_ne_u32_e32 vcc_lo, 0, v6
	v_lshlrev_b32_e32 v0, 23, v6
	s_delay_alu instid0(VALU_DEP_1) | instskip(NEXT) | instid1(VALU_DEP_1)
	v_trunc_f32_e32 v0, v0
	v_mul_f32_e64 v1, 0x2f800000, |v0|
	s_delay_alu instid0(VALU_DEP_1) | instskip(NEXT) | instid1(VALU_DEP_1)
	v_floor_f32_e32 v1, v1
	v_fma_f32 v4, 0xcf800000, v1, |v0|
	v_ashrrev_i32_e32 v0, 31, v0
	v_cvt_u32_f32_e32 v5, v1
	s_delay_alu instid0(VALU_DEP_3) | instskip(NEXT) | instid1(VALU_DEP_2)
	v_cvt_u32_f32_e32 v4, v4
	v_dual_mov_b32 v1, v0 :: v_dual_bitop2_b32 v5, v5, v0 bitop3:0x14
	s_delay_alu instid0(VALU_DEP_2) | instskip(NEXT) | instid1(VALU_DEP_1)
	v_xor_b32_e32 v4, v4, v0
	v_sub_nc_u64_e32 v[0:1], v[4:5], v[0:1]
	s_delay_alu instid0(VALU_DEP_1)
	v_dual_cndmask_b32 v1, 0, v1 :: v_dual_cndmask_b32 v0, 0, v0
	s_branch .LBB78_1540
.LBB78_1539:
	s_mov_b32 s41, -1
                                        ; implicit-def: $vgpr0_vgpr1
.LBB78_1540:
	s_mov_b32 s44, 0
.LBB78_1541:
	s_delay_alu instid0(SALU_CYCLE_1)
	s_and_b32 vcc_lo, exec_lo, s44
	s_cbranch_vccz .LBB78_1545
; %bb.1542:
	s_cmp_eq_u32 s40, 29
	s_cbranch_scc0 .LBB78_1544
; %bb.1543:
	global_load_b64 v[0:1], v[2:3], off
	s_mov_b32 s41, 0
	s_mov_b32 s43, -1
	s_branch .LBB78_1545
.LBB78_1544:
	s_mov_b32 s41, -1
                                        ; implicit-def: $vgpr0_vgpr1
.LBB78_1545:
	s_mov_b32 s44, 0
.LBB78_1546:
	s_delay_alu instid0(SALU_CYCLE_1)
	s_and_b32 vcc_lo, exec_lo, s44
	s_cbranch_vccz .LBB78_1562
; %bb.1547:
	s_cmp_lt_i32 s40, 27
	s_cbranch_scc1 .LBB78_1550
; %bb.1548:
	s_cmp_gt_i32 s40, 27
	s_cbranch_scc0 .LBB78_1551
; %bb.1549:
	s_wait_loadcnt 0x0
	global_load_b32 v0, v[2:3], off
	v_mov_b32_e32 v1, 0
	s_mov_b32 s43, 0
	s_branch .LBB78_1552
.LBB78_1550:
	s_mov_b32 s43, -1
                                        ; implicit-def: $vgpr0_vgpr1
	s_branch .LBB78_1555
.LBB78_1551:
	s_mov_b32 s43, -1
                                        ; implicit-def: $vgpr0_vgpr1
.LBB78_1552:
	s_delay_alu instid0(SALU_CYCLE_1)
	s_and_not1_b32 vcc_lo, exec_lo, s43
	s_cbranch_vccnz .LBB78_1554
; %bb.1553:
	s_wait_loadcnt 0x0
	global_load_u16 v0, v[2:3], off
	s_mov_b32 s43, 0
	s_delay_alu instid0(SALU_CYCLE_1)
	v_mov_b32_e32 v1, s43
	s_wait_loadcnt 0x0
	v_and_b32_e32 v0, 0xffff, v0
.LBB78_1554:
	s_mov_b32 s43, 0
.LBB78_1555:
	s_delay_alu instid0(SALU_CYCLE_1)
	s_and_not1_b32 vcc_lo, exec_lo, s43
	s_cbranch_vccnz .LBB78_1561
; %bb.1556:
	global_load_u8 v4, v[2:3], off
	s_mov_b32 s44, 0
	s_mov_b32 s43, exec_lo
	s_wait_loadcnt 0x0
	v_cmpx_lt_i16_e32 0x7f, v4
	s_xor_b32 s43, exec_lo, s43
	s_cbranch_execz .LBB78_1573
; %bb.1557:
	v_cmp_ne_u16_e32 vcc_lo, 0x80, v4
	s_and_b32 s44, vcc_lo, exec_lo
	s_and_not1_saveexec_b32 s43, s43
	s_cbranch_execnz .LBB78_1574
.LBB78_1558:
	s_or_b32 exec_lo, exec_lo, s43
	v_mov_b64_e32 v[0:1], 0
	s_and_saveexec_b32 s43, s44
	s_cbranch_execz .LBB78_1560
.LBB78_1559:
	v_and_b32_e32 v0, 0xffff, v4
	s_delay_alu instid0(VALU_DEP_1) | instskip(SKIP_1) | instid1(VALU_DEP_2)
	v_and_b32_e32 v1, 7, v0
	v_bfe_u32 v7, v0, 3, 4
	v_clz_i32_u32_e32 v5, v1
	s_delay_alu instid0(VALU_DEP_2) | instskip(NEXT) | instid1(VALU_DEP_2)
	v_cmp_eq_u32_e32 vcc_lo, 0, v7
	v_min_u32_e32 v5, 32, v5
	s_delay_alu instid0(VALU_DEP_1) | instskip(NEXT) | instid1(VALU_DEP_1)
	v_subrev_nc_u32_e32 v6, 28, v5
	v_dual_lshlrev_b32 v0, v6, v0 :: v_dual_sub_nc_u32 v5, 29, v5
	s_delay_alu instid0(VALU_DEP_1) | instskip(NEXT) | instid1(VALU_DEP_2)
	v_and_b32_e32 v0, 7, v0
	v_dual_cndmask_b32 v5, v7, v5 :: v_dual_lshlrev_b32 v4, 24, v4
	s_delay_alu instid0(VALU_DEP_2) | instskip(NEXT) | instid1(VALU_DEP_2)
	v_cndmask_b32_e32 v0, v1, v0, vcc_lo
	v_and_b32_e32 v1, 0x80000000, v4
	s_delay_alu instid0(VALU_DEP_3) | instskip(NEXT) | instid1(VALU_DEP_3)
	v_lshl_add_u32 v4, v5, 23, 0x3b800000
	v_lshlrev_b32_e32 v0, 20, v0
	s_delay_alu instid0(VALU_DEP_1) | instskip(NEXT) | instid1(VALU_DEP_1)
	v_or3_b32 v0, v1, v4, v0
	v_trunc_f32_e32 v0, v0
	s_delay_alu instid0(VALU_DEP_1) | instskip(NEXT) | instid1(VALU_DEP_1)
	v_mul_f32_e64 v1, 0x2f800000, |v0|
	v_floor_f32_e32 v1, v1
	s_delay_alu instid0(VALU_DEP_1) | instskip(SKIP_2) | instid1(VALU_DEP_3)
	v_fma_f32 v4, 0xcf800000, v1, |v0|
	v_ashrrev_i32_e32 v0, 31, v0
	v_cvt_u32_f32_e32 v5, v1
	v_cvt_u32_f32_e32 v4, v4
	s_delay_alu instid0(VALU_DEP_2) | instskip(NEXT) | instid1(VALU_DEP_2)
	v_dual_mov_b32 v1, v0 :: v_dual_bitop2_b32 v5, v5, v0 bitop3:0x14
	v_xor_b32_e32 v4, v4, v0
	s_delay_alu instid0(VALU_DEP_1)
	v_sub_nc_u64_e32 v[0:1], v[4:5], v[0:1]
.LBB78_1560:
	s_or_b32 exec_lo, exec_lo, s43
.LBB78_1561:
	s_mov_b32 s43, -1
.LBB78_1562:
	s_mov_b32 s44, 0
.LBB78_1563:
	s_delay_alu instid0(SALU_CYCLE_1)
	s_and_b32 vcc_lo, exec_lo, s44
	s_cbranch_vccz .LBB78_1594
; %bb.1564:
	s_cmp_gt_i32 s40, 22
	s_cbranch_scc0 .LBB78_1572
; %bb.1565:
	s_cmp_lt_i32 s40, 24
	s_cbranch_scc1 .LBB78_1575
; %bb.1566:
	s_cmp_gt_i32 s40, 24
	s_cbranch_scc0 .LBB78_1576
; %bb.1567:
	global_load_u8 v4, v[2:3], off
	s_mov_b32 s43, 0
	s_mov_b32 s42, exec_lo
	s_wait_loadcnt 0x0
	v_cmpx_lt_i16_e32 0x7f, v4
	s_xor_b32 s42, exec_lo, s42
	s_cbranch_execz .LBB78_1588
; %bb.1568:
	v_cmp_ne_u16_e32 vcc_lo, 0x80, v4
	s_and_b32 s43, vcc_lo, exec_lo
	s_and_not1_saveexec_b32 s42, s42
	s_cbranch_execnz .LBB78_1589
.LBB78_1569:
	s_or_b32 exec_lo, exec_lo, s42
	v_mov_b64_e32 v[0:1], 0
	s_and_saveexec_b32 s42, s43
	s_cbranch_execz .LBB78_1571
.LBB78_1570:
	v_and_b32_e32 v0, 0xffff, v4
	s_delay_alu instid0(VALU_DEP_1) | instskip(SKIP_1) | instid1(VALU_DEP_2)
	v_and_b32_e32 v1, 3, v0
	v_bfe_u32 v7, v0, 2, 5
	v_clz_i32_u32_e32 v5, v1
	s_delay_alu instid0(VALU_DEP_2) | instskip(NEXT) | instid1(VALU_DEP_2)
	v_cmp_eq_u32_e32 vcc_lo, 0, v7
	v_min_u32_e32 v5, 32, v5
	s_delay_alu instid0(VALU_DEP_1) | instskip(NEXT) | instid1(VALU_DEP_1)
	v_subrev_nc_u32_e32 v6, 29, v5
	v_dual_lshlrev_b32 v0, v6, v0 :: v_dual_sub_nc_u32 v5, 30, v5
	s_delay_alu instid0(VALU_DEP_1) | instskip(NEXT) | instid1(VALU_DEP_2)
	v_and_b32_e32 v0, 3, v0
	v_dual_cndmask_b32 v5, v7, v5 :: v_dual_lshlrev_b32 v4, 24, v4
	s_delay_alu instid0(VALU_DEP_2) | instskip(NEXT) | instid1(VALU_DEP_2)
	v_cndmask_b32_e32 v0, v1, v0, vcc_lo
	v_and_b32_e32 v1, 0x80000000, v4
	s_delay_alu instid0(VALU_DEP_3) | instskip(NEXT) | instid1(VALU_DEP_3)
	v_lshl_add_u32 v4, v5, 23, 0x37800000
	v_lshlrev_b32_e32 v0, 21, v0
	s_delay_alu instid0(VALU_DEP_1) | instskip(NEXT) | instid1(VALU_DEP_1)
	v_or3_b32 v0, v1, v4, v0
	v_trunc_f32_e32 v0, v0
	s_delay_alu instid0(VALU_DEP_1) | instskip(NEXT) | instid1(VALU_DEP_1)
	v_mul_f32_e64 v1, 0x2f800000, |v0|
	v_floor_f32_e32 v1, v1
	s_delay_alu instid0(VALU_DEP_1) | instskip(SKIP_2) | instid1(VALU_DEP_3)
	v_fma_f32 v4, 0xcf800000, v1, |v0|
	v_ashrrev_i32_e32 v0, 31, v0
	v_cvt_u32_f32_e32 v5, v1
	v_cvt_u32_f32_e32 v4, v4
	s_delay_alu instid0(VALU_DEP_2) | instskip(NEXT) | instid1(VALU_DEP_2)
	v_dual_mov_b32 v1, v0 :: v_dual_bitop2_b32 v5, v5, v0 bitop3:0x14
	v_xor_b32_e32 v4, v4, v0
	s_delay_alu instid0(VALU_DEP_1)
	v_sub_nc_u64_e32 v[0:1], v[4:5], v[0:1]
.LBB78_1571:
	s_or_b32 exec_lo, exec_lo, s42
	s_mov_b32 s42, 0
	s_branch .LBB78_1577
.LBB78_1572:
	s_mov_b32 s42, -1
                                        ; implicit-def: $vgpr0_vgpr1
	s_branch .LBB78_1583
.LBB78_1573:
	s_and_not1_saveexec_b32 s43, s43
	s_cbranch_execz .LBB78_1558
.LBB78_1574:
	v_cmp_ne_u16_e32 vcc_lo, 0, v4
	s_and_not1_b32 s44, s44, exec_lo
	s_and_b32 s45, vcc_lo, exec_lo
	s_delay_alu instid0(SALU_CYCLE_1)
	s_or_b32 s44, s44, s45
	s_or_b32 exec_lo, exec_lo, s43
	v_mov_b64_e32 v[0:1], 0
	s_and_saveexec_b32 s43, s44
	s_cbranch_execnz .LBB78_1559
	s_branch .LBB78_1560
.LBB78_1575:
	s_mov_b32 s42, -1
                                        ; implicit-def: $vgpr0_vgpr1
	s_branch .LBB78_1580
.LBB78_1576:
	s_mov_b32 s42, -1
                                        ; implicit-def: $vgpr0_vgpr1
.LBB78_1577:
	s_delay_alu instid0(SALU_CYCLE_1)
	s_and_b32 vcc_lo, exec_lo, s42
	s_cbranch_vccz .LBB78_1579
; %bb.1578:
	s_wait_loadcnt 0x0
	global_load_u8 v0, v[2:3], off
	s_wait_loadcnt 0x0
	v_lshlrev_b32_e32 v0, 24, v0
	s_delay_alu instid0(VALU_DEP_1) | instskip(NEXT) | instid1(VALU_DEP_1)
	v_and_b32_e32 v1, 0x7f000000, v0
	v_clz_i32_u32_e32 v4, v1
	v_cmp_ne_u32_e32 vcc_lo, 0, v1
	v_add_nc_u32_e32 v6, 0x1000000, v1
	s_delay_alu instid0(VALU_DEP_3) | instskip(NEXT) | instid1(VALU_DEP_1)
	v_min_u32_e32 v4, 32, v4
	v_sub_nc_u32_e64 v4, v4, 4 clamp
	s_delay_alu instid0(VALU_DEP_1) | instskip(NEXT) | instid1(VALU_DEP_1)
	v_dual_lshlrev_b32 v5, v4, v1 :: v_dual_lshlrev_b32 v4, 23, v4
	v_lshrrev_b32_e32 v5, 4, v5
	s_delay_alu instid0(VALU_DEP_1) | instskip(NEXT) | instid1(VALU_DEP_1)
	v_dual_sub_nc_u32 v4, v5, v4 :: v_dual_ashrrev_i32 v5, 8, v6
	v_add_nc_u32_e32 v4, 0x3c000000, v4
	s_delay_alu instid0(VALU_DEP_1) | instskip(NEXT) | instid1(VALU_DEP_1)
	v_and_or_b32 v4, 0x7f800000, v5, v4
	v_cndmask_b32_e32 v1, 0, v4, vcc_lo
	s_delay_alu instid0(VALU_DEP_1) | instskip(NEXT) | instid1(VALU_DEP_1)
	v_and_or_b32 v0, 0x80000000, v0, v1
	v_trunc_f32_e32 v0, v0
	s_delay_alu instid0(VALU_DEP_1) | instskip(NEXT) | instid1(VALU_DEP_1)
	v_mul_f32_e64 v1, 0x2f800000, |v0|
	v_floor_f32_e32 v1, v1
	s_delay_alu instid0(VALU_DEP_1) | instskip(SKIP_2) | instid1(VALU_DEP_3)
	v_fma_f32 v4, 0xcf800000, v1, |v0|
	v_ashrrev_i32_e32 v0, 31, v0
	v_cvt_u32_f32_e32 v5, v1
	v_cvt_u32_f32_e32 v4, v4
	s_delay_alu instid0(VALU_DEP_2) | instskip(NEXT) | instid1(VALU_DEP_2)
	v_dual_mov_b32 v1, v0 :: v_dual_bitop2_b32 v5, v5, v0 bitop3:0x14
	v_xor_b32_e32 v4, v4, v0
	s_delay_alu instid0(VALU_DEP_1)
	v_sub_nc_u64_e32 v[0:1], v[4:5], v[0:1]
.LBB78_1579:
	s_mov_b32 s42, 0
.LBB78_1580:
	s_delay_alu instid0(SALU_CYCLE_1)
	s_and_not1_b32 vcc_lo, exec_lo, s42
	s_cbranch_vccnz .LBB78_1582
; %bb.1581:
	s_wait_loadcnt 0x0
	global_load_u8 v0, v[2:3], off
	s_wait_loadcnt 0x0
	v_lshlrev_b32_e32 v1, 25, v0
	v_lshlrev_b16 v0, 8, v0
	s_delay_alu instid0(VALU_DEP_1) | instskip(SKIP_1) | instid1(VALU_DEP_2)
	v_and_or_b32 v5, 0x7f00, v0, 0.5
	v_bfe_i32 v0, v0, 0, 16
	v_add_f32_e32 v5, -0.5, v5
	v_lshrrev_b32_e32 v4, 4, v1
	v_cmp_gt_u32_e32 vcc_lo, 0x8000000, v1
	s_delay_alu instid0(VALU_DEP_2) | instskip(NEXT) | instid1(VALU_DEP_1)
	v_or_b32_e32 v4, 0x70000000, v4
	v_mul_f32_e32 v4, 0x7800000, v4
	s_delay_alu instid0(VALU_DEP_1) | instskip(NEXT) | instid1(VALU_DEP_1)
	v_cndmask_b32_e32 v1, v4, v5, vcc_lo
	v_and_or_b32 v0, 0x80000000, v0, v1
	s_delay_alu instid0(VALU_DEP_1) | instskip(NEXT) | instid1(VALU_DEP_1)
	v_trunc_f32_e32 v0, v0
	v_mul_f32_e64 v1, 0x2f800000, |v0|
	s_delay_alu instid0(VALU_DEP_1) | instskip(NEXT) | instid1(VALU_DEP_1)
	v_floor_f32_e32 v1, v1
	v_fma_f32 v4, 0xcf800000, v1, |v0|
	v_ashrrev_i32_e32 v0, 31, v0
	v_cvt_u32_f32_e32 v5, v1
	s_delay_alu instid0(VALU_DEP_3) | instskip(NEXT) | instid1(VALU_DEP_2)
	v_cvt_u32_f32_e32 v4, v4
	v_dual_mov_b32 v1, v0 :: v_dual_bitop2_b32 v5, v5, v0 bitop3:0x14
	s_delay_alu instid0(VALU_DEP_2) | instskip(NEXT) | instid1(VALU_DEP_1)
	v_xor_b32_e32 v4, v4, v0
	v_sub_nc_u64_e32 v[0:1], v[4:5], v[0:1]
.LBB78_1582:
	s_mov_b32 s42, 0
	s_mov_b32 s43, -1
.LBB78_1583:
	s_and_not1_b32 vcc_lo, exec_lo, s42
	s_mov_b32 s42, 0
	s_cbranch_vccnz .LBB78_1594
; %bb.1584:
	s_cmp_gt_i32 s40, 14
	s_cbranch_scc0 .LBB78_1587
; %bb.1585:
	s_cmp_eq_u32 s40, 15
	s_cbranch_scc0 .LBB78_1590
; %bb.1586:
	s_wait_loadcnt 0x0
	global_load_u16 v0, v[2:3], off
	s_mov_b32 s41, 0
	s_mov_b32 s43, -1
	s_wait_loadcnt 0x0
	v_lshlrev_b32_e32 v0, 16, v0
	s_delay_alu instid0(VALU_DEP_1) | instskip(NEXT) | instid1(VALU_DEP_1)
	v_trunc_f32_e32 v0, v0
	v_mul_f32_e64 v1, 0x2f800000, |v0|
	s_delay_alu instid0(VALU_DEP_1) | instskip(NEXT) | instid1(VALU_DEP_1)
	v_floor_f32_e32 v1, v1
	v_fma_f32 v4, 0xcf800000, v1, |v0|
	v_ashrrev_i32_e32 v0, 31, v0
	v_cvt_u32_f32_e32 v5, v1
	s_delay_alu instid0(VALU_DEP_3) | instskip(NEXT) | instid1(VALU_DEP_2)
	v_cvt_u32_f32_e32 v4, v4
	v_dual_mov_b32 v1, v0 :: v_dual_bitop2_b32 v5, v5, v0 bitop3:0x14
	s_delay_alu instid0(VALU_DEP_2) | instskip(NEXT) | instid1(VALU_DEP_1)
	v_xor_b32_e32 v4, v4, v0
	v_sub_nc_u64_e32 v[0:1], v[4:5], v[0:1]
	s_branch .LBB78_1592
.LBB78_1587:
	s_mov_b32 s42, -1
	s_branch .LBB78_1591
.LBB78_1588:
	s_and_not1_saveexec_b32 s42, s42
	s_cbranch_execz .LBB78_1569
.LBB78_1589:
	v_cmp_ne_u16_e32 vcc_lo, 0, v4
	s_and_not1_b32 s43, s43, exec_lo
	s_and_b32 s44, vcc_lo, exec_lo
	s_delay_alu instid0(SALU_CYCLE_1)
	s_or_b32 s43, s43, s44
	s_or_b32 exec_lo, exec_lo, s42
	v_mov_b64_e32 v[0:1], 0
	s_and_saveexec_b32 s42, s43
	s_cbranch_execnz .LBB78_1570
	s_branch .LBB78_1571
.LBB78_1590:
	s_mov_b32 s41, -1
.LBB78_1591:
                                        ; implicit-def: $vgpr0_vgpr1
.LBB78_1592:
	s_and_b32 vcc_lo, exec_lo, s42
	s_mov_b32 s42, 0
	s_cbranch_vccz .LBB78_1594
; %bb.1593:
	s_cmp_lg_u32 s40, 11
	s_mov_b32 s42, -1
	s_cselect_b32 s40, -1, 0
	s_and_not1_b32 s41, s41, exec_lo
	s_and_b32 s40, s40, exec_lo
	s_delay_alu instid0(SALU_CYCLE_1)
	s_or_b32 s41, s41, s40
.LBB78_1594:
	s_mov_b32 s40, 0
.LBB78_1595:
	s_and_not1_b32 s44, s36, exec_lo
	s_and_b32 s41, s41, exec_lo
	s_and_b32 s45, s43, exec_lo
	;; [unrolled: 1-line block ×4, first 2 shown]
	s_or_b32 s44, s44, s41
.LBB78_1596:
	s_wait_xcnt 0x0
	s_or_b32 exec_lo, exec_lo, s24
	s_delay_alu instid0(SALU_CYCLE_1)
	s_and_not1_b32 s24, s36, exec_lo
	s_and_b32 s36, s44, exec_lo
	s_and_b32 s42, s45, exec_lo
	;; [unrolled: 1-line block ×4, first 2 shown]
	s_or_b32 s36, s24, s36
.LBB78_1597:
	s_or_b32 exec_lo, exec_lo, s35
	s_delay_alu instid0(SALU_CYCLE_1)
	s_and_not1_b32 s24, s30, exec_lo
	s_and_b32 s30, s39, exec_lo
	s_and_not1_b32 s33, s33, exec_lo
	s_or_b32 s30, s24, s30
	s_and_not1_b32 s24, s31, exec_lo
	s_and_b32 s31, s38, exec_lo
	s_and_b32 s35, s37, exec_lo
	s_or_b32 s31, s24, s31
	s_and_not1_b32 s24, s29, exec_lo
	s_and_b32 s29, s36, exec_lo
	s_or_b32 s33, s33, s35
	s_and_b32 s38, s42, exec_lo
	s_and_b32 s37, s41, exec_lo
	;; [unrolled: 1-line block ×3, first 2 shown]
	s_or_b32 s29, s24, s29
.LBB78_1598:
	s_or_b32 exec_lo, exec_lo, s34
	s_delay_alu instid0(SALU_CYCLE_1)
	s_and_not1_b32 s23, s23, exec_lo
	s_and_b32 s24, s30, exec_lo
	s_and_not1_b32 s26, s26, exec_lo
	s_or_b32 s23, s23, s24
	s_and_not1_b32 s24, s25, exec_lo
	s_and_b32 s25, s31, exec_lo
	s_and_b32 s30, s33, exec_lo
	s_or_b32 s25, s24, s25
	s_and_not1_b32 s24, s27, exec_lo
	s_and_b32 s27, s29, exec_lo
	s_or_b32 s26, s26, s30
	s_and_b32 s30, s38, exec_lo
	s_and_b32 s31, s37, exec_lo
	s_and_b32 s29, s35, exec_lo
	s_or_b32 s27, s24, s27
	s_or_b32 exec_lo, exec_lo, s28
	s_mov_b32 s24, 0
	s_and_saveexec_b32 s28, s27
	s_cbranch_execz .LBB78_510
.LBB78_1599:
	s_mov_b32 s24, exec_lo
	s_and_not1_b32 s29, s29, exec_lo
	s_trap 2
	s_or_b32 exec_lo, exec_lo, s28
	s_and_saveexec_b32 s27, s29
	s_delay_alu instid0(SALU_CYCLE_1)
	s_xor_b32 s27, exec_lo, s27
	s_cbranch_execnz .LBB78_511
.LBB78_1600:
	s_or_b32 exec_lo, exec_lo, s27
	s_and_saveexec_b32 s27, s31
	s_cbranch_execz .LBB78_1646
.LBB78_1601:
	s_sext_i32_i16 s28, s0
	s_delay_alu instid0(SALU_CYCLE_1)
	s_cmp_lt_i32 s28, 5
	s_cbranch_scc1 .LBB78_1606
; %bb.1602:
	s_cmp_lt_i32 s28, 8
	s_cbranch_scc1 .LBB78_1607
; %bb.1603:
	;; [unrolled: 3-line block ×3, first 2 shown]
	s_cmp_gt_i32 s28, 9
	s_cbranch_scc0 .LBB78_1609
; %bb.1605:
	s_wait_loadcnt 0x0
	global_load_b64 v[0:1], v[2:3], off
	s_mov_b32 s28, 0
	s_wait_loadcnt 0x0
	v_trunc_f64_e32 v[0:1], v[0:1]
	s_delay_alu instid0(VALU_DEP_1) | instskip(NEXT) | instid1(VALU_DEP_1)
	v_ldexp_f64 v[4:5], v[0:1], 0xffffffe0
	v_floor_f64_e32 v[4:5], v[4:5]
	s_delay_alu instid0(VALU_DEP_1) | instskip(SKIP_1) | instid1(VALU_DEP_2)
	v_fmamk_f64 v[6:7], v[4:5], 0xc1f00000, v[0:1]
	v_cvt_i32_f64_e32 v1, v[4:5]
	v_cvt_u32_f64_e32 v0, v[6:7]
	s_branch .LBB78_1610
.LBB78_1606:
                                        ; implicit-def: $vgpr0_vgpr1
	s_branch .LBB78_1627
.LBB78_1607:
                                        ; implicit-def: $vgpr0_vgpr1
	s_branch .LBB78_1616
.LBB78_1608:
	s_mov_b32 s28, -1
                                        ; implicit-def: $vgpr0_vgpr1
	s_branch .LBB78_1613
.LBB78_1609:
	s_mov_b32 s28, -1
                                        ; implicit-def: $vgpr0_vgpr1
.LBB78_1610:
	s_delay_alu instid0(SALU_CYCLE_1)
	s_and_not1_b32 vcc_lo, exec_lo, s28
	s_cbranch_vccnz .LBB78_1612
; %bb.1611:
	s_wait_loadcnt 0x0
	global_load_b32 v0, v[2:3], off
	s_wait_loadcnt 0x0
	v_trunc_f32_e32 v0, v0
	s_delay_alu instid0(VALU_DEP_1) | instskip(NEXT) | instid1(VALU_DEP_1)
	v_mul_f32_e64 v1, 0x2f800000, |v0|
	v_floor_f32_e32 v1, v1
	s_delay_alu instid0(VALU_DEP_1) | instskip(SKIP_2) | instid1(VALU_DEP_3)
	v_fma_f32 v4, 0xcf800000, v1, |v0|
	v_ashrrev_i32_e32 v0, 31, v0
	v_cvt_u32_f32_e32 v5, v1
	v_cvt_u32_f32_e32 v4, v4
	s_delay_alu instid0(VALU_DEP_2) | instskip(NEXT) | instid1(VALU_DEP_2)
	v_dual_mov_b32 v1, v0 :: v_dual_bitop2_b32 v5, v5, v0 bitop3:0x14
	v_xor_b32_e32 v4, v4, v0
	s_delay_alu instid0(VALU_DEP_1)
	v_sub_nc_u64_e32 v[0:1], v[4:5], v[0:1]
.LBB78_1612:
	s_mov_b32 s28, 0
.LBB78_1613:
	s_delay_alu instid0(SALU_CYCLE_1)
	s_and_not1_b32 vcc_lo, exec_lo, s28
	s_cbranch_vccnz .LBB78_1615
; %bb.1614:
	s_wait_loadcnt 0x0
	global_load_b32 v0, v[2:3], off
	s_wait_loadcnt 0x0
	v_cvt_f32_f16_e32 v0, v0
	s_delay_alu instid0(VALU_DEP_1) | instskip(NEXT) | instid1(VALU_DEP_1)
	v_cvt_i32_f32_e32 v0, v0
	v_ashrrev_i32_e32 v1, 31, v0
.LBB78_1615:
	s_cbranch_execnz .LBB78_1626
.LBB78_1616:
	s_sext_i32_i16 s28, s0
	s_delay_alu instid0(SALU_CYCLE_1)
	s_cmp_lt_i32 s28, 6
	s_cbranch_scc1 .LBB78_1619
; %bb.1617:
	s_cmp_gt_i32 s28, 6
	s_cbranch_scc0 .LBB78_1620
; %bb.1618:
	s_wait_loadcnt 0x0
	global_load_b64 v[0:1], v[2:3], off
	s_mov_b32 s28, 0
	s_wait_loadcnt 0x0
	v_trunc_f64_e32 v[0:1], v[0:1]
	s_delay_alu instid0(VALU_DEP_1) | instskip(NEXT) | instid1(VALU_DEP_1)
	v_ldexp_f64 v[4:5], v[0:1], 0xffffffe0
	v_floor_f64_e32 v[4:5], v[4:5]
	s_delay_alu instid0(VALU_DEP_1) | instskip(SKIP_1) | instid1(VALU_DEP_2)
	v_fmamk_f64 v[6:7], v[4:5], 0xc1f00000, v[0:1]
	v_cvt_i32_f64_e32 v1, v[4:5]
	v_cvt_u32_f64_e32 v0, v[6:7]
	s_branch .LBB78_1621
.LBB78_1619:
	s_mov_b32 s28, -1
                                        ; implicit-def: $vgpr0_vgpr1
	s_branch .LBB78_1624
.LBB78_1620:
	s_mov_b32 s28, -1
                                        ; implicit-def: $vgpr0_vgpr1
.LBB78_1621:
	s_delay_alu instid0(SALU_CYCLE_1)
	s_and_not1_b32 vcc_lo, exec_lo, s28
	s_cbranch_vccnz .LBB78_1623
; %bb.1622:
	s_wait_loadcnt 0x0
	global_load_b32 v0, v[2:3], off
	s_wait_loadcnt 0x0
	v_trunc_f32_e32 v0, v0
	s_delay_alu instid0(VALU_DEP_1) | instskip(NEXT) | instid1(VALU_DEP_1)
	v_mul_f32_e64 v1, 0x2f800000, |v0|
	v_floor_f32_e32 v1, v1
	s_delay_alu instid0(VALU_DEP_1) | instskip(SKIP_2) | instid1(VALU_DEP_3)
	v_fma_f32 v4, 0xcf800000, v1, |v0|
	v_ashrrev_i32_e32 v0, 31, v0
	v_cvt_u32_f32_e32 v5, v1
	v_cvt_u32_f32_e32 v4, v4
	s_delay_alu instid0(VALU_DEP_2) | instskip(NEXT) | instid1(VALU_DEP_2)
	v_dual_mov_b32 v1, v0 :: v_dual_bitop2_b32 v5, v5, v0 bitop3:0x14
	v_xor_b32_e32 v4, v4, v0
	s_delay_alu instid0(VALU_DEP_1)
	v_sub_nc_u64_e32 v[0:1], v[4:5], v[0:1]
.LBB78_1623:
	s_mov_b32 s28, 0
.LBB78_1624:
	s_delay_alu instid0(SALU_CYCLE_1)
	s_and_not1_b32 vcc_lo, exec_lo, s28
	s_cbranch_vccnz .LBB78_1626
; %bb.1625:
	s_wait_loadcnt 0x0
	global_load_u16 v0, v[2:3], off
	s_wait_loadcnt 0x0
	v_cvt_f32_f16_e32 v0, v0
	s_delay_alu instid0(VALU_DEP_1) | instskip(NEXT) | instid1(VALU_DEP_1)
	v_cvt_i32_f32_e32 v0, v0
	v_ashrrev_i32_e32 v1, 31, v0
.LBB78_1626:
	s_cbranch_execnz .LBB78_1645
.LBB78_1627:
	s_sext_i32_i16 s28, s0
	s_delay_alu instid0(SALU_CYCLE_1)
	s_cmp_lt_i32 s28, 2
	s_cbranch_scc1 .LBB78_1631
; %bb.1628:
	s_cmp_lt_i32 s28, 3
	s_cbranch_scc1 .LBB78_1632
; %bb.1629:
	s_cmp_gt_i32 s28, 3
	s_cbranch_scc0 .LBB78_1633
; %bb.1630:
	s_wait_loadcnt 0x0
	global_load_b64 v[0:1], v[2:3], off
	s_mov_b32 s28, 0
	s_branch .LBB78_1634
.LBB78_1631:
                                        ; implicit-def: $vgpr0_vgpr1
	s_branch .LBB78_1640
.LBB78_1632:
	s_mov_b32 s28, -1
                                        ; implicit-def: $vgpr0_vgpr1
	s_branch .LBB78_1637
.LBB78_1633:
	s_mov_b32 s28, -1
                                        ; implicit-def: $vgpr0_vgpr1
.LBB78_1634:
	s_delay_alu instid0(SALU_CYCLE_1)
	s_and_not1_b32 vcc_lo, exec_lo, s28
	s_cbranch_vccnz .LBB78_1636
; %bb.1635:
	s_wait_loadcnt 0x0
	global_load_b32 v0, v[2:3], off
	s_wait_loadcnt 0x0
	v_ashrrev_i32_e32 v1, 31, v0
.LBB78_1636:
	s_mov_b32 s28, 0
.LBB78_1637:
	s_delay_alu instid0(SALU_CYCLE_1)
	s_and_not1_b32 vcc_lo, exec_lo, s28
	s_cbranch_vccnz .LBB78_1639
; %bb.1638:
	s_wait_loadcnt 0x0
	global_load_u16 v0, v[2:3], off
	s_wait_loadcnt 0x0
	v_bfe_i32 v0, v0, 0, 16
	s_delay_alu instid0(VALU_DEP_1)
	v_ashrrev_i32_e32 v1, 31, v0
.LBB78_1639:
	s_cbranch_execnz .LBB78_1645
.LBB78_1640:
	s_sext_i32_i16 s0, s0
	s_delay_alu instid0(SALU_CYCLE_1)
	s_cmp_gt_i32 s0, 0
	s_mov_b32 s0, 0
	s_cbranch_scc0 .LBB78_1642
; %bb.1641:
	s_wait_loadcnt 0x0
	global_load_i8 v0, v[2:3], off
	s_wait_loadcnt 0x0
	v_bfe_i32 v0, v0, 0, 16
	s_delay_alu instid0(VALU_DEP_1)
	v_ashrrev_i32_e32 v1, 31, v0
	s_branch .LBB78_1643
.LBB78_1642:
	s_mov_b32 s0, -1
                                        ; implicit-def: $vgpr0_vgpr1
.LBB78_1643:
	s_delay_alu instid0(SALU_CYCLE_1)
	s_and_not1_b32 vcc_lo, exec_lo, s0
	s_cbranch_vccnz .LBB78_1645
; %bb.1644:
	s_wait_loadcnt 0x0
	global_load_u8 v0, v[2:3], off
	s_mov_b32 s0, 0
	s_delay_alu instid0(SALU_CYCLE_1)
	v_mov_b32_e32 v1, s0
	s_wait_loadcnt 0x0
	v_and_b32_e32 v0, 0xffff, v0
.LBB78_1645:
	s_or_b32 s30, s30, exec_lo
.LBB78_1646:
	s_wait_xcnt 0x0
	s_or_b32 exec_lo, exec_lo, s27
	s_mov_b32 s29, 0
	s_mov_b32 s31, 0
	;; [unrolled: 1-line block ×3, first 2 shown]
                                        ; implicit-def: $sgpr0
                                        ; implicit-def: $vgpr4_vgpr5
                                        ; implicit-def: $vgpr2_vgpr3
	s_and_saveexec_b32 s27, s30
	s_cbranch_execz .LBB78_1654
; %bb.1647:
	s_wait_loadcnt 0x0
	v_mul_lo_u32 v2, v26, s14
	s_and_b32 s0, s3, 0xff
	s_delay_alu instid0(SALU_CYCLE_1) | instskip(NEXT) | instid1(VALU_DEP_1)
	s_cmp_lt_i32 s0, 11
	v_ashrrev_i32_e32 v3, 31, v2
	s_delay_alu instid0(VALU_DEP_1)
	v_add_nc_u64_e32 v[4:5], s[8:9], v[2:3]
	s_cbranch_scc1 .LBB78_1657
; %bb.1648:
	s_and_b32 s28, 0xffff, s0
	s_mov_b32 s30, 0
	s_cmp_gt_i32 s28, 25
	s_cbranch_scc0 .LBB78_1658
; %bb.1649:
	s_cmp_gt_i32 s28, 28
	s_cbranch_scc0 .LBB78_1659
; %bb.1650:
	;; [unrolled: 3-line block ×4, first 2 shown]
	s_cmp_eq_u32 s28, 46
	s_mov_b32 s33, 0
	s_cbranch_scc0 .LBB78_1662
; %bb.1653:
	global_load_b32 v2, v[4:5], off
	s_mov_b32 s31, -1
	s_wait_loadcnt 0x0
	v_lshlrev_b32_e32 v2, 16, v2
	s_delay_alu instid0(VALU_DEP_1) | instskip(NEXT) | instid1(VALU_DEP_1)
	v_trunc_f32_e32 v2, v2
	v_mul_f32_e64 v3, 0x2f800000, |v2|
	s_delay_alu instid0(VALU_DEP_1) | instskip(NEXT) | instid1(VALU_DEP_1)
	v_floor_f32_e32 v3, v3
	v_fma_f32 v6, 0xcf800000, v3, |v2|
	v_ashrrev_i32_e32 v2, 31, v2
	v_cvt_u32_f32_e32 v7, v3
	s_delay_alu instid0(VALU_DEP_3) | instskip(NEXT) | instid1(VALU_DEP_2)
	v_cvt_u32_f32_e32 v6, v6
	v_dual_mov_b32 v3, v2 :: v_dual_bitop2_b32 v7, v7, v2 bitop3:0x14
	s_delay_alu instid0(VALU_DEP_2) | instskip(NEXT) | instid1(VALU_DEP_1)
	v_xor_b32_e32 v6, v6, v2
	v_sub_nc_u64_e32 v[2:3], v[6:7], v[2:3]
	s_branch .LBB78_1664
.LBB78_1654:
	s_or_b32 exec_lo, exec_lo, s27
	s_and_saveexec_b32 s27, s26
	s_cbranch_execnz .LBB78_1723
.LBB78_1655:
	s_or_b32 exec_lo, exec_lo, s27
	s_and_saveexec_b32 s26, s29
	s_delay_alu instid0(SALU_CYCLE_1)
	s_xor_b32 s26, exec_lo, s26
	s_cbranch_execz .LBB78_1724
.LBB78_1656:
	s_wait_loadcnt 0x0
	global_load_u8 v2, v[4:5], off
	s_mov_b32 s27, 0
	s_or_b32 s28, s28, exec_lo
	v_mov_b32_e32 v3, s27
	s_wait_loadcnt 0x0
	v_cmp_ne_u16_e32 vcc_lo, 0, v2
	v_cndmask_b32_e64 v2, 0, 1, vcc_lo
	s_wait_xcnt 0x0
	s_or_b32 exec_lo, exec_lo, s26
	s_and_saveexec_b32 s26, s31
	s_cbranch_execz .LBB78_1770
	s_branch .LBB78_1725
.LBB78_1657:
	s_mov_b32 s33, -1
	s_mov_b32 s30, 0
	s_mov_b32 s29, s26
                                        ; implicit-def: $vgpr2_vgpr3
	s_branch .LBB78_1722
.LBB78_1658:
	s_mov_b32 s29, s26
                                        ; implicit-def: $vgpr2_vgpr3
	s_cbranch_execnz .LBB78_1691
	s_branch .LBB78_1721
.LBB78_1659:
	s_mov_b32 s33, -1
	s_mov_b32 s29, s26
                                        ; implicit-def: $vgpr2_vgpr3
	s_branch .LBB78_1674
.LBB78_1660:
	s_mov_b32 s33, -1
	s_mov_b32 s29, s26
                                        ; implicit-def: $vgpr2_vgpr3
	s_branch .LBB78_1669
.LBB78_1661:
	s_mov_b32 s33, -1
	s_mov_b32 s29, s26
	s_branch .LBB78_1663
.LBB78_1662:
	s_mov_b32 s29, -1
.LBB78_1663:
                                        ; implicit-def: $vgpr2_vgpr3
.LBB78_1664:
	s_and_b32 vcc_lo, exec_lo, s33
	s_cbranch_vccz .LBB78_1668
; %bb.1665:
	s_cmp_eq_u32 s28, 44
	s_cbranch_scc0 .LBB78_1667
; %bb.1666:
	global_load_u8 v8, v[4:5], off
	s_mov_b32 s29, 0
	s_mov_b32 s31, -1
	s_wait_loadcnt 0x0
	v_cmp_ne_u32_e32 vcc_lo, 0, v8
	v_lshlrev_b32_e32 v2, 23, v8
	s_delay_alu instid0(VALU_DEP_1) | instskip(NEXT) | instid1(VALU_DEP_1)
	v_trunc_f32_e32 v2, v2
	v_mul_f32_e64 v3, 0x2f800000, |v2|
	s_delay_alu instid0(VALU_DEP_1) | instskip(NEXT) | instid1(VALU_DEP_1)
	v_floor_f32_e32 v3, v3
	v_fma_f32 v6, 0xcf800000, v3, |v2|
	v_ashrrev_i32_e32 v2, 31, v2
	v_cvt_u32_f32_e32 v7, v3
	s_delay_alu instid0(VALU_DEP_3) | instskip(NEXT) | instid1(VALU_DEP_2)
	v_cvt_u32_f32_e32 v6, v6
	v_dual_mov_b32 v3, v2 :: v_dual_bitop2_b32 v7, v7, v2 bitop3:0x14
	s_delay_alu instid0(VALU_DEP_2) | instskip(NEXT) | instid1(VALU_DEP_1)
	v_xor_b32_e32 v6, v6, v2
	v_sub_nc_u64_e32 v[2:3], v[6:7], v[2:3]
	s_delay_alu instid0(VALU_DEP_1)
	v_dual_cndmask_b32 v3, 0, v3 :: v_dual_cndmask_b32 v2, 0, v2
	s_branch .LBB78_1668
.LBB78_1667:
	s_mov_b32 s29, -1
                                        ; implicit-def: $vgpr2_vgpr3
.LBB78_1668:
	s_mov_b32 s33, 0
.LBB78_1669:
	s_delay_alu instid0(SALU_CYCLE_1)
	s_and_b32 vcc_lo, exec_lo, s33
	s_cbranch_vccz .LBB78_1673
; %bb.1670:
	s_cmp_eq_u32 s28, 29
	s_cbranch_scc0 .LBB78_1672
; %bb.1671:
	global_load_b64 v[2:3], v[4:5], off
	s_mov_b32 s29, 0
	s_mov_b32 s31, -1
	s_branch .LBB78_1673
.LBB78_1672:
	s_mov_b32 s29, -1
                                        ; implicit-def: $vgpr2_vgpr3
.LBB78_1673:
	s_mov_b32 s33, 0
.LBB78_1674:
	s_delay_alu instid0(SALU_CYCLE_1)
	s_and_b32 vcc_lo, exec_lo, s33
	s_cbranch_vccz .LBB78_1690
; %bb.1675:
	s_cmp_lt_i32 s28, 27
	s_cbranch_scc1 .LBB78_1678
; %bb.1676:
	s_cmp_gt_i32 s28, 27
	s_cbranch_scc0 .LBB78_1679
; %bb.1677:
	s_wait_loadcnt 0x0
	global_load_b32 v2, v[4:5], off
	v_mov_b32_e32 v3, 0
	s_mov_b32 s31, 0
	s_branch .LBB78_1680
.LBB78_1678:
	s_mov_b32 s31, -1
                                        ; implicit-def: $vgpr2_vgpr3
	s_branch .LBB78_1683
.LBB78_1679:
	s_mov_b32 s31, -1
                                        ; implicit-def: $vgpr2_vgpr3
.LBB78_1680:
	s_delay_alu instid0(SALU_CYCLE_1)
	s_and_not1_b32 vcc_lo, exec_lo, s31
	s_cbranch_vccnz .LBB78_1682
; %bb.1681:
	s_wait_loadcnt 0x0
	global_load_u16 v2, v[4:5], off
	s_mov_b32 s31, 0
	s_delay_alu instid0(SALU_CYCLE_1)
	v_mov_b32_e32 v3, s31
	s_wait_loadcnt 0x0
	v_and_b32_e32 v2, 0xffff, v2
.LBB78_1682:
	s_mov_b32 s31, 0
.LBB78_1683:
	s_delay_alu instid0(SALU_CYCLE_1)
	s_and_not1_b32 vcc_lo, exec_lo, s31
	s_cbranch_vccnz .LBB78_1689
; %bb.1684:
	global_load_u8 v6, v[4:5], off
	s_mov_b32 s33, 0
	s_mov_b32 s31, exec_lo
	s_wait_loadcnt 0x0
	v_cmpx_lt_i16_e32 0x7f, v6
	s_xor_b32 s31, exec_lo, s31
	s_cbranch_execz .LBB78_1700
; %bb.1685:
	v_cmp_ne_u16_e32 vcc_lo, 0x80, v6
	s_and_b32 s33, vcc_lo, exec_lo
	s_and_not1_saveexec_b32 s31, s31
	s_cbranch_execnz .LBB78_1701
.LBB78_1686:
	s_or_b32 exec_lo, exec_lo, s31
	v_mov_b64_e32 v[2:3], 0
	s_and_saveexec_b32 s31, s33
	s_cbranch_execz .LBB78_1688
.LBB78_1687:
	v_and_b32_e32 v2, 0xffff, v6
	s_delay_alu instid0(VALU_DEP_1) | instskip(SKIP_1) | instid1(VALU_DEP_2)
	v_and_b32_e32 v3, 7, v2
	v_bfe_u32 v9, v2, 3, 4
	v_clz_i32_u32_e32 v7, v3
	s_delay_alu instid0(VALU_DEP_2) | instskip(NEXT) | instid1(VALU_DEP_2)
	v_cmp_eq_u32_e32 vcc_lo, 0, v9
	v_min_u32_e32 v7, 32, v7
	s_delay_alu instid0(VALU_DEP_1) | instskip(NEXT) | instid1(VALU_DEP_1)
	v_subrev_nc_u32_e32 v8, 28, v7
	v_dual_lshlrev_b32 v2, v8, v2 :: v_dual_sub_nc_u32 v7, 29, v7
	s_delay_alu instid0(VALU_DEP_1) | instskip(NEXT) | instid1(VALU_DEP_2)
	v_and_b32_e32 v2, 7, v2
	v_dual_cndmask_b32 v7, v9, v7 :: v_dual_lshlrev_b32 v6, 24, v6
	s_delay_alu instid0(VALU_DEP_2) | instskip(NEXT) | instid1(VALU_DEP_2)
	v_cndmask_b32_e32 v2, v3, v2, vcc_lo
	v_and_b32_e32 v3, 0x80000000, v6
	s_delay_alu instid0(VALU_DEP_3) | instskip(NEXT) | instid1(VALU_DEP_3)
	v_lshl_add_u32 v6, v7, 23, 0x3b800000
	v_lshlrev_b32_e32 v2, 20, v2
	s_delay_alu instid0(VALU_DEP_1) | instskip(NEXT) | instid1(VALU_DEP_1)
	v_or3_b32 v2, v3, v6, v2
	v_trunc_f32_e32 v2, v2
	s_delay_alu instid0(VALU_DEP_1) | instskip(NEXT) | instid1(VALU_DEP_1)
	v_mul_f32_e64 v3, 0x2f800000, |v2|
	v_floor_f32_e32 v3, v3
	s_delay_alu instid0(VALU_DEP_1) | instskip(SKIP_2) | instid1(VALU_DEP_3)
	v_fma_f32 v6, 0xcf800000, v3, |v2|
	v_ashrrev_i32_e32 v2, 31, v2
	v_cvt_u32_f32_e32 v7, v3
	v_cvt_u32_f32_e32 v6, v6
	s_delay_alu instid0(VALU_DEP_2) | instskip(NEXT) | instid1(VALU_DEP_2)
	v_dual_mov_b32 v3, v2 :: v_dual_bitop2_b32 v7, v7, v2 bitop3:0x14
	v_xor_b32_e32 v6, v6, v2
	s_delay_alu instid0(VALU_DEP_1)
	v_sub_nc_u64_e32 v[2:3], v[6:7], v[2:3]
.LBB78_1688:
	s_or_b32 exec_lo, exec_lo, s31
.LBB78_1689:
	s_mov_b32 s31, -1
.LBB78_1690:
	s_branch .LBB78_1721
.LBB78_1691:
	s_cmp_gt_i32 s28, 22
	s_cbranch_scc0 .LBB78_1699
; %bb.1692:
	s_cmp_lt_i32 s28, 24
	s_cbranch_scc1 .LBB78_1702
; %bb.1693:
	s_cmp_gt_i32 s28, 24
	s_cbranch_scc0 .LBB78_1703
; %bb.1694:
	global_load_u8 v6, v[4:5], off
	s_mov_b32 s31, 0
	s_mov_b32 s30, exec_lo
	s_wait_loadcnt 0x0
	v_cmpx_lt_i16_e32 0x7f, v6
	s_xor_b32 s30, exec_lo, s30
	s_cbranch_execz .LBB78_1715
; %bb.1695:
	v_cmp_ne_u16_e32 vcc_lo, 0x80, v6
	s_and_b32 s31, vcc_lo, exec_lo
	s_and_not1_saveexec_b32 s30, s30
	s_cbranch_execnz .LBB78_1716
.LBB78_1696:
	s_or_b32 exec_lo, exec_lo, s30
	v_mov_b64_e32 v[2:3], 0
	s_and_saveexec_b32 s30, s31
	s_cbranch_execz .LBB78_1698
.LBB78_1697:
	v_and_b32_e32 v2, 0xffff, v6
	s_delay_alu instid0(VALU_DEP_1) | instskip(SKIP_1) | instid1(VALU_DEP_2)
	v_and_b32_e32 v3, 3, v2
	v_bfe_u32 v9, v2, 2, 5
	v_clz_i32_u32_e32 v7, v3
	s_delay_alu instid0(VALU_DEP_2) | instskip(NEXT) | instid1(VALU_DEP_2)
	v_cmp_eq_u32_e32 vcc_lo, 0, v9
	v_min_u32_e32 v7, 32, v7
	s_delay_alu instid0(VALU_DEP_1) | instskip(NEXT) | instid1(VALU_DEP_1)
	v_subrev_nc_u32_e32 v8, 29, v7
	v_dual_lshlrev_b32 v2, v8, v2 :: v_dual_sub_nc_u32 v7, 30, v7
	s_delay_alu instid0(VALU_DEP_1) | instskip(NEXT) | instid1(VALU_DEP_2)
	v_and_b32_e32 v2, 3, v2
	v_dual_cndmask_b32 v7, v9, v7 :: v_dual_lshlrev_b32 v6, 24, v6
	s_delay_alu instid0(VALU_DEP_2) | instskip(NEXT) | instid1(VALU_DEP_2)
	v_cndmask_b32_e32 v2, v3, v2, vcc_lo
	v_and_b32_e32 v3, 0x80000000, v6
	s_delay_alu instid0(VALU_DEP_3) | instskip(NEXT) | instid1(VALU_DEP_3)
	v_lshl_add_u32 v6, v7, 23, 0x37800000
	v_lshlrev_b32_e32 v2, 21, v2
	s_delay_alu instid0(VALU_DEP_1) | instskip(NEXT) | instid1(VALU_DEP_1)
	v_or3_b32 v2, v3, v6, v2
	v_trunc_f32_e32 v2, v2
	s_delay_alu instid0(VALU_DEP_1) | instskip(NEXT) | instid1(VALU_DEP_1)
	v_mul_f32_e64 v3, 0x2f800000, |v2|
	v_floor_f32_e32 v3, v3
	s_delay_alu instid0(VALU_DEP_1) | instskip(SKIP_2) | instid1(VALU_DEP_3)
	v_fma_f32 v6, 0xcf800000, v3, |v2|
	v_ashrrev_i32_e32 v2, 31, v2
	v_cvt_u32_f32_e32 v7, v3
	v_cvt_u32_f32_e32 v6, v6
	s_delay_alu instid0(VALU_DEP_2) | instskip(NEXT) | instid1(VALU_DEP_2)
	v_dual_mov_b32 v3, v2 :: v_dual_bitop2_b32 v7, v7, v2 bitop3:0x14
	v_xor_b32_e32 v6, v6, v2
	s_delay_alu instid0(VALU_DEP_1)
	v_sub_nc_u64_e32 v[2:3], v[6:7], v[2:3]
.LBB78_1698:
	s_or_b32 exec_lo, exec_lo, s30
	s_mov_b32 s30, 0
	s_branch .LBB78_1704
.LBB78_1699:
	s_mov_b32 s30, -1
                                        ; implicit-def: $vgpr2_vgpr3
	s_branch .LBB78_1710
.LBB78_1700:
	s_and_not1_saveexec_b32 s31, s31
	s_cbranch_execz .LBB78_1686
.LBB78_1701:
	v_cmp_ne_u16_e32 vcc_lo, 0, v6
	s_and_not1_b32 s33, s33, exec_lo
	s_and_b32 s34, vcc_lo, exec_lo
	s_delay_alu instid0(SALU_CYCLE_1)
	s_or_b32 s33, s33, s34
	s_or_b32 exec_lo, exec_lo, s31
	v_mov_b64_e32 v[2:3], 0
	s_and_saveexec_b32 s31, s33
	s_cbranch_execnz .LBB78_1687
	s_branch .LBB78_1688
.LBB78_1702:
	s_mov_b32 s30, -1
                                        ; implicit-def: $vgpr2_vgpr3
	s_branch .LBB78_1707
.LBB78_1703:
	s_mov_b32 s30, -1
                                        ; implicit-def: $vgpr2_vgpr3
.LBB78_1704:
	s_delay_alu instid0(SALU_CYCLE_1)
	s_and_b32 vcc_lo, exec_lo, s30
	s_cbranch_vccz .LBB78_1706
; %bb.1705:
	s_wait_loadcnt 0x0
	global_load_u8 v2, v[4:5], off
	s_wait_loadcnt 0x0
	v_lshlrev_b32_e32 v2, 24, v2
	s_delay_alu instid0(VALU_DEP_1) | instskip(NEXT) | instid1(VALU_DEP_1)
	v_and_b32_e32 v3, 0x7f000000, v2
	v_clz_i32_u32_e32 v6, v3
	v_cmp_ne_u32_e32 vcc_lo, 0, v3
	v_add_nc_u32_e32 v8, 0x1000000, v3
	s_delay_alu instid0(VALU_DEP_3) | instskip(NEXT) | instid1(VALU_DEP_1)
	v_min_u32_e32 v6, 32, v6
	v_sub_nc_u32_e64 v6, v6, 4 clamp
	s_delay_alu instid0(VALU_DEP_1) | instskip(NEXT) | instid1(VALU_DEP_1)
	v_dual_lshlrev_b32 v7, v6, v3 :: v_dual_lshlrev_b32 v6, 23, v6
	v_lshrrev_b32_e32 v7, 4, v7
	s_delay_alu instid0(VALU_DEP_1) | instskip(NEXT) | instid1(VALU_DEP_1)
	v_dual_sub_nc_u32 v6, v7, v6 :: v_dual_ashrrev_i32 v7, 8, v8
	v_add_nc_u32_e32 v6, 0x3c000000, v6
	s_delay_alu instid0(VALU_DEP_1) | instskip(NEXT) | instid1(VALU_DEP_1)
	v_and_or_b32 v6, 0x7f800000, v7, v6
	v_cndmask_b32_e32 v3, 0, v6, vcc_lo
	s_delay_alu instid0(VALU_DEP_1) | instskip(NEXT) | instid1(VALU_DEP_1)
	v_and_or_b32 v2, 0x80000000, v2, v3
	v_trunc_f32_e32 v2, v2
	s_delay_alu instid0(VALU_DEP_1) | instskip(NEXT) | instid1(VALU_DEP_1)
	v_mul_f32_e64 v3, 0x2f800000, |v2|
	v_floor_f32_e32 v3, v3
	s_delay_alu instid0(VALU_DEP_1) | instskip(SKIP_2) | instid1(VALU_DEP_3)
	v_fma_f32 v6, 0xcf800000, v3, |v2|
	v_ashrrev_i32_e32 v2, 31, v2
	v_cvt_u32_f32_e32 v7, v3
	v_cvt_u32_f32_e32 v6, v6
	s_delay_alu instid0(VALU_DEP_2) | instskip(NEXT) | instid1(VALU_DEP_2)
	v_dual_mov_b32 v3, v2 :: v_dual_bitop2_b32 v7, v7, v2 bitop3:0x14
	v_xor_b32_e32 v6, v6, v2
	s_delay_alu instid0(VALU_DEP_1)
	v_sub_nc_u64_e32 v[2:3], v[6:7], v[2:3]
.LBB78_1706:
	s_mov_b32 s30, 0
.LBB78_1707:
	s_delay_alu instid0(SALU_CYCLE_1)
	s_and_not1_b32 vcc_lo, exec_lo, s30
	s_cbranch_vccnz .LBB78_1709
; %bb.1708:
	s_wait_loadcnt 0x0
	global_load_u8 v2, v[4:5], off
	s_wait_loadcnt 0x0
	v_lshlrev_b32_e32 v3, 25, v2
	v_lshlrev_b16 v2, 8, v2
	s_delay_alu instid0(VALU_DEP_1) | instskip(SKIP_1) | instid1(VALU_DEP_2)
	v_and_or_b32 v7, 0x7f00, v2, 0.5
	v_bfe_i32 v2, v2, 0, 16
	v_add_f32_e32 v7, -0.5, v7
	v_lshrrev_b32_e32 v6, 4, v3
	v_cmp_gt_u32_e32 vcc_lo, 0x8000000, v3
	s_delay_alu instid0(VALU_DEP_2) | instskip(NEXT) | instid1(VALU_DEP_1)
	v_or_b32_e32 v6, 0x70000000, v6
	v_mul_f32_e32 v6, 0x7800000, v6
	s_delay_alu instid0(VALU_DEP_1) | instskip(NEXT) | instid1(VALU_DEP_1)
	v_cndmask_b32_e32 v3, v6, v7, vcc_lo
	v_and_or_b32 v2, 0x80000000, v2, v3
	s_delay_alu instid0(VALU_DEP_1) | instskip(NEXT) | instid1(VALU_DEP_1)
	v_trunc_f32_e32 v2, v2
	v_mul_f32_e64 v3, 0x2f800000, |v2|
	s_delay_alu instid0(VALU_DEP_1) | instskip(NEXT) | instid1(VALU_DEP_1)
	v_floor_f32_e32 v3, v3
	v_fma_f32 v6, 0xcf800000, v3, |v2|
	v_ashrrev_i32_e32 v2, 31, v2
	v_cvt_u32_f32_e32 v7, v3
	s_delay_alu instid0(VALU_DEP_3) | instskip(NEXT) | instid1(VALU_DEP_2)
	v_cvt_u32_f32_e32 v6, v6
	v_dual_mov_b32 v3, v2 :: v_dual_bitop2_b32 v7, v7, v2 bitop3:0x14
	s_delay_alu instid0(VALU_DEP_2) | instskip(NEXT) | instid1(VALU_DEP_1)
	v_xor_b32_e32 v6, v6, v2
	v_sub_nc_u64_e32 v[2:3], v[6:7], v[2:3]
.LBB78_1709:
	s_mov_b32 s30, 0
	s_mov_b32 s31, -1
.LBB78_1710:
	s_and_not1_b32 vcc_lo, exec_lo, s30
	s_mov_b32 s30, 0
	s_cbranch_vccnz .LBB78_1721
; %bb.1711:
	s_cmp_gt_i32 s28, 14
	s_cbranch_scc0 .LBB78_1714
; %bb.1712:
	s_cmp_eq_u32 s28, 15
	s_cbranch_scc0 .LBB78_1717
; %bb.1713:
	s_wait_loadcnt 0x0
	global_load_u16 v2, v[4:5], off
	s_mov_b32 s29, 0
	s_mov_b32 s31, -1
	s_wait_loadcnt 0x0
	v_lshlrev_b32_e32 v2, 16, v2
	s_delay_alu instid0(VALU_DEP_1) | instskip(NEXT) | instid1(VALU_DEP_1)
	v_trunc_f32_e32 v2, v2
	v_mul_f32_e64 v3, 0x2f800000, |v2|
	s_delay_alu instid0(VALU_DEP_1) | instskip(NEXT) | instid1(VALU_DEP_1)
	v_floor_f32_e32 v3, v3
	v_fma_f32 v6, 0xcf800000, v3, |v2|
	v_ashrrev_i32_e32 v2, 31, v2
	v_cvt_u32_f32_e32 v7, v3
	s_delay_alu instid0(VALU_DEP_3) | instskip(NEXT) | instid1(VALU_DEP_2)
	v_cvt_u32_f32_e32 v6, v6
	v_dual_mov_b32 v3, v2 :: v_dual_bitop2_b32 v7, v7, v2 bitop3:0x14
	s_delay_alu instid0(VALU_DEP_2) | instskip(NEXT) | instid1(VALU_DEP_1)
	v_xor_b32_e32 v6, v6, v2
	v_sub_nc_u64_e32 v[2:3], v[6:7], v[2:3]
	s_branch .LBB78_1719
.LBB78_1714:
	s_mov_b32 s30, -1
	s_branch .LBB78_1718
.LBB78_1715:
	s_and_not1_saveexec_b32 s30, s30
	s_cbranch_execz .LBB78_1696
.LBB78_1716:
	v_cmp_ne_u16_e32 vcc_lo, 0, v6
	s_and_not1_b32 s31, s31, exec_lo
	s_and_b32 s33, vcc_lo, exec_lo
	s_delay_alu instid0(SALU_CYCLE_1)
	s_or_b32 s31, s31, s33
	s_or_b32 exec_lo, exec_lo, s30
	v_mov_b64_e32 v[2:3], 0
	s_and_saveexec_b32 s30, s31
	s_cbranch_execnz .LBB78_1697
	s_branch .LBB78_1698
.LBB78_1717:
	s_mov_b32 s29, -1
.LBB78_1718:
                                        ; implicit-def: $vgpr2_vgpr3
.LBB78_1719:
	s_and_b32 vcc_lo, exec_lo, s30
	s_mov_b32 s30, 0
	s_cbranch_vccz .LBB78_1721
; %bb.1720:
	s_cmp_lg_u32 s28, 11
	s_mov_b32 s30, -1
	s_cselect_b32 s28, -1, 0
	s_and_not1_b32 s29, s29, exec_lo
	s_and_b32 s28, s28, exec_lo
	s_delay_alu instid0(SALU_CYCLE_1)
	s_or_b32 s29, s29, s28
.LBB78_1721:
	s_mov_b32 s33, 0
.LBB78_1722:
	s_and_b32 s28, s31, exec_lo
	s_and_b32 s31, s33, exec_lo
	s_and_not1_b32 s26, s26, exec_lo
	s_and_b32 s33, s29, exec_lo
	s_and_b32 s29, s30, exec_lo
	s_or_b32 s26, s26, s33
	s_wait_xcnt 0x0
	s_or_b32 exec_lo, exec_lo, s27
	s_and_saveexec_b32 s27, s26
	s_cbranch_execz .LBB78_1655
.LBB78_1723:
	s_or_b32 s24, s24, exec_lo
	s_and_not1_b32 s29, s29, exec_lo
	s_trap 2
	s_or_b32 exec_lo, exec_lo, s27
	s_and_saveexec_b32 s26, s29
	s_delay_alu instid0(SALU_CYCLE_1)
	s_xor_b32 s26, exec_lo, s26
	s_cbranch_execnz .LBB78_1656
.LBB78_1724:
	s_or_b32 exec_lo, exec_lo, s26
	s_and_saveexec_b32 s26, s31
	s_cbranch_execz .LBB78_1770
.LBB78_1725:
	s_sext_i32_i16 s27, s0
	s_delay_alu instid0(SALU_CYCLE_1)
	s_cmp_lt_i32 s27, 5
	s_cbranch_scc1 .LBB78_1730
; %bb.1726:
	s_cmp_lt_i32 s27, 8
	s_cbranch_scc1 .LBB78_1731
; %bb.1727:
	;; [unrolled: 3-line block ×3, first 2 shown]
	s_cmp_gt_i32 s27, 9
	s_cbranch_scc0 .LBB78_1733
; %bb.1729:
	s_wait_loadcnt 0x0
	global_load_b64 v[2:3], v[4:5], off
	s_mov_b32 s27, 0
	s_wait_loadcnt 0x0
	v_trunc_f64_e32 v[2:3], v[2:3]
	s_delay_alu instid0(VALU_DEP_1) | instskip(NEXT) | instid1(VALU_DEP_1)
	v_ldexp_f64 v[6:7], v[2:3], 0xffffffe0
	v_floor_f64_e32 v[6:7], v[6:7]
	s_delay_alu instid0(VALU_DEP_1) | instskip(SKIP_1) | instid1(VALU_DEP_2)
	v_fmamk_f64 v[8:9], v[6:7], 0xc1f00000, v[2:3]
	v_cvt_i32_f64_e32 v3, v[6:7]
	v_cvt_u32_f64_e32 v2, v[8:9]
	s_branch .LBB78_1734
.LBB78_1730:
                                        ; implicit-def: $vgpr2_vgpr3
	s_branch .LBB78_1751
.LBB78_1731:
                                        ; implicit-def: $vgpr2_vgpr3
	s_branch .LBB78_1740
.LBB78_1732:
	s_mov_b32 s27, -1
                                        ; implicit-def: $vgpr2_vgpr3
	s_branch .LBB78_1737
.LBB78_1733:
	s_mov_b32 s27, -1
                                        ; implicit-def: $vgpr2_vgpr3
.LBB78_1734:
	s_delay_alu instid0(SALU_CYCLE_1)
	s_and_not1_b32 vcc_lo, exec_lo, s27
	s_cbranch_vccnz .LBB78_1736
; %bb.1735:
	s_wait_loadcnt 0x0
	global_load_b32 v2, v[4:5], off
	s_wait_loadcnt 0x0
	v_trunc_f32_e32 v2, v2
	s_delay_alu instid0(VALU_DEP_1) | instskip(NEXT) | instid1(VALU_DEP_1)
	v_mul_f32_e64 v3, 0x2f800000, |v2|
	v_floor_f32_e32 v3, v3
	s_delay_alu instid0(VALU_DEP_1) | instskip(SKIP_2) | instid1(VALU_DEP_3)
	v_fma_f32 v6, 0xcf800000, v3, |v2|
	v_ashrrev_i32_e32 v2, 31, v2
	v_cvt_u32_f32_e32 v7, v3
	v_cvt_u32_f32_e32 v6, v6
	s_delay_alu instid0(VALU_DEP_2) | instskip(NEXT) | instid1(VALU_DEP_2)
	v_dual_mov_b32 v3, v2 :: v_dual_bitop2_b32 v7, v7, v2 bitop3:0x14
	v_xor_b32_e32 v6, v6, v2
	s_delay_alu instid0(VALU_DEP_1)
	v_sub_nc_u64_e32 v[2:3], v[6:7], v[2:3]
.LBB78_1736:
	s_mov_b32 s27, 0
.LBB78_1737:
	s_delay_alu instid0(SALU_CYCLE_1)
	s_and_not1_b32 vcc_lo, exec_lo, s27
	s_cbranch_vccnz .LBB78_1739
; %bb.1738:
	s_wait_loadcnt 0x0
	global_load_b32 v2, v[4:5], off
	s_wait_loadcnt 0x0
	v_cvt_f32_f16_e32 v2, v2
	s_delay_alu instid0(VALU_DEP_1) | instskip(NEXT) | instid1(VALU_DEP_1)
	v_cvt_i32_f32_e32 v2, v2
	v_ashrrev_i32_e32 v3, 31, v2
.LBB78_1739:
	s_cbranch_execnz .LBB78_1750
.LBB78_1740:
	s_sext_i32_i16 s27, s0
	s_delay_alu instid0(SALU_CYCLE_1)
	s_cmp_lt_i32 s27, 6
	s_cbranch_scc1 .LBB78_1743
; %bb.1741:
	s_cmp_gt_i32 s27, 6
	s_cbranch_scc0 .LBB78_1744
; %bb.1742:
	s_wait_loadcnt 0x0
	global_load_b64 v[2:3], v[4:5], off
	s_mov_b32 s27, 0
	s_wait_loadcnt 0x0
	v_trunc_f64_e32 v[2:3], v[2:3]
	s_delay_alu instid0(VALU_DEP_1) | instskip(NEXT) | instid1(VALU_DEP_1)
	v_ldexp_f64 v[6:7], v[2:3], 0xffffffe0
	v_floor_f64_e32 v[6:7], v[6:7]
	s_delay_alu instid0(VALU_DEP_1) | instskip(SKIP_1) | instid1(VALU_DEP_2)
	v_fmamk_f64 v[8:9], v[6:7], 0xc1f00000, v[2:3]
	v_cvt_i32_f64_e32 v3, v[6:7]
	v_cvt_u32_f64_e32 v2, v[8:9]
	s_branch .LBB78_1745
.LBB78_1743:
	s_mov_b32 s27, -1
                                        ; implicit-def: $vgpr2_vgpr3
	s_branch .LBB78_1748
.LBB78_1744:
	s_mov_b32 s27, -1
                                        ; implicit-def: $vgpr2_vgpr3
.LBB78_1745:
	s_delay_alu instid0(SALU_CYCLE_1)
	s_and_not1_b32 vcc_lo, exec_lo, s27
	s_cbranch_vccnz .LBB78_1747
; %bb.1746:
	s_wait_loadcnt 0x0
	global_load_b32 v2, v[4:5], off
	s_wait_loadcnt 0x0
	v_trunc_f32_e32 v2, v2
	s_delay_alu instid0(VALU_DEP_1) | instskip(NEXT) | instid1(VALU_DEP_1)
	v_mul_f32_e64 v3, 0x2f800000, |v2|
	v_floor_f32_e32 v3, v3
	s_delay_alu instid0(VALU_DEP_1) | instskip(SKIP_2) | instid1(VALU_DEP_3)
	v_fma_f32 v6, 0xcf800000, v3, |v2|
	v_ashrrev_i32_e32 v2, 31, v2
	v_cvt_u32_f32_e32 v7, v3
	v_cvt_u32_f32_e32 v6, v6
	s_delay_alu instid0(VALU_DEP_2) | instskip(NEXT) | instid1(VALU_DEP_2)
	v_dual_mov_b32 v3, v2 :: v_dual_bitop2_b32 v7, v7, v2 bitop3:0x14
	v_xor_b32_e32 v6, v6, v2
	s_delay_alu instid0(VALU_DEP_1)
	v_sub_nc_u64_e32 v[2:3], v[6:7], v[2:3]
.LBB78_1747:
	s_mov_b32 s27, 0
.LBB78_1748:
	s_delay_alu instid0(SALU_CYCLE_1)
	s_and_not1_b32 vcc_lo, exec_lo, s27
	s_cbranch_vccnz .LBB78_1750
; %bb.1749:
	s_wait_loadcnt 0x0
	global_load_u16 v2, v[4:5], off
	s_wait_loadcnt 0x0
	v_cvt_f32_f16_e32 v2, v2
	s_delay_alu instid0(VALU_DEP_1) | instskip(NEXT) | instid1(VALU_DEP_1)
	v_cvt_i32_f32_e32 v2, v2
	v_ashrrev_i32_e32 v3, 31, v2
.LBB78_1750:
	s_cbranch_execnz .LBB78_1769
.LBB78_1751:
	s_sext_i32_i16 s27, s0
	s_delay_alu instid0(SALU_CYCLE_1)
	s_cmp_lt_i32 s27, 2
	s_cbranch_scc1 .LBB78_1755
; %bb.1752:
	s_cmp_lt_i32 s27, 3
	s_cbranch_scc1 .LBB78_1756
; %bb.1753:
	s_cmp_gt_i32 s27, 3
	s_cbranch_scc0 .LBB78_1757
; %bb.1754:
	s_wait_loadcnt 0x0
	global_load_b64 v[2:3], v[4:5], off
	s_mov_b32 s27, 0
	s_branch .LBB78_1758
.LBB78_1755:
                                        ; implicit-def: $vgpr2_vgpr3
	s_branch .LBB78_1764
.LBB78_1756:
	s_mov_b32 s27, -1
                                        ; implicit-def: $vgpr2_vgpr3
	s_branch .LBB78_1761
.LBB78_1757:
	s_mov_b32 s27, -1
                                        ; implicit-def: $vgpr2_vgpr3
.LBB78_1758:
	s_delay_alu instid0(SALU_CYCLE_1)
	s_and_not1_b32 vcc_lo, exec_lo, s27
	s_cbranch_vccnz .LBB78_1760
; %bb.1759:
	s_wait_loadcnt 0x0
	global_load_b32 v2, v[4:5], off
	s_wait_loadcnt 0x0
	v_ashrrev_i32_e32 v3, 31, v2
.LBB78_1760:
	s_mov_b32 s27, 0
.LBB78_1761:
	s_delay_alu instid0(SALU_CYCLE_1)
	s_and_not1_b32 vcc_lo, exec_lo, s27
	s_cbranch_vccnz .LBB78_1763
; %bb.1762:
	s_wait_loadcnt 0x0
	global_load_u16 v2, v[4:5], off
	s_wait_loadcnt 0x0
	v_bfe_i32 v2, v2, 0, 16
	s_delay_alu instid0(VALU_DEP_1)
	v_ashrrev_i32_e32 v3, 31, v2
.LBB78_1763:
	s_cbranch_execnz .LBB78_1769
.LBB78_1764:
	s_sext_i32_i16 s0, s0
	s_delay_alu instid0(SALU_CYCLE_1)
	s_cmp_gt_i32 s0, 0
	s_mov_b32 s0, 0
	s_cbranch_scc0 .LBB78_1766
; %bb.1765:
	s_wait_loadcnt 0x0
	global_load_i8 v2, v[4:5], off
	s_wait_loadcnt 0x0
	v_bfe_i32 v2, v2, 0, 16
	s_delay_alu instid0(VALU_DEP_1)
	v_ashrrev_i32_e32 v3, 31, v2
	s_branch .LBB78_1767
.LBB78_1766:
	s_mov_b32 s0, -1
                                        ; implicit-def: $vgpr2_vgpr3
.LBB78_1767:
	s_delay_alu instid0(SALU_CYCLE_1)
	s_and_not1_b32 vcc_lo, exec_lo, s0
	s_cbranch_vccnz .LBB78_1769
; %bb.1768:
	s_wait_loadcnt 0x0
	global_load_u8 v2, v[4:5], off
	s_mov_b32 s0, 0
	s_delay_alu instid0(SALU_CYCLE_1)
	v_mov_b32_e32 v3, s0
	s_wait_loadcnt 0x0
	v_and_b32_e32 v2, 0xffff, v2
.LBB78_1769:
	s_or_b32 s28, s28, exec_lo
.LBB78_1770:
	s_wait_xcnt 0x0
	s_or_b32 exec_lo, exec_lo, s26
	s_mov_b32 s27, 0
	s_mov_b32 s26, 0
	;; [unrolled: 1-line block ×3, first 2 shown]
                                        ; implicit-def: $vgpr4_vgpr5
                                        ; implicit-def: $vgpr8_vgpr9
	s_and_saveexec_b32 s0, s28
	s_cbranch_execz .LBB78_1778
; %bb.1771:
	v_mul_lo_u32 v4, v26, s15
	s_and_b32 s26, 0xffff, s1
	s_delay_alu instid0(SALU_CYCLE_1) | instskip(NEXT) | instid1(VALU_DEP_1)
	s_cmp_lt_i32 s26, 11
	v_ashrrev_i32_e32 v5, 31, v4
	s_delay_alu instid0(VALU_DEP_1)
	v_add_nc_u64_e32 v[4:5], s[10:11], v[4:5]
	s_cbranch_scc1 .LBB78_1781
; %bb.1772:
	s_cmp_gt_i32 s26, 25
	s_mov_b32 s28, 0
	s_cbranch_scc0 .LBB78_1782
; %bb.1773:
	s_cmp_gt_i32 s26, 28
	s_cbranch_scc0 .LBB78_1783
; %bb.1774:
	s_cmp_gt_i32 s26, 43
	;; [unrolled: 3-line block ×3, first 2 shown]
	s_cbranch_scc0 .LBB78_1785
; %bb.1776:
	s_cmp_eq_u32 s26, 46
	s_mov_b32 s30, 0
	s_cbranch_scc0 .LBB78_1786
; %bb.1777:
	s_wait_loadcnt 0x0
	global_load_b32 v6, v[4:5], off
	s_mov_b32 s29, -1
	s_wait_loadcnt 0x0
	v_lshlrev_b32_e32 v6, 16, v6
	s_delay_alu instid0(VALU_DEP_1) | instskip(NEXT) | instid1(VALU_DEP_1)
	v_trunc_f32_e32 v6, v6
	v_mul_f32_e64 v7, 0x2f800000, |v6|
	s_delay_alu instid0(VALU_DEP_1) | instskip(NEXT) | instid1(VALU_DEP_1)
	v_floor_f32_e32 v7, v7
	v_fma_f32 v8, 0xcf800000, v7, |v6|
	v_ashrrev_i32_e32 v6, 31, v6
	v_cvt_u32_f32_e32 v9, v7
	s_delay_alu instid0(VALU_DEP_3) | instskip(NEXT) | instid1(VALU_DEP_2)
	v_cvt_u32_f32_e32 v8, v8
	v_dual_mov_b32 v7, v6 :: v_dual_bitop2_b32 v9, v9, v6 bitop3:0x14
	s_delay_alu instid0(VALU_DEP_2) | instskip(NEXT) | instid1(VALU_DEP_1)
	v_xor_b32_e32 v8, v8, v6
	v_sub_nc_u64_e32 v[8:9], v[8:9], v[6:7]
	s_branch .LBB78_1788
.LBB78_1778:
	s_or_b32 exec_lo, exec_lo, s0
	s_and_saveexec_b32 s0, s25
	s_cbranch_execnz .LBB78_1847
.LBB78_1779:
	s_or_b32 exec_lo, exec_lo, s0
	s_and_saveexec_b32 s0, s27
	s_delay_alu instid0(SALU_CYCLE_1)
	s_xor_b32 s0, exec_lo, s0
	s_cbranch_execz .LBB78_1848
.LBB78_1780:
	s_wait_loadcnt 0x0
	global_load_u8 v6, v[4:5], off
	s_mov_b32 s25, 0
	s_or_b32 s29, s29, exec_lo
	v_mov_b32_e32 v9, s25
	s_wait_loadcnt 0x0
	v_cmp_ne_u16_e32 vcc_lo, 0, v6
	v_cndmask_b32_e64 v8, 0, 1, vcc_lo
	s_wait_xcnt 0x0
	s_or_b32 exec_lo, exec_lo, s0
	s_and_saveexec_b32 s0, s26
	s_cbranch_execz .LBB78_1894
	s_branch .LBB78_1849
.LBB78_1781:
	s_mov_b32 s26, -1
	s_mov_b32 s28, 0
	s_mov_b32 s27, s25
                                        ; implicit-def: $vgpr8_vgpr9
	s_branch .LBB78_1846
.LBB78_1782:
	s_mov_b32 s27, s25
                                        ; implicit-def: $vgpr8_vgpr9
	s_cbranch_execnz .LBB78_1815
	s_branch .LBB78_1845
.LBB78_1783:
	s_mov_b32 s30, -1
	s_mov_b32 s27, s25
                                        ; implicit-def: $vgpr8_vgpr9
	s_branch .LBB78_1798
.LBB78_1784:
	s_mov_b32 s30, -1
	s_mov_b32 s27, s25
                                        ; implicit-def: $vgpr8_vgpr9
	s_branch .LBB78_1793
.LBB78_1785:
	s_mov_b32 s30, -1
	s_mov_b32 s27, s25
	s_branch .LBB78_1787
.LBB78_1786:
	s_mov_b32 s27, -1
.LBB78_1787:
                                        ; implicit-def: $vgpr8_vgpr9
.LBB78_1788:
	s_and_b32 vcc_lo, exec_lo, s30
	s_cbranch_vccz .LBB78_1792
; %bb.1789:
	s_cmp_eq_u32 s26, 44
	s_cbranch_scc0 .LBB78_1791
; %bb.1790:
	global_load_u8 v10, v[4:5], off
	s_mov_b32 s27, 0
	s_mov_b32 s29, -1
	s_wait_loadcnt 0x0
	v_cmp_ne_u32_e32 vcc_lo, 0, v10
	v_lshlrev_b32_e32 v6, 23, v10
	s_delay_alu instid0(VALU_DEP_1) | instskip(NEXT) | instid1(VALU_DEP_1)
	v_trunc_f32_e32 v6, v6
	v_mul_f32_e64 v7, 0x2f800000, |v6|
	s_delay_alu instid0(VALU_DEP_1) | instskip(NEXT) | instid1(VALU_DEP_1)
	v_floor_f32_e32 v7, v7
	v_fma_f32 v8, 0xcf800000, v7, |v6|
	v_ashrrev_i32_e32 v6, 31, v6
	v_cvt_u32_f32_e32 v9, v7
	s_delay_alu instid0(VALU_DEP_3) | instskip(NEXT) | instid1(VALU_DEP_2)
	v_cvt_u32_f32_e32 v8, v8
	v_dual_mov_b32 v7, v6 :: v_dual_bitop2_b32 v9, v9, v6 bitop3:0x14
	s_delay_alu instid0(VALU_DEP_2) | instskip(NEXT) | instid1(VALU_DEP_1)
	v_xor_b32_e32 v8, v8, v6
	v_sub_nc_u64_e32 v[6:7], v[8:9], v[6:7]
	s_delay_alu instid0(VALU_DEP_1)
	v_dual_cndmask_b32 v9, 0, v7 :: v_dual_cndmask_b32 v8, 0, v6
	s_branch .LBB78_1792
.LBB78_1791:
	s_mov_b32 s27, -1
                                        ; implicit-def: $vgpr8_vgpr9
.LBB78_1792:
	s_mov_b32 s30, 0
.LBB78_1793:
	s_delay_alu instid0(SALU_CYCLE_1)
	s_and_b32 vcc_lo, exec_lo, s30
	s_cbranch_vccz .LBB78_1797
; %bb.1794:
	s_cmp_eq_u32 s26, 29
	s_cbranch_scc0 .LBB78_1796
; %bb.1795:
	global_load_b64 v[8:9], v[4:5], off
	s_mov_b32 s27, 0
	s_mov_b32 s29, -1
	s_branch .LBB78_1797
.LBB78_1796:
	s_mov_b32 s27, -1
                                        ; implicit-def: $vgpr8_vgpr9
.LBB78_1797:
	s_mov_b32 s30, 0
.LBB78_1798:
	s_delay_alu instid0(SALU_CYCLE_1)
	s_and_b32 vcc_lo, exec_lo, s30
	s_cbranch_vccz .LBB78_1814
; %bb.1799:
	s_cmp_lt_i32 s26, 27
	s_cbranch_scc1 .LBB78_1802
; %bb.1800:
	s_cmp_gt_i32 s26, 27
	s_cbranch_scc0 .LBB78_1803
; %bb.1801:
	s_wait_loadcnt 0x0
	global_load_b32 v8, v[4:5], off
	v_mov_b32_e32 v9, 0
	s_mov_b32 s29, 0
	s_branch .LBB78_1804
.LBB78_1802:
	s_mov_b32 s29, -1
                                        ; implicit-def: $vgpr8_vgpr9
	s_branch .LBB78_1807
.LBB78_1803:
	s_mov_b32 s29, -1
                                        ; implicit-def: $vgpr8_vgpr9
.LBB78_1804:
	s_delay_alu instid0(SALU_CYCLE_1)
	s_and_not1_b32 vcc_lo, exec_lo, s29
	s_cbranch_vccnz .LBB78_1806
; %bb.1805:
	s_wait_loadcnt 0x0
	global_load_u16 v6, v[4:5], off
	s_mov_b32 s29, 0
	s_delay_alu instid0(SALU_CYCLE_1)
	v_mov_b32_e32 v9, s29
	s_wait_loadcnt 0x0
	v_and_b32_e32 v8, 0xffff, v6
.LBB78_1806:
	s_mov_b32 s29, 0
.LBB78_1807:
	s_delay_alu instid0(SALU_CYCLE_1)
	s_and_not1_b32 vcc_lo, exec_lo, s29
	s_cbranch_vccnz .LBB78_1813
; %bb.1808:
	s_wait_loadcnt 0x0
	global_load_u8 v6, v[4:5], off
	s_mov_b32 s30, 0
	s_mov_b32 s29, exec_lo
	s_wait_loadcnt 0x0
	v_cmpx_lt_i16_e32 0x7f, v6
	s_xor_b32 s29, exec_lo, s29
	s_cbranch_execz .LBB78_1824
; %bb.1809:
	v_cmp_ne_u16_e32 vcc_lo, 0x80, v6
	s_and_b32 s30, vcc_lo, exec_lo
	s_and_not1_saveexec_b32 s29, s29
	s_cbranch_execnz .LBB78_1825
.LBB78_1810:
	s_or_b32 exec_lo, exec_lo, s29
	v_mov_b64_e32 v[8:9], 0
	s_and_saveexec_b32 s29, s30
	s_cbranch_execz .LBB78_1812
.LBB78_1811:
	v_and_b32_e32 v7, 0xffff, v6
	s_delay_alu instid0(VALU_DEP_1) | instskip(SKIP_1) | instid1(VALU_DEP_2)
	v_and_b32_e32 v8, 7, v7
	v_bfe_u32 v11, v7, 3, 4
	v_clz_i32_u32_e32 v9, v8
	s_delay_alu instid0(VALU_DEP_2) | instskip(NEXT) | instid1(VALU_DEP_2)
	v_cmp_eq_u32_e32 vcc_lo, 0, v11
	v_min_u32_e32 v9, 32, v9
	s_delay_alu instid0(VALU_DEP_1) | instskip(NEXT) | instid1(VALU_DEP_1)
	v_subrev_nc_u32_e32 v10, 28, v9
	v_dual_lshlrev_b32 v7, v10, v7 :: v_dual_sub_nc_u32 v9, 29, v9
	s_delay_alu instid0(VALU_DEP_1) | instskip(NEXT) | instid1(VALU_DEP_1)
	v_dual_lshlrev_b32 v6, 24, v6 :: v_dual_bitop2_b32 v7, 7, v7 bitop3:0x40
	v_dual_cndmask_b32 v9, v11, v9, vcc_lo :: v_dual_cndmask_b32 v7, v8, v7, vcc_lo
	s_delay_alu instid0(VALU_DEP_2) | instskip(NEXT) | instid1(VALU_DEP_2)
	v_and_b32_e32 v6, 0x80000000, v6
	v_lshl_add_u32 v8, v9, 23, 0x3b800000
	s_delay_alu instid0(VALU_DEP_3) | instskip(NEXT) | instid1(VALU_DEP_1)
	v_lshlrev_b32_e32 v7, 20, v7
	v_or3_b32 v6, v6, v8, v7
	s_delay_alu instid0(VALU_DEP_1) | instskip(NEXT) | instid1(VALU_DEP_1)
	v_trunc_f32_e32 v6, v6
	v_mul_f32_e64 v7, 0x2f800000, |v6|
	s_delay_alu instid0(VALU_DEP_1) | instskip(NEXT) | instid1(VALU_DEP_1)
	v_floor_f32_e32 v7, v7
	v_fma_f32 v8, 0xcf800000, v7, |v6|
	v_ashrrev_i32_e32 v6, 31, v6
	v_cvt_u32_f32_e32 v9, v7
	s_delay_alu instid0(VALU_DEP_3) | instskip(NEXT) | instid1(VALU_DEP_2)
	v_cvt_u32_f32_e32 v8, v8
	v_dual_mov_b32 v7, v6 :: v_dual_bitop2_b32 v9, v9, v6 bitop3:0x14
	s_delay_alu instid0(VALU_DEP_2) | instskip(NEXT) | instid1(VALU_DEP_1)
	v_xor_b32_e32 v8, v8, v6
	v_sub_nc_u64_e32 v[8:9], v[8:9], v[6:7]
.LBB78_1812:
	s_or_b32 exec_lo, exec_lo, s29
.LBB78_1813:
	s_mov_b32 s29, -1
.LBB78_1814:
	s_branch .LBB78_1845
.LBB78_1815:
	s_cmp_gt_i32 s26, 22
	s_cbranch_scc0 .LBB78_1823
; %bb.1816:
	s_cmp_lt_i32 s26, 24
	s_cbranch_scc1 .LBB78_1826
; %bb.1817:
	s_cmp_gt_i32 s26, 24
	s_cbranch_scc0 .LBB78_1827
; %bb.1818:
	s_wait_loadcnt 0x0
	global_load_u8 v6, v[4:5], off
	s_mov_b32 s29, 0
	s_mov_b32 s28, exec_lo
	s_wait_loadcnt 0x0
	v_cmpx_lt_i16_e32 0x7f, v6
	s_xor_b32 s28, exec_lo, s28
	s_cbranch_execz .LBB78_1839
; %bb.1819:
	v_cmp_ne_u16_e32 vcc_lo, 0x80, v6
	s_and_b32 s29, vcc_lo, exec_lo
	s_and_not1_saveexec_b32 s28, s28
	s_cbranch_execnz .LBB78_1840
.LBB78_1820:
	s_or_b32 exec_lo, exec_lo, s28
	v_mov_b64_e32 v[8:9], 0
	s_and_saveexec_b32 s28, s29
	s_cbranch_execz .LBB78_1822
.LBB78_1821:
	v_and_b32_e32 v7, 0xffff, v6
	s_delay_alu instid0(VALU_DEP_1) | instskip(SKIP_1) | instid1(VALU_DEP_2)
	v_and_b32_e32 v8, 3, v7
	v_bfe_u32 v11, v7, 2, 5
	v_clz_i32_u32_e32 v9, v8
	s_delay_alu instid0(VALU_DEP_2) | instskip(NEXT) | instid1(VALU_DEP_2)
	v_cmp_eq_u32_e32 vcc_lo, 0, v11
	v_min_u32_e32 v9, 32, v9
	s_delay_alu instid0(VALU_DEP_1) | instskip(NEXT) | instid1(VALU_DEP_1)
	v_subrev_nc_u32_e32 v10, 29, v9
	v_dual_lshlrev_b32 v7, v10, v7 :: v_dual_sub_nc_u32 v9, 30, v9
	s_delay_alu instid0(VALU_DEP_1) | instskip(NEXT) | instid1(VALU_DEP_1)
	v_dual_lshlrev_b32 v6, 24, v6 :: v_dual_bitop2_b32 v7, 3, v7 bitop3:0x40
	v_dual_cndmask_b32 v9, v11, v9, vcc_lo :: v_dual_cndmask_b32 v7, v8, v7, vcc_lo
	s_delay_alu instid0(VALU_DEP_2) | instskip(NEXT) | instid1(VALU_DEP_2)
	v_and_b32_e32 v6, 0x80000000, v6
	v_lshl_add_u32 v8, v9, 23, 0x37800000
	s_delay_alu instid0(VALU_DEP_3) | instskip(NEXT) | instid1(VALU_DEP_1)
	v_lshlrev_b32_e32 v7, 21, v7
	v_or3_b32 v6, v6, v8, v7
	s_delay_alu instid0(VALU_DEP_1) | instskip(NEXT) | instid1(VALU_DEP_1)
	v_trunc_f32_e32 v6, v6
	v_mul_f32_e64 v7, 0x2f800000, |v6|
	s_delay_alu instid0(VALU_DEP_1) | instskip(NEXT) | instid1(VALU_DEP_1)
	v_floor_f32_e32 v7, v7
	v_fma_f32 v8, 0xcf800000, v7, |v6|
	v_ashrrev_i32_e32 v6, 31, v6
	v_cvt_u32_f32_e32 v9, v7
	s_delay_alu instid0(VALU_DEP_3) | instskip(NEXT) | instid1(VALU_DEP_2)
	v_cvt_u32_f32_e32 v8, v8
	v_dual_mov_b32 v7, v6 :: v_dual_bitop2_b32 v9, v9, v6 bitop3:0x14
	s_delay_alu instid0(VALU_DEP_2) | instskip(NEXT) | instid1(VALU_DEP_1)
	v_xor_b32_e32 v8, v8, v6
	v_sub_nc_u64_e32 v[8:9], v[8:9], v[6:7]
.LBB78_1822:
	s_or_b32 exec_lo, exec_lo, s28
	s_mov_b32 s28, 0
	s_branch .LBB78_1828
.LBB78_1823:
	s_mov_b32 s28, -1
                                        ; implicit-def: $vgpr8_vgpr9
	s_branch .LBB78_1834
.LBB78_1824:
	s_and_not1_saveexec_b32 s29, s29
	s_cbranch_execz .LBB78_1810
.LBB78_1825:
	v_cmp_ne_u16_e32 vcc_lo, 0, v6
	s_and_not1_b32 s30, s30, exec_lo
	s_and_b32 s31, vcc_lo, exec_lo
	s_delay_alu instid0(SALU_CYCLE_1)
	s_or_b32 s30, s30, s31
	s_or_b32 exec_lo, exec_lo, s29
	v_mov_b64_e32 v[8:9], 0
	s_and_saveexec_b32 s29, s30
	s_cbranch_execnz .LBB78_1811
	s_branch .LBB78_1812
.LBB78_1826:
	s_mov_b32 s28, -1
                                        ; implicit-def: $vgpr8_vgpr9
	s_branch .LBB78_1831
.LBB78_1827:
	s_mov_b32 s28, -1
                                        ; implicit-def: $vgpr8_vgpr9
.LBB78_1828:
	s_delay_alu instid0(SALU_CYCLE_1)
	s_and_b32 vcc_lo, exec_lo, s28
	s_cbranch_vccz .LBB78_1830
; %bb.1829:
	s_wait_loadcnt 0x0
	global_load_u8 v6, v[4:5], off
	s_wait_loadcnt 0x0
	v_lshlrev_b32_e32 v6, 24, v6
	s_delay_alu instid0(VALU_DEP_1) | instskip(NEXT) | instid1(VALU_DEP_1)
	v_and_b32_e32 v7, 0x7f000000, v6
	v_clz_i32_u32_e32 v8, v7
	v_cmp_ne_u32_e32 vcc_lo, 0, v7
	v_add_nc_u32_e32 v10, 0x1000000, v7
	s_delay_alu instid0(VALU_DEP_3) | instskip(NEXT) | instid1(VALU_DEP_1)
	v_min_u32_e32 v8, 32, v8
	v_sub_nc_u32_e64 v8, v8, 4 clamp
	s_delay_alu instid0(VALU_DEP_1) | instskip(NEXT) | instid1(VALU_DEP_1)
	v_dual_lshlrev_b32 v9, v8, v7 :: v_dual_lshlrev_b32 v8, 23, v8
	v_lshrrev_b32_e32 v9, 4, v9
	s_delay_alu instid0(VALU_DEP_1) | instskip(NEXT) | instid1(VALU_DEP_1)
	v_dual_sub_nc_u32 v8, v9, v8 :: v_dual_ashrrev_i32 v9, 8, v10
	v_add_nc_u32_e32 v8, 0x3c000000, v8
	s_delay_alu instid0(VALU_DEP_1) | instskip(NEXT) | instid1(VALU_DEP_1)
	v_and_or_b32 v8, 0x7f800000, v9, v8
	v_cndmask_b32_e32 v7, 0, v8, vcc_lo
	s_delay_alu instid0(VALU_DEP_1) | instskip(NEXT) | instid1(VALU_DEP_1)
	v_and_or_b32 v6, 0x80000000, v6, v7
	v_trunc_f32_e32 v6, v6
	s_delay_alu instid0(VALU_DEP_1) | instskip(NEXT) | instid1(VALU_DEP_1)
	v_mul_f32_e64 v7, 0x2f800000, |v6|
	v_floor_f32_e32 v7, v7
	s_delay_alu instid0(VALU_DEP_1) | instskip(SKIP_2) | instid1(VALU_DEP_3)
	v_fma_f32 v8, 0xcf800000, v7, |v6|
	v_ashrrev_i32_e32 v6, 31, v6
	v_cvt_u32_f32_e32 v9, v7
	v_cvt_u32_f32_e32 v8, v8
	s_delay_alu instid0(VALU_DEP_2) | instskip(NEXT) | instid1(VALU_DEP_2)
	v_dual_mov_b32 v7, v6 :: v_dual_bitop2_b32 v9, v9, v6 bitop3:0x14
	v_xor_b32_e32 v8, v8, v6
	s_delay_alu instid0(VALU_DEP_1)
	v_sub_nc_u64_e32 v[8:9], v[8:9], v[6:7]
.LBB78_1830:
	s_mov_b32 s28, 0
.LBB78_1831:
	s_delay_alu instid0(SALU_CYCLE_1)
	s_and_not1_b32 vcc_lo, exec_lo, s28
	s_cbranch_vccnz .LBB78_1833
; %bb.1832:
	s_wait_loadcnt 0x0
	global_load_u8 v6, v[4:5], off
	s_wait_loadcnt 0x0
	v_lshlrev_b32_e32 v7, 25, v6
	v_lshlrev_b16 v6, 8, v6
	s_delay_alu instid0(VALU_DEP_1) | instskip(SKIP_1) | instid1(VALU_DEP_2)
	v_and_or_b32 v9, 0x7f00, v6, 0.5
	v_bfe_i32 v6, v6, 0, 16
	v_dual_add_f32 v9, -0.5, v9 :: v_dual_lshrrev_b32 v8, 4, v7
	v_cmp_gt_u32_e32 vcc_lo, 0x8000000, v7
	s_delay_alu instid0(VALU_DEP_2) | instskip(NEXT) | instid1(VALU_DEP_1)
	v_or_b32_e32 v8, 0x70000000, v8
	v_mul_f32_e32 v8, 0x7800000, v8
	s_delay_alu instid0(VALU_DEP_1) | instskip(NEXT) | instid1(VALU_DEP_1)
	v_cndmask_b32_e32 v7, v8, v9, vcc_lo
	v_and_or_b32 v6, 0x80000000, v6, v7
	s_delay_alu instid0(VALU_DEP_1) | instskip(NEXT) | instid1(VALU_DEP_1)
	v_trunc_f32_e32 v6, v6
	v_mul_f32_e64 v7, 0x2f800000, |v6|
	s_delay_alu instid0(VALU_DEP_1) | instskip(NEXT) | instid1(VALU_DEP_1)
	v_floor_f32_e32 v7, v7
	v_fma_f32 v8, 0xcf800000, v7, |v6|
	v_ashrrev_i32_e32 v6, 31, v6
	v_cvt_u32_f32_e32 v9, v7
	s_delay_alu instid0(VALU_DEP_3) | instskip(NEXT) | instid1(VALU_DEP_2)
	v_cvt_u32_f32_e32 v8, v8
	v_dual_mov_b32 v7, v6 :: v_dual_bitop2_b32 v9, v9, v6 bitop3:0x14
	s_delay_alu instid0(VALU_DEP_2) | instskip(NEXT) | instid1(VALU_DEP_1)
	v_xor_b32_e32 v8, v8, v6
	v_sub_nc_u64_e32 v[8:9], v[8:9], v[6:7]
.LBB78_1833:
	s_mov_b32 s28, 0
	s_mov_b32 s29, -1
.LBB78_1834:
	s_and_not1_b32 vcc_lo, exec_lo, s28
	s_mov_b32 s28, 0
	s_cbranch_vccnz .LBB78_1845
; %bb.1835:
	s_cmp_gt_i32 s26, 14
	s_cbranch_scc0 .LBB78_1838
; %bb.1836:
	s_cmp_eq_u32 s26, 15
	s_cbranch_scc0 .LBB78_1841
; %bb.1837:
	s_wait_loadcnt 0x0
	global_load_u16 v6, v[4:5], off
	s_mov_b32 s27, 0
	s_mov_b32 s29, -1
	s_wait_loadcnt 0x0
	v_lshlrev_b32_e32 v6, 16, v6
	s_delay_alu instid0(VALU_DEP_1) | instskip(NEXT) | instid1(VALU_DEP_1)
	v_trunc_f32_e32 v6, v6
	v_mul_f32_e64 v7, 0x2f800000, |v6|
	s_delay_alu instid0(VALU_DEP_1) | instskip(NEXT) | instid1(VALU_DEP_1)
	v_floor_f32_e32 v7, v7
	v_fma_f32 v8, 0xcf800000, v7, |v6|
	v_ashrrev_i32_e32 v6, 31, v6
	v_cvt_u32_f32_e32 v9, v7
	s_delay_alu instid0(VALU_DEP_3) | instskip(NEXT) | instid1(VALU_DEP_2)
	v_cvt_u32_f32_e32 v8, v8
	v_dual_mov_b32 v7, v6 :: v_dual_bitop2_b32 v9, v9, v6 bitop3:0x14
	s_delay_alu instid0(VALU_DEP_2) | instskip(NEXT) | instid1(VALU_DEP_1)
	v_xor_b32_e32 v8, v8, v6
	v_sub_nc_u64_e32 v[8:9], v[8:9], v[6:7]
	s_branch .LBB78_1843
.LBB78_1838:
	s_mov_b32 s28, -1
	s_branch .LBB78_1842
.LBB78_1839:
	s_and_not1_saveexec_b32 s28, s28
	s_cbranch_execz .LBB78_1820
.LBB78_1840:
	v_cmp_ne_u16_e32 vcc_lo, 0, v6
	s_and_not1_b32 s29, s29, exec_lo
	s_and_b32 s30, vcc_lo, exec_lo
	s_delay_alu instid0(SALU_CYCLE_1)
	s_or_b32 s29, s29, s30
	s_or_b32 exec_lo, exec_lo, s28
	v_mov_b64_e32 v[8:9], 0
	s_and_saveexec_b32 s28, s29
	s_cbranch_execnz .LBB78_1821
	s_branch .LBB78_1822
.LBB78_1841:
	s_mov_b32 s27, -1
.LBB78_1842:
                                        ; implicit-def: $vgpr8_vgpr9
.LBB78_1843:
	s_and_b32 vcc_lo, exec_lo, s28
	s_mov_b32 s28, 0
	s_cbranch_vccz .LBB78_1845
; %bb.1844:
	s_cmp_lg_u32 s26, 11
	s_mov_b32 s28, -1
	s_cselect_b32 s26, -1, 0
	s_and_not1_b32 s27, s27, exec_lo
	s_and_b32 s26, s26, exec_lo
	s_delay_alu instid0(SALU_CYCLE_1)
	s_or_b32 s27, s27, s26
.LBB78_1845:
	s_mov_b32 s26, 0
.LBB78_1846:
	s_and_not1_b32 s25, s25, exec_lo
	s_and_b32 s30, s27, exec_lo
	s_and_b32 s29, s29, exec_lo
	;; [unrolled: 1-line block ×4, first 2 shown]
	s_or_b32 s25, s25, s30
	s_wait_xcnt 0x0
	s_or_b32 exec_lo, exec_lo, s0
	s_and_saveexec_b32 s0, s25
	s_cbranch_execz .LBB78_1779
.LBB78_1847:
	s_or_b32 s24, s24, exec_lo
	s_and_not1_b32 s27, s27, exec_lo
	s_trap 2
	s_or_b32 exec_lo, exec_lo, s0
	s_and_saveexec_b32 s0, s27
	s_delay_alu instid0(SALU_CYCLE_1)
	s_xor_b32 s0, exec_lo, s0
	s_cbranch_execnz .LBB78_1780
.LBB78_1848:
	s_or_b32 exec_lo, exec_lo, s0
	s_and_saveexec_b32 s0, s26
	s_cbranch_execz .LBB78_1894
.LBB78_1849:
	s_sext_i32_i16 s25, s1
	s_delay_alu instid0(SALU_CYCLE_1)
	s_cmp_lt_i32 s25, 5
	s_cbranch_scc1 .LBB78_1854
; %bb.1850:
	s_cmp_lt_i32 s25, 8
	s_cbranch_scc1 .LBB78_1855
; %bb.1851:
	s_cmp_lt_i32 s25, 9
	s_cbranch_scc1 .LBB78_1856
; %bb.1852:
	s_cmp_gt_i32 s25, 9
	s_cbranch_scc0 .LBB78_1857
; %bb.1853:
	s_wait_loadcnt 0x0
	global_load_b64 v[6:7], v[4:5], off
	s_mov_b32 s25, 0
	s_wait_loadcnt 0x0
	v_trunc_f64_e32 v[6:7], v[6:7]
	s_delay_alu instid0(VALU_DEP_1) | instskip(NEXT) | instid1(VALU_DEP_1)
	v_ldexp_f64 v[8:9], v[6:7], 0xffffffe0
	v_floor_f64_e32 v[8:9], v[8:9]
	s_delay_alu instid0(VALU_DEP_1) | instskip(SKIP_1) | instid1(VALU_DEP_2)
	v_fmamk_f64 v[6:7], v[8:9], 0xc1f00000, v[6:7]
	v_cvt_i32_f64_e32 v9, v[8:9]
	v_cvt_u32_f64_e32 v8, v[6:7]
	s_branch .LBB78_1858
.LBB78_1854:
                                        ; implicit-def: $vgpr8_vgpr9
	s_branch .LBB78_1875
.LBB78_1855:
                                        ; implicit-def: $vgpr8_vgpr9
	s_branch .LBB78_1864
.LBB78_1856:
	s_mov_b32 s25, -1
                                        ; implicit-def: $vgpr8_vgpr9
	s_branch .LBB78_1861
.LBB78_1857:
	s_mov_b32 s25, -1
                                        ; implicit-def: $vgpr8_vgpr9
.LBB78_1858:
	s_delay_alu instid0(SALU_CYCLE_1)
	s_and_not1_b32 vcc_lo, exec_lo, s25
	s_cbranch_vccnz .LBB78_1860
; %bb.1859:
	s_wait_loadcnt 0x0
	global_load_b32 v6, v[4:5], off
	s_wait_loadcnt 0x0
	v_trunc_f32_e32 v6, v6
	s_delay_alu instid0(VALU_DEP_1) | instskip(NEXT) | instid1(VALU_DEP_1)
	v_mul_f32_e64 v7, 0x2f800000, |v6|
	v_floor_f32_e32 v7, v7
	s_delay_alu instid0(VALU_DEP_1) | instskip(SKIP_2) | instid1(VALU_DEP_3)
	v_fma_f32 v8, 0xcf800000, v7, |v6|
	v_ashrrev_i32_e32 v6, 31, v6
	v_cvt_u32_f32_e32 v9, v7
	v_cvt_u32_f32_e32 v8, v8
	s_delay_alu instid0(VALU_DEP_2) | instskip(NEXT) | instid1(VALU_DEP_2)
	v_dual_mov_b32 v7, v6 :: v_dual_bitop2_b32 v9, v9, v6 bitop3:0x14
	v_xor_b32_e32 v8, v8, v6
	s_delay_alu instid0(VALU_DEP_1)
	v_sub_nc_u64_e32 v[8:9], v[8:9], v[6:7]
.LBB78_1860:
	s_mov_b32 s25, 0
.LBB78_1861:
	s_delay_alu instid0(SALU_CYCLE_1)
	s_and_not1_b32 vcc_lo, exec_lo, s25
	s_cbranch_vccnz .LBB78_1863
; %bb.1862:
	s_wait_loadcnt 0x0
	global_load_b32 v6, v[4:5], off
	s_wait_loadcnt 0x0
	v_cvt_f32_f16_e32 v6, v6
	s_delay_alu instid0(VALU_DEP_1) | instskip(NEXT) | instid1(VALU_DEP_1)
	v_cvt_i32_f32_e32 v8, v6
	v_ashrrev_i32_e32 v9, 31, v8
.LBB78_1863:
	s_cbranch_execnz .LBB78_1874
.LBB78_1864:
	s_sext_i32_i16 s25, s1
	s_delay_alu instid0(SALU_CYCLE_1)
	s_cmp_lt_i32 s25, 6
	s_cbranch_scc1 .LBB78_1867
; %bb.1865:
	s_cmp_gt_i32 s25, 6
	s_cbranch_scc0 .LBB78_1868
; %bb.1866:
	s_wait_loadcnt 0x0
	global_load_b64 v[6:7], v[4:5], off
	s_mov_b32 s25, 0
	s_wait_loadcnt 0x0
	v_trunc_f64_e32 v[6:7], v[6:7]
	s_delay_alu instid0(VALU_DEP_1) | instskip(NEXT) | instid1(VALU_DEP_1)
	v_ldexp_f64 v[8:9], v[6:7], 0xffffffe0
	v_floor_f64_e32 v[8:9], v[8:9]
	s_delay_alu instid0(VALU_DEP_1) | instskip(SKIP_1) | instid1(VALU_DEP_2)
	v_fmamk_f64 v[6:7], v[8:9], 0xc1f00000, v[6:7]
	v_cvt_i32_f64_e32 v9, v[8:9]
	v_cvt_u32_f64_e32 v8, v[6:7]
	s_branch .LBB78_1869
.LBB78_1867:
	s_mov_b32 s25, -1
                                        ; implicit-def: $vgpr8_vgpr9
	s_branch .LBB78_1872
.LBB78_1868:
	s_mov_b32 s25, -1
                                        ; implicit-def: $vgpr8_vgpr9
.LBB78_1869:
	s_delay_alu instid0(SALU_CYCLE_1)
	s_and_not1_b32 vcc_lo, exec_lo, s25
	s_cbranch_vccnz .LBB78_1871
; %bb.1870:
	s_wait_loadcnt 0x0
	global_load_b32 v6, v[4:5], off
	s_wait_loadcnt 0x0
	v_trunc_f32_e32 v6, v6
	s_delay_alu instid0(VALU_DEP_1) | instskip(NEXT) | instid1(VALU_DEP_1)
	v_mul_f32_e64 v7, 0x2f800000, |v6|
	v_floor_f32_e32 v7, v7
	s_delay_alu instid0(VALU_DEP_1) | instskip(SKIP_2) | instid1(VALU_DEP_3)
	v_fma_f32 v8, 0xcf800000, v7, |v6|
	v_ashrrev_i32_e32 v6, 31, v6
	v_cvt_u32_f32_e32 v9, v7
	v_cvt_u32_f32_e32 v8, v8
	s_delay_alu instid0(VALU_DEP_2) | instskip(NEXT) | instid1(VALU_DEP_2)
	v_dual_mov_b32 v7, v6 :: v_dual_bitop2_b32 v9, v9, v6 bitop3:0x14
	v_xor_b32_e32 v8, v8, v6
	s_delay_alu instid0(VALU_DEP_1)
	v_sub_nc_u64_e32 v[8:9], v[8:9], v[6:7]
.LBB78_1871:
	s_mov_b32 s25, 0
.LBB78_1872:
	s_delay_alu instid0(SALU_CYCLE_1)
	s_and_not1_b32 vcc_lo, exec_lo, s25
	s_cbranch_vccnz .LBB78_1874
; %bb.1873:
	s_wait_loadcnt 0x0
	global_load_u16 v6, v[4:5], off
	s_wait_loadcnt 0x0
	v_cvt_f32_f16_e32 v6, v6
	s_delay_alu instid0(VALU_DEP_1) | instskip(NEXT) | instid1(VALU_DEP_1)
	v_cvt_i32_f32_e32 v8, v6
	v_ashrrev_i32_e32 v9, 31, v8
.LBB78_1874:
	s_cbranch_execnz .LBB78_1893
.LBB78_1875:
	s_sext_i32_i16 s25, s1
	s_delay_alu instid0(SALU_CYCLE_1)
	s_cmp_lt_i32 s25, 2
	s_cbranch_scc1 .LBB78_1879
; %bb.1876:
	s_cmp_lt_i32 s25, 3
	s_cbranch_scc1 .LBB78_1880
; %bb.1877:
	s_cmp_gt_i32 s25, 3
	s_cbranch_scc0 .LBB78_1881
; %bb.1878:
	s_wait_loadcnt 0x0
	global_load_b64 v[8:9], v[4:5], off
	s_mov_b32 s25, 0
	s_branch .LBB78_1882
.LBB78_1879:
                                        ; implicit-def: $vgpr8_vgpr9
	s_branch .LBB78_1888
.LBB78_1880:
	s_mov_b32 s25, -1
                                        ; implicit-def: $vgpr8_vgpr9
	s_branch .LBB78_1885
.LBB78_1881:
	s_mov_b32 s25, -1
                                        ; implicit-def: $vgpr8_vgpr9
.LBB78_1882:
	s_delay_alu instid0(SALU_CYCLE_1)
	s_and_not1_b32 vcc_lo, exec_lo, s25
	s_cbranch_vccnz .LBB78_1884
; %bb.1883:
	s_wait_loadcnt 0x0
	global_load_b32 v8, v[4:5], off
	s_wait_loadcnt 0x0
	v_ashrrev_i32_e32 v9, 31, v8
.LBB78_1884:
	s_mov_b32 s25, 0
.LBB78_1885:
	s_delay_alu instid0(SALU_CYCLE_1)
	s_and_not1_b32 vcc_lo, exec_lo, s25
	s_cbranch_vccnz .LBB78_1887
; %bb.1886:
	s_wait_loadcnt 0x0
	global_load_u16 v6, v[4:5], off
	s_wait_loadcnt 0x0
	v_bfe_i32 v8, v6, 0, 16
	s_delay_alu instid0(VALU_DEP_1)
	v_ashrrev_i32_e32 v9, 31, v8
.LBB78_1887:
	s_cbranch_execnz .LBB78_1893
.LBB78_1888:
	s_sext_i32_i16 s25, s1
	s_delay_alu instid0(SALU_CYCLE_1)
	s_cmp_gt_i32 s25, 0
	s_mov_b32 s25, 0
	s_cbranch_scc0 .LBB78_1890
; %bb.1889:
	s_wait_loadcnt 0x0
	global_load_i8 v6, v[4:5], off
	s_wait_loadcnt 0x0
	v_bfe_i32 v8, v6, 0, 16
	s_delay_alu instid0(VALU_DEP_1)
	v_ashrrev_i32_e32 v9, 31, v8
	s_branch .LBB78_1891
.LBB78_1890:
	s_mov_b32 s25, -1
                                        ; implicit-def: $vgpr8_vgpr9
.LBB78_1891:
	s_delay_alu instid0(SALU_CYCLE_1)
	s_and_not1_b32 vcc_lo, exec_lo, s25
	s_cbranch_vccnz .LBB78_1893
; %bb.1892:
	global_load_u8 v4, v[4:5], off
	s_mov_b32 s25, 0
	s_wait_loadcnt 0x1
	v_mov_b32_e32 v9, s25
	s_wait_loadcnt 0x0
	v_and_b32_e32 v8, 0xffff, v4
.LBB78_1893:
	s_or_b32 s29, s29, exec_lo
.LBB78_1894:
	s_wait_xcnt 0x0
	s_or_b32 exec_lo, exec_lo, s0
	s_mov_b32 s0, 0
	s_mov_b32 s27, 0
                                        ; implicit-def: $sgpr25
                                        ; implicit-def: $vgpr6_vgpr7
                                        ; implicit-def: $vgpr4_vgpr5
	s_and_saveexec_b32 s26, s29
	s_cbranch_execz .LBB78_1902
; %bb.1895:
	s_wait_loadcnt 0x0
	v_mul_u64_e32 v[0:1], s[16:17], v[0:1]
	v_mul_u64_e32 v[2:3], s[18:19], v[2:3]
	s_and_b32 s25, s2, 0xff
	s_delay_alu instid0(SALU_CYCLE_1) | instskip(NEXT) | instid1(VALU_DEP_1)
	s_cmp_lt_i32 s25, 11
	v_mad_nc_u64_u32 v[4:5], v2, v8, v[0:1]
	v_mul_lo_u32 v0, v26, s12
	s_delay_alu instid0(VALU_DEP_2) | instskip(NEXT) | instid1(VALU_DEP_2)
	v_mad_u32 v3, v3, v8, v5
	v_ashrrev_i32_e32 v1, 31, v0
	s_delay_alu instid0(VALU_DEP_1) | instskip(NEXT) | instid1(VALU_DEP_3)
	v_add_nc_u64_e32 v[6:7], s[4:5], v[0:1]
	v_mad_u32 v5, v2, v9, v3
	s_cbranch_scc1 .LBB78_1905
; %bb.1896:
	s_and_b32 s27, 0xffff, s25
	s_mov_b32 s28, -1
	s_cmp_gt_i32 s27, 25
	s_mov_b32 s0, s23
	s_cbranch_scc0 .LBB78_1933
; %bb.1897:
	s_cmp_gt_i32 s27, 28
	s_mov_b32 s0, s23
	s_cbranch_scc0 .LBB78_1917
; %bb.1898:
	;; [unrolled: 4-line block ×4, first 2 shown]
	s_cmp_eq_u32 s27, 46
	s_mov_b32 s0, -1
	s_cbranch_scc0 .LBB78_1906
; %bb.1901:
	v_xor_b32_e32 v0, v4, v5
	v_cls_i32_e32 v1, v5
	s_mov_b32 s0, 0
	s_mov_b32 s28, 0
	s_delay_alu instid0(VALU_DEP_2) | instskip(NEXT) | instid1(VALU_DEP_1)
	v_ashrrev_i32_e32 v0, 31, v0
	v_add_nc_u32_e32 v0, 32, v0
	s_delay_alu instid0(VALU_DEP_1) | instskip(NEXT) | instid1(VALU_DEP_1)
	v_add_min_u32_e64 v2, v1, -1, v0
	v_lshlrev_b64_e32 v[0:1], v2, v[4:5]
	s_delay_alu instid0(VALU_DEP_1) | instskip(NEXT) | instid1(VALU_DEP_1)
	v_min_u32_e32 v0, 1, v0
	v_dual_sub_nc_u32 v1, 32, v2 :: v_dual_bitop2_b32 v0, v1, v0 bitop3:0x54
	s_delay_alu instid0(VALU_DEP_1) | instskip(NEXT) | instid1(VALU_DEP_1)
	v_cvt_f32_i32_e32 v0, v0
	v_ldexp_f32 v0, v0, v1
	s_delay_alu instid0(VALU_DEP_1) | instskip(NEXT) | instid1(VALU_DEP_1)
	v_bfe_u32 v1, v0, 16, 1
	v_add3_u32 v0, v0, v1, 0x7fff
	s_delay_alu instid0(VALU_DEP_1)
	v_lshrrev_b32_e32 v0, 16, v0
	global_store_b32 v[6:7], v0, off
	s_branch .LBB78_1907
.LBB78_1902:
	s_or_b32 exec_lo, exec_lo, s26
	s_and_saveexec_b32 s26, s23
	s_cbranch_execnz .LBB78_1975
.LBB78_1903:
	s_or_b32 exec_lo, exec_lo, s26
	s_and_saveexec_b32 s23, s0
	s_delay_alu instid0(SALU_CYCLE_1)
	s_xor_b32 s0, exec_lo, s23
	s_cbranch_execz .LBB78_1976
.LBB78_1904:
	v_cmp_ne_u64_e32 vcc_lo, 0, v[4:5]
	s_wait_loadcnt 0x0
	v_cndmask_b32_e64 v0, 0, 1, vcc_lo
	global_store_b8 v[6:7], v0, off
	s_wait_xcnt 0x0
	s_or_b32 exec_lo, exec_lo, s0
	s_and_saveexec_b32 s0, s27
	s_delay_alu instid0(SALU_CYCLE_1)
	s_xor_b32 s0, exec_lo, s0
	s_cbranch_execz .LBB78_2014
	s_branch .LBB78_1977
.LBB78_1905:
	s_mov_b32 s29, 0
	s_mov_b32 s28, -1
	s_mov_b32 s0, s23
	s_branch .LBB78_1974
.LBB78_1906:
	s_mov_b32 s28, 0
.LBB78_1907:
	s_delay_alu instid0(SALU_CYCLE_1)
	s_and_b32 vcc_lo, exec_lo, s28
	s_cbranch_vccz .LBB78_1912
; %bb.1908:
	s_cmp_eq_u32 s27, 44
	s_mov_b32 s0, -1
	s_cbranch_scc0 .LBB78_1912
; %bb.1909:
	s_wait_xcnt 0x0
	v_xor_b32_e32 v0, v4, v5
	v_cls_i32_e32 v1, v5
	s_mov_b32 s28, exec_lo
	s_delay_alu instid0(VALU_DEP_2) | instskip(NEXT) | instid1(VALU_DEP_1)
	v_ashrrev_i32_e32 v0, 31, v0
	v_add_nc_u32_e32 v0, 32, v0
	s_delay_alu instid0(VALU_DEP_1) | instskip(NEXT) | instid1(VALU_DEP_1)
	v_add_min_u32_e64 v2, v1, -1, v0
	v_lshlrev_b64_e32 v[0:1], v2, v[4:5]
	s_delay_alu instid0(VALU_DEP_1) | instskip(NEXT) | instid1(VALU_DEP_1)
	v_min_u32_e32 v0, 1, v0
	v_dual_sub_nc_u32 v1, 32, v2 :: v_dual_bitop2_b32 v0, v1, v0 bitop3:0x54
	s_delay_alu instid0(VALU_DEP_1) | instskip(NEXT) | instid1(VALU_DEP_1)
	v_cvt_f32_i32_e32 v0, v0
	v_ldexp_f32 v0, v0, v1
	v_mov_b32_e32 v1, 0xff
	s_delay_alu instid0(VALU_DEP_2) | instskip(NEXT) | instid1(VALU_DEP_1)
	v_bfe_u32 v2, v0, 23, 8
	v_cmpx_ne_u32_e32 0xff, v2
	s_cbranch_execz .LBB78_1911
; %bb.1910:
	v_and_b32_e32 v1, 0x400000, v0
	v_and_or_b32 v2, 0x3fffff, v0, v2
	v_lshrrev_b32_e32 v0, 23, v0
	s_delay_alu instid0(VALU_DEP_3) | instskip(NEXT) | instid1(VALU_DEP_3)
	v_cmp_ne_u32_e32 vcc_lo, 0, v1
	v_cmp_ne_u32_e64 s0, 0, v2
	s_and_b32 s0, vcc_lo, s0
	s_delay_alu instid0(SALU_CYCLE_1) | instskip(NEXT) | instid1(VALU_DEP_1)
	v_cndmask_b32_e64 v1, 0, 1, s0
	v_add_nc_u32_e32 v1, v0, v1
.LBB78_1911:
	s_or_b32 exec_lo, exec_lo, s28
	s_mov_b32 s0, 0
	global_store_b8 v[6:7], v1, off
.LBB78_1912:
	s_mov_b32 s28, 0
.LBB78_1913:
	s_delay_alu instid0(SALU_CYCLE_1)
	s_and_b32 vcc_lo, exec_lo, s28
	s_cbranch_vccz .LBB78_1916
; %bb.1914:
	s_cmp_eq_u32 s27, 29
	s_mov_b32 s0, -1
	s_cbranch_scc0 .LBB78_1916
; %bb.1915:
	s_mov_b32 s0, 0
	global_store_b64 v[6:7], v[4:5], off
.LBB78_1916:
	s_mov_b32 s28, 0
.LBB78_1917:
	s_delay_alu instid0(SALU_CYCLE_1)
	s_and_b32 vcc_lo, exec_lo, s28
	s_cbranch_vccz .LBB78_1932
; %bb.1918:
	s_cmp_lt_i32 s27, 27
	s_mov_b32 s28, -1
	s_cbranch_scc1 .LBB78_1924
; %bb.1919:
	s_cmp_gt_i32 s27, 27
	s_cbranch_scc0 .LBB78_1921
; %bb.1920:
	s_mov_b32 s28, 0
	global_store_b32 v[6:7], v4, off
.LBB78_1921:
	s_and_not1_b32 vcc_lo, exec_lo, s28
	s_cbranch_vccnz .LBB78_1923
; %bb.1922:
	global_store_b16 v[6:7], v4, off
.LBB78_1923:
	s_mov_b32 s28, 0
.LBB78_1924:
	s_delay_alu instid0(SALU_CYCLE_1)
	s_and_not1_b32 vcc_lo, exec_lo, s28
	s_cbranch_vccnz .LBB78_1932
; %bb.1925:
	s_wait_xcnt 0x0
	v_xor_b32_e32 v0, v4, v5
	v_cls_i32_e32 v1, v5
	s_mov_b32 s28, exec_lo
	s_delay_alu instid0(VALU_DEP_2) | instskip(NEXT) | instid1(VALU_DEP_1)
	v_ashrrev_i32_e32 v0, 31, v0
	v_add_nc_u32_e32 v0, 32, v0
	s_delay_alu instid0(VALU_DEP_1) | instskip(NEXT) | instid1(VALU_DEP_1)
	v_add_min_u32_e64 v2, v1, -1, v0
	v_lshlrev_b64_e32 v[0:1], v2, v[4:5]
	s_delay_alu instid0(VALU_DEP_1) | instskip(NEXT) | instid1(VALU_DEP_1)
	v_min_u32_e32 v0, 1, v0
	v_dual_sub_nc_u32 v1, 32, v2 :: v_dual_bitop2_b32 v0, v1, v0 bitop3:0x54
	v_mov_b32_e32 v2, 0x80
	s_delay_alu instid0(VALU_DEP_2) | instskip(NEXT) | instid1(VALU_DEP_1)
	v_cvt_f32_i32_e32 v0, v0
	v_ldexp_f32 v0, v0, v1
	s_delay_alu instid0(VALU_DEP_1) | instskip(NEXT) | instid1(VALU_DEP_1)
	v_and_b32_e32 v1, 0x7fffffff, v0
	v_cmpx_gt_u32_e32 0x43800000, v1
	s_cbranch_execz .LBB78_1931
; %bb.1926:
	v_cmp_lt_u32_e32 vcc_lo, 0x3bffffff, v1
	s_mov_b32 s29, 0
                                        ; implicit-def: $vgpr1
	s_and_saveexec_b32 s30, vcc_lo
	s_delay_alu instid0(SALU_CYCLE_1)
	s_xor_b32 s30, exec_lo, s30
	s_cbranch_execz .LBB78_2029
; %bb.1927:
	v_bfe_u32 v1, v0, 20, 1
	s_mov_b32 s29, exec_lo
	s_delay_alu instid0(VALU_DEP_1) | instskip(NEXT) | instid1(VALU_DEP_1)
	v_add3_u32 v1, v0, v1, 0x487ffff
	v_lshrrev_b32_e32 v1, 20, v1
	s_and_not1_saveexec_b32 s30, s30
	s_cbranch_execnz .LBB78_2030
.LBB78_1928:
	s_or_b32 exec_lo, exec_lo, s30
	v_mov_b32_e32 v2, 0
	s_and_saveexec_b32 s30, s29
.LBB78_1929:
	v_lshrrev_b32_e32 v0, 24, v0
	s_delay_alu instid0(VALU_DEP_1)
	v_and_or_b32 v2, 0x80, v0, v1
.LBB78_1930:
	s_or_b32 exec_lo, exec_lo, s30
.LBB78_1931:
	s_delay_alu instid0(SALU_CYCLE_1)
	s_or_b32 exec_lo, exec_lo, s28
	global_store_b8 v[6:7], v2, off
.LBB78_1932:
	s_mov_b32 s28, 0
.LBB78_1933:
	s_delay_alu instid0(SALU_CYCLE_1)
	s_and_b32 vcc_lo, exec_lo, s28
	s_mov_b32 s28, 0
	s_cbranch_vccz .LBB78_1973
; %bb.1934:
	s_cmp_gt_i32 s27, 22
	s_mov_b32 s29, -1
	s_cbranch_scc0 .LBB78_1966
; %bb.1935:
	s_cmp_lt_i32 s27, 24
	s_cbranch_scc1 .LBB78_1955
; %bb.1936:
	s_cmp_gt_i32 s27, 24
	s_cbranch_scc0 .LBB78_1944
; %bb.1937:
	s_wait_xcnt 0x0
	v_xor_b32_e32 v0, v4, v5
	v_cls_i32_e32 v1, v5
	s_mov_b32 s29, exec_lo
	s_delay_alu instid0(VALU_DEP_2) | instskip(NEXT) | instid1(VALU_DEP_1)
	v_ashrrev_i32_e32 v0, 31, v0
	v_add_nc_u32_e32 v0, 32, v0
	s_delay_alu instid0(VALU_DEP_1) | instskip(NEXT) | instid1(VALU_DEP_1)
	v_add_min_u32_e64 v2, v1, -1, v0
	v_lshlrev_b64_e32 v[0:1], v2, v[4:5]
	s_delay_alu instid0(VALU_DEP_1) | instskip(NEXT) | instid1(VALU_DEP_1)
	v_min_u32_e32 v0, 1, v0
	v_dual_sub_nc_u32 v1, 32, v2 :: v_dual_bitop2_b32 v0, v1, v0 bitop3:0x54
	v_mov_b32_e32 v2, 0x80
	s_delay_alu instid0(VALU_DEP_2) | instskip(NEXT) | instid1(VALU_DEP_1)
	v_cvt_f32_i32_e32 v0, v0
	v_ldexp_f32 v0, v0, v1
	s_delay_alu instid0(VALU_DEP_1) | instskip(NEXT) | instid1(VALU_DEP_1)
	v_and_b32_e32 v1, 0x7fffffff, v0
	v_cmpx_gt_u32_e32 0x47800000, v1
	s_cbranch_execz .LBB78_1943
; %bb.1938:
	v_cmp_lt_u32_e32 vcc_lo, 0x37ffffff, v1
	s_mov_b32 s30, 0
                                        ; implicit-def: $vgpr1
	s_and_saveexec_b32 s31, vcc_lo
	s_delay_alu instid0(SALU_CYCLE_1)
	s_xor_b32 s31, exec_lo, s31
	s_cbranch_execz .LBB78_2150
; %bb.1939:
	v_bfe_u32 v1, v0, 21, 1
	s_mov_b32 s30, exec_lo
	s_delay_alu instid0(VALU_DEP_1) | instskip(NEXT) | instid1(VALU_DEP_1)
	v_add3_u32 v1, v0, v1, 0x88fffff
	v_lshrrev_b32_e32 v1, 21, v1
	s_and_not1_saveexec_b32 s31, s31
	s_cbranch_execnz .LBB78_2151
.LBB78_1940:
	s_or_b32 exec_lo, exec_lo, s31
	v_mov_b32_e32 v2, 0
	s_and_saveexec_b32 s31, s30
.LBB78_1941:
	v_lshrrev_b32_e32 v0, 24, v0
	s_delay_alu instid0(VALU_DEP_1)
	v_and_or_b32 v2, 0x80, v0, v1
.LBB78_1942:
	s_or_b32 exec_lo, exec_lo, s31
.LBB78_1943:
	s_delay_alu instid0(SALU_CYCLE_1)
	s_or_b32 exec_lo, exec_lo, s29
	s_mov_b32 s29, 0
	global_store_b8 v[6:7], v2, off
.LBB78_1944:
	s_and_b32 vcc_lo, exec_lo, s29
	s_cbranch_vccz .LBB78_1954
; %bb.1945:
	s_wait_xcnt 0x0
	v_xor_b32_e32 v0, v4, v5
	v_cls_i32_e32 v1, v5
	s_mov_b32 s29, exec_lo
	s_delay_alu instid0(VALU_DEP_2) | instskip(NEXT) | instid1(VALU_DEP_1)
	v_ashrrev_i32_e32 v0, 31, v0
	v_add_nc_u32_e32 v0, 32, v0
	s_delay_alu instid0(VALU_DEP_1) | instskip(NEXT) | instid1(VALU_DEP_1)
	v_add_min_u32_e64 v2, v1, -1, v0
	v_lshlrev_b64_e32 v[0:1], v2, v[4:5]
	s_delay_alu instid0(VALU_DEP_1) | instskip(NEXT) | instid1(VALU_DEP_1)
	v_min_u32_e32 v0, 1, v0
	v_dual_sub_nc_u32 v1, 32, v2 :: v_dual_bitop2_b32 v0, v1, v0 bitop3:0x54
	s_delay_alu instid0(VALU_DEP_1) | instskip(NEXT) | instid1(VALU_DEP_1)
	v_cvt_f32_i32_e32 v0, v0
	v_ldexp_f32 v0, v0, v1
                                        ; implicit-def: $vgpr1
	s_delay_alu instid0(VALU_DEP_1) | instskip(NEXT) | instid1(VALU_DEP_1)
	v_and_b32_e32 v2, 0x7fffffff, v0
	v_cmpx_gt_u32_e32 0x43f00000, v2
	s_xor_b32 s29, exec_lo, s29
	s_cbranch_execz .LBB78_1951
; %bb.1946:
	s_mov_b32 s30, exec_lo
                                        ; implicit-def: $vgpr1
	v_cmpx_lt_u32_e32 0x3c7fffff, v2
	s_xor_b32 s30, exec_lo, s30
; %bb.1947:
	v_bfe_u32 v1, v0, 20, 1
	s_delay_alu instid0(VALU_DEP_1) | instskip(NEXT) | instid1(VALU_DEP_1)
	v_add3_u32 v1, v0, v1, 0x407ffff
	v_and_b32_e32 v2, 0xff00000, v1
	v_lshrrev_b32_e32 v1, 20, v1
	s_delay_alu instid0(VALU_DEP_2) | instskip(NEXT) | instid1(VALU_DEP_2)
	v_cmp_ne_u32_e32 vcc_lo, 0x7f00000, v2
	v_cndmask_b32_e32 v1, 0x7e, v1, vcc_lo
; %bb.1948:
	s_and_not1_saveexec_b32 s30, s30
; %bb.1949:
	v_add_f32_e64 v1, 0x46800000, |v0|
; %bb.1950:
	s_or_b32 exec_lo, exec_lo, s30
                                        ; implicit-def: $vgpr2
.LBB78_1951:
	s_and_not1_saveexec_b32 s29, s29
; %bb.1952:
	v_mov_b32_e32 v1, 0x7f
	v_cmp_lt_u32_e32 vcc_lo, 0x7f800000, v2
	s_delay_alu instid0(VALU_DEP_2)
	v_cndmask_b32_e32 v1, 0x7e, v1, vcc_lo
; %bb.1953:
	s_or_b32 exec_lo, exec_lo, s29
	v_lshrrev_b32_e32 v0, 24, v0
	s_delay_alu instid0(VALU_DEP_1)
	v_and_or_b32 v0, 0x80, v0, v1
	global_store_b8 v[6:7], v0, off
.LBB78_1954:
	s_mov_b32 s29, 0
.LBB78_1955:
	s_delay_alu instid0(SALU_CYCLE_1)
	s_and_not1_b32 vcc_lo, exec_lo, s29
	s_cbranch_vccnz .LBB78_1965
; %bb.1956:
	s_wait_xcnt 0x0
	v_xor_b32_e32 v0, v4, v5
	v_cls_i32_e32 v1, v5
	s_mov_b32 s29, exec_lo
	s_delay_alu instid0(VALU_DEP_2) | instskip(NEXT) | instid1(VALU_DEP_1)
	v_ashrrev_i32_e32 v0, 31, v0
	v_add_nc_u32_e32 v0, 32, v0
	s_delay_alu instid0(VALU_DEP_1) | instskip(NEXT) | instid1(VALU_DEP_1)
	v_add_min_u32_e64 v2, v1, -1, v0
	v_lshlrev_b64_e32 v[0:1], v2, v[4:5]
	s_delay_alu instid0(VALU_DEP_1) | instskip(NEXT) | instid1(VALU_DEP_1)
	v_min_u32_e32 v0, 1, v0
	v_dual_sub_nc_u32 v1, 32, v2 :: v_dual_bitop2_b32 v0, v1, v0 bitop3:0x54
	s_delay_alu instid0(VALU_DEP_1) | instskip(NEXT) | instid1(VALU_DEP_1)
	v_cvt_f32_i32_e32 v0, v0
	v_ldexp_f32 v0, v0, v1
                                        ; implicit-def: $vgpr1
	s_delay_alu instid0(VALU_DEP_1) | instskip(NEXT) | instid1(VALU_DEP_1)
	v_and_b32_e32 v2, 0x7fffffff, v0
	v_cmpx_gt_u32_e32 0x47800000, v2
	s_xor_b32 s29, exec_lo, s29
	s_cbranch_execz .LBB78_1962
; %bb.1957:
	s_mov_b32 s30, exec_lo
                                        ; implicit-def: $vgpr1
	v_cmpx_lt_u32_e32 0x387fffff, v2
	s_xor_b32 s30, exec_lo, s30
; %bb.1958:
	v_bfe_u32 v1, v0, 21, 1
	s_delay_alu instid0(VALU_DEP_1) | instskip(NEXT) | instid1(VALU_DEP_1)
	v_add3_u32 v1, v0, v1, 0x80fffff
	v_lshrrev_b32_e32 v1, 21, v1
; %bb.1959:
	s_and_not1_saveexec_b32 s30, s30
; %bb.1960:
	v_add_f32_e64 v1, 0x43000000, |v0|
; %bb.1961:
	s_or_b32 exec_lo, exec_lo, s30
                                        ; implicit-def: $vgpr2
.LBB78_1962:
	s_and_not1_saveexec_b32 s29, s29
; %bb.1963:
	v_mov_b32_e32 v1, 0x7f
	v_cmp_lt_u32_e32 vcc_lo, 0x7f800000, v2
	s_delay_alu instid0(VALU_DEP_2)
	v_cndmask_b32_e32 v1, 0x7c, v1, vcc_lo
; %bb.1964:
	s_or_b32 exec_lo, exec_lo, s29
	v_lshrrev_b32_e32 v0, 24, v0
	s_delay_alu instid0(VALU_DEP_1)
	v_and_or_b32 v0, 0x80, v0, v1
	global_store_b8 v[6:7], v0, off
.LBB78_1965:
	s_mov_b32 s29, 0
.LBB78_1966:
	s_delay_alu instid0(SALU_CYCLE_1)
	s_and_not1_b32 vcc_lo, exec_lo, s29
	s_mov_b32 s29, 0
	s_cbranch_vccnz .LBB78_1974
; %bb.1967:
	s_cmp_gt_i32 s27, 14
	s_mov_b32 s29, -1
	s_cbranch_scc0 .LBB78_1971
; %bb.1968:
	s_cmp_eq_u32 s27, 15
	s_mov_b32 s0, -1
	s_cbranch_scc0 .LBB78_1970
; %bb.1969:
	s_wait_xcnt 0x0
	v_xor_b32_e32 v0, v4, v5
	v_cls_i32_e32 v1, v5
	s_mov_b32 s0, 0
	s_delay_alu instid0(VALU_DEP_2) | instskip(NEXT) | instid1(VALU_DEP_1)
	v_ashrrev_i32_e32 v0, 31, v0
	v_add_nc_u32_e32 v0, 32, v0
	s_delay_alu instid0(VALU_DEP_1) | instskip(NEXT) | instid1(VALU_DEP_1)
	v_add_min_u32_e64 v2, v1, -1, v0
	v_lshlrev_b64_e32 v[0:1], v2, v[4:5]
	s_delay_alu instid0(VALU_DEP_1) | instskip(NEXT) | instid1(VALU_DEP_1)
	v_min_u32_e32 v0, 1, v0
	v_dual_sub_nc_u32 v1, 32, v2 :: v_dual_bitop2_b32 v0, v1, v0 bitop3:0x54
	s_delay_alu instid0(VALU_DEP_1) | instskip(NEXT) | instid1(VALU_DEP_1)
	v_cvt_f32_i32_e32 v0, v0
	v_ldexp_f32 v0, v0, v1
	s_delay_alu instid0(VALU_DEP_1) | instskip(NEXT) | instid1(VALU_DEP_1)
	v_bfe_u32 v1, v0, 16, 1
	v_add3_u32 v0, v0, v1, 0x7fff
	global_store_d16_hi_b16 v[6:7], v0, off
.LBB78_1970:
	s_mov_b32 s29, 0
.LBB78_1971:
	s_delay_alu instid0(SALU_CYCLE_1)
	s_and_b32 vcc_lo, exec_lo, s29
	s_mov_b32 s29, 0
	s_cbranch_vccz .LBB78_1974
; %bb.1972:
	s_cmp_lg_u32 s27, 11
	s_mov_b32 s29, -1
	s_cselect_b32 s27, -1, 0
	s_and_not1_b32 s0, s0, exec_lo
	s_and_b32 s27, s27, exec_lo
	s_delay_alu instid0(SALU_CYCLE_1)
	s_or_b32 s0, s0, s27
	s_branch .LBB78_1974
.LBB78_1973:
	s_mov_b32 s29, 0
.LBB78_1974:
	s_and_b32 s27, s28, exec_lo
	s_and_not1_b32 s23, s23, exec_lo
	s_and_b32 s28, s0, exec_lo
	s_and_b32 s0, s29, exec_lo
	s_or_b32 s23, s23, s28
	s_wait_xcnt 0x0
	s_or_b32 exec_lo, exec_lo, s26
	s_and_saveexec_b32 s26, s23
	s_cbranch_execz .LBB78_1903
.LBB78_1975:
	s_or_b32 s24, s24, exec_lo
	s_and_not1_b32 s0, s0, exec_lo
	s_trap 2
	s_or_b32 exec_lo, exec_lo, s26
	s_and_saveexec_b32 s23, s0
	s_delay_alu instid0(SALU_CYCLE_1)
	s_xor_b32 s0, exec_lo, s23
	s_cbranch_execnz .LBB78_1904
.LBB78_1976:
	s_or_b32 exec_lo, exec_lo, s0
	s_and_saveexec_b32 s0, s27
	s_delay_alu instid0(SALU_CYCLE_1)
	s_xor_b32 s0, exec_lo, s0
	s_cbranch_execz .LBB78_2014
.LBB78_1977:
	s_sext_i32_i16 s26, s25
	s_mov_b32 s23, -1
	s_cmp_lt_i32 s26, 5
	s_cbranch_scc1 .LBB78_1998
; %bb.1978:
	s_cmp_lt_i32 s26, 8
	s_cbranch_scc1 .LBB78_1988
; %bb.1979:
	;; [unrolled: 3-line block ×3, first 2 shown]
	s_cmp_gt_i32 s26, 9
	s_cbranch_scc0 .LBB78_1982
; %bb.1981:
	s_wait_loadcnt 0x0
	v_cvt_f64_i32_e32 v[0:1], v5
	v_cvt_f64_u32_e32 v[2:3], v4
	s_mov_b32 s23, 0
	s_delay_alu instid0(VALU_DEP_2) | instskip(NEXT) | instid1(VALU_DEP_1)
	v_ldexp_f64 v[0:1], v[0:1], 32
	v_dual_add_f64 v[0:1], v[0:1], v[2:3] :: v_dual_mov_b32 v2, 0
	s_delay_alu instid0(VALU_DEP_1)
	v_mov_b32_e32 v3, v2
	global_store_b128 v[6:7], v[0:3], off
.LBB78_1982:
	s_and_not1_b32 vcc_lo, exec_lo, s23
	s_cbranch_vccnz .LBB78_1984
; %bb.1983:
	s_wait_loadcnt 0x0
	v_xor_b32_e32 v0, v4, v5
	v_cls_i32_e32 v1, v5
	s_delay_alu instid0(VALU_DEP_2) | instskip(NEXT) | instid1(VALU_DEP_1)
	v_ashrrev_i32_e32 v0, 31, v0
	v_add_nc_u32_e32 v0, 32, v0
	s_delay_alu instid0(VALU_DEP_1) | instskip(NEXT) | instid1(VALU_DEP_1)
	v_add_min_u32_e64 v2, v1, -1, v0
	v_lshlrev_b64_e32 v[0:1], v2, v[4:5]
	s_delay_alu instid0(VALU_DEP_1) | instskip(NEXT) | instid1(VALU_DEP_1)
	v_min_u32_e32 v0, 1, v0
	v_dual_sub_nc_u32 v1, 32, v2 :: v_dual_bitop2_b32 v0, v1, v0 bitop3:0x54
	s_delay_alu instid0(VALU_DEP_1) | instskip(NEXT) | instid1(VALU_DEP_1)
	v_cvt_f32_i32_e32 v0, v0
	v_ldexp_f32 v0, v0, v1
	v_mov_b32_e32 v1, 0
	global_store_b64 v[6:7], v[0:1], off
.LBB78_1984:
	s_mov_b32 s23, 0
.LBB78_1985:
	s_delay_alu instid0(SALU_CYCLE_1)
	s_and_not1_b32 vcc_lo, exec_lo, s23
	s_cbranch_vccnz .LBB78_1987
; %bb.1986:
	s_wait_loadcnt 0x0
	v_xor_b32_e32 v0, v4, v5
	v_cls_i32_e32 v1, v5
	s_delay_alu instid0(VALU_DEP_2) | instskip(NEXT) | instid1(VALU_DEP_1)
	v_ashrrev_i32_e32 v0, 31, v0
	v_add_nc_u32_e32 v0, 32, v0
	s_delay_alu instid0(VALU_DEP_1) | instskip(NEXT) | instid1(VALU_DEP_1)
	v_add_min_u32_e64 v2, v1, -1, v0
	v_lshlrev_b64_e32 v[0:1], v2, v[4:5]
	s_delay_alu instid0(VALU_DEP_1) | instskip(NEXT) | instid1(VALU_DEP_1)
	v_min_u32_e32 v0, 1, v0
	v_dual_sub_nc_u32 v1, 32, v2 :: v_dual_bitop2_b32 v0, v1, v0 bitop3:0x54
	s_delay_alu instid0(VALU_DEP_1) | instskip(NEXT) | instid1(VALU_DEP_1)
	v_cvt_f32_i32_e32 v0, v0
	v_ldexp_f32 v0, v0, v1
	s_delay_alu instid0(VALU_DEP_1) | instskip(NEXT) | instid1(VALU_DEP_1)
	v_cvt_f16_f32_e32 v0, v0
	v_and_b32_e32 v0, 0xffff, v0
	global_store_b32 v[6:7], v0, off
.LBB78_1987:
	s_mov_b32 s23, 0
.LBB78_1988:
	s_delay_alu instid0(SALU_CYCLE_1)
	s_and_not1_b32 vcc_lo, exec_lo, s23
	s_cbranch_vccnz .LBB78_1997
; %bb.1989:
	s_sext_i32_i16 s26, s25
	s_mov_b32 s23, -1
	s_cmp_lt_i32 s26, 6
	s_cbranch_scc1 .LBB78_1995
; %bb.1990:
	s_cmp_gt_i32 s26, 6
	s_cbranch_scc0 .LBB78_1992
; %bb.1991:
	s_wait_loadcnt 0x0
	v_cvt_f64_i32_e32 v[0:1], v5
	v_cvt_f64_u32_e32 v[2:3], v4
	s_mov_b32 s23, 0
	s_delay_alu instid0(VALU_DEP_2) | instskip(NEXT) | instid1(VALU_DEP_1)
	v_ldexp_f64 v[0:1], v[0:1], 32
	v_add_f64_e32 v[0:1], v[0:1], v[2:3]
	global_store_b64 v[6:7], v[0:1], off
.LBB78_1992:
	s_and_not1_b32 vcc_lo, exec_lo, s23
	s_cbranch_vccnz .LBB78_1994
; %bb.1993:
	s_wait_loadcnt 0x0
	v_xor_b32_e32 v0, v4, v5
	v_cls_i32_e32 v1, v5
	s_delay_alu instid0(VALU_DEP_2) | instskip(NEXT) | instid1(VALU_DEP_1)
	v_ashrrev_i32_e32 v0, 31, v0
	v_add_nc_u32_e32 v0, 32, v0
	s_delay_alu instid0(VALU_DEP_1) | instskip(NEXT) | instid1(VALU_DEP_1)
	v_add_min_u32_e64 v2, v1, -1, v0
	v_lshlrev_b64_e32 v[0:1], v2, v[4:5]
	s_delay_alu instid0(VALU_DEP_1) | instskip(NEXT) | instid1(VALU_DEP_1)
	v_min_u32_e32 v0, 1, v0
	v_dual_sub_nc_u32 v1, 32, v2 :: v_dual_bitop2_b32 v0, v1, v0 bitop3:0x54
	s_delay_alu instid0(VALU_DEP_1) | instskip(NEXT) | instid1(VALU_DEP_1)
	v_cvt_f32_i32_e32 v0, v0
	v_ldexp_f32 v0, v0, v1
	global_store_b32 v[6:7], v0, off
.LBB78_1994:
	s_mov_b32 s23, 0
.LBB78_1995:
	s_delay_alu instid0(SALU_CYCLE_1)
	s_and_not1_b32 vcc_lo, exec_lo, s23
	s_cbranch_vccnz .LBB78_1997
; %bb.1996:
	s_wait_loadcnt 0x0
	v_xor_b32_e32 v0, v4, v5
	v_cls_i32_e32 v1, v5
	s_delay_alu instid0(VALU_DEP_2) | instskip(NEXT) | instid1(VALU_DEP_1)
	v_ashrrev_i32_e32 v0, 31, v0
	v_add_nc_u32_e32 v0, 32, v0
	s_delay_alu instid0(VALU_DEP_1) | instskip(NEXT) | instid1(VALU_DEP_1)
	v_add_min_u32_e64 v2, v1, -1, v0
	v_lshlrev_b64_e32 v[0:1], v2, v[4:5]
	s_delay_alu instid0(VALU_DEP_1) | instskip(NEXT) | instid1(VALU_DEP_1)
	v_min_u32_e32 v0, 1, v0
	v_dual_sub_nc_u32 v1, 32, v2 :: v_dual_bitop2_b32 v0, v1, v0 bitop3:0x54
	s_delay_alu instid0(VALU_DEP_1) | instskip(NEXT) | instid1(VALU_DEP_1)
	v_cvt_f32_i32_e32 v0, v0
	v_ldexp_f32 v0, v0, v1
	s_delay_alu instid0(VALU_DEP_1)
	v_cvt_f16_f32_e32 v0, v0
	global_store_b16 v[6:7], v0, off
.LBB78_1997:
	s_mov_b32 s23, 0
.LBB78_1998:
	s_delay_alu instid0(SALU_CYCLE_1)
	s_and_not1_b32 vcc_lo, exec_lo, s23
	s_cbranch_vccnz .LBB78_2014
; %bb.1999:
	s_sext_i32_i16 s26, s25
	s_mov_b32 s23, -1
	s_cmp_lt_i32 s26, 2
	s_cbranch_scc1 .LBB78_2009
; %bb.2000:
	s_cmp_lt_i32 s26, 3
	s_cbranch_scc1 .LBB78_2006
; %bb.2001:
	s_cmp_gt_i32 s26, 3
	s_cbranch_scc0 .LBB78_2003
; %bb.2002:
	s_mov_b32 s23, 0
	s_wait_loadcnt 0x0
	global_store_b64 v[6:7], v[4:5], off
.LBB78_2003:
	s_and_not1_b32 vcc_lo, exec_lo, s23
	s_cbranch_vccnz .LBB78_2005
; %bb.2004:
	s_wait_loadcnt 0x0
	global_store_b32 v[6:7], v4, off
.LBB78_2005:
	s_mov_b32 s23, 0
.LBB78_2006:
	s_delay_alu instid0(SALU_CYCLE_1)
	s_and_not1_b32 vcc_lo, exec_lo, s23
	s_cbranch_vccnz .LBB78_2008
; %bb.2007:
	s_wait_loadcnt 0x0
	global_store_b16 v[6:7], v4, off
.LBB78_2008:
	s_mov_b32 s23, 0
.LBB78_2009:
	s_delay_alu instid0(SALU_CYCLE_1)
	s_and_not1_b32 vcc_lo, exec_lo, s23
	s_cbranch_vccnz .LBB78_2014
; %bb.2010:
	s_sext_i32_i16 s23, s25
	s_delay_alu instid0(SALU_CYCLE_1)
	s_cmp_gt_i32 s23, 0
	s_mov_b32 s23, -1
	s_cbranch_scc0 .LBB78_2012
; %bb.2011:
	s_mov_b32 s23, 0
	s_wait_loadcnt 0x0
	global_store_b8 v[6:7], v4, off
.LBB78_2012:
	s_and_not1_b32 vcc_lo, exec_lo, s23
	s_cbranch_vccnz .LBB78_2014
; %bb.2013:
	s_wait_loadcnt 0x0
	global_store_b8 v[6:7], v4, off
.LBB78_2014:
	s_wait_xcnt 0x0
	s_or_b32 exec_lo, exec_lo, s0
	s_delay_alu instid0(SALU_CYCLE_1)
	s_and_b32 s23, s24, exec_lo
                                        ; implicit-def: $vgpr26
.LBB78_2015:
	s_or_saveexec_b32 s22, s22
	s_mov_b32 s0, 0
                                        ; implicit-def: $sgpr24
                                        ; implicit-def: $vgpr0_vgpr1
                                        ; implicit-def: $vgpr2_vgpr3
	s_xor_b32 exec_lo, exec_lo, s22
	s_cbranch_execz .LBB78_3970
; %bb.2016:
	s_wait_loadcnt 0x0
	v_mul_lo_u32 v6, s13, v26
	s_and_b32 s21, s21, 0xff
	s_delay_alu instid0(SALU_CYCLE_1) | instskip(NEXT) | instid1(VALU_DEP_1)
	s_cmp_lt_i32 s21, 11
	v_ashrrev_i32_e32 v7, 31, v6
	s_delay_alu instid0(VALU_DEP_1)
	v_add_nc_u64_e32 v[2:3], s[6:7], v[6:7]
	s_cbranch_scc1 .LBB78_2023
; %bb.2017:
	s_and_b32 s0, 0xffff, s21
	s_mov_b32 s24, 0
	s_cmp_gt_i32 s0, 25
	s_cbranch_scc0 .LBB78_2025
; %bb.2018:
	s_cmp_gt_i32 s0, 28
	s_cbranch_scc0 .LBB78_2026
; %bb.2019:
	s_cmp_gt_i32 s0, 43
	s_cbranch_scc0 .LBB78_2027
; %bb.2020:
	s_cmp_gt_i32 s0, 45
	s_cbranch_scc0 .LBB78_2028
; %bb.2021:
	s_cmp_eq_u32 s0, 46
	s_mov_b32 s26, 0
	s_cbranch_scc0 .LBB78_2031
; %bb.2022:
	global_load_b32 v0, v[2:3], off
	s_mov_b32 s25, -1
	s_wait_loadcnt 0x0
	v_lshlrev_b32_e32 v0, 16, v0
	s_delay_alu instid0(VALU_DEP_1) | instskip(NEXT) | instid1(VALU_DEP_1)
	v_trunc_f32_e32 v0, v0
	v_mul_f32_e64 v1, 0x2f800000, |v0|
	s_delay_alu instid0(VALU_DEP_1) | instskip(NEXT) | instid1(VALU_DEP_1)
	v_floor_f32_e32 v1, v1
	v_fma_f32 v4, 0xcf800000, v1, |v0|
	v_ashrrev_i32_e32 v0, 31, v0
	v_cvt_u32_f32_e32 v5, v1
	s_delay_alu instid0(VALU_DEP_3) | instskip(NEXT) | instid1(VALU_DEP_2)
	v_cvt_u32_f32_e32 v4, v4
	v_dual_mov_b32 v1, v0 :: v_dual_bitop2_b32 v5, v5, v0 bitop3:0x14
	s_delay_alu instid0(VALU_DEP_2) | instskip(NEXT) | instid1(VALU_DEP_1)
	v_xor_b32_e32 v4, v4, v0
	v_sub_nc_u64_e32 v[0:1], v[4:5], v[0:1]
	s_branch .LBB78_2033
.LBB78_2023:
	s_mov_b32 s25, 0
	s_mov_b32 s20, s23
                                        ; implicit-def: $vgpr0_vgpr1
	s_cbranch_execnz .LBB78_2091
.LBB78_2024:
	s_and_not1_b32 vcc_lo, exec_lo, s25
	s_cbranch_vccz .LBB78_2136
	s_branch .LBB78_3968
.LBB78_2025:
	s_mov_b32 s25, 0
                                        ; implicit-def: $vgpr0_vgpr1
	s_cbranch_execnz .LBB78_2058
	s_branch .LBB78_2087
.LBB78_2026:
	s_mov_b32 s25, 0
                                        ; implicit-def: $vgpr0_vgpr1
	s_cbranch_execz .LBB78_2057
	s_branch .LBB78_2042
.LBB78_2027:
	s_mov_b32 s25, 0
                                        ; implicit-def: $vgpr0_vgpr1
	s_cbranch_execnz .LBB78_2038
	s_branch .LBB78_2041
.LBB78_2028:
	s_mov_b32 s26, -1
	s_branch .LBB78_2032
.LBB78_2029:
	s_and_not1_saveexec_b32 s30, s30
	s_cbranch_execz .LBB78_1928
.LBB78_2030:
	v_add_f32_e64 v1, 0x46000000, |v0|
	s_and_not1_b32 s29, s29, exec_lo
	s_delay_alu instid0(VALU_DEP_1) | instskip(NEXT) | instid1(VALU_DEP_1)
	v_and_b32_e32 v1, 0xff, v1
	v_cmp_ne_u32_e32 vcc_lo, 0, v1
	s_and_b32 s31, vcc_lo, exec_lo
	s_delay_alu instid0(SALU_CYCLE_1)
	s_or_b32 s29, s29, s31
	s_or_b32 exec_lo, exec_lo, s30
	v_mov_b32_e32 v2, 0
	s_and_saveexec_b32 s30, s29
	s_cbranch_execnz .LBB78_1929
	s_branch .LBB78_1930
.LBB78_2031:
	s_mov_b32 s20, -1
.LBB78_2032:
	s_mov_b32 s25, 0
                                        ; implicit-def: $vgpr0_vgpr1
.LBB78_2033:
	s_and_b32 vcc_lo, exec_lo, s26
	s_cbranch_vccz .LBB78_2036
; %bb.2034:
	s_cmp_eq_u32 s0, 44
	s_cbranch_scc0 .LBB78_2037
; %bb.2035:
	global_load_u8 v7, v[2:3], off
	s_mov_b32 s20, 0
	s_mov_b32 s25, -1
	s_wait_loadcnt 0x0
	v_cmp_ne_u32_e32 vcc_lo, 0, v7
	v_lshlrev_b32_e32 v0, 23, v7
	s_delay_alu instid0(VALU_DEP_1) | instskip(NEXT) | instid1(VALU_DEP_1)
	v_trunc_f32_e32 v0, v0
	v_mul_f32_e64 v1, 0x2f800000, |v0|
	s_delay_alu instid0(VALU_DEP_1) | instskip(NEXT) | instid1(VALU_DEP_1)
	v_floor_f32_e32 v1, v1
	v_fma_f32 v4, 0xcf800000, v1, |v0|
	v_ashrrev_i32_e32 v0, 31, v0
	v_cvt_u32_f32_e32 v5, v1
	s_delay_alu instid0(VALU_DEP_3) | instskip(NEXT) | instid1(VALU_DEP_2)
	v_cvt_u32_f32_e32 v4, v4
	v_dual_mov_b32 v1, v0 :: v_dual_bitop2_b32 v5, v5, v0 bitop3:0x14
	s_delay_alu instid0(VALU_DEP_2) | instskip(NEXT) | instid1(VALU_DEP_1)
	v_xor_b32_e32 v4, v4, v0
	v_sub_nc_u64_e32 v[0:1], v[4:5], v[0:1]
	s_delay_alu instid0(VALU_DEP_1)
	v_dual_cndmask_b32 v1, 0, v1 :: v_dual_cndmask_b32 v0, 0, v0
.LBB78_2036:
	s_branch .LBB78_2041
.LBB78_2037:
	s_mov_b32 s20, -1
                                        ; implicit-def: $vgpr0_vgpr1
	s_branch .LBB78_2041
.LBB78_2038:
	s_cmp_eq_u32 s0, 29
	s_cbranch_scc0 .LBB78_2040
; %bb.2039:
	global_load_b64 v[0:1], v[2:3], off
	s_mov_b32 s20, 0
	s_mov_b32 s25, -1
	s_branch .LBB78_2041
.LBB78_2040:
	s_mov_b32 s20, -1
                                        ; implicit-def: $vgpr0_vgpr1
.LBB78_2041:
	s_branch .LBB78_2057
.LBB78_2042:
	s_cmp_lt_i32 s0, 27
	s_cbranch_scc1 .LBB78_2045
; %bb.2043:
	s_cmp_gt_i32 s0, 27
	s_cbranch_scc0 .LBB78_2046
; %bb.2044:
	s_wait_loadcnt 0x0
	global_load_b32 v0, v[2:3], off
	v_mov_b32_e32 v1, 0
	s_mov_b32 s25, 0
	s_branch .LBB78_2047
.LBB78_2045:
	s_mov_b32 s25, -1
                                        ; implicit-def: $vgpr0_vgpr1
	s_branch .LBB78_2050
.LBB78_2046:
	s_mov_b32 s25, -1
                                        ; implicit-def: $vgpr0_vgpr1
.LBB78_2047:
	s_delay_alu instid0(SALU_CYCLE_1)
	s_and_not1_b32 vcc_lo, exec_lo, s25
	s_cbranch_vccnz .LBB78_2049
; %bb.2048:
	s_wait_loadcnt 0x0
	global_load_u16 v0, v[2:3], off
	s_mov_b32 s25, 0
	s_delay_alu instid0(SALU_CYCLE_1)
	v_mov_b32_e32 v1, s25
	s_wait_loadcnt 0x0
	v_and_b32_e32 v0, 0xffff, v0
.LBB78_2049:
	s_mov_b32 s25, 0
.LBB78_2050:
	s_delay_alu instid0(SALU_CYCLE_1)
	s_and_not1_b32 vcc_lo, exec_lo, s25
	s_cbranch_vccnz .LBB78_2056
; %bb.2051:
	global_load_u8 v4, v[2:3], off
	s_mov_b32 s26, 0
	s_mov_b32 s25, exec_lo
	s_wait_loadcnt 0x0
	v_cmpx_lt_i16_e32 0x7f, v4
	s_xor_b32 s25, exec_lo, s25
	s_cbranch_execz .LBB78_2067
; %bb.2052:
	v_cmp_ne_u16_e32 vcc_lo, 0x80, v4
	s_and_b32 s26, vcc_lo, exec_lo
	s_and_not1_saveexec_b32 s25, s25
	s_cbranch_execnz .LBB78_2068
.LBB78_2053:
	s_or_b32 exec_lo, exec_lo, s25
	v_mov_b64_e32 v[0:1], 0
	s_and_saveexec_b32 s25, s26
	s_cbranch_execz .LBB78_2055
.LBB78_2054:
	v_and_b32_e32 v0, 0xffff, v4
	s_delay_alu instid0(VALU_DEP_1) | instskip(SKIP_1) | instid1(VALU_DEP_2)
	v_and_b32_e32 v1, 7, v0
	v_bfe_u32 v8, v0, 3, 4
	v_clz_i32_u32_e32 v5, v1
	s_delay_alu instid0(VALU_DEP_2) | instskip(NEXT) | instid1(VALU_DEP_2)
	v_cmp_eq_u32_e32 vcc_lo, 0, v8
	v_min_u32_e32 v5, 32, v5
	s_delay_alu instid0(VALU_DEP_1) | instskip(NEXT) | instid1(VALU_DEP_1)
	v_subrev_nc_u32_e32 v7, 28, v5
	v_dual_lshlrev_b32 v0, v7, v0 :: v_dual_sub_nc_u32 v5, 29, v5
	s_delay_alu instid0(VALU_DEP_1) | instskip(NEXT) | instid1(VALU_DEP_2)
	v_and_b32_e32 v0, 7, v0
	v_dual_cndmask_b32 v5, v8, v5 :: v_dual_lshlrev_b32 v4, 24, v4
	s_delay_alu instid0(VALU_DEP_2) | instskip(NEXT) | instid1(VALU_DEP_2)
	v_cndmask_b32_e32 v0, v1, v0, vcc_lo
	v_and_b32_e32 v1, 0x80000000, v4
	s_delay_alu instid0(VALU_DEP_3) | instskip(NEXT) | instid1(VALU_DEP_3)
	v_lshl_add_u32 v4, v5, 23, 0x3b800000
	v_lshlrev_b32_e32 v0, 20, v0
	s_delay_alu instid0(VALU_DEP_1) | instskip(NEXT) | instid1(VALU_DEP_1)
	v_or3_b32 v0, v1, v4, v0
	v_trunc_f32_e32 v0, v0
	s_delay_alu instid0(VALU_DEP_1) | instskip(NEXT) | instid1(VALU_DEP_1)
	v_mul_f32_e64 v1, 0x2f800000, |v0|
	v_floor_f32_e32 v1, v1
	s_delay_alu instid0(VALU_DEP_1) | instskip(SKIP_2) | instid1(VALU_DEP_3)
	v_fma_f32 v4, 0xcf800000, v1, |v0|
	v_ashrrev_i32_e32 v0, 31, v0
	v_cvt_u32_f32_e32 v5, v1
	v_cvt_u32_f32_e32 v4, v4
	s_delay_alu instid0(VALU_DEP_2) | instskip(NEXT) | instid1(VALU_DEP_2)
	v_dual_mov_b32 v1, v0 :: v_dual_bitop2_b32 v5, v5, v0 bitop3:0x14
	v_xor_b32_e32 v4, v4, v0
	s_delay_alu instid0(VALU_DEP_1)
	v_sub_nc_u64_e32 v[0:1], v[4:5], v[0:1]
.LBB78_2055:
	s_or_b32 exec_lo, exec_lo, s25
.LBB78_2056:
	s_mov_b32 s25, -1
.LBB78_2057:
	s_branch .LBB78_2087
.LBB78_2058:
	s_cmp_gt_i32 s0, 22
	s_cbranch_scc0 .LBB78_2066
; %bb.2059:
	s_cmp_lt_i32 s0, 24
	s_cbranch_scc1 .LBB78_2069
; %bb.2060:
	s_cmp_gt_i32 s0, 24
	s_cbranch_scc0 .LBB78_2070
; %bb.2061:
	global_load_u8 v4, v[2:3], off
	s_mov_b32 s25, 0
	s_mov_b32 s24, exec_lo
	s_wait_loadcnt 0x0
	v_cmpx_lt_i16_e32 0x7f, v4
	s_xor_b32 s24, exec_lo, s24
	s_cbranch_execz .LBB78_2081
; %bb.2062:
	v_cmp_ne_u16_e32 vcc_lo, 0x80, v4
	s_and_b32 s25, vcc_lo, exec_lo
	s_and_not1_saveexec_b32 s24, s24
	s_cbranch_execnz .LBB78_2082
.LBB78_2063:
	s_or_b32 exec_lo, exec_lo, s24
	v_mov_b64_e32 v[0:1], 0
	s_and_saveexec_b32 s24, s25
	s_cbranch_execz .LBB78_2065
.LBB78_2064:
	v_and_b32_e32 v0, 0xffff, v4
	s_delay_alu instid0(VALU_DEP_1) | instskip(SKIP_1) | instid1(VALU_DEP_2)
	v_and_b32_e32 v1, 3, v0
	v_bfe_u32 v8, v0, 2, 5
	v_clz_i32_u32_e32 v5, v1
	s_delay_alu instid0(VALU_DEP_2) | instskip(NEXT) | instid1(VALU_DEP_2)
	v_cmp_eq_u32_e32 vcc_lo, 0, v8
	v_min_u32_e32 v5, 32, v5
	s_delay_alu instid0(VALU_DEP_1) | instskip(NEXT) | instid1(VALU_DEP_1)
	v_subrev_nc_u32_e32 v7, 29, v5
	v_dual_lshlrev_b32 v0, v7, v0 :: v_dual_sub_nc_u32 v5, 30, v5
	s_delay_alu instid0(VALU_DEP_1) | instskip(NEXT) | instid1(VALU_DEP_2)
	v_and_b32_e32 v0, 3, v0
	v_dual_cndmask_b32 v5, v8, v5 :: v_dual_lshlrev_b32 v4, 24, v4
	s_delay_alu instid0(VALU_DEP_2) | instskip(NEXT) | instid1(VALU_DEP_2)
	v_cndmask_b32_e32 v0, v1, v0, vcc_lo
	v_and_b32_e32 v1, 0x80000000, v4
	s_delay_alu instid0(VALU_DEP_3) | instskip(NEXT) | instid1(VALU_DEP_3)
	v_lshl_add_u32 v4, v5, 23, 0x37800000
	v_lshlrev_b32_e32 v0, 21, v0
	s_delay_alu instid0(VALU_DEP_1) | instskip(NEXT) | instid1(VALU_DEP_1)
	v_or3_b32 v0, v1, v4, v0
	v_trunc_f32_e32 v0, v0
	s_delay_alu instid0(VALU_DEP_1) | instskip(NEXT) | instid1(VALU_DEP_1)
	v_mul_f32_e64 v1, 0x2f800000, |v0|
	v_floor_f32_e32 v1, v1
	s_delay_alu instid0(VALU_DEP_1) | instskip(SKIP_2) | instid1(VALU_DEP_3)
	v_fma_f32 v4, 0xcf800000, v1, |v0|
	v_ashrrev_i32_e32 v0, 31, v0
	v_cvt_u32_f32_e32 v5, v1
	v_cvt_u32_f32_e32 v4, v4
	s_delay_alu instid0(VALU_DEP_2) | instskip(NEXT) | instid1(VALU_DEP_2)
	v_dual_mov_b32 v1, v0 :: v_dual_bitop2_b32 v5, v5, v0 bitop3:0x14
	v_xor_b32_e32 v4, v4, v0
	s_delay_alu instid0(VALU_DEP_1)
	v_sub_nc_u64_e32 v[0:1], v[4:5], v[0:1]
.LBB78_2065:
	s_or_b32 exec_lo, exec_lo, s24
	s_mov_b32 s24, 0
	s_branch .LBB78_2071
.LBB78_2066:
                                        ; implicit-def: $vgpr0_vgpr1
	s_mov_b32 s24, 0
	s_branch .LBB78_2077
.LBB78_2067:
	s_and_not1_saveexec_b32 s25, s25
	s_cbranch_execz .LBB78_2053
.LBB78_2068:
	v_cmp_ne_u16_e32 vcc_lo, 0, v4
	s_and_not1_b32 s26, s26, exec_lo
	s_and_b32 s27, vcc_lo, exec_lo
	s_delay_alu instid0(SALU_CYCLE_1)
	s_or_b32 s26, s26, s27
	s_or_b32 exec_lo, exec_lo, s25
	v_mov_b64_e32 v[0:1], 0
	s_and_saveexec_b32 s25, s26
	s_cbranch_execnz .LBB78_2054
	s_branch .LBB78_2055
.LBB78_2069:
	s_mov_b32 s24, -1
                                        ; implicit-def: $vgpr0_vgpr1
	s_branch .LBB78_2074
.LBB78_2070:
	s_mov_b32 s24, -1
                                        ; implicit-def: $vgpr0_vgpr1
.LBB78_2071:
	s_delay_alu instid0(SALU_CYCLE_1)
	s_and_b32 vcc_lo, exec_lo, s24
	s_cbranch_vccz .LBB78_2073
; %bb.2072:
	s_wait_loadcnt 0x0
	global_load_u8 v0, v[2:3], off
	s_wait_loadcnt 0x0
	v_lshlrev_b32_e32 v0, 24, v0
	s_delay_alu instid0(VALU_DEP_1) | instskip(NEXT) | instid1(VALU_DEP_1)
	v_and_b32_e32 v1, 0x7f000000, v0
	v_clz_i32_u32_e32 v4, v1
	v_add_nc_u32_e32 v7, 0x1000000, v1
	v_cmp_ne_u32_e32 vcc_lo, 0, v1
	s_delay_alu instid0(VALU_DEP_3) | instskip(NEXT) | instid1(VALU_DEP_1)
	v_min_u32_e32 v4, 32, v4
	v_sub_nc_u32_e64 v4, v4, 4 clamp
	s_delay_alu instid0(VALU_DEP_1) | instskip(NEXT) | instid1(VALU_DEP_1)
	v_dual_lshlrev_b32 v5, v4, v1 :: v_dual_lshlrev_b32 v4, 23, v4
	v_lshrrev_b32_e32 v5, 4, v5
	s_delay_alu instid0(VALU_DEP_1) | instskip(NEXT) | instid1(VALU_DEP_1)
	v_dual_sub_nc_u32 v4, v5, v4 :: v_dual_ashrrev_i32 v5, 8, v7
	v_add_nc_u32_e32 v4, 0x3c000000, v4
	s_delay_alu instid0(VALU_DEP_1) | instskip(NEXT) | instid1(VALU_DEP_1)
	v_and_or_b32 v4, 0x7f800000, v5, v4
	v_cndmask_b32_e32 v1, 0, v4, vcc_lo
	s_delay_alu instid0(VALU_DEP_1) | instskip(NEXT) | instid1(VALU_DEP_1)
	v_and_or_b32 v0, 0x80000000, v0, v1
	v_trunc_f32_e32 v0, v0
	s_delay_alu instid0(VALU_DEP_1) | instskip(NEXT) | instid1(VALU_DEP_1)
	v_mul_f32_e64 v1, 0x2f800000, |v0|
	v_floor_f32_e32 v1, v1
	s_delay_alu instid0(VALU_DEP_1) | instskip(SKIP_2) | instid1(VALU_DEP_3)
	v_fma_f32 v4, 0xcf800000, v1, |v0|
	v_ashrrev_i32_e32 v0, 31, v0
	v_cvt_u32_f32_e32 v5, v1
	v_cvt_u32_f32_e32 v4, v4
	s_delay_alu instid0(VALU_DEP_2) | instskip(NEXT) | instid1(VALU_DEP_2)
	v_dual_mov_b32 v1, v0 :: v_dual_bitop2_b32 v5, v5, v0 bitop3:0x14
	v_xor_b32_e32 v4, v4, v0
	s_delay_alu instid0(VALU_DEP_1)
	v_sub_nc_u64_e32 v[0:1], v[4:5], v[0:1]
.LBB78_2073:
	s_mov_b32 s24, 0
.LBB78_2074:
	s_delay_alu instid0(SALU_CYCLE_1)
	s_and_not1_b32 vcc_lo, exec_lo, s24
	s_cbranch_vccnz .LBB78_2076
; %bb.2075:
	s_wait_loadcnt 0x0
	global_load_u8 v0, v[2:3], off
	s_wait_loadcnt 0x0
	v_lshlrev_b32_e32 v1, 25, v0
	v_lshlrev_b16 v0, 8, v0
	s_delay_alu instid0(VALU_DEP_1) | instskip(SKIP_1) | instid1(VALU_DEP_2)
	v_and_or_b32 v5, 0x7f00, v0, 0.5
	v_bfe_i32 v0, v0, 0, 16
	v_add_f32_e32 v5, -0.5, v5
	v_lshrrev_b32_e32 v4, 4, v1
	v_cmp_gt_u32_e32 vcc_lo, 0x8000000, v1
	s_delay_alu instid0(VALU_DEP_2) | instskip(NEXT) | instid1(VALU_DEP_1)
	v_or_b32_e32 v4, 0x70000000, v4
	v_mul_f32_e32 v4, 0x7800000, v4
	s_delay_alu instid0(VALU_DEP_1) | instskip(NEXT) | instid1(VALU_DEP_1)
	v_cndmask_b32_e32 v1, v4, v5, vcc_lo
	v_and_or_b32 v0, 0x80000000, v0, v1
	s_delay_alu instid0(VALU_DEP_1) | instskip(NEXT) | instid1(VALU_DEP_1)
	v_trunc_f32_e32 v0, v0
	v_mul_f32_e64 v1, 0x2f800000, |v0|
	s_delay_alu instid0(VALU_DEP_1) | instskip(NEXT) | instid1(VALU_DEP_1)
	v_floor_f32_e32 v1, v1
	v_fma_f32 v4, 0xcf800000, v1, |v0|
	v_ashrrev_i32_e32 v0, 31, v0
	v_cvt_u32_f32_e32 v5, v1
	s_delay_alu instid0(VALU_DEP_3) | instskip(NEXT) | instid1(VALU_DEP_2)
	v_cvt_u32_f32_e32 v4, v4
	v_dual_mov_b32 v1, v0 :: v_dual_bitop2_b32 v5, v5, v0 bitop3:0x14
	s_delay_alu instid0(VALU_DEP_2) | instskip(NEXT) | instid1(VALU_DEP_1)
	v_xor_b32_e32 v4, v4, v0
	v_sub_nc_u64_e32 v[0:1], v[4:5], v[0:1]
.LBB78_2076:
	s_mov_b32 s25, -1
	s_mov_b32 s24, 0
	s_cbranch_execnz .LBB78_2087
.LBB78_2077:
	s_cmp_gt_i32 s0, 14
	s_cbranch_scc0 .LBB78_2080
; %bb.2078:
	s_cmp_eq_u32 s0, 15
	s_cbranch_scc0 .LBB78_2083
; %bb.2079:
	s_wait_loadcnt 0x0
	global_load_u16 v0, v[2:3], off
	s_mov_b32 s20, 0
	s_mov_b32 s25, -1
	s_wait_loadcnt 0x0
	v_lshlrev_b32_e32 v0, 16, v0
	s_delay_alu instid0(VALU_DEP_1) | instskip(NEXT) | instid1(VALU_DEP_1)
	v_trunc_f32_e32 v0, v0
	v_mul_f32_e64 v1, 0x2f800000, |v0|
	s_delay_alu instid0(VALU_DEP_1) | instskip(NEXT) | instid1(VALU_DEP_1)
	v_floor_f32_e32 v1, v1
	v_fma_f32 v4, 0xcf800000, v1, |v0|
	v_ashrrev_i32_e32 v0, 31, v0
	v_cvt_u32_f32_e32 v5, v1
	s_delay_alu instid0(VALU_DEP_3) | instskip(NEXT) | instid1(VALU_DEP_2)
	v_cvt_u32_f32_e32 v4, v4
	v_dual_mov_b32 v1, v0 :: v_dual_bitop2_b32 v5, v5, v0 bitop3:0x14
	s_delay_alu instid0(VALU_DEP_2) | instskip(NEXT) | instid1(VALU_DEP_1)
	v_xor_b32_e32 v4, v4, v0
	v_sub_nc_u64_e32 v[0:1], v[4:5], v[0:1]
	s_branch .LBB78_2085
.LBB78_2080:
	s_mov_b32 s24, -1
	s_branch .LBB78_2084
.LBB78_2081:
	s_and_not1_saveexec_b32 s24, s24
	s_cbranch_execz .LBB78_2063
.LBB78_2082:
	v_cmp_ne_u16_e32 vcc_lo, 0, v4
	s_and_not1_b32 s25, s25, exec_lo
	s_and_b32 s26, vcc_lo, exec_lo
	s_delay_alu instid0(SALU_CYCLE_1)
	s_or_b32 s25, s25, s26
	s_or_b32 exec_lo, exec_lo, s24
	v_mov_b64_e32 v[0:1], 0
	s_and_saveexec_b32 s24, s25
	s_cbranch_execnz .LBB78_2064
	s_branch .LBB78_2065
.LBB78_2083:
	s_mov_b32 s20, -1
.LBB78_2084:
                                        ; implicit-def: $vgpr0_vgpr1
.LBB78_2085:
	s_and_b32 vcc_lo, exec_lo, s24
	s_mov_b32 s24, 0
	s_cbranch_vccz .LBB78_2087
; %bb.2086:
	s_cmp_lg_u32 s0, 11
	s_mov_b32 s24, -1
	s_cselect_b32 s20, -1, 0
.LBB78_2087:
	s_delay_alu instid0(SALU_CYCLE_1)
	s_and_b32 vcc_lo, exec_lo, s20
	s_mov_b32 s20, s23
	s_cbranch_vccnz .LBB78_2148
; %bb.2088:
	s_and_not1_b32 vcc_lo, exec_lo, s24
	s_cbranch_vccnz .LBB78_2090
.LBB78_2089:
	s_wait_loadcnt 0x0
	global_load_u8 v0, v[2:3], off
	s_mov_b32 s0, 0
	s_mov_b32 s25, -1
	v_mov_b32_e32 v1, s0
	s_wait_loadcnt 0x0
	v_cmp_ne_u16_e32 vcc_lo, 0, v0
	v_cndmask_b32_e64 v0, 0, 1, vcc_lo
.LBB78_2090:
	s_branch .LBB78_2024
.LBB78_2091:
	s_and_b32 s0, 0xffff, s21
	s_delay_alu instid0(SALU_CYCLE_1)
	s_cmp_lt_i32 s0, 5
	s_cbranch_scc1 .LBB78_2096
; %bb.2092:
	s_cmp_lt_i32 s0, 8
	s_cbranch_scc1 .LBB78_2097
; %bb.2093:
	s_cmp_lt_i32 s0, 9
	s_cbranch_scc1 .LBB78_2098
; %bb.2094:
	s_cmp_gt_i32 s0, 9
	s_cbranch_scc0 .LBB78_2099
; %bb.2095:
	s_wait_loadcnt 0x0
	global_load_b64 v[0:1], v[2:3], off
	s_mov_b32 s24, 0
	s_wait_loadcnt 0x0
	v_trunc_f64_e32 v[0:1], v[0:1]
	s_delay_alu instid0(VALU_DEP_1) | instskip(NEXT) | instid1(VALU_DEP_1)
	v_ldexp_f64 v[4:5], v[0:1], 0xffffffe0
	v_floor_f64_e32 v[4:5], v[4:5]
	s_delay_alu instid0(VALU_DEP_1) | instskip(SKIP_1) | instid1(VALU_DEP_2)
	v_fmamk_f64 v[8:9], v[4:5], 0xc1f00000, v[0:1]
	v_cvt_i32_f64_e32 v1, v[4:5]
	v_cvt_u32_f64_e32 v0, v[8:9]
	s_branch .LBB78_2100
.LBB78_2096:
                                        ; implicit-def: $vgpr0_vgpr1
	s_branch .LBB78_2117
.LBB78_2097:
                                        ; implicit-def: $vgpr0_vgpr1
	s_branch .LBB78_2106
.LBB78_2098:
	s_mov_b32 s24, -1
                                        ; implicit-def: $vgpr0_vgpr1
	s_branch .LBB78_2103
.LBB78_2099:
	s_mov_b32 s24, -1
                                        ; implicit-def: $vgpr0_vgpr1
.LBB78_2100:
	s_delay_alu instid0(SALU_CYCLE_1)
	s_and_not1_b32 vcc_lo, exec_lo, s24
	s_cbranch_vccnz .LBB78_2102
; %bb.2101:
	s_wait_loadcnt 0x0
	global_load_b32 v0, v[2:3], off
	s_wait_loadcnt 0x0
	v_trunc_f32_e32 v0, v0
	s_delay_alu instid0(VALU_DEP_1) | instskip(NEXT) | instid1(VALU_DEP_1)
	v_mul_f32_e64 v1, 0x2f800000, |v0|
	v_floor_f32_e32 v1, v1
	s_delay_alu instid0(VALU_DEP_1) | instskip(SKIP_2) | instid1(VALU_DEP_3)
	v_fma_f32 v4, 0xcf800000, v1, |v0|
	v_ashrrev_i32_e32 v0, 31, v0
	v_cvt_u32_f32_e32 v5, v1
	v_cvt_u32_f32_e32 v4, v4
	s_delay_alu instid0(VALU_DEP_2) | instskip(NEXT) | instid1(VALU_DEP_2)
	v_dual_mov_b32 v1, v0 :: v_dual_bitop2_b32 v5, v5, v0 bitop3:0x14
	v_xor_b32_e32 v4, v4, v0
	s_delay_alu instid0(VALU_DEP_1)
	v_sub_nc_u64_e32 v[0:1], v[4:5], v[0:1]
.LBB78_2102:
	s_mov_b32 s24, 0
.LBB78_2103:
	s_delay_alu instid0(SALU_CYCLE_1)
	s_and_not1_b32 vcc_lo, exec_lo, s24
	s_cbranch_vccnz .LBB78_2105
; %bb.2104:
	s_wait_loadcnt 0x0
	global_load_b32 v0, v[2:3], off
	s_wait_loadcnt 0x0
	v_cvt_f32_f16_e32 v0, v0
	s_delay_alu instid0(VALU_DEP_1) | instskip(NEXT) | instid1(VALU_DEP_1)
	v_cvt_i32_f32_e32 v0, v0
	v_ashrrev_i32_e32 v1, 31, v0
.LBB78_2105:
	s_cbranch_execnz .LBB78_2116
.LBB78_2106:
	s_cmp_lt_i32 s0, 6
	s_cbranch_scc1 .LBB78_2109
; %bb.2107:
	s_cmp_gt_i32 s0, 6
	s_cbranch_scc0 .LBB78_2110
; %bb.2108:
	s_wait_loadcnt 0x0
	global_load_b64 v[0:1], v[2:3], off
	s_mov_b32 s24, 0
	s_wait_loadcnt 0x0
	v_trunc_f64_e32 v[0:1], v[0:1]
	s_delay_alu instid0(VALU_DEP_1) | instskip(NEXT) | instid1(VALU_DEP_1)
	v_ldexp_f64 v[4:5], v[0:1], 0xffffffe0
	v_floor_f64_e32 v[4:5], v[4:5]
	s_delay_alu instid0(VALU_DEP_1) | instskip(SKIP_1) | instid1(VALU_DEP_2)
	v_fmamk_f64 v[8:9], v[4:5], 0xc1f00000, v[0:1]
	v_cvt_i32_f64_e32 v1, v[4:5]
	v_cvt_u32_f64_e32 v0, v[8:9]
	s_branch .LBB78_2111
.LBB78_2109:
	s_mov_b32 s24, -1
                                        ; implicit-def: $vgpr0_vgpr1
	s_branch .LBB78_2114
.LBB78_2110:
	s_mov_b32 s24, -1
                                        ; implicit-def: $vgpr0_vgpr1
.LBB78_2111:
	s_delay_alu instid0(SALU_CYCLE_1)
	s_and_not1_b32 vcc_lo, exec_lo, s24
	s_cbranch_vccnz .LBB78_2113
; %bb.2112:
	s_wait_loadcnt 0x0
	global_load_b32 v0, v[2:3], off
	s_wait_loadcnt 0x0
	v_trunc_f32_e32 v0, v0
	s_delay_alu instid0(VALU_DEP_1) | instskip(NEXT) | instid1(VALU_DEP_1)
	v_mul_f32_e64 v1, 0x2f800000, |v0|
	v_floor_f32_e32 v1, v1
	s_delay_alu instid0(VALU_DEP_1) | instskip(SKIP_2) | instid1(VALU_DEP_3)
	v_fma_f32 v4, 0xcf800000, v1, |v0|
	v_ashrrev_i32_e32 v0, 31, v0
	v_cvt_u32_f32_e32 v5, v1
	v_cvt_u32_f32_e32 v4, v4
	s_delay_alu instid0(VALU_DEP_2) | instskip(NEXT) | instid1(VALU_DEP_2)
	v_dual_mov_b32 v1, v0 :: v_dual_bitop2_b32 v5, v5, v0 bitop3:0x14
	v_xor_b32_e32 v4, v4, v0
	s_delay_alu instid0(VALU_DEP_1)
	v_sub_nc_u64_e32 v[0:1], v[4:5], v[0:1]
.LBB78_2113:
	s_mov_b32 s24, 0
.LBB78_2114:
	s_delay_alu instid0(SALU_CYCLE_1)
	s_and_not1_b32 vcc_lo, exec_lo, s24
	s_cbranch_vccnz .LBB78_2116
; %bb.2115:
	s_wait_loadcnt 0x0
	global_load_u16 v0, v[2:3], off
	s_wait_loadcnt 0x0
	v_cvt_f32_f16_e32 v0, v0
	s_delay_alu instid0(VALU_DEP_1) | instskip(NEXT) | instid1(VALU_DEP_1)
	v_cvt_i32_f32_e32 v0, v0
	v_ashrrev_i32_e32 v1, 31, v0
.LBB78_2116:
	s_cbranch_execnz .LBB78_2135
.LBB78_2117:
	s_cmp_lt_i32 s0, 2
	s_cbranch_scc1 .LBB78_2121
; %bb.2118:
	s_cmp_lt_i32 s0, 3
	s_cbranch_scc1 .LBB78_2122
; %bb.2119:
	s_cmp_gt_i32 s0, 3
	s_cbranch_scc0 .LBB78_2123
; %bb.2120:
	s_wait_loadcnt 0x0
	global_load_b64 v[0:1], v[2:3], off
	s_mov_b32 s24, 0
	s_branch .LBB78_2124
.LBB78_2121:
                                        ; implicit-def: $vgpr0_vgpr1
	s_branch .LBB78_2130
.LBB78_2122:
	s_mov_b32 s24, -1
                                        ; implicit-def: $vgpr0_vgpr1
	s_branch .LBB78_2127
.LBB78_2123:
	s_mov_b32 s24, -1
                                        ; implicit-def: $vgpr0_vgpr1
.LBB78_2124:
	s_delay_alu instid0(SALU_CYCLE_1)
	s_and_not1_b32 vcc_lo, exec_lo, s24
	s_cbranch_vccnz .LBB78_2126
; %bb.2125:
	s_wait_loadcnt 0x0
	global_load_b32 v0, v[2:3], off
	s_wait_loadcnt 0x0
	v_ashrrev_i32_e32 v1, 31, v0
.LBB78_2126:
	s_mov_b32 s24, 0
.LBB78_2127:
	s_delay_alu instid0(SALU_CYCLE_1)
	s_and_not1_b32 vcc_lo, exec_lo, s24
	s_cbranch_vccnz .LBB78_2129
; %bb.2128:
	s_wait_loadcnt 0x0
	global_load_u16 v0, v[2:3], off
	s_wait_loadcnt 0x0
	v_bfe_i32 v0, v0, 0, 16
	s_delay_alu instid0(VALU_DEP_1)
	v_ashrrev_i32_e32 v1, 31, v0
.LBB78_2129:
	s_cbranch_execnz .LBB78_2135
.LBB78_2130:
	s_cmp_gt_i32 s0, 0
	s_mov_b32 s0, 0
	s_cbranch_scc0 .LBB78_2132
; %bb.2131:
	s_wait_loadcnt 0x0
	global_load_i8 v0, v[2:3], off
	s_wait_loadcnt 0x0
	v_bfe_i32 v0, v0, 0, 16
	s_delay_alu instid0(VALU_DEP_1)
	v_ashrrev_i32_e32 v1, 31, v0
	s_branch .LBB78_2133
.LBB78_2132:
	s_mov_b32 s0, -1
                                        ; implicit-def: $vgpr0_vgpr1
.LBB78_2133:
	s_delay_alu instid0(SALU_CYCLE_1)
	s_and_not1_b32 vcc_lo, exec_lo, s0
	s_cbranch_vccnz .LBB78_2135
; %bb.2134:
	s_wait_loadcnt 0x0
	global_load_u8 v0, v[2:3], off
	s_mov_b32 s0, 0
	s_delay_alu instid0(SALU_CYCLE_1)
	v_mov_b32_e32 v1, s0
	s_wait_loadcnt 0x0
	v_and_b32_e32 v0, 0xffff, v0
.LBB78_2135:
.LBB78_2136:
	v_mul_lo_u32 v8, s14, v26
	s_and_b32 s3, s3, 0xff
	s_delay_alu instid0(SALU_CYCLE_1) | instskip(NEXT) | instid1(VALU_DEP_1)
	s_cmp_lt_i32 s3, 11
	v_ashrrev_i32_e32 v9, 31, v8
	s_delay_alu instid0(VALU_DEP_1)
	v_add_nc_u64_e32 v[4:5], s[8:9], v[8:9]
	s_cbranch_scc1 .LBB78_2143
; %bb.2137:
	s_and_b32 s0, 0xffff, s3
	s_mov_b32 s25, 0
	s_cmp_gt_i32 s0, 25
	s_cbranch_scc0 .LBB78_2145
; %bb.2138:
	s_cmp_gt_i32 s0, 28
	s_cbranch_scc0 .LBB78_2146
; %bb.2139:
	;; [unrolled: 3-line block ×4, first 2 shown]
	s_cmp_eq_u32 s0, 46
	s_mov_b32 s27, 0
	s_cbranch_scc0 .LBB78_2152
; %bb.2142:
	global_load_b32 v2, v[4:5], off
	s_mov_b32 s24, 0
	s_mov_b32 s26, -1
	s_wait_loadcnt 0x0
	v_lshlrev_b32_e32 v2, 16, v2
	s_delay_alu instid0(VALU_DEP_1) | instskip(NEXT) | instid1(VALU_DEP_1)
	v_trunc_f32_e32 v2, v2
	v_mul_f32_e64 v3, 0x2f800000, |v2|
	s_delay_alu instid0(VALU_DEP_1) | instskip(NEXT) | instid1(VALU_DEP_1)
	v_floor_f32_e32 v3, v3
	v_fma_f32 v7, 0xcf800000, v3, |v2|
	v_ashrrev_i32_e32 v2, 31, v2
	v_cvt_u32_f32_e32 v9, v3
	s_delay_alu instid0(VALU_DEP_3) | instskip(NEXT) | instid1(VALU_DEP_2)
	v_cvt_u32_f32_e32 v7, v7
	v_dual_mov_b32 v3, v2 :: v_dual_bitop2_b32 v11, v9, v2 bitop3:0x14
	s_delay_alu instid0(VALU_DEP_2) | instskip(NEXT) | instid1(VALU_DEP_1)
	v_xor_b32_e32 v10, v7, v2
	v_sub_nc_u64_e32 v[2:3], v[10:11], v[2:3]
	s_branch .LBB78_2154
.LBB78_2143:
	s_mov_b32 s26, 0
                                        ; implicit-def: $vgpr2_vgpr3
	s_cbranch_execnz .LBB78_2215
.LBB78_2144:
	s_and_not1_b32 vcc_lo, exec_lo, s26
	s_cbranch_vccnz .LBB78_3968
	s_branch .LBB78_2262
.LBB78_2145:
	s_mov_b32 s26, 0
	s_mov_b32 s24, 0
                                        ; implicit-def: $vgpr2_vgpr3
	s_cbranch_execnz .LBB78_2181
	s_branch .LBB78_2211
.LBB78_2146:
	s_mov_b32 s27, -1
	s_mov_b32 s26, 0
	s_mov_b32 s24, 0
                                        ; implicit-def: $vgpr2_vgpr3
	s_branch .LBB78_2164
.LBB78_2147:
	s_mov_b32 s27, -1
	s_mov_b32 s26, 0
	s_mov_b32 s24, 0
                                        ; implicit-def: $vgpr2_vgpr3
	s_branch .LBB78_2159
.LBB78_2148:
	s_or_b32 s20, s23, exec_lo
	s_trap 2
	s_cbranch_execz .LBB78_2089
	s_branch .LBB78_2090
.LBB78_2149:
	s_mov_b32 s27, -1
	s_mov_b32 s26, 0
	s_mov_b32 s24, 0
	s_branch .LBB78_2153
.LBB78_2150:
	s_and_not1_saveexec_b32 s31, s31
	s_cbranch_execz .LBB78_1940
.LBB78_2151:
	v_add_f32_e64 v1, 0x42800000, |v0|
	s_and_not1_b32 s30, s30, exec_lo
	s_delay_alu instid0(VALU_DEP_1) | instskip(NEXT) | instid1(VALU_DEP_1)
	v_and_b32_e32 v1, 0xff, v1
	v_cmp_ne_u32_e32 vcc_lo, 0, v1
	s_and_b32 s33, vcc_lo, exec_lo
	s_delay_alu instid0(SALU_CYCLE_1)
	s_or_b32 s30, s30, s33
	s_or_b32 exec_lo, exec_lo, s31
	v_mov_b32_e32 v2, 0
	s_and_saveexec_b32 s31, s30
	s_cbranch_execnz .LBB78_1941
	s_branch .LBB78_1942
.LBB78_2152:
	s_mov_b32 s24, -1
	s_mov_b32 s26, 0
.LBB78_2153:
                                        ; implicit-def: $vgpr2_vgpr3
.LBB78_2154:
	s_and_b32 vcc_lo, exec_lo, s27
	s_cbranch_vccz .LBB78_2158
; %bb.2155:
	s_cmp_eq_u32 s0, 44
	s_cbranch_scc0 .LBB78_2157
; %bb.2156:
	global_load_u8 v7, v[4:5], off
	s_mov_b32 s24, 0
	s_mov_b32 s26, -1
	s_wait_loadcnt 0x0
	s_wait_xcnt 0x1
	v_lshlrev_b32_e32 v2, 23, v7
	v_cmp_ne_u32_e32 vcc_lo, 0, v7
	s_delay_alu instid0(VALU_DEP_2) | instskip(NEXT) | instid1(VALU_DEP_1)
	v_trunc_f32_e32 v2, v2
	v_mul_f32_e64 v3, 0x2f800000, |v2|
	s_delay_alu instid0(VALU_DEP_1) | instskip(NEXT) | instid1(VALU_DEP_1)
	v_floor_f32_e32 v3, v3
	v_fma_f32 v9, 0xcf800000, v3, |v2|
	v_ashrrev_i32_e32 v2, 31, v2
	v_cvt_u32_f32_e32 v10, v3
	s_delay_alu instid0(VALU_DEP_3) | instskip(NEXT) | instid1(VALU_DEP_3)
	v_cvt_u32_f32_e32 v9, v9
	v_mov_b32_e32 v3, v2
	s_delay_alu instid0(VALU_DEP_3) | instskip(NEXT) | instid1(VALU_DEP_3)
	v_xor_b32_e32 v11, v10, v2
	v_xor_b32_e32 v10, v9, v2
	s_delay_alu instid0(VALU_DEP_1) | instskip(NEXT) | instid1(VALU_DEP_1)
	v_sub_nc_u64_e32 v[2:3], v[10:11], v[2:3]
	v_dual_cndmask_b32 v3, 0, v3 :: v_dual_cndmask_b32 v2, 0, v2
	s_branch .LBB78_2158
.LBB78_2157:
	s_mov_b32 s24, -1
                                        ; implicit-def: $vgpr2_vgpr3
.LBB78_2158:
	s_mov_b32 s27, 0
.LBB78_2159:
	s_delay_alu instid0(SALU_CYCLE_1)
	s_and_b32 vcc_lo, exec_lo, s27
	s_cbranch_vccz .LBB78_2163
; %bb.2160:
	s_cmp_eq_u32 s0, 29
	s_cbranch_scc0 .LBB78_2162
; %bb.2161:
	global_load_b64 v[2:3], v[4:5], off
	s_mov_b32 s24, 0
	s_mov_b32 s26, -1
	s_branch .LBB78_2163
.LBB78_2162:
	s_mov_b32 s24, -1
                                        ; implicit-def: $vgpr2_vgpr3
.LBB78_2163:
	s_mov_b32 s27, 0
.LBB78_2164:
	s_delay_alu instid0(SALU_CYCLE_1)
	s_and_b32 vcc_lo, exec_lo, s27
	s_cbranch_vccz .LBB78_2180
; %bb.2165:
	s_cmp_lt_i32 s0, 27
	s_cbranch_scc1 .LBB78_2168
; %bb.2166:
	s_cmp_gt_i32 s0, 27
	s_cbranch_scc0 .LBB78_2169
; %bb.2167:
	s_wait_loadcnt 0x0
	global_load_b32 v2, v[4:5], off
	v_mov_b32_e32 v3, 0
	s_mov_b32 s26, 0
	s_branch .LBB78_2170
.LBB78_2168:
	s_mov_b32 s26, -1
                                        ; implicit-def: $vgpr2_vgpr3
	s_branch .LBB78_2173
.LBB78_2169:
	s_mov_b32 s26, -1
                                        ; implicit-def: $vgpr2_vgpr3
.LBB78_2170:
	s_delay_alu instid0(SALU_CYCLE_1)
	s_and_not1_b32 vcc_lo, exec_lo, s26
	s_cbranch_vccnz .LBB78_2172
; %bb.2171:
	s_wait_loadcnt 0x0
	global_load_u16 v2, v[4:5], off
	s_mov_b32 s26, 0
	s_delay_alu instid0(SALU_CYCLE_1)
	v_mov_b32_e32 v3, s26
	s_wait_loadcnt 0x0
	v_and_b32_e32 v2, 0xffff, v2
.LBB78_2172:
	s_mov_b32 s26, 0
.LBB78_2173:
	s_delay_alu instid0(SALU_CYCLE_1)
	s_and_not1_b32 vcc_lo, exec_lo, s26
	s_cbranch_vccnz .LBB78_2179
; %bb.2174:
	global_load_u8 v7, v[4:5], off
	s_mov_b32 s27, 0
	s_mov_b32 s26, exec_lo
	s_wait_loadcnt 0x0
	v_cmpx_lt_i16_e32 0x7f, v7
	s_xor_b32 s26, exec_lo, s26
	s_cbranch_execz .LBB78_2190
; %bb.2175:
	v_cmp_ne_u16_e32 vcc_lo, 0x80, v7
	s_and_b32 s27, vcc_lo, exec_lo
	s_and_not1_saveexec_b32 s26, s26
	s_cbranch_execnz .LBB78_2191
.LBB78_2176:
	s_or_b32 exec_lo, exec_lo, s26
	v_mov_b64_e32 v[2:3], 0
	s_and_saveexec_b32 s26, s27
	s_cbranch_execz .LBB78_2178
.LBB78_2177:
	v_and_b32_e32 v2, 0xffff, v7
	s_delay_alu instid0(VALU_DEP_1) | instskip(SKIP_1) | instid1(VALU_DEP_2)
	v_and_b32_e32 v3, 7, v2
	v_bfe_u32 v11, v2, 3, 4
	v_clz_i32_u32_e32 v9, v3
	s_delay_alu instid0(VALU_DEP_2) | instskip(NEXT) | instid1(VALU_DEP_2)
	v_cmp_eq_u32_e32 vcc_lo, 0, v11
	v_min_u32_e32 v9, 32, v9
	s_delay_alu instid0(VALU_DEP_1) | instskip(NEXT) | instid1(VALU_DEP_1)
	v_subrev_nc_u32_e32 v10, 28, v9
	v_dual_lshlrev_b32 v2, v10, v2 :: v_dual_sub_nc_u32 v9, 29, v9
	s_delay_alu instid0(VALU_DEP_1) | instskip(NEXT) | instid1(VALU_DEP_2)
	v_dual_lshlrev_b32 v7, 24, v7 :: v_dual_bitop2_b32 v2, 7, v2 bitop3:0x40
	v_cndmask_b32_e32 v9, v11, v9, vcc_lo
	s_delay_alu instid0(VALU_DEP_2) | instskip(NEXT) | instid1(VALU_DEP_3)
	v_cndmask_b32_e32 v2, v3, v2, vcc_lo
	v_and_b32_e32 v3, 0x80000000, v7
	s_delay_alu instid0(VALU_DEP_3) | instskip(NEXT) | instid1(VALU_DEP_3)
	v_lshl_add_u32 v7, v9, 23, 0x3b800000
	v_lshlrev_b32_e32 v2, 20, v2
	s_delay_alu instid0(VALU_DEP_1) | instskip(NEXT) | instid1(VALU_DEP_1)
	v_or3_b32 v2, v3, v7, v2
	v_trunc_f32_e32 v2, v2
	s_delay_alu instid0(VALU_DEP_1) | instskip(NEXT) | instid1(VALU_DEP_1)
	v_mul_f32_e64 v3, 0x2f800000, |v2|
	v_floor_f32_e32 v3, v3
	s_delay_alu instid0(VALU_DEP_1) | instskip(SKIP_2) | instid1(VALU_DEP_3)
	v_fma_f32 v7, 0xcf800000, v3, |v2|
	v_ashrrev_i32_e32 v2, 31, v2
	v_cvt_u32_f32_e32 v9, v3
	v_cvt_u32_f32_e32 v7, v7
	s_delay_alu instid0(VALU_DEP_2) | instskip(NEXT) | instid1(VALU_DEP_2)
	v_dual_mov_b32 v3, v2 :: v_dual_bitop2_b32 v11, v9, v2 bitop3:0x14
	v_xor_b32_e32 v10, v7, v2
	s_delay_alu instid0(VALU_DEP_1)
	v_sub_nc_u64_e32 v[2:3], v[10:11], v[2:3]
.LBB78_2178:
	s_or_b32 exec_lo, exec_lo, s26
.LBB78_2179:
	s_mov_b32 s26, -1
.LBB78_2180:
	s_branch .LBB78_2211
.LBB78_2181:
	s_cmp_gt_i32 s0, 22
	s_cbranch_scc0 .LBB78_2189
; %bb.2182:
	s_cmp_lt_i32 s0, 24
	s_cbranch_scc1 .LBB78_2192
; %bb.2183:
	s_cmp_gt_i32 s0, 24
	s_cbranch_scc0 .LBB78_2193
; %bb.2184:
	global_load_u8 v7, v[4:5], off
	s_mov_b32 s26, 0
	s_mov_b32 s25, exec_lo
	s_wait_loadcnt 0x0
	v_cmpx_lt_i16_e32 0x7f, v7
	s_xor_b32 s25, exec_lo, s25
	s_cbranch_execz .LBB78_2205
; %bb.2185:
	v_cmp_ne_u16_e32 vcc_lo, 0x80, v7
	s_and_b32 s26, vcc_lo, exec_lo
	s_and_not1_saveexec_b32 s25, s25
	s_cbranch_execnz .LBB78_2206
.LBB78_2186:
	s_or_b32 exec_lo, exec_lo, s25
	v_mov_b64_e32 v[2:3], 0
	s_and_saveexec_b32 s25, s26
	s_cbranch_execz .LBB78_2188
.LBB78_2187:
	v_and_b32_e32 v2, 0xffff, v7
	s_delay_alu instid0(VALU_DEP_1) | instskip(SKIP_1) | instid1(VALU_DEP_2)
	v_and_b32_e32 v3, 3, v2
	v_bfe_u32 v11, v2, 2, 5
	v_clz_i32_u32_e32 v9, v3
	s_delay_alu instid0(VALU_DEP_2) | instskip(NEXT) | instid1(VALU_DEP_2)
	v_cmp_eq_u32_e32 vcc_lo, 0, v11
	v_min_u32_e32 v9, 32, v9
	s_delay_alu instid0(VALU_DEP_1) | instskip(NEXT) | instid1(VALU_DEP_1)
	v_subrev_nc_u32_e32 v10, 29, v9
	v_dual_lshlrev_b32 v2, v10, v2 :: v_dual_sub_nc_u32 v9, 30, v9
	s_delay_alu instid0(VALU_DEP_1) | instskip(NEXT) | instid1(VALU_DEP_2)
	v_dual_lshlrev_b32 v7, 24, v7 :: v_dual_bitop2_b32 v2, 3, v2 bitop3:0x40
	v_cndmask_b32_e32 v9, v11, v9, vcc_lo
	s_delay_alu instid0(VALU_DEP_2) | instskip(NEXT) | instid1(VALU_DEP_3)
	v_cndmask_b32_e32 v2, v3, v2, vcc_lo
	v_and_b32_e32 v3, 0x80000000, v7
	s_delay_alu instid0(VALU_DEP_3) | instskip(NEXT) | instid1(VALU_DEP_3)
	v_lshl_add_u32 v7, v9, 23, 0x37800000
	v_lshlrev_b32_e32 v2, 21, v2
	s_delay_alu instid0(VALU_DEP_1) | instskip(NEXT) | instid1(VALU_DEP_1)
	v_or3_b32 v2, v3, v7, v2
	v_trunc_f32_e32 v2, v2
	s_delay_alu instid0(VALU_DEP_1) | instskip(NEXT) | instid1(VALU_DEP_1)
	v_mul_f32_e64 v3, 0x2f800000, |v2|
	v_floor_f32_e32 v3, v3
	s_delay_alu instid0(VALU_DEP_1) | instskip(SKIP_2) | instid1(VALU_DEP_3)
	v_fma_f32 v7, 0xcf800000, v3, |v2|
	v_ashrrev_i32_e32 v2, 31, v2
	v_cvt_u32_f32_e32 v9, v3
	v_cvt_u32_f32_e32 v7, v7
	s_delay_alu instid0(VALU_DEP_2) | instskip(NEXT) | instid1(VALU_DEP_2)
	v_dual_mov_b32 v3, v2 :: v_dual_bitop2_b32 v11, v9, v2 bitop3:0x14
	v_xor_b32_e32 v10, v7, v2
	s_delay_alu instid0(VALU_DEP_1)
	v_sub_nc_u64_e32 v[2:3], v[10:11], v[2:3]
.LBB78_2188:
	s_or_b32 exec_lo, exec_lo, s25
	s_mov_b32 s25, 0
	s_branch .LBB78_2194
.LBB78_2189:
	s_mov_b32 s25, -1
                                        ; implicit-def: $vgpr2_vgpr3
	s_branch .LBB78_2200
.LBB78_2190:
	s_and_not1_saveexec_b32 s26, s26
	s_cbranch_execz .LBB78_2176
.LBB78_2191:
	v_cmp_ne_u16_e32 vcc_lo, 0, v7
	s_and_not1_b32 s27, s27, exec_lo
	s_and_b32 s28, vcc_lo, exec_lo
	s_delay_alu instid0(SALU_CYCLE_1)
	s_or_b32 s27, s27, s28
	s_or_b32 exec_lo, exec_lo, s26
	v_mov_b64_e32 v[2:3], 0
	s_and_saveexec_b32 s26, s27
	s_cbranch_execnz .LBB78_2177
	s_branch .LBB78_2178
.LBB78_2192:
	s_mov_b32 s25, -1
                                        ; implicit-def: $vgpr2_vgpr3
	s_branch .LBB78_2197
.LBB78_2193:
	s_mov_b32 s25, -1
                                        ; implicit-def: $vgpr2_vgpr3
.LBB78_2194:
	s_delay_alu instid0(SALU_CYCLE_1)
	s_and_b32 vcc_lo, exec_lo, s25
	s_cbranch_vccz .LBB78_2196
; %bb.2195:
	s_wait_loadcnt 0x0
	global_load_u8 v2, v[4:5], off
	s_wait_loadcnt 0x0
	v_lshlrev_b32_e32 v2, 24, v2
	s_delay_alu instid0(VALU_DEP_1) | instskip(NEXT) | instid1(VALU_DEP_1)
	v_and_b32_e32 v3, 0x7f000000, v2
	v_clz_i32_u32_e32 v7, v3
	v_add_nc_u32_e32 v10, 0x1000000, v3
	v_cmp_ne_u32_e32 vcc_lo, 0, v3
	s_delay_alu instid0(VALU_DEP_3) | instskip(NEXT) | instid1(VALU_DEP_1)
	v_min_u32_e32 v7, 32, v7
	v_sub_nc_u32_e64 v7, v7, 4 clamp
	s_delay_alu instid0(VALU_DEP_1) | instskip(NEXT) | instid1(VALU_DEP_1)
	v_lshlrev_b32_e32 v9, v7, v3
	v_dual_lshlrev_b32 v7, 23, v7 :: v_dual_lshrrev_b32 v9, 4, v9
	s_delay_alu instid0(VALU_DEP_1) | instskip(NEXT) | instid1(VALU_DEP_1)
	v_dual_sub_nc_u32 v7, v9, v7 :: v_dual_ashrrev_i32 v9, 8, v10
	v_add_nc_u32_e32 v7, 0x3c000000, v7
	s_delay_alu instid0(VALU_DEP_1) | instskip(NEXT) | instid1(VALU_DEP_1)
	v_and_or_b32 v7, 0x7f800000, v9, v7
	v_cndmask_b32_e32 v3, 0, v7, vcc_lo
	s_delay_alu instid0(VALU_DEP_1) | instskip(NEXT) | instid1(VALU_DEP_1)
	v_and_or_b32 v2, 0x80000000, v2, v3
	v_trunc_f32_e32 v2, v2
	s_delay_alu instid0(VALU_DEP_1) | instskip(NEXT) | instid1(VALU_DEP_1)
	v_mul_f32_e64 v3, 0x2f800000, |v2|
	v_floor_f32_e32 v3, v3
	s_delay_alu instid0(VALU_DEP_1) | instskip(SKIP_2) | instid1(VALU_DEP_3)
	v_fma_f32 v7, 0xcf800000, v3, |v2|
	v_ashrrev_i32_e32 v2, 31, v2
	v_cvt_u32_f32_e32 v9, v3
	v_cvt_u32_f32_e32 v7, v7
	s_delay_alu instid0(VALU_DEP_2) | instskip(NEXT) | instid1(VALU_DEP_2)
	v_dual_mov_b32 v3, v2 :: v_dual_bitop2_b32 v11, v9, v2 bitop3:0x14
	v_xor_b32_e32 v10, v7, v2
	s_delay_alu instid0(VALU_DEP_1)
	v_sub_nc_u64_e32 v[2:3], v[10:11], v[2:3]
.LBB78_2196:
	s_mov_b32 s25, 0
.LBB78_2197:
	s_delay_alu instid0(SALU_CYCLE_1)
	s_and_not1_b32 vcc_lo, exec_lo, s25
	s_cbranch_vccnz .LBB78_2199
; %bb.2198:
	s_wait_loadcnt 0x0
	global_load_u8 v2, v[4:5], off
	s_wait_loadcnt 0x0
	v_lshlrev_b32_e32 v3, 25, v2
	v_lshlrev_b16 v2, 8, v2
	s_delay_alu instid0(VALU_DEP_1) | instskip(SKIP_1) | instid1(VALU_DEP_2)
	v_and_or_b32 v9, 0x7f00, v2, 0.5
	v_bfe_i32 v2, v2, 0, 16
	v_dual_add_f32 v9, -0.5, v9 :: v_dual_lshrrev_b32 v7, 4, v3
	v_cmp_gt_u32_e32 vcc_lo, 0x8000000, v3
	s_delay_alu instid0(VALU_DEP_2) | instskip(NEXT) | instid1(VALU_DEP_1)
	v_or_b32_e32 v7, 0x70000000, v7
	v_mul_f32_e32 v7, 0x7800000, v7
	s_delay_alu instid0(VALU_DEP_1) | instskip(NEXT) | instid1(VALU_DEP_1)
	v_cndmask_b32_e32 v3, v7, v9, vcc_lo
	v_and_or_b32 v2, 0x80000000, v2, v3
	s_delay_alu instid0(VALU_DEP_1) | instskip(NEXT) | instid1(VALU_DEP_1)
	v_trunc_f32_e32 v2, v2
	v_mul_f32_e64 v3, 0x2f800000, |v2|
	s_delay_alu instid0(VALU_DEP_1) | instskip(NEXT) | instid1(VALU_DEP_1)
	v_floor_f32_e32 v3, v3
	v_fma_f32 v7, 0xcf800000, v3, |v2|
	v_ashrrev_i32_e32 v2, 31, v2
	v_cvt_u32_f32_e32 v9, v3
	s_delay_alu instid0(VALU_DEP_3) | instskip(NEXT) | instid1(VALU_DEP_2)
	v_cvt_u32_f32_e32 v7, v7
	v_dual_mov_b32 v3, v2 :: v_dual_bitop2_b32 v11, v9, v2 bitop3:0x14
	s_delay_alu instid0(VALU_DEP_2) | instskip(NEXT) | instid1(VALU_DEP_1)
	v_xor_b32_e32 v10, v7, v2
	v_sub_nc_u64_e32 v[2:3], v[10:11], v[2:3]
.LBB78_2199:
	s_mov_b32 s25, 0
	s_mov_b32 s26, -1
.LBB78_2200:
	s_and_not1_b32 vcc_lo, exec_lo, s25
	s_mov_b32 s25, 0
	s_cbranch_vccnz .LBB78_2211
; %bb.2201:
	s_cmp_gt_i32 s0, 14
	s_cbranch_scc0 .LBB78_2204
; %bb.2202:
	s_cmp_eq_u32 s0, 15
	s_cbranch_scc0 .LBB78_2207
; %bb.2203:
	s_wait_loadcnt 0x0
	global_load_u16 v2, v[4:5], off
	s_mov_b32 s24, 0
	s_mov_b32 s26, -1
	s_wait_loadcnt 0x0
	v_lshlrev_b32_e32 v2, 16, v2
	s_delay_alu instid0(VALU_DEP_1) | instskip(NEXT) | instid1(VALU_DEP_1)
	v_trunc_f32_e32 v2, v2
	v_mul_f32_e64 v3, 0x2f800000, |v2|
	s_delay_alu instid0(VALU_DEP_1) | instskip(NEXT) | instid1(VALU_DEP_1)
	v_floor_f32_e32 v3, v3
	v_fma_f32 v7, 0xcf800000, v3, |v2|
	v_ashrrev_i32_e32 v2, 31, v2
	v_cvt_u32_f32_e32 v9, v3
	s_delay_alu instid0(VALU_DEP_3) | instskip(NEXT) | instid1(VALU_DEP_2)
	v_cvt_u32_f32_e32 v7, v7
	v_dual_mov_b32 v3, v2 :: v_dual_bitop2_b32 v11, v9, v2 bitop3:0x14
	s_delay_alu instid0(VALU_DEP_2) | instskip(NEXT) | instid1(VALU_DEP_1)
	v_xor_b32_e32 v10, v7, v2
	v_sub_nc_u64_e32 v[2:3], v[10:11], v[2:3]
	s_branch .LBB78_2209
.LBB78_2204:
	s_mov_b32 s25, -1
	s_branch .LBB78_2208
.LBB78_2205:
	s_and_not1_saveexec_b32 s25, s25
	s_cbranch_execz .LBB78_2186
.LBB78_2206:
	v_cmp_ne_u16_e32 vcc_lo, 0, v7
	s_and_not1_b32 s26, s26, exec_lo
	s_and_b32 s27, vcc_lo, exec_lo
	s_delay_alu instid0(SALU_CYCLE_1)
	s_or_b32 s26, s26, s27
	s_or_b32 exec_lo, exec_lo, s25
	v_mov_b64_e32 v[2:3], 0
	s_and_saveexec_b32 s25, s26
	s_cbranch_execnz .LBB78_2187
	s_branch .LBB78_2188
.LBB78_2207:
	s_mov_b32 s24, -1
.LBB78_2208:
                                        ; implicit-def: $vgpr2_vgpr3
.LBB78_2209:
	s_and_b32 vcc_lo, exec_lo, s25
	s_mov_b32 s25, 0
	s_cbranch_vccz .LBB78_2211
; %bb.2210:
	s_cmp_lg_u32 s0, 11
	s_mov_b32 s25, -1
	s_cselect_b32 s24, -1, 0
.LBB78_2211:
	s_delay_alu instid0(SALU_CYCLE_1)
	s_and_b32 vcc_lo, exec_lo, s24
	s_cbranch_vccnz .LBB78_2274
; %bb.2212:
	s_and_not1_b32 vcc_lo, exec_lo, s25
	s_cbranch_vccnz .LBB78_2214
.LBB78_2213:
	s_wait_loadcnt 0x0
	global_load_u8 v2, v[4:5], off
	s_mov_b32 s0, 0
	s_mov_b32 s26, -1
	v_mov_b32_e32 v3, s0
	s_wait_loadcnt 0x0
	v_cmp_ne_u16_e32 vcc_lo, 0, v2
	v_cndmask_b32_e64 v2, 0, 1, vcc_lo
.LBB78_2214:
	s_branch .LBB78_2144
.LBB78_2215:
	s_and_b32 s0, 0xffff, s3
	s_delay_alu instid0(SALU_CYCLE_1)
	s_cmp_lt_i32 s0, 5
	s_cbranch_scc1 .LBB78_2220
; %bb.2216:
	s_cmp_lt_i32 s0, 8
	s_cbranch_scc1 .LBB78_2221
; %bb.2217:
	;; [unrolled: 3-line block ×3, first 2 shown]
	s_cmp_gt_i32 s0, 9
	s_cbranch_scc0 .LBB78_2223
; %bb.2219:
	s_wait_loadcnt 0x0
	global_load_b64 v[2:3], v[4:5], off
	s_mov_b32 s24, 0
	s_wait_loadcnt 0x0
	v_trunc_f64_e32 v[2:3], v[2:3]
	s_delay_alu instid0(VALU_DEP_1) | instskip(NEXT) | instid1(VALU_DEP_1)
	v_ldexp_f64 v[10:11], v[2:3], 0xffffffe0
	v_floor_f64_e32 v[10:11], v[10:11]
	s_delay_alu instid0(VALU_DEP_1) | instskip(SKIP_1) | instid1(VALU_DEP_2)
	v_fmamk_f64 v[12:13], v[10:11], 0xc1f00000, v[2:3]
	v_cvt_i32_f64_e32 v3, v[10:11]
	v_cvt_u32_f64_e32 v2, v[12:13]
	s_branch .LBB78_2224
.LBB78_2220:
                                        ; implicit-def: $vgpr2_vgpr3
	s_branch .LBB78_2242
.LBB78_2221:
	s_mov_b32 s24, -1
                                        ; implicit-def: $vgpr2_vgpr3
	s_branch .LBB78_2230
.LBB78_2222:
	s_mov_b32 s24, -1
                                        ; implicit-def: $vgpr2_vgpr3
	s_branch .LBB78_2227
.LBB78_2223:
	s_mov_b32 s24, -1
                                        ; implicit-def: $vgpr2_vgpr3
.LBB78_2224:
	s_delay_alu instid0(SALU_CYCLE_1)
	s_and_not1_b32 vcc_lo, exec_lo, s24
	s_cbranch_vccnz .LBB78_2226
; %bb.2225:
	s_wait_loadcnt 0x0
	global_load_b32 v2, v[4:5], off
	s_wait_loadcnt 0x0
	v_trunc_f32_e32 v2, v2
	s_delay_alu instid0(VALU_DEP_1) | instskip(NEXT) | instid1(VALU_DEP_1)
	v_mul_f32_e64 v3, 0x2f800000, |v2|
	v_floor_f32_e32 v3, v3
	s_delay_alu instid0(VALU_DEP_1) | instskip(SKIP_2) | instid1(VALU_DEP_3)
	v_fma_f32 v7, 0xcf800000, v3, |v2|
	v_ashrrev_i32_e32 v2, 31, v2
	v_cvt_u32_f32_e32 v9, v3
	v_cvt_u32_f32_e32 v7, v7
	s_delay_alu instid0(VALU_DEP_2) | instskip(NEXT) | instid1(VALU_DEP_2)
	v_dual_mov_b32 v3, v2 :: v_dual_bitop2_b32 v11, v9, v2 bitop3:0x14
	v_xor_b32_e32 v10, v7, v2
	s_delay_alu instid0(VALU_DEP_1)
	v_sub_nc_u64_e32 v[2:3], v[10:11], v[2:3]
.LBB78_2226:
	s_mov_b32 s24, 0
.LBB78_2227:
	s_delay_alu instid0(SALU_CYCLE_1)
	s_and_not1_b32 vcc_lo, exec_lo, s24
	s_cbranch_vccnz .LBB78_2229
; %bb.2228:
	s_wait_loadcnt 0x0
	global_load_b32 v2, v[4:5], off
	s_wait_loadcnt 0x0
	v_cvt_f32_f16_e32 v2, v2
	s_delay_alu instid0(VALU_DEP_1) | instskip(NEXT) | instid1(VALU_DEP_1)
	v_cvt_i32_f32_e32 v2, v2
	v_ashrrev_i32_e32 v3, 31, v2
.LBB78_2229:
	s_mov_b32 s24, 0
.LBB78_2230:
	s_delay_alu instid0(SALU_CYCLE_1)
	s_and_not1_b32 vcc_lo, exec_lo, s24
	s_cbranch_vccnz .LBB78_2241
; %bb.2231:
	s_cmp_lt_i32 s0, 6
	s_cbranch_scc1 .LBB78_2234
; %bb.2232:
	s_cmp_gt_i32 s0, 6
	s_cbranch_scc0 .LBB78_2235
; %bb.2233:
	s_wait_loadcnt 0x0
	global_load_b64 v[2:3], v[4:5], off
	s_mov_b32 s24, 0
	s_wait_loadcnt 0x0
	v_trunc_f64_e32 v[2:3], v[2:3]
	s_delay_alu instid0(VALU_DEP_1) | instskip(NEXT) | instid1(VALU_DEP_1)
	v_ldexp_f64 v[10:11], v[2:3], 0xffffffe0
	v_floor_f64_e32 v[10:11], v[10:11]
	s_delay_alu instid0(VALU_DEP_1) | instskip(SKIP_1) | instid1(VALU_DEP_2)
	v_fmamk_f64 v[12:13], v[10:11], 0xc1f00000, v[2:3]
	v_cvt_i32_f64_e32 v3, v[10:11]
	v_cvt_u32_f64_e32 v2, v[12:13]
	s_branch .LBB78_2236
.LBB78_2234:
	s_mov_b32 s24, -1
                                        ; implicit-def: $vgpr2_vgpr3
	s_branch .LBB78_2239
.LBB78_2235:
	s_mov_b32 s24, -1
                                        ; implicit-def: $vgpr2_vgpr3
.LBB78_2236:
	s_delay_alu instid0(SALU_CYCLE_1)
	s_and_not1_b32 vcc_lo, exec_lo, s24
	s_cbranch_vccnz .LBB78_2238
; %bb.2237:
	s_wait_loadcnt 0x0
	global_load_b32 v2, v[4:5], off
	s_wait_loadcnt 0x0
	v_trunc_f32_e32 v2, v2
	s_delay_alu instid0(VALU_DEP_1) | instskip(NEXT) | instid1(VALU_DEP_1)
	v_mul_f32_e64 v3, 0x2f800000, |v2|
	v_floor_f32_e32 v3, v3
	s_delay_alu instid0(VALU_DEP_1) | instskip(SKIP_2) | instid1(VALU_DEP_3)
	v_fma_f32 v7, 0xcf800000, v3, |v2|
	v_ashrrev_i32_e32 v2, 31, v2
	v_cvt_u32_f32_e32 v9, v3
	v_cvt_u32_f32_e32 v7, v7
	s_delay_alu instid0(VALU_DEP_2) | instskip(NEXT) | instid1(VALU_DEP_2)
	v_dual_mov_b32 v3, v2 :: v_dual_bitop2_b32 v11, v9, v2 bitop3:0x14
	v_xor_b32_e32 v10, v7, v2
	s_delay_alu instid0(VALU_DEP_1)
	v_sub_nc_u64_e32 v[2:3], v[10:11], v[2:3]
.LBB78_2238:
	s_mov_b32 s24, 0
.LBB78_2239:
	s_delay_alu instid0(SALU_CYCLE_1)
	s_and_not1_b32 vcc_lo, exec_lo, s24
	s_cbranch_vccnz .LBB78_2241
; %bb.2240:
	s_wait_loadcnt 0x0
	global_load_u16 v2, v[4:5], off
	s_wait_loadcnt 0x0
	v_cvt_f32_f16_e32 v2, v2
	s_delay_alu instid0(VALU_DEP_1) | instskip(NEXT) | instid1(VALU_DEP_1)
	v_cvt_i32_f32_e32 v2, v2
	v_ashrrev_i32_e32 v3, 31, v2
.LBB78_2241:
	s_cbranch_execnz .LBB78_2261
.LBB78_2242:
	s_cmp_lt_i32 s0, 2
	s_cbranch_scc1 .LBB78_2246
; %bb.2243:
	s_cmp_lt_i32 s0, 3
	s_cbranch_scc1 .LBB78_2247
; %bb.2244:
	s_cmp_gt_i32 s0, 3
	s_cbranch_scc0 .LBB78_2248
; %bb.2245:
	s_wait_loadcnt 0x0
	global_load_b64 v[2:3], v[4:5], off
	s_mov_b32 s24, 0
	s_branch .LBB78_2249
.LBB78_2246:
	s_mov_b32 s24, -1
                                        ; implicit-def: $vgpr2_vgpr3
	s_branch .LBB78_2255
.LBB78_2247:
	s_mov_b32 s24, -1
                                        ; implicit-def: $vgpr2_vgpr3
	s_branch .LBB78_2252
.LBB78_2248:
	s_mov_b32 s24, -1
                                        ; implicit-def: $vgpr2_vgpr3
.LBB78_2249:
	s_delay_alu instid0(SALU_CYCLE_1)
	s_and_not1_b32 vcc_lo, exec_lo, s24
	s_cbranch_vccnz .LBB78_2251
; %bb.2250:
	s_wait_loadcnt 0x0
	global_load_b32 v2, v[4:5], off
	s_wait_loadcnt 0x0
	v_ashrrev_i32_e32 v3, 31, v2
.LBB78_2251:
	s_mov_b32 s24, 0
.LBB78_2252:
	s_delay_alu instid0(SALU_CYCLE_1)
	s_and_not1_b32 vcc_lo, exec_lo, s24
	s_cbranch_vccnz .LBB78_2254
; %bb.2253:
	s_wait_loadcnt 0x0
	global_load_u16 v2, v[4:5], off
	s_wait_loadcnt 0x0
	v_bfe_i32 v2, v2, 0, 16
	s_delay_alu instid0(VALU_DEP_1)
	v_ashrrev_i32_e32 v3, 31, v2
.LBB78_2254:
	s_mov_b32 s24, 0
.LBB78_2255:
	s_delay_alu instid0(SALU_CYCLE_1)
	s_and_not1_b32 vcc_lo, exec_lo, s24
	s_cbranch_vccnz .LBB78_2261
; %bb.2256:
	s_cmp_gt_i32 s0, 0
	s_mov_b32 s0, 0
	s_cbranch_scc0 .LBB78_2258
; %bb.2257:
	s_wait_loadcnt 0x0
	global_load_i8 v2, v[4:5], off
	s_wait_loadcnt 0x0
	v_bfe_i32 v2, v2, 0, 16
	s_delay_alu instid0(VALU_DEP_1)
	v_ashrrev_i32_e32 v3, 31, v2
	s_branch .LBB78_2259
.LBB78_2258:
	s_mov_b32 s0, -1
                                        ; implicit-def: $vgpr2_vgpr3
.LBB78_2259:
	s_delay_alu instid0(SALU_CYCLE_1)
	s_and_not1_b32 vcc_lo, exec_lo, s0
	s_cbranch_vccnz .LBB78_2261
; %bb.2260:
	s_wait_loadcnt 0x0
	global_load_u8 v2, v[4:5], off
	s_mov_b32 s0, 0
	s_delay_alu instid0(SALU_CYCLE_1)
	v_mov_b32_e32 v3, s0
	s_wait_loadcnt 0x0
	v_and_b32_e32 v2, 0xffff, v2
.LBB78_2261:
.LBB78_2262:
	v_mul_lo_u32 v10, s15, v26
	s_and_b32 s0, 0xffff, s1
	s_delay_alu instid0(SALU_CYCLE_1) | instskip(NEXT) | instid1(VALU_DEP_1)
	s_cmp_lt_i32 s0, 11
	v_ashrrev_i32_e32 v11, 31, v10
	s_delay_alu instid0(VALU_DEP_1)
	v_add_nc_u64_e32 v[12:13], s[10:11], v[10:11]
	s_cbranch_scc1 .LBB78_2269
; %bb.2263:
	s_cmp_gt_i32 s0, 25
	s_mov_b32 s24, 0
	s_cbranch_scc0 .LBB78_2271
; %bb.2264:
	s_cmp_gt_i32 s0, 28
	s_cbranch_scc0 .LBB78_2272
; %bb.2265:
	s_cmp_gt_i32 s0, 43
	;; [unrolled: 3-line block ×3, first 2 shown]
	s_cbranch_scc0 .LBB78_2275
; %bb.2267:
	s_cmp_eq_u32 s0, 46
	s_mov_b32 s26, 0
	s_cbranch_scc0 .LBB78_2276
; %bb.2268:
	global_load_b32 v4, v[12:13], off
	s_mov_b32 s1, 0
	s_mov_b32 s25, -1
	s_wait_loadcnt 0x0
	v_lshlrev_b32_e32 v4, 16, v4
	s_delay_alu instid0(VALU_DEP_1) | instskip(NEXT) | instid1(VALU_DEP_1)
	v_trunc_f32_e32 v4, v4
	v_mul_f32_e64 v5, 0x2f800000, |v4|
	s_delay_alu instid0(VALU_DEP_1) | instskip(NEXT) | instid1(VALU_DEP_1)
	v_floor_f32_e32 v5, v5
	v_fma_f32 v7, 0xcf800000, v5, |v4|
	v_ashrrev_i32_e32 v4, 31, v4
	v_cvt_u32_f32_e32 v9, v5
	s_delay_alu instid0(VALU_DEP_3) | instskip(NEXT) | instid1(VALU_DEP_2)
	v_cvt_u32_f32_e32 v7, v7
	v_dual_mov_b32 v5, v4 :: v_dual_bitop2_b32 v15, v9, v4 bitop3:0x14
	s_delay_alu instid0(VALU_DEP_2) | instskip(NEXT) | instid1(VALU_DEP_1)
	v_xor_b32_e32 v14, v7, v4
	v_sub_nc_u64_e32 v[4:5], v[14:15], v[4:5]
	s_branch .LBB78_2278
.LBB78_2269:
	s_mov_b32 s25, 0
                                        ; implicit-def: $vgpr4_vgpr5
	s_cbranch_execnz .LBB78_2340
.LBB78_2270:
	s_and_not1_b32 vcc_lo, exec_lo, s25
	s_cbranch_vccnz .LBB78_3968
	s_branch .LBB78_2388
.LBB78_2271:
	s_mov_b32 s26, -1
	s_mov_b32 s25, 0
	s_mov_b32 s1, 0
                                        ; implicit-def: $vgpr4_vgpr5
	s_branch .LBB78_2305
.LBB78_2272:
	s_mov_b32 s26, -1
	s_mov_b32 s25, 0
	s_mov_b32 s1, 0
                                        ; implicit-def: $vgpr4_vgpr5
	s_branch .LBB78_2288
.LBB78_2273:
	s_mov_b32 s26, -1
	s_mov_b32 s25, 0
	s_mov_b32 s1, 0
                                        ; implicit-def: $vgpr4_vgpr5
	s_branch .LBB78_2283
.LBB78_2274:
	s_or_b32 s20, s20, exec_lo
	s_trap 2
	s_cbranch_execz .LBB78_2213
	s_branch .LBB78_2214
.LBB78_2275:
	s_mov_b32 s26, -1
	s_mov_b32 s25, 0
	s_mov_b32 s1, 0
	s_branch .LBB78_2277
.LBB78_2276:
	s_mov_b32 s1, -1
	s_mov_b32 s25, 0
.LBB78_2277:
                                        ; implicit-def: $vgpr4_vgpr5
.LBB78_2278:
	s_and_b32 vcc_lo, exec_lo, s26
	s_cbranch_vccz .LBB78_2282
; %bb.2279:
	s_cmp_eq_u32 s0, 44
	s_cbranch_scc0 .LBB78_2281
; %bb.2280:
	global_load_u8 v7, v[12:13], off
	s_mov_b32 s1, 0
	s_mov_b32 s25, -1
	s_wait_loadcnt 0x0
	v_cmp_ne_u32_e32 vcc_lo, 0, v7
	s_wait_xcnt 0x1
	v_lshlrev_b32_e32 v4, 23, v7
	s_delay_alu instid0(VALU_DEP_1) | instskip(NEXT) | instid1(VALU_DEP_1)
	v_trunc_f32_e32 v4, v4
	v_mul_f32_e64 v5, 0x2f800000, |v4|
	s_delay_alu instid0(VALU_DEP_1) | instskip(NEXT) | instid1(VALU_DEP_1)
	v_floor_f32_e32 v5, v5
	v_fma_f32 v9, 0xcf800000, v5, |v4|
	v_ashrrev_i32_e32 v4, 31, v4
	v_cvt_u32_f32_e32 v11, v5
	s_delay_alu instid0(VALU_DEP_3) | instskip(NEXT) | instid1(VALU_DEP_2)
	v_cvt_u32_f32_e32 v9, v9
	v_dual_mov_b32 v5, v4 :: v_dual_bitop2_b32 v15, v11, v4 bitop3:0x14
	s_delay_alu instid0(VALU_DEP_2) | instskip(NEXT) | instid1(VALU_DEP_1)
	v_xor_b32_e32 v14, v9, v4
	v_sub_nc_u64_e32 v[4:5], v[14:15], v[4:5]
	s_delay_alu instid0(VALU_DEP_1)
	v_dual_cndmask_b32 v5, 0, v5 :: v_dual_cndmask_b32 v4, 0, v4
	s_branch .LBB78_2282
.LBB78_2281:
	s_mov_b32 s1, -1
                                        ; implicit-def: $vgpr4_vgpr5
.LBB78_2282:
	s_mov_b32 s26, 0
.LBB78_2283:
	s_delay_alu instid0(SALU_CYCLE_1)
	s_and_b32 vcc_lo, exec_lo, s26
	s_cbranch_vccz .LBB78_2287
; %bb.2284:
	s_cmp_eq_u32 s0, 29
	s_cbranch_scc0 .LBB78_2286
; %bb.2285:
	global_load_b64 v[4:5], v[12:13], off
	s_mov_b32 s1, 0
	s_mov_b32 s25, -1
	s_branch .LBB78_2287
.LBB78_2286:
	s_mov_b32 s1, -1
                                        ; implicit-def: $vgpr4_vgpr5
.LBB78_2287:
	s_mov_b32 s26, 0
.LBB78_2288:
	s_delay_alu instid0(SALU_CYCLE_1)
	s_and_b32 vcc_lo, exec_lo, s26
	s_cbranch_vccz .LBB78_2304
; %bb.2289:
	s_cmp_lt_i32 s0, 27
	s_cbranch_scc1 .LBB78_2292
; %bb.2290:
	s_cmp_gt_i32 s0, 27
	s_cbranch_scc0 .LBB78_2293
; %bb.2291:
	s_wait_loadcnt 0x0
	global_load_b32 v4, v[12:13], off
	v_mov_b32_e32 v5, 0
	s_mov_b32 s25, 0
	s_branch .LBB78_2294
.LBB78_2292:
	s_mov_b32 s25, -1
                                        ; implicit-def: $vgpr4_vgpr5
	s_branch .LBB78_2297
.LBB78_2293:
	s_mov_b32 s25, -1
                                        ; implicit-def: $vgpr4_vgpr5
.LBB78_2294:
	s_delay_alu instid0(SALU_CYCLE_1)
	s_and_not1_b32 vcc_lo, exec_lo, s25
	s_cbranch_vccnz .LBB78_2296
; %bb.2295:
	s_wait_loadcnt 0x0
	global_load_u16 v4, v[12:13], off
	s_mov_b32 s25, 0
	s_delay_alu instid0(SALU_CYCLE_1)
	v_mov_b32_e32 v5, s25
	s_wait_loadcnt 0x0
	v_and_b32_e32 v4, 0xffff, v4
.LBB78_2296:
	s_mov_b32 s25, 0
.LBB78_2297:
	s_delay_alu instid0(SALU_CYCLE_1)
	s_and_not1_b32 vcc_lo, exec_lo, s25
	s_cbranch_vccnz .LBB78_2303
; %bb.2298:
	global_load_u8 v7, v[12:13], off
	s_mov_b32 s26, 0
	s_mov_b32 s25, exec_lo
	s_wait_loadcnt 0x0
	v_cmpx_lt_i16_e32 0x7f, v7
	s_xor_b32 s25, exec_lo, s25
	s_cbranch_execz .LBB78_2315
; %bb.2299:
	v_cmp_ne_u16_e32 vcc_lo, 0x80, v7
	s_and_b32 s26, vcc_lo, exec_lo
	s_and_not1_saveexec_b32 s25, s25
	s_cbranch_execnz .LBB78_2316
.LBB78_2300:
	s_or_b32 exec_lo, exec_lo, s25
	v_mov_b64_e32 v[4:5], 0
	s_and_saveexec_b32 s25, s26
	s_cbranch_execz .LBB78_2302
.LBB78_2301:
	v_and_b32_e32 v4, 0xffff, v7
	s_delay_alu instid0(VALU_DEP_1) | instskip(SKIP_1) | instid1(VALU_DEP_2)
	v_and_b32_e32 v5, 7, v4
	v_bfe_u32 v14, v4, 3, 4
	v_clz_i32_u32_e32 v9, v5
	s_delay_alu instid0(VALU_DEP_2) | instskip(NEXT) | instid1(VALU_DEP_2)
	v_cmp_eq_u32_e32 vcc_lo, 0, v14
	v_min_u32_e32 v9, 32, v9
	s_delay_alu instid0(VALU_DEP_1) | instskip(NEXT) | instid1(VALU_DEP_1)
	v_subrev_nc_u32_e32 v11, 28, v9
	v_dual_lshlrev_b32 v4, v11, v4 :: v_dual_sub_nc_u32 v9, 29, v9
	s_delay_alu instid0(VALU_DEP_1) | instskip(NEXT) | instid1(VALU_DEP_1)
	v_dual_lshlrev_b32 v7, 24, v7 :: v_dual_bitop2_b32 v4, 7, v4 bitop3:0x40
	v_dual_cndmask_b32 v9, v14, v9 :: v_dual_cndmask_b32 v4, v5, v4
	s_delay_alu instid0(VALU_DEP_2) | instskip(NEXT) | instid1(VALU_DEP_2)
	v_and_b32_e32 v5, 0x80000000, v7
	v_lshl_add_u32 v7, v9, 23, 0x3b800000
	s_delay_alu instid0(VALU_DEP_3) | instskip(NEXT) | instid1(VALU_DEP_1)
	v_lshlrev_b32_e32 v4, 20, v4
	v_or3_b32 v4, v5, v7, v4
	s_delay_alu instid0(VALU_DEP_1) | instskip(NEXT) | instid1(VALU_DEP_1)
	v_trunc_f32_e32 v4, v4
	v_mul_f32_e64 v5, 0x2f800000, |v4|
	s_delay_alu instid0(VALU_DEP_1) | instskip(NEXT) | instid1(VALU_DEP_1)
	v_floor_f32_e32 v5, v5
	v_fma_f32 v7, 0xcf800000, v5, |v4|
	v_ashrrev_i32_e32 v4, 31, v4
	v_cvt_u32_f32_e32 v9, v5
	s_delay_alu instid0(VALU_DEP_3) | instskip(NEXT) | instid1(VALU_DEP_2)
	v_cvt_u32_f32_e32 v7, v7
	v_dual_mov_b32 v5, v4 :: v_dual_bitop2_b32 v15, v9, v4 bitop3:0x14
	s_delay_alu instid0(VALU_DEP_2) | instskip(NEXT) | instid1(VALU_DEP_1)
	v_xor_b32_e32 v14, v7, v4
	v_sub_nc_u64_e32 v[4:5], v[14:15], v[4:5]
.LBB78_2302:
	s_or_b32 exec_lo, exec_lo, s25
.LBB78_2303:
	s_mov_b32 s25, -1
.LBB78_2304:
	s_mov_b32 s26, 0
.LBB78_2305:
	s_delay_alu instid0(SALU_CYCLE_1)
	s_and_b32 vcc_lo, exec_lo, s26
	s_cbranch_vccz .LBB78_2336
; %bb.2306:
	s_cmp_gt_i32 s0, 22
	s_cbranch_scc0 .LBB78_2314
; %bb.2307:
	s_cmp_lt_i32 s0, 24
	s_cbranch_scc1 .LBB78_2317
; %bb.2308:
	s_cmp_gt_i32 s0, 24
	s_cbranch_scc0 .LBB78_2318
; %bb.2309:
	global_load_u8 v7, v[12:13], off
	s_mov_b32 s25, 0
	s_mov_b32 s24, exec_lo
	s_wait_loadcnt 0x0
	v_cmpx_lt_i16_e32 0x7f, v7
	s_xor_b32 s24, exec_lo, s24
	s_cbranch_execz .LBB78_2330
; %bb.2310:
	v_cmp_ne_u16_e32 vcc_lo, 0x80, v7
	s_and_b32 s25, vcc_lo, exec_lo
	s_and_not1_saveexec_b32 s24, s24
	s_cbranch_execnz .LBB78_2331
.LBB78_2311:
	s_or_b32 exec_lo, exec_lo, s24
	v_mov_b64_e32 v[4:5], 0
	s_and_saveexec_b32 s24, s25
	s_cbranch_execz .LBB78_2313
.LBB78_2312:
	v_and_b32_e32 v4, 0xffff, v7
	s_delay_alu instid0(VALU_DEP_1) | instskip(SKIP_1) | instid1(VALU_DEP_2)
	v_and_b32_e32 v5, 3, v4
	v_bfe_u32 v14, v4, 2, 5
	v_clz_i32_u32_e32 v9, v5
	s_delay_alu instid0(VALU_DEP_2) | instskip(NEXT) | instid1(VALU_DEP_2)
	v_cmp_eq_u32_e32 vcc_lo, 0, v14
	v_min_u32_e32 v9, 32, v9
	s_delay_alu instid0(VALU_DEP_1) | instskip(NEXT) | instid1(VALU_DEP_1)
	v_subrev_nc_u32_e32 v11, 29, v9
	v_dual_lshlrev_b32 v4, v11, v4 :: v_dual_sub_nc_u32 v9, 30, v9
	s_delay_alu instid0(VALU_DEP_1) | instskip(NEXT) | instid1(VALU_DEP_1)
	v_dual_lshlrev_b32 v7, 24, v7 :: v_dual_bitop2_b32 v4, 3, v4 bitop3:0x40
	v_dual_cndmask_b32 v9, v14, v9 :: v_dual_cndmask_b32 v4, v5, v4
	s_delay_alu instid0(VALU_DEP_2) | instskip(NEXT) | instid1(VALU_DEP_2)
	v_and_b32_e32 v5, 0x80000000, v7
	v_lshl_add_u32 v7, v9, 23, 0x37800000
	s_delay_alu instid0(VALU_DEP_3) | instskip(NEXT) | instid1(VALU_DEP_1)
	v_lshlrev_b32_e32 v4, 21, v4
	v_or3_b32 v4, v5, v7, v4
	s_delay_alu instid0(VALU_DEP_1) | instskip(NEXT) | instid1(VALU_DEP_1)
	v_trunc_f32_e32 v4, v4
	v_mul_f32_e64 v5, 0x2f800000, |v4|
	s_delay_alu instid0(VALU_DEP_1) | instskip(NEXT) | instid1(VALU_DEP_1)
	v_floor_f32_e32 v5, v5
	v_fma_f32 v7, 0xcf800000, v5, |v4|
	v_ashrrev_i32_e32 v4, 31, v4
	v_cvt_u32_f32_e32 v9, v5
	s_delay_alu instid0(VALU_DEP_3) | instskip(NEXT) | instid1(VALU_DEP_2)
	v_cvt_u32_f32_e32 v7, v7
	v_dual_mov_b32 v5, v4 :: v_dual_bitop2_b32 v15, v9, v4 bitop3:0x14
	s_delay_alu instid0(VALU_DEP_2) | instskip(NEXT) | instid1(VALU_DEP_1)
	v_xor_b32_e32 v14, v7, v4
	v_sub_nc_u64_e32 v[4:5], v[14:15], v[4:5]
.LBB78_2313:
	s_or_b32 exec_lo, exec_lo, s24
	s_mov_b32 s24, 0
	s_branch .LBB78_2319
.LBB78_2314:
	s_mov_b32 s24, -1
                                        ; implicit-def: $vgpr4_vgpr5
	s_branch .LBB78_2325
.LBB78_2315:
	s_and_not1_saveexec_b32 s25, s25
	s_cbranch_execz .LBB78_2300
.LBB78_2316:
	v_cmp_ne_u16_e32 vcc_lo, 0, v7
	s_and_not1_b32 s26, s26, exec_lo
	s_and_b32 s27, vcc_lo, exec_lo
	s_delay_alu instid0(SALU_CYCLE_1)
	s_or_b32 s26, s26, s27
	s_or_b32 exec_lo, exec_lo, s25
	v_mov_b64_e32 v[4:5], 0
	s_and_saveexec_b32 s25, s26
	s_cbranch_execnz .LBB78_2301
	s_branch .LBB78_2302
.LBB78_2317:
	s_mov_b32 s24, -1
                                        ; implicit-def: $vgpr4_vgpr5
	s_branch .LBB78_2322
.LBB78_2318:
	s_mov_b32 s24, -1
                                        ; implicit-def: $vgpr4_vgpr5
.LBB78_2319:
	s_delay_alu instid0(SALU_CYCLE_1)
	s_and_b32 vcc_lo, exec_lo, s24
	s_cbranch_vccz .LBB78_2321
; %bb.2320:
	s_wait_loadcnt 0x0
	global_load_u8 v4, v[12:13], off
	s_wait_loadcnt 0x0
	v_lshlrev_b32_e32 v4, 24, v4
	s_delay_alu instid0(VALU_DEP_1) | instskip(NEXT) | instid1(VALU_DEP_1)
	v_and_b32_e32 v5, 0x7f000000, v4
	v_clz_i32_u32_e32 v7, v5
	v_add_nc_u32_e32 v11, 0x1000000, v5
	v_cmp_ne_u32_e32 vcc_lo, 0, v5
	s_delay_alu instid0(VALU_DEP_3) | instskip(NEXT) | instid1(VALU_DEP_1)
	v_min_u32_e32 v7, 32, v7
	v_sub_nc_u32_e64 v7, v7, 4 clamp
	s_delay_alu instid0(VALU_DEP_1) | instskip(NEXT) | instid1(VALU_DEP_1)
	v_dual_lshlrev_b32 v9, v7, v5 :: v_dual_lshlrev_b32 v7, 23, v7
	v_lshrrev_b32_e32 v9, 4, v9
	s_delay_alu instid0(VALU_DEP_1) | instskip(SKIP_1) | instid1(VALU_DEP_2)
	v_sub_nc_u32_e32 v7, v9, v7
	v_ashrrev_i32_e32 v9, 8, v11
	v_add_nc_u32_e32 v7, 0x3c000000, v7
	s_delay_alu instid0(VALU_DEP_1) | instskip(NEXT) | instid1(VALU_DEP_1)
	v_and_or_b32 v7, 0x7f800000, v9, v7
	v_cndmask_b32_e32 v5, 0, v7, vcc_lo
	s_delay_alu instid0(VALU_DEP_1) | instskip(NEXT) | instid1(VALU_DEP_1)
	v_and_or_b32 v4, 0x80000000, v4, v5
	v_trunc_f32_e32 v4, v4
	s_delay_alu instid0(VALU_DEP_1) | instskip(NEXT) | instid1(VALU_DEP_1)
	v_mul_f32_e64 v5, 0x2f800000, |v4|
	v_floor_f32_e32 v5, v5
	s_delay_alu instid0(VALU_DEP_1) | instskip(SKIP_2) | instid1(VALU_DEP_3)
	v_fma_f32 v7, 0xcf800000, v5, |v4|
	v_ashrrev_i32_e32 v4, 31, v4
	v_cvt_u32_f32_e32 v9, v5
	v_cvt_u32_f32_e32 v7, v7
	s_delay_alu instid0(VALU_DEP_2) | instskip(NEXT) | instid1(VALU_DEP_2)
	v_dual_mov_b32 v5, v4 :: v_dual_bitop2_b32 v15, v9, v4 bitop3:0x14
	v_xor_b32_e32 v14, v7, v4
	s_delay_alu instid0(VALU_DEP_1)
	v_sub_nc_u64_e32 v[4:5], v[14:15], v[4:5]
.LBB78_2321:
	s_mov_b32 s24, 0
.LBB78_2322:
	s_delay_alu instid0(SALU_CYCLE_1)
	s_and_not1_b32 vcc_lo, exec_lo, s24
	s_cbranch_vccnz .LBB78_2324
; %bb.2323:
	s_wait_loadcnt 0x0
	global_load_u8 v4, v[12:13], off
	s_wait_loadcnt 0x0
	v_lshlrev_b32_e32 v5, 25, v4
	v_lshlrev_b16 v4, 8, v4
	s_delay_alu instid0(VALU_DEP_1) | instskip(SKIP_1) | instid1(VALU_DEP_2)
	v_and_or_b32 v9, 0x7f00, v4, 0.5
	v_bfe_i32 v4, v4, 0, 16
	v_add_f32_e32 v9, -0.5, v9
	v_lshrrev_b32_e32 v7, 4, v5
	v_cmp_gt_u32_e32 vcc_lo, 0x8000000, v5
	s_delay_alu instid0(VALU_DEP_2) | instskip(NEXT) | instid1(VALU_DEP_1)
	v_or_b32_e32 v7, 0x70000000, v7
	v_mul_f32_e32 v7, 0x7800000, v7
	s_delay_alu instid0(VALU_DEP_1) | instskip(NEXT) | instid1(VALU_DEP_1)
	v_cndmask_b32_e32 v5, v7, v9, vcc_lo
	v_and_or_b32 v4, 0x80000000, v4, v5
	s_delay_alu instid0(VALU_DEP_1) | instskip(NEXT) | instid1(VALU_DEP_1)
	v_trunc_f32_e32 v4, v4
	v_mul_f32_e64 v5, 0x2f800000, |v4|
	s_delay_alu instid0(VALU_DEP_1) | instskip(NEXT) | instid1(VALU_DEP_1)
	v_floor_f32_e32 v5, v5
	v_fma_f32 v7, 0xcf800000, v5, |v4|
	v_ashrrev_i32_e32 v4, 31, v4
	v_cvt_u32_f32_e32 v9, v5
	s_delay_alu instid0(VALU_DEP_3) | instskip(NEXT) | instid1(VALU_DEP_2)
	v_cvt_u32_f32_e32 v7, v7
	v_dual_mov_b32 v5, v4 :: v_dual_bitop2_b32 v15, v9, v4 bitop3:0x14
	s_delay_alu instid0(VALU_DEP_2) | instskip(NEXT) | instid1(VALU_DEP_1)
	v_xor_b32_e32 v14, v7, v4
	v_sub_nc_u64_e32 v[4:5], v[14:15], v[4:5]
.LBB78_2324:
	s_mov_b32 s24, 0
	s_mov_b32 s25, -1
.LBB78_2325:
	s_and_not1_b32 vcc_lo, exec_lo, s24
	s_mov_b32 s24, 0
	s_cbranch_vccnz .LBB78_2336
; %bb.2326:
	s_cmp_gt_i32 s0, 14
	s_cbranch_scc0 .LBB78_2329
; %bb.2327:
	s_cmp_eq_u32 s0, 15
	s_cbranch_scc0 .LBB78_2332
; %bb.2328:
	s_wait_loadcnt 0x0
	global_load_u16 v4, v[12:13], off
	s_mov_b32 s1, 0
	s_mov_b32 s25, -1
	s_wait_loadcnt 0x0
	v_lshlrev_b32_e32 v4, 16, v4
	s_delay_alu instid0(VALU_DEP_1) | instskip(NEXT) | instid1(VALU_DEP_1)
	v_trunc_f32_e32 v4, v4
	v_mul_f32_e64 v5, 0x2f800000, |v4|
	s_delay_alu instid0(VALU_DEP_1) | instskip(NEXT) | instid1(VALU_DEP_1)
	v_floor_f32_e32 v5, v5
	v_fma_f32 v7, 0xcf800000, v5, |v4|
	v_ashrrev_i32_e32 v4, 31, v4
	v_cvt_u32_f32_e32 v9, v5
	s_delay_alu instid0(VALU_DEP_3) | instskip(NEXT) | instid1(VALU_DEP_2)
	v_cvt_u32_f32_e32 v7, v7
	v_dual_mov_b32 v5, v4 :: v_dual_bitop2_b32 v15, v9, v4 bitop3:0x14
	s_delay_alu instid0(VALU_DEP_2) | instskip(NEXT) | instid1(VALU_DEP_1)
	v_xor_b32_e32 v14, v7, v4
	v_sub_nc_u64_e32 v[4:5], v[14:15], v[4:5]
	s_branch .LBB78_2334
.LBB78_2329:
	s_mov_b32 s24, -1
	s_branch .LBB78_2333
.LBB78_2330:
	s_and_not1_saveexec_b32 s24, s24
	s_cbranch_execz .LBB78_2311
.LBB78_2331:
	v_cmp_ne_u16_e32 vcc_lo, 0, v7
	s_and_not1_b32 s25, s25, exec_lo
	s_and_b32 s26, vcc_lo, exec_lo
	s_delay_alu instid0(SALU_CYCLE_1)
	s_or_b32 s25, s25, s26
	s_or_b32 exec_lo, exec_lo, s24
	v_mov_b64_e32 v[4:5], 0
	s_and_saveexec_b32 s24, s25
	s_cbranch_execnz .LBB78_2312
	s_branch .LBB78_2313
.LBB78_2332:
	s_mov_b32 s1, -1
.LBB78_2333:
                                        ; implicit-def: $vgpr4_vgpr5
.LBB78_2334:
	s_and_b32 vcc_lo, exec_lo, s24
	s_mov_b32 s24, 0
	s_cbranch_vccz .LBB78_2336
; %bb.2335:
	s_cmp_lg_u32 s0, 11
	s_mov_b32 s24, -1
	s_cselect_b32 s1, -1, 0
.LBB78_2336:
	s_delay_alu instid0(SALU_CYCLE_1)
	s_and_b32 vcc_lo, exec_lo, s1
	s_cbranch_vccnz .LBB78_2399
; %bb.2337:
	s_and_not1_b32 vcc_lo, exec_lo, s24
	s_cbranch_vccnz .LBB78_2339
.LBB78_2338:
	s_wait_loadcnt 0x0
	global_load_u8 v4, v[12:13], off
	s_mov_b32 s1, 0
	s_mov_b32 s25, -1
	v_mov_b32_e32 v5, s1
	s_wait_loadcnt 0x0
	v_cmp_ne_u16_e32 vcc_lo, 0, v4
	v_cndmask_b32_e64 v4, 0, 1, vcc_lo
.LBB78_2339:
	s_branch .LBB78_2270
.LBB78_2340:
	s_cmp_lt_i32 s0, 5
	s_cbranch_scc1 .LBB78_2345
; %bb.2341:
	s_cmp_lt_i32 s0, 8
	s_cbranch_scc1 .LBB78_2346
; %bb.2342:
	s_cmp_lt_i32 s0, 9
	s_cbranch_scc1 .LBB78_2347
; %bb.2343:
	s_cmp_gt_i32 s0, 9
	s_cbranch_scc0 .LBB78_2348
; %bb.2344:
	s_wait_loadcnt 0x0
	global_load_b64 v[4:5], v[12:13], off
	s_mov_b32 s1, 0
	s_wait_loadcnt 0x0
	v_trunc_f64_e32 v[4:5], v[4:5]
	s_delay_alu instid0(VALU_DEP_1) | instskip(NEXT) | instid1(VALU_DEP_1)
	v_ldexp_f64 v[14:15], v[4:5], 0xffffffe0
	v_floor_f64_e32 v[14:15], v[14:15]
	s_delay_alu instid0(VALU_DEP_1) | instskip(SKIP_1) | instid1(VALU_DEP_2)
	v_fmamk_f64 v[16:17], v[14:15], 0xc1f00000, v[4:5]
	v_cvt_i32_f64_e32 v5, v[14:15]
	v_cvt_u32_f64_e32 v4, v[16:17]
	s_branch .LBB78_2349
.LBB78_2345:
	s_mov_b32 s1, -1
                                        ; implicit-def: $vgpr4_vgpr5
	s_branch .LBB78_2367
.LBB78_2346:
	s_mov_b32 s1, -1
                                        ; implicit-def: $vgpr4_vgpr5
	s_branch .LBB78_2355
.LBB78_2347:
	s_mov_b32 s1, -1
                                        ; implicit-def: $vgpr4_vgpr5
	s_branch .LBB78_2352
.LBB78_2348:
	s_mov_b32 s1, -1
                                        ; implicit-def: $vgpr4_vgpr5
.LBB78_2349:
	s_delay_alu instid0(SALU_CYCLE_1)
	s_and_not1_b32 vcc_lo, exec_lo, s1
	s_cbranch_vccnz .LBB78_2351
; %bb.2350:
	s_wait_loadcnt 0x0
	global_load_b32 v4, v[12:13], off
	s_wait_loadcnt 0x0
	v_trunc_f32_e32 v4, v4
	s_delay_alu instid0(VALU_DEP_1) | instskip(NEXT) | instid1(VALU_DEP_1)
	v_mul_f32_e64 v5, 0x2f800000, |v4|
	v_floor_f32_e32 v5, v5
	s_delay_alu instid0(VALU_DEP_1) | instskip(SKIP_2) | instid1(VALU_DEP_3)
	v_fma_f32 v7, 0xcf800000, v5, |v4|
	v_ashrrev_i32_e32 v4, 31, v4
	v_cvt_u32_f32_e32 v9, v5
	v_cvt_u32_f32_e32 v7, v7
	s_delay_alu instid0(VALU_DEP_2) | instskip(NEXT) | instid1(VALU_DEP_2)
	v_dual_mov_b32 v5, v4 :: v_dual_bitop2_b32 v15, v9, v4 bitop3:0x14
	v_xor_b32_e32 v14, v7, v4
	s_delay_alu instid0(VALU_DEP_1)
	v_sub_nc_u64_e32 v[4:5], v[14:15], v[4:5]
.LBB78_2351:
	s_mov_b32 s1, 0
.LBB78_2352:
	s_delay_alu instid0(SALU_CYCLE_1)
	s_and_not1_b32 vcc_lo, exec_lo, s1
	s_cbranch_vccnz .LBB78_2354
; %bb.2353:
	s_wait_loadcnt 0x0
	global_load_b32 v4, v[12:13], off
	s_wait_loadcnt 0x0
	v_cvt_f32_f16_e32 v4, v4
	s_delay_alu instid0(VALU_DEP_1) | instskip(NEXT) | instid1(VALU_DEP_1)
	v_cvt_i32_f32_e32 v4, v4
	v_ashrrev_i32_e32 v5, 31, v4
.LBB78_2354:
	s_mov_b32 s1, 0
.LBB78_2355:
	s_delay_alu instid0(SALU_CYCLE_1)
	s_and_not1_b32 vcc_lo, exec_lo, s1
	s_cbranch_vccnz .LBB78_2366
; %bb.2356:
	s_cmp_lt_i32 s0, 6
	s_cbranch_scc1 .LBB78_2359
; %bb.2357:
	s_cmp_gt_i32 s0, 6
	s_cbranch_scc0 .LBB78_2360
; %bb.2358:
	s_wait_loadcnt 0x0
	global_load_b64 v[4:5], v[12:13], off
	s_mov_b32 s1, 0
	s_wait_loadcnt 0x0
	v_trunc_f64_e32 v[4:5], v[4:5]
	s_delay_alu instid0(VALU_DEP_1) | instskip(NEXT) | instid1(VALU_DEP_1)
	v_ldexp_f64 v[14:15], v[4:5], 0xffffffe0
	v_floor_f64_e32 v[14:15], v[14:15]
	s_delay_alu instid0(VALU_DEP_1) | instskip(SKIP_1) | instid1(VALU_DEP_2)
	v_fmamk_f64 v[16:17], v[14:15], 0xc1f00000, v[4:5]
	v_cvt_i32_f64_e32 v5, v[14:15]
	v_cvt_u32_f64_e32 v4, v[16:17]
	s_branch .LBB78_2361
.LBB78_2359:
	s_mov_b32 s1, -1
                                        ; implicit-def: $vgpr4_vgpr5
	s_branch .LBB78_2364
.LBB78_2360:
	s_mov_b32 s1, -1
                                        ; implicit-def: $vgpr4_vgpr5
.LBB78_2361:
	s_delay_alu instid0(SALU_CYCLE_1)
	s_and_not1_b32 vcc_lo, exec_lo, s1
	s_cbranch_vccnz .LBB78_2363
; %bb.2362:
	s_wait_loadcnt 0x0
	global_load_b32 v4, v[12:13], off
	s_wait_loadcnt 0x0
	v_trunc_f32_e32 v4, v4
	s_delay_alu instid0(VALU_DEP_1) | instskip(NEXT) | instid1(VALU_DEP_1)
	v_mul_f32_e64 v5, 0x2f800000, |v4|
	v_floor_f32_e32 v5, v5
	s_delay_alu instid0(VALU_DEP_1) | instskip(SKIP_2) | instid1(VALU_DEP_3)
	v_fma_f32 v7, 0xcf800000, v5, |v4|
	v_ashrrev_i32_e32 v4, 31, v4
	v_cvt_u32_f32_e32 v9, v5
	v_cvt_u32_f32_e32 v7, v7
	s_delay_alu instid0(VALU_DEP_2) | instskip(NEXT) | instid1(VALU_DEP_2)
	v_dual_mov_b32 v5, v4 :: v_dual_bitop2_b32 v15, v9, v4 bitop3:0x14
	v_xor_b32_e32 v14, v7, v4
	s_delay_alu instid0(VALU_DEP_1)
	v_sub_nc_u64_e32 v[4:5], v[14:15], v[4:5]
.LBB78_2363:
	s_mov_b32 s1, 0
.LBB78_2364:
	s_delay_alu instid0(SALU_CYCLE_1)
	s_and_not1_b32 vcc_lo, exec_lo, s1
	s_cbranch_vccnz .LBB78_2366
; %bb.2365:
	s_wait_loadcnt 0x0
	global_load_u16 v4, v[12:13], off
	s_wait_loadcnt 0x0
	v_cvt_f32_f16_e32 v4, v4
	s_delay_alu instid0(VALU_DEP_1) | instskip(NEXT) | instid1(VALU_DEP_1)
	v_cvt_i32_f32_e32 v4, v4
	v_ashrrev_i32_e32 v5, 31, v4
.LBB78_2366:
	s_mov_b32 s1, 0
.LBB78_2367:
	s_delay_alu instid0(SALU_CYCLE_1)
	s_and_not1_b32 vcc_lo, exec_lo, s1
	s_cbranch_vccnz .LBB78_2387
; %bb.2368:
	s_cmp_lt_i32 s0, 2
	s_cbranch_scc1 .LBB78_2372
; %bb.2369:
	s_cmp_lt_i32 s0, 3
	s_cbranch_scc1 .LBB78_2373
; %bb.2370:
	s_cmp_gt_i32 s0, 3
	s_cbranch_scc0 .LBB78_2374
; %bb.2371:
	s_wait_loadcnt 0x0
	global_load_b64 v[4:5], v[12:13], off
	s_mov_b32 s1, 0
	s_branch .LBB78_2375
.LBB78_2372:
	s_mov_b32 s1, -1
                                        ; implicit-def: $vgpr4_vgpr5
	s_branch .LBB78_2381
.LBB78_2373:
	s_mov_b32 s1, -1
                                        ; implicit-def: $vgpr4_vgpr5
	s_branch .LBB78_2378
.LBB78_2374:
	s_mov_b32 s1, -1
                                        ; implicit-def: $vgpr4_vgpr5
.LBB78_2375:
	s_delay_alu instid0(SALU_CYCLE_1)
	s_and_not1_b32 vcc_lo, exec_lo, s1
	s_cbranch_vccnz .LBB78_2377
; %bb.2376:
	s_wait_loadcnt 0x0
	global_load_b32 v4, v[12:13], off
	s_wait_loadcnt 0x0
	v_ashrrev_i32_e32 v5, 31, v4
.LBB78_2377:
	s_mov_b32 s1, 0
.LBB78_2378:
	s_delay_alu instid0(SALU_CYCLE_1)
	s_and_not1_b32 vcc_lo, exec_lo, s1
	s_cbranch_vccnz .LBB78_2380
; %bb.2379:
	s_wait_loadcnt 0x0
	global_load_u16 v4, v[12:13], off
	s_wait_loadcnt 0x0
	v_bfe_i32 v4, v4, 0, 16
	s_delay_alu instid0(VALU_DEP_1)
	v_ashrrev_i32_e32 v5, 31, v4
.LBB78_2380:
	s_mov_b32 s1, 0
.LBB78_2381:
	s_delay_alu instid0(SALU_CYCLE_1)
	s_and_not1_b32 vcc_lo, exec_lo, s1
	s_cbranch_vccnz .LBB78_2387
; %bb.2382:
	s_cmp_gt_i32 s0, 0
	s_mov_b32 s1, 0
	s_cbranch_scc0 .LBB78_2384
; %bb.2383:
	s_wait_loadcnt 0x0
	global_load_i8 v4, v[12:13], off
	s_wait_loadcnt 0x0
	v_bfe_i32 v4, v4, 0, 16
	s_delay_alu instid0(VALU_DEP_1)
	v_ashrrev_i32_e32 v5, 31, v4
	s_branch .LBB78_2385
.LBB78_2384:
	s_mov_b32 s1, -1
                                        ; implicit-def: $vgpr4_vgpr5
.LBB78_2385:
	s_delay_alu instid0(SALU_CYCLE_1)
	s_and_not1_b32 vcc_lo, exec_lo, s1
	s_cbranch_vccnz .LBB78_2387
; %bb.2386:
	s_wait_loadcnt 0x0
	global_load_u8 v4, v[12:13], off
	s_mov_b32 s1, 0
	s_delay_alu instid0(SALU_CYCLE_1)
	v_mov_b32_e32 v5, s1
	s_wait_loadcnt 0x0
	v_and_b32_e32 v4, 0xffff, v4
.LBB78_2387:
.LBB78_2388:
	s_lshl_b32 s1, s13, 7
	s_cmp_lt_i32 s21, 11
	s_wait_xcnt 0x0
	v_add_nc_u32_e32 v12, s1, v6
	s_delay_alu instid0(VALU_DEP_1) | instskip(NEXT) | instid1(VALU_DEP_1)
	v_ashrrev_i32_e32 v13, 31, v12
	v_add_nc_u64_e32 v[14:15], s[6:7], v[12:13]
	s_cbranch_scc1 .LBB78_2395
; %bb.2389:
	s_and_b32 s13, 0xffff, s21
	s_mov_b32 s25, 0
	s_cmp_gt_i32 s13, 25
	s_cbranch_scc0 .LBB78_2396
; %bb.2390:
	s_cmp_gt_i32 s13, 28
	s_cbranch_scc0 .LBB78_2397
; %bb.2391:
	;; [unrolled: 3-line block ×4, first 2 shown]
	s_cmp_eq_u32 s13, 46
	s_mov_b32 s27, 0
	s_cbranch_scc0 .LBB78_2401
; %bb.2394:
	global_load_b32 v6, v[14:15], off
	s_mov_b32 s24, 0
	s_mov_b32 s26, -1
	s_wait_loadcnt 0x0
	v_lshlrev_b32_e32 v6, 16, v6
	s_delay_alu instid0(VALU_DEP_1) | instskip(NEXT) | instid1(VALU_DEP_1)
	v_trunc_f32_e32 v6, v6
	v_mul_f32_e64 v7, 0x2f800000, |v6|
	s_delay_alu instid0(VALU_DEP_1) | instskip(NEXT) | instid1(VALU_DEP_1)
	v_floor_f32_e32 v7, v7
	v_fma_f32 v9, 0xcf800000, v7, |v6|
	v_ashrrev_i32_e32 v6, 31, v6
	v_cvt_u32_f32_e32 v11, v7
	s_delay_alu instid0(VALU_DEP_3) | instskip(NEXT) | instid1(VALU_DEP_2)
	v_cvt_u32_f32_e32 v9, v9
	v_dual_mov_b32 v7, v6 :: v_dual_bitop2_b32 v17, v11, v6 bitop3:0x14
	s_delay_alu instid0(VALU_DEP_2) | instskip(NEXT) | instid1(VALU_DEP_1)
	v_xor_b32_e32 v16, v9, v6
	v_sub_nc_u64_e32 v[6:7], v[16:17], v[6:7]
	s_branch .LBB78_2403
.LBB78_2395:
	s_mov_b32 s13, -1
	s_mov_b32 s26, 0
                                        ; implicit-def: $vgpr6_vgpr7
	s_branch .LBB78_2465
.LBB78_2396:
	s_mov_b32 s27, -1
	s_mov_b32 s26, 0
	s_mov_b32 s24, 0
                                        ; implicit-def: $vgpr6_vgpr7
	s_branch .LBB78_2430
.LBB78_2397:
	s_mov_b32 s27, -1
	s_mov_b32 s26, 0
	s_mov_b32 s24, 0
                                        ; implicit-def: $vgpr6_vgpr7
	s_branch .LBB78_2413
.LBB78_2398:
	s_mov_b32 s27, -1
	s_mov_b32 s26, 0
	s_mov_b32 s24, 0
                                        ; implicit-def: $vgpr6_vgpr7
	s_branch .LBB78_2408
.LBB78_2399:
	s_or_b32 s20, s20, exec_lo
	s_trap 2
	s_cbranch_execz .LBB78_2338
	s_branch .LBB78_2339
.LBB78_2400:
	s_mov_b32 s27, -1
	s_mov_b32 s26, 0
	s_mov_b32 s24, 0
	s_branch .LBB78_2402
.LBB78_2401:
	s_mov_b32 s24, -1
	s_mov_b32 s26, 0
.LBB78_2402:
                                        ; implicit-def: $vgpr6_vgpr7
.LBB78_2403:
	s_and_b32 vcc_lo, exec_lo, s27
	s_cbranch_vccz .LBB78_2407
; %bb.2404:
	s_cmp_eq_u32 s13, 44
	s_cbranch_scc0 .LBB78_2406
; %bb.2405:
	global_load_u8 v9, v[14:15], off
	s_mov_b32 s24, 0
	s_mov_b32 s26, -1
	s_wait_loadcnt 0x0
	v_cmp_ne_u32_e32 vcc_lo, 0, v9
	v_lshlrev_b32_e32 v6, 23, v9
	s_delay_alu instid0(VALU_DEP_1) | instskip(NEXT) | instid1(VALU_DEP_1)
	v_trunc_f32_e32 v6, v6
	v_mul_f32_e64 v7, 0x2f800000, |v6|
	s_delay_alu instid0(VALU_DEP_1) | instskip(NEXT) | instid1(VALU_DEP_1)
	v_floor_f32_e32 v7, v7
	v_fma_f32 v11, 0xcf800000, v7, |v6|
	v_ashrrev_i32_e32 v6, 31, v6
	v_cvt_u32_f32_e32 v13, v7
	s_delay_alu instid0(VALU_DEP_3) | instskip(NEXT) | instid1(VALU_DEP_2)
	v_cvt_u32_f32_e32 v11, v11
	v_dual_mov_b32 v7, v6 :: v_dual_bitop2_b32 v17, v13, v6 bitop3:0x14
	s_delay_alu instid0(VALU_DEP_2) | instskip(NEXT) | instid1(VALU_DEP_1)
	v_xor_b32_e32 v16, v11, v6
	v_sub_nc_u64_e32 v[6:7], v[16:17], v[6:7]
	s_delay_alu instid0(VALU_DEP_1)
	v_dual_cndmask_b32 v7, 0, v7 :: v_dual_cndmask_b32 v6, 0, v6
	s_branch .LBB78_2407
.LBB78_2406:
	s_mov_b32 s24, -1
                                        ; implicit-def: $vgpr6_vgpr7
.LBB78_2407:
	s_mov_b32 s27, 0
.LBB78_2408:
	s_delay_alu instid0(SALU_CYCLE_1)
	s_and_b32 vcc_lo, exec_lo, s27
	s_cbranch_vccz .LBB78_2412
; %bb.2409:
	s_cmp_eq_u32 s13, 29
	s_cbranch_scc0 .LBB78_2411
; %bb.2410:
	global_load_b64 v[6:7], v[14:15], off
	s_mov_b32 s24, 0
	s_mov_b32 s26, -1
	s_branch .LBB78_2412
.LBB78_2411:
	s_mov_b32 s24, -1
                                        ; implicit-def: $vgpr6_vgpr7
.LBB78_2412:
	s_mov_b32 s27, 0
.LBB78_2413:
	s_delay_alu instid0(SALU_CYCLE_1)
	s_and_b32 vcc_lo, exec_lo, s27
	s_cbranch_vccz .LBB78_2429
; %bb.2414:
	s_cmp_lt_i32 s13, 27
	s_cbranch_scc1 .LBB78_2417
; %bb.2415:
	s_cmp_gt_i32 s13, 27
	s_cbranch_scc0 .LBB78_2418
; %bb.2416:
	s_wait_loadcnt 0x0
	global_load_b32 v6, v[14:15], off
	v_mov_b32_e32 v7, 0
	s_mov_b32 s26, 0
	s_branch .LBB78_2419
.LBB78_2417:
	s_mov_b32 s26, -1
                                        ; implicit-def: $vgpr6_vgpr7
	s_branch .LBB78_2422
.LBB78_2418:
	s_mov_b32 s26, -1
                                        ; implicit-def: $vgpr6_vgpr7
.LBB78_2419:
	s_delay_alu instid0(SALU_CYCLE_1)
	s_and_not1_b32 vcc_lo, exec_lo, s26
	s_cbranch_vccnz .LBB78_2421
; %bb.2420:
	s_wait_loadcnt 0x0
	global_load_u16 v6, v[14:15], off
	s_mov_b32 s26, 0
	s_delay_alu instid0(SALU_CYCLE_1)
	v_mov_b32_e32 v7, s26
	s_wait_loadcnt 0x0
	v_and_b32_e32 v6, 0xffff, v6
.LBB78_2421:
	s_mov_b32 s26, 0
.LBB78_2422:
	s_delay_alu instid0(SALU_CYCLE_1)
	s_and_not1_b32 vcc_lo, exec_lo, s26
	s_cbranch_vccnz .LBB78_2428
; %bb.2423:
	global_load_u8 v9, v[14:15], off
	s_mov_b32 s27, 0
	s_mov_b32 s26, exec_lo
	s_wait_loadcnt 0x0
	v_cmpx_lt_i16_e32 0x7f, v9
	s_xor_b32 s26, exec_lo, s26
	s_cbranch_execz .LBB78_2440
; %bb.2424:
	v_cmp_ne_u16_e32 vcc_lo, 0x80, v9
	s_and_b32 s27, vcc_lo, exec_lo
	s_and_not1_saveexec_b32 s26, s26
	s_cbranch_execnz .LBB78_2441
.LBB78_2425:
	s_or_b32 exec_lo, exec_lo, s26
	v_mov_b64_e32 v[6:7], 0
	s_and_saveexec_b32 s26, s27
	s_cbranch_execz .LBB78_2427
.LBB78_2426:
	v_and_b32_e32 v6, 0xffff, v9
	s_delay_alu instid0(VALU_DEP_1) | instskip(SKIP_1) | instid1(VALU_DEP_2)
	v_and_b32_e32 v7, 7, v6
	v_bfe_u32 v16, v6, 3, 4
	v_clz_i32_u32_e32 v11, v7
	s_delay_alu instid0(VALU_DEP_2) | instskip(NEXT) | instid1(VALU_DEP_2)
	v_cmp_eq_u32_e32 vcc_lo, 0, v16
	v_min_u32_e32 v11, 32, v11
	s_delay_alu instid0(VALU_DEP_1) | instskip(NEXT) | instid1(VALU_DEP_1)
	v_subrev_nc_u32_e32 v13, 28, v11
	v_dual_lshlrev_b32 v6, v13, v6 :: v_dual_sub_nc_u32 v11, 29, v11
	s_delay_alu instid0(VALU_DEP_1) | instskip(NEXT) | instid1(VALU_DEP_1)
	v_dual_lshlrev_b32 v9, 24, v9 :: v_dual_bitop2_b32 v6, 7, v6 bitop3:0x40
	v_dual_cndmask_b32 v11, v16, v11 :: v_dual_cndmask_b32 v6, v7, v6
	s_delay_alu instid0(VALU_DEP_2) | instskip(NEXT) | instid1(VALU_DEP_2)
	v_and_b32_e32 v7, 0x80000000, v9
	v_lshl_add_u32 v9, v11, 23, 0x3b800000
	s_delay_alu instid0(VALU_DEP_3) | instskip(NEXT) | instid1(VALU_DEP_1)
	v_lshlrev_b32_e32 v6, 20, v6
	v_or3_b32 v6, v7, v9, v6
	s_delay_alu instid0(VALU_DEP_1) | instskip(NEXT) | instid1(VALU_DEP_1)
	v_trunc_f32_e32 v6, v6
	v_mul_f32_e64 v7, 0x2f800000, |v6|
	s_delay_alu instid0(VALU_DEP_1) | instskip(NEXT) | instid1(VALU_DEP_1)
	v_floor_f32_e32 v7, v7
	v_fma_f32 v9, 0xcf800000, v7, |v6|
	v_ashrrev_i32_e32 v6, 31, v6
	v_cvt_u32_f32_e32 v11, v7
	s_delay_alu instid0(VALU_DEP_3) | instskip(NEXT) | instid1(VALU_DEP_2)
	v_cvt_u32_f32_e32 v9, v9
	v_dual_mov_b32 v7, v6 :: v_dual_bitop2_b32 v17, v11, v6 bitop3:0x14
	s_delay_alu instid0(VALU_DEP_2) | instskip(NEXT) | instid1(VALU_DEP_1)
	v_xor_b32_e32 v16, v9, v6
	v_sub_nc_u64_e32 v[6:7], v[16:17], v[6:7]
.LBB78_2427:
	s_or_b32 exec_lo, exec_lo, s26
.LBB78_2428:
	s_mov_b32 s26, -1
.LBB78_2429:
	s_mov_b32 s27, 0
.LBB78_2430:
	s_delay_alu instid0(SALU_CYCLE_1)
	s_and_b32 vcc_lo, exec_lo, s27
	s_cbranch_vccz .LBB78_2461
; %bb.2431:
	s_cmp_gt_i32 s13, 22
	s_cbranch_scc0 .LBB78_2439
; %bb.2432:
	s_cmp_lt_i32 s13, 24
	s_cbranch_scc1 .LBB78_2442
; %bb.2433:
	s_cmp_gt_i32 s13, 24
	s_cbranch_scc0 .LBB78_2443
; %bb.2434:
	global_load_u8 v9, v[14:15], off
	s_mov_b32 s26, 0
	s_mov_b32 s25, exec_lo
	s_wait_loadcnt 0x0
	v_cmpx_lt_i16_e32 0x7f, v9
	s_xor_b32 s25, exec_lo, s25
	s_cbranch_execz .LBB78_2455
; %bb.2435:
	v_cmp_ne_u16_e32 vcc_lo, 0x80, v9
	s_and_b32 s26, vcc_lo, exec_lo
	s_and_not1_saveexec_b32 s25, s25
	s_cbranch_execnz .LBB78_2456
.LBB78_2436:
	s_or_b32 exec_lo, exec_lo, s25
	v_mov_b64_e32 v[6:7], 0
	s_and_saveexec_b32 s25, s26
	s_cbranch_execz .LBB78_2438
.LBB78_2437:
	v_and_b32_e32 v6, 0xffff, v9
	s_delay_alu instid0(VALU_DEP_1) | instskip(SKIP_1) | instid1(VALU_DEP_2)
	v_and_b32_e32 v7, 3, v6
	v_bfe_u32 v16, v6, 2, 5
	v_clz_i32_u32_e32 v11, v7
	s_delay_alu instid0(VALU_DEP_2) | instskip(NEXT) | instid1(VALU_DEP_2)
	v_cmp_eq_u32_e32 vcc_lo, 0, v16
	v_min_u32_e32 v11, 32, v11
	s_delay_alu instid0(VALU_DEP_1) | instskip(NEXT) | instid1(VALU_DEP_1)
	v_subrev_nc_u32_e32 v13, 29, v11
	v_dual_lshlrev_b32 v6, v13, v6 :: v_dual_sub_nc_u32 v11, 30, v11
	s_delay_alu instid0(VALU_DEP_1) | instskip(NEXT) | instid1(VALU_DEP_1)
	v_dual_lshlrev_b32 v9, 24, v9 :: v_dual_bitop2_b32 v6, 3, v6 bitop3:0x40
	v_dual_cndmask_b32 v11, v16, v11 :: v_dual_cndmask_b32 v6, v7, v6
	s_delay_alu instid0(VALU_DEP_2) | instskip(NEXT) | instid1(VALU_DEP_2)
	v_and_b32_e32 v7, 0x80000000, v9
	v_lshl_add_u32 v9, v11, 23, 0x37800000
	s_delay_alu instid0(VALU_DEP_3) | instskip(NEXT) | instid1(VALU_DEP_1)
	v_lshlrev_b32_e32 v6, 21, v6
	v_or3_b32 v6, v7, v9, v6
	s_delay_alu instid0(VALU_DEP_1) | instskip(NEXT) | instid1(VALU_DEP_1)
	v_trunc_f32_e32 v6, v6
	v_mul_f32_e64 v7, 0x2f800000, |v6|
	s_delay_alu instid0(VALU_DEP_1) | instskip(NEXT) | instid1(VALU_DEP_1)
	v_floor_f32_e32 v7, v7
	v_fma_f32 v9, 0xcf800000, v7, |v6|
	v_ashrrev_i32_e32 v6, 31, v6
	v_cvt_u32_f32_e32 v11, v7
	s_delay_alu instid0(VALU_DEP_3) | instskip(NEXT) | instid1(VALU_DEP_2)
	v_cvt_u32_f32_e32 v9, v9
	v_dual_mov_b32 v7, v6 :: v_dual_bitop2_b32 v17, v11, v6 bitop3:0x14
	s_delay_alu instid0(VALU_DEP_2) | instskip(NEXT) | instid1(VALU_DEP_1)
	v_xor_b32_e32 v16, v9, v6
	v_sub_nc_u64_e32 v[6:7], v[16:17], v[6:7]
.LBB78_2438:
	s_or_b32 exec_lo, exec_lo, s25
	s_mov_b32 s25, 0
	s_branch .LBB78_2444
.LBB78_2439:
	s_mov_b32 s25, -1
                                        ; implicit-def: $vgpr6_vgpr7
	s_branch .LBB78_2450
.LBB78_2440:
	s_and_not1_saveexec_b32 s26, s26
	s_cbranch_execz .LBB78_2425
.LBB78_2441:
	v_cmp_ne_u16_e32 vcc_lo, 0, v9
	s_and_not1_b32 s27, s27, exec_lo
	s_and_b32 s28, vcc_lo, exec_lo
	s_delay_alu instid0(SALU_CYCLE_1)
	s_or_b32 s27, s27, s28
	s_or_b32 exec_lo, exec_lo, s26
	v_mov_b64_e32 v[6:7], 0
	s_and_saveexec_b32 s26, s27
	s_cbranch_execnz .LBB78_2426
	s_branch .LBB78_2427
.LBB78_2442:
	s_mov_b32 s25, -1
                                        ; implicit-def: $vgpr6_vgpr7
	s_branch .LBB78_2447
.LBB78_2443:
	s_mov_b32 s25, -1
                                        ; implicit-def: $vgpr6_vgpr7
.LBB78_2444:
	s_delay_alu instid0(SALU_CYCLE_1)
	s_and_b32 vcc_lo, exec_lo, s25
	s_cbranch_vccz .LBB78_2446
; %bb.2445:
	s_wait_loadcnt 0x0
	global_load_u8 v6, v[14:15], off
	s_wait_loadcnt 0x0
	v_lshlrev_b32_e32 v6, 24, v6
	s_delay_alu instid0(VALU_DEP_1) | instskip(NEXT) | instid1(VALU_DEP_1)
	v_and_b32_e32 v7, 0x7f000000, v6
	v_clz_i32_u32_e32 v9, v7
	v_add_nc_u32_e32 v13, 0x1000000, v7
	v_cmp_ne_u32_e32 vcc_lo, 0, v7
	s_delay_alu instid0(VALU_DEP_3) | instskip(NEXT) | instid1(VALU_DEP_1)
	v_min_u32_e32 v9, 32, v9
	v_sub_nc_u32_e64 v9, v9, 4 clamp
	s_delay_alu instid0(VALU_DEP_1) | instskip(NEXT) | instid1(VALU_DEP_1)
	v_dual_lshlrev_b32 v11, v9, v7 :: v_dual_lshlrev_b32 v9, 23, v9
	v_lshrrev_b32_e32 v11, 4, v11
	s_delay_alu instid0(VALU_DEP_1) | instskip(SKIP_1) | instid1(VALU_DEP_2)
	v_sub_nc_u32_e32 v9, v11, v9
	v_ashrrev_i32_e32 v11, 8, v13
	v_add_nc_u32_e32 v9, 0x3c000000, v9
	s_delay_alu instid0(VALU_DEP_1) | instskip(NEXT) | instid1(VALU_DEP_1)
	v_and_or_b32 v9, 0x7f800000, v11, v9
	v_cndmask_b32_e32 v7, 0, v9, vcc_lo
	s_delay_alu instid0(VALU_DEP_1) | instskip(NEXT) | instid1(VALU_DEP_1)
	v_and_or_b32 v6, 0x80000000, v6, v7
	v_trunc_f32_e32 v6, v6
	s_delay_alu instid0(VALU_DEP_1) | instskip(NEXT) | instid1(VALU_DEP_1)
	v_mul_f32_e64 v7, 0x2f800000, |v6|
	v_floor_f32_e32 v7, v7
	s_delay_alu instid0(VALU_DEP_1) | instskip(SKIP_2) | instid1(VALU_DEP_3)
	v_fma_f32 v9, 0xcf800000, v7, |v6|
	v_ashrrev_i32_e32 v6, 31, v6
	v_cvt_u32_f32_e32 v11, v7
	v_cvt_u32_f32_e32 v9, v9
	s_delay_alu instid0(VALU_DEP_2) | instskip(NEXT) | instid1(VALU_DEP_2)
	v_dual_mov_b32 v7, v6 :: v_dual_bitop2_b32 v17, v11, v6 bitop3:0x14
	v_xor_b32_e32 v16, v9, v6
	s_delay_alu instid0(VALU_DEP_1)
	v_sub_nc_u64_e32 v[6:7], v[16:17], v[6:7]
.LBB78_2446:
	s_mov_b32 s25, 0
.LBB78_2447:
	s_delay_alu instid0(SALU_CYCLE_1)
	s_and_not1_b32 vcc_lo, exec_lo, s25
	s_cbranch_vccnz .LBB78_2449
; %bb.2448:
	s_wait_loadcnt 0x0
	global_load_u8 v6, v[14:15], off
	s_wait_loadcnt 0x0
	v_lshlrev_b32_e32 v7, 25, v6
	v_lshlrev_b16 v6, 8, v6
	s_delay_alu instid0(VALU_DEP_1) | instskip(SKIP_1) | instid1(VALU_DEP_2)
	v_and_or_b32 v11, 0x7f00, v6, 0.5
	v_bfe_i32 v6, v6, 0, 16
	v_add_f32_e32 v11, -0.5, v11
	v_lshrrev_b32_e32 v9, 4, v7
	v_cmp_gt_u32_e32 vcc_lo, 0x8000000, v7
	s_delay_alu instid0(VALU_DEP_2) | instskip(NEXT) | instid1(VALU_DEP_1)
	v_or_b32_e32 v9, 0x70000000, v9
	v_mul_f32_e32 v9, 0x7800000, v9
	s_delay_alu instid0(VALU_DEP_1) | instskip(NEXT) | instid1(VALU_DEP_1)
	v_cndmask_b32_e32 v7, v9, v11, vcc_lo
	v_and_or_b32 v6, 0x80000000, v6, v7
	s_delay_alu instid0(VALU_DEP_1) | instskip(NEXT) | instid1(VALU_DEP_1)
	v_trunc_f32_e32 v6, v6
	v_mul_f32_e64 v7, 0x2f800000, |v6|
	s_delay_alu instid0(VALU_DEP_1) | instskip(NEXT) | instid1(VALU_DEP_1)
	v_floor_f32_e32 v7, v7
	v_fma_f32 v9, 0xcf800000, v7, |v6|
	v_ashrrev_i32_e32 v6, 31, v6
	v_cvt_u32_f32_e32 v11, v7
	s_delay_alu instid0(VALU_DEP_3) | instskip(NEXT) | instid1(VALU_DEP_2)
	v_cvt_u32_f32_e32 v9, v9
	v_dual_mov_b32 v7, v6 :: v_dual_bitop2_b32 v17, v11, v6 bitop3:0x14
	s_delay_alu instid0(VALU_DEP_2) | instskip(NEXT) | instid1(VALU_DEP_1)
	v_xor_b32_e32 v16, v9, v6
	v_sub_nc_u64_e32 v[6:7], v[16:17], v[6:7]
.LBB78_2449:
	s_mov_b32 s25, 0
	s_mov_b32 s26, -1
.LBB78_2450:
	s_and_not1_b32 vcc_lo, exec_lo, s25
	s_mov_b32 s25, 0
	s_cbranch_vccnz .LBB78_2461
; %bb.2451:
	s_cmp_gt_i32 s13, 14
	s_cbranch_scc0 .LBB78_2454
; %bb.2452:
	s_cmp_eq_u32 s13, 15
	s_cbranch_scc0 .LBB78_2457
; %bb.2453:
	s_wait_loadcnt 0x0
	global_load_u16 v6, v[14:15], off
	s_mov_b32 s24, 0
	s_mov_b32 s26, -1
	s_wait_loadcnt 0x0
	v_lshlrev_b32_e32 v6, 16, v6
	s_delay_alu instid0(VALU_DEP_1) | instskip(NEXT) | instid1(VALU_DEP_1)
	v_trunc_f32_e32 v6, v6
	v_mul_f32_e64 v7, 0x2f800000, |v6|
	s_delay_alu instid0(VALU_DEP_1) | instskip(NEXT) | instid1(VALU_DEP_1)
	v_floor_f32_e32 v7, v7
	v_fma_f32 v9, 0xcf800000, v7, |v6|
	v_ashrrev_i32_e32 v6, 31, v6
	v_cvt_u32_f32_e32 v11, v7
	s_delay_alu instid0(VALU_DEP_3) | instskip(NEXT) | instid1(VALU_DEP_2)
	v_cvt_u32_f32_e32 v9, v9
	v_dual_mov_b32 v7, v6 :: v_dual_bitop2_b32 v17, v11, v6 bitop3:0x14
	s_delay_alu instid0(VALU_DEP_2) | instskip(NEXT) | instid1(VALU_DEP_1)
	v_xor_b32_e32 v16, v9, v6
	v_sub_nc_u64_e32 v[6:7], v[16:17], v[6:7]
	s_branch .LBB78_2459
.LBB78_2454:
	s_mov_b32 s25, -1
	s_branch .LBB78_2458
.LBB78_2455:
	s_and_not1_saveexec_b32 s25, s25
	s_cbranch_execz .LBB78_2436
.LBB78_2456:
	v_cmp_ne_u16_e32 vcc_lo, 0, v9
	s_and_not1_b32 s26, s26, exec_lo
	s_and_b32 s27, vcc_lo, exec_lo
	s_delay_alu instid0(SALU_CYCLE_1)
	s_or_b32 s26, s26, s27
	s_or_b32 exec_lo, exec_lo, s25
	v_mov_b64_e32 v[6:7], 0
	s_and_saveexec_b32 s25, s26
	s_cbranch_execnz .LBB78_2437
	s_branch .LBB78_2438
.LBB78_2457:
	s_mov_b32 s24, -1
.LBB78_2458:
                                        ; implicit-def: $vgpr6_vgpr7
.LBB78_2459:
	s_and_b32 vcc_lo, exec_lo, s25
	s_mov_b32 s25, 0
	s_cbranch_vccz .LBB78_2461
; %bb.2460:
	s_cmp_lg_u32 s13, 11
	s_mov_b32 s25, -1
	s_cselect_b32 s24, -1, 0
.LBB78_2461:
	s_delay_alu instid0(SALU_CYCLE_1)
	s_and_b32 vcc_lo, exec_lo, s24
	s_cbranch_vccnz .LBB78_2526
; %bb.2462:
	s_and_not1_b32 vcc_lo, exec_lo, s25
	s_cbranch_vccnz .LBB78_2464
.LBB78_2463:
	s_wait_loadcnt 0x0
	global_load_u8 v6, v[14:15], off
	s_mov_b32 s13, 0
	s_mov_b32 s26, -1
	v_mov_b32_e32 v7, s13
	s_wait_loadcnt 0x0
	v_cmp_ne_u16_e32 vcc_lo, 0, v6
	v_cndmask_b32_e64 v6, 0, 1, vcc_lo
.LBB78_2464:
	s_mov_b32 s13, 0
.LBB78_2465:
	s_delay_alu instid0(SALU_CYCLE_1)
	s_and_b32 vcc_lo, exec_lo, s13
	s_cbranch_vccz .LBB78_2514
; %bb.2466:
	s_and_b32 s13, 0xffff, s21
	s_delay_alu instid0(SALU_CYCLE_1)
	s_cmp_lt_i32 s13, 5
	s_cbranch_scc1 .LBB78_2471
; %bb.2467:
	s_cmp_lt_i32 s13, 8
	s_cbranch_scc1 .LBB78_2472
; %bb.2468:
	;; [unrolled: 3-line block ×3, first 2 shown]
	s_cmp_gt_i32 s13, 9
	s_cbranch_scc0 .LBB78_2474
; %bb.2470:
	s_wait_loadcnt 0x0
	global_load_b64 v[6:7], v[14:15], off
	s_mov_b32 s24, 0
	s_wait_loadcnt 0x0
	v_trunc_f64_e32 v[6:7], v[6:7]
	s_delay_alu instid0(VALU_DEP_1) | instskip(NEXT) | instid1(VALU_DEP_1)
	v_ldexp_f64 v[16:17], v[6:7], 0xffffffe0
	v_floor_f64_e32 v[16:17], v[16:17]
	s_delay_alu instid0(VALU_DEP_1) | instskip(SKIP_1) | instid1(VALU_DEP_2)
	v_fmamk_f64 v[18:19], v[16:17], 0xc1f00000, v[6:7]
	v_cvt_i32_f64_e32 v7, v[16:17]
	v_cvt_u32_f64_e32 v6, v[18:19]
	s_branch .LBB78_2475
.LBB78_2471:
	s_mov_b32 s24, -1
                                        ; implicit-def: $vgpr6_vgpr7
	s_branch .LBB78_2493
.LBB78_2472:
	s_mov_b32 s24, -1
                                        ; implicit-def: $vgpr6_vgpr7
	s_branch .LBB78_2481
.LBB78_2473:
	s_mov_b32 s24, -1
                                        ; implicit-def: $vgpr6_vgpr7
	s_branch .LBB78_2478
.LBB78_2474:
	s_mov_b32 s24, -1
                                        ; implicit-def: $vgpr6_vgpr7
.LBB78_2475:
	s_delay_alu instid0(SALU_CYCLE_1)
	s_and_not1_b32 vcc_lo, exec_lo, s24
	s_cbranch_vccnz .LBB78_2477
; %bb.2476:
	s_wait_loadcnt 0x0
	global_load_b32 v6, v[14:15], off
	s_wait_loadcnt 0x0
	v_trunc_f32_e32 v6, v6
	s_delay_alu instid0(VALU_DEP_1) | instskip(NEXT) | instid1(VALU_DEP_1)
	v_mul_f32_e64 v7, 0x2f800000, |v6|
	v_floor_f32_e32 v7, v7
	s_delay_alu instid0(VALU_DEP_1) | instskip(SKIP_2) | instid1(VALU_DEP_3)
	v_fma_f32 v9, 0xcf800000, v7, |v6|
	v_ashrrev_i32_e32 v6, 31, v6
	v_cvt_u32_f32_e32 v11, v7
	v_cvt_u32_f32_e32 v9, v9
	s_delay_alu instid0(VALU_DEP_2) | instskip(NEXT) | instid1(VALU_DEP_2)
	v_dual_mov_b32 v7, v6 :: v_dual_bitop2_b32 v17, v11, v6 bitop3:0x14
	v_xor_b32_e32 v16, v9, v6
	s_delay_alu instid0(VALU_DEP_1)
	v_sub_nc_u64_e32 v[6:7], v[16:17], v[6:7]
.LBB78_2477:
	s_mov_b32 s24, 0
.LBB78_2478:
	s_delay_alu instid0(SALU_CYCLE_1)
	s_and_not1_b32 vcc_lo, exec_lo, s24
	s_cbranch_vccnz .LBB78_2480
; %bb.2479:
	s_wait_loadcnt 0x0
	global_load_b32 v6, v[14:15], off
	s_wait_loadcnt 0x0
	v_cvt_f32_f16_e32 v6, v6
	s_delay_alu instid0(VALU_DEP_1) | instskip(NEXT) | instid1(VALU_DEP_1)
	v_cvt_i32_f32_e32 v6, v6
	v_ashrrev_i32_e32 v7, 31, v6
.LBB78_2480:
	s_mov_b32 s24, 0
.LBB78_2481:
	s_delay_alu instid0(SALU_CYCLE_1)
	s_and_not1_b32 vcc_lo, exec_lo, s24
	s_cbranch_vccnz .LBB78_2492
; %bb.2482:
	s_cmp_lt_i32 s13, 6
	s_cbranch_scc1 .LBB78_2485
; %bb.2483:
	s_cmp_gt_i32 s13, 6
	s_cbranch_scc0 .LBB78_2486
; %bb.2484:
	s_wait_loadcnt 0x0
	global_load_b64 v[6:7], v[14:15], off
	s_mov_b32 s24, 0
	s_wait_loadcnt 0x0
	v_trunc_f64_e32 v[6:7], v[6:7]
	s_delay_alu instid0(VALU_DEP_1) | instskip(NEXT) | instid1(VALU_DEP_1)
	v_ldexp_f64 v[16:17], v[6:7], 0xffffffe0
	v_floor_f64_e32 v[16:17], v[16:17]
	s_delay_alu instid0(VALU_DEP_1) | instskip(SKIP_1) | instid1(VALU_DEP_2)
	v_fmamk_f64 v[18:19], v[16:17], 0xc1f00000, v[6:7]
	v_cvt_i32_f64_e32 v7, v[16:17]
	v_cvt_u32_f64_e32 v6, v[18:19]
	s_branch .LBB78_2487
.LBB78_2485:
	s_mov_b32 s24, -1
                                        ; implicit-def: $vgpr6_vgpr7
	s_branch .LBB78_2490
.LBB78_2486:
	s_mov_b32 s24, -1
                                        ; implicit-def: $vgpr6_vgpr7
.LBB78_2487:
	s_delay_alu instid0(SALU_CYCLE_1)
	s_and_not1_b32 vcc_lo, exec_lo, s24
	s_cbranch_vccnz .LBB78_2489
; %bb.2488:
	s_wait_loadcnt 0x0
	global_load_b32 v6, v[14:15], off
	s_wait_loadcnt 0x0
	v_trunc_f32_e32 v6, v6
	s_delay_alu instid0(VALU_DEP_1) | instskip(NEXT) | instid1(VALU_DEP_1)
	v_mul_f32_e64 v7, 0x2f800000, |v6|
	v_floor_f32_e32 v7, v7
	s_delay_alu instid0(VALU_DEP_1) | instskip(SKIP_2) | instid1(VALU_DEP_3)
	v_fma_f32 v9, 0xcf800000, v7, |v6|
	v_ashrrev_i32_e32 v6, 31, v6
	v_cvt_u32_f32_e32 v11, v7
	v_cvt_u32_f32_e32 v9, v9
	s_delay_alu instid0(VALU_DEP_2) | instskip(NEXT) | instid1(VALU_DEP_2)
	v_dual_mov_b32 v7, v6 :: v_dual_bitop2_b32 v17, v11, v6 bitop3:0x14
	v_xor_b32_e32 v16, v9, v6
	s_delay_alu instid0(VALU_DEP_1)
	v_sub_nc_u64_e32 v[6:7], v[16:17], v[6:7]
.LBB78_2489:
	s_mov_b32 s24, 0
.LBB78_2490:
	s_delay_alu instid0(SALU_CYCLE_1)
	s_and_not1_b32 vcc_lo, exec_lo, s24
	s_cbranch_vccnz .LBB78_2492
; %bb.2491:
	s_wait_loadcnt 0x0
	global_load_u16 v6, v[14:15], off
	s_wait_loadcnt 0x0
	v_cvt_f32_f16_e32 v6, v6
	s_delay_alu instid0(VALU_DEP_1) | instskip(NEXT) | instid1(VALU_DEP_1)
	v_cvt_i32_f32_e32 v6, v6
	v_ashrrev_i32_e32 v7, 31, v6
.LBB78_2492:
	s_mov_b32 s24, 0
.LBB78_2493:
	s_delay_alu instid0(SALU_CYCLE_1)
	s_and_not1_b32 vcc_lo, exec_lo, s24
	s_cbranch_vccnz .LBB78_2513
; %bb.2494:
	s_cmp_lt_i32 s13, 2
	s_cbranch_scc1 .LBB78_2498
; %bb.2495:
	s_cmp_lt_i32 s13, 3
	s_cbranch_scc1 .LBB78_2499
; %bb.2496:
	s_cmp_gt_i32 s13, 3
	s_cbranch_scc0 .LBB78_2500
; %bb.2497:
	s_wait_loadcnt 0x0
	global_load_b64 v[6:7], v[14:15], off
	s_mov_b32 s24, 0
	s_branch .LBB78_2501
.LBB78_2498:
	s_mov_b32 s24, -1
                                        ; implicit-def: $vgpr6_vgpr7
	s_branch .LBB78_2507
.LBB78_2499:
	s_mov_b32 s24, -1
                                        ; implicit-def: $vgpr6_vgpr7
	s_branch .LBB78_2504
.LBB78_2500:
	s_mov_b32 s24, -1
                                        ; implicit-def: $vgpr6_vgpr7
.LBB78_2501:
	s_delay_alu instid0(SALU_CYCLE_1)
	s_and_not1_b32 vcc_lo, exec_lo, s24
	s_cbranch_vccnz .LBB78_2503
; %bb.2502:
	s_wait_loadcnt 0x0
	global_load_b32 v6, v[14:15], off
	s_wait_loadcnt 0x0
	v_ashrrev_i32_e32 v7, 31, v6
.LBB78_2503:
	s_mov_b32 s24, 0
.LBB78_2504:
	s_delay_alu instid0(SALU_CYCLE_1)
	s_and_not1_b32 vcc_lo, exec_lo, s24
	s_cbranch_vccnz .LBB78_2506
; %bb.2505:
	s_wait_loadcnt 0x0
	global_load_u16 v6, v[14:15], off
	s_wait_loadcnt 0x0
	v_bfe_i32 v6, v6, 0, 16
	s_delay_alu instid0(VALU_DEP_1)
	v_ashrrev_i32_e32 v7, 31, v6
.LBB78_2506:
	s_mov_b32 s24, 0
.LBB78_2507:
	s_delay_alu instid0(SALU_CYCLE_1)
	s_and_not1_b32 vcc_lo, exec_lo, s24
	s_cbranch_vccnz .LBB78_2513
; %bb.2508:
	s_cmp_gt_i32 s13, 0
	s_mov_b32 s13, 0
	s_cbranch_scc0 .LBB78_2510
; %bb.2509:
	s_wait_loadcnt 0x0
	global_load_i8 v6, v[14:15], off
	s_wait_loadcnt 0x0
	v_bfe_i32 v6, v6, 0, 16
	s_delay_alu instid0(VALU_DEP_1)
	v_ashrrev_i32_e32 v7, 31, v6
	s_branch .LBB78_2511
.LBB78_2510:
	s_mov_b32 s13, -1
                                        ; implicit-def: $vgpr6_vgpr7
.LBB78_2511:
	s_delay_alu instid0(SALU_CYCLE_1)
	s_and_not1_b32 vcc_lo, exec_lo, s13
	s_cbranch_vccnz .LBB78_2513
; %bb.2512:
	s_wait_loadcnt 0x0
	global_load_u8 v6, v[14:15], off
	s_mov_b32 s13, 0
	s_delay_alu instid0(SALU_CYCLE_1)
	v_mov_b32_e32 v7, s13
	s_wait_loadcnt 0x0
	v_and_b32_e32 v6, 0xffff, v6
.LBB78_2513:
	s_mov_b32 s26, -1
.LBB78_2514:
	s_delay_alu instid0(SALU_CYCLE_1)
	s_and_not1_b32 vcc_lo, exec_lo, s26
	s_cbranch_vccnz .LBB78_3968
; %bb.2515:
	s_lshl_b32 s13, s14, 7
	s_cmp_lt_i32 s3, 11
	s_wait_xcnt 0x0
	v_add_nc_u32_e32 v14, s13, v8
	s_delay_alu instid0(VALU_DEP_1) | instskip(NEXT) | instid1(VALU_DEP_1)
	v_ashrrev_i32_e32 v15, 31, v14
	v_add_nc_u64_e32 v[16:17], s[8:9], v[14:15]
	s_cbranch_scc1 .LBB78_2522
; %bb.2516:
	s_and_b32 s14, 0xffff, s3
	s_mov_b32 s25, 0
	s_cmp_gt_i32 s14, 25
	s_cbranch_scc0 .LBB78_2523
; %bb.2517:
	s_cmp_gt_i32 s14, 28
	s_cbranch_scc0 .LBB78_2524
; %bb.2518:
	;; [unrolled: 3-line block ×4, first 2 shown]
	s_cmp_eq_u32 s14, 46
	s_mov_b32 s27, 0
	s_cbranch_scc0 .LBB78_2528
; %bb.2521:
	global_load_b32 v8, v[16:17], off
	s_mov_b32 s24, 0
	s_mov_b32 s26, -1
	s_wait_loadcnt 0x0
	v_lshlrev_b32_e32 v8, 16, v8
	s_delay_alu instid0(VALU_DEP_1) | instskip(NEXT) | instid1(VALU_DEP_1)
	v_trunc_f32_e32 v8, v8
	v_mul_f32_e64 v9, 0x2f800000, |v8|
	s_delay_alu instid0(VALU_DEP_1) | instskip(NEXT) | instid1(VALU_DEP_1)
	v_floor_f32_e32 v9, v9
	v_fma_f32 v11, 0xcf800000, v9, |v8|
	v_ashrrev_i32_e32 v8, 31, v8
	v_cvt_u32_f32_e32 v13, v9
	s_delay_alu instid0(VALU_DEP_3) | instskip(NEXT) | instid1(VALU_DEP_2)
	v_cvt_u32_f32_e32 v11, v11
	v_dual_mov_b32 v9, v8 :: v_dual_bitop2_b32 v19, v13, v8 bitop3:0x14
	s_delay_alu instid0(VALU_DEP_2) | instskip(NEXT) | instid1(VALU_DEP_1)
	v_xor_b32_e32 v18, v11, v8
	v_sub_nc_u64_e32 v[8:9], v[18:19], v[8:9]
	s_branch .LBB78_2530
.LBB78_2522:
	s_mov_b32 s14, -1
	s_mov_b32 s26, 0
                                        ; implicit-def: $vgpr8_vgpr9
	s_branch .LBB78_2592
.LBB78_2523:
	s_mov_b32 s27, -1
	s_mov_b32 s26, 0
	s_mov_b32 s24, 0
                                        ; implicit-def: $vgpr8_vgpr9
	s_branch .LBB78_2557
.LBB78_2524:
	s_mov_b32 s27, -1
	s_mov_b32 s26, 0
	s_mov_b32 s24, 0
                                        ; implicit-def: $vgpr8_vgpr9
	s_branch .LBB78_2540
.LBB78_2525:
	s_mov_b32 s27, -1
	s_mov_b32 s26, 0
	s_mov_b32 s24, 0
                                        ; implicit-def: $vgpr8_vgpr9
	s_branch .LBB78_2535
.LBB78_2526:
	s_or_b32 s20, s20, exec_lo
	s_trap 2
	s_cbranch_execz .LBB78_2463
	s_branch .LBB78_2464
.LBB78_2527:
	s_mov_b32 s27, -1
	s_mov_b32 s26, 0
	s_mov_b32 s24, 0
	s_branch .LBB78_2529
.LBB78_2528:
	s_mov_b32 s24, -1
	s_mov_b32 s26, 0
.LBB78_2529:
                                        ; implicit-def: $vgpr8_vgpr9
.LBB78_2530:
	s_and_b32 vcc_lo, exec_lo, s27
	s_cbranch_vccz .LBB78_2534
; %bb.2531:
	s_cmp_eq_u32 s14, 44
	s_cbranch_scc0 .LBB78_2533
; %bb.2532:
	global_load_u8 v11, v[16:17], off
	s_mov_b32 s24, 0
	s_mov_b32 s26, -1
	s_wait_loadcnt 0x0
	v_cmp_ne_u32_e32 vcc_lo, 0, v11
	v_lshlrev_b32_e32 v8, 23, v11
	s_delay_alu instid0(VALU_DEP_1) | instskip(NEXT) | instid1(VALU_DEP_1)
	v_trunc_f32_e32 v8, v8
	v_mul_f32_e64 v9, 0x2f800000, |v8|
	s_delay_alu instid0(VALU_DEP_1) | instskip(NEXT) | instid1(VALU_DEP_1)
	v_floor_f32_e32 v9, v9
	v_fma_f32 v13, 0xcf800000, v9, |v8|
	v_ashrrev_i32_e32 v8, 31, v8
	v_cvt_u32_f32_e32 v15, v9
	s_delay_alu instid0(VALU_DEP_3) | instskip(NEXT) | instid1(VALU_DEP_2)
	v_cvt_u32_f32_e32 v13, v13
	v_dual_mov_b32 v9, v8 :: v_dual_bitop2_b32 v19, v15, v8 bitop3:0x14
	s_delay_alu instid0(VALU_DEP_2) | instskip(NEXT) | instid1(VALU_DEP_1)
	v_xor_b32_e32 v18, v13, v8
	v_sub_nc_u64_e32 v[8:9], v[18:19], v[8:9]
	s_delay_alu instid0(VALU_DEP_1)
	v_dual_cndmask_b32 v9, 0, v9 :: v_dual_cndmask_b32 v8, 0, v8
	s_branch .LBB78_2534
.LBB78_2533:
	s_mov_b32 s24, -1
                                        ; implicit-def: $vgpr8_vgpr9
.LBB78_2534:
	s_mov_b32 s27, 0
.LBB78_2535:
	s_delay_alu instid0(SALU_CYCLE_1)
	s_and_b32 vcc_lo, exec_lo, s27
	s_cbranch_vccz .LBB78_2539
; %bb.2536:
	s_cmp_eq_u32 s14, 29
	s_cbranch_scc0 .LBB78_2538
; %bb.2537:
	global_load_b64 v[8:9], v[16:17], off
	s_mov_b32 s24, 0
	s_mov_b32 s26, -1
	s_branch .LBB78_2539
.LBB78_2538:
	s_mov_b32 s24, -1
                                        ; implicit-def: $vgpr8_vgpr9
.LBB78_2539:
	s_mov_b32 s27, 0
.LBB78_2540:
	s_delay_alu instid0(SALU_CYCLE_1)
	s_and_b32 vcc_lo, exec_lo, s27
	s_cbranch_vccz .LBB78_2556
; %bb.2541:
	s_cmp_lt_i32 s14, 27
	s_cbranch_scc1 .LBB78_2544
; %bb.2542:
	s_cmp_gt_i32 s14, 27
	s_cbranch_scc0 .LBB78_2545
; %bb.2543:
	s_wait_loadcnt 0x0
	global_load_b32 v8, v[16:17], off
	v_mov_b32_e32 v9, 0
	s_mov_b32 s26, 0
	s_branch .LBB78_2546
.LBB78_2544:
	s_mov_b32 s26, -1
                                        ; implicit-def: $vgpr8_vgpr9
	s_branch .LBB78_2549
.LBB78_2545:
	s_mov_b32 s26, -1
                                        ; implicit-def: $vgpr8_vgpr9
.LBB78_2546:
	s_delay_alu instid0(SALU_CYCLE_1)
	s_and_not1_b32 vcc_lo, exec_lo, s26
	s_cbranch_vccnz .LBB78_2548
; %bb.2547:
	s_wait_loadcnt 0x0
	global_load_u16 v8, v[16:17], off
	s_mov_b32 s26, 0
	s_delay_alu instid0(SALU_CYCLE_1)
	v_mov_b32_e32 v9, s26
	s_wait_loadcnt 0x0
	v_and_b32_e32 v8, 0xffff, v8
.LBB78_2548:
	s_mov_b32 s26, 0
.LBB78_2549:
	s_delay_alu instid0(SALU_CYCLE_1)
	s_and_not1_b32 vcc_lo, exec_lo, s26
	s_cbranch_vccnz .LBB78_2555
; %bb.2550:
	global_load_u8 v11, v[16:17], off
	s_mov_b32 s27, 0
	s_mov_b32 s26, exec_lo
	s_wait_loadcnt 0x0
	v_cmpx_lt_i16_e32 0x7f, v11
	s_xor_b32 s26, exec_lo, s26
	s_cbranch_execz .LBB78_2567
; %bb.2551:
	v_cmp_ne_u16_e32 vcc_lo, 0x80, v11
	s_and_b32 s27, vcc_lo, exec_lo
	s_and_not1_saveexec_b32 s26, s26
	s_cbranch_execnz .LBB78_2568
.LBB78_2552:
	s_or_b32 exec_lo, exec_lo, s26
	v_mov_b64_e32 v[8:9], 0
	s_and_saveexec_b32 s26, s27
	s_cbranch_execz .LBB78_2554
.LBB78_2553:
	v_and_b32_e32 v8, 0xffff, v11
	s_delay_alu instid0(VALU_DEP_1) | instskip(SKIP_1) | instid1(VALU_DEP_2)
	v_and_b32_e32 v9, 7, v8
	v_bfe_u32 v18, v8, 3, 4
	v_clz_i32_u32_e32 v13, v9
	s_delay_alu instid0(VALU_DEP_2) | instskip(NEXT) | instid1(VALU_DEP_2)
	v_cmp_eq_u32_e32 vcc_lo, 0, v18
	v_min_u32_e32 v13, 32, v13
	s_delay_alu instid0(VALU_DEP_1) | instskip(NEXT) | instid1(VALU_DEP_1)
	v_subrev_nc_u32_e32 v15, 28, v13
	v_dual_lshlrev_b32 v8, v15, v8 :: v_dual_sub_nc_u32 v13, 29, v13
	s_delay_alu instid0(VALU_DEP_1) | instskip(NEXT) | instid1(VALU_DEP_1)
	v_dual_lshlrev_b32 v11, 24, v11 :: v_dual_bitop2_b32 v8, 7, v8 bitop3:0x40
	v_dual_cndmask_b32 v13, v18, v13 :: v_dual_cndmask_b32 v8, v9, v8
	s_delay_alu instid0(VALU_DEP_2) | instskip(NEXT) | instid1(VALU_DEP_2)
	v_and_b32_e32 v9, 0x80000000, v11
	v_lshl_add_u32 v11, v13, 23, 0x3b800000
	s_delay_alu instid0(VALU_DEP_3) | instskip(NEXT) | instid1(VALU_DEP_1)
	v_lshlrev_b32_e32 v8, 20, v8
	v_or3_b32 v8, v9, v11, v8
	s_delay_alu instid0(VALU_DEP_1) | instskip(NEXT) | instid1(VALU_DEP_1)
	v_trunc_f32_e32 v8, v8
	v_mul_f32_e64 v9, 0x2f800000, |v8|
	s_delay_alu instid0(VALU_DEP_1) | instskip(NEXT) | instid1(VALU_DEP_1)
	v_floor_f32_e32 v9, v9
	v_fma_f32 v11, 0xcf800000, v9, |v8|
	v_ashrrev_i32_e32 v8, 31, v8
	v_cvt_u32_f32_e32 v13, v9
	s_delay_alu instid0(VALU_DEP_3) | instskip(NEXT) | instid1(VALU_DEP_2)
	v_cvt_u32_f32_e32 v11, v11
	v_dual_mov_b32 v9, v8 :: v_dual_bitop2_b32 v19, v13, v8 bitop3:0x14
	s_delay_alu instid0(VALU_DEP_2) | instskip(NEXT) | instid1(VALU_DEP_1)
	v_xor_b32_e32 v18, v11, v8
	v_sub_nc_u64_e32 v[8:9], v[18:19], v[8:9]
.LBB78_2554:
	s_or_b32 exec_lo, exec_lo, s26
.LBB78_2555:
	s_mov_b32 s26, -1
.LBB78_2556:
	s_mov_b32 s27, 0
.LBB78_2557:
	s_delay_alu instid0(SALU_CYCLE_1)
	s_and_b32 vcc_lo, exec_lo, s27
	s_cbranch_vccz .LBB78_2588
; %bb.2558:
	s_cmp_gt_i32 s14, 22
	s_cbranch_scc0 .LBB78_2566
; %bb.2559:
	s_cmp_lt_i32 s14, 24
	s_cbranch_scc1 .LBB78_2569
; %bb.2560:
	s_cmp_gt_i32 s14, 24
	s_cbranch_scc0 .LBB78_2570
; %bb.2561:
	global_load_u8 v11, v[16:17], off
	s_mov_b32 s26, 0
	s_mov_b32 s25, exec_lo
	s_wait_loadcnt 0x0
	v_cmpx_lt_i16_e32 0x7f, v11
	s_xor_b32 s25, exec_lo, s25
	s_cbranch_execz .LBB78_2582
; %bb.2562:
	v_cmp_ne_u16_e32 vcc_lo, 0x80, v11
	s_and_b32 s26, vcc_lo, exec_lo
	s_and_not1_saveexec_b32 s25, s25
	s_cbranch_execnz .LBB78_2583
.LBB78_2563:
	s_or_b32 exec_lo, exec_lo, s25
	v_mov_b64_e32 v[8:9], 0
	s_and_saveexec_b32 s25, s26
	s_cbranch_execz .LBB78_2565
.LBB78_2564:
	v_and_b32_e32 v8, 0xffff, v11
	s_delay_alu instid0(VALU_DEP_1) | instskip(SKIP_1) | instid1(VALU_DEP_2)
	v_and_b32_e32 v9, 3, v8
	v_bfe_u32 v18, v8, 2, 5
	v_clz_i32_u32_e32 v13, v9
	s_delay_alu instid0(VALU_DEP_2) | instskip(NEXT) | instid1(VALU_DEP_2)
	v_cmp_eq_u32_e32 vcc_lo, 0, v18
	v_min_u32_e32 v13, 32, v13
	s_delay_alu instid0(VALU_DEP_1) | instskip(NEXT) | instid1(VALU_DEP_1)
	v_subrev_nc_u32_e32 v15, 29, v13
	v_dual_lshlrev_b32 v8, v15, v8 :: v_dual_sub_nc_u32 v13, 30, v13
	s_delay_alu instid0(VALU_DEP_1) | instskip(NEXT) | instid1(VALU_DEP_1)
	v_dual_lshlrev_b32 v11, 24, v11 :: v_dual_bitop2_b32 v8, 3, v8 bitop3:0x40
	v_dual_cndmask_b32 v13, v18, v13 :: v_dual_cndmask_b32 v8, v9, v8
	s_delay_alu instid0(VALU_DEP_2) | instskip(NEXT) | instid1(VALU_DEP_2)
	v_and_b32_e32 v9, 0x80000000, v11
	v_lshl_add_u32 v11, v13, 23, 0x37800000
	s_delay_alu instid0(VALU_DEP_3) | instskip(NEXT) | instid1(VALU_DEP_1)
	v_lshlrev_b32_e32 v8, 21, v8
	v_or3_b32 v8, v9, v11, v8
	s_delay_alu instid0(VALU_DEP_1) | instskip(NEXT) | instid1(VALU_DEP_1)
	v_trunc_f32_e32 v8, v8
	v_mul_f32_e64 v9, 0x2f800000, |v8|
	s_delay_alu instid0(VALU_DEP_1) | instskip(NEXT) | instid1(VALU_DEP_1)
	v_floor_f32_e32 v9, v9
	v_fma_f32 v11, 0xcf800000, v9, |v8|
	v_ashrrev_i32_e32 v8, 31, v8
	v_cvt_u32_f32_e32 v13, v9
	s_delay_alu instid0(VALU_DEP_3) | instskip(NEXT) | instid1(VALU_DEP_2)
	v_cvt_u32_f32_e32 v11, v11
	v_dual_mov_b32 v9, v8 :: v_dual_bitop2_b32 v19, v13, v8 bitop3:0x14
	s_delay_alu instid0(VALU_DEP_2) | instskip(NEXT) | instid1(VALU_DEP_1)
	v_xor_b32_e32 v18, v11, v8
	v_sub_nc_u64_e32 v[8:9], v[18:19], v[8:9]
.LBB78_2565:
	s_or_b32 exec_lo, exec_lo, s25
	s_mov_b32 s25, 0
	s_branch .LBB78_2571
.LBB78_2566:
	s_mov_b32 s25, -1
                                        ; implicit-def: $vgpr8_vgpr9
	s_branch .LBB78_2577
.LBB78_2567:
	s_and_not1_saveexec_b32 s26, s26
	s_cbranch_execz .LBB78_2552
.LBB78_2568:
	v_cmp_ne_u16_e32 vcc_lo, 0, v11
	s_and_not1_b32 s27, s27, exec_lo
	s_and_b32 s28, vcc_lo, exec_lo
	s_delay_alu instid0(SALU_CYCLE_1)
	s_or_b32 s27, s27, s28
	s_or_b32 exec_lo, exec_lo, s26
	v_mov_b64_e32 v[8:9], 0
	s_and_saveexec_b32 s26, s27
	s_cbranch_execnz .LBB78_2553
	s_branch .LBB78_2554
.LBB78_2569:
	s_mov_b32 s25, -1
                                        ; implicit-def: $vgpr8_vgpr9
	s_branch .LBB78_2574
.LBB78_2570:
	s_mov_b32 s25, -1
                                        ; implicit-def: $vgpr8_vgpr9
.LBB78_2571:
	s_delay_alu instid0(SALU_CYCLE_1)
	s_and_b32 vcc_lo, exec_lo, s25
	s_cbranch_vccz .LBB78_2573
; %bb.2572:
	s_wait_loadcnt 0x0
	global_load_u8 v8, v[16:17], off
	s_wait_loadcnt 0x0
	v_lshlrev_b32_e32 v8, 24, v8
	s_delay_alu instid0(VALU_DEP_1) | instskip(NEXT) | instid1(VALU_DEP_1)
	v_and_b32_e32 v9, 0x7f000000, v8
	v_clz_i32_u32_e32 v11, v9
	v_add_nc_u32_e32 v15, 0x1000000, v9
	v_cmp_ne_u32_e32 vcc_lo, 0, v9
	s_delay_alu instid0(VALU_DEP_3) | instskip(NEXT) | instid1(VALU_DEP_1)
	v_min_u32_e32 v11, 32, v11
	v_sub_nc_u32_e64 v11, v11, 4 clamp
	s_delay_alu instid0(VALU_DEP_1) | instskip(NEXT) | instid1(VALU_DEP_1)
	v_dual_lshlrev_b32 v13, v11, v9 :: v_dual_lshlrev_b32 v11, 23, v11
	v_lshrrev_b32_e32 v13, 4, v13
	s_delay_alu instid0(VALU_DEP_1) | instskip(SKIP_1) | instid1(VALU_DEP_2)
	v_sub_nc_u32_e32 v11, v13, v11
	v_ashrrev_i32_e32 v13, 8, v15
	v_add_nc_u32_e32 v11, 0x3c000000, v11
	s_delay_alu instid0(VALU_DEP_1) | instskip(NEXT) | instid1(VALU_DEP_1)
	v_and_or_b32 v11, 0x7f800000, v13, v11
	v_cndmask_b32_e32 v9, 0, v11, vcc_lo
	s_delay_alu instid0(VALU_DEP_1) | instskip(NEXT) | instid1(VALU_DEP_1)
	v_and_or_b32 v8, 0x80000000, v8, v9
	v_trunc_f32_e32 v8, v8
	s_delay_alu instid0(VALU_DEP_1) | instskip(NEXT) | instid1(VALU_DEP_1)
	v_mul_f32_e64 v9, 0x2f800000, |v8|
	v_floor_f32_e32 v9, v9
	s_delay_alu instid0(VALU_DEP_1) | instskip(SKIP_2) | instid1(VALU_DEP_3)
	v_fma_f32 v11, 0xcf800000, v9, |v8|
	v_ashrrev_i32_e32 v8, 31, v8
	v_cvt_u32_f32_e32 v13, v9
	v_cvt_u32_f32_e32 v11, v11
	s_delay_alu instid0(VALU_DEP_2) | instskip(NEXT) | instid1(VALU_DEP_2)
	v_dual_mov_b32 v9, v8 :: v_dual_bitop2_b32 v19, v13, v8 bitop3:0x14
	v_xor_b32_e32 v18, v11, v8
	s_delay_alu instid0(VALU_DEP_1)
	v_sub_nc_u64_e32 v[8:9], v[18:19], v[8:9]
.LBB78_2573:
	s_mov_b32 s25, 0
.LBB78_2574:
	s_delay_alu instid0(SALU_CYCLE_1)
	s_and_not1_b32 vcc_lo, exec_lo, s25
	s_cbranch_vccnz .LBB78_2576
; %bb.2575:
	s_wait_loadcnt 0x0
	global_load_u8 v8, v[16:17], off
	s_wait_loadcnt 0x0
	v_lshlrev_b32_e32 v9, 25, v8
	v_lshlrev_b16 v8, 8, v8
	s_delay_alu instid0(VALU_DEP_1) | instskip(SKIP_1) | instid1(VALU_DEP_2)
	v_and_or_b32 v13, 0x7f00, v8, 0.5
	v_bfe_i32 v8, v8, 0, 16
	v_add_f32_e32 v13, -0.5, v13
	v_lshrrev_b32_e32 v11, 4, v9
	v_cmp_gt_u32_e32 vcc_lo, 0x8000000, v9
	s_delay_alu instid0(VALU_DEP_2) | instskip(NEXT) | instid1(VALU_DEP_1)
	v_or_b32_e32 v11, 0x70000000, v11
	v_mul_f32_e32 v11, 0x7800000, v11
	s_delay_alu instid0(VALU_DEP_1) | instskip(NEXT) | instid1(VALU_DEP_1)
	v_cndmask_b32_e32 v9, v11, v13, vcc_lo
	v_and_or_b32 v8, 0x80000000, v8, v9
	s_delay_alu instid0(VALU_DEP_1) | instskip(NEXT) | instid1(VALU_DEP_1)
	v_trunc_f32_e32 v8, v8
	v_mul_f32_e64 v9, 0x2f800000, |v8|
	s_delay_alu instid0(VALU_DEP_1) | instskip(NEXT) | instid1(VALU_DEP_1)
	v_floor_f32_e32 v9, v9
	v_fma_f32 v11, 0xcf800000, v9, |v8|
	v_ashrrev_i32_e32 v8, 31, v8
	v_cvt_u32_f32_e32 v13, v9
	s_delay_alu instid0(VALU_DEP_3) | instskip(NEXT) | instid1(VALU_DEP_2)
	v_cvt_u32_f32_e32 v11, v11
	v_dual_mov_b32 v9, v8 :: v_dual_bitop2_b32 v19, v13, v8 bitop3:0x14
	s_delay_alu instid0(VALU_DEP_2) | instskip(NEXT) | instid1(VALU_DEP_1)
	v_xor_b32_e32 v18, v11, v8
	v_sub_nc_u64_e32 v[8:9], v[18:19], v[8:9]
.LBB78_2576:
	s_mov_b32 s25, 0
	s_mov_b32 s26, -1
.LBB78_2577:
	s_and_not1_b32 vcc_lo, exec_lo, s25
	s_mov_b32 s25, 0
	s_cbranch_vccnz .LBB78_2588
; %bb.2578:
	s_cmp_gt_i32 s14, 14
	s_cbranch_scc0 .LBB78_2581
; %bb.2579:
	s_cmp_eq_u32 s14, 15
	s_cbranch_scc0 .LBB78_2584
; %bb.2580:
	s_wait_loadcnt 0x0
	global_load_u16 v8, v[16:17], off
	s_mov_b32 s24, 0
	s_mov_b32 s26, -1
	s_wait_loadcnt 0x0
	v_lshlrev_b32_e32 v8, 16, v8
	s_delay_alu instid0(VALU_DEP_1) | instskip(NEXT) | instid1(VALU_DEP_1)
	v_trunc_f32_e32 v8, v8
	v_mul_f32_e64 v9, 0x2f800000, |v8|
	s_delay_alu instid0(VALU_DEP_1) | instskip(NEXT) | instid1(VALU_DEP_1)
	v_floor_f32_e32 v9, v9
	v_fma_f32 v11, 0xcf800000, v9, |v8|
	v_ashrrev_i32_e32 v8, 31, v8
	v_cvt_u32_f32_e32 v13, v9
	s_delay_alu instid0(VALU_DEP_3) | instskip(NEXT) | instid1(VALU_DEP_2)
	v_cvt_u32_f32_e32 v11, v11
	v_dual_mov_b32 v9, v8 :: v_dual_bitop2_b32 v19, v13, v8 bitop3:0x14
	s_delay_alu instid0(VALU_DEP_2) | instskip(NEXT) | instid1(VALU_DEP_1)
	v_xor_b32_e32 v18, v11, v8
	v_sub_nc_u64_e32 v[8:9], v[18:19], v[8:9]
	s_branch .LBB78_2586
.LBB78_2581:
	s_mov_b32 s25, -1
	s_branch .LBB78_2585
.LBB78_2582:
	s_and_not1_saveexec_b32 s25, s25
	s_cbranch_execz .LBB78_2563
.LBB78_2583:
	v_cmp_ne_u16_e32 vcc_lo, 0, v11
	s_and_not1_b32 s26, s26, exec_lo
	s_and_b32 s27, vcc_lo, exec_lo
	s_delay_alu instid0(SALU_CYCLE_1)
	s_or_b32 s26, s26, s27
	s_or_b32 exec_lo, exec_lo, s25
	v_mov_b64_e32 v[8:9], 0
	s_and_saveexec_b32 s25, s26
	s_cbranch_execnz .LBB78_2564
	s_branch .LBB78_2565
.LBB78_2584:
	s_mov_b32 s24, -1
.LBB78_2585:
                                        ; implicit-def: $vgpr8_vgpr9
.LBB78_2586:
	s_and_b32 vcc_lo, exec_lo, s25
	s_mov_b32 s25, 0
	s_cbranch_vccz .LBB78_2588
; %bb.2587:
	s_cmp_lg_u32 s14, 11
	s_mov_b32 s25, -1
	s_cselect_b32 s24, -1, 0
.LBB78_2588:
	s_delay_alu instid0(SALU_CYCLE_1)
	s_and_b32 vcc_lo, exec_lo, s24
	s_cbranch_vccnz .LBB78_2653
; %bb.2589:
	s_and_not1_b32 vcc_lo, exec_lo, s25
	s_cbranch_vccnz .LBB78_2591
.LBB78_2590:
	s_wait_loadcnt 0x0
	global_load_u8 v8, v[16:17], off
	s_mov_b32 s14, 0
	s_mov_b32 s26, -1
	v_mov_b32_e32 v9, s14
	s_wait_loadcnt 0x0
	v_cmp_ne_u16_e32 vcc_lo, 0, v8
	v_cndmask_b32_e64 v8, 0, 1, vcc_lo
.LBB78_2591:
	s_mov_b32 s14, 0
.LBB78_2592:
	s_delay_alu instid0(SALU_CYCLE_1)
	s_and_b32 vcc_lo, exec_lo, s14
	s_cbranch_vccz .LBB78_2641
; %bb.2593:
	s_and_b32 s14, 0xffff, s3
	s_delay_alu instid0(SALU_CYCLE_1)
	s_cmp_lt_i32 s14, 5
	s_cbranch_scc1 .LBB78_2598
; %bb.2594:
	s_cmp_lt_i32 s14, 8
	s_cbranch_scc1 .LBB78_2599
; %bb.2595:
	;; [unrolled: 3-line block ×3, first 2 shown]
	s_cmp_gt_i32 s14, 9
	s_cbranch_scc0 .LBB78_2601
; %bb.2597:
	s_wait_loadcnt 0x0
	global_load_b64 v[8:9], v[16:17], off
	s_mov_b32 s24, 0
	s_wait_loadcnt 0x0
	v_trunc_f64_e32 v[8:9], v[8:9]
	s_delay_alu instid0(VALU_DEP_1) | instskip(NEXT) | instid1(VALU_DEP_1)
	v_ldexp_f64 v[18:19], v[8:9], 0xffffffe0
	v_floor_f64_e32 v[18:19], v[18:19]
	s_delay_alu instid0(VALU_DEP_1) | instskip(SKIP_1) | instid1(VALU_DEP_2)
	v_fmamk_f64 v[20:21], v[18:19], 0xc1f00000, v[8:9]
	v_cvt_i32_f64_e32 v9, v[18:19]
	v_cvt_u32_f64_e32 v8, v[20:21]
	s_branch .LBB78_2602
.LBB78_2598:
	s_mov_b32 s24, -1
                                        ; implicit-def: $vgpr8_vgpr9
	s_branch .LBB78_2620
.LBB78_2599:
	s_mov_b32 s24, -1
                                        ; implicit-def: $vgpr8_vgpr9
	s_branch .LBB78_2608
.LBB78_2600:
	s_mov_b32 s24, -1
                                        ; implicit-def: $vgpr8_vgpr9
	s_branch .LBB78_2605
.LBB78_2601:
	s_mov_b32 s24, -1
                                        ; implicit-def: $vgpr8_vgpr9
.LBB78_2602:
	s_delay_alu instid0(SALU_CYCLE_1)
	s_and_not1_b32 vcc_lo, exec_lo, s24
	s_cbranch_vccnz .LBB78_2604
; %bb.2603:
	s_wait_loadcnt 0x0
	global_load_b32 v8, v[16:17], off
	s_wait_loadcnt 0x0
	v_trunc_f32_e32 v8, v8
	s_delay_alu instid0(VALU_DEP_1) | instskip(NEXT) | instid1(VALU_DEP_1)
	v_mul_f32_e64 v9, 0x2f800000, |v8|
	v_floor_f32_e32 v9, v9
	s_delay_alu instid0(VALU_DEP_1) | instskip(SKIP_2) | instid1(VALU_DEP_3)
	v_fma_f32 v11, 0xcf800000, v9, |v8|
	v_ashrrev_i32_e32 v8, 31, v8
	v_cvt_u32_f32_e32 v13, v9
	v_cvt_u32_f32_e32 v11, v11
	s_delay_alu instid0(VALU_DEP_2) | instskip(NEXT) | instid1(VALU_DEP_2)
	v_dual_mov_b32 v9, v8 :: v_dual_bitop2_b32 v19, v13, v8 bitop3:0x14
	v_xor_b32_e32 v18, v11, v8
	s_delay_alu instid0(VALU_DEP_1)
	v_sub_nc_u64_e32 v[8:9], v[18:19], v[8:9]
.LBB78_2604:
	s_mov_b32 s24, 0
.LBB78_2605:
	s_delay_alu instid0(SALU_CYCLE_1)
	s_and_not1_b32 vcc_lo, exec_lo, s24
	s_cbranch_vccnz .LBB78_2607
; %bb.2606:
	s_wait_loadcnt 0x0
	global_load_b32 v8, v[16:17], off
	s_wait_loadcnt 0x0
	v_cvt_f32_f16_e32 v8, v8
	s_delay_alu instid0(VALU_DEP_1) | instskip(NEXT) | instid1(VALU_DEP_1)
	v_cvt_i32_f32_e32 v8, v8
	v_ashrrev_i32_e32 v9, 31, v8
.LBB78_2607:
	s_mov_b32 s24, 0
.LBB78_2608:
	s_delay_alu instid0(SALU_CYCLE_1)
	s_and_not1_b32 vcc_lo, exec_lo, s24
	s_cbranch_vccnz .LBB78_2619
; %bb.2609:
	s_cmp_lt_i32 s14, 6
	s_cbranch_scc1 .LBB78_2612
; %bb.2610:
	s_cmp_gt_i32 s14, 6
	s_cbranch_scc0 .LBB78_2613
; %bb.2611:
	s_wait_loadcnt 0x0
	global_load_b64 v[8:9], v[16:17], off
	s_mov_b32 s24, 0
	s_wait_loadcnt 0x0
	v_trunc_f64_e32 v[8:9], v[8:9]
	s_delay_alu instid0(VALU_DEP_1) | instskip(NEXT) | instid1(VALU_DEP_1)
	v_ldexp_f64 v[18:19], v[8:9], 0xffffffe0
	v_floor_f64_e32 v[18:19], v[18:19]
	s_delay_alu instid0(VALU_DEP_1) | instskip(SKIP_1) | instid1(VALU_DEP_2)
	v_fmamk_f64 v[20:21], v[18:19], 0xc1f00000, v[8:9]
	v_cvt_i32_f64_e32 v9, v[18:19]
	v_cvt_u32_f64_e32 v8, v[20:21]
	s_branch .LBB78_2614
.LBB78_2612:
	s_mov_b32 s24, -1
                                        ; implicit-def: $vgpr8_vgpr9
	s_branch .LBB78_2617
.LBB78_2613:
	s_mov_b32 s24, -1
                                        ; implicit-def: $vgpr8_vgpr9
.LBB78_2614:
	s_delay_alu instid0(SALU_CYCLE_1)
	s_and_not1_b32 vcc_lo, exec_lo, s24
	s_cbranch_vccnz .LBB78_2616
; %bb.2615:
	s_wait_loadcnt 0x0
	global_load_b32 v8, v[16:17], off
	s_wait_loadcnt 0x0
	v_trunc_f32_e32 v8, v8
	s_delay_alu instid0(VALU_DEP_1) | instskip(NEXT) | instid1(VALU_DEP_1)
	v_mul_f32_e64 v9, 0x2f800000, |v8|
	v_floor_f32_e32 v9, v9
	s_delay_alu instid0(VALU_DEP_1) | instskip(SKIP_2) | instid1(VALU_DEP_3)
	v_fma_f32 v11, 0xcf800000, v9, |v8|
	v_ashrrev_i32_e32 v8, 31, v8
	v_cvt_u32_f32_e32 v13, v9
	v_cvt_u32_f32_e32 v11, v11
	s_delay_alu instid0(VALU_DEP_2) | instskip(NEXT) | instid1(VALU_DEP_2)
	v_dual_mov_b32 v9, v8 :: v_dual_bitop2_b32 v19, v13, v8 bitop3:0x14
	v_xor_b32_e32 v18, v11, v8
	s_delay_alu instid0(VALU_DEP_1)
	v_sub_nc_u64_e32 v[8:9], v[18:19], v[8:9]
.LBB78_2616:
	s_mov_b32 s24, 0
.LBB78_2617:
	s_delay_alu instid0(SALU_CYCLE_1)
	s_and_not1_b32 vcc_lo, exec_lo, s24
	s_cbranch_vccnz .LBB78_2619
; %bb.2618:
	s_wait_loadcnt 0x0
	global_load_u16 v8, v[16:17], off
	s_wait_loadcnt 0x0
	v_cvt_f32_f16_e32 v8, v8
	s_delay_alu instid0(VALU_DEP_1) | instskip(NEXT) | instid1(VALU_DEP_1)
	v_cvt_i32_f32_e32 v8, v8
	v_ashrrev_i32_e32 v9, 31, v8
.LBB78_2619:
	s_mov_b32 s24, 0
.LBB78_2620:
	s_delay_alu instid0(SALU_CYCLE_1)
	s_and_not1_b32 vcc_lo, exec_lo, s24
	s_cbranch_vccnz .LBB78_2640
; %bb.2621:
	s_cmp_lt_i32 s14, 2
	s_cbranch_scc1 .LBB78_2625
; %bb.2622:
	s_cmp_lt_i32 s14, 3
	s_cbranch_scc1 .LBB78_2626
; %bb.2623:
	s_cmp_gt_i32 s14, 3
	s_cbranch_scc0 .LBB78_2627
; %bb.2624:
	s_wait_loadcnt 0x0
	global_load_b64 v[8:9], v[16:17], off
	s_mov_b32 s24, 0
	s_branch .LBB78_2628
.LBB78_2625:
	s_mov_b32 s24, -1
                                        ; implicit-def: $vgpr8_vgpr9
	s_branch .LBB78_2634
.LBB78_2626:
	s_mov_b32 s24, -1
                                        ; implicit-def: $vgpr8_vgpr9
	s_branch .LBB78_2631
.LBB78_2627:
	s_mov_b32 s24, -1
                                        ; implicit-def: $vgpr8_vgpr9
.LBB78_2628:
	s_delay_alu instid0(SALU_CYCLE_1)
	s_and_not1_b32 vcc_lo, exec_lo, s24
	s_cbranch_vccnz .LBB78_2630
; %bb.2629:
	s_wait_loadcnt 0x0
	global_load_b32 v8, v[16:17], off
	s_wait_loadcnt 0x0
	v_ashrrev_i32_e32 v9, 31, v8
.LBB78_2630:
	s_mov_b32 s24, 0
.LBB78_2631:
	s_delay_alu instid0(SALU_CYCLE_1)
	s_and_not1_b32 vcc_lo, exec_lo, s24
	s_cbranch_vccnz .LBB78_2633
; %bb.2632:
	s_wait_loadcnt 0x0
	global_load_u16 v8, v[16:17], off
	s_wait_loadcnt 0x0
	v_bfe_i32 v8, v8, 0, 16
	s_delay_alu instid0(VALU_DEP_1)
	v_ashrrev_i32_e32 v9, 31, v8
.LBB78_2633:
	s_mov_b32 s24, 0
.LBB78_2634:
	s_delay_alu instid0(SALU_CYCLE_1)
	s_and_not1_b32 vcc_lo, exec_lo, s24
	s_cbranch_vccnz .LBB78_2640
; %bb.2635:
	s_cmp_gt_i32 s14, 0
	s_mov_b32 s14, 0
	s_cbranch_scc0 .LBB78_2637
; %bb.2636:
	s_wait_loadcnt 0x0
	global_load_i8 v8, v[16:17], off
	s_wait_loadcnt 0x0
	v_bfe_i32 v8, v8, 0, 16
	s_delay_alu instid0(VALU_DEP_1)
	v_ashrrev_i32_e32 v9, 31, v8
	s_branch .LBB78_2638
.LBB78_2637:
	s_mov_b32 s14, -1
                                        ; implicit-def: $vgpr8_vgpr9
.LBB78_2638:
	s_delay_alu instid0(SALU_CYCLE_1)
	s_and_not1_b32 vcc_lo, exec_lo, s14
	s_cbranch_vccnz .LBB78_2640
; %bb.2639:
	s_wait_loadcnt 0x0
	global_load_u8 v8, v[16:17], off
	s_mov_b32 s14, 0
	s_delay_alu instid0(SALU_CYCLE_1)
	v_mov_b32_e32 v9, s14
	s_wait_loadcnt 0x0
	v_and_b32_e32 v8, 0xffff, v8
.LBB78_2640:
	s_mov_b32 s26, -1
.LBB78_2641:
	s_delay_alu instid0(SALU_CYCLE_1)
	s_and_not1_b32 vcc_lo, exec_lo, s26
	s_cbranch_vccnz .LBB78_3968
; %bb.2642:
	s_lshl_b32 s14, s15, 7
	s_cmp_lt_i32 s0, 11
	s_wait_xcnt 0x0
	v_add_nc_u32_e32 v16, s14, v10
	s_delay_alu instid0(VALU_DEP_1) | instskip(NEXT) | instid1(VALU_DEP_1)
	v_ashrrev_i32_e32 v17, 31, v16
	v_add_nc_u64_e32 v[18:19], s[10:11], v[16:17]
	s_cbranch_scc1 .LBB78_2649
; %bb.2643:
	s_cmp_gt_i32 s0, 25
	s_mov_b32 s24, 0
	s_cbranch_scc0 .LBB78_2650
; %bb.2644:
	s_cmp_gt_i32 s0, 28
	s_cbranch_scc0 .LBB78_2651
; %bb.2645:
	s_cmp_gt_i32 s0, 43
	;; [unrolled: 3-line block ×3, first 2 shown]
	s_cbranch_scc0 .LBB78_2654
; %bb.2647:
	s_cmp_eq_u32 s0, 46
	s_mov_b32 s26, 0
	s_cbranch_scc0 .LBB78_2657
; %bb.2648:
	global_load_b32 v10, v[18:19], off
	s_mov_b32 s15, 0
	s_mov_b32 s25, -1
	s_wait_loadcnt 0x0
	v_lshlrev_b32_e32 v10, 16, v10
	s_delay_alu instid0(VALU_DEP_1) | instskip(NEXT) | instid1(VALU_DEP_1)
	v_trunc_f32_e32 v10, v10
	v_mul_f32_e64 v11, 0x2f800000, |v10|
	s_delay_alu instid0(VALU_DEP_1) | instskip(NEXT) | instid1(VALU_DEP_1)
	v_floor_f32_e32 v11, v11
	v_fma_f32 v13, 0xcf800000, v11, |v10|
	v_ashrrev_i32_e32 v10, 31, v10
	v_cvt_u32_f32_e32 v15, v11
	s_delay_alu instid0(VALU_DEP_3) | instskip(NEXT) | instid1(VALU_DEP_2)
	v_cvt_u32_f32_e32 v13, v13
	v_dual_mov_b32 v11, v10 :: v_dual_bitop2_b32 v21, v15, v10 bitop3:0x14
	s_delay_alu instid0(VALU_DEP_2) | instskip(NEXT) | instid1(VALU_DEP_1)
	v_xor_b32_e32 v20, v13, v10
	v_sub_nc_u64_e32 v[10:11], v[20:21], v[10:11]
	s_branch .LBB78_2659
.LBB78_2649:
	s_mov_b32 s15, -1
	s_mov_b32 s25, 0
                                        ; implicit-def: $vgpr10_vgpr11
	s_branch .LBB78_2721
.LBB78_2650:
	s_mov_b32 s26, -1
	s_mov_b32 s25, 0
	s_mov_b32 s15, 0
                                        ; implicit-def: $vgpr10_vgpr11
	s_branch .LBB78_2686
.LBB78_2651:
	s_mov_b32 s26, -1
	s_mov_b32 s25, 0
	s_mov_b32 s15, 0
                                        ; implicit-def: $vgpr10_vgpr11
	s_branch .LBB78_2669
.LBB78_2652:
	s_mov_b32 s26, -1
	s_mov_b32 s25, 0
	s_mov_b32 s15, 0
                                        ; implicit-def: $vgpr10_vgpr11
	s_branch .LBB78_2664
.LBB78_2653:
	s_or_b32 s20, s20, exec_lo
	s_trap 2
	s_cbranch_execz .LBB78_2590
	s_branch .LBB78_2591
.LBB78_2654:
	s_mov_b32 s26, -1
	s_mov_b32 s25, 0
	s_mov_b32 s15, 0
	s_branch .LBB78_2658
.LBB78_2655:
	s_and_not1_saveexec_b32 s43, s43
	s_cbranch_execz .LBB78_1428
.LBB78_2656:
	v_add_f32_e64 v5, 0x46000000, |v4|
	s_and_not1_b32 s42, s42, exec_lo
	s_delay_alu instid0(VALU_DEP_1) | instskip(NEXT) | instid1(VALU_DEP_1)
	v_and_b32_e32 v5, 0xff, v5
	v_cmp_ne_u32_e32 vcc_lo, 0, v5
	s_and_b32 s44, vcc_lo, exec_lo
	s_delay_alu instid0(SALU_CYCLE_1)
	s_or_b32 s42, s42, s44
	s_or_b32 exec_lo, exec_lo, s43
	v_mov_b32_e32 v6, 0
	s_and_saveexec_b32 s43, s42
	s_cbranch_execnz .LBB78_1429
	s_branch .LBB78_1430
.LBB78_2657:
	s_mov_b32 s15, -1
	s_mov_b32 s25, 0
.LBB78_2658:
                                        ; implicit-def: $vgpr10_vgpr11
.LBB78_2659:
	s_and_b32 vcc_lo, exec_lo, s26
	s_cbranch_vccz .LBB78_2663
; %bb.2660:
	s_cmp_eq_u32 s0, 44
	s_cbranch_scc0 .LBB78_2662
; %bb.2661:
	global_load_u8 v13, v[18:19], off
	s_mov_b32 s15, 0
	s_mov_b32 s25, -1
	s_wait_loadcnt 0x0
	v_cmp_ne_u32_e32 vcc_lo, 0, v13
	v_lshlrev_b32_e32 v10, 23, v13
	s_delay_alu instid0(VALU_DEP_1) | instskip(NEXT) | instid1(VALU_DEP_1)
	v_trunc_f32_e32 v10, v10
	v_mul_f32_e64 v11, 0x2f800000, |v10|
	s_delay_alu instid0(VALU_DEP_1) | instskip(NEXT) | instid1(VALU_DEP_1)
	v_floor_f32_e32 v11, v11
	v_fma_f32 v15, 0xcf800000, v11, |v10|
	v_ashrrev_i32_e32 v10, 31, v10
	v_cvt_u32_f32_e32 v17, v11
	s_delay_alu instid0(VALU_DEP_3) | instskip(NEXT) | instid1(VALU_DEP_2)
	v_cvt_u32_f32_e32 v15, v15
	v_dual_mov_b32 v11, v10 :: v_dual_bitop2_b32 v21, v17, v10 bitop3:0x14
	s_delay_alu instid0(VALU_DEP_2) | instskip(NEXT) | instid1(VALU_DEP_1)
	v_xor_b32_e32 v20, v15, v10
	v_sub_nc_u64_e32 v[10:11], v[20:21], v[10:11]
	s_delay_alu instid0(VALU_DEP_1)
	v_dual_cndmask_b32 v11, 0, v11 :: v_dual_cndmask_b32 v10, 0, v10
	s_branch .LBB78_2663
.LBB78_2662:
	s_mov_b32 s15, -1
                                        ; implicit-def: $vgpr10_vgpr11
.LBB78_2663:
	s_mov_b32 s26, 0
.LBB78_2664:
	s_delay_alu instid0(SALU_CYCLE_1)
	s_and_b32 vcc_lo, exec_lo, s26
	s_cbranch_vccz .LBB78_2668
; %bb.2665:
	s_cmp_eq_u32 s0, 29
	s_cbranch_scc0 .LBB78_2667
; %bb.2666:
	global_load_b64 v[10:11], v[18:19], off
	s_mov_b32 s15, 0
	s_mov_b32 s25, -1
	s_branch .LBB78_2668
.LBB78_2667:
	s_mov_b32 s15, -1
                                        ; implicit-def: $vgpr10_vgpr11
.LBB78_2668:
	s_mov_b32 s26, 0
.LBB78_2669:
	s_delay_alu instid0(SALU_CYCLE_1)
	s_and_b32 vcc_lo, exec_lo, s26
	s_cbranch_vccz .LBB78_2685
; %bb.2670:
	s_cmp_lt_i32 s0, 27
	s_cbranch_scc1 .LBB78_2673
; %bb.2671:
	s_cmp_gt_i32 s0, 27
	s_cbranch_scc0 .LBB78_2674
; %bb.2672:
	s_wait_loadcnt 0x0
	global_load_b32 v10, v[18:19], off
	v_mov_b32_e32 v11, 0
	s_mov_b32 s25, 0
	s_branch .LBB78_2675
.LBB78_2673:
	s_mov_b32 s25, -1
                                        ; implicit-def: $vgpr10_vgpr11
	s_branch .LBB78_2678
.LBB78_2674:
	s_mov_b32 s25, -1
                                        ; implicit-def: $vgpr10_vgpr11
.LBB78_2675:
	s_delay_alu instid0(SALU_CYCLE_1)
	s_and_not1_b32 vcc_lo, exec_lo, s25
	s_cbranch_vccnz .LBB78_2677
; %bb.2676:
	s_wait_loadcnt 0x0
	global_load_u16 v10, v[18:19], off
	s_mov_b32 s25, 0
	s_delay_alu instid0(SALU_CYCLE_1)
	v_mov_b32_e32 v11, s25
	s_wait_loadcnt 0x0
	v_and_b32_e32 v10, 0xffff, v10
.LBB78_2677:
	s_mov_b32 s25, 0
.LBB78_2678:
	s_delay_alu instid0(SALU_CYCLE_1)
	s_and_not1_b32 vcc_lo, exec_lo, s25
	s_cbranch_vccnz .LBB78_2684
; %bb.2679:
	global_load_u8 v13, v[18:19], off
	s_mov_b32 s26, 0
	s_mov_b32 s25, exec_lo
	s_wait_loadcnt 0x0
	v_cmpx_lt_i16_e32 0x7f, v13
	s_xor_b32 s25, exec_lo, s25
	s_cbranch_execz .LBB78_2696
; %bb.2680:
	v_cmp_ne_u16_e32 vcc_lo, 0x80, v13
	s_and_b32 s26, vcc_lo, exec_lo
	s_and_not1_saveexec_b32 s25, s25
	s_cbranch_execnz .LBB78_2697
.LBB78_2681:
	s_or_b32 exec_lo, exec_lo, s25
	v_mov_b64_e32 v[10:11], 0
	s_and_saveexec_b32 s25, s26
	s_cbranch_execz .LBB78_2683
.LBB78_2682:
	v_and_b32_e32 v10, 0xffff, v13
	s_delay_alu instid0(VALU_DEP_1) | instskip(SKIP_1) | instid1(VALU_DEP_2)
	v_and_b32_e32 v11, 7, v10
	v_bfe_u32 v20, v10, 3, 4
	v_clz_i32_u32_e32 v15, v11
	s_delay_alu instid0(VALU_DEP_2) | instskip(NEXT) | instid1(VALU_DEP_2)
	v_cmp_eq_u32_e32 vcc_lo, 0, v20
	v_min_u32_e32 v15, 32, v15
	s_delay_alu instid0(VALU_DEP_1) | instskip(NEXT) | instid1(VALU_DEP_1)
	v_subrev_nc_u32_e32 v17, 28, v15
	v_dual_lshlrev_b32 v10, v17, v10 :: v_dual_sub_nc_u32 v15, 29, v15
	s_delay_alu instid0(VALU_DEP_1) | instskip(NEXT) | instid1(VALU_DEP_1)
	v_dual_lshlrev_b32 v13, 24, v13 :: v_dual_bitop2_b32 v10, 7, v10 bitop3:0x40
	v_dual_cndmask_b32 v15, v20, v15 :: v_dual_cndmask_b32 v10, v11, v10
	s_delay_alu instid0(VALU_DEP_2) | instskip(NEXT) | instid1(VALU_DEP_2)
	v_and_b32_e32 v11, 0x80000000, v13
	v_lshl_add_u32 v13, v15, 23, 0x3b800000
	s_delay_alu instid0(VALU_DEP_3) | instskip(NEXT) | instid1(VALU_DEP_1)
	v_lshlrev_b32_e32 v10, 20, v10
	v_or3_b32 v10, v11, v13, v10
	s_delay_alu instid0(VALU_DEP_1) | instskip(NEXT) | instid1(VALU_DEP_1)
	v_trunc_f32_e32 v10, v10
	v_mul_f32_e64 v11, 0x2f800000, |v10|
	s_delay_alu instid0(VALU_DEP_1) | instskip(NEXT) | instid1(VALU_DEP_1)
	v_floor_f32_e32 v11, v11
	v_fma_f32 v13, 0xcf800000, v11, |v10|
	v_ashrrev_i32_e32 v10, 31, v10
	v_cvt_u32_f32_e32 v15, v11
	s_delay_alu instid0(VALU_DEP_3) | instskip(NEXT) | instid1(VALU_DEP_2)
	v_cvt_u32_f32_e32 v13, v13
	v_dual_mov_b32 v11, v10 :: v_dual_bitop2_b32 v21, v15, v10 bitop3:0x14
	s_delay_alu instid0(VALU_DEP_2) | instskip(NEXT) | instid1(VALU_DEP_1)
	v_xor_b32_e32 v20, v13, v10
	v_sub_nc_u64_e32 v[10:11], v[20:21], v[10:11]
.LBB78_2683:
	s_or_b32 exec_lo, exec_lo, s25
.LBB78_2684:
	s_mov_b32 s25, -1
.LBB78_2685:
	s_mov_b32 s26, 0
.LBB78_2686:
	s_delay_alu instid0(SALU_CYCLE_1)
	s_and_b32 vcc_lo, exec_lo, s26
	s_cbranch_vccz .LBB78_2717
; %bb.2687:
	s_cmp_gt_i32 s0, 22
	s_cbranch_scc0 .LBB78_2695
; %bb.2688:
	s_cmp_lt_i32 s0, 24
	s_cbranch_scc1 .LBB78_2698
; %bb.2689:
	s_cmp_gt_i32 s0, 24
	s_cbranch_scc0 .LBB78_2699
; %bb.2690:
	global_load_u8 v13, v[18:19], off
	s_mov_b32 s25, 0
	s_mov_b32 s24, exec_lo
	s_wait_loadcnt 0x0
	v_cmpx_lt_i16_e32 0x7f, v13
	s_xor_b32 s24, exec_lo, s24
	s_cbranch_execz .LBB78_2711
; %bb.2691:
	v_cmp_ne_u16_e32 vcc_lo, 0x80, v13
	s_and_b32 s25, vcc_lo, exec_lo
	s_and_not1_saveexec_b32 s24, s24
	s_cbranch_execnz .LBB78_2712
.LBB78_2692:
	s_or_b32 exec_lo, exec_lo, s24
	v_mov_b64_e32 v[10:11], 0
	s_and_saveexec_b32 s24, s25
	s_cbranch_execz .LBB78_2694
.LBB78_2693:
	v_and_b32_e32 v10, 0xffff, v13
	s_delay_alu instid0(VALU_DEP_1) | instskip(SKIP_1) | instid1(VALU_DEP_2)
	v_and_b32_e32 v11, 3, v10
	v_bfe_u32 v20, v10, 2, 5
	v_clz_i32_u32_e32 v15, v11
	s_delay_alu instid0(VALU_DEP_2) | instskip(NEXT) | instid1(VALU_DEP_2)
	v_cmp_eq_u32_e32 vcc_lo, 0, v20
	v_min_u32_e32 v15, 32, v15
	s_delay_alu instid0(VALU_DEP_1) | instskip(NEXT) | instid1(VALU_DEP_1)
	v_subrev_nc_u32_e32 v17, 29, v15
	v_dual_lshlrev_b32 v10, v17, v10 :: v_dual_sub_nc_u32 v15, 30, v15
	s_delay_alu instid0(VALU_DEP_1) | instskip(NEXT) | instid1(VALU_DEP_1)
	v_dual_lshlrev_b32 v13, 24, v13 :: v_dual_bitop2_b32 v10, 3, v10 bitop3:0x40
	v_dual_cndmask_b32 v15, v20, v15 :: v_dual_cndmask_b32 v10, v11, v10
	s_delay_alu instid0(VALU_DEP_2) | instskip(NEXT) | instid1(VALU_DEP_2)
	v_and_b32_e32 v11, 0x80000000, v13
	v_lshl_add_u32 v13, v15, 23, 0x37800000
	s_delay_alu instid0(VALU_DEP_3) | instskip(NEXT) | instid1(VALU_DEP_1)
	v_lshlrev_b32_e32 v10, 21, v10
	v_or3_b32 v10, v11, v13, v10
	s_delay_alu instid0(VALU_DEP_1) | instskip(NEXT) | instid1(VALU_DEP_1)
	v_trunc_f32_e32 v10, v10
	v_mul_f32_e64 v11, 0x2f800000, |v10|
	s_delay_alu instid0(VALU_DEP_1) | instskip(NEXT) | instid1(VALU_DEP_1)
	v_floor_f32_e32 v11, v11
	v_fma_f32 v13, 0xcf800000, v11, |v10|
	v_ashrrev_i32_e32 v10, 31, v10
	v_cvt_u32_f32_e32 v15, v11
	s_delay_alu instid0(VALU_DEP_3) | instskip(NEXT) | instid1(VALU_DEP_2)
	v_cvt_u32_f32_e32 v13, v13
	v_dual_mov_b32 v11, v10 :: v_dual_bitop2_b32 v21, v15, v10 bitop3:0x14
	s_delay_alu instid0(VALU_DEP_2) | instskip(NEXT) | instid1(VALU_DEP_1)
	v_xor_b32_e32 v20, v13, v10
	v_sub_nc_u64_e32 v[10:11], v[20:21], v[10:11]
.LBB78_2694:
	s_or_b32 exec_lo, exec_lo, s24
	s_mov_b32 s24, 0
	s_branch .LBB78_2700
.LBB78_2695:
	s_mov_b32 s24, -1
                                        ; implicit-def: $vgpr10_vgpr11
	s_branch .LBB78_2706
.LBB78_2696:
	s_and_not1_saveexec_b32 s25, s25
	s_cbranch_execz .LBB78_2681
.LBB78_2697:
	v_cmp_ne_u16_e32 vcc_lo, 0, v13
	s_and_not1_b32 s26, s26, exec_lo
	s_and_b32 s27, vcc_lo, exec_lo
	s_delay_alu instid0(SALU_CYCLE_1)
	s_or_b32 s26, s26, s27
	s_or_b32 exec_lo, exec_lo, s25
	v_mov_b64_e32 v[10:11], 0
	s_and_saveexec_b32 s25, s26
	s_cbranch_execnz .LBB78_2682
	s_branch .LBB78_2683
.LBB78_2698:
	s_mov_b32 s24, -1
                                        ; implicit-def: $vgpr10_vgpr11
	s_branch .LBB78_2703
.LBB78_2699:
	s_mov_b32 s24, -1
                                        ; implicit-def: $vgpr10_vgpr11
.LBB78_2700:
	s_delay_alu instid0(SALU_CYCLE_1)
	s_and_b32 vcc_lo, exec_lo, s24
	s_cbranch_vccz .LBB78_2702
; %bb.2701:
	s_wait_loadcnt 0x0
	global_load_u8 v10, v[18:19], off
	s_wait_loadcnt 0x0
	v_lshlrev_b32_e32 v10, 24, v10
	s_delay_alu instid0(VALU_DEP_1) | instskip(NEXT) | instid1(VALU_DEP_1)
	v_and_b32_e32 v11, 0x7f000000, v10
	v_clz_i32_u32_e32 v13, v11
	v_add_nc_u32_e32 v17, 0x1000000, v11
	v_cmp_ne_u32_e32 vcc_lo, 0, v11
	s_delay_alu instid0(VALU_DEP_3) | instskip(NEXT) | instid1(VALU_DEP_1)
	v_min_u32_e32 v13, 32, v13
	v_sub_nc_u32_e64 v13, v13, 4 clamp
	s_delay_alu instid0(VALU_DEP_1) | instskip(NEXT) | instid1(VALU_DEP_1)
	v_dual_lshlrev_b32 v15, v13, v11 :: v_dual_lshlrev_b32 v13, 23, v13
	v_lshrrev_b32_e32 v15, 4, v15
	s_delay_alu instid0(VALU_DEP_1) | instskip(SKIP_1) | instid1(VALU_DEP_2)
	v_sub_nc_u32_e32 v13, v15, v13
	v_ashrrev_i32_e32 v15, 8, v17
	v_add_nc_u32_e32 v13, 0x3c000000, v13
	s_delay_alu instid0(VALU_DEP_1) | instskip(NEXT) | instid1(VALU_DEP_1)
	v_and_or_b32 v13, 0x7f800000, v15, v13
	v_cndmask_b32_e32 v11, 0, v13, vcc_lo
	s_delay_alu instid0(VALU_DEP_1) | instskip(NEXT) | instid1(VALU_DEP_1)
	v_and_or_b32 v10, 0x80000000, v10, v11
	v_trunc_f32_e32 v10, v10
	s_delay_alu instid0(VALU_DEP_1) | instskip(NEXT) | instid1(VALU_DEP_1)
	v_mul_f32_e64 v11, 0x2f800000, |v10|
	v_floor_f32_e32 v11, v11
	s_delay_alu instid0(VALU_DEP_1) | instskip(SKIP_2) | instid1(VALU_DEP_3)
	v_fma_f32 v13, 0xcf800000, v11, |v10|
	v_ashrrev_i32_e32 v10, 31, v10
	v_cvt_u32_f32_e32 v15, v11
	v_cvt_u32_f32_e32 v13, v13
	s_delay_alu instid0(VALU_DEP_2) | instskip(NEXT) | instid1(VALU_DEP_2)
	v_dual_mov_b32 v11, v10 :: v_dual_bitop2_b32 v21, v15, v10 bitop3:0x14
	v_xor_b32_e32 v20, v13, v10
	s_delay_alu instid0(VALU_DEP_1)
	v_sub_nc_u64_e32 v[10:11], v[20:21], v[10:11]
.LBB78_2702:
	s_mov_b32 s24, 0
.LBB78_2703:
	s_delay_alu instid0(SALU_CYCLE_1)
	s_and_not1_b32 vcc_lo, exec_lo, s24
	s_cbranch_vccnz .LBB78_2705
; %bb.2704:
	s_wait_loadcnt 0x0
	global_load_u8 v10, v[18:19], off
	s_wait_loadcnt 0x0
	v_lshlrev_b32_e32 v11, 25, v10
	v_lshlrev_b16 v10, 8, v10
	s_delay_alu instid0(VALU_DEP_1) | instskip(SKIP_1) | instid1(VALU_DEP_2)
	v_and_or_b32 v15, 0x7f00, v10, 0.5
	v_bfe_i32 v10, v10, 0, 16
	v_add_f32_e32 v15, -0.5, v15
	v_lshrrev_b32_e32 v13, 4, v11
	v_cmp_gt_u32_e32 vcc_lo, 0x8000000, v11
	s_delay_alu instid0(VALU_DEP_2) | instskip(NEXT) | instid1(VALU_DEP_1)
	v_or_b32_e32 v13, 0x70000000, v13
	v_mul_f32_e32 v13, 0x7800000, v13
	s_delay_alu instid0(VALU_DEP_1) | instskip(NEXT) | instid1(VALU_DEP_1)
	v_cndmask_b32_e32 v11, v13, v15, vcc_lo
	v_and_or_b32 v10, 0x80000000, v10, v11
	s_delay_alu instid0(VALU_DEP_1) | instskip(NEXT) | instid1(VALU_DEP_1)
	v_trunc_f32_e32 v10, v10
	v_mul_f32_e64 v11, 0x2f800000, |v10|
	s_delay_alu instid0(VALU_DEP_1) | instskip(NEXT) | instid1(VALU_DEP_1)
	v_floor_f32_e32 v11, v11
	v_fma_f32 v13, 0xcf800000, v11, |v10|
	v_ashrrev_i32_e32 v10, 31, v10
	v_cvt_u32_f32_e32 v15, v11
	s_delay_alu instid0(VALU_DEP_3) | instskip(NEXT) | instid1(VALU_DEP_2)
	v_cvt_u32_f32_e32 v13, v13
	v_dual_mov_b32 v11, v10 :: v_dual_bitop2_b32 v21, v15, v10 bitop3:0x14
	s_delay_alu instid0(VALU_DEP_2) | instskip(NEXT) | instid1(VALU_DEP_1)
	v_xor_b32_e32 v20, v13, v10
	v_sub_nc_u64_e32 v[10:11], v[20:21], v[10:11]
.LBB78_2705:
	s_mov_b32 s24, 0
	s_mov_b32 s25, -1
.LBB78_2706:
	s_and_not1_b32 vcc_lo, exec_lo, s24
	s_mov_b32 s24, 0
	s_cbranch_vccnz .LBB78_2717
; %bb.2707:
	s_cmp_gt_i32 s0, 14
	s_cbranch_scc0 .LBB78_2710
; %bb.2708:
	s_cmp_eq_u32 s0, 15
	s_cbranch_scc0 .LBB78_2713
; %bb.2709:
	s_wait_loadcnt 0x0
	global_load_u16 v10, v[18:19], off
	s_mov_b32 s15, 0
	s_mov_b32 s25, -1
	s_wait_loadcnt 0x0
	v_lshlrev_b32_e32 v10, 16, v10
	s_delay_alu instid0(VALU_DEP_1) | instskip(NEXT) | instid1(VALU_DEP_1)
	v_trunc_f32_e32 v10, v10
	v_mul_f32_e64 v11, 0x2f800000, |v10|
	s_delay_alu instid0(VALU_DEP_1) | instskip(NEXT) | instid1(VALU_DEP_1)
	v_floor_f32_e32 v11, v11
	v_fma_f32 v13, 0xcf800000, v11, |v10|
	v_ashrrev_i32_e32 v10, 31, v10
	v_cvt_u32_f32_e32 v15, v11
	s_delay_alu instid0(VALU_DEP_3) | instskip(NEXT) | instid1(VALU_DEP_2)
	v_cvt_u32_f32_e32 v13, v13
	v_dual_mov_b32 v11, v10 :: v_dual_bitop2_b32 v21, v15, v10 bitop3:0x14
	s_delay_alu instid0(VALU_DEP_2) | instskip(NEXT) | instid1(VALU_DEP_1)
	v_xor_b32_e32 v20, v13, v10
	v_sub_nc_u64_e32 v[10:11], v[20:21], v[10:11]
	s_branch .LBB78_2715
.LBB78_2710:
	s_mov_b32 s24, -1
	s_branch .LBB78_2714
.LBB78_2711:
	s_and_not1_saveexec_b32 s24, s24
	s_cbranch_execz .LBB78_2692
.LBB78_2712:
	v_cmp_ne_u16_e32 vcc_lo, 0, v13
	s_and_not1_b32 s25, s25, exec_lo
	s_and_b32 s26, vcc_lo, exec_lo
	s_delay_alu instid0(SALU_CYCLE_1)
	s_or_b32 s25, s25, s26
	s_or_b32 exec_lo, exec_lo, s24
	v_mov_b64_e32 v[10:11], 0
	s_and_saveexec_b32 s24, s25
	s_cbranch_execnz .LBB78_2693
	s_branch .LBB78_2694
.LBB78_2713:
	s_mov_b32 s15, -1
.LBB78_2714:
                                        ; implicit-def: $vgpr10_vgpr11
.LBB78_2715:
	s_and_b32 vcc_lo, exec_lo, s24
	s_mov_b32 s24, 0
	s_cbranch_vccz .LBB78_2717
; %bb.2716:
	s_cmp_lg_u32 s0, 11
	s_mov_b32 s24, -1
	s_cselect_b32 s15, -1, 0
.LBB78_2717:
	s_delay_alu instid0(SALU_CYCLE_1)
	s_and_b32 vcc_lo, exec_lo, s15
	s_cbranch_vccnz .LBB78_2782
; %bb.2718:
	s_and_not1_b32 vcc_lo, exec_lo, s24
	s_cbranch_vccnz .LBB78_2720
.LBB78_2719:
	s_wait_loadcnt 0x0
	global_load_u8 v10, v[18:19], off
	s_mov_b32 s15, 0
	s_mov_b32 s25, -1
	v_mov_b32_e32 v11, s15
	s_wait_loadcnt 0x0
	v_cmp_ne_u16_e32 vcc_lo, 0, v10
	v_cndmask_b32_e64 v10, 0, 1, vcc_lo
.LBB78_2720:
	s_mov_b32 s15, 0
.LBB78_2721:
	s_delay_alu instid0(SALU_CYCLE_1)
	s_and_b32 vcc_lo, exec_lo, s15
	s_cbranch_vccz .LBB78_2770
; %bb.2722:
	s_cmp_lt_i32 s0, 5
	s_cbranch_scc1 .LBB78_2727
; %bb.2723:
	s_cmp_lt_i32 s0, 8
	s_cbranch_scc1 .LBB78_2728
	;; [unrolled: 3-line block ×3, first 2 shown]
; %bb.2725:
	s_cmp_gt_i32 s0, 9
	s_cbranch_scc0 .LBB78_2730
; %bb.2726:
	s_wait_loadcnt 0x0
	global_load_b64 v[10:11], v[18:19], off
	s_mov_b32 s15, 0
	s_wait_loadcnt 0x0
	v_trunc_f64_e32 v[10:11], v[10:11]
	s_delay_alu instid0(VALU_DEP_1) | instskip(NEXT) | instid1(VALU_DEP_1)
	v_ldexp_f64 v[20:21], v[10:11], 0xffffffe0
	v_floor_f64_e32 v[20:21], v[20:21]
	s_delay_alu instid0(VALU_DEP_1) | instskip(SKIP_1) | instid1(VALU_DEP_2)
	v_fmamk_f64 v[22:23], v[20:21], 0xc1f00000, v[10:11]
	v_cvt_i32_f64_e32 v11, v[20:21]
	v_cvt_u32_f64_e32 v10, v[22:23]
	s_branch .LBB78_2731
.LBB78_2727:
	s_mov_b32 s15, -1
                                        ; implicit-def: $vgpr10_vgpr11
	s_branch .LBB78_2749
.LBB78_2728:
	s_mov_b32 s15, -1
                                        ; implicit-def: $vgpr10_vgpr11
	s_branch .LBB78_2737
.LBB78_2729:
	s_mov_b32 s15, -1
                                        ; implicit-def: $vgpr10_vgpr11
	s_branch .LBB78_2734
.LBB78_2730:
	s_mov_b32 s15, -1
                                        ; implicit-def: $vgpr10_vgpr11
.LBB78_2731:
	s_delay_alu instid0(SALU_CYCLE_1)
	s_and_not1_b32 vcc_lo, exec_lo, s15
	s_cbranch_vccnz .LBB78_2733
; %bb.2732:
	s_wait_loadcnt 0x0
	global_load_b32 v10, v[18:19], off
	s_wait_loadcnt 0x0
	v_trunc_f32_e32 v10, v10
	s_delay_alu instid0(VALU_DEP_1) | instskip(NEXT) | instid1(VALU_DEP_1)
	v_mul_f32_e64 v11, 0x2f800000, |v10|
	v_floor_f32_e32 v11, v11
	s_delay_alu instid0(VALU_DEP_1) | instskip(SKIP_2) | instid1(VALU_DEP_3)
	v_fma_f32 v13, 0xcf800000, v11, |v10|
	v_ashrrev_i32_e32 v10, 31, v10
	v_cvt_u32_f32_e32 v15, v11
	v_cvt_u32_f32_e32 v13, v13
	s_delay_alu instid0(VALU_DEP_2) | instskip(NEXT) | instid1(VALU_DEP_2)
	v_dual_mov_b32 v11, v10 :: v_dual_bitop2_b32 v21, v15, v10 bitop3:0x14
	v_xor_b32_e32 v20, v13, v10
	s_delay_alu instid0(VALU_DEP_1)
	v_sub_nc_u64_e32 v[10:11], v[20:21], v[10:11]
.LBB78_2733:
	s_mov_b32 s15, 0
.LBB78_2734:
	s_delay_alu instid0(SALU_CYCLE_1)
	s_and_not1_b32 vcc_lo, exec_lo, s15
	s_cbranch_vccnz .LBB78_2736
; %bb.2735:
	s_wait_loadcnt 0x0
	global_load_b32 v10, v[18:19], off
	s_wait_loadcnt 0x0
	v_cvt_f32_f16_e32 v10, v10
	s_delay_alu instid0(VALU_DEP_1) | instskip(NEXT) | instid1(VALU_DEP_1)
	v_cvt_i32_f32_e32 v10, v10
	v_ashrrev_i32_e32 v11, 31, v10
.LBB78_2736:
	s_mov_b32 s15, 0
.LBB78_2737:
	s_delay_alu instid0(SALU_CYCLE_1)
	s_and_not1_b32 vcc_lo, exec_lo, s15
	s_cbranch_vccnz .LBB78_2748
; %bb.2738:
	s_cmp_lt_i32 s0, 6
	s_cbranch_scc1 .LBB78_2741
; %bb.2739:
	s_cmp_gt_i32 s0, 6
	s_cbranch_scc0 .LBB78_2742
; %bb.2740:
	s_wait_loadcnt 0x0
	global_load_b64 v[10:11], v[18:19], off
	s_mov_b32 s15, 0
	s_wait_loadcnt 0x0
	v_trunc_f64_e32 v[10:11], v[10:11]
	s_delay_alu instid0(VALU_DEP_1) | instskip(NEXT) | instid1(VALU_DEP_1)
	v_ldexp_f64 v[20:21], v[10:11], 0xffffffe0
	v_floor_f64_e32 v[20:21], v[20:21]
	s_delay_alu instid0(VALU_DEP_1) | instskip(SKIP_1) | instid1(VALU_DEP_2)
	v_fmamk_f64 v[22:23], v[20:21], 0xc1f00000, v[10:11]
	v_cvt_i32_f64_e32 v11, v[20:21]
	v_cvt_u32_f64_e32 v10, v[22:23]
	s_branch .LBB78_2743
.LBB78_2741:
	s_mov_b32 s15, -1
                                        ; implicit-def: $vgpr10_vgpr11
	s_branch .LBB78_2746
.LBB78_2742:
	s_mov_b32 s15, -1
                                        ; implicit-def: $vgpr10_vgpr11
.LBB78_2743:
	s_delay_alu instid0(SALU_CYCLE_1)
	s_and_not1_b32 vcc_lo, exec_lo, s15
	s_cbranch_vccnz .LBB78_2745
; %bb.2744:
	s_wait_loadcnt 0x0
	global_load_b32 v10, v[18:19], off
	s_wait_loadcnt 0x0
	v_trunc_f32_e32 v10, v10
	s_delay_alu instid0(VALU_DEP_1) | instskip(NEXT) | instid1(VALU_DEP_1)
	v_mul_f32_e64 v11, 0x2f800000, |v10|
	v_floor_f32_e32 v11, v11
	s_delay_alu instid0(VALU_DEP_1) | instskip(SKIP_2) | instid1(VALU_DEP_3)
	v_fma_f32 v13, 0xcf800000, v11, |v10|
	v_ashrrev_i32_e32 v10, 31, v10
	v_cvt_u32_f32_e32 v15, v11
	v_cvt_u32_f32_e32 v13, v13
	s_delay_alu instid0(VALU_DEP_2) | instskip(NEXT) | instid1(VALU_DEP_2)
	v_dual_mov_b32 v11, v10 :: v_dual_bitop2_b32 v21, v15, v10 bitop3:0x14
	v_xor_b32_e32 v20, v13, v10
	s_delay_alu instid0(VALU_DEP_1)
	v_sub_nc_u64_e32 v[10:11], v[20:21], v[10:11]
.LBB78_2745:
	s_mov_b32 s15, 0
.LBB78_2746:
	s_delay_alu instid0(SALU_CYCLE_1)
	s_and_not1_b32 vcc_lo, exec_lo, s15
	s_cbranch_vccnz .LBB78_2748
; %bb.2747:
	s_wait_loadcnt 0x0
	global_load_u16 v10, v[18:19], off
	s_wait_loadcnt 0x0
	v_cvt_f32_f16_e32 v10, v10
	s_delay_alu instid0(VALU_DEP_1) | instskip(NEXT) | instid1(VALU_DEP_1)
	v_cvt_i32_f32_e32 v10, v10
	v_ashrrev_i32_e32 v11, 31, v10
.LBB78_2748:
	s_mov_b32 s15, 0
.LBB78_2749:
	s_delay_alu instid0(SALU_CYCLE_1)
	s_and_not1_b32 vcc_lo, exec_lo, s15
	s_cbranch_vccnz .LBB78_2769
; %bb.2750:
	s_cmp_lt_i32 s0, 2
	s_cbranch_scc1 .LBB78_2754
; %bb.2751:
	s_cmp_lt_i32 s0, 3
	s_cbranch_scc1 .LBB78_2755
; %bb.2752:
	s_cmp_gt_i32 s0, 3
	s_cbranch_scc0 .LBB78_2756
; %bb.2753:
	s_wait_loadcnt 0x0
	global_load_b64 v[10:11], v[18:19], off
	s_mov_b32 s15, 0
	s_branch .LBB78_2757
.LBB78_2754:
	s_mov_b32 s15, -1
                                        ; implicit-def: $vgpr10_vgpr11
	s_branch .LBB78_2763
.LBB78_2755:
	s_mov_b32 s15, -1
                                        ; implicit-def: $vgpr10_vgpr11
	s_branch .LBB78_2760
.LBB78_2756:
	s_mov_b32 s15, -1
                                        ; implicit-def: $vgpr10_vgpr11
.LBB78_2757:
	s_delay_alu instid0(SALU_CYCLE_1)
	s_and_not1_b32 vcc_lo, exec_lo, s15
	s_cbranch_vccnz .LBB78_2759
; %bb.2758:
	s_wait_loadcnt 0x0
	global_load_b32 v10, v[18:19], off
	s_wait_loadcnt 0x0
	v_ashrrev_i32_e32 v11, 31, v10
.LBB78_2759:
	s_mov_b32 s15, 0
.LBB78_2760:
	s_delay_alu instid0(SALU_CYCLE_1)
	s_and_not1_b32 vcc_lo, exec_lo, s15
	s_cbranch_vccnz .LBB78_2762
; %bb.2761:
	s_wait_loadcnt 0x0
	global_load_u16 v10, v[18:19], off
	s_wait_loadcnt 0x0
	v_bfe_i32 v10, v10, 0, 16
	s_delay_alu instid0(VALU_DEP_1)
	v_ashrrev_i32_e32 v11, 31, v10
.LBB78_2762:
	s_mov_b32 s15, 0
.LBB78_2763:
	s_delay_alu instid0(SALU_CYCLE_1)
	s_and_not1_b32 vcc_lo, exec_lo, s15
	s_cbranch_vccnz .LBB78_2769
; %bb.2764:
	s_cmp_gt_i32 s0, 0
	s_mov_b32 s15, 0
	s_cbranch_scc0 .LBB78_2766
; %bb.2765:
	s_wait_loadcnt 0x0
	global_load_i8 v10, v[18:19], off
	s_wait_loadcnt 0x0
	v_bfe_i32 v10, v10, 0, 16
	s_delay_alu instid0(VALU_DEP_1)
	v_ashrrev_i32_e32 v11, 31, v10
	s_branch .LBB78_2767
.LBB78_2766:
	s_mov_b32 s15, -1
                                        ; implicit-def: $vgpr10_vgpr11
.LBB78_2767:
	s_delay_alu instid0(SALU_CYCLE_1)
	s_and_not1_b32 vcc_lo, exec_lo, s15
	s_cbranch_vccnz .LBB78_2769
; %bb.2768:
	s_wait_loadcnt 0x0
	global_load_u8 v10, v[18:19], off
	s_mov_b32 s15, 0
	s_delay_alu instid0(SALU_CYCLE_1)
	v_mov_b32_e32 v11, s15
	s_wait_loadcnt 0x0
	v_and_b32_e32 v10, 0xffff, v10
.LBB78_2769:
	s_mov_b32 s25, -1
.LBB78_2770:
	s_delay_alu instid0(SALU_CYCLE_1)
	s_and_not1_b32 vcc_lo, exec_lo, s25
	s_cbranch_vccnz .LBB78_3968
; %bb.2771:
	s_wait_xcnt 0x0
	v_add_nc_u32_e32 v18, s1, v12
	s_cmp_lt_i32 s21, 11
	s_delay_alu instid0(VALU_DEP_1) | instskip(NEXT) | instid1(VALU_DEP_1)
	v_ashrrev_i32_e32 v19, 31, v18
	v_add_nc_u64_e32 v[20:21], s[6:7], v[18:19]
	s_cbranch_scc1 .LBB78_2778
; %bb.2772:
	s_and_b32 s15, 0xffff, s21
	s_mov_b32 s25, 0
	s_cmp_gt_i32 s15, 25
	s_cbranch_scc0 .LBB78_2779
; %bb.2773:
	s_cmp_gt_i32 s15, 28
	s_cbranch_scc0 .LBB78_2780
; %bb.2774:
	;; [unrolled: 3-line block ×4, first 2 shown]
	s_cmp_eq_u32 s15, 46
	s_mov_b32 s27, 0
	s_cbranch_scc0 .LBB78_2786
; %bb.2777:
	global_load_b32 v12, v[20:21], off
	s_mov_b32 s24, 0
	s_mov_b32 s26, -1
	s_wait_loadcnt 0x0
	v_lshlrev_b32_e32 v12, 16, v12
	s_delay_alu instid0(VALU_DEP_1) | instskip(NEXT) | instid1(VALU_DEP_1)
	v_trunc_f32_e32 v12, v12
	v_mul_f32_e64 v13, 0x2f800000, |v12|
	s_delay_alu instid0(VALU_DEP_1) | instskip(NEXT) | instid1(VALU_DEP_1)
	v_floor_f32_e32 v13, v13
	v_fma_f32 v15, 0xcf800000, v13, |v12|
	v_ashrrev_i32_e32 v12, 31, v12
	v_cvt_u32_f32_e32 v17, v13
	s_delay_alu instid0(VALU_DEP_3) | instskip(NEXT) | instid1(VALU_DEP_2)
	v_cvt_u32_f32_e32 v15, v15
	v_dual_mov_b32 v13, v12 :: v_dual_bitop2_b32 v23, v17, v12 bitop3:0x14
	s_delay_alu instid0(VALU_DEP_2) | instskip(NEXT) | instid1(VALU_DEP_1)
	v_xor_b32_e32 v22, v15, v12
	v_sub_nc_u64_e32 v[12:13], v[22:23], v[12:13]
	s_branch .LBB78_2788
.LBB78_2778:
	s_mov_b32 s15, -1
	s_mov_b32 s26, 0
                                        ; implicit-def: $vgpr12_vgpr13
	s_branch .LBB78_2850
.LBB78_2779:
	s_mov_b32 s27, -1
	s_mov_b32 s26, 0
	s_mov_b32 s24, 0
                                        ; implicit-def: $vgpr12_vgpr13
	s_branch .LBB78_2815
.LBB78_2780:
	s_mov_b32 s27, -1
	s_mov_b32 s26, 0
	s_mov_b32 s24, 0
                                        ; implicit-def: $vgpr12_vgpr13
	s_branch .LBB78_2798
.LBB78_2781:
	s_mov_b32 s27, -1
	s_mov_b32 s26, 0
	s_mov_b32 s24, 0
                                        ; implicit-def: $vgpr12_vgpr13
	s_branch .LBB78_2793
.LBB78_2782:
	s_or_b32 s20, s20, exec_lo
	s_trap 2
	s_cbranch_execz .LBB78_2719
	s_branch .LBB78_2720
.LBB78_2783:
	s_mov_b32 s27, -1
	s_mov_b32 s26, 0
	s_mov_b32 s24, 0
	s_branch .LBB78_2787
.LBB78_2784:
	s_and_not1_saveexec_b32 s43, s43
	s_cbranch_execz .LBB78_1441
.LBB78_2785:
	v_add_f32_e64 v5, 0x42800000, |v4|
	s_and_not1_b32 s42, s42, exec_lo
	s_delay_alu instid0(VALU_DEP_1) | instskip(NEXT) | instid1(VALU_DEP_1)
	v_and_b32_e32 v5, 0xff, v5
	v_cmp_ne_u32_e32 vcc_lo, 0, v5
	s_and_b32 s44, vcc_lo, exec_lo
	s_delay_alu instid0(SALU_CYCLE_1)
	s_or_b32 s42, s42, s44
	s_or_b32 exec_lo, exec_lo, s43
	v_mov_b32_e32 v6, 0
	s_and_saveexec_b32 s43, s42
	s_cbranch_execnz .LBB78_1442
	s_branch .LBB78_1443
.LBB78_2786:
	s_mov_b32 s24, -1
	s_mov_b32 s26, 0
.LBB78_2787:
                                        ; implicit-def: $vgpr12_vgpr13
.LBB78_2788:
	s_and_b32 vcc_lo, exec_lo, s27
	s_cbranch_vccz .LBB78_2792
; %bb.2789:
	s_cmp_eq_u32 s15, 44
	s_cbranch_scc0 .LBB78_2791
; %bb.2790:
	global_load_u8 v15, v[20:21], off
	s_mov_b32 s24, 0
	s_mov_b32 s26, -1
	s_wait_loadcnt 0x0
	v_cmp_ne_u32_e32 vcc_lo, 0, v15
	v_lshlrev_b32_e32 v12, 23, v15
	s_delay_alu instid0(VALU_DEP_1) | instskip(NEXT) | instid1(VALU_DEP_1)
	v_trunc_f32_e32 v12, v12
	v_mul_f32_e64 v13, 0x2f800000, |v12|
	s_delay_alu instid0(VALU_DEP_1) | instskip(NEXT) | instid1(VALU_DEP_1)
	v_floor_f32_e32 v13, v13
	v_fma_f32 v17, 0xcf800000, v13, |v12|
	v_ashrrev_i32_e32 v12, 31, v12
	v_cvt_u32_f32_e32 v19, v13
	s_delay_alu instid0(VALU_DEP_3) | instskip(NEXT) | instid1(VALU_DEP_2)
	v_cvt_u32_f32_e32 v17, v17
	v_dual_mov_b32 v13, v12 :: v_dual_bitop2_b32 v23, v19, v12 bitop3:0x14
	s_delay_alu instid0(VALU_DEP_2) | instskip(NEXT) | instid1(VALU_DEP_1)
	v_xor_b32_e32 v22, v17, v12
	v_sub_nc_u64_e32 v[12:13], v[22:23], v[12:13]
	s_delay_alu instid0(VALU_DEP_1)
	v_dual_cndmask_b32 v13, 0, v13 :: v_dual_cndmask_b32 v12, 0, v12
	s_branch .LBB78_2792
.LBB78_2791:
	s_mov_b32 s24, -1
                                        ; implicit-def: $vgpr12_vgpr13
.LBB78_2792:
	s_mov_b32 s27, 0
.LBB78_2793:
	s_delay_alu instid0(SALU_CYCLE_1)
	s_and_b32 vcc_lo, exec_lo, s27
	s_cbranch_vccz .LBB78_2797
; %bb.2794:
	s_cmp_eq_u32 s15, 29
	s_cbranch_scc0 .LBB78_2796
; %bb.2795:
	global_load_b64 v[12:13], v[20:21], off
	s_mov_b32 s24, 0
	s_mov_b32 s26, -1
	s_branch .LBB78_2797
.LBB78_2796:
	s_mov_b32 s24, -1
                                        ; implicit-def: $vgpr12_vgpr13
.LBB78_2797:
	s_mov_b32 s27, 0
.LBB78_2798:
	s_delay_alu instid0(SALU_CYCLE_1)
	s_and_b32 vcc_lo, exec_lo, s27
	s_cbranch_vccz .LBB78_2814
; %bb.2799:
	s_cmp_lt_i32 s15, 27
	s_cbranch_scc1 .LBB78_2802
; %bb.2800:
	s_cmp_gt_i32 s15, 27
	s_cbranch_scc0 .LBB78_2803
; %bb.2801:
	s_wait_loadcnt 0x0
	global_load_b32 v12, v[20:21], off
	v_mov_b32_e32 v13, 0
	s_mov_b32 s26, 0
	s_branch .LBB78_2804
.LBB78_2802:
	s_mov_b32 s26, -1
                                        ; implicit-def: $vgpr12_vgpr13
	s_branch .LBB78_2807
.LBB78_2803:
	s_mov_b32 s26, -1
                                        ; implicit-def: $vgpr12_vgpr13
.LBB78_2804:
	s_delay_alu instid0(SALU_CYCLE_1)
	s_and_not1_b32 vcc_lo, exec_lo, s26
	s_cbranch_vccnz .LBB78_2806
; %bb.2805:
	s_wait_loadcnt 0x0
	global_load_u16 v12, v[20:21], off
	s_mov_b32 s26, 0
	s_delay_alu instid0(SALU_CYCLE_1)
	v_mov_b32_e32 v13, s26
	s_wait_loadcnt 0x0
	v_and_b32_e32 v12, 0xffff, v12
.LBB78_2806:
	s_mov_b32 s26, 0
.LBB78_2807:
	s_delay_alu instid0(SALU_CYCLE_1)
	s_and_not1_b32 vcc_lo, exec_lo, s26
	s_cbranch_vccnz .LBB78_2813
; %bb.2808:
	global_load_u8 v15, v[20:21], off
	s_mov_b32 s27, 0
	s_mov_b32 s26, exec_lo
	s_wait_loadcnt 0x0
	v_cmpx_lt_i16_e32 0x7f, v15
	s_xor_b32 s26, exec_lo, s26
	s_cbranch_execz .LBB78_2825
; %bb.2809:
	v_cmp_ne_u16_e32 vcc_lo, 0x80, v15
	s_and_b32 s27, vcc_lo, exec_lo
	s_and_not1_saveexec_b32 s26, s26
	s_cbranch_execnz .LBB78_2826
.LBB78_2810:
	s_or_b32 exec_lo, exec_lo, s26
	v_mov_b64_e32 v[12:13], 0
	s_and_saveexec_b32 s26, s27
	s_cbranch_execz .LBB78_2812
.LBB78_2811:
	v_and_b32_e32 v12, 0xffff, v15
	s_delay_alu instid0(VALU_DEP_1) | instskip(SKIP_1) | instid1(VALU_DEP_2)
	v_and_b32_e32 v13, 7, v12
	v_bfe_u32 v22, v12, 3, 4
	v_clz_i32_u32_e32 v17, v13
	s_delay_alu instid0(VALU_DEP_2) | instskip(NEXT) | instid1(VALU_DEP_2)
	v_cmp_eq_u32_e32 vcc_lo, 0, v22
	v_min_u32_e32 v17, 32, v17
	s_delay_alu instid0(VALU_DEP_1) | instskip(NEXT) | instid1(VALU_DEP_1)
	v_subrev_nc_u32_e32 v19, 28, v17
	v_dual_lshlrev_b32 v12, v19, v12 :: v_dual_sub_nc_u32 v17, 29, v17
	s_delay_alu instid0(VALU_DEP_1) | instskip(NEXT) | instid1(VALU_DEP_1)
	v_dual_lshlrev_b32 v15, 24, v15 :: v_dual_bitop2_b32 v12, 7, v12 bitop3:0x40
	v_dual_cndmask_b32 v17, v22, v17 :: v_dual_cndmask_b32 v12, v13, v12
	s_delay_alu instid0(VALU_DEP_2) | instskip(NEXT) | instid1(VALU_DEP_2)
	v_and_b32_e32 v13, 0x80000000, v15
	v_lshl_add_u32 v15, v17, 23, 0x3b800000
	s_delay_alu instid0(VALU_DEP_3) | instskip(NEXT) | instid1(VALU_DEP_1)
	v_lshlrev_b32_e32 v12, 20, v12
	v_or3_b32 v12, v13, v15, v12
	s_delay_alu instid0(VALU_DEP_1) | instskip(NEXT) | instid1(VALU_DEP_1)
	v_trunc_f32_e32 v12, v12
	v_mul_f32_e64 v13, 0x2f800000, |v12|
	s_delay_alu instid0(VALU_DEP_1) | instskip(NEXT) | instid1(VALU_DEP_1)
	v_floor_f32_e32 v13, v13
	v_fma_f32 v15, 0xcf800000, v13, |v12|
	v_ashrrev_i32_e32 v12, 31, v12
	v_cvt_u32_f32_e32 v17, v13
	s_delay_alu instid0(VALU_DEP_3) | instskip(NEXT) | instid1(VALU_DEP_2)
	v_cvt_u32_f32_e32 v15, v15
	v_dual_mov_b32 v13, v12 :: v_dual_bitop2_b32 v23, v17, v12 bitop3:0x14
	s_delay_alu instid0(VALU_DEP_2) | instskip(NEXT) | instid1(VALU_DEP_1)
	v_xor_b32_e32 v22, v15, v12
	v_sub_nc_u64_e32 v[12:13], v[22:23], v[12:13]
.LBB78_2812:
	s_or_b32 exec_lo, exec_lo, s26
.LBB78_2813:
	s_mov_b32 s26, -1
.LBB78_2814:
	s_mov_b32 s27, 0
.LBB78_2815:
	s_delay_alu instid0(SALU_CYCLE_1)
	s_and_b32 vcc_lo, exec_lo, s27
	s_cbranch_vccz .LBB78_2846
; %bb.2816:
	s_cmp_gt_i32 s15, 22
	s_cbranch_scc0 .LBB78_2824
; %bb.2817:
	s_cmp_lt_i32 s15, 24
	s_cbranch_scc1 .LBB78_2827
; %bb.2818:
	s_cmp_gt_i32 s15, 24
	s_cbranch_scc0 .LBB78_2828
; %bb.2819:
	global_load_u8 v15, v[20:21], off
	s_mov_b32 s26, 0
	s_mov_b32 s25, exec_lo
	s_wait_loadcnt 0x0
	v_cmpx_lt_i16_e32 0x7f, v15
	s_xor_b32 s25, exec_lo, s25
	s_cbranch_execz .LBB78_2840
; %bb.2820:
	v_cmp_ne_u16_e32 vcc_lo, 0x80, v15
	s_and_b32 s26, vcc_lo, exec_lo
	s_and_not1_saveexec_b32 s25, s25
	s_cbranch_execnz .LBB78_2841
.LBB78_2821:
	s_or_b32 exec_lo, exec_lo, s25
	v_mov_b64_e32 v[12:13], 0
	s_and_saveexec_b32 s25, s26
	s_cbranch_execz .LBB78_2823
.LBB78_2822:
	v_and_b32_e32 v12, 0xffff, v15
	s_delay_alu instid0(VALU_DEP_1) | instskip(SKIP_1) | instid1(VALU_DEP_2)
	v_and_b32_e32 v13, 3, v12
	v_bfe_u32 v22, v12, 2, 5
	v_clz_i32_u32_e32 v17, v13
	s_delay_alu instid0(VALU_DEP_2) | instskip(NEXT) | instid1(VALU_DEP_2)
	v_cmp_eq_u32_e32 vcc_lo, 0, v22
	v_min_u32_e32 v17, 32, v17
	s_delay_alu instid0(VALU_DEP_1) | instskip(NEXT) | instid1(VALU_DEP_1)
	v_subrev_nc_u32_e32 v19, 29, v17
	v_dual_lshlrev_b32 v12, v19, v12 :: v_dual_sub_nc_u32 v17, 30, v17
	s_delay_alu instid0(VALU_DEP_1) | instskip(NEXT) | instid1(VALU_DEP_1)
	v_dual_lshlrev_b32 v15, 24, v15 :: v_dual_bitop2_b32 v12, 3, v12 bitop3:0x40
	v_dual_cndmask_b32 v17, v22, v17 :: v_dual_cndmask_b32 v12, v13, v12
	s_delay_alu instid0(VALU_DEP_2) | instskip(NEXT) | instid1(VALU_DEP_2)
	v_and_b32_e32 v13, 0x80000000, v15
	v_lshl_add_u32 v15, v17, 23, 0x37800000
	s_delay_alu instid0(VALU_DEP_3) | instskip(NEXT) | instid1(VALU_DEP_1)
	v_lshlrev_b32_e32 v12, 21, v12
	v_or3_b32 v12, v13, v15, v12
	s_delay_alu instid0(VALU_DEP_1) | instskip(NEXT) | instid1(VALU_DEP_1)
	v_trunc_f32_e32 v12, v12
	v_mul_f32_e64 v13, 0x2f800000, |v12|
	s_delay_alu instid0(VALU_DEP_1) | instskip(NEXT) | instid1(VALU_DEP_1)
	v_floor_f32_e32 v13, v13
	v_fma_f32 v15, 0xcf800000, v13, |v12|
	v_ashrrev_i32_e32 v12, 31, v12
	v_cvt_u32_f32_e32 v17, v13
	s_delay_alu instid0(VALU_DEP_3) | instskip(NEXT) | instid1(VALU_DEP_2)
	v_cvt_u32_f32_e32 v15, v15
	v_dual_mov_b32 v13, v12 :: v_dual_bitop2_b32 v23, v17, v12 bitop3:0x14
	s_delay_alu instid0(VALU_DEP_2) | instskip(NEXT) | instid1(VALU_DEP_1)
	v_xor_b32_e32 v22, v15, v12
	v_sub_nc_u64_e32 v[12:13], v[22:23], v[12:13]
.LBB78_2823:
	s_or_b32 exec_lo, exec_lo, s25
	s_mov_b32 s25, 0
	s_branch .LBB78_2829
.LBB78_2824:
	s_mov_b32 s25, -1
                                        ; implicit-def: $vgpr12_vgpr13
	s_branch .LBB78_2835
.LBB78_2825:
	s_and_not1_saveexec_b32 s26, s26
	s_cbranch_execz .LBB78_2810
.LBB78_2826:
	v_cmp_ne_u16_e32 vcc_lo, 0, v15
	s_and_not1_b32 s27, s27, exec_lo
	s_and_b32 s28, vcc_lo, exec_lo
	s_delay_alu instid0(SALU_CYCLE_1)
	s_or_b32 s27, s27, s28
	s_or_b32 exec_lo, exec_lo, s26
	v_mov_b64_e32 v[12:13], 0
	s_and_saveexec_b32 s26, s27
	s_cbranch_execnz .LBB78_2811
	s_branch .LBB78_2812
.LBB78_2827:
	s_mov_b32 s25, -1
                                        ; implicit-def: $vgpr12_vgpr13
	s_branch .LBB78_2832
.LBB78_2828:
	s_mov_b32 s25, -1
                                        ; implicit-def: $vgpr12_vgpr13
.LBB78_2829:
	s_delay_alu instid0(SALU_CYCLE_1)
	s_and_b32 vcc_lo, exec_lo, s25
	s_cbranch_vccz .LBB78_2831
; %bb.2830:
	s_wait_loadcnt 0x0
	global_load_u8 v12, v[20:21], off
	s_wait_loadcnt 0x0
	v_lshlrev_b32_e32 v12, 24, v12
	s_delay_alu instid0(VALU_DEP_1) | instskip(NEXT) | instid1(VALU_DEP_1)
	v_and_b32_e32 v13, 0x7f000000, v12
	v_clz_i32_u32_e32 v15, v13
	v_add_nc_u32_e32 v19, 0x1000000, v13
	v_cmp_ne_u32_e32 vcc_lo, 0, v13
	s_delay_alu instid0(VALU_DEP_3) | instskip(NEXT) | instid1(VALU_DEP_1)
	v_min_u32_e32 v15, 32, v15
	v_sub_nc_u32_e64 v15, v15, 4 clamp
	s_delay_alu instid0(VALU_DEP_1) | instskip(NEXT) | instid1(VALU_DEP_1)
	v_dual_lshlrev_b32 v17, v15, v13 :: v_dual_lshlrev_b32 v15, 23, v15
	v_lshrrev_b32_e32 v17, 4, v17
	s_delay_alu instid0(VALU_DEP_1) | instskip(SKIP_1) | instid1(VALU_DEP_2)
	v_sub_nc_u32_e32 v15, v17, v15
	v_ashrrev_i32_e32 v17, 8, v19
	v_add_nc_u32_e32 v15, 0x3c000000, v15
	s_delay_alu instid0(VALU_DEP_1) | instskip(NEXT) | instid1(VALU_DEP_1)
	v_and_or_b32 v15, 0x7f800000, v17, v15
	v_cndmask_b32_e32 v13, 0, v15, vcc_lo
	s_delay_alu instid0(VALU_DEP_1) | instskip(NEXT) | instid1(VALU_DEP_1)
	v_and_or_b32 v12, 0x80000000, v12, v13
	v_trunc_f32_e32 v12, v12
	s_delay_alu instid0(VALU_DEP_1) | instskip(NEXT) | instid1(VALU_DEP_1)
	v_mul_f32_e64 v13, 0x2f800000, |v12|
	v_floor_f32_e32 v13, v13
	s_delay_alu instid0(VALU_DEP_1) | instskip(SKIP_2) | instid1(VALU_DEP_3)
	v_fma_f32 v15, 0xcf800000, v13, |v12|
	v_ashrrev_i32_e32 v12, 31, v12
	v_cvt_u32_f32_e32 v17, v13
	v_cvt_u32_f32_e32 v15, v15
	s_delay_alu instid0(VALU_DEP_2) | instskip(NEXT) | instid1(VALU_DEP_2)
	v_dual_mov_b32 v13, v12 :: v_dual_bitop2_b32 v23, v17, v12 bitop3:0x14
	v_xor_b32_e32 v22, v15, v12
	s_delay_alu instid0(VALU_DEP_1)
	v_sub_nc_u64_e32 v[12:13], v[22:23], v[12:13]
.LBB78_2831:
	s_mov_b32 s25, 0
.LBB78_2832:
	s_delay_alu instid0(SALU_CYCLE_1)
	s_and_not1_b32 vcc_lo, exec_lo, s25
	s_cbranch_vccnz .LBB78_2834
; %bb.2833:
	s_wait_loadcnt 0x0
	global_load_u8 v12, v[20:21], off
	s_wait_loadcnt 0x0
	v_lshlrev_b32_e32 v13, 25, v12
	v_lshlrev_b16 v12, 8, v12
	s_delay_alu instid0(VALU_DEP_1) | instskip(SKIP_1) | instid1(VALU_DEP_2)
	v_and_or_b32 v17, 0x7f00, v12, 0.5
	v_bfe_i32 v12, v12, 0, 16
	v_add_f32_e32 v17, -0.5, v17
	v_lshrrev_b32_e32 v15, 4, v13
	v_cmp_gt_u32_e32 vcc_lo, 0x8000000, v13
	s_delay_alu instid0(VALU_DEP_2) | instskip(NEXT) | instid1(VALU_DEP_1)
	v_or_b32_e32 v15, 0x70000000, v15
	v_mul_f32_e32 v15, 0x7800000, v15
	s_delay_alu instid0(VALU_DEP_1) | instskip(NEXT) | instid1(VALU_DEP_1)
	v_cndmask_b32_e32 v13, v15, v17, vcc_lo
	v_and_or_b32 v12, 0x80000000, v12, v13
	s_delay_alu instid0(VALU_DEP_1) | instskip(NEXT) | instid1(VALU_DEP_1)
	v_trunc_f32_e32 v12, v12
	v_mul_f32_e64 v13, 0x2f800000, |v12|
	s_delay_alu instid0(VALU_DEP_1) | instskip(NEXT) | instid1(VALU_DEP_1)
	v_floor_f32_e32 v13, v13
	v_fma_f32 v15, 0xcf800000, v13, |v12|
	v_ashrrev_i32_e32 v12, 31, v12
	v_cvt_u32_f32_e32 v17, v13
	s_delay_alu instid0(VALU_DEP_3) | instskip(NEXT) | instid1(VALU_DEP_2)
	v_cvt_u32_f32_e32 v15, v15
	v_dual_mov_b32 v13, v12 :: v_dual_bitop2_b32 v23, v17, v12 bitop3:0x14
	s_delay_alu instid0(VALU_DEP_2) | instskip(NEXT) | instid1(VALU_DEP_1)
	v_xor_b32_e32 v22, v15, v12
	v_sub_nc_u64_e32 v[12:13], v[22:23], v[12:13]
.LBB78_2834:
	s_mov_b32 s25, 0
	s_mov_b32 s26, -1
.LBB78_2835:
	s_and_not1_b32 vcc_lo, exec_lo, s25
	s_mov_b32 s25, 0
	s_cbranch_vccnz .LBB78_2846
; %bb.2836:
	s_cmp_gt_i32 s15, 14
	s_cbranch_scc0 .LBB78_2839
; %bb.2837:
	s_cmp_eq_u32 s15, 15
	s_cbranch_scc0 .LBB78_2842
; %bb.2838:
	s_wait_loadcnt 0x0
	global_load_u16 v12, v[20:21], off
	s_mov_b32 s24, 0
	s_mov_b32 s26, -1
	s_wait_loadcnt 0x0
	v_lshlrev_b32_e32 v12, 16, v12
	s_delay_alu instid0(VALU_DEP_1) | instskip(NEXT) | instid1(VALU_DEP_1)
	v_trunc_f32_e32 v12, v12
	v_mul_f32_e64 v13, 0x2f800000, |v12|
	s_delay_alu instid0(VALU_DEP_1) | instskip(NEXT) | instid1(VALU_DEP_1)
	v_floor_f32_e32 v13, v13
	v_fma_f32 v15, 0xcf800000, v13, |v12|
	v_ashrrev_i32_e32 v12, 31, v12
	v_cvt_u32_f32_e32 v17, v13
	s_delay_alu instid0(VALU_DEP_3) | instskip(NEXT) | instid1(VALU_DEP_2)
	v_cvt_u32_f32_e32 v15, v15
	v_dual_mov_b32 v13, v12 :: v_dual_bitop2_b32 v23, v17, v12 bitop3:0x14
	s_delay_alu instid0(VALU_DEP_2) | instskip(NEXT) | instid1(VALU_DEP_1)
	v_xor_b32_e32 v22, v15, v12
	v_sub_nc_u64_e32 v[12:13], v[22:23], v[12:13]
	s_branch .LBB78_2844
.LBB78_2839:
	s_mov_b32 s25, -1
	s_branch .LBB78_2843
.LBB78_2840:
	s_and_not1_saveexec_b32 s25, s25
	s_cbranch_execz .LBB78_2821
.LBB78_2841:
	v_cmp_ne_u16_e32 vcc_lo, 0, v15
	s_and_not1_b32 s26, s26, exec_lo
	s_and_b32 s27, vcc_lo, exec_lo
	s_delay_alu instid0(SALU_CYCLE_1)
	s_or_b32 s26, s26, s27
	s_or_b32 exec_lo, exec_lo, s25
	v_mov_b64_e32 v[12:13], 0
	s_and_saveexec_b32 s25, s26
	s_cbranch_execnz .LBB78_2822
	s_branch .LBB78_2823
.LBB78_2842:
	s_mov_b32 s24, -1
.LBB78_2843:
                                        ; implicit-def: $vgpr12_vgpr13
.LBB78_2844:
	s_and_b32 vcc_lo, exec_lo, s25
	s_mov_b32 s25, 0
	s_cbranch_vccz .LBB78_2846
; %bb.2845:
	s_cmp_lg_u32 s15, 11
	s_mov_b32 s25, -1
	s_cselect_b32 s24, -1, 0
.LBB78_2846:
	s_delay_alu instid0(SALU_CYCLE_1)
	s_and_b32 vcc_lo, exec_lo, s24
	s_cbranch_vccnz .LBB78_2911
; %bb.2847:
	s_and_not1_b32 vcc_lo, exec_lo, s25
	s_cbranch_vccnz .LBB78_2849
.LBB78_2848:
	s_wait_loadcnt 0x0
	global_load_u8 v12, v[20:21], off
	s_mov_b32 s15, 0
	s_mov_b32 s26, -1
	v_mov_b32_e32 v13, s15
	s_wait_loadcnt 0x0
	v_cmp_ne_u16_e32 vcc_lo, 0, v12
	v_cndmask_b32_e64 v12, 0, 1, vcc_lo
.LBB78_2849:
	s_mov_b32 s15, 0
.LBB78_2850:
	s_delay_alu instid0(SALU_CYCLE_1)
	s_and_b32 vcc_lo, exec_lo, s15
	s_cbranch_vccz .LBB78_2899
; %bb.2851:
	s_and_b32 s15, 0xffff, s21
	s_delay_alu instid0(SALU_CYCLE_1)
	s_cmp_lt_i32 s15, 5
	s_cbranch_scc1 .LBB78_2856
; %bb.2852:
	s_cmp_lt_i32 s15, 8
	s_cbranch_scc1 .LBB78_2857
; %bb.2853:
	s_cmp_lt_i32 s15, 9
	s_cbranch_scc1 .LBB78_2858
; %bb.2854:
	s_cmp_gt_i32 s15, 9
	s_cbranch_scc0 .LBB78_2859
; %bb.2855:
	s_wait_loadcnt 0x0
	global_load_b64 v[12:13], v[20:21], off
	s_mov_b32 s24, 0
	s_wait_loadcnt 0x0
	v_trunc_f64_e32 v[12:13], v[12:13]
	s_delay_alu instid0(VALU_DEP_1) | instskip(NEXT) | instid1(VALU_DEP_1)
	v_ldexp_f64 v[22:23], v[12:13], 0xffffffe0
	v_floor_f64_e32 v[22:23], v[22:23]
	s_delay_alu instid0(VALU_DEP_1) | instskip(SKIP_1) | instid1(VALU_DEP_2)
	v_fmamk_f64 v[24:25], v[22:23], 0xc1f00000, v[12:13]
	v_cvt_i32_f64_e32 v13, v[22:23]
	v_cvt_u32_f64_e32 v12, v[24:25]
	s_branch .LBB78_2860
.LBB78_2856:
	s_mov_b32 s24, -1
                                        ; implicit-def: $vgpr12_vgpr13
	s_branch .LBB78_2878
.LBB78_2857:
	s_mov_b32 s24, -1
                                        ; implicit-def: $vgpr12_vgpr13
	s_branch .LBB78_2866
.LBB78_2858:
	s_mov_b32 s24, -1
                                        ; implicit-def: $vgpr12_vgpr13
	s_branch .LBB78_2863
.LBB78_2859:
	s_mov_b32 s24, -1
                                        ; implicit-def: $vgpr12_vgpr13
.LBB78_2860:
	s_delay_alu instid0(SALU_CYCLE_1)
	s_and_not1_b32 vcc_lo, exec_lo, s24
	s_cbranch_vccnz .LBB78_2862
; %bb.2861:
	s_wait_loadcnt 0x0
	global_load_b32 v12, v[20:21], off
	s_wait_loadcnt 0x0
	v_trunc_f32_e32 v12, v12
	s_delay_alu instid0(VALU_DEP_1) | instskip(NEXT) | instid1(VALU_DEP_1)
	v_mul_f32_e64 v13, 0x2f800000, |v12|
	v_floor_f32_e32 v13, v13
	s_delay_alu instid0(VALU_DEP_1) | instskip(SKIP_2) | instid1(VALU_DEP_3)
	v_fma_f32 v15, 0xcf800000, v13, |v12|
	v_ashrrev_i32_e32 v12, 31, v12
	v_cvt_u32_f32_e32 v17, v13
	v_cvt_u32_f32_e32 v15, v15
	s_delay_alu instid0(VALU_DEP_2) | instskip(NEXT) | instid1(VALU_DEP_2)
	v_dual_mov_b32 v13, v12 :: v_dual_bitop2_b32 v23, v17, v12 bitop3:0x14
	v_xor_b32_e32 v22, v15, v12
	s_delay_alu instid0(VALU_DEP_1)
	v_sub_nc_u64_e32 v[12:13], v[22:23], v[12:13]
.LBB78_2862:
	s_mov_b32 s24, 0
.LBB78_2863:
	s_delay_alu instid0(SALU_CYCLE_1)
	s_and_not1_b32 vcc_lo, exec_lo, s24
	s_cbranch_vccnz .LBB78_2865
; %bb.2864:
	s_wait_loadcnt 0x0
	global_load_b32 v12, v[20:21], off
	s_wait_loadcnt 0x0
	v_cvt_f32_f16_e32 v12, v12
	s_delay_alu instid0(VALU_DEP_1) | instskip(NEXT) | instid1(VALU_DEP_1)
	v_cvt_i32_f32_e32 v12, v12
	v_ashrrev_i32_e32 v13, 31, v12
.LBB78_2865:
	s_mov_b32 s24, 0
.LBB78_2866:
	s_delay_alu instid0(SALU_CYCLE_1)
	s_and_not1_b32 vcc_lo, exec_lo, s24
	s_cbranch_vccnz .LBB78_2877
; %bb.2867:
	s_cmp_lt_i32 s15, 6
	s_cbranch_scc1 .LBB78_2870
; %bb.2868:
	s_cmp_gt_i32 s15, 6
	s_cbranch_scc0 .LBB78_2871
; %bb.2869:
	s_wait_loadcnt 0x0
	global_load_b64 v[12:13], v[20:21], off
	s_mov_b32 s24, 0
	s_wait_loadcnt 0x0
	v_trunc_f64_e32 v[12:13], v[12:13]
	s_delay_alu instid0(VALU_DEP_1) | instskip(NEXT) | instid1(VALU_DEP_1)
	v_ldexp_f64 v[22:23], v[12:13], 0xffffffe0
	v_floor_f64_e32 v[22:23], v[22:23]
	s_delay_alu instid0(VALU_DEP_1) | instskip(SKIP_1) | instid1(VALU_DEP_2)
	v_fmamk_f64 v[24:25], v[22:23], 0xc1f00000, v[12:13]
	v_cvt_i32_f64_e32 v13, v[22:23]
	v_cvt_u32_f64_e32 v12, v[24:25]
	s_branch .LBB78_2872
.LBB78_2870:
	s_mov_b32 s24, -1
                                        ; implicit-def: $vgpr12_vgpr13
	s_branch .LBB78_2875
.LBB78_2871:
	s_mov_b32 s24, -1
                                        ; implicit-def: $vgpr12_vgpr13
.LBB78_2872:
	s_delay_alu instid0(SALU_CYCLE_1)
	s_and_not1_b32 vcc_lo, exec_lo, s24
	s_cbranch_vccnz .LBB78_2874
; %bb.2873:
	s_wait_loadcnt 0x0
	global_load_b32 v12, v[20:21], off
	s_wait_loadcnt 0x0
	v_trunc_f32_e32 v12, v12
	s_delay_alu instid0(VALU_DEP_1) | instskip(NEXT) | instid1(VALU_DEP_1)
	v_mul_f32_e64 v13, 0x2f800000, |v12|
	v_floor_f32_e32 v13, v13
	s_delay_alu instid0(VALU_DEP_1) | instskip(SKIP_2) | instid1(VALU_DEP_3)
	v_fma_f32 v15, 0xcf800000, v13, |v12|
	v_ashrrev_i32_e32 v12, 31, v12
	v_cvt_u32_f32_e32 v17, v13
	v_cvt_u32_f32_e32 v15, v15
	s_delay_alu instid0(VALU_DEP_2) | instskip(NEXT) | instid1(VALU_DEP_2)
	v_dual_mov_b32 v13, v12 :: v_dual_bitop2_b32 v23, v17, v12 bitop3:0x14
	v_xor_b32_e32 v22, v15, v12
	s_delay_alu instid0(VALU_DEP_1)
	v_sub_nc_u64_e32 v[12:13], v[22:23], v[12:13]
.LBB78_2874:
	s_mov_b32 s24, 0
.LBB78_2875:
	s_delay_alu instid0(SALU_CYCLE_1)
	s_and_not1_b32 vcc_lo, exec_lo, s24
	s_cbranch_vccnz .LBB78_2877
; %bb.2876:
	s_wait_loadcnt 0x0
	global_load_u16 v12, v[20:21], off
	s_wait_loadcnt 0x0
	v_cvt_f32_f16_e32 v12, v12
	s_delay_alu instid0(VALU_DEP_1) | instskip(NEXT) | instid1(VALU_DEP_1)
	v_cvt_i32_f32_e32 v12, v12
	v_ashrrev_i32_e32 v13, 31, v12
.LBB78_2877:
	s_mov_b32 s24, 0
.LBB78_2878:
	s_delay_alu instid0(SALU_CYCLE_1)
	s_and_not1_b32 vcc_lo, exec_lo, s24
	s_cbranch_vccnz .LBB78_2898
; %bb.2879:
	s_cmp_lt_i32 s15, 2
	s_cbranch_scc1 .LBB78_2883
; %bb.2880:
	s_cmp_lt_i32 s15, 3
	s_cbranch_scc1 .LBB78_2884
; %bb.2881:
	s_cmp_gt_i32 s15, 3
	s_cbranch_scc0 .LBB78_2885
; %bb.2882:
	s_wait_loadcnt 0x0
	global_load_b64 v[12:13], v[20:21], off
	s_mov_b32 s24, 0
	s_branch .LBB78_2886
.LBB78_2883:
	s_mov_b32 s24, -1
                                        ; implicit-def: $vgpr12_vgpr13
	s_branch .LBB78_2892
.LBB78_2884:
	s_mov_b32 s24, -1
                                        ; implicit-def: $vgpr12_vgpr13
	s_branch .LBB78_2889
.LBB78_2885:
	s_mov_b32 s24, -1
                                        ; implicit-def: $vgpr12_vgpr13
.LBB78_2886:
	s_delay_alu instid0(SALU_CYCLE_1)
	s_and_not1_b32 vcc_lo, exec_lo, s24
	s_cbranch_vccnz .LBB78_2888
; %bb.2887:
	s_wait_loadcnt 0x0
	global_load_b32 v12, v[20:21], off
	s_wait_loadcnt 0x0
	v_ashrrev_i32_e32 v13, 31, v12
.LBB78_2888:
	s_mov_b32 s24, 0
.LBB78_2889:
	s_delay_alu instid0(SALU_CYCLE_1)
	s_and_not1_b32 vcc_lo, exec_lo, s24
	s_cbranch_vccnz .LBB78_2891
; %bb.2890:
	s_wait_loadcnt 0x0
	global_load_u16 v12, v[20:21], off
	s_wait_loadcnt 0x0
	v_bfe_i32 v12, v12, 0, 16
	s_delay_alu instid0(VALU_DEP_1)
	v_ashrrev_i32_e32 v13, 31, v12
.LBB78_2891:
	s_mov_b32 s24, 0
.LBB78_2892:
	s_delay_alu instid0(SALU_CYCLE_1)
	s_and_not1_b32 vcc_lo, exec_lo, s24
	s_cbranch_vccnz .LBB78_2898
; %bb.2893:
	s_cmp_gt_i32 s15, 0
	s_mov_b32 s15, 0
	s_cbranch_scc0 .LBB78_2895
; %bb.2894:
	s_wait_loadcnt 0x0
	global_load_i8 v12, v[20:21], off
	s_wait_loadcnt 0x0
	v_bfe_i32 v12, v12, 0, 16
	s_delay_alu instid0(VALU_DEP_1)
	v_ashrrev_i32_e32 v13, 31, v12
	s_branch .LBB78_2896
.LBB78_2895:
	s_mov_b32 s15, -1
                                        ; implicit-def: $vgpr12_vgpr13
.LBB78_2896:
	s_delay_alu instid0(SALU_CYCLE_1)
	s_and_not1_b32 vcc_lo, exec_lo, s15
	s_cbranch_vccnz .LBB78_2898
; %bb.2897:
	s_wait_loadcnt 0x0
	global_load_u8 v12, v[20:21], off
	s_mov_b32 s15, 0
	s_delay_alu instid0(SALU_CYCLE_1)
	v_mov_b32_e32 v13, s15
	s_wait_loadcnt 0x0
	v_and_b32_e32 v12, 0xffff, v12
.LBB78_2898:
	s_mov_b32 s26, -1
.LBB78_2899:
	s_delay_alu instid0(SALU_CYCLE_1)
	s_and_not1_b32 vcc_lo, exec_lo, s26
	s_cbranch_vccnz .LBB78_3968
; %bb.2900:
	s_wait_xcnt 0x0
	v_add_nc_u32_e32 v20, s13, v14
	s_cmp_lt_i32 s3, 11
	s_delay_alu instid0(VALU_DEP_1) | instskip(NEXT) | instid1(VALU_DEP_1)
	v_ashrrev_i32_e32 v21, 31, v20
	v_add_nc_u64_e32 v[22:23], s[8:9], v[20:21]
	s_cbranch_scc1 .LBB78_2907
; %bb.2901:
	s_and_b32 s15, 0xffff, s3
	s_mov_b32 s25, 0
	s_cmp_gt_i32 s15, 25
	s_cbranch_scc0 .LBB78_2908
; %bb.2902:
	s_cmp_gt_i32 s15, 28
	s_cbranch_scc0 .LBB78_2909
; %bb.2903:
	;; [unrolled: 3-line block ×4, first 2 shown]
	s_cmp_eq_u32 s15, 46
	s_mov_b32 s27, 0
	s_cbranch_scc0 .LBB78_2913
; %bb.2906:
	global_load_b32 v14, v[22:23], off
	s_mov_b32 s24, 0
	s_mov_b32 s26, -1
	s_wait_loadcnt 0x0
	v_lshlrev_b32_e32 v14, 16, v14
	s_delay_alu instid0(VALU_DEP_1) | instskip(NEXT) | instid1(VALU_DEP_1)
	v_trunc_f32_e32 v14, v14
	v_mul_f32_e64 v15, 0x2f800000, |v14|
	s_delay_alu instid0(VALU_DEP_1) | instskip(NEXT) | instid1(VALU_DEP_1)
	v_floor_f32_e32 v15, v15
	v_fma_f32 v17, 0xcf800000, v15, |v14|
	v_ashrrev_i32_e32 v14, 31, v14
	v_cvt_u32_f32_e32 v19, v15
	s_delay_alu instid0(VALU_DEP_3) | instskip(NEXT) | instid1(VALU_DEP_2)
	v_cvt_u32_f32_e32 v17, v17
	v_dual_mov_b32 v15, v14 :: v_dual_bitop2_b32 v25, v19, v14 bitop3:0x14
	s_delay_alu instid0(VALU_DEP_2) | instskip(NEXT) | instid1(VALU_DEP_1)
	v_xor_b32_e32 v24, v17, v14
	v_sub_nc_u64_e32 v[14:15], v[24:25], v[14:15]
	s_branch .LBB78_2915
.LBB78_2907:
	s_mov_b32 s15, -1
	s_mov_b32 s26, 0
                                        ; implicit-def: $vgpr14_vgpr15
	s_branch .LBB78_2977
.LBB78_2908:
	s_mov_b32 s27, -1
	s_mov_b32 s26, 0
	s_mov_b32 s24, 0
                                        ; implicit-def: $vgpr14_vgpr15
	s_branch .LBB78_2942
.LBB78_2909:
	s_mov_b32 s27, -1
	s_mov_b32 s26, 0
	s_mov_b32 s24, 0
                                        ; implicit-def: $vgpr14_vgpr15
	s_branch .LBB78_2925
.LBB78_2910:
	s_mov_b32 s27, -1
	s_mov_b32 s26, 0
	s_mov_b32 s24, 0
                                        ; implicit-def: $vgpr14_vgpr15
	s_branch .LBB78_2920
.LBB78_2911:
	s_or_b32 s20, s20, exec_lo
	s_trap 2
	s_cbranch_execz .LBB78_2848
	s_branch .LBB78_2849
.LBB78_2912:
	s_mov_b32 s27, -1
	s_mov_b32 s26, 0
	s_mov_b32 s24, 0
	s_branch .LBB78_2914
.LBB78_2913:
	s_mov_b32 s24, -1
	s_mov_b32 s26, 0
.LBB78_2914:
                                        ; implicit-def: $vgpr14_vgpr15
.LBB78_2915:
	s_and_b32 vcc_lo, exec_lo, s27
	s_cbranch_vccz .LBB78_2919
; %bb.2916:
	s_cmp_eq_u32 s15, 44
	s_cbranch_scc0 .LBB78_2918
; %bb.2917:
	global_load_u8 v17, v[22:23], off
	s_mov_b32 s24, 0
	s_mov_b32 s26, -1
	s_wait_loadcnt 0x0
	v_cmp_ne_u32_e32 vcc_lo, 0, v17
	v_lshlrev_b32_e32 v14, 23, v17
	s_delay_alu instid0(VALU_DEP_1) | instskip(NEXT) | instid1(VALU_DEP_1)
	v_trunc_f32_e32 v14, v14
	v_mul_f32_e64 v15, 0x2f800000, |v14|
	s_delay_alu instid0(VALU_DEP_1) | instskip(NEXT) | instid1(VALU_DEP_1)
	v_floor_f32_e32 v15, v15
	v_fma_f32 v19, 0xcf800000, v15, |v14|
	v_ashrrev_i32_e32 v14, 31, v14
	v_cvt_u32_f32_e32 v21, v15
	s_delay_alu instid0(VALU_DEP_3) | instskip(NEXT) | instid1(VALU_DEP_2)
	v_cvt_u32_f32_e32 v19, v19
	v_dual_mov_b32 v15, v14 :: v_dual_bitop2_b32 v25, v21, v14 bitop3:0x14
	s_delay_alu instid0(VALU_DEP_2) | instskip(NEXT) | instid1(VALU_DEP_1)
	v_xor_b32_e32 v24, v19, v14
	v_sub_nc_u64_e32 v[14:15], v[24:25], v[14:15]
	s_delay_alu instid0(VALU_DEP_1)
	v_dual_cndmask_b32 v15, 0, v15 :: v_dual_cndmask_b32 v14, 0, v14
	s_branch .LBB78_2919
.LBB78_2918:
	s_mov_b32 s24, -1
                                        ; implicit-def: $vgpr14_vgpr15
.LBB78_2919:
	s_mov_b32 s27, 0
.LBB78_2920:
	s_delay_alu instid0(SALU_CYCLE_1)
	s_and_b32 vcc_lo, exec_lo, s27
	s_cbranch_vccz .LBB78_2924
; %bb.2921:
	s_cmp_eq_u32 s15, 29
	s_cbranch_scc0 .LBB78_2923
; %bb.2922:
	global_load_b64 v[14:15], v[22:23], off
	s_mov_b32 s24, 0
	s_mov_b32 s26, -1
	s_branch .LBB78_2924
.LBB78_2923:
	s_mov_b32 s24, -1
                                        ; implicit-def: $vgpr14_vgpr15
.LBB78_2924:
	s_mov_b32 s27, 0
.LBB78_2925:
	s_delay_alu instid0(SALU_CYCLE_1)
	s_and_b32 vcc_lo, exec_lo, s27
	s_cbranch_vccz .LBB78_2941
; %bb.2926:
	s_cmp_lt_i32 s15, 27
	s_cbranch_scc1 .LBB78_2929
; %bb.2927:
	s_cmp_gt_i32 s15, 27
	s_cbranch_scc0 .LBB78_2930
; %bb.2928:
	s_wait_loadcnt 0x0
	global_load_b32 v14, v[22:23], off
	v_mov_b32_e32 v15, 0
	s_mov_b32 s26, 0
	s_branch .LBB78_2931
.LBB78_2929:
	s_mov_b32 s26, -1
                                        ; implicit-def: $vgpr14_vgpr15
	s_branch .LBB78_2934
.LBB78_2930:
	s_mov_b32 s26, -1
                                        ; implicit-def: $vgpr14_vgpr15
.LBB78_2931:
	s_delay_alu instid0(SALU_CYCLE_1)
	s_and_not1_b32 vcc_lo, exec_lo, s26
	s_cbranch_vccnz .LBB78_2933
; %bb.2932:
	s_wait_loadcnt 0x0
	global_load_u16 v14, v[22:23], off
	s_mov_b32 s26, 0
	s_delay_alu instid0(SALU_CYCLE_1)
	v_mov_b32_e32 v15, s26
	s_wait_loadcnt 0x0
	v_and_b32_e32 v14, 0xffff, v14
.LBB78_2933:
	s_mov_b32 s26, 0
.LBB78_2934:
	s_delay_alu instid0(SALU_CYCLE_1)
	s_and_not1_b32 vcc_lo, exec_lo, s26
	s_cbranch_vccnz .LBB78_2940
; %bb.2935:
	global_load_u8 v17, v[22:23], off
	s_mov_b32 s27, 0
	s_mov_b32 s26, exec_lo
	s_wait_loadcnt 0x0
	v_cmpx_lt_i16_e32 0x7f, v17
	s_xor_b32 s26, exec_lo, s26
	s_cbranch_execz .LBB78_2952
; %bb.2936:
	v_cmp_ne_u16_e32 vcc_lo, 0x80, v17
	s_and_b32 s27, vcc_lo, exec_lo
	s_and_not1_saveexec_b32 s26, s26
	s_cbranch_execnz .LBB78_2953
.LBB78_2937:
	s_or_b32 exec_lo, exec_lo, s26
	v_mov_b64_e32 v[14:15], 0
	s_and_saveexec_b32 s26, s27
	s_cbranch_execz .LBB78_2939
.LBB78_2938:
	v_and_b32_e32 v14, 0xffff, v17
	s_delay_alu instid0(VALU_DEP_1) | instskip(SKIP_1) | instid1(VALU_DEP_2)
	v_and_b32_e32 v15, 7, v14
	v_bfe_u32 v24, v14, 3, 4
	v_clz_i32_u32_e32 v19, v15
	s_delay_alu instid0(VALU_DEP_2) | instskip(NEXT) | instid1(VALU_DEP_2)
	v_cmp_eq_u32_e32 vcc_lo, 0, v24
	v_min_u32_e32 v19, 32, v19
	s_delay_alu instid0(VALU_DEP_1) | instskip(NEXT) | instid1(VALU_DEP_1)
	v_subrev_nc_u32_e32 v21, 28, v19
	v_dual_lshlrev_b32 v14, v21, v14 :: v_dual_sub_nc_u32 v19, 29, v19
	s_delay_alu instid0(VALU_DEP_1) | instskip(NEXT) | instid1(VALU_DEP_1)
	v_dual_lshlrev_b32 v17, 24, v17 :: v_dual_bitop2_b32 v14, 7, v14 bitop3:0x40
	v_dual_cndmask_b32 v19, v24, v19 :: v_dual_cndmask_b32 v14, v15, v14
	s_delay_alu instid0(VALU_DEP_2) | instskip(NEXT) | instid1(VALU_DEP_2)
	v_and_b32_e32 v15, 0x80000000, v17
	v_lshl_add_u32 v17, v19, 23, 0x3b800000
	s_delay_alu instid0(VALU_DEP_3) | instskip(NEXT) | instid1(VALU_DEP_1)
	v_lshlrev_b32_e32 v14, 20, v14
	v_or3_b32 v14, v15, v17, v14
	s_delay_alu instid0(VALU_DEP_1) | instskip(NEXT) | instid1(VALU_DEP_1)
	v_trunc_f32_e32 v14, v14
	v_mul_f32_e64 v15, 0x2f800000, |v14|
	s_delay_alu instid0(VALU_DEP_1) | instskip(NEXT) | instid1(VALU_DEP_1)
	v_floor_f32_e32 v15, v15
	v_fma_f32 v17, 0xcf800000, v15, |v14|
	v_ashrrev_i32_e32 v14, 31, v14
	v_cvt_u32_f32_e32 v19, v15
	s_delay_alu instid0(VALU_DEP_3) | instskip(NEXT) | instid1(VALU_DEP_2)
	v_cvt_u32_f32_e32 v17, v17
	v_dual_mov_b32 v15, v14 :: v_dual_bitop2_b32 v25, v19, v14 bitop3:0x14
	s_delay_alu instid0(VALU_DEP_2) | instskip(NEXT) | instid1(VALU_DEP_1)
	v_xor_b32_e32 v24, v17, v14
	v_sub_nc_u64_e32 v[14:15], v[24:25], v[14:15]
.LBB78_2939:
	s_or_b32 exec_lo, exec_lo, s26
.LBB78_2940:
	s_mov_b32 s26, -1
.LBB78_2941:
	s_mov_b32 s27, 0
.LBB78_2942:
	s_delay_alu instid0(SALU_CYCLE_1)
	s_and_b32 vcc_lo, exec_lo, s27
	s_cbranch_vccz .LBB78_2973
; %bb.2943:
	s_cmp_gt_i32 s15, 22
	s_cbranch_scc0 .LBB78_2951
; %bb.2944:
	s_cmp_lt_i32 s15, 24
	s_cbranch_scc1 .LBB78_2954
; %bb.2945:
	s_cmp_gt_i32 s15, 24
	s_cbranch_scc0 .LBB78_2955
; %bb.2946:
	global_load_u8 v17, v[22:23], off
	s_mov_b32 s26, 0
	s_mov_b32 s25, exec_lo
	s_wait_loadcnt 0x0
	v_cmpx_lt_i16_e32 0x7f, v17
	s_xor_b32 s25, exec_lo, s25
	s_cbranch_execz .LBB78_2967
; %bb.2947:
	v_cmp_ne_u16_e32 vcc_lo, 0x80, v17
	s_and_b32 s26, vcc_lo, exec_lo
	s_and_not1_saveexec_b32 s25, s25
	s_cbranch_execnz .LBB78_2968
.LBB78_2948:
	s_or_b32 exec_lo, exec_lo, s25
	v_mov_b64_e32 v[14:15], 0
	s_and_saveexec_b32 s25, s26
	s_cbranch_execz .LBB78_2950
.LBB78_2949:
	v_and_b32_e32 v14, 0xffff, v17
	s_delay_alu instid0(VALU_DEP_1) | instskip(SKIP_1) | instid1(VALU_DEP_2)
	v_and_b32_e32 v15, 3, v14
	v_bfe_u32 v24, v14, 2, 5
	v_clz_i32_u32_e32 v19, v15
	s_delay_alu instid0(VALU_DEP_2) | instskip(NEXT) | instid1(VALU_DEP_2)
	v_cmp_eq_u32_e32 vcc_lo, 0, v24
	v_min_u32_e32 v19, 32, v19
	s_delay_alu instid0(VALU_DEP_1) | instskip(NEXT) | instid1(VALU_DEP_1)
	v_subrev_nc_u32_e32 v21, 29, v19
	v_dual_lshlrev_b32 v14, v21, v14 :: v_dual_sub_nc_u32 v19, 30, v19
	s_delay_alu instid0(VALU_DEP_1) | instskip(NEXT) | instid1(VALU_DEP_1)
	v_dual_lshlrev_b32 v17, 24, v17 :: v_dual_bitop2_b32 v14, 3, v14 bitop3:0x40
	v_dual_cndmask_b32 v19, v24, v19 :: v_dual_cndmask_b32 v14, v15, v14
	s_delay_alu instid0(VALU_DEP_2) | instskip(NEXT) | instid1(VALU_DEP_2)
	v_and_b32_e32 v15, 0x80000000, v17
	v_lshl_add_u32 v17, v19, 23, 0x37800000
	s_delay_alu instid0(VALU_DEP_3) | instskip(NEXT) | instid1(VALU_DEP_1)
	v_lshlrev_b32_e32 v14, 21, v14
	v_or3_b32 v14, v15, v17, v14
	s_delay_alu instid0(VALU_DEP_1) | instskip(NEXT) | instid1(VALU_DEP_1)
	v_trunc_f32_e32 v14, v14
	v_mul_f32_e64 v15, 0x2f800000, |v14|
	s_delay_alu instid0(VALU_DEP_1) | instskip(NEXT) | instid1(VALU_DEP_1)
	v_floor_f32_e32 v15, v15
	v_fma_f32 v17, 0xcf800000, v15, |v14|
	v_ashrrev_i32_e32 v14, 31, v14
	v_cvt_u32_f32_e32 v19, v15
	s_delay_alu instid0(VALU_DEP_3) | instskip(NEXT) | instid1(VALU_DEP_2)
	v_cvt_u32_f32_e32 v17, v17
	v_dual_mov_b32 v15, v14 :: v_dual_bitop2_b32 v25, v19, v14 bitop3:0x14
	s_delay_alu instid0(VALU_DEP_2) | instskip(NEXT) | instid1(VALU_DEP_1)
	v_xor_b32_e32 v24, v17, v14
	v_sub_nc_u64_e32 v[14:15], v[24:25], v[14:15]
.LBB78_2950:
	s_or_b32 exec_lo, exec_lo, s25
	s_mov_b32 s25, 0
	s_branch .LBB78_2956
.LBB78_2951:
	s_mov_b32 s25, -1
                                        ; implicit-def: $vgpr14_vgpr15
	s_branch .LBB78_2962
.LBB78_2952:
	s_and_not1_saveexec_b32 s26, s26
	s_cbranch_execz .LBB78_2937
.LBB78_2953:
	v_cmp_ne_u16_e32 vcc_lo, 0, v17
	s_and_not1_b32 s27, s27, exec_lo
	s_and_b32 s28, vcc_lo, exec_lo
	s_delay_alu instid0(SALU_CYCLE_1)
	s_or_b32 s27, s27, s28
	s_or_b32 exec_lo, exec_lo, s26
	v_mov_b64_e32 v[14:15], 0
	s_and_saveexec_b32 s26, s27
	s_cbranch_execnz .LBB78_2938
	s_branch .LBB78_2939
.LBB78_2954:
	s_mov_b32 s25, -1
                                        ; implicit-def: $vgpr14_vgpr15
	s_branch .LBB78_2959
.LBB78_2955:
	s_mov_b32 s25, -1
                                        ; implicit-def: $vgpr14_vgpr15
.LBB78_2956:
	s_delay_alu instid0(SALU_CYCLE_1)
	s_and_b32 vcc_lo, exec_lo, s25
	s_cbranch_vccz .LBB78_2958
; %bb.2957:
	s_wait_loadcnt 0x0
	global_load_u8 v14, v[22:23], off
	s_wait_loadcnt 0x0
	v_lshlrev_b32_e32 v14, 24, v14
	s_delay_alu instid0(VALU_DEP_1) | instskip(NEXT) | instid1(VALU_DEP_1)
	v_and_b32_e32 v15, 0x7f000000, v14
	v_clz_i32_u32_e32 v17, v15
	v_add_nc_u32_e32 v21, 0x1000000, v15
	v_cmp_ne_u32_e32 vcc_lo, 0, v15
	s_delay_alu instid0(VALU_DEP_3) | instskip(NEXT) | instid1(VALU_DEP_1)
	v_min_u32_e32 v17, 32, v17
	v_sub_nc_u32_e64 v17, v17, 4 clamp
	s_delay_alu instid0(VALU_DEP_1) | instskip(NEXT) | instid1(VALU_DEP_1)
	v_dual_lshlrev_b32 v19, v17, v15 :: v_dual_lshlrev_b32 v17, 23, v17
	v_lshrrev_b32_e32 v19, 4, v19
	s_delay_alu instid0(VALU_DEP_1) | instskip(SKIP_1) | instid1(VALU_DEP_2)
	v_sub_nc_u32_e32 v17, v19, v17
	v_ashrrev_i32_e32 v19, 8, v21
	v_add_nc_u32_e32 v17, 0x3c000000, v17
	s_delay_alu instid0(VALU_DEP_1) | instskip(NEXT) | instid1(VALU_DEP_1)
	v_and_or_b32 v17, 0x7f800000, v19, v17
	v_cndmask_b32_e32 v15, 0, v17, vcc_lo
	s_delay_alu instid0(VALU_DEP_1) | instskip(NEXT) | instid1(VALU_DEP_1)
	v_and_or_b32 v14, 0x80000000, v14, v15
	v_trunc_f32_e32 v14, v14
	s_delay_alu instid0(VALU_DEP_1) | instskip(NEXT) | instid1(VALU_DEP_1)
	v_mul_f32_e64 v15, 0x2f800000, |v14|
	v_floor_f32_e32 v15, v15
	s_delay_alu instid0(VALU_DEP_1) | instskip(SKIP_2) | instid1(VALU_DEP_3)
	v_fma_f32 v17, 0xcf800000, v15, |v14|
	v_ashrrev_i32_e32 v14, 31, v14
	v_cvt_u32_f32_e32 v19, v15
	v_cvt_u32_f32_e32 v17, v17
	s_delay_alu instid0(VALU_DEP_2) | instskip(NEXT) | instid1(VALU_DEP_2)
	v_dual_mov_b32 v15, v14 :: v_dual_bitop2_b32 v25, v19, v14 bitop3:0x14
	v_xor_b32_e32 v24, v17, v14
	s_delay_alu instid0(VALU_DEP_1)
	v_sub_nc_u64_e32 v[14:15], v[24:25], v[14:15]
.LBB78_2958:
	s_mov_b32 s25, 0
.LBB78_2959:
	s_delay_alu instid0(SALU_CYCLE_1)
	s_and_not1_b32 vcc_lo, exec_lo, s25
	s_cbranch_vccnz .LBB78_2961
; %bb.2960:
	s_wait_loadcnt 0x0
	global_load_u8 v14, v[22:23], off
	s_wait_loadcnt 0x0
	v_lshlrev_b32_e32 v15, 25, v14
	v_lshlrev_b16 v14, 8, v14
	s_delay_alu instid0(VALU_DEP_1) | instskip(SKIP_1) | instid1(VALU_DEP_2)
	v_and_or_b32 v19, 0x7f00, v14, 0.5
	v_bfe_i32 v14, v14, 0, 16
	v_add_f32_e32 v19, -0.5, v19
	v_lshrrev_b32_e32 v17, 4, v15
	v_cmp_gt_u32_e32 vcc_lo, 0x8000000, v15
	s_delay_alu instid0(VALU_DEP_2) | instskip(NEXT) | instid1(VALU_DEP_1)
	v_or_b32_e32 v17, 0x70000000, v17
	v_mul_f32_e32 v17, 0x7800000, v17
	s_delay_alu instid0(VALU_DEP_1) | instskip(NEXT) | instid1(VALU_DEP_1)
	v_cndmask_b32_e32 v15, v17, v19, vcc_lo
	v_and_or_b32 v14, 0x80000000, v14, v15
	s_delay_alu instid0(VALU_DEP_1) | instskip(NEXT) | instid1(VALU_DEP_1)
	v_trunc_f32_e32 v14, v14
	v_mul_f32_e64 v15, 0x2f800000, |v14|
	s_delay_alu instid0(VALU_DEP_1) | instskip(NEXT) | instid1(VALU_DEP_1)
	v_floor_f32_e32 v15, v15
	v_fma_f32 v17, 0xcf800000, v15, |v14|
	v_ashrrev_i32_e32 v14, 31, v14
	v_cvt_u32_f32_e32 v19, v15
	s_delay_alu instid0(VALU_DEP_3) | instskip(NEXT) | instid1(VALU_DEP_2)
	v_cvt_u32_f32_e32 v17, v17
	v_dual_mov_b32 v15, v14 :: v_dual_bitop2_b32 v25, v19, v14 bitop3:0x14
	s_delay_alu instid0(VALU_DEP_2) | instskip(NEXT) | instid1(VALU_DEP_1)
	v_xor_b32_e32 v24, v17, v14
	v_sub_nc_u64_e32 v[14:15], v[24:25], v[14:15]
.LBB78_2961:
	s_mov_b32 s25, 0
	s_mov_b32 s26, -1
.LBB78_2962:
	s_and_not1_b32 vcc_lo, exec_lo, s25
	s_mov_b32 s25, 0
	s_cbranch_vccnz .LBB78_2973
; %bb.2963:
	s_cmp_gt_i32 s15, 14
	s_cbranch_scc0 .LBB78_2966
; %bb.2964:
	s_cmp_eq_u32 s15, 15
	s_cbranch_scc0 .LBB78_2969
; %bb.2965:
	s_wait_loadcnt 0x0
	global_load_u16 v14, v[22:23], off
	s_mov_b32 s24, 0
	s_mov_b32 s26, -1
	s_wait_loadcnt 0x0
	v_lshlrev_b32_e32 v14, 16, v14
	s_delay_alu instid0(VALU_DEP_1) | instskip(NEXT) | instid1(VALU_DEP_1)
	v_trunc_f32_e32 v14, v14
	v_mul_f32_e64 v15, 0x2f800000, |v14|
	s_delay_alu instid0(VALU_DEP_1) | instskip(NEXT) | instid1(VALU_DEP_1)
	v_floor_f32_e32 v15, v15
	v_fma_f32 v17, 0xcf800000, v15, |v14|
	v_ashrrev_i32_e32 v14, 31, v14
	v_cvt_u32_f32_e32 v19, v15
	s_delay_alu instid0(VALU_DEP_3) | instskip(NEXT) | instid1(VALU_DEP_2)
	v_cvt_u32_f32_e32 v17, v17
	v_dual_mov_b32 v15, v14 :: v_dual_bitop2_b32 v25, v19, v14 bitop3:0x14
	s_delay_alu instid0(VALU_DEP_2) | instskip(NEXT) | instid1(VALU_DEP_1)
	v_xor_b32_e32 v24, v17, v14
	v_sub_nc_u64_e32 v[14:15], v[24:25], v[14:15]
	s_branch .LBB78_2971
.LBB78_2966:
	s_mov_b32 s25, -1
	s_branch .LBB78_2970
.LBB78_2967:
	s_and_not1_saveexec_b32 s25, s25
	s_cbranch_execz .LBB78_2948
.LBB78_2968:
	v_cmp_ne_u16_e32 vcc_lo, 0, v17
	s_and_not1_b32 s26, s26, exec_lo
	s_and_b32 s27, vcc_lo, exec_lo
	s_delay_alu instid0(SALU_CYCLE_1)
	s_or_b32 s26, s26, s27
	s_or_b32 exec_lo, exec_lo, s25
	v_mov_b64_e32 v[14:15], 0
	s_and_saveexec_b32 s25, s26
	s_cbranch_execnz .LBB78_2949
	s_branch .LBB78_2950
.LBB78_2969:
	s_mov_b32 s24, -1
.LBB78_2970:
                                        ; implicit-def: $vgpr14_vgpr15
.LBB78_2971:
	s_and_b32 vcc_lo, exec_lo, s25
	s_mov_b32 s25, 0
	s_cbranch_vccz .LBB78_2973
; %bb.2972:
	s_cmp_lg_u32 s15, 11
	s_mov_b32 s25, -1
	s_cselect_b32 s24, -1, 0
.LBB78_2973:
	s_delay_alu instid0(SALU_CYCLE_1)
	s_and_b32 vcc_lo, exec_lo, s24
	s_cbranch_vccnz .LBB78_3038
; %bb.2974:
	s_and_not1_b32 vcc_lo, exec_lo, s25
	s_cbranch_vccnz .LBB78_2976
.LBB78_2975:
	s_wait_loadcnt 0x0
	global_load_u8 v14, v[22:23], off
	s_mov_b32 s15, 0
	s_mov_b32 s26, -1
	v_mov_b32_e32 v15, s15
	s_wait_loadcnt 0x0
	v_cmp_ne_u16_e32 vcc_lo, 0, v14
	v_cndmask_b32_e64 v14, 0, 1, vcc_lo
.LBB78_2976:
	s_mov_b32 s15, 0
.LBB78_2977:
	s_delay_alu instid0(SALU_CYCLE_1)
	s_and_b32 vcc_lo, exec_lo, s15
	s_cbranch_vccz .LBB78_3026
; %bb.2978:
	s_and_b32 s15, 0xffff, s3
	s_delay_alu instid0(SALU_CYCLE_1)
	s_cmp_lt_i32 s15, 5
	s_cbranch_scc1 .LBB78_2983
; %bb.2979:
	s_cmp_lt_i32 s15, 8
	s_cbranch_scc1 .LBB78_2984
; %bb.2980:
	s_cmp_lt_i32 s15, 9
	s_cbranch_scc1 .LBB78_2985
; %bb.2981:
	s_cmp_gt_i32 s15, 9
	s_cbranch_scc0 .LBB78_2986
; %bb.2982:
	s_wait_loadcnt 0x0
	global_load_b64 v[14:15], v[22:23], off
	s_mov_b32 s24, 0
	s_wait_loadcnt 0x0
	v_trunc_f64_e32 v[14:15], v[14:15]
	s_delay_alu instid0(VALU_DEP_1) | instskip(NEXT) | instid1(VALU_DEP_1)
	v_ldexp_f64 v[24:25], v[14:15], 0xffffffe0
	v_floor_f64_e32 v[24:25], v[24:25]
	s_delay_alu instid0(VALU_DEP_1) | instskip(SKIP_1) | instid1(VALU_DEP_2)
	v_fmamk_f64 v[28:29], v[24:25], 0xc1f00000, v[14:15]
	v_cvt_i32_f64_e32 v15, v[24:25]
	v_cvt_u32_f64_e32 v14, v[28:29]
	s_branch .LBB78_2987
.LBB78_2983:
	s_mov_b32 s24, -1
                                        ; implicit-def: $vgpr14_vgpr15
	s_branch .LBB78_3005
.LBB78_2984:
	s_mov_b32 s24, -1
                                        ; implicit-def: $vgpr14_vgpr15
	s_branch .LBB78_2993
.LBB78_2985:
	s_mov_b32 s24, -1
                                        ; implicit-def: $vgpr14_vgpr15
	s_branch .LBB78_2990
.LBB78_2986:
	s_mov_b32 s24, -1
                                        ; implicit-def: $vgpr14_vgpr15
.LBB78_2987:
	s_delay_alu instid0(SALU_CYCLE_1)
	s_and_not1_b32 vcc_lo, exec_lo, s24
	s_cbranch_vccnz .LBB78_2989
; %bb.2988:
	s_wait_loadcnt 0x0
	global_load_b32 v14, v[22:23], off
	s_wait_loadcnt 0x0
	v_trunc_f32_e32 v14, v14
	s_delay_alu instid0(VALU_DEP_1) | instskip(NEXT) | instid1(VALU_DEP_1)
	v_mul_f32_e64 v15, 0x2f800000, |v14|
	v_floor_f32_e32 v15, v15
	s_delay_alu instid0(VALU_DEP_1) | instskip(SKIP_2) | instid1(VALU_DEP_3)
	v_fma_f32 v17, 0xcf800000, v15, |v14|
	v_ashrrev_i32_e32 v14, 31, v14
	v_cvt_u32_f32_e32 v19, v15
	v_cvt_u32_f32_e32 v17, v17
	s_delay_alu instid0(VALU_DEP_2) | instskip(NEXT) | instid1(VALU_DEP_2)
	v_dual_mov_b32 v15, v14 :: v_dual_bitop2_b32 v25, v19, v14 bitop3:0x14
	v_xor_b32_e32 v24, v17, v14
	s_delay_alu instid0(VALU_DEP_1)
	v_sub_nc_u64_e32 v[14:15], v[24:25], v[14:15]
.LBB78_2989:
	s_mov_b32 s24, 0
.LBB78_2990:
	s_delay_alu instid0(SALU_CYCLE_1)
	s_and_not1_b32 vcc_lo, exec_lo, s24
	s_cbranch_vccnz .LBB78_2992
; %bb.2991:
	s_wait_loadcnt 0x0
	global_load_b32 v14, v[22:23], off
	s_wait_loadcnt 0x0
	v_cvt_f32_f16_e32 v14, v14
	s_delay_alu instid0(VALU_DEP_1) | instskip(NEXT) | instid1(VALU_DEP_1)
	v_cvt_i32_f32_e32 v14, v14
	v_ashrrev_i32_e32 v15, 31, v14
.LBB78_2992:
	s_mov_b32 s24, 0
.LBB78_2993:
	s_delay_alu instid0(SALU_CYCLE_1)
	s_and_not1_b32 vcc_lo, exec_lo, s24
	s_cbranch_vccnz .LBB78_3004
; %bb.2994:
	s_cmp_lt_i32 s15, 6
	s_cbranch_scc1 .LBB78_2997
; %bb.2995:
	s_cmp_gt_i32 s15, 6
	s_cbranch_scc0 .LBB78_2998
; %bb.2996:
	s_wait_loadcnt 0x0
	global_load_b64 v[14:15], v[22:23], off
	s_mov_b32 s24, 0
	s_wait_loadcnt 0x0
	v_trunc_f64_e32 v[14:15], v[14:15]
	s_delay_alu instid0(VALU_DEP_1) | instskip(NEXT) | instid1(VALU_DEP_1)
	v_ldexp_f64 v[24:25], v[14:15], 0xffffffe0
	v_floor_f64_e32 v[24:25], v[24:25]
	s_delay_alu instid0(VALU_DEP_1) | instskip(SKIP_1) | instid1(VALU_DEP_2)
	v_fmamk_f64 v[28:29], v[24:25], 0xc1f00000, v[14:15]
	v_cvt_i32_f64_e32 v15, v[24:25]
	v_cvt_u32_f64_e32 v14, v[28:29]
	s_branch .LBB78_2999
.LBB78_2997:
	s_mov_b32 s24, -1
                                        ; implicit-def: $vgpr14_vgpr15
	s_branch .LBB78_3002
.LBB78_2998:
	s_mov_b32 s24, -1
                                        ; implicit-def: $vgpr14_vgpr15
.LBB78_2999:
	s_delay_alu instid0(SALU_CYCLE_1)
	s_and_not1_b32 vcc_lo, exec_lo, s24
	s_cbranch_vccnz .LBB78_3001
; %bb.3000:
	s_wait_loadcnt 0x0
	global_load_b32 v14, v[22:23], off
	s_wait_loadcnt 0x0
	v_trunc_f32_e32 v14, v14
	s_delay_alu instid0(VALU_DEP_1) | instskip(NEXT) | instid1(VALU_DEP_1)
	v_mul_f32_e64 v15, 0x2f800000, |v14|
	v_floor_f32_e32 v15, v15
	s_delay_alu instid0(VALU_DEP_1) | instskip(SKIP_2) | instid1(VALU_DEP_3)
	v_fma_f32 v17, 0xcf800000, v15, |v14|
	v_ashrrev_i32_e32 v14, 31, v14
	v_cvt_u32_f32_e32 v19, v15
	v_cvt_u32_f32_e32 v17, v17
	s_delay_alu instid0(VALU_DEP_2) | instskip(NEXT) | instid1(VALU_DEP_2)
	v_dual_mov_b32 v15, v14 :: v_dual_bitop2_b32 v25, v19, v14 bitop3:0x14
	v_xor_b32_e32 v24, v17, v14
	s_delay_alu instid0(VALU_DEP_1)
	v_sub_nc_u64_e32 v[14:15], v[24:25], v[14:15]
.LBB78_3001:
	s_mov_b32 s24, 0
.LBB78_3002:
	s_delay_alu instid0(SALU_CYCLE_1)
	s_and_not1_b32 vcc_lo, exec_lo, s24
	s_cbranch_vccnz .LBB78_3004
; %bb.3003:
	s_wait_loadcnt 0x0
	global_load_u16 v14, v[22:23], off
	s_wait_loadcnt 0x0
	v_cvt_f32_f16_e32 v14, v14
	s_delay_alu instid0(VALU_DEP_1) | instskip(NEXT) | instid1(VALU_DEP_1)
	v_cvt_i32_f32_e32 v14, v14
	v_ashrrev_i32_e32 v15, 31, v14
.LBB78_3004:
	s_mov_b32 s24, 0
.LBB78_3005:
	s_delay_alu instid0(SALU_CYCLE_1)
	s_and_not1_b32 vcc_lo, exec_lo, s24
	s_cbranch_vccnz .LBB78_3025
; %bb.3006:
	s_cmp_lt_i32 s15, 2
	s_cbranch_scc1 .LBB78_3010
; %bb.3007:
	s_cmp_lt_i32 s15, 3
	s_cbranch_scc1 .LBB78_3011
; %bb.3008:
	s_cmp_gt_i32 s15, 3
	s_cbranch_scc0 .LBB78_3012
; %bb.3009:
	s_wait_loadcnt 0x0
	global_load_b64 v[14:15], v[22:23], off
	s_mov_b32 s24, 0
	s_branch .LBB78_3013
.LBB78_3010:
	s_mov_b32 s24, -1
                                        ; implicit-def: $vgpr14_vgpr15
	s_branch .LBB78_3019
.LBB78_3011:
	s_mov_b32 s24, -1
                                        ; implicit-def: $vgpr14_vgpr15
	s_branch .LBB78_3016
.LBB78_3012:
	s_mov_b32 s24, -1
                                        ; implicit-def: $vgpr14_vgpr15
.LBB78_3013:
	s_delay_alu instid0(SALU_CYCLE_1)
	s_and_not1_b32 vcc_lo, exec_lo, s24
	s_cbranch_vccnz .LBB78_3015
; %bb.3014:
	s_wait_loadcnt 0x0
	global_load_b32 v14, v[22:23], off
	s_wait_loadcnt 0x0
	v_ashrrev_i32_e32 v15, 31, v14
.LBB78_3015:
	s_mov_b32 s24, 0
.LBB78_3016:
	s_delay_alu instid0(SALU_CYCLE_1)
	s_and_not1_b32 vcc_lo, exec_lo, s24
	s_cbranch_vccnz .LBB78_3018
; %bb.3017:
	s_wait_loadcnt 0x0
	global_load_u16 v14, v[22:23], off
	s_wait_loadcnt 0x0
	v_bfe_i32 v14, v14, 0, 16
	s_delay_alu instid0(VALU_DEP_1)
	v_ashrrev_i32_e32 v15, 31, v14
.LBB78_3018:
	s_mov_b32 s24, 0
.LBB78_3019:
	s_delay_alu instid0(SALU_CYCLE_1)
	s_and_not1_b32 vcc_lo, exec_lo, s24
	s_cbranch_vccnz .LBB78_3025
; %bb.3020:
	s_cmp_gt_i32 s15, 0
	s_mov_b32 s15, 0
	s_cbranch_scc0 .LBB78_3022
; %bb.3021:
	s_wait_loadcnt 0x0
	global_load_i8 v14, v[22:23], off
	s_wait_loadcnt 0x0
	v_bfe_i32 v14, v14, 0, 16
	s_delay_alu instid0(VALU_DEP_1)
	v_ashrrev_i32_e32 v15, 31, v14
	s_branch .LBB78_3023
.LBB78_3022:
	s_mov_b32 s15, -1
                                        ; implicit-def: $vgpr14_vgpr15
.LBB78_3023:
	s_delay_alu instid0(SALU_CYCLE_1)
	s_and_not1_b32 vcc_lo, exec_lo, s15
	s_cbranch_vccnz .LBB78_3025
; %bb.3024:
	s_wait_loadcnt 0x0
	global_load_u8 v14, v[22:23], off
	s_mov_b32 s15, 0
	s_delay_alu instid0(SALU_CYCLE_1)
	v_mov_b32_e32 v15, s15
	s_wait_loadcnt 0x0
	v_and_b32_e32 v14, 0xffff, v14
.LBB78_3025:
	s_mov_b32 s26, -1
.LBB78_3026:
	s_delay_alu instid0(SALU_CYCLE_1)
	s_and_not1_b32 vcc_lo, exec_lo, s26
	s_cbranch_vccnz .LBB78_3968
; %bb.3027:
	s_wait_xcnt 0x0
	v_add_nc_u32_e32 v22, s14, v16
	s_cmp_lt_i32 s0, 11
	s_delay_alu instid0(VALU_DEP_1) | instskip(NEXT) | instid1(VALU_DEP_1)
	v_ashrrev_i32_e32 v23, 31, v22
	v_add_nc_u64_e32 v[24:25], s[10:11], v[22:23]
	s_cbranch_scc1 .LBB78_3034
; %bb.3028:
	s_cmp_gt_i32 s0, 25
	s_mov_b32 s24, 0
	s_cbranch_scc0 .LBB78_3035
; %bb.3029:
	s_cmp_gt_i32 s0, 28
	s_cbranch_scc0 .LBB78_3036
; %bb.3030:
	s_cmp_gt_i32 s0, 43
	;; [unrolled: 3-line block ×3, first 2 shown]
	s_cbranch_scc0 .LBB78_3039
; %bb.3032:
	s_cmp_eq_u32 s0, 46
	s_mov_b32 s26, 0
	s_cbranch_scc0 .LBB78_3040
; %bb.3033:
	global_load_b32 v16, v[24:25], off
	s_mov_b32 s15, 0
	s_mov_b32 s25, -1
	s_wait_loadcnt 0x0
	v_lshlrev_b32_e32 v16, 16, v16
	s_delay_alu instid0(VALU_DEP_1) | instskip(NEXT) | instid1(VALU_DEP_1)
	v_trunc_f32_e32 v16, v16
	v_mul_f32_e64 v17, 0x2f800000, |v16|
	s_delay_alu instid0(VALU_DEP_1) | instskip(NEXT) | instid1(VALU_DEP_1)
	v_floor_f32_e32 v17, v17
	v_fma_f32 v19, 0xcf800000, v17, |v16|
	v_ashrrev_i32_e32 v16, 31, v16
	v_cvt_u32_f32_e32 v21, v17
	s_delay_alu instid0(VALU_DEP_3) | instskip(NEXT) | instid1(VALU_DEP_2)
	v_cvt_u32_f32_e32 v19, v19
	v_dual_mov_b32 v17, v16 :: v_dual_bitop2_b32 v29, v21, v16 bitop3:0x14
	s_delay_alu instid0(VALU_DEP_2) | instskip(NEXT) | instid1(VALU_DEP_1)
	v_xor_b32_e32 v28, v19, v16
	v_sub_nc_u64_e32 v[16:17], v[28:29], v[16:17]
	s_branch .LBB78_3042
.LBB78_3034:
	s_mov_b32 s15, -1
	s_mov_b32 s25, 0
                                        ; implicit-def: $vgpr16_vgpr17
	s_branch .LBB78_3104
.LBB78_3035:
	s_mov_b32 s26, -1
	s_mov_b32 s25, 0
	s_mov_b32 s15, 0
                                        ; implicit-def: $vgpr16_vgpr17
	s_branch .LBB78_3069
.LBB78_3036:
	s_mov_b32 s26, -1
	s_mov_b32 s25, 0
	s_mov_b32 s15, 0
                                        ; implicit-def: $vgpr16_vgpr17
	s_branch .LBB78_3052
.LBB78_3037:
	s_mov_b32 s26, -1
	s_mov_b32 s25, 0
	s_mov_b32 s15, 0
                                        ; implicit-def: $vgpr16_vgpr17
	s_branch .LBB78_3047
.LBB78_3038:
	s_or_b32 s20, s20, exec_lo
	s_trap 2
	s_cbranch_execz .LBB78_2975
	s_branch .LBB78_2976
.LBB78_3039:
	s_mov_b32 s26, -1
	s_mov_b32 s25, 0
	s_mov_b32 s15, 0
	s_branch .LBB78_3041
.LBB78_3040:
	s_mov_b32 s15, -1
	s_mov_b32 s25, 0
.LBB78_3041:
                                        ; implicit-def: $vgpr16_vgpr17
.LBB78_3042:
	s_and_b32 vcc_lo, exec_lo, s26
	s_cbranch_vccz .LBB78_3046
; %bb.3043:
	s_cmp_eq_u32 s0, 44
	s_cbranch_scc0 .LBB78_3045
; %bb.3044:
	global_load_u8 v19, v[24:25], off
	s_mov_b32 s15, 0
	s_mov_b32 s25, -1
	s_wait_loadcnt 0x0
	v_cmp_ne_u32_e32 vcc_lo, 0, v19
	v_lshlrev_b32_e32 v16, 23, v19
	s_delay_alu instid0(VALU_DEP_1) | instskip(NEXT) | instid1(VALU_DEP_1)
	v_trunc_f32_e32 v16, v16
	v_mul_f32_e64 v17, 0x2f800000, |v16|
	s_delay_alu instid0(VALU_DEP_1) | instskip(NEXT) | instid1(VALU_DEP_1)
	v_floor_f32_e32 v17, v17
	v_fma_f32 v21, 0xcf800000, v17, |v16|
	v_ashrrev_i32_e32 v16, 31, v16
	v_cvt_u32_f32_e32 v23, v17
	s_delay_alu instid0(VALU_DEP_3) | instskip(NEXT) | instid1(VALU_DEP_2)
	v_cvt_u32_f32_e32 v21, v21
	v_dual_mov_b32 v17, v16 :: v_dual_bitop2_b32 v29, v23, v16 bitop3:0x14
	s_delay_alu instid0(VALU_DEP_2) | instskip(NEXT) | instid1(VALU_DEP_1)
	v_xor_b32_e32 v28, v21, v16
	v_sub_nc_u64_e32 v[16:17], v[28:29], v[16:17]
	s_delay_alu instid0(VALU_DEP_1)
	v_dual_cndmask_b32 v17, 0, v17 :: v_dual_cndmask_b32 v16, 0, v16
	s_branch .LBB78_3046
.LBB78_3045:
	s_mov_b32 s15, -1
                                        ; implicit-def: $vgpr16_vgpr17
.LBB78_3046:
	s_mov_b32 s26, 0
.LBB78_3047:
	s_delay_alu instid0(SALU_CYCLE_1)
	s_and_b32 vcc_lo, exec_lo, s26
	s_cbranch_vccz .LBB78_3051
; %bb.3048:
	s_cmp_eq_u32 s0, 29
	s_cbranch_scc0 .LBB78_3050
; %bb.3049:
	global_load_b64 v[16:17], v[24:25], off
	s_mov_b32 s15, 0
	s_mov_b32 s25, -1
	s_branch .LBB78_3051
.LBB78_3050:
	s_mov_b32 s15, -1
                                        ; implicit-def: $vgpr16_vgpr17
.LBB78_3051:
	s_mov_b32 s26, 0
.LBB78_3052:
	s_delay_alu instid0(SALU_CYCLE_1)
	s_and_b32 vcc_lo, exec_lo, s26
	s_cbranch_vccz .LBB78_3068
; %bb.3053:
	s_cmp_lt_i32 s0, 27
	s_cbranch_scc1 .LBB78_3056
; %bb.3054:
	s_cmp_gt_i32 s0, 27
	s_cbranch_scc0 .LBB78_3057
; %bb.3055:
	s_wait_loadcnt 0x0
	global_load_b32 v16, v[24:25], off
	v_mov_b32_e32 v17, 0
	s_mov_b32 s25, 0
	s_branch .LBB78_3058
.LBB78_3056:
	s_mov_b32 s25, -1
                                        ; implicit-def: $vgpr16_vgpr17
	s_branch .LBB78_3061
.LBB78_3057:
	s_mov_b32 s25, -1
                                        ; implicit-def: $vgpr16_vgpr17
.LBB78_3058:
	s_delay_alu instid0(SALU_CYCLE_1)
	s_and_not1_b32 vcc_lo, exec_lo, s25
	s_cbranch_vccnz .LBB78_3060
; %bb.3059:
	s_wait_loadcnt 0x0
	global_load_u16 v16, v[24:25], off
	s_mov_b32 s25, 0
	s_delay_alu instid0(SALU_CYCLE_1)
	v_mov_b32_e32 v17, s25
	s_wait_loadcnt 0x0
	v_and_b32_e32 v16, 0xffff, v16
.LBB78_3060:
	s_mov_b32 s25, 0
.LBB78_3061:
	s_delay_alu instid0(SALU_CYCLE_1)
	s_and_not1_b32 vcc_lo, exec_lo, s25
	s_cbranch_vccnz .LBB78_3067
; %bb.3062:
	global_load_u8 v19, v[24:25], off
	s_mov_b32 s26, 0
	s_mov_b32 s25, exec_lo
	s_wait_loadcnt 0x0
	v_cmpx_lt_i16_e32 0x7f, v19
	s_xor_b32 s25, exec_lo, s25
	s_cbranch_execz .LBB78_3079
; %bb.3063:
	v_cmp_ne_u16_e32 vcc_lo, 0x80, v19
	s_and_b32 s26, vcc_lo, exec_lo
	s_and_not1_saveexec_b32 s25, s25
	s_cbranch_execnz .LBB78_3080
.LBB78_3064:
	s_or_b32 exec_lo, exec_lo, s25
	v_mov_b64_e32 v[16:17], 0
	s_and_saveexec_b32 s25, s26
	s_cbranch_execz .LBB78_3066
.LBB78_3065:
	v_and_b32_e32 v16, 0xffff, v19
	s_delay_alu instid0(VALU_DEP_1) | instskip(SKIP_1) | instid1(VALU_DEP_2)
	v_and_b32_e32 v17, 7, v16
	v_bfe_u32 v27, v16, 3, 4
	v_clz_i32_u32_e32 v21, v17
	s_delay_alu instid0(VALU_DEP_2) | instskip(NEXT) | instid1(VALU_DEP_2)
	v_cmp_eq_u32_e32 vcc_lo, 0, v27
	v_min_u32_e32 v21, 32, v21
	s_delay_alu instid0(VALU_DEP_1) | instskip(NEXT) | instid1(VALU_DEP_1)
	v_subrev_nc_u32_e32 v23, 28, v21
	v_dual_lshlrev_b32 v16, v23, v16 :: v_dual_sub_nc_u32 v21, 29, v21
	s_delay_alu instid0(VALU_DEP_1) | instskip(NEXT) | instid1(VALU_DEP_1)
	v_dual_lshlrev_b32 v19, 24, v19 :: v_dual_bitop2_b32 v16, 7, v16 bitop3:0x40
	v_dual_cndmask_b32 v21, v27, v21 :: v_dual_cndmask_b32 v16, v17, v16
	s_delay_alu instid0(VALU_DEP_2) | instskip(NEXT) | instid1(VALU_DEP_2)
	v_and_b32_e32 v17, 0x80000000, v19
	v_lshl_add_u32 v19, v21, 23, 0x3b800000
	s_delay_alu instid0(VALU_DEP_3) | instskip(NEXT) | instid1(VALU_DEP_1)
	v_lshlrev_b32_e32 v16, 20, v16
	v_or3_b32 v16, v17, v19, v16
	s_delay_alu instid0(VALU_DEP_1) | instskip(NEXT) | instid1(VALU_DEP_1)
	v_trunc_f32_e32 v16, v16
	v_mul_f32_e64 v17, 0x2f800000, |v16|
	s_delay_alu instid0(VALU_DEP_1) | instskip(NEXT) | instid1(VALU_DEP_1)
	v_floor_f32_e32 v17, v17
	v_fma_f32 v19, 0xcf800000, v17, |v16|
	v_ashrrev_i32_e32 v16, 31, v16
	v_cvt_u32_f32_e32 v21, v17
	s_delay_alu instid0(VALU_DEP_3) | instskip(NEXT) | instid1(VALU_DEP_2)
	v_cvt_u32_f32_e32 v19, v19
	v_dual_mov_b32 v17, v16 :: v_dual_bitop2_b32 v29, v21, v16 bitop3:0x14
	s_delay_alu instid0(VALU_DEP_2) | instskip(NEXT) | instid1(VALU_DEP_1)
	v_xor_b32_e32 v28, v19, v16
	v_sub_nc_u64_e32 v[16:17], v[28:29], v[16:17]
.LBB78_3066:
	s_or_b32 exec_lo, exec_lo, s25
.LBB78_3067:
	s_mov_b32 s25, -1
.LBB78_3068:
	s_mov_b32 s26, 0
.LBB78_3069:
	s_delay_alu instid0(SALU_CYCLE_1)
	s_and_b32 vcc_lo, exec_lo, s26
	s_cbranch_vccz .LBB78_3100
; %bb.3070:
	s_cmp_gt_i32 s0, 22
	s_cbranch_scc0 .LBB78_3078
; %bb.3071:
	s_cmp_lt_i32 s0, 24
	s_cbranch_scc1 .LBB78_3081
; %bb.3072:
	s_cmp_gt_i32 s0, 24
	s_cbranch_scc0 .LBB78_3082
; %bb.3073:
	global_load_u8 v19, v[24:25], off
	s_mov_b32 s25, 0
	s_mov_b32 s24, exec_lo
	s_wait_loadcnt 0x0
	v_cmpx_lt_i16_e32 0x7f, v19
	s_xor_b32 s24, exec_lo, s24
	s_cbranch_execz .LBB78_3094
; %bb.3074:
	v_cmp_ne_u16_e32 vcc_lo, 0x80, v19
	s_and_b32 s25, vcc_lo, exec_lo
	s_and_not1_saveexec_b32 s24, s24
	s_cbranch_execnz .LBB78_3095
.LBB78_3075:
	s_or_b32 exec_lo, exec_lo, s24
	v_mov_b64_e32 v[16:17], 0
	s_and_saveexec_b32 s24, s25
	s_cbranch_execz .LBB78_3077
.LBB78_3076:
	v_and_b32_e32 v16, 0xffff, v19
	s_delay_alu instid0(VALU_DEP_1) | instskip(SKIP_1) | instid1(VALU_DEP_2)
	v_and_b32_e32 v17, 3, v16
	v_bfe_u32 v27, v16, 2, 5
	v_clz_i32_u32_e32 v21, v17
	s_delay_alu instid0(VALU_DEP_2) | instskip(NEXT) | instid1(VALU_DEP_2)
	v_cmp_eq_u32_e32 vcc_lo, 0, v27
	v_min_u32_e32 v21, 32, v21
	s_delay_alu instid0(VALU_DEP_1) | instskip(NEXT) | instid1(VALU_DEP_1)
	v_subrev_nc_u32_e32 v23, 29, v21
	v_dual_lshlrev_b32 v16, v23, v16 :: v_dual_sub_nc_u32 v21, 30, v21
	s_delay_alu instid0(VALU_DEP_1) | instskip(NEXT) | instid1(VALU_DEP_1)
	v_dual_lshlrev_b32 v19, 24, v19 :: v_dual_bitop2_b32 v16, 3, v16 bitop3:0x40
	v_dual_cndmask_b32 v21, v27, v21 :: v_dual_cndmask_b32 v16, v17, v16
	s_delay_alu instid0(VALU_DEP_2) | instskip(NEXT) | instid1(VALU_DEP_2)
	v_and_b32_e32 v17, 0x80000000, v19
	v_lshl_add_u32 v19, v21, 23, 0x37800000
	s_delay_alu instid0(VALU_DEP_3) | instskip(NEXT) | instid1(VALU_DEP_1)
	v_lshlrev_b32_e32 v16, 21, v16
	v_or3_b32 v16, v17, v19, v16
	s_delay_alu instid0(VALU_DEP_1) | instskip(NEXT) | instid1(VALU_DEP_1)
	v_trunc_f32_e32 v16, v16
	v_mul_f32_e64 v17, 0x2f800000, |v16|
	s_delay_alu instid0(VALU_DEP_1) | instskip(NEXT) | instid1(VALU_DEP_1)
	v_floor_f32_e32 v17, v17
	v_fma_f32 v19, 0xcf800000, v17, |v16|
	v_ashrrev_i32_e32 v16, 31, v16
	v_cvt_u32_f32_e32 v21, v17
	s_delay_alu instid0(VALU_DEP_3) | instskip(NEXT) | instid1(VALU_DEP_2)
	v_cvt_u32_f32_e32 v19, v19
	v_dual_mov_b32 v17, v16 :: v_dual_bitop2_b32 v29, v21, v16 bitop3:0x14
	s_delay_alu instid0(VALU_DEP_2) | instskip(NEXT) | instid1(VALU_DEP_1)
	v_xor_b32_e32 v28, v19, v16
	v_sub_nc_u64_e32 v[16:17], v[28:29], v[16:17]
.LBB78_3077:
	s_or_b32 exec_lo, exec_lo, s24
	s_mov_b32 s24, 0
	s_branch .LBB78_3083
.LBB78_3078:
	s_mov_b32 s24, -1
                                        ; implicit-def: $vgpr16_vgpr17
	s_branch .LBB78_3089
.LBB78_3079:
	s_and_not1_saveexec_b32 s25, s25
	s_cbranch_execz .LBB78_3064
.LBB78_3080:
	v_cmp_ne_u16_e32 vcc_lo, 0, v19
	s_and_not1_b32 s26, s26, exec_lo
	s_and_b32 s27, vcc_lo, exec_lo
	s_delay_alu instid0(SALU_CYCLE_1)
	s_or_b32 s26, s26, s27
	s_or_b32 exec_lo, exec_lo, s25
	v_mov_b64_e32 v[16:17], 0
	s_and_saveexec_b32 s25, s26
	s_cbranch_execnz .LBB78_3065
	s_branch .LBB78_3066
.LBB78_3081:
	s_mov_b32 s24, -1
                                        ; implicit-def: $vgpr16_vgpr17
	s_branch .LBB78_3086
.LBB78_3082:
	s_mov_b32 s24, -1
                                        ; implicit-def: $vgpr16_vgpr17
.LBB78_3083:
	s_delay_alu instid0(SALU_CYCLE_1)
	s_and_b32 vcc_lo, exec_lo, s24
	s_cbranch_vccz .LBB78_3085
; %bb.3084:
	s_wait_loadcnt 0x0
	global_load_u8 v16, v[24:25], off
	s_wait_loadcnt 0x0
	v_lshlrev_b32_e32 v16, 24, v16
	s_delay_alu instid0(VALU_DEP_1) | instskip(NEXT) | instid1(VALU_DEP_1)
	v_and_b32_e32 v17, 0x7f000000, v16
	v_clz_i32_u32_e32 v19, v17
	v_add_nc_u32_e32 v23, 0x1000000, v17
	v_cmp_ne_u32_e32 vcc_lo, 0, v17
	s_delay_alu instid0(VALU_DEP_3) | instskip(NEXT) | instid1(VALU_DEP_1)
	v_min_u32_e32 v19, 32, v19
	v_sub_nc_u32_e64 v19, v19, 4 clamp
	s_delay_alu instid0(VALU_DEP_1) | instskip(NEXT) | instid1(VALU_DEP_1)
	v_dual_lshlrev_b32 v21, v19, v17 :: v_dual_lshlrev_b32 v19, 23, v19
	v_lshrrev_b32_e32 v21, 4, v21
	s_delay_alu instid0(VALU_DEP_1) | instskip(SKIP_1) | instid1(VALU_DEP_2)
	v_sub_nc_u32_e32 v19, v21, v19
	v_ashrrev_i32_e32 v21, 8, v23
	v_add_nc_u32_e32 v19, 0x3c000000, v19
	s_delay_alu instid0(VALU_DEP_1) | instskip(NEXT) | instid1(VALU_DEP_1)
	v_and_or_b32 v19, 0x7f800000, v21, v19
	v_cndmask_b32_e32 v17, 0, v19, vcc_lo
	s_delay_alu instid0(VALU_DEP_1) | instskip(NEXT) | instid1(VALU_DEP_1)
	v_and_or_b32 v16, 0x80000000, v16, v17
	v_trunc_f32_e32 v16, v16
	s_delay_alu instid0(VALU_DEP_1) | instskip(NEXT) | instid1(VALU_DEP_1)
	v_mul_f32_e64 v17, 0x2f800000, |v16|
	v_floor_f32_e32 v17, v17
	s_delay_alu instid0(VALU_DEP_1) | instskip(SKIP_2) | instid1(VALU_DEP_3)
	v_fma_f32 v19, 0xcf800000, v17, |v16|
	v_ashrrev_i32_e32 v16, 31, v16
	v_cvt_u32_f32_e32 v21, v17
	v_cvt_u32_f32_e32 v19, v19
	s_delay_alu instid0(VALU_DEP_2) | instskip(NEXT) | instid1(VALU_DEP_2)
	v_dual_mov_b32 v17, v16 :: v_dual_bitop2_b32 v29, v21, v16 bitop3:0x14
	v_xor_b32_e32 v28, v19, v16
	s_delay_alu instid0(VALU_DEP_1)
	v_sub_nc_u64_e32 v[16:17], v[28:29], v[16:17]
.LBB78_3085:
	s_mov_b32 s24, 0
.LBB78_3086:
	s_delay_alu instid0(SALU_CYCLE_1)
	s_and_not1_b32 vcc_lo, exec_lo, s24
	s_cbranch_vccnz .LBB78_3088
; %bb.3087:
	s_wait_loadcnt 0x0
	global_load_u8 v16, v[24:25], off
	s_wait_loadcnt 0x0
	v_lshlrev_b32_e32 v17, 25, v16
	v_lshlrev_b16 v16, 8, v16
	s_delay_alu instid0(VALU_DEP_1) | instskip(SKIP_1) | instid1(VALU_DEP_2)
	v_and_or_b32 v21, 0x7f00, v16, 0.5
	v_bfe_i32 v16, v16, 0, 16
	v_add_f32_e32 v21, -0.5, v21
	v_lshrrev_b32_e32 v19, 4, v17
	v_cmp_gt_u32_e32 vcc_lo, 0x8000000, v17
	s_delay_alu instid0(VALU_DEP_2) | instskip(NEXT) | instid1(VALU_DEP_1)
	v_or_b32_e32 v19, 0x70000000, v19
	v_mul_f32_e32 v19, 0x7800000, v19
	s_delay_alu instid0(VALU_DEP_1) | instskip(NEXT) | instid1(VALU_DEP_1)
	v_cndmask_b32_e32 v17, v19, v21, vcc_lo
	v_and_or_b32 v16, 0x80000000, v16, v17
	s_delay_alu instid0(VALU_DEP_1) | instskip(NEXT) | instid1(VALU_DEP_1)
	v_trunc_f32_e32 v16, v16
	v_mul_f32_e64 v17, 0x2f800000, |v16|
	s_delay_alu instid0(VALU_DEP_1) | instskip(NEXT) | instid1(VALU_DEP_1)
	v_floor_f32_e32 v17, v17
	v_fma_f32 v19, 0xcf800000, v17, |v16|
	v_ashrrev_i32_e32 v16, 31, v16
	v_cvt_u32_f32_e32 v21, v17
	s_delay_alu instid0(VALU_DEP_3) | instskip(NEXT) | instid1(VALU_DEP_2)
	v_cvt_u32_f32_e32 v19, v19
	v_dual_mov_b32 v17, v16 :: v_dual_bitop2_b32 v29, v21, v16 bitop3:0x14
	s_delay_alu instid0(VALU_DEP_2) | instskip(NEXT) | instid1(VALU_DEP_1)
	v_xor_b32_e32 v28, v19, v16
	v_sub_nc_u64_e32 v[16:17], v[28:29], v[16:17]
.LBB78_3088:
	s_mov_b32 s24, 0
	s_mov_b32 s25, -1
.LBB78_3089:
	s_and_not1_b32 vcc_lo, exec_lo, s24
	s_mov_b32 s24, 0
	s_cbranch_vccnz .LBB78_3100
; %bb.3090:
	s_cmp_gt_i32 s0, 14
	s_cbranch_scc0 .LBB78_3093
; %bb.3091:
	s_cmp_eq_u32 s0, 15
	s_cbranch_scc0 .LBB78_3096
; %bb.3092:
	s_wait_loadcnt 0x0
	global_load_u16 v16, v[24:25], off
	s_mov_b32 s15, 0
	s_mov_b32 s25, -1
	s_wait_loadcnt 0x0
	v_lshlrev_b32_e32 v16, 16, v16
	s_delay_alu instid0(VALU_DEP_1) | instskip(NEXT) | instid1(VALU_DEP_1)
	v_trunc_f32_e32 v16, v16
	v_mul_f32_e64 v17, 0x2f800000, |v16|
	s_delay_alu instid0(VALU_DEP_1) | instskip(NEXT) | instid1(VALU_DEP_1)
	v_floor_f32_e32 v17, v17
	v_fma_f32 v19, 0xcf800000, v17, |v16|
	v_ashrrev_i32_e32 v16, 31, v16
	v_cvt_u32_f32_e32 v21, v17
	s_delay_alu instid0(VALU_DEP_3) | instskip(NEXT) | instid1(VALU_DEP_2)
	v_cvt_u32_f32_e32 v19, v19
	v_dual_mov_b32 v17, v16 :: v_dual_bitop2_b32 v29, v21, v16 bitop3:0x14
	s_delay_alu instid0(VALU_DEP_2) | instskip(NEXT) | instid1(VALU_DEP_1)
	v_xor_b32_e32 v28, v19, v16
	v_sub_nc_u64_e32 v[16:17], v[28:29], v[16:17]
	s_branch .LBB78_3098
.LBB78_3093:
	s_mov_b32 s24, -1
	s_branch .LBB78_3097
.LBB78_3094:
	s_and_not1_saveexec_b32 s24, s24
	s_cbranch_execz .LBB78_3075
.LBB78_3095:
	v_cmp_ne_u16_e32 vcc_lo, 0, v19
	s_and_not1_b32 s25, s25, exec_lo
	s_and_b32 s26, vcc_lo, exec_lo
	s_delay_alu instid0(SALU_CYCLE_1)
	s_or_b32 s25, s25, s26
	s_or_b32 exec_lo, exec_lo, s24
	v_mov_b64_e32 v[16:17], 0
	s_and_saveexec_b32 s24, s25
	s_cbranch_execnz .LBB78_3076
	s_branch .LBB78_3077
.LBB78_3096:
	s_mov_b32 s15, -1
.LBB78_3097:
                                        ; implicit-def: $vgpr16_vgpr17
.LBB78_3098:
	s_and_b32 vcc_lo, exec_lo, s24
	s_mov_b32 s24, 0
	s_cbranch_vccz .LBB78_3100
; %bb.3099:
	s_cmp_lg_u32 s0, 11
	s_mov_b32 s24, -1
	s_cselect_b32 s15, -1, 0
.LBB78_3100:
	s_delay_alu instid0(SALU_CYCLE_1)
	s_and_b32 vcc_lo, exec_lo, s15
	s_cbranch_vccnz .LBB78_3165
; %bb.3101:
	s_and_not1_b32 vcc_lo, exec_lo, s24
	s_cbranch_vccnz .LBB78_3103
.LBB78_3102:
	s_wait_loadcnt 0x0
	global_load_u8 v16, v[24:25], off
	s_mov_b32 s15, 0
	s_mov_b32 s25, -1
	v_mov_b32_e32 v17, s15
	s_wait_loadcnt 0x0
	v_cmp_ne_u16_e32 vcc_lo, 0, v16
	v_cndmask_b32_e64 v16, 0, 1, vcc_lo
.LBB78_3103:
	s_mov_b32 s15, 0
.LBB78_3104:
	s_delay_alu instid0(SALU_CYCLE_1)
	s_and_b32 vcc_lo, exec_lo, s15
	s_cbranch_vccz .LBB78_3153
; %bb.3105:
	s_cmp_lt_i32 s0, 5
	s_cbranch_scc1 .LBB78_3110
; %bb.3106:
	s_cmp_lt_i32 s0, 8
	s_cbranch_scc1 .LBB78_3111
; %bb.3107:
	s_cmp_lt_i32 s0, 9
	s_cbranch_scc1 .LBB78_3112
; %bb.3108:
	s_cmp_gt_i32 s0, 9
	s_cbranch_scc0 .LBB78_3113
; %bb.3109:
	s_wait_loadcnt 0x0
	global_load_b64 v[16:17], v[24:25], off
	s_mov_b32 s15, 0
	s_wait_loadcnt 0x0
	v_trunc_f64_e32 v[16:17], v[16:17]
	s_delay_alu instid0(VALU_DEP_1) | instskip(NEXT) | instid1(VALU_DEP_1)
	v_ldexp_f64 v[28:29], v[16:17], 0xffffffe0
	v_floor_f64_e32 v[28:29], v[28:29]
	s_delay_alu instid0(VALU_DEP_1) | instskip(SKIP_1) | instid1(VALU_DEP_2)
	v_fmamk_f64 v[30:31], v[28:29], 0xc1f00000, v[16:17]
	v_cvt_i32_f64_e32 v17, v[28:29]
	v_cvt_u32_f64_e32 v16, v[30:31]
	s_branch .LBB78_3114
.LBB78_3110:
	s_mov_b32 s15, -1
                                        ; implicit-def: $vgpr16_vgpr17
	s_branch .LBB78_3132
.LBB78_3111:
	s_mov_b32 s15, -1
                                        ; implicit-def: $vgpr16_vgpr17
	s_branch .LBB78_3120
.LBB78_3112:
	s_mov_b32 s15, -1
                                        ; implicit-def: $vgpr16_vgpr17
	s_branch .LBB78_3117
.LBB78_3113:
	s_mov_b32 s15, -1
                                        ; implicit-def: $vgpr16_vgpr17
.LBB78_3114:
	s_delay_alu instid0(SALU_CYCLE_1)
	s_and_not1_b32 vcc_lo, exec_lo, s15
	s_cbranch_vccnz .LBB78_3116
; %bb.3115:
	s_wait_loadcnt 0x0
	global_load_b32 v16, v[24:25], off
	s_wait_loadcnt 0x0
	v_trunc_f32_e32 v16, v16
	s_delay_alu instid0(VALU_DEP_1) | instskip(NEXT) | instid1(VALU_DEP_1)
	v_mul_f32_e64 v17, 0x2f800000, |v16|
	v_floor_f32_e32 v17, v17
	s_delay_alu instid0(VALU_DEP_1) | instskip(SKIP_2) | instid1(VALU_DEP_3)
	v_fma_f32 v19, 0xcf800000, v17, |v16|
	v_ashrrev_i32_e32 v16, 31, v16
	v_cvt_u32_f32_e32 v21, v17
	v_cvt_u32_f32_e32 v19, v19
	s_delay_alu instid0(VALU_DEP_2) | instskip(NEXT) | instid1(VALU_DEP_2)
	v_dual_mov_b32 v17, v16 :: v_dual_bitop2_b32 v29, v21, v16 bitop3:0x14
	v_xor_b32_e32 v28, v19, v16
	s_delay_alu instid0(VALU_DEP_1)
	v_sub_nc_u64_e32 v[16:17], v[28:29], v[16:17]
.LBB78_3116:
	s_mov_b32 s15, 0
.LBB78_3117:
	s_delay_alu instid0(SALU_CYCLE_1)
	s_and_not1_b32 vcc_lo, exec_lo, s15
	s_cbranch_vccnz .LBB78_3119
; %bb.3118:
	s_wait_loadcnt 0x0
	global_load_b32 v16, v[24:25], off
	s_wait_loadcnt 0x0
	v_cvt_f32_f16_e32 v16, v16
	s_delay_alu instid0(VALU_DEP_1) | instskip(NEXT) | instid1(VALU_DEP_1)
	v_cvt_i32_f32_e32 v16, v16
	v_ashrrev_i32_e32 v17, 31, v16
.LBB78_3119:
	s_mov_b32 s15, 0
.LBB78_3120:
	s_delay_alu instid0(SALU_CYCLE_1)
	s_and_not1_b32 vcc_lo, exec_lo, s15
	s_cbranch_vccnz .LBB78_3131
; %bb.3121:
	s_cmp_lt_i32 s0, 6
	s_cbranch_scc1 .LBB78_3124
; %bb.3122:
	s_cmp_gt_i32 s0, 6
	s_cbranch_scc0 .LBB78_3125
; %bb.3123:
	s_wait_loadcnt 0x0
	global_load_b64 v[16:17], v[24:25], off
	s_mov_b32 s15, 0
	s_wait_loadcnt 0x0
	v_trunc_f64_e32 v[16:17], v[16:17]
	s_delay_alu instid0(VALU_DEP_1) | instskip(NEXT) | instid1(VALU_DEP_1)
	v_ldexp_f64 v[28:29], v[16:17], 0xffffffe0
	v_floor_f64_e32 v[28:29], v[28:29]
	s_delay_alu instid0(VALU_DEP_1) | instskip(SKIP_1) | instid1(VALU_DEP_2)
	v_fmamk_f64 v[30:31], v[28:29], 0xc1f00000, v[16:17]
	v_cvt_i32_f64_e32 v17, v[28:29]
	v_cvt_u32_f64_e32 v16, v[30:31]
	s_branch .LBB78_3126
.LBB78_3124:
	s_mov_b32 s15, -1
                                        ; implicit-def: $vgpr16_vgpr17
	s_branch .LBB78_3129
.LBB78_3125:
	s_mov_b32 s15, -1
                                        ; implicit-def: $vgpr16_vgpr17
.LBB78_3126:
	s_delay_alu instid0(SALU_CYCLE_1)
	s_and_not1_b32 vcc_lo, exec_lo, s15
	s_cbranch_vccnz .LBB78_3128
; %bb.3127:
	s_wait_loadcnt 0x0
	global_load_b32 v16, v[24:25], off
	s_wait_loadcnt 0x0
	v_trunc_f32_e32 v16, v16
	s_delay_alu instid0(VALU_DEP_1) | instskip(NEXT) | instid1(VALU_DEP_1)
	v_mul_f32_e64 v17, 0x2f800000, |v16|
	v_floor_f32_e32 v17, v17
	s_delay_alu instid0(VALU_DEP_1) | instskip(SKIP_2) | instid1(VALU_DEP_3)
	v_fma_f32 v19, 0xcf800000, v17, |v16|
	v_ashrrev_i32_e32 v16, 31, v16
	v_cvt_u32_f32_e32 v21, v17
	v_cvt_u32_f32_e32 v19, v19
	s_delay_alu instid0(VALU_DEP_2) | instskip(NEXT) | instid1(VALU_DEP_2)
	v_dual_mov_b32 v17, v16 :: v_dual_bitop2_b32 v29, v21, v16 bitop3:0x14
	v_xor_b32_e32 v28, v19, v16
	s_delay_alu instid0(VALU_DEP_1)
	v_sub_nc_u64_e32 v[16:17], v[28:29], v[16:17]
.LBB78_3128:
	s_mov_b32 s15, 0
.LBB78_3129:
	s_delay_alu instid0(SALU_CYCLE_1)
	s_and_not1_b32 vcc_lo, exec_lo, s15
	s_cbranch_vccnz .LBB78_3131
; %bb.3130:
	s_wait_loadcnt 0x0
	global_load_u16 v16, v[24:25], off
	s_wait_loadcnt 0x0
	v_cvt_f32_f16_e32 v16, v16
	s_delay_alu instid0(VALU_DEP_1) | instskip(NEXT) | instid1(VALU_DEP_1)
	v_cvt_i32_f32_e32 v16, v16
	v_ashrrev_i32_e32 v17, 31, v16
.LBB78_3131:
	s_mov_b32 s15, 0
.LBB78_3132:
	s_delay_alu instid0(SALU_CYCLE_1)
	s_and_not1_b32 vcc_lo, exec_lo, s15
	s_cbranch_vccnz .LBB78_3152
; %bb.3133:
	s_cmp_lt_i32 s0, 2
	s_cbranch_scc1 .LBB78_3137
; %bb.3134:
	s_cmp_lt_i32 s0, 3
	s_cbranch_scc1 .LBB78_3138
; %bb.3135:
	s_cmp_gt_i32 s0, 3
	s_cbranch_scc0 .LBB78_3139
; %bb.3136:
	s_wait_loadcnt 0x0
	global_load_b64 v[16:17], v[24:25], off
	s_mov_b32 s15, 0
	s_branch .LBB78_3140
.LBB78_3137:
	s_mov_b32 s15, -1
                                        ; implicit-def: $vgpr16_vgpr17
	s_branch .LBB78_3146
.LBB78_3138:
	s_mov_b32 s15, -1
                                        ; implicit-def: $vgpr16_vgpr17
	s_branch .LBB78_3143
.LBB78_3139:
	s_mov_b32 s15, -1
                                        ; implicit-def: $vgpr16_vgpr17
.LBB78_3140:
	s_delay_alu instid0(SALU_CYCLE_1)
	s_and_not1_b32 vcc_lo, exec_lo, s15
	s_cbranch_vccnz .LBB78_3142
; %bb.3141:
	s_wait_loadcnt 0x0
	global_load_b32 v16, v[24:25], off
	s_wait_loadcnt 0x0
	v_ashrrev_i32_e32 v17, 31, v16
.LBB78_3142:
	s_mov_b32 s15, 0
.LBB78_3143:
	s_delay_alu instid0(SALU_CYCLE_1)
	s_and_not1_b32 vcc_lo, exec_lo, s15
	s_cbranch_vccnz .LBB78_3145
; %bb.3144:
	s_wait_loadcnt 0x0
	global_load_u16 v16, v[24:25], off
	s_wait_loadcnt 0x0
	v_bfe_i32 v16, v16, 0, 16
	s_delay_alu instid0(VALU_DEP_1)
	v_ashrrev_i32_e32 v17, 31, v16
.LBB78_3145:
	s_mov_b32 s15, 0
.LBB78_3146:
	s_delay_alu instid0(SALU_CYCLE_1)
	s_and_not1_b32 vcc_lo, exec_lo, s15
	s_cbranch_vccnz .LBB78_3152
; %bb.3147:
	s_cmp_gt_i32 s0, 0
	s_mov_b32 s15, 0
	s_cbranch_scc0 .LBB78_3149
; %bb.3148:
	s_wait_loadcnt 0x0
	global_load_i8 v16, v[24:25], off
	s_wait_loadcnt 0x0
	v_bfe_i32 v16, v16, 0, 16
	s_delay_alu instid0(VALU_DEP_1)
	v_ashrrev_i32_e32 v17, 31, v16
	s_branch .LBB78_3150
.LBB78_3149:
	s_mov_b32 s15, -1
                                        ; implicit-def: $vgpr16_vgpr17
.LBB78_3150:
	s_delay_alu instid0(SALU_CYCLE_1)
	s_and_not1_b32 vcc_lo, exec_lo, s15
	s_cbranch_vccnz .LBB78_3152
; %bb.3151:
	s_wait_loadcnt 0x0
	global_load_u8 v16, v[24:25], off
	s_mov_b32 s15, 0
	s_delay_alu instid0(SALU_CYCLE_1)
	v_mov_b32_e32 v17, s15
	s_wait_loadcnt 0x0
	v_and_b32_e32 v16, 0xffff, v16
.LBB78_3152:
	s_mov_b32 s25, -1
.LBB78_3153:
	s_delay_alu instid0(SALU_CYCLE_1)
	s_and_not1_b32 vcc_lo, exec_lo, s25
	s_cbranch_vccnz .LBB78_3968
; %bb.3154:
	v_add_nc_u32_e32 v18, s1, v18
	s_cmp_lt_i32 s21, 11
	s_delay_alu instid0(VALU_DEP_1) | instskip(SKIP_1) | instid1(VALU_DEP_1)
	v_ashrrev_i32_e32 v19, 31, v18
	s_wait_xcnt 0x0
	v_add_nc_u64_e32 v[24:25], s[6:7], v[18:19]
	s_cbranch_scc1 .LBB78_3161
; %bb.3155:
	s_and_b32 s1, 0xffff, s21
	s_mov_b32 s7, 0
	s_cmp_gt_i32 s1, 25
	s_cbranch_scc0 .LBB78_3162
; %bb.3156:
	s_cmp_gt_i32 s1, 28
	s_cbranch_scc0 .LBB78_3163
; %bb.3157:
	;; [unrolled: 3-line block ×4, first 2 shown]
	s_cmp_eq_u32 s1, 46
	s_mov_b32 s24, 0
	s_cbranch_scc0 .LBB78_3167
; %bb.3160:
	global_load_b32 v18, v[24:25], off
	s_mov_b32 s6, 0
	s_mov_b32 s15, -1
	s_wait_loadcnt 0x0
	v_lshlrev_b32_e32 v18, 16, v18
	s_delay_alu instid0(VALU_DEP_1) | instskip(NEXT) | instid1(VALU_DEP_1)
	v_trunc_f32_e32 v18, v18
	v_mul_f32_e64 v19, 0x2f800000, |v18|
	s_delay_alu instid0(VALU_DEP_1) | instskip(NEXT) | instid1(VALU_DEP_1)
	v_floor_f32_e32 v19, v19
	v_fma_f32 v21, 0xcf800000, v19, |v18|
	v_ashrrev_i32_e32 v18, 31, v18
	v_cvt_u32_f32_e32 v23, v19
	s_delay_alu instid0(VALU_DEP_3) | instskip(NEXT) | instid1(VALU_DEP_2)
	v_cvt_u32_f32_e32 v21, v21
	v_dual_mov_b32 v19, v18 :: v_dual_bitop2_b32 v29, v23, v18 bitop3:0x14
	s_delay_alu instid0(VALU_DEP_2) | instskip(NEXT) | instid1(VALU_DEP_1)
	v_xor_b32_e32 v28, v21, v18
	v_sub_nc_u64_e32 v[18:19], v[28:29], v[18:19]
	s_branch .LBB78_3169
.LBB78_3161:
	s_mov_b32 s1, -1
	s_mov_b32 s15, 0
                                        ; implicit-def: $vgpr18_vgpr19
	s_branch .LBB78_3231
.LBB78_3162:
	s_mov_b32 s24, -1
	s_mov_b32 s15, 0
	s_mov_b32 s6, 0
                                        ; implicit-def: $vgpr18_vgpr19
	s_branch .LBB78_3196
.LBB78_3163:
	s_mov_b32 s24, -1
	s_mov_b32 s15, 0
	s_mov_b32 s6, 0
                                        ; implicit-def: $vgpr18_vgpr19
	s_branch .LBB78_3179
.LBB78_3164:
	s_mov_b32 s24, -1
	s_mov_b32 s15, 0
	s_mov_b32 s6, 0
                                        ; implicit-def: $vgpr18_vgpr19
	s_branch .LBB78_3174
.LBB78_3165:
	s_or_b32 s20, s20, exec_lo
	s_trap 2
	s_cbranch_execz .LBB78_3102
	s_branch .LBB78_3103
.LBB78_3166:
	s_mov_b32 s24, -1
	s_mov_b32 s15, 0
	s_mov_b32 s6, 0
	s_branch .LBB78_3168
.LBB78_3167:
	s_mov_b32 s6, -1
	s_mov_b32 s15, 0
.LBB78_3168:
                                        ; implicit-def: $vgpr18_vgpr19
.LBB78_3169:
	s_and_b32 vcc_lo, exec_lo, s24
	s_cbranch_vccz .LBB78_3173
; %bb.3170:
	s_cmp_eq_u32 s1, 44
	s_cbranch_scc0 .LBB78_3172
; %bb.3171:
	global_load_u8 v21, v[24:25], off
	s_mov_b32 s6, 0
	s_mov_b32 s15, -1
	s_wait_loadcnt 0x0
	v_cmp_ne_u32_e32 vcc_lo, 0, v21
	v_lshlrev_b32_e32 v18, 23, v21
	s_delay_alu instid0(VALU_DEP_1) | instskip(NEXT) | instid1(VALU_DEP_1)
	v_trunc_f32_e32 v18, v18
	v_mul_f32_e64 v19, 0x2f800000, |v18|
	s_delay_alu instid0(VALU_DEP_1) | instskip(NEXT) | instid1(VALU_DEP_1)
	v_floor_f32_e32 v19, v19
	v_fma_f32 v23, 0xcf800000, v19, |v18|
	v_ashrrev_i32_e32 v18, 31, v18
	v_cvt_u32_f32_e32 v27, v19
	s_delay_alu instid0(VALU_DEP_3) | instskip(NEXT) | instid1(VALU_DEP_2)
	v_cvt_u32_f32_e32 v23, v23
	v_dual_mov_b32 v19, v18 :: v_dual_bitop2_b32 v29, v27, v18 bitop3:0x14
	s_delay_alu instid0(VALU_DEP_2) | instskip(NEXT) | instid1(VALU_DEP_1)
	v_xor_b32_e32 v28, v23, v18
	v_sub_nc_u64_e32 v[18:19], v[28:29], v[18:19]
	s_delay_alu instid0(VALU_DEP_1)
	v_dual_cndmask_b32 v19, 0, v19 :: v_dual_cndmask_b32 v18, 0, v18
	s_branch .LBB78_3173
.LBB78_3172:
	s_mov_b32 s6, -1
                                        ; implicit-def: $vgpr18_vgpr19
.LBB78_3173:
	s_mov_b32 s24, 0
.LBB78_3174:
	s_delay_alu instid0(SALU_CYCLE_1)
	s_and_b32 vcc_lo, exec_lo, s24
	s_cbranch_vccz .LBB78_3178
; %bb.3175:
	s_cmp_eq_u32 s1, 29
	s_cbranch_scc0 .LBB78_3177
; %bb.3176:
	global_load_b64 v[18:19], v[24:25], off
	s_mov_b32 s6, 0
	s_mov_b32 s15, -1
	s_branch .LBB78_3178
.LBB78_3177:
	s_mov_b32 s6, -1
                                        ; implicit-def: $vgpr18_vgpr19
.LBB78_3178:
	s_mov_b32 s24, 0
.LBB78_3179:
	s_delay_alu instid0(SALU_CYCLE_1)
	s_and_b32 vcc_lo, exec_lo, s24
	s_cbranch_vccz .LBB78_3195
; %bb.3180:
	s_cmp_lt_i32 s1, 27
	s_cbranch_scc1 .LBB78_3183
; %bb.3181:
	s_cmp_gt_i32 s1, 27
	s_cbranch_scc0 .LBB78_3184
; %bb.3182:
	s_wait_loadcnt 0x0
	global_load_b32 v18, v[24:25], off
	v_mov_b32_e32 v19, 0
	s_mov_b32 s15, 0
	s_branch .LBB78_3185
.LBB78_3183:
	s_mov_b32 s15, -1
                                        ; implicit-def: $vgpr18_vgpr19
	s_branch .LBB78_3188
.LBB78_3184:
	s_mov_b32 s15, -1
                                        ; implicit-def: $vgpr18_vgpr19
.LBB78_3185:
	s_delay_alu instid0(SALU_CYCLE_1)
	s_and_not1_b32 vcc_lo, exec_lo, s15
	s_cbranch_vccnz .LBB78_3187
; %bb.3186:
	s_wait_loadcnt 0x0
	global_load_u16 v18, v[24:25], off
	s_mov_b32 s15, 0
	s_delay_alu instid0(SALU_CYCLE_1)
	v_mov_b32_e32 v19, s15
	s_wait_loadcnt 0x0
	v_and_b32_e32 v18, 0xffff, v18
.LBB78_3187:
	s_mov_b32 s15, 0
.LBB78_3188:
	s_delay_alu instid0(SALU_CYCLE_1)
	s_and_not1_b32 vcc_lo, exec_lo, s15
	s_cbranch_vccnz .LBB78_3194
; %bb.3189:
	global_load_u8 v21, v[24:25], off
	s_mov_b32 s24, 0
	s_mov_b32 s15, exec_lo
	s_wait_loadcnt 0x0
	v_cmpx_lt_i16_e32 0x7f, v21
	s_xor_b32 s15, exec_lo, s15
	s_cbranch_execz .LBB78_3206
; %bb.3190:
	v_cmp_ne_u16_e32 vcc_lo, 0x80, v21
	s_and_b32 s24, vcc_lo, exec_lo
	s_and_not1_saveexec_b32 s15, s15
	s_cbranch_execnz .LBB78_3207
.LBB78_3191:
	s_or_b32 exec_lo, exec_lo, s15
	v_mov_b64_e32 v[18:19], 0
	s_and_saveexec_b32 s15, s24
	s_cbranch_execz .LBB78_3193
.LBB78_3192:
	v_and_b32_e32 v18, 0xffff, v21
	s_delay_alu instid0(VALU_DEP_1) | instskip(SKIP_1) | instid1(VALU_DEP_2)
	v_and_b32_e32 v19, 7, v18
	v_bfe_u32 v28, v18, 3, 4
	v_clz_i32_u32_e32 v23, v19
	s_delay_alu instid0(VALU_DEP_2) | instskip(NEXT) | instid1(VALU_DEP_2)
	v_cmp_eq_u32_e32 vcc_lo, 0, v28
	v_min_u32_e32 v23, 32, v23
	s_delay_alu instid0(VALU_DEP_1) | instskip(NEXT) | instid1(VALU_DEP_1)
	v_subrev_nc_u32_e32 v27, 28, v23
	v_dual_lshlrev_b32 v18, v27, v18 :: v_dual_sub_nc_u32 v23, 29, v23
	s_delay_alu instid0(VALU_DEP_1) | instskip(NEXT) | instid1(VALU_DEP_1)
	v_dual_lshlrev_b32 v21, 24, v21 :: v_dual_bitop2_b32 v18, 7, v18 bitop3:0x40
	v_dual_cndmask_b32 v23, v28, v23 :: v_dual_cndmask_b32 v18, v19, v18
	s_delay_alu instid0(VALU_DEP_2) | instskip(NEXT) | instid1(VALU_DEP_2)
	v_and_b32_e32 v19, 0x80000000, v21
	v_lshl_add_u32 v21, v23, 23, 0x3b800000
	s_delay_alu instid0(VALU_DEP_3) | instskip(NEXT) | instid1(VALU_DEP_1)
	v_lshlrev_b32_e32 v18, 20, v18
	v_or3_b32 v18, v19, v21, v18
	s_delay_alu instid0(VALU_DEP_1) | instskip(NEXT) | instid1(VALU_DEP_1)
	v_trunc_f32_e32 v18, v18
	v_mul_f32_e64 v19, 0x2f800000, |v18|
	s_delay_alu instid0(VALU_DEP_1) | instskip(NEXT) | instid1(VALU_DEP_1)
	v_floor_f32_e32 v19, v19
	v_fma_f32 v21, 0xcf800000, v19, |v18|
	v_ashrrev_i32_e32 v18, 31, v18
	v_cvt_u32_f32_e32 v23, v19
	s_delay_alu instid0(VALU_DEP_3) | instskip(NEXT) | instid1(VALU_DEP_2)
	v_cvt_u32_f32_e32 v21, v21
	v_dual_mov_b32 v19, v18 :: v_dual_bitop2_b32 v29, v23, v18 bitop3:0x14
	s_delay_alu instid0(VALU_DEP_2) | instskip(NEXT) | instid1(VALU_DEP_1)
	v_xor_b32_e32 v28, v21, v18
	v_sub_nc_u64_e32 v[18:19], v[28:29], v[18:19]
.LBB78_3193:
	s_or_b32 exec_lo, exec_lo, s15
.LBB78_3194:
	s_mov_b32 s15, -1
.LBB78_3195:
	s_mov_b32 s24, 0
.LBB78_3196:
	s_delay_alu instid0(SALU_CYCLE_1)
	s_and_b32 vcc_lo, exec_lo, s24
	s_cbranch_vccz .LBB78_3227
; %bb.3197:
	s_cmp_gt_i32 s1, 22
	s_cbranch_scc0 .LBB78_3205
; %bb.3198:
	s_cmp_lt_i32 s1, 24
	s_cbranch_scc1 .LBB78_3208
; %bb.3199:
	s_cmp_gt_i32 s1, 24
	s_cbranch_scc0 .LBB78_3209
; %bb.3200:
	global_load_u8 v21, v[24:25], off
	s_mov_b32 s15, 0
	s_mov_b32 s7, exec_lo
	s_wait_loadcnt 0x0
	v_cmpx_lt_i16_e32 0x7f, v21
	s_xor_b32 s7, exec_lo, s7
	s_cbranch_execz .LBB78_3221
; %bb.3201:
	v_cmp_ne_u16_e32 vcc_lo, 0x80, v21
	s_and_b32 s15, vcc_lo, exec_lo
	s_and_not1_saveexec_b32 s7, s7
	s_cbranch_execnz .LBB78_3222
.LBB78_3202:
	s_or_b32 exec_lo, exec_lo, s7
	v_mov_b64_e32 v[18:19], 0
	s_and_saveexec_b32 s7, s15
	s_cbranch_execz .LBB78_3204
.LBB78_3203:
	v_and_b32_e32 v18, 0xffff, v21
	s_delay_alu instid0(VALU_DEP_1) | instskip(SKIP_1) | instid1(VALU_DEP_2)
	v_and_b32_e32 v19, 3, v18
	v_bfe_u32 v28, v18, 2, 5
	v_clz_i32_u32_e32 v23, v19
	s_delay_alu instid0(VALU_DEP_2) | instskip(NEXT) | instid1(VALU_DEP_2)
	v_cmp_eq_u32_e32 vcc_lo, 0, v28
	v_min_u32_e32 v23, 32, v23
	s_delay_alu instid0(VALU_DEP_1) | instskip(NEXT) | instid1(VALU_DEP_1)
	v_subrev_nc_u32_e32 v27, 29, v23
	v_dual_lshlrev_b32 v18, v27, v18 :: v_dual_sub_nc_u32 v23, 30, v23
	s_delay_alu instid0(VALU_DEP_1) | instskip(NEXT) | instid1(VALU_DEP_1)
	v_dual_lshlrev_b32 v21, 24, v21 :: v_dual_bitop2_b32 v18, 3, v18 bitop3:0x40
	v_dual_cndmask_b32 v23, v28, v23 :: v_dual_cndmask_b32 v18, v19, v18
	s_delay_alu instid0(VALU_DEP_2) | instskip(NEXT) | instid1(VALU_DEP_2)
	v_and_b32_e32 v19, 0x80000000, v21
	v_lshl_add_u32 v21, v23, 23, 0x37800000
	s_delay_alu instid0(VALU_DEP_3) | instskip(NEXT) | instid1(VALU_DEP_1)
	v_lshlrev_b32_e32 v18, 21, v18
	v_or3_b32 v18, v19, v21, v18
	s_delay_alu instid0(VALU_DEP_1) | instskip(NEXT) | instid1(VALU_DEP_1)
	v_trunc_f32_e32 v18, v18
	v_mul_f32_e64 v19, 0x2f800000, |v18|
	s_delay_alu instid0(VALU_DEP_1) | instskip(NEXT) | instid1(VALU_DEP_1)
	v_floor_f32_e32 v19, v19
	v_fma_f32 v21, 0xcf800000, v19, |v18|
	v_ashrrev_i32_e32 v18, 31, v18
	v_cvt_u32_f32_e32 v23, v19
	s_delay_alu instid0(VALU_DEP_3) | instskip(NEXT) | instid1(VALU_DEP_2)
	v_cvt_u32_f32_e32 v21, v21
	v_dual_mov_b32 v19, v18 :: v_dual_bitop2_b32 v29, v23, v18 bitop3:0x14
	s_delay_alu instid0(VALU_DEP_2) | instskip(NEXT) | instid1(VALU_DEP_1)
	v_xor_b32_e32 v28, v21, v18
	v_sub_nc_u64_e32 v[18:19], v[28:29], v[18:19]
.LBB78_3204:
	s_or_b32 exec_lo, exec_lo, s7
	s_mov_b32 s7, 0
	s_branch .LBB78_3210
.LBB78_3205:
	s_mov_b32 s7, -1
                                        ; implicit-def: $vgpr18_vgpr19
	s_branch .LBB78_3216
.LBB78_3206:
	s_and_not1_saveexec_b32 s15, s15
	s_cbranch_execz .LBB78_3191
.LBB78_3207:
	v_cmp_ne_u16_e32 vcc_lo, 0, v21
	s_and_not1_b32 s24, s24, exec_lo
	s_and_b32 s25, vcc_lo, exec_lo
	s_delay_alu instid0(SALU_CYCLE_1)
	s_or_b32 s24, s24, s25
	s_or_b32 exec_lo, exec_lo, s15
	v_mov_b64_e32 v[18:19], 0
	s_and_saveexec_b32 s15, s24
	s_cbranch_execnz .LBB78_3192
	s_branch .LBB78_3193
.LBB78_3208:
	s_mov_b32 s7, -1
                                        ; implicit-def: $vgpr18_vgpr19
	s_branch .LBB78_3213
.LBB78_3209:
	s_mov_b32 s7, -1
                                        ; implicit-def: $vgpr18_vgpr19
.LBB78_3210:
	s_delay_alu instid0(SALU_CYCLE_1)
	s_and_b32 vcc_lo, exec_lo, s7
	s_cbranch_vccz .LBB78_3212
; %bb.3211:
	s_wait_loadcnt 0x0
	global_load_u8 v18, v[24:25], off
	s_wait_loadcnt 0x0
	v_lshlrev_b32_e32 v18, 24, v18
	s_delay_alu instid0(VALU_DEP_1) | instskip(NEXT) | instid1(VALU_DEP_1)
	v_and_b32_e32 v19, 0x7f000000, v18
	v_clz_i32_u32_e32 v21, v19
	v_add_nc_u32_e32 v27, 0x1000000, v19
	v_cmp_ne_u32_e32 vcc_lo, 0, v19
	s_delay_alu instid0(VALU_DEP_3) | instskip(NEXT) | instid1(VALU_DEP_1)
	v_min_u32_e32 v21, 32, v21
	v_sub_nc_u32_e64 v21, v21, 4 clamp
	s_delay_alu instid0(VALU_DEP_1) | instskip(NEXT) | instid1(VALU_DEP_1)
	v_dual_lshlrev_b32 v23, v21, v19 :: v_dual_lshlrev_b32 v21, 23, v21
	v_lshrrev_b32_e32 v23, 4, v23
	s_delay_alu instid0(VALU_DEP_1) | instskip(NEXT) | instid1(VALU_DEP_1)
	v_dual_sub_nc_u32 v21, v23, v21 :: v_dual_ashrrev_i32 v23, 8, v27
	v_add_nc_u32_e32 v21, 0x3c000000, v21
	s_delay_alu instid0(VALU_DEP_1) | instskip(NEXT) | instid1(VALU_DEP_1)
	v_and_or_b32 v21, 0x7f800000, v23, v21
	v_cndmask_b32_e32 v19, 0, v21, vcc_lo
	s_delay_alu instid0(VALU_DEP_1) | instskip(NEXT) | instid1(VALU_DEP_1)
	v_and_or_b32 v18, 0x80000000, v18, v19
	v_trunc_f32_e32 v18, v18
	s_delay_alu instid0(VALU_DEP_1) | instskip(NEXT) | instid1(VALU_DEP_1)
	v_mul_f32_e64 v19, 0x2f800000, |v18|
	v_floor_f32_e32 v19, v19
	s_delay_alu instid0(VALU_DEP_1) | instskip(SKIP_2) | instid1(VALU_DEP_3)
	v_fma_f32 v21, 0xcf800000, v19, |v18|
	v_ashrrev_i32_e32 v18, 31, v18
	v_cvt_u32_f32_e32 v23, v19
	v_cvt_u32_f32_e32 v21, v21
	s_delay_alu instid0(VALU_DEP_2) | instskip(NEXT) | instid1(VALU_DEP_2)
	v_dual_mov_b32 v19, v18 :: v_dual_bitop2_b32 v29, v23, v18 bitop3:0x14
	v_xor_b32_e32 v28, v21, v18
	s_delay_alu instid0(VALU_DEP_1)
	v_sub_nc_u64_e32 v[18:19], v[28:29], v[18:19]
.LBB78_3212:
	s_mov_b32 s7, 0
.LBB78_3213:
	s_delay_alu instid0(SALU_CYCLE_1)
	s_and_not1_b32 vcc_lo, exec_lo, s7
	s_cbranch_vccnz .LBB78_3215
; %bb.3214:
	s_wait_loadcnt 0x0
	global_load_u8 v18, v[24:25], off
	s_wait_loadcnt 0x0
	v_lshlrev_b32_e32 v19, 25, v18
	v_lshlrev_b16 v18, 8, v18
	s_delay_alu instid0(VALU_DEP_1) | instskip(SKIP_1) | instid1(VALU_DEP_2)
	v_and_or_b32 v23, 0x7f00, v18, 0.5
	v_bfe_i32 v18, v18, 0, 16
	v_add_f32_e32 v23, -0.5, v23
	v_lshrrev_b32_e32 v21, 4, v19
	v_cmp_gt_u32_e32 vcc_lo, 0x8000000, v19
	s_delay_alu instid0(VALU_DEP_2) | instskip(NEXT) | instid1(VALU_DEP_1)
	v_or_b32_e32 v21, 0x70000000, v21
	v_mul_f32_e32 v21, 0x7800000, v21
	s_delay_alu instid0(VALU_DEP_1) | instskip(NEXT) | instid1(VALU_DEP_1)
	v_cndmask_b32_e32 v19, v21, v23, vcc_lo
	v_and_or_b32 v18, 0x80000000, v18, v19
	s_delay_alu instid0(VALU_DEP_1) | instskip(NEXT) | instid1(VALU_DEP_1)
	v_trunc_f32_e32 v18, v18
	v_mul_f32_e64 v19, 0x2f800000, |v18|
	s_delay_alu instid0(VALU_DEP_1) | instskip(NEXT) | instid1(VALU_DEP_1)
	v_floor_f32_e32 v19, v19
	v_fma_f32 v21, 0xcf800000, v19, |v18|
	v_ashrrev_i32_e32 v18, 31, v18
	v_cvt_u32_f32_e32 v23, v19
	s_delay_alu instid0(VALU_DEP_3) | instskip(NEXT) | instid1(VALU_DEP_2)
	v_cvt_u32_f32_e32 v21, v21
	v_dual_mov_b32 v19, v18 :: v_dual_bitop2_b32 v29, v23, v18 bitop3:0x14
	s_delay_alu instid0(VALU_DEP_2) | instskip(NEXT) | instid1(VALU_DEP_1)
	v_xor_b32_e32 v28, v21, v18
	v_sub_nc_u64_e32 v[18:19], v[28:29], v[18:19]
.LBB78_3215:
	s_mov_b32 s7, 0
	s_mov_b32 s15, -1
.LBB78_3216:
	s_and_not1_b32 vcc_lo, exec_lo, s7
	s_mov_b32 s7, 0
	s_cbranch_vccnz .LBB78_3227
; %bb.3217:
	s_cmp_gt_i32 s1, 14
	s_cbranch_scc0 .LBB78_3220
; %bb.3218:
	s_cmp_eq_u32 s1, 15
	s_cbranch_scc0 .LBB78_3223
; %bb.3219:
	s_wait_loadcnt 0x0
	global_load_u16 v18, v[24:25], off
	s_mov_b32 s6, 0
	s_mov_b32 s15, -1
	s_wait_loadcnt 0x0
	v_lshlrev_b32_e32 v18, 16, v18
	s_delay_alu instid0(VALU_DEP_1) | instskip(NEXT) | instid1(VALU_DEP_1)
	v_trunc_f32_e32 v18, v18
	v_mul_f32_e64 v19, 0x2f800000, |v18|
	s_delay_alu instid0(VALU_DEP_1) | instskip(NEXT) | instid1(VALU_DEP_1)
	v_floor_f32_e32 v19, v19
	v_fma_f32 v21, 0xcf800000, v19, |v18|
	v_ashrrev_i32_e32 v18, 31, v18
	v_cvt_u32_f32_e32 v23, v19
	s_delay_alu instid0(VALU_DEP_3) | instskip(NEXT) | instid1(VALU_DEP_2)
	v_cvt_u32_f32_e32 v21, v21
	v_dual_mov_b32 v19, v18 :: v_dual_bitop2_b32 v29, v23, v18 bitop3:0x14
	s_delay_alu instid0(VALU_DEP_2) | instskip(NEXT) | instid1(VALU_DEP_1)
	v_xor_b32_e32 v28, v21, v18
	v_sub_nc_u64_e32 v[18:19], v[28:29], v[18:19]
	s_branch .LBB78_3225
.LBB78_3220:
	s_mov_b32 s7, -1
	s_branch .LBB78_3224
.LBB78_3221:
	s_and_not1_saveexec_b32 s7, s7
	s_cbranch_execz .LBB78_3202
.LBB78_3222:
	v_cmp_ne_u16_e32 vcc_lo, 0, v21
	s_and_not1_b32 s15, s15, exec_lo
	s_and_b32 s24, vcc_lo, exec_lo
	s_delay_alu instid0(SALU_CYCLE_1)
	s_or_b32 s15, s15, s24
	s_or_b32 exec_lo, exec_lo, s7
	v_mov_b64_e32 v[18:19], 0
	s_and_saveexec_b32 s7, s15
	s_cbranch_execnz .LBB78_3203
	s_branch .LBB78_3204
.LBB78_3223:
	s_mov_b32 s6, -1
.LBB78_3224:
                                        ; implicit-def: $vgpr18_vgpr19
.LBB78_3225:
	s_and_b32 vcc_lo, exec_lo, s7
	s_mov_b32 s7, 0
	s_cbranch_vccz .LBB78_3227
; %bb.3226:
	s_cmp_lg_u32 s1, 11
	s_mov_b32 s7, -1
	s_cselect_b32 s6, -1, 0
.LBB78_3227:
	s_delay_alu instid0(SALU_CYCLE_1)
	s_and_b32 vcc_lo, exec_lo, s6
	s_cbranch_vccnz .LBB78_3292
; %bb.3228:
	s_and_not1_b32 vcc_lo, exec_lo, s7
	s_cbranch_vccnz .LBB78_3230
.LBB78_3229:
	s_wait_loadcnt 0x0
	global_load_u8 v18, v[24:25], off
	s_mov_b32 s1, 0
	s_mov_b32 s15, -1
	v_mov_b32_e32 v19, s1
	s_wait_loadcnt 0x0
	v_cmp_ne_u16_e32 vcc_lo, 0, v18
	v_cndmask_b32_e64 v18, 0, 1, vcc_lo
.LBB78_3230:
	s_mov_b32 s1, 0
.LBB78_3231:
	s_delay_alu instid0(SALU_CYCLE_1)
	s_and_b32 vcc_lo, exec_lo, s1
	s_cbranch_vccz .LBB78_3280
; %bb.3232:
	s_and_b32 s1, 0xffff, s21
	s_delay_alu instid0(SALU_CYCLE_1)
	s_cmp_lt_i32 s1, 5
	s_cbranch_scc1 .LBB78_3237
; %bb.3233:
	s_cmp_lt_i32 s1, 8
	s_cbranch_scc1 .LBB78_3238
; %bb.3234:
	;; [unrolled: 3-line block ×3, first 2 shown]
	s_cmp_gt_i32 s1, 9
	s_cbranch_scc0 .LBB78_3240
; %bb.3236:
	s_wait_loadcnt 0x0
	global_load_b64 v[18:19], v[24:25], off
	s_mov_b32 s6, 0
	s_wait_loadcnt 0x0
	v_trunc_f64_e32 v[18:19], v[18:19]
	s_delay_alu instid0(VALU_DEP_1) | instskip(NEXT) | instid1(VALU_DEP_1)
	v_ldexp_f64 v[28:29], v[18:19], 0xffffffe0
	v_floor_f64_e32 v[28:29], v[28:29]
	s_delay_alu instid0(VALU_DEP_1) | instskip(SKIP_1) | instid1(VALU_DEP_2)
	v_fmamk_f64 v[30:31], v[28:29], 0xc1f00000, v[18:19]
	v_cvt_i32_f64_e32 v19, v[28:29]
	v_cvt_u32_f64_e32 v18, v[30:31]
	s_branch .LBB78_3241
.LBB78_3237:
	s_mov_b32 s6, -1
                                        ; implicit-def: $vgpr18_vgpr19
	s_branch .LBB78_3259
.LBB78_3238:
	s_mov_b32 s6, -1
                                        ; implicit-def: $vgpr18_vgpr19
	s_branch .LBB78_3247
.LBB78_3239:
	s_mov_b32 s6, -1
                                        ; implicit-def: $vgpr18_vgpr19
	s_branch .LBB78_3244
.LBB78_3240:
	s_mov_b32 s6, -1
                                        ; implicit-def: $vgpr18_vgpr19
.LBB78_3241:
	s_delay_alu instid0(SALU_CYCLE_1)
	s_and_not1_b32 vcc_lo, exec_lo, s6
	s_cbranch_vccnz .LBB78_3243
; %bb.3242:
	s_wait_loadcnt 0x0
	global_load_b32 v18, v[24:25], off
	s_wait_loadcnt 0x0
	v_trunc_f32_e32 v18, v18
	s_delay_alu instid0(VALU_DEP_1) | instskip(NEXT) | instid1(VALU_DEP_1)
	v_mul_f32_e64 v19, 0x2f800000, |v18|
	v_floor_f32_e32 v19, v19
	s_delay_alu instid0(VALU_DEP_1) | instskip(SKIP_2) | instid1(VALU_DEP_3)
	v_fma_f32 v21, 0xcf800000, v19, |v18|
	v_ashrrev_i32_e32 v18, 31, v18
	v_cvt_u32_f32_e32 v23, v19
	v_cvt_u32_f32_e32 v21, v21
	s_delay_alu instid0(VALU_DEP_2) | instskip(NEXT) | instid1(VALU_DEP_2)
	v_dual_mov_b32 v19, v18 :: v_dual_bitop2_b32 v29, v23, v18 bitop3:0x14
	v_xor_b32_e32 v28, v21, v18
	s_delay_alu instid0(VALU_DEP_1)
	v_sub_nc_u64_e32 v[18:19], v[28:29], v[18:19]
.LBB78_3243:
	s_mov_b32 s6, 0
.LBB78_3244:
	s_delay_alu instid0(SALU_CYCLE_1)
	s_and_not1_b32 vcc_lo, exec_lo, s6
	s_cbranch_vccnz .LBB78_3246
; %bb.3245:
	s_wait_loadcnt 0x0
	global_load_b32 v18, v[24:25], off
	s_wait_loadcnt 0x0
	v_cvt_f32_f16_e32 v18, v18
	s_delay_alu instid0(VALU_DEP_1) | instskip(NEXT) | instid1(VALU_DEP_1)
	v_cvt_i32_f32_e32 v18, v18
	v_ashrrev_i32_e32 v19, 31, v18
.LBB78_3246:
	s_mov_b32 s6, 0
.LBB78_3247:
	s_delay_alu instid0(SALU_CYCLE_1)
	s_and_not1_b32 vcc_lo, exec_lo, s6
	s_cbranch_vccnz .LBB78_3258
; %bb.3248:
	s_cmp_lt_i32 s1, 6
	s_cbranch_scc1 .LBB78_3251
; %bb.3249:
	s_cmp_gt_i32 s1, 6
	s_cbranch_scc0 .LBB78_3252
; %bb.3250:
	s_wait_loadcnt 0x0
	global_load_b64 v[18:19], v[24:25], off
	s_mov_b32 s6, 0
	s_wait_loadcnt 0x0
	v_trunc_f64_e32 v[18:19], v[18:19]
	s_delay_alu instid0(VALU_DEP_1) | instskip(NEXT) | instid1(VALU_DEP_1)
	v_ldexp_f64 v[28:29], v[18:19], 0xffffffe0
	v_floor_f64_e32 v[28:29], v[28:29]
	s_delay_alu instid0(VALU_DEP_1) | instskip(SKIP_1) | instid1(VALU_DEP_2)
	v_fmamk_f64 v[30:31], v[28:29], 0xc1f00000, v[18:19]
	v_cvt_i32_f64_e32 v19, v[28:29]
	v_cvt_u32_f64_e32 v18, v[30:31]
	s_branch .LBB78_3253
.LBB78_3251:
	s_mov_b32 s6, -1
                                        ; implicit-def: $vgpr18_vgpr19
	s_branch .LBB78_3256
.LBB78_3252:
	s_mov_b32 s6, -1
                                        ; implicit-def: $vgpr18_vgpr19
.LBB78_3253:
	s_delay_alu instid0(SALU_CYCLE_1)
	s_and_not1_b32 vcc_lo, exec_lo, s6
	s_cbranch_vccnz .LBB78_3255
; %bb.3254:
	s_wait_loadcnt 0x0
	global_load_b32 v18, v[24:25], off
	s_wait_loadcnt 0x0
	v_trunc_f32_e32 v18, v18
	s_delay_alu instid0(VALU_DEP_1) | instskip(NEXT) | instid1(VALU_DEP_1)
	v_mul_f32_e64 v19, 0x2f800000, |v18|
	v_floor_f32_e32 v19, v19
	s_delay_alu instid0(VALU_DEP_1) | instskip(SKIP_2) | instid1(VALU_DEP_3)
	v_fma_f32 v21, 0xcf800000, v19, |v18|
	v_ashrrev_i32_e32 v18, 31, v18
	v_cvt_u32_f32_e32 v23, v19
	v_cvt_u32_f32_e32 v21, v21
	s_delay_alu instid0(VALU_DEP_2) | instskip(NEXT) | instid1(VALU_DEP_2)
	v_dual_mov_b32 v19, v18 :: v_dual_bitop2_b32 v29, v23, v18 bitop3:0x14
	v_xor_b32_e32 v28, v21, v18
	s_delay_alu instid0(VALU_DEP_1)
	v_sub_nc_u64_e32 v[18:19], v[28:29], v[18:19]
.LBB78_3255:
	s_mov_b32 s6, 0
.LBB78_3256:
	s_delay_alu instid0(SALU_CYCLE_1)
	s_and_not1_b32 vcc_lo, exec_lo, s6
	s_cbranch_vccnz .LBB78_3258
; %bb.3257:
	s_wait_loadcnt 0x0
	global_load_u16 v18, v[24:25], off
	s_wait_loadcnt 0x0
	v_cvt_f32_f16_e32 v18, v18
	s_delay_alu instid0(VALU_DEP_1) | instskip(NEXT) | instid1(VALU_DEP_1)
	v_cvt_i32_f32_e32 v18, v18
	v_ashrrev_i32_e32 v19, 31, v18
.LBB78_3258:
	s_mov_b32 s6, 0
.LBB78_3259:
	s_delay_alu instid0(SALU_CYCLE_1)
	s_and_not1_b32 vcc_lo, exec_lo, s6
	s_cbranch_vccnz .LBB78_3279
; %bb.3260:
	s_cmp_lt_i32 s1, 2
	s_cbranch_scc1 .LBB78_3264
; %bb.3261:
	s_cmp_lt_i32 s1, 3
	s_cbranch_scc1 .LBB78_3265
; %bb.3262:
	s_cmp_gt_i32 s1, 3
	s_cbranch_scc0 .LBB78_3266
; %bb.3263:
	s_wait_loadcnt 0x0
	global_load_b64 v[18:19], v[24:25], off
	s_mov_b32 s6, 0
	s_branch .LBB78_3267
.LBB78_3264:
	s_mov_b32 s6, -1
                                        ; implicit-def: $vgpr18_vgpr19
	s_branch .LBB78_3273
.LBB78_3265:
	s_mov_b32 s6, -1
                                        ; implicit-def: $vgpr18_vgpr19
	s_branch .LBB78_3270
.LBB78_3266:
	s_mov_b32 s6, -1
                                        ; implicit-def: $vgpr18_vgpr19
.LBB78_3267:
	s_delay_alu instid0(SALU_CYCLE_1)
	s_and_not1_b32 vcc_lo, exec_lo, s6
	s_cbranch_vccnz .LBB78_3269
; %bb.3268:
	s_wait_loadcnt 0x0
	global_load_b32 v18, v[24:25], off
	s_wait_loadcnt 0x0
	v_ashrrev_i32_e32 v19, 31, v18
.LBB78_3269:
	s_mov_b32 s6, 0
.LBB78_3270:
	s_delay_alu instid0(SALU_CYCLE_1)
	s_and_not1_b32 vcc_lo, exec_lo, s6
	s_cbranch_vccnz .LBB78_3272
; %bb.3271:
	s_wait_loadcnt 0x0
	global_load_u16 v18, v[24:25], off
	s_wait_loadcnt 0x0
	v_bfe_i32 v18, v18, 0, 16
	s_delay_alu instid0(VALU_DEP_1)
	v_ashrrev_i32_e32 v19, 31, v18
.LBB78_3272:
	s_mov_b32 s6, 0
.LBB78_3273:
	s_delay_alu instid0(SALU_CYCLE_1)
	s_and_not1_b32 vcc_lo, exec_lo, s6
	s_cbranch_vccnz .LBB78_3279
; %bb.3274:
	s_cmp_gt_i32 s1, 0
	s_mov_b32 s1, 0
	s_cbranch_scc0 .LBB78_3276
; %bb.3275:
	s_wait_loadcnt 0x0
	global_load_i8 v18, v[24:25], off
	s_wait_loadcnt 0x0
	v_bfe_i32 v18, v18, 0, 16
	s_delay_alu instid0(VALU_DEP_1)
	v_ashrrev_i32_e32 v19, 31, v18
	s_branch .LBB78_3277
.LBB78_3276:
	s_mov_b32 s1, -1
                                        ; implicit-def: $vgpr18_vgpr19
.LBB78_3277:
	s_delay_alu instid0(SALU_CYCLE_1)
	s_and_not1_b32 vcc_lo, exec_lo, s1
	s_cbranch_vccnz .LBB78_3279
; %bb.3278:
	s_wait_loadcnt 0x0
	global_load_u8 v18, v[24:25], off
	s_mov_b32 s1, 0
	s_delay_alu instid0(SALU_CYCLE_1)
	v_mov_b32_e32 v19, s1
	s_wait_loadcnt 0x0
	v_and_b32_e32 v18, 0xffff, v18
.LBB78_3279:
	s_mov_b32 s15, -1
.LBB78_3280:
	s_delay_alu instid0(SALU_CYCLE_1)
	s_and_not1_b32 vcc_lo, exec_lo, s15
	s_cbranch_vccnz .LBB78_3968
; %bb.3281:
	v_add_nc_u32_e32 v20, s13, v20
	s_cmp_lt_i32 s3, 11
	s_delay_alu instid0(VALU_DEP_1) | instskip(SKIP_1) | instid1(VALU_DEP_1)
	v_ashrrev_i32_e32 v21, 31, v20
	s_wait_xcnt 0x0
	v_add_nc_u64_e32 v[24:25], s[8:9], v[20:21]
	s_cbranch_scc1 .LBB78_3288
; %bb.3282:
	s_and_b32 s1, 0xffff, s3
	s_mov_b32 s7, 0
	s_cmp_gt_i32 s1, 25
	s_cbranch_scc0 .LBB78_3289
; %bb.3283:
	s_cmp_gt_i32 s1, 28
	s_cbranch_scc0 .LBB78_3290
; %bb.3284:
	;; [unrolled: 3-line block ×4, first 2 shown]
	s_cmp_eq_u32 s1, 46
	s_mov_b32 s9, 0
	s_cbranch_scc0 .LBB78_3294
; %bb.3287:
	global_load_b32 v20, v[24:25], off
	s_mov_b32 s6, 0
	s_mov_b32 s8, -1
	s_wait_loadcnt 0x0
	v_lshlrev_b32_e32 v20, 16, v20
	s_delay_alu instid0(VALU_DEP_1) | instskip(NEXT) | instid1(VALU_DEP_1)
	v_trunc_f32_e32 v20, v20
	v_mul_f32_e64 v21, 0x2f800000, |v20|
	s_delay_alu instid0(VALU_DEP_1) | instskip(NEXT) | instid1(VALU_DEP_1)
	v_floor_f32_e32 v21, v21
	v_fma_f32 v23, 0xcf800000, v21, |v20|
	v_ashrrev_i32_e32 v20, 31, v20
	v_cvt_u32_f32_e32 v27, v21
	s_delay_alu instid0(VALU_DEP_3) | instskip(NEXT) | instid1(VALU_DEP_2)
	v_cvt_u32_f32_e32 v23, v23
	v_dual_mov_b32 v21, v20 :: v_dual_bitop2_b32 v29, v27, v20 bitop3:0x14
	s_delay_alu instid0(VALU_DEP_2) | instskip(NEXT) | instid1(VALU_DEP_1)
	v_xor_b32_e32 v28, v23, v20
	v_sub_nc_u64_e32 v[20:21], v[28:29], v[20:21]
	s_branch .LBB78_3296
.LBB78_3288:
	s_mov_b32 s1, -1
	s_mov_b32 s8, 0
                                        ; implicit-def: $vgpr20_vgpr21
	s_branch .LBB78_3358
.LBB78_3289:
	s_mov_b32 s9, -1
	s_mov_b32 s8, 0
	s_mov_b32 s6, 0
                                        ; implicit-def: $vgpr20_vgpr21
	s_branch .LBB78_3323
.LBB78_3290:
	s_mov_b32 s9, -1
	s_mov_b32 s8, 0
	s_mov_b32 s6, 0
                                        ; implicit-def: $vgpr20_vgpr21
	s_branch .LBB78_3306
.LBB78_3291:
	s_mov_b32 s9, -1
	s_mov_b32 s8, 0
	s_mov_b32 s6, 0
                                        ; implicit-def: $vgpr20_vgpr21
	s_branch .LBB78_3301
.LBB78_3292:
	s_or_b32 s20, s20, exec_lo
	s_trap 2
	s_cbranch_execz .LBB78_3229
	s_branch .LBB78_3230
.LBB78_3293:
	s_mov_b32 s9, -1
	s_mov_b32 s8, 0
	s_mov_b32 s6, 0
	s_branch .LBB78_3295
.LBB78_3294:
	s_mov_b32 s6, -1
	s_mov_b32 s8, 0
.LBB78_3295:
                                        ; implicit-def: $vgpr20_vgpr21
.LBB78_3296:
	s_and_b32 vcc_lo, exec_lo, s9
	s_cbranch_vccz .LBB78_3300
; %bb.3297:
	s_cmp_eq_u32 s1, 44
	s_cbranch_scc0 .LBB78_3299
; %bb.3298:
	global_load_u8 v23, v[24:25], off
	s_mov_b32 s6, 0
	s_mov_b32 s8, -1
	s_wait_loadcnt 0x0
	v_cmp_ne_u32_e32 vcc_lo, 0, v23
	v_lshlrev_b32_e32 v20, 23, v23
	s_delay_alu instid0(VALU_DEP_1) | instskip(NEXT) | instid1(VALU_DEP_1)
	v_trunc_f32_e32 v20, v20
	v_mul_f32_e64 v21, 0x2f800000, |v20|
	s_delay_alu instid0(VALU_DEP_1) | instskip(NEXT) | instid1(VALU_DEP_1)
	v_floor_f32_e32 v21, v21
	v_fma_f32 v27, 0xcf800000, v21, |v20|
	v_ashrrev_i32_e32 v20, 31, v20
	v_cvt_u32_f32_e32 v28, v21
	s_delay_alu instid0(VALU_DEP_3) | instskip(NEXT) | instid1(VALU_DEP_3)
	v_cvt_u32_f32_e32 v27, v27
	v_mov_b32_e32 v21, v20
	s_delay_alu instid0(VALU_DEP_3) | instskip(NEXT) | instid1(VALU_DEP_3)
	v_xor_b32_e32 v29, v28, v20
	v_xor_b32_e32 v28, v27, v20
	s_delay_alu instid0(VALU_DEP_1) | instskip(NEXT) | instid1(VALU_DEP_1)
	v_sub_nc_u64_e32 v[20:21], v[28:29], v[20:21]
	v_dual_cndmask_b32 v21, 0, v21 :: v_dual_cndmask_b32 v20, 0, v20
	s_branch .LBB78_3300
.LBB78_3299:
	s_mov_b32 s6, -1
                                        ; implicit-def: $vgpr20_vgpr21
.LBB78_3300:
	s_mov_b32 s9, 0
.LBB78_3301:
	s_delay_alu instid0(SALU_CYCLE_1)
	s_and_b32 vcc_lo, exec_lo, s9
	s_cbranch_vccz .LBB78_3305
; %bb.3302:
	s_cmp_eq_u32 s1, 29
	s_cbranch_scc0 .LBB78_3304
; %bb.3303:
	global_load_b64 v[20:21], v[24:25], off
	s_mov_b32 s6, 0
	s_mov_b32 s8, -1
	s_branch .LBB78_3305
.LBB78_3304:
	s_mov_b32 s6, -1
                                        ; implicit-def: $vgpr20_vgpr21
.LBB78_3305:
	s_mov_b32 s9, 0
.LBB78_3306:
	s_delay_alu instid0(SALU_CYCLE_1)
	s_and_b32 vcc_lo, exec_lo, s9
	s_cbranch_vccz .LBB78_3322
; %bb.3307:
	s_cmp_lt_i32 s1, 27
	s_cbranch_scc1 .LBB78_3310
; %bb.3308:
	s_cmp_gt_i32 s1, 27
	s_cbranch_scc0 .LBB78_3311
; %bb.3309:
	s_wait_loadcnt 0x0
	global_load_b32 v20, v[24:25], off
	v_mov_b32_e32 v21, 0
	s_mov_b32 s8, 0
	s_branch .LBB78_3312
.LBB78_3310:
	s_mov_b32 s8, -1
                                        ; implicit-def: $vgpr20_vgpr21
	s_branch .LBB78_3315
.LBB78_3311:
	s_mov_b32 s8, -1
                                        ; implicit-def: $vgpr20_vgpr21
.LBB78_3312:
	s_delay_alu instid0(SALU_CYCLE_1)
	s_and_not1_b32 vcc_lo, exec_lo, s8
	s_cbranch_vccnz .LBB78_3314
; %bb.3313:
	s_wait_loadcnt 0x0
	global_load_u16 v20, v[24:25], off
	s_mov_b32 s8, 0
	s_delay_alu instid0(SALU_CYCLE_1)
	v_mov_b32_e32 v21, s8
	s_wait_loadcnt 0x0
	v_and_b32_e32 v20, 0xffff, v20
.LBB78_3314:
	s_mov_b32 s8, 0
.LBB78_3315:
	s_delay_alu instid0(SALU_CYCLE_1)
	s_and_not1_b32 vcc_lo, exec_lo, s8
	s_cbranch_vccnz .LBB78_3321
; %bb.3316:
	global_load_u8 v23, v[24:25], off
	s_mov_b32 s9, 0
	s_mov_b32 s8, exec_lo
	s_wait_loadcnt 0x0
	v_cmpx_lt_i16_e32 0x7f, v23
	s_xor_b32 s8, exec_lo, s8
	s_cbranch_execz .LBB78_3333
; %bb.3317:
	v_cmp_ne_u16_e32 vcc_lo, 0x80, v23
	s_and_b32 s9, vcc_lo, exec_lo
	s_and_not1_saveexec_b32 s8, s8
	s_cbranch_execnz .LBB78_3334
.LBB78_3318:
	s_or_b32 exec_lo, exec_lo, s8
	v_mov_b64_e32 v[20:21], 0
	s_and_saveexec_b32 s8, s9
	s_cbranch_execz .LBB78_3320
.LBB78_3319:
	v_and_b32_e32 v20, 0xffff, v23
	s_delay_alu instid0(VALU_DEP_1) | instskip(SKIP_1) | instid1(VALU_DEP_2)
	v_and_b32_e32 v21, 7, v20
	v_bfe_u32 v29, v20, 3, 4
	v_clz_i32_u32_e32 v27, v21
	s_delay_alu instid0(VALU_DEP_2) | instskip(NEXT) | instid1(VALU_DEP_2)
	v_cmp_eq_u32_e32 vcc_lo, 0, v29
	v_min_u32_e32 v27, 32, v27
	s_delay_alu instid0(VALU_DEP_1) | instskip(NEXT) | instid1(VALU_DEP_1)
	v_subrev_nc_u32_e32 v28, 28, v27
	v_dual_lshlrev_b32 v20, v28, v20 :: v_dual_sub_nc_u32 v27, 29, v27
	s_delay_alu instid0(VALU_DEP_1) | instskip(NEXT) | instid1(VALU_DEP_1)
	v_dual_lshlrev_b32 v23, 24, v23 :: v_dual_bitop2_b32 v20, 7, v20 bitop3:0x40
	v_cndmask_b32_e32 v20, v21, v20, vcc_lo
	s_delay_alu instid0(VALU_DEP_3) | instskip(NEXT) | instid1(VALU_DEP_3)
	v_cndmask_b32_e32 v27, v29, v27, vcc_lo
	v_and_b32_e32 v21, 0x80000000, v23
	s_delay_alu instid0(VALU_DEP_3) | instskip(NEXT) | instid1(VALU_DEP_3)
	v_lshlrev_b32_e32 v20, 20, v20
	v_lshl_add_u32 v23, v27, 23, 0x3b800000
	s_delay_alu instid0(VALU_DEP_1) | instskip(NEXT) | instid1(VALU_DEP_1)
	v_or3_b32 v20, v21, v23, v20
	v_trunc_f32_e32 v20, v20
	s_delay_alu instid0(VALU_DEP_1) | instskip(NEXT) | instid1(VALU_DEP_1)
	v_mul_f32_e64 v21, 0x2f800000, |v20|
	v_floor_f32_e32 v21, v21
	s_delay_alu instid0(VALU_DEP_1) | instskip(SKIP_2) | instid1(VALU_DEP_3)
	v_fma_f32 v23, 0xcf800000, v21, |v20|
	v_ashrrev_i32_e32 v20, 31, v20
	v_cvt_u32_f32_e32 v27, v21
	v_cvt_u32_f32_e32 v23, v23
	s_delay_alu instid0(VALU_DEP_2) | instskip(NEXT) | instid1(VALU_DEP_2)
	v_dual_mov_b32 v21, v20 :: v_dual_bitop2_b32 v29, v27, v20 bitop3:0x14
	v_xor_b32_e32 v28, v23, v20
	s_delay_alu instid0(VALU_DEP_1)
	v_sub_nc_u64_e32 v[20:21], v[28:29], v[20:21]
.LBB78_3320:
	s_or_b32 exec_lo, exec_lo, s8
.LBB78_3321:
	s_mov_b32 s8, -1
.LBB78_3322:
	s_mov_b32 s9, 0
.LBB78_3323:
	s_delay_alu instid0(SALU_CYCLE_1)
	s_and_b32 vcc_lo, exec_lo, s9
	s_cbranch_vccz .LBB78_3354
; %bb.3324:
	s_cmp_gt_i32 s1, 22
	s_cbranch_scc0 .LBB78_3332
; %bb.3325:
	s_cmp_lt_i32 s1, 24
	s_cbranch_scc1 .LBB78_3335
; %bb.3326:
	s_cmp_gt_i32 s1, 24
	s_cbranch_scc0 .LBB78_3336
; %bb.3327:
	global_load_u8 v23, v[24:25], off
	s_mov_b32 s8, 0
	s_mov_b32 s7, exec_lo
	s_wait_loadcnt 0x0
	v_cmpx_lt_i16_e32 0x7f, v23
	s_xor_b32 s7, exec_lo, s7
	s_cbranch_execz .LBB78_3348
; %bb.3328:
	v_cmp_ne_u16_e32 vcc_lo, 0x80, v23
	s_and_b32 s8, vcc_lo, exec_lo
	s_and_not1_saveexec_b32 s7, s7
	s_cbranch_execnz .LBB78_3349
.LBB78_3329:
	s_or_b32 exec_lo, exec_lo, s7
	v_mov_b64_e32 v[20:21], 0
	s_and_saveexec_b32 s7, s8
	s_cbranch_execz .LBB78_3331
.LBB78_3330:
	v_and_b32_e32 v20, 0xffff, v23
	s_delay_alu instid0(VALU_DEP_1) | instskip(SKIP_1) | instid1(VALU_DEP_2)
	v_and_b32_e32 v21, 3, v20
	v_bfe_u32 v29, v20, 2, 5
	v_clz_i32_u32_e32 v27, v21
	s_delay_alu instid0(VALU_DEP_2) | instskip(NEXT) | instid1(VALU_DEP_2)
	v_cmp_eq_u32_e32 vcc_lo, 0, v29
	v_min_u32_e32 v27, 32, v27
	s_delay_alu instid0(VALU_DEP_1) | instskip(NEXT) | instid1(VALU_DEP_1)
	v_subrev_nc_u32_e32 v28, 29, v27
	v_dual_lshlrev_b32 v20, v28, v20 :: v_dual_sub_nc_u32 v27, 30, v27
	s_delay_alu instid0(VALU_DEP_1) | instskip(NEXT) | instid1(VALU_DEP_1)
	v_dual_lshlrev_b32 v23, 24, v23 :: v_dual_bitop2_b32 v20, 3, v20 bitop3:0x40
	v_cndmask_b32_e32 v20, v21, v20, vcc_lo
	s_delay_alu instid0(VALU_DEP_3) | instskip(NEXT) | instid1(VALU_DEP_3)
	v_cndmask_b32_e32 v27, v29, v27, vcc_lo
	v_and_b32_e32 v21, 0x80000000, v23
	s_delay_alu instid0(VALU_DEP_3) | instskip(NEXT) | instid1(VALU_DEP_3)
	v_lshlrev_b32_e32 v20, 21, v20
	v_lshl_add_u32 v23, v27, 23, 0x37800000
	s_delay_alu instid0(VALU_DEP_1) | instskip(NEXT) | instid1(VALU_DEP_1)
	v_or3_b32 v20, v21, v23, v20
	v_trunc_f32_e32 v20, v20
	s_delay_alu instid0(VALU_DEP_1) | instskip(NEXT) | instid1(VALU_DEP_1)
	v_mul_f32_e64 v21, 0x2f800000, |v20|
	v_floor_f32_e32 v21, v21
	s_delay_alu instid0(VALU_DEP_1) | instskip(SKIP_2) | instid1(VALU_DEP_3)
	v_fma_f32 v23, 0xcf800000, v21, |v20|
	v_ashrrev_i32_e32 v20, 31, v20
	v_cvt_u32_f32_e32 v27, v21
	v_cvt_u32_f32_e32 v23, v23
	s_delay_alu instid0(VALU_DEP_2) | instskip(NEXT) | instid1(VALU_DEP_2)
	v_dual_mov_b32 v21, v20 :: v_dual_bitop2_b32 v29, v27, v20 bitop3:0x14
	v_xor_b32_e32 v28, v23, v20
	s_delay_alu instid0(VALU_DEP_1)
	v_sub_nc_u64_e32 v[20:21], v[28:29], v[20:21]
.LBB78_3331:
	s_or_b32 exec_lo, exec_lo, s7
	s_mov_b32 s7, 0
	s_branch .LBB78_3337
.LBB78_3332:
	s_mov_b32 s7, -1
                                        ; implicit-def: $vgpr20_vgpr21
	s_branch .LBB78_3343
.LBB78_3333:
	s_and_not1_saveexec_b32 s8, s8
	s_cbranch_execz .LBB78_3318
.LBB78_3334:
	v_cmp_ne_u16_e32 vcc_lo, 0, v23
	s_and_not1_b32 s9, s9, exec_lo
	s_and_b32 s13, vcc_lo, exec_lo
	s_delay_alu instid0(SALU_CYCLE_1)
	s_or_b32 s9, s9, s13
	s_or_b32 exec_lo, exec_lo, s8
	v_mov_b64_e32 v[20:21], 0
	s_and_saveexec_b32 s8, s9
	s_cbranch_execnz .LBB78_3319
	s_branch .LBB78_3320
.LBB78_3335:
	s_mov_b32 s7, -1
                                        ; implicit-def: $vgpr20_vgpr21
	s_branch .LBB78_3340
.LBB78_3336:
	s_mov_b32 s7, -1
                                        ; implicit-def: $vgpr20_vgpr21
.LBB78_3337:
	s_delay_alu instid0(SALU_CYCLE_1)
	s_and_b32 vcc_lo, exec_lo, s7
	s_cbranch_vccz .LBB78_3339
; %bb.3338:
	s_wait_loadcnt 0x0
	global_load_u8 v20, v[24:25], off
	s_wait_loadcnt 0x0
	v_lshlrev_b32_e32 v20, 24, v20
	s_delay_alu instid0(VALU_DEP_1) | instskip(NEXT) | instid1(VALU_DEP_1)
	v_and_b32_e32 v21, 0x7f000000, v20
	v_clz_i32_u32_e32 v23, v21
	v_cmp_ne_u32_e32 vcc_lo, 0, v21
	v_add_nc_u32_e32 v28, 0x1000000, v21
	s_delay_alu instid0(VALU_DEP_3) | instskip(NEXT) | instid1(VALU_DEP_1)
	v_min_u32_e32 v23, 32, v23
	v_sub_nc_u32_e64 v23, v23, 4 clamp
	s_delay_alu instid0(VALU_DEP_1) | instskip(NEXT) | instid1(VALU_DEP_1)
	v_dual_lshlrev_b32 v27, v23, v21 :: v_dual_lshlrev_b32 v23, 23, v23
	v_lshrrev_b32_e32 v27, 4, v27
	s_delay_alu instid0(VALU_DEP_1) | instskip(NEXT) | instid1(VALU_DEP_1)
	v_dual_sub_nc_u32 v23, v27, v23 :: v_dual_ashrrev_i32 v27, 8, v28
	v_add_nc_u32_e32 v23, 0x3c000000, v23
	s_delay_alu instid0(VALU_DEP_1) | instskip(NEXT) | instid1(VALU_DEP_1)
	v_and_or_b32 v23, 0x7f800000, v27, v23
	v_cndmask_b32_e32 v21, 0, v23, vcc_lo
	s_delay_alu instid0(VALU_DEP_1) | instskip(NEXT) | instid1(VALU_DEP_1)
	v_and_or_b32 v20, 0x80000000, v20, v21
	v_trunc_f32_e32 v20, v20
	s_delay_alu instid0(VALU_DEP_1) | instskip(NEXT) | instid1(VALU_DEP_1)
	v_mul_f32_e64 v21, 0x2f800000, |v20|
	v_floor_f32_e32 v21, v21
	s_delay_alu instid0(VALU_DEP_1) | instskip(SKIP_2) | instid1(VALU_DEP_3)
	v_fma_f32 v23, 0xcf800000, v21, |v20|
	v_ashrrev_i32_e32 v20, 31, v20
	v_cvt_u32_f32_e32 v27, v21
	v_cvt_u32_f32_e32 v23, v23
	s_delay_alu instid0(VALU_DEP_2) | instskip(NEXT) | instid1(VALU_DEP_2)
	v_dual_mov_b32 v21, v20 :: v_dual_bitop2_b32 v29, v27, v20 bitop3:0x14
	v_xor_b32_e32 v28, v23, v20
	s_delay_alu instid0(VALU_DEP_1)
	v_sub_nc_u64_e32 v[20:21], v[28:29], v[20:21]
.LBB78_3339:
	s_mov_b32 s7, 0
.LBB78_3340:
	s_delay_alu instid0(SALU_CYCLE_1)
	s_and_not1_b32 vcc_lo, exec_lo, s7
	s_cbranch_vccnz .LBB78_3342
; %bb.3341:
	s_wait_loadcnt 0x0
	global_load_u8 v20, v[24:25], off
	s_wait_loadcnt 0x0
	v_lshlrev_b32_e32 v21, 25, v20
	v_lshlrev_b16 v20, 8, v20
	s_delay_alu instid0(VALU_DEP_1) | instskip(SKIP_1) | instid1(VALU_DEP_2)
	v_and_or_b32 v27, 0x7f00, v20, 0.5
	v_bfe_i32 v20, v20, 0, 16
	v_dual_add_f32 v27, -0.5, v27 :: v_dual_lshrrev_b32 v23, 4, v21
	v_cmp_gt_u32_e32 vcc_lo, 0x8000000, v21
	s_delay_alu instid0(VALU_DEP_2) | instskip(NEXT) | instid1(VALU_DEP_1)
	v_or_b32_e32 v23, 0x70000000, v23
	v_mul_f32_e32 v23, 0x7800000, v23
	s_delay_alu instid0(VALU_DEP_1) | instskip(NEXT) | instid1(VALU_DEP_1)
	v_cndmask_b32_e32 v21, v23, v27, vcc_lo
	v_and_or_b32 v20, 0x80000000, v20, v21
	s_delay_alu instid0(VALU_DEP_1) | instskip(NEXT) | instid1(VALU_DEP_1)
	v_trunc_f32_e32 v20, v20
	v_mul_f32_e64 v21, 0x2f800000, |v20|
	s_delay_alu instid0(VALU_DEP_1) | instskip(NEXT) | instid1(VALU_DEP_1)
	v_floor_f32_e32 v21, v21
	v_fma_f32 v23, 0xcf800000, v21, |v20|
	v_ashrrev_i32_e32 v20, 31, v20
	v_cvt_u32_f32_e32 v27, v21
	s_delay_alu instid0(VALU_DEP_3) | instskip(NEXT) | instid1(VALU_DEP_2)
	v_cvt_u32_f32_e32 v23, v23
	v_dual_mov_b32 v21, v20 :: v_dual_bitop2_b32 v29, v27, v20 bitop3:0x14
	s_delay_alu instid0(VALU_DEP_2) | instskip(NEXT) | instid1(VALU_DEP_1)
	v_xor_b32_e32 v28, v23, v20
	v_sub_nc_u64_e32 v[20:21], v[28:29], v[20:21]
.LBB78_3342:
	s_mov_b32 s7, 0
	s_mov_b32 s8, -1
.LBB78_3343:
	s_and_not1_b32 vcc_lo, exec_lo, s7
	s_mov_b32 s7, 0
	s_cbranch_vccnz .LBB78_3354
; %bb.3344:
	s_cmp_gt_i32 s1, 14
	s_cbranch_scc0 .LBB78_3347
; %bb.3345:
	s_cmp_eq_u32 s1, 15
	s_cbranch_scc0 .LBB78_3350
; %bb.3346:
	s_wait_loadcnt 0x0
	global_load_u16 v20, v[24:25], off
	s_mov_b32 s6, 0
	s_mov_b32 s8, -1
	s_wait_loadcnt 0x0
	v_lshlrev_b32_e32 v20, 16, v20
	s_delay_alu instid0(VALU_DEP_1) | instskip(NEXT) | instid1(VALU_DEP_1)
	v_trunc_f32_e32 v20, v20
	v_mul_f32_e64 v21, 0x2f800000, |v20|
	s_delay_alu instid0(VALU_DEP_1) | instskip(NEXT) | instid1(VALU_DEP_1)
	v_floor_f32_e32 v21, v21
	v_fma_f32 v23, 0xcf800000, v21, |v20|
	v_ashrrev_i32_e32 v20, 31, v20
	v_cvt_u32_f32_e32 v27, v21
	s_delay_alu instid0(VALU_DEP_3) | instskip(NEXT) | instid1(VALU_DEP_2)
	v_cvt_u32_f32_e32 v23, v23
	v_dual_mov_b32 v21, v20 :: v_dual_bitop2_b32 v29, v27, v20 bitop3:0x14
	s_delay_alu instid0(VALU_DEP_2) | instskip(NEXT) | instid1(VALU_DEP_1)
	v_xor_b32_e32 v28, v23, v20
	v_sub_nc_u64_e32 v[20:21], v[28:29], v[20:21]
	s_branch .LBB78_3352
.LBB78_3347:
	s_mov_b32 s7, -1
	s_branch .LBB78_3351
.LBB78_3348:
	s_and_not1_saveexec_b32 s7, s7
	s_cbranch_execz .LBB78_3329
.LBB78_3349:
	v_cmp_ne_u16_e32 vcc_lo, 0, v23
	s_and_not1_b32 s8, s8, exec_lo
	s_and_b32 s9, vcc_lo, exec_lo
	s_delay_alu instid0(SALU_CYCLE_1)
	s_or_b32 s8, s8, s9
	s_or_b32 exec_lo, exec_lo, s7
	v_mov_b64_e32 v[20:21], 0
	s_and_saveexec_b32 s7, s8
	s_cbranch_execnz .LBB78_3330
	s_branch .LBB78_3331
.LBB78_3350:
	s_mov_b32 s6, -1
.LBB78_3351:
                                        ; implicit-def: $vgpr20_vgpr21
.LBB78_3352:
	s_and_b32 vcc_lo, exec_lo, s7
	s_mov_b32 s7, 0
	s_cbranch_vccz .LBB78_3354
; %bb.3353:
	s_cmp_lg_u32 s1, 11
	s_mov_b32 s7, -1
	s_cselect_b32 s6, -1, 0
.LBB78_3354:
	s_delay_alu instid0(SALU_CYCLE_1)
	s_and_b32 vcc_lo, exec_lo, s6
	s_cbranch_vccnz .LBB78_3419
; %bb.3355:
	s_and_not1_b32 vcc_lo, exec_lo, s7
	s_cbranch_vccnz .LBB78_3357
.LBB78_3356:
	s_wait_loadcnt 0x0
	global_load_u8 v20, v[24:25], off
	s_mov_b32 s1, 0
	s_mov_b32 s8, -1
	v_mov_b32_e32 v21, s1
	s_wait_loadcnt 0x0
	v_cmp_ne_u16_e32 vcc_lo, 0, v20
	v_cndmask_b32_e64 v20, 0, 1, vcc_lo
.LBB78_3357:
	s_mov_b32 s1, 0
.LBB78_3358:
	s_delay_alu instid0(SALU_CYCLE_1)
	s_and_b32 vcc_lo, exec_lo, s1
	s_cbranch_vccz .LBB78_3407
; %bb.3359:
	s_and_b32 s1, 0xffff, s3
	s_delay_alu instid0(SALU_CYCLE_1)
	s_cmp_lt_i32 s1, 5
	s_cbranch_scc1 .LBB78_3364
; %bb.3360:
	s_cmp_lt_i32 s1, 8
	s_cbranch_scc1 .LBB78_3365
; %bb.3361:
	s_cmp_lt_i32 s1, 9
	s_cbranch_scc1 .LBB78_3366
; %bb.3362:
	s_cmp_gt_i32 s1, 9
	s_cbranch_scc0 .LBB78_3367
; %bb.3363:
	s_wait_loadcnt 0x0
	global_load_b64 v[20:21], v[24:25], off
	s_mov_b32 s3, 0
	s_wait_loadcnt 0x0
	v_trunc_f64_e32 v[20:21], v[20:21]
	s_delay_alu instid0(VALU_DEP_1) | instskip(NEXT) | instid1(VALU_DEP_1)
	v_ldexp_f64 v[28:29], v[20:21], 0xffffffe0
	v_floor_f64_e32 v[28:29], v[28:29]
	s_delay_alu instid0(VALU_DEP_1) | instskip(SKIP_1) | instid1(VALU_DEP_2)
	v_fmamk_f64 v[30:31], v[28:29], 0xc1f00000, v[20:21]
	v_cvt_i32_f64_e32 v21, v[28:29]
	v_cvt_u32_f64_e32 v20, v[30:31]
	s_branch .LBB78_3368
.LBB78_3364:
	s_mov_b32 s3, -1
                                        ; implicit-def: $vgpr20_vgpr21
	s_branch .LBB78_3386
.LBB78_3365:
	s_mov_b32 s3, -1
                                        ; implicit-def: $vgpr20_vgpr21
	s_branch .LBB78_3374
.LBB78_3366:
	s_mov_b32 s3, -1
                                        ; implicit-def: $vgpr20_vgpr21
	s_branch .LBB78_3371
.LBB78_3367:
	s_mov_b32 s3, -1
                                        ; implicit-def: $vgpr20_vgpr21
.LBB78_3368:
	s_delay_alu instid0(SALU_CYCLE_1)
	s_and_not1_b32 vcc_lo, exec_lo, s3
	s_cbranch_vccnz .LBB78_3370
; %bb.3369:
	s_wait_loadcnt 0x0
	global_load_b32 v20, v[24:25], off
	s_wait_loadcnt 0x0
	v_trunc_f32_e32 v20, v20
	s_delay_alu instid0(VALU_DEP_1) | instskip(NEXT) | instid1(VALU_DEP_1)
	v_mul_f32_e64 v21, 0x2f800000, |v20|
	v_floor_f32_e32 v21, v21
	s_delay_alu instid0(VALU_DEP_1) | instskip(SKIP_2) | instid1(VALU_DEP_3)
	v_fma_f32 v23, 0xcf800000, v21, |v20|
	v_ashrrev_i32_e32 v20, 31, v20
	v_cvt_u32_f32_e32 v27, v21
	v_cvt_u32_f32_e32 v23, v23
	s_delay_alu instid0(VALU_DEP_2) | instskip(NEXT) | instid1(VALU_DEP_2)
	v_dual_mov_b32 v21, v20 :: v_dual_bitop2_b32 v29, v27, v20 bitop3:0x14
	v_xor_b32_e32 v28, v23, v20
	s_delay_alu instid0(VALU_DEP_1)
	v_sub_nc_u64_e32 v[20:21], v[28:29], v[20:21]
.LBB78_3370:
	s_mov_b32 s3, 0
.LBB78_3371:
	s_delay_alu instid0(SALU_CYCLE_1)
	s_and_not1_b32 vcc_lo, exec_lo, s3
	s_cbranch_vccnz .LBB78_3373
; %bb.3372:
	s_wait_loadcnt 0x0
	global_load_b32 v20, v[24:25], off
	s_wait_loadcnt 0x0
	v_cvt_f32_f16_e32 v20, v20
	s_delay_alu instid0(VALU_DEP_1) | instskip(NEXT) | instid1(VALU_DEP_1)
	v_cvt_i32_f32_e32 v20, v20
	v_ashrrev_i32_e32 v21, 31, v20
.LBB78_3373:
	s_mov_b32 s3, 0
.LBB78_3374:
	s_delay_alu instid0(SALU_CYCLE_1)
	s_and_not1_b32 vcc_lo, exec_lo, s3
	s_cbranch_vccnz .LBB78_3385
; %bb.3375:
	s_cmp_lt_i32 s1, 6
	s_cbranch_scc1 .LBB78_3378
; %bb.3376:
	s_cmp_gt_i32 s1, 6
	s_cbranch_scc0 .LBB78_3379
; %bb.3377:
	s_wait_loadcnt 0x0
	global_load_b64 v[20:21], v[24:25], off
	s_mov_b32 s3, 0
	s_wait_loadcnt 0x0
	v_trunc_f64_e32 v[20:21], v[20:21]
	s_delay_alu instid0(VALU_DEP_1) | instskip(NEXT) | instid1(VALU_DEP_1)
	v_ldexp_f64 v[28:29], v[20:21], 0xffffffe0
	v_floor_f64_e32 v[28:29], v[28:29]
	s_delay_alu instid0(VALU_DEP_1) | instskip(SKIP_1) | instid1(VALU_DEP_2)
	v_fmamk_f64 v[30:31], v[28:29], 0xc1f00000, v[20:21]
	v_cvt_i32_f64_e32 v21, v[28:29]
	v_cvt_u32_f64_e32 v20, v[30:31]
	s_branch .LBB78_3380
.LBB78_3378:
	s_mov_b32 s3, -1
                                        ; implicit-def: $vgpr20_vgpr21
	s_branch .LBB78_3383
.LBB78_3379:
	s_mov_b32 s3, -1
                                        ; implicit-def: $vgpr20_vgpr21
.LBB78_3380:
	s_delay_alu instid0(SALU_CYCLE_1)
	s_and_not1_b32 vcc_lo, exec_lo, s3
	s_cbranch_vccnz .LBB78_3382
; %bb.3381:
	s_wait_loadcnt 0x0
	global_load_b32 v20, v[24:25], off
	s_wait_loadcnt 0x0
	v_trunc_f32_e32 v20, v20
	s_delay_alu instid0(VALU_DEP_1) | instskip(NEXT) | instid1(VALU_DEP_1)
	v_mul_f32_e64 v21, 0x2f800000, |v20|
	v_floor_f32_e32 v21, v21
	s_delay_alu instid0(VALU_DEP_1) | instskip(SKIP_2) | instid1(VALU_DEP_3)
	v_fma_f32 v23, 0xcf800000, v21, |v20|
	v_ashrrev_i32_e32 v20, 31, v20
	v_cvt_u32_f32_e32 v27, v21
	v_cvt_u32_f32_e32 v23, v23
	s_delay_alu instid0(VALU_DEP_2) | instskip(NEXT) | instid1(VALU_DEP_2)
	v_dual_mov_b32 v21, v20 :: v_dual_bitop2_b32 v29, v27, v20 bitop3:0x14
	v_xor_b32_e32 v28, v23, v20
	s_delay_alu instid0(VALU_DEP_1)
	v_sub_nc_u64_e32 v[20:21], v[28:29], v[20:21]
.LBB78_3382:
	s_mov_b32 s3, 0
.LBB78_3383:
	s_delay_alu instid0(SALU_CYCLE_1)
	s_and_not1_b32 vcc_lo, exec_lo, s3
	s_cbranch_vccnz .LBB78_3385
; %bb.3384:
	s_wait_loadcnt 0x0
	global_load_u16 v20, v[24:25], off
	s_wait_loadcnt 0x0
	v_cvt_f32_f16_e32 v20, v20
	s_delay_alu instid0(VALU_DEP_1) | instskip(NEXT) | instid1(VALU_DEP_1)
	v_cvt_i32_f32_e32 v20, v20
	v_ashrrev_i32_e32 v21, 31, v20
.LBB78_3385:
	s_mov_b32 s3, 0
.LBB78_3386:
	s_delay_alu instid0(SALU_CYCLE_1)
	s_and_not1_b32 vcc_lo, exec_lo, s3
	s_cbranch_vccnz .LBB78_3406
; %bb.3387:
	s_cmp_lt_i32 s1, 2
	s_cbranch_scc1 .LBB78_3391
; %bb.3388:
	s_cmp_lt_i32 s1, 3
	s_cbranch_scc1 .LBB78_3392
; %bb.3389:
	s_cmp_gt_i32 s1, 3
	s_cbranch_scc0 .LBB78_3393
; %bb.3390:
	s_wait_loadcnt 0x0
	global_load_b64 v[20:21], v[24:25], off
	s_mov_b32 s3, 0
	s_branch .LBB78_3394
.LBB78_3391:
	s_mov_b32 s3, -1
                                        ; implicit-def: $vgpr20_vgpr21
	s_branch .LBB78_3400
.LBB78_3392:
	s_mov_b32 s3, -1
                                        ; implicit-def: $vgpr20_vgpr21
	s_branch .LBB78_3397
.LBB78_3393:
	s_mov_b32 s3, -1
                                        ; implicit-def: $vgpr20_vgpr21
.LBB78_3394:
	s_delay_alu instid0(SALU_CYCLE_1)
	s_and_not1_b32 vcc_lo, exec_lo, s3
	s_cbranch_vccnz .LBB78_3396
; %bb.3395:
	s_wait_loadcnt 0x0
	global_load_b32 v20, v[24:25], off
	s_wait_loadcnt 0x0
	v_ashrrev_i32_e32 v21, 31, v20
.LBB78_3396:
	s_mov_b32 s3, 0
.LBB78_3397:
	s_delay_alu instid0(SALU_CYCLE_1)
	s_and_not1_b32 vcc_lo, exec_lo, s3
	s_cbranch_vccnz .LBB78_3399
; %bb.3398:
	s_wait_loadcnt 0x0
	global_load_u16 v20, v[24:25], off
	s_wait_loadcnt 0x0
	v_bfe_i32 v20, v20, 0, 16
	s_delay_alu instid0(VALU_DEP_1)
	v_ashrrev_i32_e32 v21, 31, v20
.LBB78_3399:
	s_mov_b32 s3, 0
.LBB78_3400:
	s_delay_alu instid0(SALU_CYCLE_1)
	s_and_not1_b32 vcc_lo, exec_lo, s3
	s_cbranch_vccnz .LBB78_3406
; %bb.3401:
	s_cmp_gt_i32 s1, 0
	s_mov_b32 s1, 0
	s_cbranch_scc0 .LBB78_3403
; %bb.3402:
	s_wait_loadcnt 0x0
	global_load_i8 v20, v[24:25], off
	s_wait_loadcnt 0x0
	v_bfe_i32 v20, v20, 0, 16
	s_delay_alu instid0(VALU_DEP_1)
	v_ashrrev_i32_e32 v21, 31, v20
	s_branch .LBB78_3404
.LBB78_3403:
	s_mov_b32 s1, -1
                                        ; implicit-def: $vgpr20_vgpr21
.LBB78_3404:
	s_delay_alu instid0(SALU_CYCLE_1)
	s_and_not1_b32 vcc_lo, exec_lo, s1
	s_cbranch_vccnz .LBB78_3406
; %bb.3405:
	s_wait_loadcnt 0x0
	global_load_u8 v20, v[24:25], off
	s_mov_b32 s1, 0
	s_delay_alu instid0(SALU_CYCLE_1)
	v_mov_b32_e32 v21, s1
	s_wait_loadcnt 0x0
	v_and_b32_e32 v20, 0xffff, v20
.LBB78_3406:
	s_mov_b32 s8, -1
.LBB78_3407:
	s_delay_alu instid0(SALU_CYCLE_1)
	s_and_not1_b32 vcc_lo, exec_lo, s8
	s_cbranch_vccnz .LBB78_3968
; %bb.3408:
	v_add_nc_u32_e32 v22, s14, v22
	s_cmp_lt_i32 s0, 11
	s_delay_alu instid0(VALU_DEP_1) | instskip(SKIP_1) | instid1(VALU_DEP_1)
	v_ashrrev_i32_e32 v23, 31, v22
	s_wait_xcnt 0x0
	v_add_nc_u64_e32 v[24:25], s[10:11], v[22:23]
	s_cbranch_scc1 .LBB78_3415
; %bb.3409:
	s_cmp_gt_i32 s0, 25
	s_mov_b32 s3, 0
	s_cbranch_scc0 .LBB78_3416
; %bb.3410:
	s_cmp_gt_i32 s0, 28
	s_cbranch_scc0 .LBB78_3417
; %bb.3411:
	s_cmp_gt_i32 s0, 43
	;; [unrolled: 3-line block ×3, first 2 shown]
	s_cbranch_scc0 .LBB78_3420
; %bb.3413:
	s_cmp_eq_u32 s0, 46
	s_mov_b32 s7, 0
	s_cbranch_scc0 .LBB78_3421
; %bb.3414:
	global_load_b32 v22, v[24:25], off
	s_mov_b32 s1, 0
	s_mov_b32 s6, -1
	s_wait_loadcnt 0x0
	v_lshlrev_b32_e32 v22, 16, v22
	s_delay_alu instid0(VALU_DEP_1) | instskip(NEXT) | instid1(VALU_DEP_1)
	v_trunc_f32_e32 v22, v22
	v_mul_f32_e64 v23, 0x2f800000, |v22|
	s_delay_alu instid0(VALU_DEP_1) | instskip(NEXT) | instid1(VALU_DEP_1)
	v_floor_f32_e32 v23, v23
	v_fma_f32 v27, 0xcf800000, v23, |v22|
	v_ashrrev_i32_e32 v22, 31, v22
	v_cvt_u32_f32_e32 v28, v23
	s_delay_alu instid0(VALU_DEP_3) | instskip(NEXT) | instid1(VALU_DEP_2)
	v_cvt_u32_f32_e32 v27, v27
	v_dual_mov_b32 v23, v22 :: v_dual_bitop2_b32 v29, v28, v22 bitop3:0x14
	s_delay_alu instid0(VALU_DEP_2) | instskip(NEXT) | instid1(VALU_DEP_1)
	v_xor_b32_e32 v28, v27, v22
	v_sub_nc_u64_e32 v[22:23], v[28:29], v[22:23]
	s_branch .LBB78_3423
.LBB78_3415:
	s_mov_b32 s1, -1
	s_mov_b32 s6, 0
                                        ; implicit-def: $vgpr22_vgpr23
	s_branch .LBB78_3485
.LBB78_3416:
	s_mov_b32 s7, -1
	s_mov_b32 s6, 0
	s_mov_b32 s1, 0
                                        ; implicit-def: $vgpr22_vgpr23
	s_branch .LBB78_3450
.LBB78_3417:
	s_mov_b32 s7, -1
	s_mov_b32 s6, 0
	s_mov_b32 s1, 0
                                        ; implicit-def: $vgpr22_vgpr23
	s_branch .LBB78_3433
.LBB78_3418:
	s_mov_b32 s7, -1
	s_mov_b32 s6, 0
	s_mov_b32 s1, 0
                                        ; implicit-def: $vgpr22_vgpr23
	s_branch .LBB78_3428
.LBB78_3419:
	s_or_b32 s20, s20, exec_lo
	s_trap 2
	s_cbranch_execz .LBB78_3356
	s_branch .LBB78_3357
.LBB78_3420:
	s_mov_b32 s7, -1
	s_mov_b32 s6, 0
	s_mov_b32 s1, 0
	s_branch .LBB78_3422
.LBB78_3421:
	s_mov_b32 s1, -1
	s_mov_b32 s6, 0
.LBB78_3422:
                                        ; implicit-def: $vgpr22_vgpr23
.LBB78_3423:
	s_and_b32 vcc_lo, exec_lo, s7
	s_cbranch_vccz .LBB78_3427
; %bb.3424:
	s_cmp_eq_u32 s0, 44
	s_cbranch_scc0 .LBB78_3426
; %bb.3425:
	global_load_u8 v27, v[24:25], off
	s_mov_b32 s1, 0
	s_mov_b32 s6, -1
	s_wait_loadcnt 0x0
	v_lshlrev_b32_e32 v22, 23, v27
	v_cmp_ne_u32_e32 vcc_lo, 0, v27
	s_delay_alu instid0(VALU_DEP_2) | instskip(NEXT) | instid1(VALU_DEP_1)
	v_trunc_f32_e32 v22, v22
	v_mul_f32_e64 v23, 0x2f800000, |v22|
	s_delay_alu instid0(VALU_DEP_1) | instskip(NEXT) | instid1(VALU_DEP_1)
	v_floor_f32_e32 v23, v23
	v_fma_f32 v28, 0xcf800000, v23, |v22|
	v_ashrrev_i32_e32 v22, 31, v22
	v_cvt_u32_f32_e32 v29, v23
	s_delay_alu instid0(VALU_DEP_3) | instskip(NEXT) | instid1(VALU_DEP_2)
	v_cvt_u32_f32_e32 v28, v28
	v_dual_mov_b32 v23, v22 :: v_dual_bitop2_b32 v29, v29, v22 bitop3:0x14
	s_delay_alu instid0(VALU_DEP_2) | instskip(NEXT) | instid1(VALU_DEP_1)
	v_xor_b32_e32 v28, v28, v22
	v_sub_nc_u64_e32 v[22:23], v[28:29], v[22:23]
	s_delay_alu instid0(VALU_DEP_1)
	v_dual_cndmask_b32 v23, 0, v23 :: v_dual_cndmask_b32 v22, 0, v22
	s_branch .LBB78_3427
.LBB78_3426:
	s_mov_b32 s1, -1
                                        ; implicit-def: $vgpr22_vgpr23
.LBB78_3427:
	s_mov_b32 s7, 0
.LBB78_3428:
	s_delay_alu instid0(SALU_CYCLE_1)
	s_and_b32 vcc_lo, exec_lo, s7
	s_cbranch_vccz .LBB78_3432
; %bb.3429:
	s_cmp_eq_u32 s0, 29
	s_cbranch_scc0 .LBB78_3431
; %bb.3430:
	global_load_b64 v[22:23], v[24:25], off
	s_mov_b32 s1, 0
	s_mov_b32 s6, -1
	s_branch .LBB78_3432
.LBB78_3431:
	s_mov_b32 s1, -1
                                        ; implicit-def: $vgpr22_vgpr23
.LBB78_3432:
	s_mov_b32 s7, 0
.LBB78_3433:
	s_delay_alu instid0(SALU_CYCLE_1)
	s_and_b32 vcc_lo, exec_lo, s7
	s_cbranch_vccz .LBB78_3449
; %bb.3434:
	s_cmp_lt_i32 s0, 27
	s_cbranch_scc1 .LBB78_3437
; %bb.3435:
	s_cmp_gt_i32 s0, 27
	s_cbranch_scc0 .LBB78_3438
; %bb.3436:
	s_wait_loadcnt 0x0
	global_load_b32 v22, v[24:25], off
	v_mov_b32_e32 v23, 0
	s_mov_b32 s6, 0
	s_branch .LBB78_3439
.LBB78_3437:
	s_mov_b32 s6, -1
                                        ; implicit-def: $vgpr22_vgpr23
	s_branch .LBB78_3442
.LBB78_3438:
	s_mov_b32 s6, -1
                                        ; implicit-def: $vgpr22_vgpr23
.LBB78_3439:
	s_delay_alu instid0(SALU_CYCLE_1)
	s_and_not1_b32 vcc_lo, exec_lo, s6
	s_cbranch_vccnz .LBB78_3441
; %bb.3440:
	s_wait_loadcnt 0x0
	global_load_u16 v22, v[24:25], off
	s_mov_b32 s6, 0
	s_delay_alu instid0(SALU_CYCLE_1)
	v_mov_b32_e32 v23, s6
	s_wait_loadcnt 0x0
	v_and_b32_e32 v22, 0xffff, v22
.LBB78_3441:
	s_mov_b32 s6, 0
.LBB78_3442:
	s_delay_alu instid0(SALU_CYCLE_1)
	s_and_not1_b32 vcc_lo, exec_lo, s6
	s_cbranch_vccnz .LBB78_3448
; %bb.3443:
	global_load_u8 v27, v[24:25], off
	s_mov_b32 s7, 0
	s_mov_b32 s6, exec_lo
	s_wait_loadcnt 0x0
	v_cmpx_lt_i16_e32 0x7f, v27
	s_xor_b32 s6, exec_lo, s6
	s_cbranch_execz .LBB78_3460
; %bb.3444:
	v_cmp_ne_u16_e32 vcc_lo, 0x80, v27
	s_and_b32 s7, vcc_lo, exec_lo
	s_and_not1_saveexec_b32 s6, s6
	s_cbranch_execnz .LBB78_3461
.LBB78_3445:
	s_or_b32 exec_lo, exec_lo, s6
	v_mov_b64_e32 v[22:23], 0
	s_and_saveexec_b32 s6, s7
	s_cbranch_execz .LBB78_3447
.LBB78_3446:
	v_and_b32_e32 v22, 0xffff, v27
	s_delay_alu instid0(VALU_DEP_1) | instskip(SKIP_1) | instid1(VALU_DEP_2)
	v_and_b32_e32 v23, 7, v22
	v_bfe_u32 v30, v22, 3, 4
	v_clz_i32_u32_e32 v28, v23
	s_delay_alu instid0(VALU_DEP_2) | instskip(NEXT) | instid1(VALU_DEP_2)
	v_cmp_eq_u32_e32 vcc_lo, 0, v30
	v_min_u32_e32 v28, 32, v28
	s_delay_alu instid0(VALU_DEP_1) | instskip(NEXT) | instid1(VALU_DEP_1)
	v_subrev_nc_u32_e32 v29, 28, v28
	v_dual_lshlrev_b32 v22, v29, v22 :: v_dual_sub_nc_u32 v28, 29, v28
	s_delay_alu instid0(VALU_DEP_1) | instskip(NEXT) | instid1(VALU_DEP_1)
	v_dual_lshlrev_b32 v27, 24, v27 :: v_dual_bitop2_b32 v22, 7, v22 bitop3:0x40
	v_dual_cndmask_b32 v28, v30, v28, vcc_lo :: v_dual_cndmask_b32 v22, v23, v22, vcc_lo
	s_delay_alu instid0(VALU_DEP_2) | instskip(NEXT) | instid1(VALU_DEP_2)
	v_and_b32_e32 v23, 0x80000000, v27
	v_lshl_add_u32 v27, v28, 23, 0x3b800000
	s_delay_alu instid0(VALU_DEP_3) | instskip(NEXT) | instid1(VALU_DEP_1)
	v_lshlrev_b32_e32 v22, 20, v22
	v_or3_b32 v22, v23, v27, v22
	s_delay_alu instid0(VALU_DEP_1) | instskip(NEXT) | instid1(VALU_DEP_1)
	v_trunc_f32_e32 v22, v22
	v_mul_f32_e64 v23, 0x2f800000, |v22|
	s_delay_alu instid0(VALU_DEP_1) | instskip(NEXT) | instid1(VALU_DEP_1)
	v_floor_f32_e32 v23, v23
	v_fma_f32 v27, 0xcf800000, v23, |v22|
	v_ashrrev_i32_e32 v22, 31, v22
	v_cvt_u32_f32_e32 v28, v23
	s_delay_alu instid0(VALU_DEP_3) | instskip(NEXT) | instid1(VALU_DEP_2)
	v_cvt_u32_f32_e32 v27, v27
	v_dual_mov_b32 v23, v22 :: v_dual_bitop2_b32 v29, v28, v22 bitop3:0x14
	s_delay_alu instid0(VALU_DEP_2) | instskip(NEXT) | instid1(VALU_DEP_1)
	v_xor_b32_e32 v28, v27, v22
	v_sub_nc_u64_e32 v[22:23], v[28:29], v[22:23]
.LBB78_3447:
	s_or_b32 exec_lo, exec_lo, s6
.LBB78_3448:
	s_mov_b32 s6, -1
.LBB78_3449:
	s_mov_b32 s7, 0
.LBB78_3450:
	s_delay_alu instid0(SALU_CYCLE_1)
	s_and_b32 vcc_lo, exec_lo, s7
	s_cbranch_vccz .LBB78_3481
; %bb.3451:
	s_cmp_gt_i32 s0, 22
	s_cbranch_scc0 .LBB78_3459
; %bb.3452:
	s_cmp_lt_i32 s0, 24
	s_cbranch_scc1 .LBB78_3462
; %bb.3453:
	s_cmp_gt_i32 s0, 24
	s_cbranch_scc0 .LBB78_3463
; %bb.3454:
	global_load_u8 v27, v[24:25], off
	s_mov_b32 s6, 0
	s_mov_b32 s3, exec_lo
	s_wait_loadcnt 0x0
	v_cmpx_lt_i16_e32 0x7f, v27
	s_xor_b32 s3, exec_lo, s3
	s_cbranch_execz .LBB78_3475
; %bb.3455:
	v_cmp_ne_u16_e32 vcc_lo, 0x80, v27
	s_and_b32 s6, vcc_lo, exec_lo
	s_and_not1_saveexec_b32 s3, s3
	s_cbranch_execnz .LBB78_3476
.LBB78_3456:
	s_or_b32 exec_lo, exec_lo, s3
	v_mov_b64_e32 v[22:23], 0
	s_and_saveexec_b32 s3, s6
	s_cbranch_execz .LBB78_3458
.LBB78_3457:
	v_and_b32_e32 v22, 0xffff, v27
	s_delay_alu instid0(VALU_DEP_1) | instskip(SKIP_1) | instid1(VALU_DEP_2)
	v_and_b32_e32 v23, 3, v22
	v_bfe_u32 v30, v22, 2, 5
	v_clz_i32_u32_e32 v28, v23
	s_delay_alu instid0(VALU_DEP_2) | instskip(NEXT) | instid1(VALU_DEP_2)
	v_cmp_eq_u32_e32 vcc_lo, 0, v30
	v_min_u32_e32 v28, 32, v28
	s_delay_alu instid0(VALU_DEP_1) | instskip(NEXT) | instid1(VALU_DEP_1)
	v_subrev_nc_u32_e32 v29, 29, v28
	v_dual_lshlrev_b32 v22, v29, v22 :: v_dual_sub_nc_u32 v28, 30, v28
	s_delay_alu instid0(VALU_DEP_1) | instskip(NEXT) | instid1(VALU_DEP_1)
	v_dual_lshlrev_b32 v27, 24, v27 :: v_dual_bitop2_b32 v22, 3, v22 bitop3:0x40
	v_dual_cndmask_b32 v28, v30, v28, vcc_lo :: v_dual_cndmask_b32 v22, v23, v22, vcc_lo
	s_delay_alu instid0(VALU_DEP_2) | instskip(NEXT) | instid1(VALU_DEP_2)
	v_and_b32_e32 v23, 0x80000000, v27
	v_lshl_add_u32 v27, v28, 23, 0x37800000
	s_delay_alu instid0(VALU_DEP_3) | instskip(NEXT) | instid1(VALU_DEP_1)
	v_lshlrev_b32_e32 v22, 21, v22
	v_or3_b32 v22, v23, v27, v22
	s_delay_alu instid0(VALU_DEP_1) | instskip(NEXT) | instid1(VALU_DEP_1)
	v_trunc_f32_e32 v22, v22
	v_mul_f32_e64 v23, 0x2f800000, |v22|
	s_delay_alu instid0(VALU_DEP_1) | instskip(NEXT) | instid1(VALU_DEP_1)
	v_floor_f32_e32 v23, v23
	v_fma_f32 v27, 0xcf800000, v23, |v22|
	v_ashrrev_i32_e32 v22, 31, v22
	v_cvt_u32_f32_e32 v28, v23
	s_delay_alu instid0(VALU_DEP_3) | instskip(NEXT) | instid1(VALU_DEP_2)
	v_cvt_u32_f32_e32 v27, v27
	v_dual_mov_b32 v23, v22 :: v_dual_bitop2_b32 v29, v28, v22 bitop3:0x14
	s_delay_alu instid0(VALU_DEP_2) | instskip(NEXT) | instid1(VALU_DEP_1)
	v_xor_b32_e32 v28, v27, v22
	v_sub_nc_u64_e32 v[22:23], v[28:29], v[22:23]
.LBB78_3458:
	s_or_b32 exec_lo, exec_lo, s3
	s_mov_b32 s3, 0
	s_branch .LBB78_3464
.LBB78_3459:
	s_mov_b32 s3, -1
                                        ; implicit-def: $vgpr22_vgpr23
	s_branch .LBB78_3470
.LBB78_3460:
	s_and_not1_saveexec_b32 s6, s6
	s_cbranch_execz .LBB78_3445
.LBB78_3461:
	v_cmp_ne_u16_e32 vcc_lo, 0, v27
	s_and_not1_b32 s7, s7, exec_lo
	s_and_b32 s8, vcc_lo, exec_lo
	s_delay_alu instid0(SALU_CYCLE_1)
	s_or_b32 s7, s7, s8
	s_or_b32 exec_lo, exec_lo, s6
	v_mov_b64_e32 v[22:23], 0
	s_and_saveexec_b32 s6, s7
	s_cbranch_execnz .LBB78_3446
	s_branch .LBB78_3447
.LBB78_3462:
	s_mov_b32 s3, -1
                                        ; implicit-def: $vgpr22_vgpr23
	s_branch .LBB78_3467
.LBB78_3463:
	s_mov_b32 s3, -1
                                        ; implicit-def: $vgpr22_vgpr23
.LBB78_3464:
	s_delay_alu instid0(SALU_CYCLE_1)
	s_and_b32 vcc_lo, exec_lo, s3
	s_cbranch_vccz .LBB78_3466
; %bb.3465:
	s_wait_loadcnt 0x0
	global_load_u8 v22, v[24:25], off
	s_wait_loadcnt 0x0
	v_lshlrev_b32_e32 v22, 24, v22
	s_delay_alu instid0(VALU_DEP_1) | instskip(NEXT) | instid1(VALU_DEP_1)
	v_and_b32_e32 v23, 0x7f000000, v22
	v_clz_i32_u32_e32 v27, v23
	v_add_nc_u32_e32 v29, 0x1000000, v23
	v_cmp_ne_u32_e32 vcc_lo, 0, v23
	s_delay_alu instid0(VALU_DEP_3) | instskip(NEXT) | instid1(VALU_DEP_1)
	v_min_u32_e32 v27, 32, v27
	v_sub_nc_u32_e64 v27, v27, 4 clamp
	s_delay_alu instid0(VALU_DEP_1) | instskip(NEXT) | instid1(VALU_DEP_1)
	v_lshlrev_b32_e32 v28, v27, v23
	v_dual_lshlrev_b32 v27, 23, v27 :: v_dual_lshrrev_b32 v28, 4, v28
	s_delay_alu instid0(VALU_DEP_1) | instskip(NEXT) | instid1(VALU_DEP_1)
	v_dual_sub_nc_u32 v27, v28, v27 :: v_dual_ashrrev_i32 v28, 8, v29
	v_add_nc_u32_e32 v27, 0x3c000000, v27
	s_delay_alu instid0(VALU_DEP_1) | instskip(NEXT) | instid1(VALU_DEP_1)
	v_and_or_b32 v27, 0x7f800000, v28, v27
	v_cndmask_b32_e32 v23, 0, v27, vcc_lo
	s_delay_alu instid0(VALU_DEP_1) | instskip(NEXT) | instid1(VALU_DEP_1)
	v_and_or_b32 v22, 0x80000000, v22, v23
	v_trunc_f32_e32 v22, v22
	s_delay_alu instid0(VALU_DEP_1) | instskip(NEXT) | instid1(VALU_DEP_1)
	v_mul_f32_e64 v23, 0x2f800000, |v22|
	v_floor_f32_e32 v23, v23
	s_delay_alu instid0(VALU_DEP_1) | instskip(SKIP_2) | instid1(VALU_DEP_3)
	v_fma_f32 v27, 0xcf800000, v23, |v22|
	v_ashrrev_i32_e32 v22, 31, v22
	v_cvt_u32_f32_e32 v28, v23
	v_cvt_u32_f32_e32 v27, v27
	s_delay_alu instid0(VALU_DEP_2) | instskip(NEXT) | instid1(VALU_DEP_2)
	v_dual_mov_b32 v23, v22 :: v_dual_bitop2_b32 v29, v28, v22 bitop3:0x14
	v_xor_b32_e32 v28, v27, v22
	s_delay_alu instid0(VALU_DEP_1)
	v_sub_nc_u64_e32 v[22:23], v[28:29], v[22:23]
.LBB78_3466:
	s_mov_b32 s3, 0
.LBB78_3467:
	s_delay_alu instid0(SALU_CYCLE_1)
	s_and_not1_b32 vcc_lo, exec_lo, s3
	s_cbranch_vccnz .LBB78_3469
; %bb.3468:
	s_wait_loadcnt 0x0
	global_load_u8 v22, v[24:25], off
	s_wait_loadcnt 0x0
	v_lshlrev_b32_e32 v23, 25, v22
	v_lshlrev_b16 v22, 8, v22
	s_delay_alu instid0(VALU_DEP_1) | instskip(SKIP_1) | instid1(VALU_DEP_2)
	v_and_or_b32 v28, 0x7f00, v22, 0.5
	v_bfe_i32 v22, v22, 0, 16
	v_dual_add_f32 v28, -0.5, v28 :: v_dual_lshrrev_b32 v27, 4, v23
	v_cmp_gt_u32_e32 vcc_lo, 0x8000000, v23
	s_delay_alu instid0(VALU_DEP_2) | instskip(NEXT) | instid1(VALU_DEP_1)
	v_or_b32_e32 v27, 0x70000000, v27
	v_mul_f32_e32 v27, 0x7800000, v27
	s_delay_alu instid0(VALU_DEP_1) | instskip(NEXT) | instid1(VALU_DEP_1)
	v_cndmask_b32_e32 v23, v27, v28, vcc_lo
	v_and_or_b32 v22, 0x80000000, v22, v23
	s_delay_alu instid0(VALU_DEP_1) | instskip(NEXT) | instid1(VALU_DEP_1)
	v_trunc_f32_e32 v22, v22
	v_mul_f32_e64 v23, 0x2f800000, |v22|
	s_delay_alu instid0(VALU_DEP_1) | instskip(NEXT) | instid1(VALU_DEP_1)
	v_floor_f32_e32 v23, v23
	v_fma_f32 v27, 0xcf800000, v23, |v22|
	v_ashrrev_i32_e32 v22, 31, v22
	v_cvt_u32_f32_e32 v28, v23
	s_delay_alu instid0(VALU_DEP_3) | instskip(NEXT) | instid1(VALU_DEP_2)
	v_cvt_u32_f32_e32 v27, v27
	v_dual_mov_b32 v23, v22 :: v_dual_bitop2_b32 v29, v28, v22 bitop3:0x14
	s_delay_alu instid0(VALU_DEP_2) | instskip(NEXT) | instid1(VALU_DEP_1)
	v_xor_b32_e32 v28, v27, v22
	v_sub_nc_u64_e32 v[22:23], v[28:29], v[22:23]
.LBB78_3469:
	s_mov_b32 s3, 0
	s_mov_b32 s6, -1
.LBB78_3470:
	s_and_not1_b32 vcc_lo, exec_lo, s3
	s_mov_b32 s3, 0
	s_cbranch_vccnz .LBB78_3481
; %bb.3471:
	s_cmp_gt_i32 s0, 14
	s_cbranch_scc0 .LBB78_3474
; %bb.3472:
	s_cmp_eq_u32 s0, 15
	s_cbranch_scc0 .LBB78_3477
; %bb.3473:
	s_wait_loadcnt 0x0
	global_load_u16 v22, v[24:25], off
	s_mov_b32 s1, 0
	s_mov_b32 s6, -1
	s_wait_loadcnt 0x0
	v_lshlrev_b32_e32 v22, 16, v22
	s_delay_alu instid0(VALU_DEP_1) | instskip(NEXT) | instid1(VALU_DEP_1)
	v_trunc_f32_e32 v22, v22
	v_mul_f32_e64 v23, 0x2f800000, |v22|
	s_delay_alu instid0(VALU_DEP_1) | instskip(NEXT) | instid1(VALU_DEP_1)
	v_floor_f32_e32 v23, v23
	v_fma_f32 v27, 0xcf800000, v23, |v22|
	v_ashrrev_i32_e32 v22, 31, v22
	v_cvt_u32_f32_e32 v28, v23
	s_delay_alu instid0(VALU_DEP_3) | instskip(NEXT) | instid1(VALU_DEP_2)
	v_cvt_u32_f32_e32 v27, v27
	v_dual_mov_b32 v23, v22 :: v_dual_bitop2_b32 v29, v28, v22 bitop3:0x14
	s_delay_alu instid0(VALU_DEP_2) | instskip(NEXT) | instid1(VALU_DEP_1)
	v_xor_b32_e32 v28, v27, v22
	v_sub_nc_u64_e32 v[22:23], v[28:29], v[22:23]
	s_branch .LBB78_3479
.LBB78_3474:
	s_mov_b32 s3, -1
	s_branch .LBB78_3478
.LBB78_3475:
	s_and_not1_saveexec_b32 s3, s3
	s_cbranch_execz .LBB78_3456
.LBB78_3476:
	v_cmp_ne_u16_e32 vcc_lo, 0, v27
	s_and_not1_b32 s6, s6, exec_lo
	s_and_b32 s7, vcc_lo, exec_lo
	s_delay_alu instid0(SALU_CYCLE_1)
	s_or_b32 s6, s6, s7
	s_or_b32 exec_lo, exec_lo, s3
	v_mov_b64_e32 v[22:23], 0
	s_and_saveexec_b32 s3, s6
	s_cbranch_execnz .LBB78_3457
	s_branch .LBB78_3458
.LBB78_3477:
	s_mov_b32 s1, -1
.LBB78_3478:
                                        ; implicit-def: $vgpr22_vgpr23
.LBB78_3479:
	s_and_b32 vcc_lo, exec_lo, s3
	s_mov_b32 s3, 0
	s_cbranch_vccz .LBB78_3481
; %bb.3480:
	s_cmp_lg_u32 s0, 11
	s_mov_b32 s3, -1
	s_cselect_b32 s1, -1, 0
.LBB78_3481:
	s_delay_alu instid0(SALU_CYCLE_1)
	s_and_b32 vcc_lo, exec_lo, s1
	s_cbranch_vccnz .LBB78_4014
; %bb.3482:
	s_and_not1_b32 vcc_lo, exec_lo, s3
	s_cbranch_vccnz .LBB78_3484
.LBB78_3483:
	s_wait_loadcnt 0x0
	global_load_u8 v22, v[24:25], off
	s_mov_b32 s1, 0
	s_mov_b32 s6, -1
	v_mov_b32_e32 v23, s1
	s_wait_loadcnt 0x0
	v_cmp_ne_u16_e32 vcc_lo, 0, v22
	v_cndmask_b32_e64 v22, 0, 1, vcc_lo
.LBB78_3484:
	s_mov_b32 s1, 0
.LBB78_3485:
	s_delay_alu instid0(SALU_CYCLE_1)
	s_and_b32 vcc_lo, exec_lo, s1
	s_cbranch_vccz .LBB78_3534
; %bb.3486:
	s_cmp_lt_i32 s0, 5
	s_cbranch_scc1 .LBB78_3491
; %bb.3487:
	s_cmp_lt_i32 s0, 8
	s_cbranch_scc1 .LBB78_3492
	;; [unrolled: 3-line block ×3, first 2 shown]
; %bb.3489:
	s_cmp_gt_i32 s0, 9
	s_cbranch_scc0 .LBB78_3494
; %bb.3490:
	s_wait_loadcnt 0x0
	global_load_b64 v[22:23], v[24:25], off
	s_mov_b32 s1, 0
	s_wait_loadcnt 0x0
	v_trunc_f64_e32 v[22:23], v[22:23]
	s_delay_alu instid0(VALU_DEP_1) | instskip(NEXT) | instid1(VALU_DEP_1)
	v_ldexp_f64 v[28:29], v[22:23], 0xffffffe0
	v_floor_f64_e32 v[28:29], v[28:29]
	s_delay_alu instid0(VALU_DEP_1) | instskip(SKIP_1) | instid1(VALU_DEP_2)
	v_fmamk_f64 v[30:31], v[28:29], 0xc1f00000, v[22:23]
	v_cvt_i32_f64_e32 v23, v[28:29]
	v_cvt_u32_f64_e32 v22, v[30:31]
	s_branch .LBB78_3495
.LBB78_3491:
	s_mov_b32 s1, -1
                                        ; implicit-def: $vgpr22_vgpr23
	s_branch .LBB78_3513
.LBB78_3492:
	s_mov_b32 s1, -1
                                        ; implicit-def: $vgpr22_vgpr23
	s_branch .LBB78_3501
.LBB78_3493:
	s_mov_b32 s1, -1
                                        ; implicit-def: $vgpr22_vgpr23
	s_branch .LBB78_3498
.LBB78_3494:
	s_mov_b32 s1, -1
                                        ; implicit-def: $vgpr22_vgpr23
.LBB78_3495:
	s_delay_alu instid0(SALU_CYCLE_1)
	s_and_not1_b32 vcc_lo, exec_lo, s1
	s_cbranch_vccnz .LBB78_3497
; %bb.3496:
	s_wait_loadcnt 0x0
	global_load_b32 v22, v[24:25], off
	s_wait_loadcnt 0x0
	v_trunc_f32_e32 v22, v22
	s_delay_alu instid0(VALU_DEP_1) | instskip(NEXT) | instid1(VALU_DEP_1)
	v_mul_f32_e64 v23, 0x2f800000, |v22|
	v_floor_f32_e32 v23, v23
	s_delay_alu instid0(VALU_DEP_1) | instskip(SKIP_2) | instid1(VALU_DEP_3)
	v_fma_f32 v27, 0xcf800000, v23, |v22|
	v_ashrrev_i32_e32 v22, 31, v22
	v_cvt_u32_f32_e32 v28, v23
	v_cvt_u32_f32_e32 v27, v27
	s_delay_alu instid0(VALU_DEP_2) | instskip(NEXT) | instid1(VALU_DEP_2)
	v_dual_mov_b32 v23, v22 :: v_dual_bitop2_b32 v29, v28, v22 bitop3:0x14
	v_xor_b32_e32 v28, v27, v22
	s_delay_alu instid0(VALU_DEP_1)
	v_sub_nc_u64_e32 v[22:23], v[28:29], v[22:23]
.LBB78_3497:
	s_mov_b32 s1, 0
.LBB78_3498:
	s_delay_alu instid0(SALU_CYCLE_1)
	s_and_not1_b32 vcc_lo, exec_lo, s1
	s_cbranch_vccnz .LBB78_3500
; %bb.3499:
	s_wait_loadcnt 0x0
	global_load_b32 v22, v[24:25], off
	s_wait_loadcnt 0x0
	v_cvt_f32_f16_e32 v22, v22
	s_delay_alu instid0(VALU_DEP_1) | instskip(NEXT) | instid1(VALU_DEP_1)
	v_cvt_i32_f32_e32 v22, v22
	v_ashrrev_i32_e32 v23, 31, v22
.LBB78_3500:
	s_mov_b32 s1, 0
.LBB78_3501:
	s_delay_alu instid0(SALU_CYCLE_1)
	s_and_not1_b32 vcc_lo, exec_lo, s1
	s_cbranch_vccnz .LBB78_3512
; %bb.3502:
	s_cmp_lt_i32 s0, 6
	s_cbranch_scc1 .LBB78_3505
; %bb.3503:
	s_cmp_gt_i32 s0, 6
	s_cbranch_scc0 .LBB78_3506
; %bb.3504:
	s_wait_loadcnt 0x0
	global_load_b64 v[22:23], v[24:25], off
	s_mov_b32 s1, 0
	s_wait_loadcnt 0x0
	v_trunc_f64_e32 v[22:23], v[22:23]
	s_delay_alu instid0(VALU_DEP_1) | instskip(NEXT) | instid1(VALU_DEP_1)
	v_ldexp_f64 v[28:29], v[22:23], 0xffffffe0
	v_floor_f64_e32 v[28:29], v[28:29]
	s_delay_alu instid0(VALU_DEP_1) | instskip(SKIP_1) | instid1(VALU_DEP_2)
	v_fmamk_f64 v[30:31], v[28:29], 0xc1f00000, v[22:23]
	v_cvt_i32_f64_e32 v23, v[28:29]
	v_cvt_u32_f64_e32 v22, v[30:31]
	s_branch .LBB78_3507
.LBB78_3505:
	s_mov_b32 s1, -1
                                        ; implicit-def: $vgpr22_vgpr23
	s_branch .LBB78_3510
.LBB78_3506:
	s_mov_b32 s1, -1
                                        ; implicit-def: $vgpr22_vgpr23
.LBB78_3507:
	s_delay_alu instid0(SALU_CYCLE_1)
	s_and_not1_b32 vcc_lo, exec_lo, s1
	s_cbranch_vccnz .LBB78_3509
; %bb.3508:
	s_wait_loadcnt 0x0
	global_load_b32 v22, v[24:25], off
	s_wait_loadcnt 0x0
	v_trunc_f32_e32 v22, v22
	s_delay_alu instid0(VALU_DEP_1) | instskip(NEXT) | instid1(VALU_DEP_1)
	v_mul_f32_e64 v23, 0x2f800000, |v22|
	v_floor_f32_e32 v23, v23
	s_delay_alu instid0(VALU_DEP_1) | instskip(SKIP_2) | instid1(VALU_DEP_3)
	v_fma_f32 v27, 0xcf800000, v23, |v22|
	v_ashrrev_i32_e32 v22, 31, v22
	v_cvt_u32_f32_e32 v28, v23
	v_cvt_u32_f32_e32 v27, v27
	s_delay_alu instid0(VALU_DEP_2) | instskip(NEXT) | instid1(VALU_DEP_2)
	v_dual_mov_b32 v23, v22 :: v_dual_bitop2_b32 v29, v28, v22 bitop3:0x14
	v_xor_b32_e32 v28, v27, v22
	s_delay_alu instid0(VALU_DEP_1)
	v_sub_nc_u64_e32 v[22:23], v[28:29], v[22:23]
.LBB78_3509:
	s_mov_b32 s1, 0
.LBB78_3510:
	s_delay_alu instid0(SALU_CYCLE_1)
	s_and_not1_b32 vcc_lo, exec_lo, s1
	s_cbranch_vccnz .LBB78_3512
; %bb.3511:
	s_wait_loadcnt 0x0
	global_load_u16 v22, v[24:25], off
	s_wait_loadcnt 0x0
	v_cvt_f32_f16_e32 v22, v22
	s_delay_alu instid0(VALU_DEP_1) | instskip(NEXT) | instid1(VALU_DEP_1)
	v_cvt_i32_f32_e32 v22, v22
	v_ashrrev_i32_e32 v23, 31, v22
.LBB78_3512:
	s_mov_b32 s1, 0
.LBB78_3513:
	s_delay_alu instid0(SALU_CYCLE_1)
	s_and_not1_b32 vcc_lo, exec_lo, s1
	s_cbranch_vccnz .LBB78_3533
; %bb.3514:
	s_cmp_lt_i32 s0, 2
	s_cbranch_scc1 .LBB78_3518
; %bb.3515:
	s_cmp_lt_i32 s0, 3
	s_cbranch_scc1 .LBB78_3519
; %bb.3516:
	s_cmp_gt_i32 s0, 3
	s_cbranch_scc0 .LBB78_3520
; %bb.3517:
	s_wait_loadcnt 0x0
	global_load_b64 v[22:23], v[24:25], off
	s_mov_b32 s1, 0
	s_branch .LBB78_3521
.LBB78_3518:
	s_mov_b32 s1, -1
                                        ; implicit-def: $vgpr22_vgpr23
	s_branch .LBB78_3527
.LBB78_3519:
	s_mov_b32 s1, -1
                                        ; implicit-def: $vgpr22_vgpr23
	s_branch .LBB78_3524
.LBB78_3520:
	s_mov_b32 s1, -1
                                        ; implicit-def: $vgpr22_vgpr23
.LBB78_3521:
	s_delay_alu instid0(SALU_CYCLE_1)
	s_and_not1_b32 vcc_lo, exec_lo, s1
	s_cbranch_vccnz .LBB78_3523
; %bb.3522:
	s_wait_loadcnt 0x0
	global_load_b32 v22, v[24:25], off
	s_wait_loadcnt 0x0
	v_ashrrev_i32_e32 v23, 31, v22
.LBB78_3523:
	s_mov_b32 s1, 0
.LBB78_3524:
	s_delay_alu instid0(SALU_CYCLE_1)
	s_and_not1_b32 vcc_lo, exec_lo, s1
	s_cbranch_vccnz .LBB78_3526
; %bb.3525:
	s_wait_loadcnt 0x0
	global_load_u16 v22, v[24:25], off
	s_wait_loadcnt 0x0
	v_bfe_i32 v22, v22, 0, 16
	s_delay_alu instid0(VALU_DEP_1)
	v_ashrrev_i32_e32 v23, 31, v22
.LBB78_3526:
	s_mov_b32 s1, 0
.LBB78_3527:
	s_delay_alu instid0(SALU_CYCLE_1)
	s_and_not1_b32 vcc_lo, exec_lo, s1
	s_cbranch_vccnz .LBB78_3533
; %bb.3528:
	s_cmp_gt_i32 s0, 0
	s_mov_b32 s0, 0
	s_cbranch_scc0 .LBB78_3530
; %bb.3529:
	s_wait_loadcnt 0x0
	global_load_i8 v22, v[24:25], off
	s_wait_loadcnt 0x0
	v_bfe_i32 v22, v22, 0, 16
	s_delay_alu instid0(VALU_DEP_1)
	v_ashrrev_i32_e32 v23, 31, v22
	s_branch .LBB78_3531
.LBB78_3530:
	s_mov_b32 s0, -1
                                        ; implicit-def: $vgpr22_vgpr23
.LBB78_3531:
	s_delay_alu instid0(SALU_CYCLE_1)
	s_and_not1_b32 vcc_lo, exec_lo, s0
	s_cbranch_vccnz .LBB78_3533
; %bb.3532:
	s_wait_loadcnt 0x0
	global_load_u8 v22, v[24:25], off
	s_mov_b32 s0, 0
	s_delay_alu instid0(SALU_CYCLE_1)
	v_mov_b32_e32 v23, s0
	s_wait_loadcnt 0x0
	v_and_b32_e32 v22, 0xffff, v22
.LBB78_3533:
	s_mov_b32 s6, -1
.LBB78_3534:
	s_delay_alu instid0(SALU_CYCLE_1)
	s_and_not1_b32 vcc_lo, exec_lo, s6
	s_cbranch_vccnz .LBB78_3968
; %bb.3535:
	s_wait_loadcnt 0x0
	v_mul_u64_e32 v[0:1], s[16:17], v[0:1]
	s_wait_xcnt 0x0
	v_mul_u64_e32 v[24:25], s[18:19], v[2:3]
	s_and_b32 s24, s2, 0xff
	s_delay_alu instid0(SALU_CYCLE_1) | instskip(NEXT) | instid1(VALU_DEP_1)
	s_cmp_lt_i32 s24, 11
	v_mad_nc_u64_u32 v[2:3], v24, v4, v[0:1]
	v_mul_lo_u32 v0, s12, v26
	s_delay_alu instid0(VALU_DEP_2) | instskip(NEXT) | instid1(VALU_DEP_2)
	v_mad_u32 v3, v25, v4, v3
	v_ashrrev_i32_e32 v1, 31, v0
	s_delay_alu instid0(VALU_DEP_2) | instskip(NEXT) | instid1(VALU_DEP_2)
	v_mad_u32 v3, v24, v5, v3
	v_add_nc_u64_e32 v[4:5], s[4:5], v[0:1]
	s_cbranch_scc1 .LBB78_3613
; %bb.3536:
	s_and_b32 s1, 0xffff, s24
	s_mov_b32 s6, -1
	s_mov_b32 s2, 0
	s_cmp_gt_i32 s1, 25
	s_mov_b32 s3, 0
	s_mov_b32 s0, 0
	s_cbranch_scc0 .LBB78_3569
; %bb.3537:
	s_cmp_gt_i32 s1, 28
	s_cbranch_scc0 .LBB78_3552
; %bb.3538:
	s_cmp_gt_i32 s1, 43
	;; [unrolled: 3-line block ×3, first 2 shown]
	s_cbranch_scc0 .LBB78_3542
; %bb.3540:
	s_mov_b32 s0, -1
	s_mov_b32 s6, 0
	s_cmp_eq_u32 s1, 46
	s_cbranch_scc0 .LBB78_3542
; %bb.3541:
	v_xor_b32_e32 v1, v2, v3
	v_cls_i32_e32 v24, v3
	s_mov_b32 s3, -1
	s_mov_b32 s0, 0
	s_delay_alu instid0(VALU_DEP_2) | instskip(NEXT) | instid1(VALU_DEP_1)
	v_ashrrev_i32_e32 v1, 31, v1
	v_add_nc_u32_e32 v1, 32, v1
	s_delay_alu instid0(VALU_DEP_1) | instskip(NEXT) | instid1(VALU_DEP_1)
	v_add_min_u32_e64 v1, v24, -1, v1
	v_lshlrev_b64_e32 v[24:25], v1, v[2:3]
	v_sub_nc_u32_e32 v1, 32, v1
	s_delay_alu instid0(VALU_DEP_2) | instskip(NEXT) | instid1(VALU_DEP_1)
	v_min_u32_e32 v24, 1, v24
	v_or_b32_e32 v24, v25, v24
	s_delay_alu instid0(VALU_DEP_1) | instskip(NEXT) | instid1(VALU_DEP_1)
	v_cvt_f32_i32_e32 v24, v24
	v_ldexp_f32 v1, v24, v1
	s_delay_alu instid0(VALU_DEP_1) | instskip(NEXT) | instid1(VALU_DEP_1)
	v_bfe_u32 v24, v1, 16, 1
	v_add3_u32 v1, v1, v24, 0x7fff
	s_delay_alu instid0(VALU_DEP_1)
	v_lshrrev_b32_e32 v1, 16, v1
	global_store_b32 v[4:5], v1, off
.LBB78_3542:
	s_and_b32 vcc_lo, exec_lo, s6
	s_cbranch_vccz .LBB78_3547
; %bb.3543:
	s_cmp_eq_u32 s1, 44
	s_mov_b32 s0, -1
	s_cbranch_scc0 .LBB78_3547
; %bb.3544:
	s_wait_xcnt 0x0
	v_xor_b32_e32 v1, v2, v3
	v_cls_i32_e32 v24, v3
	s_mov_b32 s3, -1
	s_mov_b32 s6, exec_lo
	s_delay_alu instid0(VALU_DEP_2) | instskip(NEXT) | instid1(VALU_DEP_1)
	v_ashrrev_i32_e32 v1, 31, v1
	v_add_nc_u32_e32 v1, 32, v1
	s_delay_alu instid0(VALU_DEP_1) | instskip(NEXT) | instid1(VALU_DEP_1)
	v_add_min_u32_e64 v1, v24, -1, v1
	v_lshlrev_b64_e32 v[24:25], v1, v[2:3]
	v_sub_nc_u32_e32 v1, 32, v1
	s_delay_alu instid0(VALU_DEP_2) | instskip(NEXT) | instid1(VALU_DEP_1)
	v_min_u32_e32 v24, 1, v24
	v_or_b32_e32 v24, v25, v24
	s_delay_alu instid0(VALU_DEP_1) | instskip(NEXT) | instid1(VALU_DEP_1)
	v_cvt_f32_i32_e32 v24, v24
	v_ldexp_f32 v1, v24, v1
	v_mov_b32_e32 v24, 0xff
	s_delay_alu instid0(VALU_DEP_2) | instskip(NEXT) | instid1(VALU_DEP_1)
	v_bfe_u32 v25, v1, 23, 8
	v_cmpx_ne_u32_e32 0xff, v25
	s_cbranch_execz .LBB78_3546
; %bb.3545:
	v_and_b32_e32 v24, 0x400000, v1
	v_and_or_b32 v25, 0x3fffff, v1, v25
	v_lshrrev_b32_e32 v1, 23, v1
	s_delay_alu instid0(VALU_DEP_3) | instskip(NEXT) | instid1(VALU_DEP_3)
	v_cmp_ne_u32_e32 vcc_lo, 0, v24
	v_cmp_ne_u32_e64 s0, 0, v25
	s_and_b32 s0, vcc_lo, s0
	s_delay_alu instid0(SALU_CYCLE_1) | instskip(NEXT) | instid1(VALU_DEP_1)
	v_cndmask_b32_e64 v24, 0, 1, s0
	v_add_nc_u32_e32 v24, v1, v24
.LBB78_3546:
	s_or_b32 exec_lo, exec_lo, s6
	s_mov_b32 s0, 0
	global_store_b8 v[4:5], v24, off
.LBB78_3547:
	s_mov_b32 s6, 0
.LBB78_3548:
	s_delay_alu instid0(SALU_CYCLE_1)
	s_and_b32 vcc_lo, exec_lo, s6
	s_cbranch_vccz .LBB78_3551
; %bb.3549:
	s_cmp_eq_u32 s1, 29
	s_mov_b32 s0, -1
	s_cbranch_scc0 .LBB78_3551
; %bb.3550:
	s_mov_b32 s0, 0
	s_mov_b32 s3, -1
	global_store_b64 v[4:5], v[2:3], off
.LBB78_3551:
	s_mov_b32 s6, 0
.LBB78_3552:
	s_delay_alu instid0(SALU_CYCLE_1)
	s_and_b32 vcc_lo, exec_lo, s6
	s_cbranch_vccz .LBB78_3568
; %bb.3553:
	s_cmp_lt_i32 s1, 27
	s_mov_b32 s3, -1
	s_cbranch_scc1 .LBB78_3559
; %bb.3554:
	s_cmp_gt_i32 s1, 27
	s_cbranch_scc0 .LBB78_3556
; %bb.3555:
	s_mov_b32 s3, 0
	global_store_b32 v[4:5], v2, off
.LBB78_3556:
	s_and_not1_b32 vcc_lo, exec_lo, s3
	s_cbranch_vccnz .LBB78_3558
; %bb.3557:
	global_store_b16 v[4:5], v2, off
.LBB78_3558:
	s_mov_b32 s3, 0
.LBB78_3559:
	s_delay_alu instid0(SALU_CYCLE_1)
	s_and_not1_b32 vcc_lo, exec_lo, s3
	s_cbranch_vccnz .LBB78_3567
; %bb.3560:
	s_wait_xcnt 0x0
	v_xor_b32_e32 v1, v2, v3
	v_cls_i32_e32 v24, v3
	s_mov_b32 s3, exec_lo
	s_delay_alu instid0(VALU_DEP_2) | instskip(NEXT) | instid1(VALU_DEP_1)
	v_ashrrev_i32_e32 v1, 31, v1
	v_add_nc_u32_e32 v1, 32, v1
	s_delay_alu instid0(VALU_DEP_1) | instskip(NEXT) | instid1(VALU_DEP_1)
	v_add_min_u32_e64 v1, v24, -1, v1
	v_lshlrev_b64_e32 v[24:25], v1, v[2:3]
	v_sub_nc_u32_e32 v1, 32, v1
	s_delay_alu instid0(VALU_DEP_2) | instskip(NEXT) | instid1(VALU_DEP_1)
	v_min_u32_e32 v24, 1, v24
	v_or_b32_e32 v24, v25, v24
	v_mov_b32_e32 v25, 0x80
	s_delay_alu instid0(VALU_DEP_2) | instskip(NEXT) | instid1(VALU_DEP_1)
	v_cvt_f32_i32_e32 v24, v24
	v_ldexp_f32 v1, v24, v1
	s_delay_alu instid0(VALU_DEP_1) | instskip(NEXT) | instid1(VALU_DEP_1)
	v_and_b32_e32 v24, 0x7fffffff, v1
	v_cmpx_gt_u32_e32 0x43800000, v24
	s_cbranch_execz .LBB78_3566
; %bb.3561:
	v_cmp_lt_u32_e32 vcc_lo, 0x3bffffff, v24
	s_mov_b32 s6, 0
                                        ; implicit-def: $vgpr24
	s_and_saveexec_b32 s7, vcc_lo
	s_delay_alu instid0(SALU_CYCLE_1)
	s_xor_b32 s7, exec_lo, s7
	s_cbranch_execz .LBB78_4015
; %bb.3562:
	v_bfe_u32 v24, v1, 20, 1
	s_mov_b32 s6, exec_lo
	s_delay_alu instid0(VALU_DEP_1) | instskip(NEXT) | instid1(VALU_DEP_1)
	v_add3_u32 v24, v1, v24, 0x487ffff
	v_lshrrev_b32_e32 v24, 20, v24
	s_and_not1_saveexec_b32 s7, s7
	s_cbranch_execnz .LBB78_4016
.LBB78_3563:
	s_or_b32 exec_lo, exec_lo, s7
	v_mov_b32_e32 v25, 0
	s_and_saveexec_b32 s7, s6
.LBB78_3564:
	v_lshrrev_b32_e32 v1, 24, v1
	s_delay_alu instid0(VALU_DEP_1)
	v_and_or_b32 v25, 0x80, v1, v24
.LBB78_3565:
	s_or_b32 exec_lo, exec_lo, s7
.LBB78_3566:
	s_delay_alu instid0(SALU_CYCLE_1)
	s_or_b32 exec_lo, exec_lo, s3
	global_store_b8 v[4:5], v25, off
.LBB78_3567:
	s_mov_b32 s3, -1
.LBB78_3568:
	s_mov_b32 s6, 0
.LBB78_3569:
	s_delay_alu instid0(SALU_CYCLE_1)
	s_and_b32 vcc_lo, exec_lo, s6
	s_cbranch_vccz .LBB78_3609
; %bb.3570:
	s_cmp_gt_i32 s1, 22
	s_mov_b32 s2, -1
	s_cbranch_scc0 .LBB78_3602
; %bb.3571:
	s_cmp_lt_i32 s1, 24
	s_cbranch_scc1 .LBB78_3591
; %bb.3572:
	s_cmp_gt_i32 s1, 24
	s_cbranch_scc0 .LBB78_3580
; %bb.3573:
	s_wait_xcnt 0x0
	v_xor_b32_e32 v1, v2, v3
	v_cls_i32_e32 v24, v3
	s_mov_b32 s2, exec_lo
	s_delay_alu instid0(VALU_DEP_2) | instskip(NEXT) | instid1(VALU_DEP_1)
	v_ashrrev_i32_e32 v1, 31, v1
	v_add_nc_u32_e32 v1, 32, v1
	s_delay_alu instid0(VALU_DEP_1) | instskip(NEXT) | instid1(VALU_DEP_1)
	v_add_min_u32_e64 v1, v24, -1, v1
	v_lshlrev_b64_e32 v[24:25], v1, v[2:3]
	v_sub_nc_u32_e32 v1, 32, v1
	s_delay_alu instid0(VALU_DEP_2) | instskip(NEXT) | instid1(VALU_DEP_1)
	v_min_u32_e32 v24, 1, v24
	v_or_b32_e32 v24, v25, v24
	v_mov_b32_e32 v25, 0x80
	s_delay_alu instid0(VALU_DEP_2) | instskip(NEXT) | instid1(VALU_DEP_1)
	v_cvt_f32_i32_e32 v24, v24
	v_ldexp_f32 v1, v24, v1
	s_delay_alu instid0(VALU_DEP_1) | instskip(NEXT) | instid1(VALU_DEP_1)
	v_and_b32_e32 v24, 0x7fffffff, v1
	v_cmpx_gt_u32_e32 0x47800000, v24
	s_cbranch_execz .LBB78_3579
; %bb.3574:
	v_cmp_lt_u32_e32 vcc_lo, 0x37ffffff, v24
	s_mov_b32 s3, 0
                                        ; implicit-def: $vgpr24
	s_and_saveexec_b32 s6, vcc_lo
	s_delay_alu instid0(SALU_CYCLE_1)
	s_xor_b32 s6, exec_lo, s6
	s_cbranch_execz .LBB78_4018
; %bb.3575:
	v_bfe_u32 v24, v1, 21, 1
	s_mov_b32 s3, exec_lo
	s_delay_alu instid0(VALU_DEP_1) | instskip(NEXT) | instid1(VALU_DEP_1)
	v_add3_u32 v24, v1, v24, 0x88fffff
	v_lshrrev_b32_e32 v24, 21, v24
	s_and_not1_saveexec_b32 s6, s6
	s_cbranch_execnz .LBB78_4019
.LBB78_3576:
	s_or_b32 exec_lo, exec_lo, s6
	v_mov_b32_e32 v25, 0
	s_and_saveexec_b32 s6, s3
.LBB78_3577:
	v_lshrrev_b32_e32 v1, 24, v1
	s_delay_alu instid0(VALU_DEP_1)
	v_and_or_b32 v25, 0x80, v1, v24
.LBB78_3578:
	s_or_b32 exec_lo, exec_lo, s6
.LBB78_3579:
	s_delay_alu instid0(SALU_CYCLE_1)
	s_or_b32 exec_lo, exec_lo, s2
	s_mov_b32 s2, 0
	global_store_b8 v[4:5], v25, off
.LBB78_3580:
	s_and_b32 vcc_lo, exec_lo, s2
	s_cbranch_vccz .LBB78_3590
; %bb.3581:
	s_wait_xcnt 0x0
	v_xor_b32_e32 v1, v2, v3
	v_cls_i32_e32 v24, v3
	s_mov_b32 s2, exec_lo
	s_delay_alu instid0(VALU_DEP_2) | instskip(NEXT) | instid1(VALU_DEP_1)
	v_ashrrev_i32_e32 v1, 31, v1
	v_add_nc_u32_e32 v1, 32, v1
	s_delay_alu instid0(VALU_DEP_1) | instskip(NEXT) | instid1(VALU_DEP_1)
	v_add_min_u32_e64 v1, v24, -1, v1
	v_lshlrev_b64_e32 v[24:25], v1, v[2:3]
	v_sub_nc_u32_e32 v1, 32, v1
	s_delay_alu instid0(VALU_DEP_2) | instskip(NEXT) | instid1(VALU_DEP_1)
	v_min_u32_e32 v24, 1, v24
	v_or_b32_e32 v24, v25, v24
	s_delay_alu instid0(VALU_DEP_1) | instskip(NEXT) | instid1(VALU_DEP_1)
	v_cvt_f32_i32_e32 v24, v24
	v_ldexp_f32 v1, v24, v1
                                        ; implicit-def: $vgpr24
	s_delay_alu instid0(VALU_DEP_1) | instskip(NEXT) | instid1(VALU_DEP_1)
	v_and_b32_e32 v25, 0x7fffffff, v1
	v_cmpx_gt_u32_e32 0x43f00000, v25
	s_xor_b32 s2, exec_lo, s2
	s_cbranch_execz .LBB78_3587
; %bb.3582:
	s_mov_b32 s3, exec_lo
                                        ; implicit-def: $vgpr24
	v_cmpx_lt_u32_e32 0x3c7fffff, v25
	s_xor_b32 s3, exec_lo, s3
; %bb.3583:
	v_bfe_u32 v24, v1, 20, 1
	s_delay_alu instid0(VALU_DEP_1) | instskip(NEXT) | instid1(VALU_DEP_1)
	v_add3_u32 v24, v1, v24, 0x407ffff
	v_and_b32_e32 v25, 0xff00000, v24
	v_lshrrev_b32_e32 v24, 20, v24
	s_delay_alu instid0(VALU_DEP_2) | instskip(NEXT) | instid1(VALU_DEP_2)
	v_cmp_ne_u32_e32 vcc_lo, 0x7f00000, v25
	v_cndmask_b32_e32 v24, 0x7e, v24, vcc_lo
; %bb.3584:
	s_and_not1_saveexec_b32 s3, s3
; %bb.3585:
	v_add_f32_e64 v24, 0x46800000, |v1|
; %bb.3586:
	s_or_b32 exec_lo, exec_lo, s3
                                        ; implicit-def: $vgpr25
.LBB78_3587:
	s_and_not1_saveexec_b32 s2, s2
; %bb.3588:
	v_mov_b32_e32 v24, 0x7f
	v_cmp_lt_u32_e32 vcc_lo, 0x7f800000, v25
	s_delay_alu instid0(VALU_DEP_2)
	v_cndmask_b32_e32 v24, 0x7e, v24, vcc_lo
; %bb.3589:
	s_or_b32 exec_lo, exec_lo, s2
	v_lshrrev_b32_e32 v1, 24, v1
	s_delay_alu instid0(VALU_DEP_1)
	v_and_or_b32 v1, 0x80, v1, v24
	global_store_b8 v[4:5], v1, off
.LBB78_3590:
	s_mov_b32 s2, 0
.LBB78_3591:
	s_delay_alu instid0(SALU_CYCLE_1)
	s_and_not1_b32 vcc_lo, exec_lo, s2
	s_cbranch_vccnz .LBB78_3601
; %bb.3592:
	s_wait_xcnt 0x0
	v_xor_b32_e32 v1, v2, v3
	v_cls_i32_e32 v24, v3
	s_mov_b32 s2, exec_lo
	s_delay_alu instid0(VALU_DEP_2) | instskip(NEXT) | instid1(VALU_DEP_1)
	v_ashrrev_i32_e32 v1, 31, v1
	v_add_nc_u32_e32 v1, 32, v1
	s_delay_alu instid0(VALU_DEP_1) | instskip(NEXT) | instid1(VALU_DEP_1)
	v_add_min_u32_e64 v1, v24, -1, v1
	v_lshlrev_b64_e32 v[24:25], v1, v[2:3]
	v_sub_nc_u32_e32 v1, 32, v1
	s_delay_alu instid0(VALU_DEP_2) | instskip(NEXT) | instid1(VALU_DEP_1)
	v_min_u32_e32 v24, 1, v24
	v_or_b32_e32 v24, v25, v24
	s_delay_alu instid0(VALU_DEP_1) | instskip(NEXT) | instid1(VALU_DEP_1)
	v_cvt_f32_i32_e32 v24, v24
	v_ldexp_f32 v1, v24, v1
                                        ; implicit-def: $vgpr24
	s_delay_alu instid0(VALU_DEP_1) | instskip(NEXT) | instid1(VALU_DEP_1)
	v_and_b32_e32 v25, 0x7fffffff, v1
	v_cmpx_gt_u32_e32 0x47800000, v25
	s_xor_b32 s2, exec_lo, s2
	s_cbranch_execz .LBB78_3598
; %bb.3593:
	s_mov_b32 s3, exec_lo
                                        ; implicit-def: $vgpr24
	v_cmpx_lt_u32_e32 0x387fffff, v25
	s_xor_b32 s3, exec_lo, s3
; %bb.3594:
	v_bfe_u32 v24, v1, 21, 1
	s_delay_alu instid0(VALU_DEP_1) | instskip(NEXT) | instid1(VALU_DEP_1)
	v_add3_u32 v24, v1, v24, 0x80fffff
	v_lshrrev_b32_e32 v24, 21, v24
; %bb.3595:
	s_and_not1_saveexec_b32 s3, s3
; %bb.3596:
	v_add_f32_e64 v24, 0x43000000, |v1|
; %bb.3597:
	s_or_b32 exec_lo, exec_lo, s3
                                        ; implicit-def: $vgpr25
.LBB78_3598:
	s_and_not1_saveexec_b32 s2, s2
; %bb.3599:
	v_mov_b32_e32 v24, 0x7f
	v_cmp_lt_u32_e32 vcc_lo, 0x7f800000, v25
	s_delay_alu instid0(VALU_DEP_2)
	v_cndmask_b32_e32 v24, 0x7c, v24, vcc_lo
; %bb.3600:
	s_or_b32 exec_lo, exec_lo, s2
	v_lshrrev_b32_e32 v1, 24, v1
	s_delay_alu instid0(VALU_DEP_1)
	v_and_or_b32 v1, 0x80, v1, v24
	global_store_b8 v[4:5], v1, off
.LBB78_3601:
	s_mov_b32 s2, 0
	s_mov_b32 s3, -1
.LBB78_3602:
	s_and_not1_b32 vcc_lo, exec_lo, s2
	s_mov_b32 s2, 0
	s_cbranch_vccnz .LBB78_3609
; %bb.3603:
	s_cmp_gt_i32 s1, 14
	s_mov_b32 s2, -1
	s_cbranch_scc0 .LBB78_3607
; %bb.3604:
	s_cmp_eq_u32 s1, 15
	s_mov_b32 s0, -1
	s_cbranch_scc0 .LBB78_3606
; %bb.3605:
	s_wait_xcnt 0x0
	v_xor_b32_e32 v1, v2, v3
	v_cls_i32_e32 v24, v3
	s_mov_b32 s3, -1
	s_mov_b32 s0, 0
	s_delay_alu instid0(VALU_DEP_2) | instskip(NEXT) | instid1(VALU_DEP_1)
	v_ashrrev_i32_e32 v1, 31, v1
	v_add_nc_u32_e32 v1, 32, v1
	s_delay_alu instid0(VALU_DEP_1) | instskip(NEXT) | instid1(VALU_DEP_1)
	v_add_min_u32_e64 v1, v24, -1, v1
	v_lshlrev_b64_e32 v[24:25], v1, v[2:3]
	v_sub_nc_u32_e32 v1, 32, v1
	s_delay_alu instid0(VALU_DEP_2) | instskip(NEXT) | instid1(VALU_DEP_1)
	v_min_u32_e32 v24, 1, v24
	v_or_b32_e32 v24, v25, v24
	s_delay_alu instid0(VALU_DEP_1) | instskip(NEXT) | instid1(VALU_DEP_1)
	v_cvt_f32_i32_e32 v24, v24
	v_ldexp_f32 v1, v24, v1
	s_delay_alu instid0(VALU_DEP_1) | instskip(NEXT) | instid1(VALU_DEP_1)
	v_bfe_u32 v24, v1, 16, 1
	v_add3_u32 v1, v1, v24, 0x7fff
	global_store_d16_hi_b16 v[4:5], v1, off
.LBB78_3606:
	s_mov_b32 s2, 0
.LBB78_3607:
	s_delay_alu instid0(SALU_CYCLE_1)
	s_and_b32 vcc_lo, exec_lo, s2
	s_mov_b32 s2, 0
	s_cbranch_vccz .LBB78_3609
; %bb.3608:
	s_cmp_lg_u32 s1, 11
	s_mov_b32 s2, -1
	s_cselect_b32 s0, -1, 0
.LBB78_3609:
	s_delay_alu instid0(SALU_CYCLE_1)
	s_and_b32 vcc_lo, exec_lo, s0
	s_cbranch_vccnz .LBB78_4017
; %bb.3610:
	s_and_not1_b32 vcc_lo, exec_lo, s2
	s_cbranch_vccnz .LBB78_3612
.LBB78_3611:
	v_cmp_ne_u64_e32 vcc_lo, 0, v[2:3]
	s_mov_b32 s3, -1
	s_wait_xcnt 0x0
	v_cndmask_b32_e64 v1, 0, 1, vcc_lo
	global_store_b8 v[4:5], v1, off
.LBB78_3612:
	s_mov_b32 s0, 0
	s_branch .LBB78_3614
.LBB78_3613:
	s_mov_b32 s0, -1
	s_mov_b32 s3, 0
.LBB78_3614:
	s_and_b32 vcc_lo, exec_lo, s0
	s_cbranch_vccz .LBB78_3653
; %bb.3615:
	s_and_b32 s0, 0xffff, s24
	s_mov_b32 s1, -1
	s_cmp_lt_i32 s0, 5
	s_cbranch_scc1 .LBB78_3636
; %bb.3616:
	s_cmp_lt_i32 s0, 8
	s_cbranch_scc1 .LBB78_3626
; %bb.3617:
	;; [unrolled: 3-line block ×3, first 2 shown]
	s_cmp_gt_i32 s0, 9
	s_cbranch_scc0 .LBB78_3620
; %bb.3619:
	s_wait_xcnt 0x0
	v_cvt_f64_i32_e32 v[24:25], v3
	v_cvt_f64_u32_e32 v[26:27], v2
	s_mov_b32 s1, 0
	s_delay_alu instid0(VALU_DEP_2) | instskip(NEXT) | instid1(VALU_DEP_1)
	v_ldexp_f64 v[24:25], v[24:25], 32
	v_dual_add_f64 v[24:25], v[24:25], v[26:27] :: v_dual_mov_b32 v26, 0
	s_delay_alu instid0(VALU_DEP_1)
	v_mov_b32_e32 v27, v26
	global_store_b128 v[4:5], v[24:27], off
.LBB78_3620:
	s_and_not1_b32 vcc_lo, exec_lo, s1
	s_cbranch_vccnz .LBB78_3622
; %bb.3621:
	s_wait_xcnt 0x0
	v_xor_b32_e32 v1, v2, v3
	v_cls_i32_e32 v24, v3
	s_delay_alu instid0(VALU_DEP_2) | instskip(NEXT) | instid1(VALU_DEP_1)
	v_ashrrev_i32_e32 v1, 31, v1
	v_add_nc_u32_e32 v1, 32, v1
	s_delay_alu instid0(VALU_DEP_1) | instskip(NEXT) | instid1(VALU_DEP_1)
	v_add_min_u32_e64 v1, v24, -1, v1
	v_lshlrev_b64_e32 v[24:25], v1, v[2:3]
	v_sub_nc_u32_e32 v1, 32, v1
	s_delay_alu instid0(VALU_DEP_2) | instskip(NEXT) | instid1(VALU_DEP_1)
	v_min_u32_e32 v24, 1, v24
	v_dual_mov_b32 v25, 0 :: v_dual_bitop2_b32 v24, v25, v24 bitop3:0x54
	s_delay_alu instid0(VALU_DEP_1) | instskip(NEXT) | instid1(VALU_DEP_1)
	v_cvt_f32_i32_e32 v24, v24
	v_ldexp_f32 v24, v24, v1
	global_store_b64 v[4:5], v[24:25], off
.LBB78_3622:
	s_mov_b32 s1, 0
.LBB78_3623:
	s_delay_alu instid0(SALU_CYCLE_1)
	s_and_not1_b32 vcc_lo, exec_lo, s1
	s_cbranch_vccnz .LBB78_3625
; %bb.3624:
	s_wait_xcnt 0x0
	v_xor_b32_e32 v1, v2, v3
	v_cls_i32_e32 v24, v3
	s_delay_alu instid0(VALU_DEP_2) | instskip(NEXT) | instid1(VALU_DEP_1)
	v_ashrrev_i32_e32 v1, 31, v1
	v_add_nc_u32_e32 v1, 32, v1
	s_delay_alu instid0(VALU_DEP_1) | instskip(NEXT) | instid1(VALU_DEP_1)
	v_add_min_u32_e64 v1, v24, -1, v1
	v_lshlrev_b64_e32 v[24:25], v1, v[2:3]
	v_sub_nc_u32_e32 v1, 32, v1
	s_delay_alu instid0(VALU_DEP_2) | instskip(NEXT) | instid1(VALU_DEP_1)
	v_min_u32_e32 v24, 1, v24
	v_or_b32_e32 v24, v25, v24
	s_delay_alu instid0(VALU_DEP_1) | instskip(NEXT) | instid1(VALU_DEP_1)
	v_cvt_f32_i32_e32 v24, v24
	v_ldexp_f32 v1, v24, v1
	s_delay_alu instid0(VALU_DEP_1) | instskip(NEXT) | instid1(VALU_DEP_1)
	v_cvt_f16_f32_e32 v1, v1
	v_and_b32_e32 v1, 0xffff, v1
	global_store_b32 v[4:5], v1, off
.LBB78_3625:
	s_mov_b32 s1, 0
.LBB78_3626:
	s_delay_alu instid0(SALU_CYCLE_1)
	s_and_not1_b32 vcc_lo, exec_lo, s1
	s_cbranch_vccnz .LBB78_3635
; %bb.3627:
	s_cmp_lt_i32 s0, 6
	s_mov_b32 s1, -1
	s_cbranch_scc1 .LBB78_3633
; %bb.3628:
	s_cmp_gt_i32 s0, 6
	s_cbranch_scc0 .LBB78_3630
; %bb.3629:
	s_wait_xcnt 0x0
	v_cvt_f64_i32_e32 v[24:25], v3
	v_cvt_f64_u32_e32 v[26:27], v2
	s_mov_b32 s1, 0
	s_delay_alu instid0(VALU_DEP_2) | instskip(NEXT) | instid1(VALU_DEP_1)
	v_ldexp_f64 v[24:25], v[24:25], 32
	v_add_f64_e32 v[24:25], v[24:25], v[26:27]
	global_store_b64 v[4:5], v[24:25], off
.LBB78_3630:
	s_and_not1_b32 vcc_lo, exec_lo, s1
	s_cbranch_vccnz .LBB78_3632
; %bb.3631:
	s_wait_xcnt 0x0
	v_xor_b32_e32 v1, v2, v3
	v_cls_i32_e32 v24, v3
	s_delay_alu instid0(VALU_DEP_2) | instskip(NEXT) | instid1(VALU_DEP_1)
	v_ashrrev_i32_e32 v1, 31, v1
	v_add_nc_u32_e32 v1, 32, v1
	s_delay_alu instid0(VALU_DEP_1) | instskip(NEXT) | instid1(VALU_DEP_1)
	v_add_min_u32_e64 v1, v24, -1, v1
	v_lshlrev_b64_e32 v[24:25], v1, v[2:3]
	v_sub_nc_u32_e32 v1, 32, v1
	s_delay_alu instid0(VALU_DEP_2) | instskip(NEXT) | instid1(VALU_DEP_1)
	v_min_u32_e32 v24, 1, v24
	v_or_b32_e32 v24, v25, v24
	s_delay_alu instid0(VALU_DEP_1) | instskip(NEXT) | instid1(VALU_DEP_1)
	v_cvt_f32_i32_e32 v24, v24
	v_ldexp_f32 v1, v24, v1
	global_store_b32 v[4:5], v1, off
.LBB78_3632:
	s_mov_b32 s1, 0
.LBB78_3633:
	s_delay_alu instid0(SALU_CYCLE_1)
	s_and_not1_b32 vcc_lo, exec_lo, s1
	s_cbranch_vccnz .LBB78_3635
; %bb.3634:
	s_wait_xcnt 0x0
	v_xor_b32_e32 v1, v2, v3
	v_cls_i32_e32 v24, v3
	s_delay_alu instid0(VALU_DEP_2) | instskip(NEXT) | instid1(VALU_DEP_1)
	v_ashrrev_i32_e32 v1, 31, v1
	v_add_nc_u32_e32 v1, 32, v1
	s_delay_alu instid0(VALU_DEP_1) | instskip(NEXT) | instid1(VALU_DEP_1)
	v_add_min_u32_e64 v1, v24, -1, v1
	v_lshlrev_b64_e32 v[24:25], v1, v[2:3]
	v_sub_nc_u32_e32 v1, 32, v1
	s_delay_alu instid0(VALU_DEP_2) | instskip(NEXT) | instid1(VALU_DEP_1)
	v_min_u32_e32 v24, 1, v24
	v_or_b32_e32 v24, v25, v24
	s_delay_alu instid0(VALU_DEP_1) | instskip(NEXT) | instid1(VALU_DEP_1)
	v_cvt_f32_i32_e32 v24, v24
	v_ldexp_f32 v1, v24, v1
	s_delay_alu instid0(VALU_DEP_1)
	v_cvt_f16_f32_e32 v1, v1
	global_store_b16 v[4:5], v1, off
.LBB78_3635:
	s_mov_b32 s1, 0
.LBB78_3636:
	s_delay_alu instid0(SALU_CYCLE_1)
	s_and_not1_b32 vcc_lo, exec_lo, s1
	s_cbranch_vccnz .LBB78_3652
; %bb.3637:
	s_cmp_lt_i32 s0, 2
	s_mov_b32 s1, -1
	s_cbranch_scc1 .LBB78_3647
; %bb.3638:
	s_cmp_lt_i32 s0, 3
	s_cbranch_scc1 .LBB78_3644
; %bb.3639:
	s_cmp_gt_i32 s0, 3
	s_cbranch_scc0 .LBB78_3641
; %bb.3640:
	s_mov_b32 s1, 0
	global_store_b64 v[4:5], v[2:3], off
.LBB78_3641:
	s_and_not1_b32 vcc_lo, exec_lo, s1
	s_cbranch_vccnz .LBB78_3643
; %bb.3642:
	global_store_b32 v[4:5], v2, off
.LBB78_3643:
	s_mov_b32 s1, 0
.LBB78_3644:
	s_delay_alu instid0(SALU_CYCLE_1)
	s_and_not1_b32 vcc_lo, exec_lo, s1
	s_cbranch_vccnz .LBB78_3646
; %bb.3645:
	global_store_b16 v[4:5], v2, off
.LBB78_3646:
	s_mov_b32 s1, 0
.LBB78_3647:
	s_delay_alu instid0(SALU_CYCLE_1)
	s_and_not1_b32 vcc_lo, exec_lo, s1
	s_cbranch_vccnz .LBB78_3652
; %bb.3648:
	s_cmp_gt_i32 s0, 0
	s_mov_b32 s0, -1
	s_cbranch_scc0 .LBB78_3650
; %bb.3649:
	s_mov_b32 s0, 0
	global_store_b8 v[4:5], v2, off
.LBB78_3650:
	s_and_not1_b32 vcc_lo, exec_lo, s0
	s_cbranch_vccnz .LBB78_3652
; %bb.3651:
	global_store_b8 v[4:5], v2, off
.LBB78_3652:
	s_mov_b32 s3, -1
.LBB78_3653:
	s_delay_alu instid0(SALU_CYCLE_1)
	s_and_not1_b32 vcc_lo, exec_lo, s3
	s_cbranch_vccnz .LBB78_3968
; %bb.3654:
	s_wait_xcnt 0x0
	v_mul_u64_e32 v[2:3], s[16:17], v[6:7]
	v_mul_u64_e32 v[4:5], s[18:19], v[8:9]
	s_lshl_b32 s1, s12, 7
	s_cmp_lt_i32 s24, 11
	v_add_nc_u32_e32 v0, s1, v0
	s_delay_alu instid0(VALU_DEP_1) | instskip(NEXT) | instid1(VALU_DEP_3)
	v_ashrrev_i32_e32 v1, 31, v0
	v_mad_nc_u64_u32 v[2:3], v4, v10, v[2:3]
	s_delay_alu instid0(VALU_DEP_1) | instskip(NEXT) | instid1(VALU_DEP_1)
	v_mad_u32 v3, v5, v10, v3
	v_mad_u32 v3, v4, v11, v3
	s_delay_alu instid0(VALU_DEP_4)
	v_add_nc_u64_e32 v[4:5], s[4:5], v[0:1]
	s_cbranch_scc1 .LBB78_3732
; %bb.3655:
	s_and_b32 s2, 0xffff, s24
	s_mov_b32 s7, -1
	s_mov_b32 s3, 0
	s_cmp_gt_i32 s2, 25
	s_mov_b32 s6, 0
	s_mov_b32 s0, 0
	s_cbranch_scc0 .LBB78_3688
; %bb.3656:
	s_cmp_gt_i32 s2, 28
	s_cbranch_scc0 .LBB78_3671
; %bb.3657:
	s_cmp_gt_i32 s2, 43
	;; [unrolled: 3-line block ×3, first 2 shown]
	s_cbranch_scc0 .LBB78_3661
; %bb.3659:
	s_mov_b32 s0, -1
	s_mov_b32 s7, 0
	s_cmp_eq_u32 s2, 46
	s_cbranch_scc0 .LBB78_3661
; %bb.3660:
	v_xor_b32_e32 v1, v2, v3
	v_cls_i32_e32 v6, v3
	s_mov_b32 s6, -1
	s_mov_b32 s0, 0
	s_delay_alu instid0(VALU_DEP_2) | instskip(NEXT) | instid1(VALU_DEP_1)
	v_ashrrev_i32_e32 v1, 31, v1
	v_add_nc_u32_e32 v1, 32, v1
	s_delay_alu instid0(VALU_DEP_1) | instskip(NEXT) | instid1(VALU_DEP_1)
	v_add_min_u32_e64 v1, v6, -1, v1
	v_lshlrev_b64_e32 v[6:7], v1, v[2:3]
	v_sub_nc_u32_e32 v1, 32, v1
	s_delay_alu instid0(VALU_DEP_2) | instskip(NEXT) | instid1(VALU_DEP_1)
	v_min_u32_e32 v6, 1, v6
	v_or_b32_e32 v6, v7, v6
	s_delay_alu instid0(VALU_DEP_1) | instskip(NEXT) | instid1(VALU_DEP_1)
	v_cvt_f32_i32_e32 v6, v6
	v_ldexp_f32 v1, v6, v1
	s_delay_alu instid0(VALU_DEP_1) | instskip(NEXT) | instid1(VALU_DEP_1)
	v_bfe_u32 v6, v1, 16, 1
	v_add3_u32 v1, v1, v6, 0x7fff
	s_delay_alu instid0(VALU_DEP_1)
	v_lshrrev_b32_e32 v1, 16, v1
	global_store_b32 v[4:5], v1, off
.LBB78_3661:
	s_and_b32 vcc_lo, exec_lo, s7
	s_cbranch_vccz .LBB78_3666
; %bb.3662:
	s_cmp_eq_u32 s2, 44
	s_mov_b32 s0, -1
	s_cbranch_scc0 .LBB78_3666
; %bb.3663:
	s_wait_xcnt 0x0
	v_xor_b32_e32 v1, v2, v3
	v_cls_i32_e32 v6, v3
	s_mov_b32 s6, -1
	s_mov_b32 s7, exec_lo
	s_delay_alu instid0(VALU_DEP_2) | instskip(NEXT) | instid1(VALU_DEP_1)
	v_ashrrev_i32_e32 v1, 31, v1
	v_add_nc_u32_e32 v1, 32, v1
	s_delay_alu instid0(VALU_DEP_1) | instskip(NEXT) | instid1(VALU_DEP_1)
	v_add_min_u32_e64 v1, v6, -1, v1
	v_lshlrev_b64_e32 v[6:7], v1, v[2:3]
	v_sub_nc_u32_e32 v1, 32, v1
	s_delay_alu instid0(VALU_DEP_2) | instskip(NEXT) | instid1(VALU_DEP_1)
	v_min_u32_e32 v6, 1, v6
	v_or_b32_e32 v6, v7, v6
	s_delay_alu instid0(VALU_DEP_1) | instskip(NEXT) | instid1(VALU_DEP_1)
	v_cvt_f32_i32_e32 v6, v6
	v_ldexp_f32 v1, v6, v1
	v_mov_b32_e32 v6, 0xff
	s_delay_alu instid0(VALU_DEP_2) | instskip(NEXT) | instid1(VALU_DEP_1)
	v_bfe_u32 v7, v1, 23, 8
	v_cmpx_ne_u32_e32 0xff, v7
	s_cbranch_execz .LBB78_3665
; %bb.3664:
	v_and_b32_e32 v6, 0x400000, v1
	v_and_or_b32 v7, 0x3fffff, v1, v7
	v_lshrrev_b32_e32 v1, 23, v1
	s_delay_alu instid0(VALU_DEP_3) | instskip(NEXT) | instid1(VALU_DEP_3)
	v_cmp_ne_u32_e32 vcc_lo, 0, v6
	v_cmp_ne_u32_e64 s0, 0, v7
	s_and_b32 s0, vcc_lo, s0
	s_delay_alu instid0(SALU_CYCLE_1) | instskip(NEXT) | instid1(VALU_DEP_1)
	v_cndmask_b32_e64 v6, 0, 1, s0
	v_add_nc_u32_e32 v6, v1, v6
.LBB78_3665:
	s_or_b32 exec_lo, exec_lo, s7
	s_mov_b32 s0, 0
	global_store_b8 v[4:5], v6, off
.LBB78_3666:
	s_mov_b32 s7, 0
.LBB78_3667:
	s_delay_alu instid0(SALU_CYCLE_1)
	s_and_b32 vcc_lo, exec_lo, s7
	s_cbranch_vccz .LBB78_3670
; %bb.3668:
	s_cmp_eq_u32 s2, 29
	s_mov_b32 s0, -1
	s_cbranch_scc0 .LBB78_3670
; %bb.3669:
	s_mov_b32 s0, 0
	s_mov_b32 s6, -1
	global_store_b64 v[4:5], v[2:3], off
.LBB78_3670:
	s_mov_b32 s7, 0
.LBB78_3671:
	s_delay_alu instid0(SALU_CYCLE_1)
	s_and_b32 vcc_lo, exec_lo, s7
	s_cbranch_vccz .LBB78_3687
; %bb.3672:
	s_cmp_lt_i32 s2, 27
	s_mov_b32 s6, -1
	s_cbranch_scc1 .LBB78_3678
; %bb.3673:
	s_cmp_gt_i32 s2, 27
	s_cbranch_scc0 .LBB78_3675
; %bb.3674:
	s_mov_b32 s6, 0
	global_store_b32 v[4:5], v2, off
.LBB78_3675:
	s_and_not1_b32 vcc_lo, exec_lo, s6
	s_cbranch_vccnz .LBB78_3677
; %bb.3676:
	global_store_b16 v[4:5], v2, off
.LBB78_3677:
	s_mov_b32 s6, 0
.LBB78_3678:
	s_delay_alu instid0(SALU_CYCLE_1)
	s_and_not1_b32 vcc_lo, exec_lo, s6
	s_cbranch_vccnz .LBB78_3686
; %bb.3679:
	s_wait_xcnt 0x0
	v_xor_b32_e32 v1, v2, v3
	v_cls_i32_e32 v6, v3
	s_mov_b32 s6, exec_lo
	s_delay_alu instid0(VALU_DEP_2) | instskip(NEXT) | instid1(VALU_DEP_1)
	v_ashrrev_i32_e32 v1, 31, v1
	v_add_nc_u32_e32 v1, 32, v1
	s_delay_alu instid0(VALU_DEP_1) | instskip(NEXT) | instid1(VALU_DEP_1)
	v_add_min_u32_e64 v1, v6, -1, v1
	v_lshlrev_b64_e32 v[6:7], v1, v[2:3]
	v_sub_nc_u32_e32 v1, 32, v1
	s_delay_alu instid0(VALU_DEP_2) | instskip(NEXT) | instid1(VALU_DEP_1)
	v_min_u32_e32 v6, 1, v6
	v_or_b32_e32 v6, v7, v6
	v_mov_b32_e32 v7, 0x80
	s_delay_alu instid0(VALU_DEP_2) | instskip(NEXT) | instid1(VALU_DEP_1)
	v_cvt_f32_i32_e32 v6, v6
	v_ldexp_f32 v1, v6, v1
	s_delay_alu instid0(VALU_DEP_1) | instskip(NEXT) | instid1(VALU_DEP_1)
	v_and_b32_e32 v6, 0x7fffffff, v1
	v_cmpx_gt_u32_e32 0x43800000, v6
	s_cbranch_execz .LBB78_3685
; %bb.3680:
	v_cmp_lt_u32_e32 vcc_lo, 0x3bffffff, v6
	s_mov_b32 s7, 0
                                        ; implicit-def: $vgpr6
	s_and_saveexec_b32 s8, vcc_lo
	s_delay_alu instid0(SALU_CYCLE_1)
	s_xor_b32 s8, exec_lo, s8
	s_cbranch_execz .LBB78_4020
; %bb.3681:
	v_bfe_u32 v6, v1, 20, 1
	s_mov_b32 s7, exec_lo
	s_delay_alu instid0(VALU_DEP_1) | instskip(NEXT) | instid1(VALU_DEP_1)
	v_add3_u32 v6, v1, v6, 0x487ffff
	v_lshrrev_b32_e32 v6, 20, v6
	s_and_not1_saveexec_b32 s8, s8
	s_cbranch_execnz .LBB78_4021
.LBB78_3682:
	s_or_b32 exec_lo, exec_lo, s8
	v_mov_b32_e32 v7, 0
	s_and_saveexec_b32 s8, s7
.LBB78_3683:
	v_lshrrev_b32_e32 v1, 24, v1
	s_delay_alu instid0(VALU_DEP_1)
	v_and_or_b32 v7, 0x80, v1, v6
.LBB78_3684:
	s_or_b32 exec_lo, exec_lo, s8
.LBB78_3685:
	s_delay_alu instid0(SALU_CYCLE_1)
	s_or_b32 exec_lo, exec_lo, s6
	global_store_b8 v[4:5], v7, off
.LBB78_3686:
	s_mov_b32 s6, -1
.LBB78_3687:
	s_mov_b32 s7, 0
.LBB78_3688:
	s_delay_alu instid0(SALU_CYCLE_1)
	s_and_b32 vcc_lo, exec_lo, s7
	s_cbranch_vccz .LBB78_3728
; %bb.3689:
	s_cmp_gt_i32 s2, 22
	s_mov_b32 s3, -1
	s_cbranch_scc0 .LBB78_3721
; %bb.3690:
	s_cmp_lt_i32 s2, 24
	s_cbranch_scc1 .LBB78_3710
; %bb.3691:
	s_cmp_gt_i32 s2, 24
	s_cbranch_scc0 .LBB78_3699
; %bb.3692:
	s_wait_xcnt 0x0
	v_xor_b32_e32 v1, v2, v3
	v_cls_i32_e32 v6, v3
	s_mov_b32 s3, exec_lo
	s_delay_alu instid0(VALU_DEP_2) | instskip(NEXT) | instid1(VALU_DEP_1)
	v_ashrrev_i32_e32 v1, 31, v1
	v_add_nc_u32_e32 v1, 32, v1
	s_delay_alu instid0(VALU_DEP_1) | instskip(NEXT) | instid1(VALU_DEP_1)
	v_add_min_u32_e64 v1, v6, -1, v1
	v_lshlrev_b64_e32 v[6:7], v1, v[2:3]
	v_sub_nc_u32_e32 v1, 32, v1
	s_delay_alu instid0(VALU_DEP_2) | instskip(NEXT) | instid1(VALU_DEP_1)
	v_min_u32_e32 v6, 1, v6
	v_or_b32_e32 v6, v7, v6
	v_mov_b32_e32 v7, 0x80
	s_delay_alu instid0(VALU_DEP_2) | instskip(NEXT) | instid1(VALU_DEP_1)
	v_cvt_f32_i32_e32 v6, v6
	v_ldexp_f32 v1, v6, v1
	s_delay_alu instid0(VALU_DEP_1) | instskip(NEXT) | instid1(VALU_DEP_1)
	v_and_b32_e32 v6, 0x7fffffff, v1
	v_cmpx_gt_u32_e32 0x47800000, v6
	s_cbranch_execz .LBB78_3698
; %bb.3693:
	v_cmp_lt_u32_e32 vcc_lo, 0x37ffffff, v6
	s_mov_b32 s6, 0
                                        ; implicit-def: $vgpr6
	s_and_saveexec_b32 s7, vcc_lo
	s_delay_alu instid0(SALU_CYCLE_1)
	s_xor_b32 s7, exec_lo, s7
	s_cbranch_execz .LBB78_4023
; %bb.3694:
	v_bfe_u32 v6, v1, 21, 1
	s_mov_b32 s6, exec_lo
	s_delay_alu instid0(VALU_DEP_1) | instskip(NEXT) | instid1(VALU_DEP_1)
	v_add3_u32 v6, v1, v6, 0x88fffff
	v_lshrrev_b32_e32 v6, 21, v6
	s_and_not1_saveexec_b32 s7, s7
	s_cbranch_execnz .LBB78_4024
.LBB78_3695:
	s_or_b32 exec_lo, exec_lo, s7
	v_mov_b32_e32 v7, 0
	s_and_saveexec_b32 s7, s6
.LBB78_3696:
	v_lshrrev_b32_e32 v1, 24, v1
	s_delay_alu instid0(VALU_DEP_1)
	v_and_or_b32 v7, 0x80, v1, v6
.LBB78_3697:
	s_or_b32 exec_lo, exec_lo, s7
.LBB78_3698:
	s_delay_alu instid0(SALU_CYCLE_1)
	s_or_b32 exec_lo, exec_lo, s3
	s_mov_b32 s3, 0
	global_store_b8 v[4:5], v7, off
.LBB78_3699:
	s_and_b32 vcc_lo, exec_lo, s3
	s_cbranch_vccz .LBB78_3709
; %bb.3700:
	s_wait_xcnt 0x0
	v_xor_b32_e32 v1, v2, v3
	v_cls_i32_e32 v6, v3
	s_mov_b32 s3, exec_lo
	s_delay_alu instid0(VALU_DEP_2) | instskip(NEXT) | instid1(VALU_DEP_1)
	v_ashrrev_i32_e32 v1, 31, v1
	v_add_nc_u32_e32 v1, 32, v1
	s_delay_alu instid0(VALU_DEP_1) | instskip(NEXT) | instid1(VALU_DEP_1)
	v_add_min_u32_e64 v1, v6, -1, v1
	v_lshlrev_b64_e32 v[6:7], v1, v[2:3]
	v_sub_nc_u32_e32 v1, 32, v1
	s_delay_alu instid0(VALU_DEP_2) | instskip(NEXT) | instid1(VALU_DEP_1)
	v_min_u32_e32 v6, 1, v6
	v_or_b32_e32 v6, v7, v6
	s_delay_alu instid0(VALU_DEP_1) | instskip(NEXT) | instid1(VALU_DEP_1)
	v_cvt_f32_i32_e32 v6, v6
	v_ldexp_f32 v1, v6, v1
                                        ; implicit-def: $vgpr6
	s_delay_alu instid0(VALU_DEP_1) | instskip(NEXT) | instid1(VALU_DEP_1)
	v_and_b32_e32 v7, 0x7fffffff, v1
	v_cmpx_gt_u32_e32 0x43f00000, v7
	s_xor_b32 s3, exec_lo, s3
	s_cbranch_execz .LBB78_3706
; %bb.3701:
	s_mov_b32 s6, exec_lo
                                        ; implicit-def: $vgpr6
	v_cmpx_lt_u32_e32 0x3c7fffff, v7
	s_xor_b32 s6, exec_lo, s6
; %bb.3702:
	v_bfe_u32 v6, v1, 20, 1
	s_delay_alu instid0(VALU_DEP_1) | instskip(NEXT) | instid1(VALU_DEP_1)
	v_add3_u32 v6, v1, v6, 0x407ffff
	v_and_b32_e32 v7, 0xff00000, v6
	v_lshrrev_b32_e32 v6, 20, v6
	s_delay_alu instid0(VALU_DEP_2) | instskip(NEXT) | instid1(VALU_DEP_2)
	v_cmp_ne_u32_e32 vcc_lo, 0x7f00000, v7
	v_cndmask_b32_e32 v6, 0x7e, v6, vcc_lo
; %bb.3703:
	s_and_not1_saveexec_b32 s6, s6
; %bb.3704:
	v_add_f32_e64 v6, 0x46800000, |v1|
; %bb.3705:
	s_or_b32 exec_lo, exec_lo, s6
                                        ; implicit-def: $vgpr7
.LBB78_3706:
	s_and_not1_saveexec_b32 s3, s3
; %bb.3707:
	v_mov_b32_e32 v6, 0x7f
	v_cmp_lt_u32_e32 vcc_lo, 0x7f800000, v7
	s_delay_alu instid0(VALU_DEP_2)
	v_cndmask_b32_e32 v6, 0x7e, v6, vcc_lo
; %bb.3708:
	s_or_b32 exec_lo, exec_lo, s3
	v_lshrrev_b32_e32 v1, 24, v1
	s_delay_alu instid0(VALU_DEP_1)
	v_and_or_b32 v1, 0x80, v1, v6
	global_store_b8 v[4:5], v1, off
.LBB78_3709:
	s_mov_b32 s3, 0
.LBB78_3710:
	s_delay_alu instid0(SALU_CYCLE_1)
	s_and_not1_b32 vcc_lo, exec_lo, s3
	s_cbranch_vccnz .LBB78_3720
; %bb.3711:
	s_wait_xcnt 0x0
	v_xor_b32_e32 v1, v2, v3
	v_cls_i32_e32 v6, v3
	s_mov_b32 s3, exec_lo
	s_delay_alu instid0(VALU_DEP_2) | instskip(NEXT) | instid1(VALU_DEP_1)
	v_ashrrev_i32_e32 v1, 31, v1
	v_add_nc_u32_e32 v1, 32, v1
	s_delay_alu instid0(VALU_DEP_1) | instskip(NEXT) | instid1(VALU_DEP_1)
	v_add_min_u32_e64 v1, v6, -1, v1
	v_lshlrev_b64_e32 v[6:7], v1, v[2:3]
	v_sub_nc_u32_e32 v1, 32, v1
	s_delay_alu instid0(VALU_DEP_2) | instskip(NEXT) | instid1(VALU_DEP_1)
	v_min_u32_e32 v6, 1, v6
	v_or_b32_e32 v6, v7, v6
	s_delay_alu instid0(VALU_DEP_1) | instskip(NEXT) | instid1(VALU_DEP_1)
	v_cvt_f32_i32_e32 v6, v6
	v_ldexp_f32 v1, v6, v1
                                        ; implicit-def: $vgpr6
	s_delay_alu instid0(VALU_DEP_1) | instskip(NEXT) | instid1(VALU_DEP_1)
	v_and_b32_e32 v7, 0x7fffffff, v1
	v_cmpx_gt_u32_e32 0x47800000, v7
	s_xor_b32 s3, exec_lo, s3
	s_cbranch_execz .LBB78_3717
; %bb.3712:
	s_mov_b32 s6, exec_lo
                                        ; implicit-def: $vgpr6
	v_cmpx_lt_u32_e32 0x387fffff, v7
	s_xor_b32 s6, exec_lo, s6
; %bb.3713:
	v_bfe_u32 v6, v1, 21, 1
	s_delay_alu instid0(VALU_DEP_1) | instskip(NEXT) | instid1(VALU_DEP_1)
	v_add3_u32 v6, v1, v6, 0x80fffff
	v_lshrrev_b32_e32 v6, 21, v6
; %bb.3714:
	s_and_not1_saveexec_b32 s6, s6
; %bb.3715:
	v_add_f32_e64 v6, 0x43000000, |v1|
; %bb.3716:
	s_or_b32 exec_lo, exec_lo, s6
                                        ; implicit-def: $vgpr7
.LBB78_3717:
	s_and_not1_saveexec_b32 s3, s3
; %bb.3718:
	v_mov_b32_e32 v6, 0x7f
	v_cmp_lt_u32_e32 vcc_lo, 0x7f800000, v7
	s_delay_alu instid0(VALU_DEP_2)
	v_cndmask_b32_e32 v6, 0x7c, v6, vcc_lo
; %bb.3719:
	s_or_b32 exec_lo, exec_lo, s3
	v_lshrrev_b32_e32 v1, 24, v1
	s_delay_alu instid0(VALU_DEP_1)
	v_and_or_b32 v1, 0x80, v1, v6
	global_store_b8 v[4:5], v1, off
.LBB78_3720:
	s_mov_b32 s3, 0
	s_mov_b32 s6, -1
.LBB78_3721:
	s_and_not1_b32 vcc_lo, exec_lo, s3
	s_mov_b32 s3, 0
	s_cbranch_vccnz .LBB78_3728
; %bb.3722:
	s_cmp_gt_i32 s2, 14
	s_mov_b32 s3, -1
	s_cbranch_scc0 .LBB78_3726
; %bb.3723:
	s_cmp_eq_u32 s2, 15
	s_mov_b32 s0, -1
	s_cbranch_scc0 .LBB78_3725
; %bb.3724:
	s_wait_xcnt 0x0
	v_xor_b32_e32 v1, v2, v3
	v_cls_i32_e32 v6, v3
	s_mov_b32 s6, -1
	s_mov_b32 s0, 0
	s_delay_alu instid0(VALU_DEP_2) | instskip(NEXT) | instid1(VALU_DEP_1)
	v_ashrrev_i32_e32 v1, 31, v1
	v_add_nc_u32_e32 v1, 32, v1
	s_delay_alu instid0(VALU_DEP_1) | instskip(NEXT) | instid1(VALU_DEP_1)
	v_add_min_u32_e64 v1, v6, -1, v1
	v_lshlrev_b64_e32 v[6:7], v1, v[2:3]
	v_sub_nc_u32_e32 v1, 32, v1
	s_delay_alu instid0(VALU_DEP_2) | instskip(NEXT) | instid1(VALU_DEP_1)
	v_min_u32_e32 v6, 1, v6
	v_or_b32_e32 v6, v7, v6
	s_delay_alu instid0(VALU_DEP_1) | instskip(NEXT) | instid1(VALU_DEP_1)
	v_cvt_f32_i32_e32 v6, v6
	v_ldexp_f32 v1, v6, v1
	s_delay_alu instid0(VALU_DEP_1) | instskip(NEXT) | instid1(VALU_DEP_1)
	v_bfe_u32 v6, v1, 16, 1
	v_add3_u32 v1, v1, v6, 0x7fff
	global_store_d16_hi_b16 v[4:5], v1, off
.LBB78_3725:
	s_mov_b32 s3, 0
.LBB78_3726:
	s_delay_alu instid0(SALU_CYCLE_1)
	s_and_b32 vcc_lo, exec_lo, s3
	s_mov_b32 s3, 0
	s_cbranch_vccz .LBB78_3728
; %bb.3727:
	s_cmp_lg_u32 s2, 11
	s_mov_b32 s3, -1
	s_cselect_b32 s0, -1, 0
.LBB78_3728:
	s_delay_alu instid0(SALU_CYCLE_1)
	s_and_b32 vcc_lo, exec_lo, s0
	s_cbranch_vccnz .LBB78_4022
; %bb.3729:
	s_and_not1_b32 vcc_lo, exec_lo, s3
	s_cbranch_vccnz .LBB78_3731
.LBB78_3730:
	v_cmp_ne_u64_e32 vcc_lo, 0, v[2:3]
	s_mov_b32 s6, -1
	s_wait_xcnt 0x0
	v_cndmask_b32_e64 v1, 0, 1, vcc_lo
	global_store_b8 v[4:5], v1, off
.LBB78_3731:
	s_mov_b32 s0, 0
	s_branch .LBB78_3733
.LBB78_3732:
	s_mov_b32 s0, -1
	s_mov_b32 s6, 0
.LBB78_3733:
	s_and_b32 vcc_lo, exec_lo, s0
	s_cbranch_vccz .LBB78_3772
; %bb.3734:
	s_and_b32 s0, 0xffff, s24
	s_mov_b32 s2, -1
	s_cmp_lt_i32 s0, 5
	s_cbranch_scc1 .LBB78_3755
; %bb.3735:
	s_cmp_lt_i32 s0, 8
	s_cbranch_scc1 .LBB78_3745
; %bb.3736:
	;; [unrolled: 3-line block ×3, first 2 shown]
	s_cmp_gt_i32 s0, 9
	s_cbranch_scc0 .LBB78_3739
; %bb.3738:
	s_wait_xcnt 0x0
	v_cvt_f64_i32_e32 v[6:7], v3
	v_cvt_f64_u32_e32 v[8:9], v2
	s_mov_b32 s2, 0
	s_delay_alu instid0(VALU_DEP_2) | instskip(NEXT) | instid1(VALU_DEP_1)
	v_ldexp_f64 v[6:7], v[6:7], 32
	v_dual_add_f64 v[6:7], v[6:7], v[8:9] :: v_dual_mov_b32 v8, 0
	s_delay_alu instid0(VALU_DEP_1)
	v_mov_b32_e32 v9, v8
	global_store_b128 v[4:5], v[6:9], off
.LBB78_3739:
	s_and_not1_b32 vcc_lo, exec_lo, s2
	s_cbranch_vccnz .LBB78_3741
; %bb.3740:
	s_wait_xcnt 0x0
	v_xor_b32_e32 v1, v2, v3
	v_cls_i32_e32 v6, v3
	s_delay_alu instid0(VALU_DEP_2) | instskip(NEXT) | instid1(VALU_DEP_1)
	v_ashrrev_i32_e32 v1, 31, v1
	v_add_nc_u32_e32 v1, 32, v1
	s_delay_alu instid0(VALU_DEP_1) | instskip(NEXT) | instid1(VALU_DEP_1)
	v_add_min_u32_e64 v1, v6, -1, v1
	v_lshlrev_b64_e32 v[6:7], v1, v[2:3]
	v_sub_nc_u32_e32 v1, 32, v1
	s_delay_alu instid0(VALU_DEP_2) | instskip(NEXT) | instid1(VALU_DEP_1)
	v_min_u32_e32 v6, 1, v6
	v_dual_mov_b32 v7, 0 :: v_dual_bitop2_b32 v6, v7, v6 bitop3:0x54
	s_delay_alu instid0(VALU_DEP_1) | instskip(NEXT) | instid1(VALU_DEP_1)
	v_cvt_f32_i32_e32 v6, v6
	v_ldexp_f32 v6, v6, v1
	global_store_b64 v[4:5], v[6:7], off
.LBB78_3741:
	s_mov_b32 s2, 0
.LBB78_3742:
	s_delay_alu instid0(SALU_CYCLE_1)
	s_and_not1_b32 vcc_lo, exec_lo, s2
	s_cbranch_vccnz .LBB78_3744
; %bb.3743:
	s_wait_xcnt 0x0
	v_xor_b32_e32 v1, v2, v3
	v_cls_i32_e32 v6, v3
	s_delay_alu instid0(VALU_DEP_2) | instskip(NEXT) | instid1(VALU_DEP_1)
	v_ashrrev_i32_e32 v1, 31, v1
	v_add_nc_u32_e32 v1, 32, v1
	s_delay_alu instid0(VALU_DEP_1) | instskip(NEXT) | instid1(VALU_DEP_1)
	v_add_min_u32_e64 v1, v6, -1, v1
	v_lshlrev_b64_e32 v[6:7], v1, v[2:3]
	v_sub_nc_u32_e32 v1, 32, v1
	s_delay_alu instid0(VALU_DEP_2) | instskip(NEXT) | instid1(VALU_DEP_1)
	v_min_u32_e32 v6, 1, v6
	v_or_b32_e32 v6, v7, v6
	s_delay_alu instid0(VALU_DEP_1) | instskip(NEXT) | instid1(VALU_DEP_1)
	v_cvt_f32_i32_e32 v6, v6
	v_ldexp_f32 v1, v6, v1
	s_delay_alu instid0(VALU_DEP_1) | instskip(NEXT) | instid1(VALU_DEP_1)
	v_cvt_f16_f32_e32 v1, v1
	v_and_b32_e32 v1, 0xffff, v1
	global_store_b32 v[4:5], v1, off
.LBB78_3744:
	s_mov_b32 s2, 0
.LBB78_3745:
	s_delay_alu instid0(SALU_CYCLE_1)
	s_and_not1_b32 vcc_lo, exec_lo, s2
	s_cbranch_vccnz .LBB78_3754
; %bb.3746:
	s_cmp_lt_i32 s0, 6
	s_mov_b32 s2, -1
	s_cbranch_scc1 .LBB78_3752
; %bb.3747:
	s_cmp_gt_i32 s0, 6
	s_cbranch_scc0 .LBB78_3749
; %bb.3748:
	s_wait_xcnt 0x0
	v_cvt_f64_i32_e32 v[6:7], v3
	v_cvt_f64_u32_e32 v[8:9], v2
	s_mov_b32 s2, 0
	s_delay_alu instid0(VALU_DEP_2) | instskip(NEXT) | instid1(VALU_DEP_1)
	v_ldexp_f64 v[6:7], v[6:7], 32
	v_add_f64_e32 v[6:7], v[6:7], v[8:9]
	global_store_b64 v[4:5], v[6:7], off
.LBB78_3749:
	s_and_not1_b32 vcc_lo, exec_lo, s2
	s_cbranch_vccnz .LBB78_3751
; %bb.3750:
	s_wait_xcnt 0x0
	v_xor_b32_e32 v1, v2, v3
	v_cls_i32_e32 v6, v3
	s_delay_alu instid0(VALU_DEP_2) | instskip(NEXT) | instid1(VALU_DEP_1)
	v_ashrrev_i32_e32 v1, 31, v1
	v_add_nc_u32_e32 v1, 32, v1
	s_delay_alu instid0(VALU_DEP_1) | instskip(NEXT) | instid1(VALU_DEP_1)
	v_add_min_u32_e64 v1, v6, -1, v1
	v_lshlrev_b64_e32 v[6:7], v1, v[2:3]
	v_sub_nc_u32_e32 v1, 32, v1
	s_delay_alu instid0(VALU_DEP_2) | instskip(NEXT) | instid1(VALU_DEP_1)
	v_min_u32_e32 v6, 1, v6
	v_or_b32_e32 v6, v7, v6
	s_delay_alu instid0(VALU_DEP_1) | instskip(NEXT) | instid1(VALU_DEP_1)
	v_cvt_f32_i32_e32 v6, v6
	v_ldexp_f32 v1, v6, v1
	global_store_b32 v[4:5], v1, off
.LBB78_3751:
	s_mov_b32 s2, 0
.LBB78_3752:
	s_delay_alu instid0(SALU_CYCLE_1)
	s_and_not1_b32 vcc_lo, exec_lo, s2
	s_cbranch_vccnz .LBB78_3754
; %bb.3753:
	s_wait_xcnt 0x0
	v_xor_b32_e32 v1, v2, v3
	v_cls_i32_e32 v6, v3
	s_delay_alu instid0(VALU_DEP_2) | instskip(NEXT) | instid1(VALU_DEP_1)
	v_ashrrev_i32_e32 v1, 31, v1
	v_add_nc_u32_e32 v1, 32, v1
	s_delay_alu instid0(VALU_DEP_1) | instskip(NEXT) | instid1(VALU_DEP_1)
	v_add_min_u32_e64 v1, v6, -1, v1
	v_lshlrev_b64_e32 v[6:7], v1, v[2:3]
	v_sub_nc_u32_e32 v1, 32, v1
	s_delay_alu instid0(VALU_DEP_2) | instskip(NEXT) | instid1(VALU_DEP_1)
	v_min_u32_e32 v6, 1, v6
	v_or_b32_e32 v6, v7, v6
	s_delay_alu instid0(VALU_DEP_1) | instskip(NEXT) | instid1(VALU_DEP_1)
	v_cvt_f32_i32_e32 v6, v6
	v_ldexp_f32 v1, v6, v1
	s_delay_alu instid0(VALU_DEP_1)
	v_cvt_f16_f32_e32 v1, v1
	global_store_b16 v[4:5], v1, off
.LBB78_3754:
	s_mov_b32 s2, 0
.LBB78_3755:
	s_delay_alu instid0(SALU_CYCLE_1)
	s_and_not1_b32 vcc_lo, exec_lo, s2
	s_cbranch_vccnz .LBB78_3771
; %bb.3756:
	s_cmp_lt_i32 s0, 2
	s_mov_b32 s2, -1
	s_cbranch_scc1 .LBB78_3766
; %bb.3757:
	s_cmp_lt_i32 s0, 3
	s_cbranch_scc1 .LBB78_3763
; %bb.3758:
	s_cmp_gt_i32 s0, 3
	s_cbranch_scc0 .LBB78_3760
; %bb.3759:
	s_mov_b32 s2, 0
	global_store_b64 v[4:5], v[2:3], off
.LBB78_3760:
	s_and_not1_b32 vcc_lo, exec_lo, s2
	s_cbranch_vccnz .LBB78_3762
; %bb.3761:
	global_store_b32 v[4:5], v2, off
.LBB78_3762:
	s_mov_b32 s2, 0
.LBB78_3763:
	s_delay_alu instid0(SALU_CYCLE_1)
	s_and_not1_b32 vcc_lo, exec_lo, s2
	s_cbranch_vccnz .LBB78_3765
; %bb.3764:
	global_store_b16 v[4:5], v2, off
.LBB78_3765:
	s_mov_b32 s2, 0
.LBB78_3766:
	s_delay_alu instid0(SALU_CYCLE_1)
	s_and_not1_b32 vcc_lo, exec_lo, s2
	s_cbranch_vccnz .LBB78_3771
; %bb.3767:
	s_cmp_gt_i32 s0, 0
	s_mov_b32 s0, -1
	s_cbranch_scc0 .LBB78_3769
; %bb.3768:
	s_mov_b32 s0, 0
	global_store_b8 v[4:5], v2, off
.LBB78_3769:
	s_and_not1_b32 vcc_lo, exec_lo, s0
	s_cbranch_vccnz .LBB78_3771
; %bb.3770:
	global_store_b8 v[4:5], v2, off
.LBB78_3771:
	s_mov_b32 s6, -1
.LBB78_3772:
	s_delay_alu instid0(SALU_CYCLE_1)
	s_and_not1_b32 vcc_lo, exec_lo, s6
	s_cbranch_vccnz .LBB78_3968
; %bb.3773:
	s_wait_xcnt 0x0
	v_mul_u64_e32 v[2:3], s[16:17], v[12:13]
	v_mul_u64_e32 v[4:5], s[18:19], v[14:15]
	v_add_nc_u32_e32 v0, s1, v0
	s_cmp_lt_i32 s24, 11
	s_delay_alu instid0(VALU_DEP_1) | instskip(NEXT) | instid1(VALU_DEP_3)
	v_ashrrev_i32_e32 v1, 31, v0
	v_mad_nc_u64_u32 v[2:3], v4, v16, v[2:3]
	s_delay_alu instid0(VALU_DEP_1) | instskip(NEXT) | instid1(VALU_DEP_1)
	v_mad_u32 v3, v5, v16, v3
	v_mad_u32 v3, v4, v17, v3
	s_delay_alu instid0(VALU_DEP_4)
	v_add_nc_u64_e32 v[4:5], s[4:5], v[0:1]
	s_cbranch_scc1 .LBB78_3851
; %bb.3774:
	s_and_b32 s2, 0xffff, s24
	s_mov_b32 s7, -1
	s_mov_b32 s3, 0
	s_cmp_gt_i32 s2, 25
	s_mov_b32 s6, 0
	s_mov_b32 s0, 0
	s_cbranch_scc0 .LBB78_3807
; %bb.3775:
	s_cmp_gt_i32 s2, 28
	s_cbranch_scc0 .LBB78_3790
; %bb.3776:
	s_cmp_gt_i32 s2, 43
	;; [unrolled: 3-line block ×3, first 2 shown]
	s_cbranch_scc0 .LBB78_3780
; %bb.3778:
	s_mov_b32 s0, -1
	s_mov_b32 s7, 0
	s_cmp_eq_u32 s2, 46
	s_cbranch_scc0 .LBB78_3780
; %bb.3779:
	v_xor_b32_e32 v1, v2, v3
	v_cls_i32_e32 v6, v3
	s_mov_b32 s6, -1
	s_mov_b32 s0, 0
	s_delay_alu instid0(VALU_DEP_2) | instskip(NEXT) | instid1(VALU_DEP_1)
	v_ashrrev_i32_e32 v1, 31, v1
	v_add_nc_u32_e32 v1, 32, v1
	s_delay_alu instid0(VALU_DEP_1) | instskip(NEXT) | instid1(VALU_DEP_1)
	v_add_min_u32_e64 v1, v6, -1, v1
	v_lshlrev_b64_e32 v[6:7], v1, v[2:3]
	v_sub_nc_u32_e32 v1, 32, v1
	s_delay_alu instid0(VALU_DEP_2) | instskip(NEXT) | instid1(VALU_DEP_1)
	v_min_u32_e32 v6, 1, v6
	v_or_b32_e32 v6, v7, v6
	s_delay_alu instid0(VALU_DEP_1) | instskip(NEXT) | instid1(VALU_DEP_1)
	v_cvt_f32_i32_e32 v6, v6
	v_ldexp_f32 v1, v6, v1
	s_delay_alu instid0(VALU_DEP_1) | instskip(NEXT) | instid1(VALU_DEP_1)
	v_bfe_u32 v6, v1, 16, 1
	v_add3_u32 v1, v1, v6, 0x7fff
	s_delay_alu instid0(VALU_DEP_1)
	v_lshrrev_b32_e32 v1, 16, v1
	global_store_b32 v[4:5], v1, off
.LBB78_3780:
	s_and_b32 vcc_lo, exec_lo, s7
	s_cbranch_vccz .LBB78_3785
; %bb.3781:
	s_cmp_eq_u32 s2, 44
	s_mov_b32 s0, -1
	s_cbranch_scc0 .LBB78_3785
; %bb.3782:
	s_wait_xcnt 0x0
	v_xor_b32_e32 v1, v2, v3
	v_cls_i32_e32 v6, v3
	s_mov_b32 s6, -1
	s_mov_b32 s7, exec_lo
	s_delay_alu instid0(VALU_DEP_2) | instskip(NEXT) | instid1(VALU_DEP_1)
	v_ashrrev_i32_e32 v1, 31, v1
	v_add_nc_u32_e32 v1, 32, v1
	s_delay_alu instid0(VALU_DEP_1) | instskip(NEXT) | instid1(VALU_DEP_1)
	v_add_min_u32_e64 v1, v6, -1, v1
	v_lshlrev_b64_e32 v[6:7], v1, v[2:3]
	v_sub_nc_u32_e32 v1, 32, v1
	s_delay_alu instid0(VALU_DEP_2) | instskip(NEXT) | instid1(VALU_DEP_1)
	v_min_u32_e32 v6, 1, v6
	v_or_b32_e32 v6, v7, v6
	s_delay_alu instid0(VALU_DEP_1) | instskip(NEXT) | instid1(VALU_DEP_1)
	v_cvt_f32_i32_e32 v6, v6
	v_ldexp_f32 v1, v6, v1
	v_mov_b32_e32 v6, 0xff
	s_delay_alu instid0(VALU_DEP_2) | instskip(NEXT) | instid1(VALU_DEP_1)
	v_bfe_u32 v7, v1, 23, 8
	v_cmpx_ne_u32_e32 0xff, v7
	s_cbranch_execz .LBB78_3784
; %bb.3783:
	v_and_b32_e32 v6, 0x400000, v1
	v_and_or_b32 v7, 0x3fffff, v1, v7
	v_lshrrev_b32_e32 v1, 23, v1
	s_delay_alu instid0(VALU_DEP_3) | instskip(NEXT) | instid1(VALU_DEP_3)
	v_cmp_ne_u32_e32 vcc_lo, 0, v6
	v_cmp_ne_u32_e64 s0, 0, v7
	s_and_b32 s0, vcc_lo, s0
	s_delay_alu instid0(SALU_CYCLE_1) | instskip(NEXT) | instid1(VALU_DEP_1)
	v_cndmask_b32_e64 v6, 0, 1, s0
	v_add_nc_u32_e32 v6, v1, v6
.LBB78_3784:
	s_or_b32 exec_lo, exec_lo, s7
	s_mov_b32 s0, 0
	global_store_b8 v[4:5], v6, off
.LBB78_3785:
	s_mov_b32 s7, 0
.LBB78_3786:
	s_delay_alu instid0(SALU_CYCLE_1)
	s_and_b32 vcc_lo, exec_lo, s7
	s_cbranch_vccz .LBB78_3789
; %bb.3787:
	s_cmp_eq_u32 s2, 29
	s_mov_b32 s0, -1
	s_cbranch_scc0 .LBB78_3789
; %bb.3788:
	s_mov_b32 s0, 0
	s_mov_b32 s6, -1
	global_store_b64 v[4:5], v[2:3], off
.LBB78_3789:
	s_mov_b32 s7, 0
.LBB78_3790:
	s_delay_alu instid0(SALU_CYCLE_1)
	s_and_b32 vcc_lo, exec_lo, s7
	s_cbranch_vccz .LBB78_3806
; %bb.3791:
	s_cmp_lt_i32 s2, 27
	s_mov_b32 s6, -1
	s_cbranch_scc1 .LBB78_3797
; %bb.3792:
	s_cmp_gt_i32 s2, 27
	s_cbranch_scc0 .LBB78_3794
; %bb.3793:
	s_mov_b32 s6, 0
	global_store_b32 v[4:5], v2, off
.LBB78_3794:
	s_and_not1_b32 vcc_lo, exec_lo, s6
	s_cbranch_vccnz .LBB78_3796
; %bb.3795:
	global_store_b16 v[4:5], v2, off
.LBB78_3796:
	s_mov_b32 s6, 0
.LBB78_3797:
	s_delay_alu instid0(SALU_CYCLE_1)
	s_and_not1_b32 vcc_lo, exec_lo, s6
	s_cbranch_vccnz .LBB78_3805
; %bb.3798:
	s_wait_xcnt 0x0
	v_xor_b32_e32 v1, v2, v3
	v_cls_i32_e32 v6, v3
	s_mov_b32 s6, exec_lo
	s_delay_alu instid0(VALU_DEP_2) | instskip(NEXT) | instid1(VALU_DEP_1)
	v_ashrrev_i32_e32 v1, 31, v1
	v_add_nc_u32_e32 v1, 32, v1
	s_delay_alu instid0(VALU_DEP_1) | instskip(NEXT) | instid1(VALU_DEP_1)
	v_add_min_u32_e64 v1, v6, -1, v1
	v_lshlrev_b64_e32 v[6:7], v1, v[2:3]
	v_sub_nc_u32_e32 v1, 32, v1
	s_delay_alu instid0(VALU_DEP_2) | instskip(NEXT) | instid1(VALU_DEP_1)
	v_min_u32_e32 v6, 1, v6
	v_or_b32_e32 v6, v7, v6
	v_mov_b32_e32 v7, 0x80
	s_delay_alu instid0(VALU_DEP_2) | instskip(NEXT) | instid1(VALU_DEP_1)
	v_cvt_f32_i32_e32 v6, v6
	v_ldexp_f32 v1, v6, v1
	s_delay_alu instid0(VALU_DEP_1) | instskip(NEXT) | instid1(VALU_DEP_1)
	v_and_b32_e32 v6, 0x7fffffff, v1
	v_cmpx_gt_u32_e32 0x43800000, v6
	s_cbranch_execz .LBB78_3804
; %bb.3799:
	v_cmp_lt_u32_e32 vcc_lo, 0x3bffffff, v6
	s_mov_b32 s7, 0
                                        ; implicit-def: $vgpr6
	s_and_saveexec_b32 s8, vcc_lo
	s_delay_alu instid0(SALU_CYCLE_1)
	s_xor_b32 s8, exec_lo, s8
	s_cbranch_execz .LBB78_4025
; %bb.3800:
	v_bfe_u32 v6, v1, 20, 1
	s_mov_b32 s7, exec_lo
	s_delay_alu instid0(VALU_DEP_1) | instskip(NEXT) | instid1(VALU_DEP_1)
	v_add3_u32 v6, v1, v6, 0x487ffff
	v_lshrrev_b32_e32 v6, 20, v6
	s_and_not1_saveexec_b32 s8, s8
	s_cbranch_execnz .LBB78_4026
.LBB78_3801:
	s_or_b32 exec_lo, exec_lo, s8
	v_mov_b32_e32 v7, 0
	s_and_saveexec_b32 s8, s7
.LBB78_3802:
	v_lshrrev_b32_e32 v1, 24, v1
	s_delay_alu instid0(VALU_DEP_1)
	v_and_or_b32 v7, 0x80, v1, v6
.LBB78_3803:
	s_or_b32 exec_lo, exec_lo, s8
.LBB78_3804:
	s_delay_alu instid0(SALU_CYCLE_1)
	s_or_b32 exec_lo, exec_lo, s6
	global_store_b8 v[4:5], v7, off
.LBB78_3805:
	s_mov_b32 s6, -1
.LBB78_3806:
	s_mov_b32 s7, 0
.LBB78_3807:
	s_delay_alu instid0(SALU_CYCLE_1)
	s_and_b32 vcc_lo, exec_lo, s7
	s_cbranch_vccz .LBB78_3847
; %bb.3808:
	s_cmp_gt_i32 s2, 22
	s_mov_b32 s3, -1
	s_cbranch_scc0 .LBB78_3840
; %bb.3809:
	s_cmp_lt_i32 s2, 24
	s_cbranch_scc1 .LBB78_3829
; %bb.3810:
	s_cmp_gt_i32 s2, 24
	s_cbranch_scc0 .LBB78_3818
; %bb.3811:
	s_wait_xcnt 0x0
	v_xor_b32_e32 v1, v2, v3
	v_cls_i32_e32 v6, v3
	s_mov_b32 s3, exec_lo
	s_delay_alu instid0(VALU_DEP_2) | instskip(NEXT) | instid1(VALU_DEP_1)
	v_ashrrev_i32_e32 v1, 31, v1
	v_add_nc_u32_e32 v1, 32, v1
	s_delay_alu instid0(VALU_DEP_1) | instskip(NEXT) | instid1(VALU_DEP_1)
	v_add_min_u32_e64 v1, v6, -1, v1
	v_lshlrev_b64_e32 v[6:7], v1, v[2:3]
	v_sub_nc_u32_e32 v1, 32, v1
	s_delay_alu instid0(VALU_DEP_2) | instskip(NEXT) | instid1(VALU_DEP_1)
	v_min_u32_e32 v6, 1, v6
	v_or_b32_e32 v6, v7, v6
	v_mov_b32_e32 v7, 0x80
	s_delay_alu instid0(VALU_DEP_2) | instskip(NEXT) | instid1(VALU_DEP_1)
	v_cvt_f32_i32_e32 v6, v6
	v_ldexp_f32 v1, v6, v1
	s_delay_alu instid0(VALU_DEP_1) | instskip(NEXT) | instid1(VALU_DEP_1)
	v_and_b32_e32 v6, 0x7fffffff, v1
	v_cmpx_gt_u32_e32 0x47800000, v6
	s_cbranch_execz .LBB78_3817
; %bb.3812:
	v_cmp_lt_u32_e32 vcc_lo, 0x37ffffff, v6
	s_mov_b32 s6, 0
                                        ; implicit-def: $vgpr6
	s_and_saveexec_b32 s7, vcc_lo
	s_delay_alu instid0(SALU_CYCLE_1)
	s_xor_b32 s7, exec_lo, s7
	s_cbranch_execz .LBB78_4028
; %bb.3813:
	v_bfe_u32 v6, v1, 21, 1
	s_mov_b32 s6, exec_lo
	s_delay_alu instid0(VALU_DEP_1) | instskip(NEXT) | instid1(VALU_DEP_1)
	v_add3_u32 v6, v1, v6, 0x88fffff
	v_lshrrev_b32_e32 v6, 21, v6
	s_and_not1_saveexec_b32 s7, s7
	s_cbranch_execnz .LBB78_4029
.LBB78_3814:
	s_or_b32 exec_lo, exec_lo, s7
	v_mov_b32_e32 v7, 0
	s_and_saveexec_b32 s7, s6
.LBB78_3815:
	v_lshrrev_b32_e32 v1, 24, v1
	s_delay_alu instid0(VALU_DEP_1)
	v_and_or_b32 v7, 0x80, v1, v6
.LBB78_3816:
	s_or_b32 exec_lo, exec_lo, s7
.LBB78_3817:
	s_delay_alu instid0(SALU_CYCLE_1)
	s_or_b32 exec_lo, exec_lo, s3
	s_mov_b32 s3, 0
	global_store_b8 v[4:5], v7, off
.LBB78_3818:
	s_and_b32 vcc_lo, exec_lo, s3
	s_cbranch_vccz .LBB78_3828
; %bb.3819:
	s_wait_xcnt 0x0
	v_xor_b32_e32 v1, v2, v3
	v_cls_i32_e32 v6, v3
	s_mov_b32 s3, exec_lo
	s_delay_alu instid0(VALU_DEP_2) | instskip(NEXT) | instid1(VALU_DEP_1)
	v_ashrrev_i32_e32 v1, 31, v1
	v_add_nc_u32_e32 v1, 32, v1
	s_delay_alu instid0(VALU_DEP_1) | instskip(NEXT) | instid1(VALU_DEP_1)
	v_add_min_u32_e64 v1, v6, -1, v1
	v_lshlrev_b64_e32 v[6:7], v1, v[2:3]
	v_sub_nc_u32_e32 v1, 32, v1
	s_delay_alu instid0(VALU_DEP_2) | instskip(NEXT) | instid1(VALU_DEP_1)
	v_min_u32_e32 v6, 1, v6
	v_or_b32_e32 v6, v7, v6
	s_delay_alu instid0(VALU_DEP_1) | instskip(NEXT) | instid1(VALU_DEP_1)
	v_cvt_f32_i32_e32 v6, v6
	v_ldexp_f32 v1, v6, v1
                                        ; implicit-def: $vgpr6
	s_delay_alu instid0(VALU_DEP_1) | instskip(NEXT) | instid1(VALU_DEP_1)
	v_and_b32_e32 v7, 0x7fffffff, v1
	v_cmpx_gt_u32_e32 0x43f00000, v7
	s_xor_b32 s3, exec_lo, s3
	s_cbranch_execz .LBB78_3825
; %bb.3820:
	s_mov_b32 s6, exec_lo
                                        ; implicit-def: $vgpr6
	v_cmpx_lt_u32_e32 0x3c7fffff, v7
	s_xor_b32 s6, exec_lo, s6
; %bb.3821:
	v_bfe_u32 v6, v1, 20, 1
	s_delay_alu instid0(VALU_DEP_1) | instskip(NEXT) | instid1(VALU_DEP_1)
	v_add3_u32 v6, v1, v6, 0x407ffff
	v_and_b32_e32 v7, 0xff00000, v6
	v_lshrrev_b32_e32 v6, 20, v6
	s_delay_alu instid0(VALU_DEP_2) | instskip(NEXT) | instid1(VALU_DEP_2)
	v_cmp_ne_u32_e32 vcc_lo, 0x7f00000, v7
	v_cndmask_b32_e32 v6, 0x7e, v6, vcc_lo
; %bb.3822:
	s_and_not1_saveexec_b32 s6, s6
; %bb.3823:
	v_add_f32_e64 v6, 0x46800000, |v1|
; %bb.3824:
	s_or_b32 exec_lo, exec_lo, s6
                                        ; implicit-def: $vgpr7
.LBB78_3825:
	s_and_not1_saveexec_b32 s3, s3
; %bb.3826:
	v_mov_b32_e32 v6, 0x7f
	v_cmp_lt_u32_e32 vcc_lo, 0x7f800000, v7
	s_delay_alu instid0(VALU_DEP_2)
	v_cndmask_b32_e32 v6, 0x7e, v6, vcc_lo
; %bb.3827:
	s_or_b32 exec_lo, exec_lo, s3
	v_lshrrev_b32_e32 v1, 24, v1
	s_delay_alu instid0(VALU_DEP_1)
	v_and_or_b32 v1, 0x80, v1, v6
	global_store_b8 v[4:5], v1, off
.LBB78_3828:
	s_mov_b32 s3, 0
.LBB78_3829:
	s_delay_alu instid0(SALU_CYCLE_1)
	s_and_not1_b32 vcc_lo, exec_lo, s3
	s_cbranch_vccnz .LBB78_3839
; %bb.3830:
	s_wait_xcnt 0x0
	v_xor_b32_e32 v1, v2, v3
	v_cls_i32_e32 v6, v3
	s_mov_b32 s3, exec_lo
	s_delay_alu instid0(VALU_DEP_2) | instskip(NEXT) | instid1(VALU_DEP_1)
	v_ashrrev_i32_e32 v1, 31, v1
	v_add_nc_u32_e32 v1, 32, v1
	s_delay_alu instid0(VALU_DEP_1) | instskip(NEXT) | instid1(VALU_DEP_1)
	v_add_min_u32_e64 v1, v6, -1, v1
	v_lshlrev_b64_e32 v[6:7], v1, v[2:3]
	v_sub_nc_u32_e32 v1, 32, v1
	s_delay_alu instid0(VALU_DEP_2) | instskip(NEXT) | instid1(VALU_DEP_1)
	v_min_u32_e32 v6, 1, v6
	v_or_b32_e32 v6, v7, v6
	s_delay_alu instid0(VALU_DEP_1) | instskip(NEXT) | instid1(VALU_DEP_1)
	v_cvt_f32_i32_e32 v6, v6
	v_ldexp_f32 v1, v6, v1
                                        ; implicit-def: $vgpr6
	s_delay_alu instid0(VALU_DEP_1) | instskip(NEXT) | instid1(VALU_DEP_1)
	v_and_b32_e32 v7, 0x7fffffff, v1
	v_cmpx_gt_u32_e32 0x47800000, v7
	s_xor_b32 s3, exec_lo, s3
	s_cbranch_execz .LBB78_3836
; %bb.3831:
	s_mov_b32 s6, exec_lo
                                        ; implicit-def: $vgpr6
	v_cmpx_lt_u32_e32 0x387fffff, v7
	s_xor_b32 s6, exec_lo, s6
; %bb.3832:
	v_bfe_u32 v6, v1, 21, 1
	s_delay_alu instid0(VALU_DEP_1) | instskip(NEXT) | instid1(VALU_DEP_1)
	v_add3_u32 v6, v1, v6, 0x80fffff
	v_lshrrev_b32_e32 v6, 21, v6
; %bb.3833:
	s_and_not1_saveexec_b32 s6, s6
; %bb.3834:
	v_add_f32_e64 v6, 0x43000000, |v1|
; %bb.3835:
	s_or_b32 exec_lo, exec_lo, s6
                                        ; implicit-def: $vgpr7
.LBB78_3836:
	s_and_not1_saveexec_b32 s3, s3
; %bb.3837:
	v_mov_b32_e32 v6, 0x7f
	v_cmp_lt_u32_e32 vcc_lo, 0x7f800000, v7
	s_delay_alu instid0(VALU_DEP_2)
	v_cndmask_b32_e32 v6, 0x7c, v6, vcc_lo
; %bb.3838:
	s_or_b32 exec_lo, exec_lo, s3
	v_lshrrev_b32_e32 v1, 24, v1
	s_delay_alu instid0(VALU_DEP_1)
	v_and_or_b32 v1, 0x80, v1, v6
	global_store_b8 v[4:5], v1, off
.LBB78_3839:
	s_mov_b32 s3, 0
	s_mov_b32 s6, -1
.LBB78_3840:
	s_and_not1_b32 vcc_lo, exec_lo, s3
	s_mov_b32 s3, 0
	s_cbranch_vccnz .LBB78_3847
; %bb.3841:
	s_cmp_gt_i32 s2, 14
	s_mov_b32 s3, -1
	s_cbranch_scc0 .LBB78_3845
; %bb.3842:
	s_cmp_eq_u32 s2, 15
	s_mov_b32 s0, -1
	s_cbranch_scc0 .LBB78_3844
; %bb.3843:
	s_wait_xcnt 0x0
	v_xor_b32_e32 v1, v2, v3
	v_cls_i32_e32 v6, v3
	s_mov_b32 s6, -1
	s_mov_b32 s0, 0
	s_delay_alu instid0(VALU_DEP_2) | instskip(NEXT) | instid1(VALU_DEP_1)
	v_ashrrev_i32_e32 v1, 31, v1
	v_add_nc_u32_e32 v1, 32, v1
	s_delay_alu instid0(VALU_DEP_1) | instskip(NEXT) | instid1(VALU_DEP_1)
	v_add_min_u32_e64 v1, v6, -1, v1
	v_lshlrev_b64_e32 v[6:7], v1, v[2:3]
	v_sub_nc_u32_e32 v1, 32, v1
	s_delay_alu instid0(VALU_DEP_2) | instskip(NEXT) | instid1(VALU_DEP_1)
	v_min_u32_e32 v6, 1, v6
	v_or_b32_e32 v6, v7, v6
	s_delay_alu instid0(VALU_DEP_1) | instskip(NEXT) | instid1(VALU_DEP_1)
	v_cvt_f32_i32_e32 v6, v6
	v_ldexp_f32 v1, v6, v1
	s_delay_alu instid0(VALU_DEP_1) | instskip(NEXT) | instid1(VALU_DEP_1)
	v_bfe_u32 v6, v1, 16, 1
	v_add3_u32 v1, v1, v6, 0x7fff
	global_store_d16_hi_b16 v[4:5], v1, off
.LBB78_3844:
	s_mov_b32 s3, 0
.LBB78_3845:
	s_delay_alu instid0(SALU_CYCLE_1)
	s_and_b32 vcc_lo, exec_lo, s3
	s_mov_b32 s3, 0
	s_cbranch_vccz .LBB78_3847
; %bb.3846:
	s_cmp_lg_u32 s2, 11
	s_mov_b32 s3, -1
	s_cselect_b32 s0, -1, 0
.LBB78_3847:
	s_delay_alu instid0(SALU_CYCLE_1)
	s_and_b32 vcc_lo, exec_lo, s0
	s_cbranch_vccnz .LBB78_4027
; %bb.3848:
	s_and_not1_b32 vcc_lo, exec_lo, s3
	s_cbranch_vccnz .LBB78_3850
.LBB78_3849:
	v_cmp_ne_u64_e32 vcc_lo, 0, v[2:3]
	s_mov_b32 s6, -1
	s_wait_xcnt 0x0
	v_cndmask_b32_e64 v1, 0, 1, vcc_lo
	global_store_b8 v[4:5], v1, off
.LBB78_3850:
	s_mov_b32 s0, 0
	s_branch .LBB78_3852
.LBB78_3851:
	s_mov_b32 s0, -1
	s_mov_b32 s6, 0
.LBB78_3852:
	s_and_b32 vcc_lo, exec_lo, s0
	s_cbranch_vccz .LBB78_3891
; %bb.3853:
	s_and_b32 s0, 0xffff, s24
	s_mov_b32 s2, -1
	s_cmp_lt_i32 s0, 5
	s_cbranch_scc1 .LBB78_3874
; %bb.3854:
	s_cmp_lt_i32 s0, 8
	s_cbranch_scc1 .LBB78_3864
; %bb.3855:
	;; [unrolled: 3-line block ×3, first 2 shown]
	s_cmp_gt_i32 s0, 9
	s_cbranch_scc0 .LBB78_3858
; %bb.3857:
	s_wait_xcnt 0x0
	v_cvt_f64_i32_e32 v[6:7], v3
	v_cvt_f64_u32_e32 v[8:9], v2
	s_mov_b32 s2, 0
	s_delay_alu instid0(VALU_DEP_2) | instskip(NEXT) | instid1(VALU_DEP_1)
	v_ldexp_f64 v[6:7], v[6:7], 32
	v_dual_add_f64 v[6:7], v[6:7], v[8:9] :: v_dual_mov_b32 v8, 0
	s_delay_alu instid0(VALU_DEP_1)
	v_mov_b32_e32 v9, v8
	global_store_b128 v[4:5], v[6:9], off
.LBB78_3858:
	s_and_not1_b32 vcc_lo, exec_lo, s2
	s_cbranch_vccnz .LBB78_3860
; %bb.3859:
	s_wait_xcnt 0x0
	v_xor_b32_e32 v1, v2, v3
	v_cls_i32_e32 v6, v3
	s_delay_alu instid0(VALU_DEP_2) | instskip(NEXT) | instid1(VALU_DEP_1)
	v_ashrrev_i32_e32 v1, 31, v1
	v_add_nc_u32_e32 v1, 32, v1
	s_delay_alu instid0(VALU_DEP_1) | instskip(NEXT) | instid1(VALU_DEP_1)
	v_add_min_u32_e64 v1, v6, -1, v1
	v_lshlrev_b64_e32 v[6:7], v1, v[2:3]
	v_sub_nc_u32_e32 v1, 32, v1
	s_delay_alu instid0(VALU_DEP_2) | instskip(NEXT) | instid1(VALU_DEP_1)
	v_min_u32_e32 v6, 1, v6
	v_dual_mov_b32 v7, 0 :: v_dual_bitop2_b32 v6, v7, v6 bitop3:0x54
	s_delay_alu instid0(VALU_DEP_1) | instskip(NEXT) | instid1(VALU_DEP_1)
	v_cvt_f32_i32_e32 v6, v6
	v_ldexp_f32 v6, v6, v1
	global_store_b64 v[4:5], v[6:7], off
.LBB78_3860:
	s_mov_b32 s2, 0
.LBB78_3861:
	s_delay_alu instid0(SALU_CYCLE_1)
	s_and_not1_b32 vcc_lo, exec_lo, s2
	s_cbranch_vccnz .LBB78_3863
; %bb.3862:
	s_wait_xcnt 0x0
	v_xor_b32_e32 v1, v2, v3
	v_cls_i32_e32 v6, v3
	s_delay_alu instid0(VALU_DEP_2) | instskip(NEXT) | instid1(VALU_DEP_1)
	v_ashrrev_i32_e32 v1, 31, v1
	v_add_nc_u32_e32 v1, 32, v1
	s_delay_alu instid0(VALU_DEP_1) | instskip(NEXT) | instid1(VALU_DEP_1)
	v_add_min_u32_e64 v1, v6, -1, v1
	v_lshlrev_b64_e32 v[6:7], v1, v[2:3]
	v_sub_nc_u32_e32 v1, 32, v1
	s_delay_alu instid0(VALU_DEP_2) | instskip(NEXT) | instid1(VALU_DEP_1)
	v_min_u32_e32 v6, 1, v6
	v_or_b32_e32 v6, v7, v6
	s_delay_alu instid0(VALU_DEP_1) | instskip(NEXT) | instid1(VALU_DEP_1)
	v_cvt_f32_i32_e32 v6, v6
	v_ldexp_f32 v1, v6, v1
	s_delay_alu instid0(VALU_DEP_1) | instskip(NEXT) | instid1(VALU_DEP_1)
	v_cvt_f16_f32_e32 v1, v1
	v_and_b32_e32 v1, 0xffff, v1
	global_store_b32 v[4:5], v1, off
.LBB78_3863:
	s_mov_b32 s2, 0
.LBB78_3864:
	s_delay_alu instid0(SALU_CYCLE_1)
	s_and_not1_b32 vcc_lo, exec_lo, s2
	s_cbranch_vccnz .LBB78_3873
; %bb.3865:
	s_cmp_lt_i32 s0, 6
	s_mov_b32 s2, -1
	s_cbranch_scc1 .LBB78_3871
; %bb.3866:
	s_cmp_gt_i32 s0, 6
	s_cbranch_scc0 .LBB78_3868
; %bb.3867:
	s_wait_xcnt 0x0
	v_cvt_f64_i32_e32 v[6:7], v3
	v_cvt_f64_u32_e32 v[8:9], v2
	s_mov_b32 s2, 0
	s_delay_alu instid0(VALU_DEP_2) | instskip(NEXT) | instid1(VALU_DEP_1)
	v_ldexp_f64 v[6:7], v[6:7], 32
	v_add_f64_e32 v[6:7], v[6:7], v[8:9]
	global_store_b64 v[4:5], v[6:7], off
.LBB78_3868:
	s_and_not1_b32 vcc_lo, exec_lo, s2
	s_cbranch_vccnz .LBB78_3870
; %bb.3869:
	s_wait_xcnt 0x0
	v_xor_b32_e32 v1, v2, v3
	v_cls_i32_e32 v6, v3
	s_delay_alu instid0(VALU_DEP_2) | instskip(NEXT) | instid1(VALU_DEP_1)
	v_ashrrev_i32_e32 v1, 31, v1
	v_add_nc_u32_e32 v1, 32, v1
	s_delay_alu instid0(VALU_DEP_1) | instskip(NEXT) | instid1(VALU_DEP_1)
	v_add_min_u32_e64 v1, v6, -1, v1
	v_lshlrev_b64_e32 v[6:7], v1, v[2:3]
	v_sub_nc_u32_e32 v1, 32, v1
	s_delay_alu instid0(VALU_DEP_2) | instskip(NEXT) | instid1(VALU_DEP_1)
	v_min_u32_e32 v6, 1, v6
	v_or_b32_e32 v6, v7, v6
	s_delay_alu instid0(VALU_DEP_1) | instskip(NEXT) | instid1(VALU_DEP_1)
	v_cvt_f32_i32_e32 v6, v6
	v_ldexp_f32 v1, v6, v1
	global_store_b32 v[4:5], v1, off
.LBB78_3870:
	s_mov_b32 s2, 0
.LBB78_3871:
	s_delay_alu instid0(SALU_CYCLE_1)
	s_and_not1_b32 vcc_lo, exec_lo, s2
	s_cbranch_vccnz .LBB78_3873
; %bb.3872:
	s_wait_xcnt 0x0
	v_xor_b32_e32 v1, v2, v3
	v_cls_i32_e32 v6, v3
	s_delay_alu instid0(VALU_DEP_2) | instskip(NEXT) | instid1(VALU_DEP_1)
	v_ashrrev_i32_e32 v1, 31, v1
	v_add_nc_u32_e32 v1, 32, v1
	s_delay_alu instid0(VALU_DEP_1) | instskip(NEXT) | instid1(VALU_DEP_1)
	v_add_min_u32_e64 v1, v6, -1, v1
	v_lshlrev_b64_e32 v[6:7], v1, v[2:3]
	v_sub_nc_u32_e32 v1, 32, v1
	s_delay_alu instid0(VALU_DEP_2) | instskip(NEXT) | instid1(VALU_DEP_1)
	v_min_u32_e32 v6, 1, v6
	v_or_b32_e32 v6, v7, v6
	s_delay_alu instid0(VALU_DEP_1) | instskip(NEXT) | instid1(VALU_DEP_1)
	v_cvt_f32_i32_e32 v6, v6
	v_ldexp_f32 v1, v6, v1
	s_delay_alu instid0(VALU_DEP_1)
	v_cvt_f16_f32_e32 v1, v1
	global_store_b16 v[4:5], v1, off
.LBB78_3873:
	s_mov_b32 s2, 0
.LBB78_3874:
	s_delay_alu instid0(SALU_CYCLE_1)
	s_and_not1_b32 vcc_lo, exec_lo, s2
	s_cbranch_vccnz .LBB78_3890
; %bb.3875:
	s_cmp_lt_i32 s0, 2
	s_mov_b32 s2, -1
	s_cbranch_scc1 .LBB78_3885
; %bb.3876:
	s_cmp_lt_i32 s0, 3
	s_cbranch_scc1 .LBB78_3882
; %bb.3877:
	s_cmp_gt_i32 s0, 3
	s_cbranch_scc0 .LBB78_3879
; %bb.3878:
	s_mov_b32 s2, 0
	global_store_b64 v[4:5], v[2:3], off
.LBB78_3879:
	s_and_not1_b32 vcc_lo, exec_lo, s2
	s_cbranch_vccnz .LBB78_3881
; %bb.3880:
	global_store_b32 v[4:5], v2, off
.LBB78_3881:
	s_mov_b32 s2, 0
.LBB78_3882:
	s_delay_alu instid0(SALU_CYCLE_1)
	s_and_not1_b32 vcc_lo, exec_lo, s2
	s_cbranch_vccnz .LBB78_3884
; %bb.3883:
	global_store_b16 v[4:5], v2, off
.LBB78_3884:
	s_mov_b32 s2, 0
.LBB78_3885:
	s_delay_alu instid0(SALU_CYCLE_1)
	s_and_not1_b32 vcc_lo, exec_lo, s2
	s_cbranch_vccnz .LBB78_3890
; %bb.3886:
	s_cmp_gt_i32 s0, 0
	s_mov_b32 s0, -1
	s_cbranch_scc0 .LBB78_3888
; %bb.3887:
	s_mov_b32 s0, 0
	global_store_b8 v[4:5], v2, off
.LBB78_3888:
	s_and_not1_b32 vcc_lo, exec_lo, s0
	s_cbranch_vccnz .LBB78_3890
; %bb.3889:
	global_store_b8 v[4:5], v2, off
.LBB78_3890:
	s_mov_b32 s6, -1
.LBB78_3891:
	s_delay_alu instid0(SALU_CYCLE_1)
	s_and_not1_b32 vcc_lo, exec_lo, s6
	s_cbranch_vccnz .LBB78_3968
; %bb.3892:
	s_wait_xcnt 0x0
	v_mul_u64_e32 v[2:3], s[16:17], v[18:19]
	v_mul_u64_e32 v[4:5], s[18:19], v[20:21]
	v_add_nc_u32_e32 v0, s1, v0
	s_cmp_lt_i32 s24, 11
	s_delay_alu instid0(VALU_DEP_1) | instskip(NEXT) | instid1(VALU_DEP_1)
	v_ashrrev_i32_e32 v1, 31, v0
	v_add_nc_u64_e32 v[0:1], s[4:5], v[0:1]
	s_delay_alu instid0(VALU_DEP_4) | instskip(NEXT) | instid1(VALU_DEP_1)
	v_mad_nc_u64_u32 v[2:3], v4, v22, v[2:3]
	v_mad_u32 v3, v5, v22, v3
	s_delay_alu instid0(VALU_DEP_1)
	v_mad_u32 v3, v4, v23, v3
	s_cbranch_scc1 .LBB78_4013
; %bb.3893:
	s_and_b32 s1, 0xffff, s24
	s_mov_b32 s3, -1
	s_mov_b32 s2, 0
	s_cmp_gt_i32 s1, 25
	s_mov_b32 s0, 0
	s_cbranch_scc0 .LBB78_3926
; %bb.3894:
	s_cmp_gt_i32 s1, 28
	s_cbranch_scc0 .LBB78_3910
; %bb.3895:
	s_cmp_gt_i32 s1, 43
	;; [unrolled: 3-line block ×3, first 2 shown]
	s_cbranch_scc0 .LBB78_3900
; %bb.3897:
	s_cmp_eq_u32 s1, 46
	s_mov_b32 s0, -1
	s_cbranch_scc0 .LBB78_3899
; %bb.3898:
	v_xor_b32_e32 v4, v2, v3
	v_cls_i32_e32 v5, v3
	s_mov_b32 s0, 0
	s_delay_alu instid0(VALU_DEP_2) | instskip(NEXT) | instid1(VALU_DEP_1)
	v_ashrrev_i32_e32 v4, 31, v4
	v_add_nc_u32_e32 v4, 32, v4
	s_delay_alu instid0(VALU_DEP_1) | instskip(NEXT) | instid1(VALU_DEP_1)
	v_add_min_u32_e64 v6, v5, -1, v4
	v_lshlrev_b64_e32 v[4:5], v6, v[2:3]
	s_delay_alu instid0(VALU_DEP_1) | instskip(NEXT) | instid1(VALU_DEP_1)
	v_min_u32_e32 v4, 1, v4
	v_dual_sub_nc_u32 v5, 32, v6 :: v_dual_bitop2_b32 v4, v5, v4 bitop3:0x54
	s_delay_alu instid0(VALU_DEP_1) | instskip(NEXT) | instid1(VALU_DEP_1)
	v_cvt_f32_i32_e32 v4, v4
	v_ldexp_f32 v4, v4, v5
	s_delay_alu instid0(VALU_DEP_1) | instskip(NEXT) | instid1(VALU_DEP_1)
	v_bfe_u32 v5, v4, 16, 1
	v_add3_u32 v4, v4, v5, 0x7fff
	s_delay_alu instid0(VALU_DEP_1)
	v_lshrrev_b32_e32 v4, 16, v4
	global_store_b32 v[0:1], v4, off
.LBB78_3899:
	s_mov_b32 s3, 0
.LBB78_3900:
	s_delay_alu instid0(SALU_CYCLE_1)
	s_and_b32 vcc_lo, exec_lo, s3
	s_cbranch_vccz .LBB78_3905
; %bb.3901:
	s_cmp_eq_u32 s1, 44
	s_mov_b32 s0, -1
	s_cbranch_scc0 .LBB78_3905
; %bb.3902:
	s_wait_xcnt 0x0
	v_xor_b32_e32 v4, v2, v3
	v_cls_i32_e32 v5, v3
	s_mov_b32 s3, exec_lo
	s_delay_alu instid0(VALU_DEP_2) | instskip(NEXT) | instid1(VALU_DEP_1)
	v_ashrrev_i32_e32 v4, 31, v4
	v_add_nc_u32_e32 v4, 32, v4
	s_delay_alu instid0(VALU_DEP_1) | instskip(NEXT) | instid1(VALU_DEP_1)
	v_add_min_u32_e64 v6, v5, -1, v4
	v_lshlrev_b64_e32 v[4:5], v6, v[2:3]
	s_delay_alu instid0(VALU_DEP_1) | instskip(NEXT) | instid1(VALU_DEP_1)
	v_min_u32_e32 v4, 1, v4
	v_dual_sub_nc_u32 v5, 32, v6 :: v_dual_bitop2_b32 v4, v5, v4 bitop3:0x54
	s_delay_alu instid0(VALU_DEP_1) | instskip(NEXT) | instid1(VALU_DEP_1)
	v_cvt_f32_i32_e32 v4, v4
	v_ldexp_f32 v4, v4, v5
	v_mov_b32_e32 v5, 0xff
	s_delay_alu instid0(VALU_DEP_2) | instskip(NEXT) | instid1(VALU_DEP_1)
	v_bfe_u32 v6, v4, 23, 8
	v_cmpx_ne_u32_e32 0xff, v6
	s_cbranch_execz .LBB78_3904
; %bb.3903:
	v_and_b32_e32 v5, 0x400000, v4
	v_and_or_b32 v6, 0x3fffff, v4, v6
	v_lshrrev_b32_e32 v4, 23, v4
	s_delay_alu instid0(VALU_DEP_3) | instskip(NEXT) | instid1(VALU_DEP_3)
	v_cmp_ne_u32_e32 vcc_lo, 0, v5
	v_cmp_ne_u32_e64 s0, 0, v6
	s_and_b32 s0, vcc_lo, s0
	s_delay_alu instid0(SALU_CYCLE_1) | instskip(NEXT) | instid1(VALU_DEP_1)
	v_cndmask_b32_e64 v5, 0, 1, s0
	v_add_nc_u32_e32 v5, v4, v5
.LBB78_3904:
	s_or_b32 exec_lo, exec_lo, s3
	s_mov_b32 s0, 0
	global_store_b8 v[0:1], v5, off
.LBB78_3905:
	s_mov_b32 s3, 0
.LBB78_3906:
	s_delay_alu instid0(SALU_CYCLE_1)
	s_and_b32 vcc_lo, exec_lo, s3
	s_cbranch_vccz .LBB78_3909
; %bb.3907:
	s_cmp_eq_u32 s1, 29
	s_mov_b32 s0, -1
	s_cbranch_scc0 .LBB78_3909
; %bb.3908:
	s_mov_b32 s0, 0
	global_store_b64 v[0:1], v[2:3], off
.LBB78_3909:
	s_mov_b32 s3, 0
.LBB78_3910:
	s_delay_alu instid0(SALU_CYCLE_1)
	s_and_b32 vcc_lo, exec_lo, s3
	s_cbranch_vccz .LBB78_3925
; %bb.3911:
	s_cmp_lt_i32 s1, 27
	s_mov_b32 s3, -1
	s_cbranch_scc1 .LBB78_3917
; %bb.3912:
	s_cmp_gt_i32 s1, 27
	s_cbranch_scc0 .LBB78_3914
; %bb.3913:
	s_mov_b32 s3, 0
	global_store_b32 v[0:1], v2, off
.LBB78_3914:
	s_and_not1_b32 vcc_lo, exec_lo, s3
	s_cbranch_vccnz .LBB78_3916
; %bb.3915:
	global_store_b16 v[0:1], v2, off
.LBB78_3916:
	s_mov_b32 s3, 0
.LBB78_3917:
	s_delay_alu instid0(SALU_CYCLE_1)
	s_and_not1_b32 vcc_lo, exec_lo, s3
	s_cbranch_vccnz .LBB78_3925
; %bb.3918:
	s_wait_xcnt 0x0
	v_xor_b32_e32 v4, v2, v3
	v_cls_i32_e32 v5, v3
	s_mov_b32 s3, exec_lo
	s_delay_alu instid0(VALU_DEP_2) | instskip(NEXT) | instid1(VALU_DEP_1)
	v_ashrrev_i32_e32 v4, 31, v4
	v_add_nc_u32_e32 v4, 32, v4
	s_delay_alu instid0(VALU_DEP_1) | instskip(NEXT) | instid1(VALU_DEP_1)
	v_add_min_u32_e64 v6, v5, -1, v4
	v_lshlrev_b64_e32 v[4:5], v6, v[2:3]
	s_delay_alu instid0(VALU_DEP_1) | instskip(NEXT) | instid1(VALU_DEP_1)
	v_min_u32_e32 v4, 1, v4
	v_dual_sub_nc_u32 v5, 32, v6 :: v_dual_bitop2_b32 v4, v5, v4 bitop3:0x54
	v_mov_b32_e32 v6, 0x80
	s_delay_alu instid0(VALU_DEP_2) | instskip(NEXT) | instid1(VALU_DEP_1)
	v_cvt_f32_i32_e32 v4, v4
	v_ldexp_f32 v4, v4, v5
	s_delay_alu instid0(VALU_DEP_1) | instskip(NEXT) | instid1(VALU_DEP_1)
	v_and_b32_e32 v5, 0x7fffffff, v4
	v_cmpx_gt_u32_e32 0x43800000, v5
	s_cbranch_execz .LBB78_3924
; %bb.3919:
	v_cmp_lt_u32_e32 vcc_lo, 0x3bffffff, v5
	s_mov_b32 s4, 0
                                        ; implicit-def: $vgpr5
	s_and_saveexec_b32 s5, vcc_lo
	s_delay_alu instid0(SALU_CYCLE_1)
	s_xor_b32 s5, exec_lo, s5
	s_cbranch_execz .LBB78_4030
; %bb.3920:
	v_bfe_u32 v5, v4, 20, 1
	s_mov_b32 s4, exec_lo
	s_delay_alu instid0(VALU_DEP_1) | instskip(NEXT) | instid1(VALU_DEP_1)
	v_add3_u32 v5, v4, v5, 0x487ffff
	v_lshrrev_b32_e32 v5, 20, v5
	s_and_not1_saveexec_b32 s5, s5
	s_cbranch_execnz .LBB78_4031
.LBB78_3921:
	s_or_b32 exec_lo, exec_lo, s5
	v_mov_b32_e32 v6, 0
	s_and_saveexec_b32 s5, s4
.LBB78_3922:
	v_lshrrev_b32_e32 v4, 24, v4
	s_delay_alu instid0(VALU_DEP_1)
	v_and_or_b32 v6, 0x80, v4, v5
.LBB78_3923:
	s_or_b32 exec_lo, exec_lo, s5
.LBB78_3924:
	s_delay_alu instid0(SALU_CYCLE_1)
	s_or_b32 exec_lo, exec_lo, s3
	global_store_b8 v[0:1], v6, off
.LBB78_3925:
	s_mov_b32 s3, 0
.LBB78_3926:
	s_delay_alu instid0(SALU_CYCLE_1)
	s_and_b32 vcc_lo, exec_lo, s3
	s_cbranch_vccz .LBB78_3966
; %bb.3927:
	s_cmp_gt_i32 s1, 22
	s_mov_b32 s2, -1
	s_cbranch_scc0 .LBB78_3959
; %bb.3928:
	s_cmp_lt_i32 s1, 24
	s_cbranch_scc1 .LBB78_3948
; %bb.3929:
	s_cmp_gt_i32 s1, 24
	s_cbranch_scc0 .LBB78_3937
; %bb.3930:
	s_wait_xcnt 0x0
	v_xor_b32_e32 v4, v2, v3
	v_cls_i32_e32 v5, v3
	s_mov_b32 s2, exec_lo
	s_delay_alu instid0(VALU_DEP_2) | instskip(NEXT) | instid1(VALU_DEP_1)
	v_ashrrev_i32_e32 v4, 31, v4
	v_add_nc_u32_e32 v4, 32, v4
	s_delay_alu instid0(VALU_DEP_1) | instskip(NEXT) | instid1(VALU_DEP_1)
	v_add_min_u32_e64 v6, v5, -1, v4
	v_lshlrev_b64_e32 v[4:5], v6, v[2:3]
	s_delay_alu instid0(VALU_DEP_1) | instskip(NEXT) | instid1(VALU_DEP_1)
	v_min_u32_e32 v4, 1, v4
	v_dual_sub_nc_u32 v5, 32, v6 :: v_dual_bitop2_b32 v4, v5, v4 bitop3:0x54
	v_mov_b32_e32 v6, 0x80
	s_delay_alu instid0(VALU_DEP_2) | instskip(NEXT) | instid1(VALU_DEP_1)
	v_cvt_f32_i32_e32 v4, v4
	v_ldexp_f32 v4, v4, v5
	s_delay_alu instid0(VALU_DEP_1) | instskip(NEXT) | instid1(VALU_DEP_1)
	v_and_b32_e32 v5, 0x7fffffff, v4
	v_cmpx_gt_u32_e32 0x47800000, v5
	s_cbranch_execz .LBB78_3936
; %bb.3931:
	v_cmp_lt_u32_e32 vcc_lo, 0x37ffffff, v5
	s_mov_b32 s3, 0
                                        ; implicit-def: $vgpr5
	s_and_saveexec_b32 s4, vcc_lo
	s_delay_alu instid0(SALU_CYCLE_1)
	s_xor_b32 s4, exec_lo, s4
	s_cbranch_execz .LBB78_4033
; %bb.3932:
	v_bfe_u32 v5, v4, 21, 1
	s_mov_b32 s3, exec_lo
	s_delay_alu instid0(VALU_DEP_1) | instskip(NEXT) | instid1(VALU_DEP_1)
	v_add3_u32 v5, v4, v5, 0x88fffff
	v_lshrrev_b32_e32 v5, 21, v5
	s_and_not1_saveexec_b32 s4, s4
	s_cbranch_execnz .LBB78_4034
.LBB78_3933:
	s_or_b32 exec_lo, exec_lo, s4
	v_mov_b32_e32 v6, 0
	s_and_saveexec_b32 s4, s3
.LBB78_3934:
	v_lshrrev_b32_e32 v4, 24, v4
	s_delay_alu instid0(VALU_DEP_1)
	v_and_or_b32 v6, 0x80, v4, v5
.LBB78_3935:
	s_or_b32 exec_lo, exec_lo, s4
.LBB78_3936:
	s_delay_alu instid0(SALU_CYCLE_1)
	s_or_b32 exec_lo, exec_lo, s2
	s_mov_b32 s2, 0
	global_store_b8 v[0:1], v6, off
.LBB78_3937:
	s_and_b32 vcc_lo, exec_lo, s2
	s_cbranch_vccz .LBB78_3947
; %bb.3938:
	s_wait_xcnt 0x0
	v_xor_b32_e32 v4, v2, v3
	v_cls_i32_e32 v5, v3
	s_mov_b32 s2, exec_lo
	s_delay_alu instid0(VALU_DEP_2) | instskip(NEXT) | instid1(VALU_DEP_1)
	v_ashrrev_i32_e32 v4, 31, v4
	v_add_nc_u32_e32 v4, 32, v4
	s_delay_alu instid0(VALU_DEP_1) | instskip(NEXT) | instid1(VALU_DEP_1)
	v_add_min_u32_e64 v6, v5, -1, v4
	v_lshlrev_b64_e32 v[4:5], v6, v[2:3]
	s_delay_alu instid0(VALU_DEP_1) | instskip(NEXT) | instid1(VALU_DEP_1)
	v_min_u32_e32 v4, 1, v4
	v_dual_sub_nc_u32 v5, 32, v6 :: v_dual_bitop2_b32 v4, v5, v4 bitop3:0x54
	s_delay_alu instid0(VALU_DEP_1) | instskip(NEXT) | instid1(VALU_DEP_1)
	v_cvt_f32_i32_e32 v4, v4
	v_ldexp_f32 v4, v4, v5
                                        ; implicit-def: $vgpr5
	s_delay_alu instid0(VALU_DEP_1) | instskip(NEXT) | instid1(VALU_DEP_1)
	v_and_b32_e32 v6, 0x7fffffff, v4
	v_cmpx_gt_u32_e32 0x43f00000, v6
	s_xor_b32 s2, exec_lo, s2
	s_cbranch_execz .LBB78_3944
; %bb.3939:
	s_mov_b32 s3, exec_lo
                                        ; implicit-def: $vgpr5
	v_cmpx_lt_u32_e32 0x3c7fffff, v6
	s_xor_b32 s3, exec_lo, s3
; %bb.3940:
	v_bfe_u32 v5, v4, 20, 1
	s_delay_alu instid0(VALU_DEP_1) | instskip(NEXT) | instid1(VALU_DEP_1)
	v_add3_u32 v5, v4, v5, 0x407ffff
	v_and_b32_e32 v6, 0xff00000, v5
	v_lshrrev_b32_e32 v5, 20, v5
	s_delay_alu instid0(VALU_DEP_2) | instskip(NEXT) | instid1(VALU_DEP_2)
	v_cmp_ne_u32_e32 vcc_lo, 0x7f00000, v6
	v_cndmask_b32_e32 v5, 0x7e, v5, vcc_lo
; %bb.3941:
	s_and_not1_saveexec_b32 s3, s3
; %bb.3942:
	v_add_f32_e64 v5, 0x46800000, |v4|
; %bb.3943:
	s_or_b32 exec_lo, exec_lo, s3
                                        ; implicit-def: $vgpr6
.LBB78_3944:
	s_and_not1_saveexec_b32 s2, s2
; %bb.3945:
	v_mov_b32_e32 v5, 0x7f
	v_cmp_lt_u32_e32 vcc_lo, 0x7f800000, v6
	s_delay_alu instid0(VALU_DEP_2)
	v_cndmask_b32_e32 v5, 0x7e, v5, vcc_lo
; %bb.3946:
	s_or_b32 exec_lo, exec_lo, s2
	v_lshrrev_b32_e32 v4, 24, v4
	s_delay_alu instid0(VALU_DEP_1)
	v_and_or_b32 v4, 0x80, v4, v5
	global_store_b8 v[0:1], v4, off
.LBB78_3947:
	s_mov_b32 s2, 0
.LBB78_3948:
	s_delay_alu instid0(SALU_CYCLE_1)
	s_and_not1_b32 vcc_lo, exec_lo, s2
	s_cbranch_vccnz .LBB78_3958
; %bb.3949:
	s_wait_xcnt 0x0
	v_xor_b32_e32 v4, v2, v3
	v_cls_i32_e32 v5, v3
	s_mov_b32 s2, exec_lo
	s_delay_alu instid0(VALU_DEP_2) | instskip(NEXT) | instid1(VALU_DEP_1)
	v_ashrrev_i32_e32 v4, 31, v4
	v_add_nc_u32_e32 v4, 32, v4
	s_delay_alu instid0(VALU_DEP_1) | instskip(NEXT) | instid1(VALU_DEP_1)
	v_add_min_u32_e64 v6, v5, -1, v4
	v_lshlrev_b64_e32 v[4:5], v6, v[2:3]
	s_delay_alu instid0(VALU_DEP_1) | instskip(NEXT) | instid1(VALU_DEP_1)
	v_min_u32_e32 v4, 1, v4
	v_dual_sub_nc_u32 v5, 32, v6 :: v_dual_bitop2_b32 v4, v5, v4 bitop3:0x54
	s_delay_alu instid0(VALU_DEP_1) | instskip(NEXT) | instid1(VALU_DEP_1)
	v_cvt_f32_i32_e32 v4, v4
	v_ldexp_f32 v4, v4, v5
                                        ; implicit-def: $vgpr5
	s_delay_alu instid0(VALU_DEP_1) | instskip(NEXT) | instid1(VALU_DEP_1)
	v_and_b32_e32 v6, 0x7fffffff, v4
	v_cmpx_gt_u32_e32 0x47800000, v6
	s_xor_b32 s2, exec_lo, s2
	s_cbranch_execz .LBB78_3955
; %bb.3950:
	s_mov_b32 s3, exec_lo
                                        ; implicit-def: $vgpr5
	v_cmpx_lt_u32_e32 0x387fffff, v6
	s_xor_b32 s3, exec_lo, s3
; %bb.3951:
	v_bfe_u32 v5, v4, 21, 1
	s_delay_alu instid0(VALU_DEP_1) | instskip(NEXT) | instid1(VALU_DEP_1)
	v_add3_u32 v5, v4, v5, 0x80fffff
	v_lshrrev_b32_e32 v5, 21, v5
; %bb.3952:
	s_and_not1_saveexec_b32 s3, s3
; %bb.3953:
	v_add_f32_e64 v5, 0x43000000, |v4|
; %bb.3954:
	s_or_b32 exec_lo, exec_lo, s3
                                        ; implicit-def: $vgpr6
.LBB78_3955:
	s_and_not1_saveexec_b32 s2, s2
; %bb.3956:
	v_mov_b32_e32 v5, 0x7f
	v_cmp_lt_u32_e32 vcc_lo, 0x7f800000, v6
	s_delay_alu instid0(VALU_DEP_2)
	v_cndmask_b32_e32 v5, 0x7c, v5, vcc_lo
; %bb.3957:
	s_or_b32 exec_lo, exec_lo, s2
	v_lshrrev_b32_e32 v4, 24, v4
	s_delay_alu instid0(VALU_DEP_1)
	v_and_or_b32 v4, 0x80, v4, v5
	global_store_b8 v[0:1], v4, off
.LBB78_3958:
	s_mov_b32 s2, 0
.LBB78_3959:
	s_delay_alu instid0(SALU_CYCLE_1)
	s_and_not1_b32 vcc_lo, exec_lo, s2
	s_mov_b32 s2, 0
	s_cbranch_vccnz .LBB78_3966
; %bb.3960:
	s_cmp_gt_i32 s1, 14
	s_mov_b32 s2, -1
	s_cbranch_scc0 .LBB78_3964
; %bb.3961:
	s_cmp_eq_u32 s1, 15
	s_mov_b32 s0, -1
	s_cbranch_scc0 .LBB78_3963
; %bb.3962:
	s_wait_xcnt 0x0
	v_xor_b32_e32 v4, v2, v3
	v_cls_i32_e32 v5, v3
	s_mov_b32 s0, 0
	s_delay_alu instid0(VALU_DEP_2) | instskip(NEXT) | instid1(VALU_DEP_1)
	v_ashrrev_i32_e32 v4, 31, v4
	v_add_nc_u32_e32 v4, 32, v4
	s_delay_alu instid0(VALU_DEP_1) | instskip(NEXT) | instid1(VALU_DEP_1)
	v_add_min_u32_e64 v6, v5, -1, v4
	v_lshlrev_b64_e32 v[4:5], v6, v[2:3]
	s_delay_alu instid0(VALU_DEP_1) | instskip(NEXT) | instid1(VALU_DEP_1)
	v_min_u32_e32 v4, 1, v4
	v_dual_sub_nc_u32 v5, 32, v6 :: v_dual_bitop2_b32 v4, v5, v4 bitop3:0x54
	s_delay_alu instid0(VALU_DEP_1) | instskip(NEXT) | instid1(VALU_DEP_1)
	v_cvt_f32_i32_e32 v4, v4
	v_ldexp_f32 v4, v4, v5
	s_delay_alu instid0(VALU_DEP_1) | instskip(NEXT) | instid1(VALU_DEP_1)
	v_bfe_u32 v5, v4, 16, 1
	v_add3_u32 v4, v4, v5, 0x7fff
	global_store_d16_hi_b16 v[0:1], v4, off
.LBB78_3963:
	s_mov_b32 s2, 0
.LBB78_3964:
	s_delay_alu instid0(SALU_CYCLE_1)
	s_and_b32 vcc_lo, exec_lo, s2
	s_mov_b32 s2, 0
	s_cbranch_vccz .LBB78_3966
; %bb.3965:
	s_cmp_lg_u32 s1, 11
	s_mov_b32 s2, -1
	s_cselect_b32 s0, -1, 0
.LBB78_3966:
	s_delay_alu instid0(SALU_CYCLE_1)
	s_and_b32 vcc_lo, exec_lo, s0
	s_cbranch_vccnz .LBB78_4032
.LBB78_3967:
	s_mov_b32 s0, 0
	s_branch .LBB78_3969
.LBB78_3968:
	s_mov_b32 s0, 0
	s_mov_b32 s2, 0
                                        ; implicit-def: $sgpr24
                                        ; implicit-def: $vgpr0_vgpr1
                                        ; implicit-def: $vgpr2_vgpr3
.LBB78_3969:
	s_and_not1_b32 s1, s23, exec_lo
	s_and_b32 s3, s20, exec_lo
	s_and_b32 s0, s0, exec_lo
	;; [unrolled: 1-line block ×3, first 2 shown]
	s_or_b32 s23, s1, s3
.LBB78_3970:
	s_wait_xcnt 0x0
	s_or_b32 exec_lo, exec_lo, s22
	s_and_saveexec_b32 s1, s23
	s_cbranch_execz .LBB78_3973
; %bb.3971:
	; divergent unreachable
	s_or_b32 exec_lo, exec_lo, s1
	s_and_saveexec_b32 s1, s20
	s_delay_alu instid0(SALU_CYCLE_1)
	s_xor_b32 s1, exec_lo, s1
	s_cbranch_execnz .LBB78_3974
.LBB78_3972:
	s_or_b32 exec_lo, exec_lo, s1
	s_and_saveexec_b32 s1, s0
	s_cbranch_execnz .LBB78_3975
	s_branch .LBB78_4012
.LBB78_3973:
	s_or_b32 exec_lo, exec_lo, s1
	s_and_saveexec_b32 s1, s20
	s_delay_alu instid0(SALU_CYCLE_1)
	s_xor_b32 s1, exec_lo, s1
	s_cbranch_execz .LBB78_3972
.LBB78_3974:
	s_wait_loadcnt 0x0
	v_cmp_ne_u64_e32 vcc_lo, 0, v[2:3]
	v_cndmask_b32_e64 v4, 0, 1, vcc_lo
	global_store_b8 v[0:1], v4, off
	s_wait_xcnt 0x0
	s_or_b32 exec_lo, exec_lo, s1
	s_and_saveexec_b32 s1, s0
	s_cbranch_execz .LBB78_4012
.LBB78_3975:
	s_sext_i32_i16 s1, s24
	s_mov_b32 s0, -1
	s_cmp_lt_i32 s1, 5
	s_cbranch_scc1 .LBB78_3996
; %bb.3976:
	s_cmp_lt_i32 s1, 8
	s_cbranch_scc1 .LBB78_3986
; %bb.3977:
	;; [unrolled: 3-line block ×3, first 2 shown]
	s_cmp_gt_i32 s1, 9
	s_cbranch_scc0 .LBB78_3980
; %bb.3979:
	s_wait_loadcnt 0x0
	v_cvt_f64_i32_e32 v[4:5], v3
	v_cvt_f64_u32_e32 v[6:7], v2
	s_mov_b32 s0, 0
	s_delay_alu instid0(VALU_DEP_2) | instskip(NEXT) | instid1(VALU_DEP_1)
	v_ldexp_f64 v[4:5], v[4:5], 32
	v_dual_add_f64 v[4:5], v[4:5], v[6:7] :: v_dual_mov_b32 v6, 0
	s_delay_alu instid0(VALU_DEP_1)
	v_mov_b32_e32 v7, v6
	global_store_b128 v[0:1], v[4:7], off
.LBB78_3980:
	s_and_not1_b32 vcc_lo, exec_lo, s0
	s_cbranch_vccnz .LBB78_3982
; %bb.3981:
	s_wait_loadcnt 0x0
	v_xor_b32_e32 v4, v2, v3
	v_cls_i32_e32 v5, v3
	s_delay_alu instid0(VALU_DEP_2) | instskip(NEXT) | instid1(VALU_DEP_1)
	v_ashrrev_i32_e32 v4, 31, v4
	v_add_nc_u32_e32 v4, 32, v4
	s_delay_alu instid0(VALU_DEP_1) | instskip(NEXT) | instid1(VALU_DEP_1)
	v_add_min_u32_e64 v6, v5, -1, v4
	v_lshlrev_b64_e32 v[4:5], v6, v[2:3]
	s_delay_alu instid0(VALU_DEP_1) | instskip(NEXT) | instid1(VALU_DEP_1)
	v_min_u32_e32 v4, 1, v4
	v_dual_sub_nc_u32 v5, 32, v6 :: v_dual_bitop2_b32 v4, v5, v4 bitop3:0x54
	s_delay_alu instid0(VALU_DEP_1) | instskip(NEXT) | instid1(VALU_DEP_1)
	v_cvt_f32_i32_e32 v4, v4
	v_ldexp_f32 v4, v4, v5
	v_mov_b32_e32 v5, 0
	global_store_b64 v[0:1], v[4:5], off
.LBB78_3982:
	s_mov_b32 s0, 0
.LBB78_3983:
	s_delay_alu instid0(SALU_CYCLE_1)
	s_and_not1_b32 vcc_lo, exec_lo, s0
	s_cbranch_vccnz .LBB78_3985
; %bb.3984:
	s_wait_loadcnt 0x0
	v_xor_b32_e32 v4, v2, v3
	v_cls_i32_e32 v5, v3
	s_delay_alu instid0(VALU_DEP_2) | instskip(NEXT) | instid1(VALU_DEP_1)
	v_ashrrev_i32_e32 v4, 31, v4
	v_add_nc_u32_e32 v4, 32, v4
	s_delay_alu instid0(VALU_DEP_1) | instskip(NEXT) | instid1(VALU_DEP_1)
	v_add_min_u32_e64 v6, v5, -1, v4
	v_lshlrev_b64_e32 v[4:5], v6, v[2:3]
	s_delay_alu instid0(VALU_DEP_1) | instskip(NEXT) | instid1(VALU_DEP_1)
	v_min_u32_e32 v4, 1, v4
	v_dual_sub_nc_u32 v5, 32, v6 :: v_dual_bitop2_b32 v4, v5, v4 bitop3:0x54
	s_delay_alu instid0(VALU_DEP_1) | instskip(NEXT) | instid1(VALU_DEP_1)
	v_cvt_f32_i32_e32 v4, v4
	v_ldexp_f32 v4, v4, v5
	s_delay_alu instid0(VALU_DEP_1) | instskip(NEXT) | instid1(VALU_DEP_1)
	v_cvt_f16_f32_e32 v4, v4
	v_and_b32_e32 v4, 0xffff, v4
	global_store_b32 v[0:1], v4, off
.LBB78_3985:
	s_mov_b32 s0, 0
.LBB78_3986:
	s_delay_alu instid0(SALU_CYCLE_1)
	s_and_not1_b32 vcc_lo, exec_lo, s0
	s_cbranch_vccnz .LBB78_3995
; %bb.3987:
	s_sext_i32_i16 s1, s24
	s_mov_b32 s0, -1
	s_cmp_lt_i32 s1, 6
	s_cbranch_scc1 .LBB78_3993
; %bb.3988:
	s_cmp_gt_i32 s1, 6
	s_cbranch_scc0 .LBB78_3990
; %bb.3989:
	s_wait_loadcnt 0x0
	v_cvt_f64_i32_e32 v[4:5], v3
	v_cvt_f64_u32_e32 v[6:7], v2
	s_mov_b32 s0, 0
	s_delay_alu instid0(VALU_DEP_2) | instskip(NEXT) | instid1(VALU_DEP_1)
	v_ldexp_f64 v[4:5], v[4:5], 32
	v_add_f64_e32 v[4:5], v[4:5], v[6:7]
	global_store_b64 v[0:1], v[4:5], off
.LBB78_3990:
	s_and_not1_b32 vcc_lo, exec_lo, s0
	s_cbranch_vccnz .LBB78_3992
; %bb.3991:
	s_wait_loadcnt 0x0
	v_xor_b32_e32 v4, v2, v3
	v_cls_i32_e32 v5, v3
	s_delay_alu instid0(VALU_DEP_2) | instskip(NEXT) | instid1(VALU_DEP_1)
	v_ashrrev_i32_e32 v4, 31, v4
	v_add_nc_u32_e32 v4, 32, v4
	s_delay_alu instid0(VALU_DEP_1) | instskip(NEXT) | instid1(VALU_DEP_1)
	v_add_min_u32_e64 v6, v5, -1, v4
	v_lshlrev_b64_e32 v[4:5], v6, v[2:3]
	s_delay_alu instid0(VALU_DEP_1) | instskip(NEXT) | instid1(VALU_DEP_1)
	v_min_u32_e32 v4, 1, v4
	v_dual_sub_nc_u32 v5, 32, v6 :: v_dual_bitop2_b32 v4, v5, v4 bitop3:0x54
	s_delay_alu instid0(VALU_DEP_1) | instskip(NEXT) | instid1(VALU_DEP_1)
	v_cvt_f32_i32_e32 v4, v4
	v_ldexp_f32 v4, v4, v5
	global_store_b32 v[0:1], v4, off
.LBB78_3992:
	s_mov_b32 s0, 0
.LBB78_3993:
	s_delay_alu instid0(SALU_CYCLE_1)
	s_and_not1_b32 vcc_lo, exec_lo, s0
	s_cbranch_vccnz .LBB78_3995
; %bb.3994:
	s_wait_loadcnt 0x0
	v_xor_b32_e32 v4, v2, v3
	v_cls_i32_e32 v5, v3
	s_delay_alu instid0(VALU_DEP_2) | instskip(NEXT) | instid1(VALU_DEP_1)
	v_ashrrev_i32_e32 v4, 31, v4
	v_add_nc_u32_e32 v4, 32, v4
	s_delay_alu instid0(VALU_DEP_1) | instskip(NEXT) | instid1(VALU_DEP_1)
	v_add_min_u32_e64 v6, v5, -1, v4
	v_lshlrev_b64_e32 v[4:5], v6, v[2:3]
	s_delay_alu instid0(VALU_DEP_1) | instskip(NEXT) | instid1(VALU_DEP_1)
	v_min_u32_e32 v4, 1, v4
	v_dual_sub_nc_u32 v5, 32, v6 :: v_dual_bitop2_b32 v4, v5, v4 bitop3:0x54
	s_delay_alu instid0(VALU_DEP_1) | instskip(NEXT) | instid1(VALU_DEP_1)
	v_cvt_f32_i32_e32 v4, v4
	v_ldexp_f32 v4, v4, v5
	s_delay_alu instid0(VALU_DEP_1)
	v_cvt_f16_f32_e32 v4, v4
	global_store_b16 v[0:1], v4, off
.LBB78_3995:
	s_mov_b32 s0, 0
.LBB78_3996:
	s_delay_alu instid0(SALU_CYCLE_1)
	s_and_not1_b32 vcc_lo, exec_lo, s0
	s_cbranch_vccnz .LBB78_4012
; %bb.3997:
	s_sext_i32_i16 s1, s24
	s_mov_b32 s0, -1
	s_cmp_lt_i32 s1, 2
	s_cbranch_scc1 .LBB78_4007
; %bb.3998:
	s_cmp_lt_i32 s1, 3
	s_cbranch_scc1 .LBB78_4004
; %bb.3999:
	s_cmp_gt_i32 s1, 3
	s_cbranch_scc0 .LBB78_4001
; %bb.4000:
	s_mov_b32 s0, 0
	s_wait_loadcnt 0x0
	global_store_b64 v[0:1], v[2:3], off
.LBB78_4001:
	s_and_not1_b32 vcc_lo, exec_lo, s0
	s_cbranch_vccnz .LBB78_4003
; %bb.4002:
	s_wait_loadcnt 0x0
	global_store_b32 v[0:1], v2, off
.LBB78_4003:
	s_mov_b32 s0, 0
.LBB78_4004:
	s_delay_alu instid0(SALU_CYCLE_1)
	s_and_not1_b32 vcc_lo, exec_lo, s0
	s_cbranch_vccnz .LBB78_4006
; %bb.4005:
	s_wait_loadcnt 0x0
	global_store_b16 v[0:1], v2, off
.LBB78_4006:
	s_mov_b32 s0, 0
.LBB78_4007:
	s_delay_alu instid0(SALU_CYCLE_1)
	s_and_not1_b32 vcc_lo, exec_lo, s0
	s_cbranch_vccnz .LBB78_4012
; %bb.4008:
	s_sext_i32_i16 s0, s24
	s_delay_alu instid0(SALU_CYCLE_1)
	s_cmp_gt_i32 s0, 0
	s_mov_b32 s0, -1
	s_cbranch_scc0 .LBB78_4010
; %bb.4009:
	s_mov_b32 s0, 0
	s_wait_loadcnt 0x0
	global_store_b8 v[0:1], v2, off
.LBB78_4010:
	s_and_not1_b32 vcc_lo, exec_lo, s0
	s_cbranch_vccnz .LBB78_4012
; %bb.4011:
	s_wait_loadcnt 0x0
	global_store_b8 v[0:1], v2, off
	s_endpgm
.LBB78_4012:
	s_endpgm
.LBB78_4013:
	s_mov_b32 s2, 0
	s_mov_b32 s0, -1
	s_branch .LBB78_3969
.LBB78_4014:
	s_or_b32 s20, s20, exec_lo
	s_trap 2
	s_cbranch_execz .LBB78_3483
	s_branch .LBB78_3484
.LBB78_4015:
	s_and_not1_saveexec_b32 s7, s7
	s_cbranch_execz .LBB78_3563
.LBB78_4016:
	v_add_f32_e64 v24, 0x46000000, |v1|
	s_and_not1_b32 s6, s6, exec_lo
	s_delay_alu instid0(VALU_DEP_1) | instskip(NEXT) | instid1(VALU_DEP_1)
	v_and_b32_e32 v24, 0xff, v24
	v_cmp_ne_u32_e32 vcc_lo, 0, v24
	s_and_b32 s8, vcc_lo, exec_lo
	s_delay_alu instid0(SALU_CYCLE_1)
	s_or_b32 s6, s6, s8
	s_or_b32 exec_lo, exec_lo, s7
	v_mov_b32_e32 v25, 0
	s_and_saveexec_b32 s7, s6
	s_cbranch_execnz .LBB78_3564
	s_branch .LBB78_3565
.LBB78_4017:
	s_or_b32 s20, s20, exec_lo
	s_trap 2
	s_cbranch_execz .LBB78_3611
	s_branch .LBB78_3612
.LBB78_4018:
	s_and_not1_saveexec_b32 s6, s6
	s_cbranch_execz .LBB78_3576
.LBB78_4019:
	v_add_f32_e64 v24, 0x42800000, |v1|
	s_and_not1_b32 s3, s3, exec_lo
	s_delay_alu instid0(VALU_DEP_1) | instskip(NEXT) | instid1(VALU_DEP_1)
	v_and_b32_e32 v24, 0xff, v24
	v_cmp_ne_u32_e32 vcc_lo, 0, v24
	s_and_b32 s7, vcc_lo, exec_lo
	s_delay_alu instid0(SALU_CYCLE_1)
	s_or_b32 s3, s3, s7
	s_or_b32 exec_lo, exec_lo, s6
	v_mov_b32_e32 v25, 0
	s_and_saveexec_b32 s6, s3
	s_cbranch_execnz .LBB78_3577
	s_branch .LBB78_3578
.LBB78_4020:
	s_and_not1_saveexec_b32 s8, s8
	s_cbranch_execz .LBB78_3682
.LBB78_4021:
	v_add_f32_e64 v6, 0x46000000, |v1|
	s_and_not1_b32 s7, s7, exec_lo
	s_delay_alu instid0(VALU_DEP_1) | instskip(NEXT) | instid1(VALU_DEP_1)
	v_and_b32_e32 v6, 0xff, v6
	v_cmp_ne_u32_e32 vcc_lo, 0, v6
	s_and_b32 s9, vcc_lo, exec_lo
	s_delay_alu instid0(SALU_CYCLE_1)
	s_or_b32 s7, s7, s9
	s_or_b32 exec_lo, exec_lo, s8
	v_mov_b32_e32 v7, 0
	s_and_saveexec_b32 s8, s7
	s_cbranch_execnz .LBB78_3683
	s_branch .LBB78_3684
.LBB78_4022:
	s_or_b32 s20, s20, exec_lo
	s_trap 2
	s_cbranch_execz .LBB78_3730
	s_branch .LBB78_3731
.LBB78_4023:
	s_and_not1_saveexec_b32 s7, s7
	s_cbranch_execz .LBB78_3695
.LBB78_4024:
	v_add_f32_e64 v6, 0x42800000, |v1|
	s_and_not1_b32 s6, s6, exec_lo
	s_delay_alu instid0(VALU_DEP_1) | instskip(NEXT) | instid1(VALU_DEP_1)
	v_and_b32_e32 v6, 0xff, v6
	v_cmp_ne_u32_e32 vcc_lo, 0, v6
	s_and_b32 s8, vcc_lo, exec_lo
	s_delay_alu instid0(SALU_CYCLE_1)
	s_or_b32 s6, s6, s8
	s_or_b32 exec_lo, exec_lo, s7
	v_mov_b32_e32 v7, 0
	s_and_saveexec_b32 s7, s6
	s_cbranch_execnz .LBB78_3696
	s_branch .LBB78_3697
.LBB78_4025:
	s_and_not1_saveexec_b32 s8, s8
	s_cbranch_execz .LBB78_3801
.LBB78_4026:
	v_add_f32_e64 v6, 0x46000000, |v1|
	s_and_not1_b32 s7, s7, exec_lo
	s_delay_alu instid0(VALU_DEP_1) | instskip(NEXT) | instid1(VALU_DEP_1)
	v_and_b32_e32 v6, 0xff, v6
	v_cmp_ne_u32_e32 vcc_lo, 0, v6
	s_and_b32 s9, vcc_lo, exec_lo
	s_delay_alu instid0(SALU_CYCLE_1)
	s_or_b32 s7, s7, s9
	s_or_b32 exec_lo, exec_lo, s8
	v_mov_b32_e32 v7, 0
	s_and_saveexec_b32 s8, s7
	s_cbranch_execnz .LBB78_3802
	s_branch .LBB78_3803
.LBB78_4027:
	s_or_b32 s20, s20, exec_lo
	s_trap 2
	s_cbranch_execz .LBB78_3849
	s_branch .LBB78_3850
.LBB78_4028:
	s_and_not1_saveexec_b32 s7, s7
	s_cbranch_execz .LBB78_3814
.LBB78_4029:
	v_add_f32_e64 v6, 0x42800000, |v1|
	s_and_not1_b32 s6, s6, exec_lo
	s_delay_alu instid0(VALU_DEP_1) | instskip(NEXT) | instid1(VALU_DEP_1)
	v_and_b32_e32 v6, 0xff, v6
	v_cmp_ne_u32_e32 vcc_lo, 0, v6
	s_and_b32 s8, vcc_lo, exec_lo
	s_delay_alu instid0(SALU_CYCLE_1)
	s_or_b32 s6, s6, s8
	s_or_b32 exec_lo, exec_lo, s7
	v_mov_b32_e32 v7, 0
	s_and_saveexec_b32 s7, s6
	s_cbranch_execnz .LBB78_3815
	s_branch .LBB78_3816
.LBB78_4030:
	s_and_not1_saveexec_b32 s5, s5
	s_cbranch_execz .LBB78_3921
.LBB78_4031:
	v_add_f32_e64 v5, 0x46000000, |v4|
	s_and_not1_b32 s4, s4, exec_lo
	s_delay_alu instid0(VALU_DEP_1) | instskip(NEXT) | instid1(VALU_DEP_1)
	v_and_b32_e32 v5, 0xff, v5
	v_cmp_ne_u32_e32 vcc_lo, 0, v5
	s_and_b32 s6, vcc_lo, exec_lo
	s_delay_alu instid0(SALU_CYCLE_1)
	s_or_b32 s4, s4, s6
	s_or_b32 exec_lo, exec_lo, s5
	v_mov_b32_e32 v6, 0
	s_and_saveexec_b32 s5, s4
	s_cbranch_execnz .LBB78_3922
	s_branch .LBB78_3923
.LBB78_4032:
	s_mov_b32 s2, 0
	s_or_b32 s20, s20, exec_lo
	s_trap 2
	s_branch .LBB78_3967
.LBB78_4033:
	s_and_not1_saveexec_b32 s4, s4
	s_cbranch_execz .LBB78_3933
.LBB78_4034:
	v_add_f32_e64 v5, 0x42800000, |v4|
	s_and_not1_b32 s3, s3, exec_lo
	s_delay_alu instid0(VALU_DEP_1) | instskip(NEXT) | instid1(VALU_DEP_1)
	v_and_b32_e32 v5, 0xff, v5
	v_cmp_ne_u32_e32 vcc_lo, 0, v5
	s_and_b32 s5, vcc_lo, exec_lo
	s_delay_alu instid0(SALU_CYCLE_1)
	s_or_b32 s3, s3, s5
	s_or_b32 exec_lo, exec_lo, s4
	v_mov_b32_e32 v6, 0
	s_and_saveexec_b32 s4, s3
	s_cbranch_execnz .LBB78_3934
	s_branch .LBB78_3935
	.section	.rodata,"a",@progbits
	.p2align	6, 0x0
	.amdhsa_kernel _ZN2at6native32elementwise_kernel_manual_unrollILi128ELi4EZNS0_15gpu_kernel_implIZZZNS0_12_GLOBAL__N_116addr_kernel_cudaERNS_14TensorIteratorERKN3c106ScalarES9_ENKUlvE_clEvENKUlvE2_clEvEUllllE0_EEvRNS_18TensorIteratorBaseERKT_EUlibE_EEviT1_
		.amdhsa_group_segment_fixed_size 0
		.amdhsa_private_segment_fixed_size 0
		.amdhsa_kernarg_size 80
		.amdhsa_user_sgpr_count 2
		.amdhsa_user_sgpr_dispatch_ptr 0
		.amdhsa_user_sgpr_queue_ptr 0
		.amdhsa_user_sgpr_kernarg_segment_ptr 1
		.amdhsa_user_sgpr_dispatch_id 0
		.amdhsa_user_sgpr_kernarg_preload_length 0
		.amdhsa_user_sgpr_kernarg_preload_offset 0
		.amdhsa_user_sgpr_private_segment_size 0
		.amdhsa_wavefront_size32 1
		.amdhsa_uses_dynamic_stack 0
		.amdhsa_enable_private_segment 0
		.amdhsa_system_sgpr_workgroup_id_x 1
		.amdhsa_system_sgpr_workgroup_id_y 0
		.amdhsa_system_sgpr_workgroup_id_z 0
		.amdhsa_system_sgpr_workgroup_info 0
		.amdhsa_system_vgpr_workitem_id 0
		.amdhsa_next_free_vgpr 32
		.amdhsa_next_free_sgpr 46
		.amdhsa_named_barrier_count 0
		.amdhsa_reserve_vcc 1
		.amdhsa_float_round_mode_32 0
		.amdhsa_float_round_mode_16_64 0
		.amdhsa_float_denorm_mode_32 3
		.amdhsa_float_denorm_mode_16_64 3
		.amdhsa_fp16_overflow 0
		.amdhsa_memory_ordered 1
		.amdhsa_forward_progress 1
		.amdhsa_inst_pref_size 255
		.amdhsa_round_robin_scheduling 0
		.amdhsa_exception_fp_ieee_invalid_op 0
		.amdhsa_exception_fp_denorm_src 0
		.amdhsa_exception_fp_ieee_div_zero 0
		.amdhsa_exception_fp_ieee_overflow 0
		.amdhsa_exception_fp_ieee_underflow 0
		.amdhsa_exception_fp_ieee_inexact 0
		.amdhsa_exception_int_div_zero 0
	.end_amdhsa_kernel
	.section	.text._ZN2at6native32elementwise_kernel_manual_unrollILi128ELi4EZNS0_15gpu_kernel_implIZZZNS0_12_GLOBAL__N_116addr_kernel_cudaERNS_14TensorIteratorERKN3c106ScalarES9_ENKUlvE_clEvENKUlvE2_clEvEUllllE0_EEvRNS_18TensorIteratorBaseERKT_EUlibE_EEviT1_,"axG",@progbits,_ZN2at6native32elementwise_kernel_manual_unrollILi128ELi4EZNS0_15gpu_kernel_implIZZZNS0_12_GLOBAL__N_116addr_kernel_cudaERNS_14TensorIteratorERKN3c106ScalarES9_ENKUlvE_clEvENKUlvE2_clEvEUllllE0_EEvRNS_18TensorIteratorBaseERKT_EUlibE_EEviT1_,comdat
.Lfunc_end78:
	.size	_ZN2at6native32elementwise_kernel_manual_unrollILi128ELi4EZNS0_15gpu_kernel_implIZZZNS0_12_GLOBAL__N_116addr_kernel_cudaERNS_14TensorIteratorERKN3c106ScalarES9_ENKUlvE_clEvENKUlvE2_clEvEUllllE0_EEvRNS_18TensorIteratorBaseERKT_EUlibE_EEviT1_, .Lfunc_end78-_ZN2at6native32elementwise_kernel_manual_unrollILi128ELi4EZNS0_15gpu_kernel_implIZZZNS0_12_GLOBAL__N_116addr_kernel_cudaERNS_14TensorIteratorERKN3c106ScalarES9_ENKUlvE_clEvENKUlvE2_clEvEUllllE0_EEvRNS_18TensorIteratorBaseERKT_EUlibE_EEviT1_
                                        ; -- End function
	.set _ZN2at6native32elementwise_kernel_manual_unrollILi128ELi4EZNS0_15gpu_kernel_implIZZZNS0_12_GLOBAL__N_116addr_kernel_cudaERNS_14TensorIteratorERKN3c106ScalarES9_ENKUlvE_clEvENKUlvE2_clEvEUllllE0_EEvRNS_18TensorIteratorBaseERKT_EUlibE_EEviT1_.num_vgpr, 32
	.set _ZN2at6native32elementwise_kernel_manual_unrollILi128ELi4EZNS0_15gpu_kernel_implIZZZNS0_12_GLOBAL__N_116addr_kernel_cudaERNS_14TensorIteratorERKN3c106ScalarES9_ENKUlvE_clEvENKUlvE2_clEvEUllllE0_EEvRNS_18TensorIteratorBaseERKT_EUlibE_EEviT1_.num_agpr, 0
	.set _ZN2at6native32elementwise_kernel_manual_unrollILi128ELi4EZNS0_15gpu_kernel_implIZZZNS0_12_GLOBAL__N_116addr_kernel_cudaERNS_14TensorIteratorERKN3c106ScalarES9_ENKUlvE_clEvENKUlvE2_clEvEUllllE0_EEvRNS_18TensorIteratorBaseERKT_EUlibE_EEviT1_.numbered_sgpr, 46
	.set _ZN2at6native32elementwise_kernel_manual_unrollILi128ELi4EZNS0_15gpu_kernel_implIZZZNS0_12_GLOBAL__N_116addr_kernel_cudaERNS_14TensorIteratorERKN3c106ScalarES9_ENKUlvE_clEvENKUlvE2_clEvEUllllE0_EEvRNS_18TensorIteratorBaseERKT_EUlibE_EEviT1_.num_named_barrier, 0
	.set _ZN2at6native32elementwise_kernel_manual_unrollILi128ELi4EZNS0_15gpu_kernel_implIZZZNS0_12_GLOBAL__N_116addr_kernel_cudaERNS_14TensorIteratorERKN3c106ScalarES9_ENKUlvE_clEvENKUlvE2_clEvEUllllE0_EEvRNS_18TensorIteratorBaseERKT_EUlibE_EEviT1_.private_seg_size, 0
	.set _ZN2at6native32elementwise_kernel_manual_unrollILi128ELi4EZNS0_15gpu_kernel_implIZZZNS0_12_GLOBAL__N_116addr_kernel_cudaERNS_14TensorIteratorERKN3c106ScalarES9_ENKUlvE_clEvENKUlvE2_clEvEUllllE0_EEvRNS_18TensorIteratorBaseERKT_EUlibE_EEviT1_.uses_vcc, 1
	.set _ZN2at6native32elementwise_kernel_manual_unrollILi128ELi4EZNS0_15gpu_kernel_implIZZZNS0_12_GLOBAL__N_116addr_kernel_cudaERNS_14TensorIteratorERKN3c106ScalarES9_ENKUlvE_clEvENKUlvE2_clEvEUllllE0_EEvRNS_18TensorIteratorBaseERKT_EUlibE_EEviT1_.uses_flat_scratch, 0
	.set _ZN2at6native32elementwise_kernel_manual_unrollILi128ELi4EZNS0_15gpu_kernel_implIZZZNS0_12_GLOBAL__N_116addr_kernel_cudaERNS_14TensorIteratorERKN3c106ScalarES9_ENKUlvE_clEvENKUlvE2_clEvEUllllE0_EEvRNS_18TensorIteratorBaseERKT_EUlibE_EEviT1_.has_dyn_sized_stack, 0
	.set _ZN2at6native32elementwise_kernel_manual_unrollILi128ELi4EZNS0_15gpu_kernel_implIZZZNS0_12_GLOBAL__N_116addr_kernel_cudaERNS_14TensorIteratorERKN3c106ScalarES9_ENKUlvE_clEvENKUlvE2_clEvEUllllE0_EEvRNS_18TensorIteratorBaseERKT_EUlibE_EEviT1_.has_recursion, 0
	.set _ZN2at6native32elementwise_kernel_manual_unrollILi128ELi4EZNS0_15gpu_kernel_implIZZZNS0_12_GLOBAL__N_116addr_kernel_cudaERNS_14TensorIteratorERKN3c106ScalarES9_ENKUlvE_clEvENKUlvE2_clEvEUllllE0_EEvRNS_18TensorIteratorBaseERKT_EUlibE_EEviT1_.has_indirect_call, 0
	.section	.AMDGPU.csdata,"",@progbits
; Kernel info:
; codeLenInByte = 95976
; TotalNumSgprs: 48
; NumVgprs: 32
; ScratchSize: 0
; MemoryBound: 1
; FloatMode: 240
; IeeeMode: 1
; LDSByteSize: 0 bytes/workgroup (compile time only)
; SGPRBlocks: 0
; VGPRBlocks: 1
; NumSGPRsForWavesPerEU: 48
; NumVGPRsForWavesPerEU: 32
; NamedBarCnt: 0
; Occupancy: 16
; WaveLimiterHint : 0
; COMPUTE_PGM_RSRC2:SCRATCH_EN: 0
; COMPUTE_PGM_RSRC2:USER_SGPR: 2
; COMPUTE_PGM_RSRC2:TRAP_HANDLER: 0
; COMPUTE_PGM_RSRC2:TGID_X_EN: 1
; COMPUTE_PGM_RSRC2:TGID_Y_EN: 0
; COMPUTE_PGM_RSRC2:TGID_Z_EN: 0
; COMPUTE_PGM_RSRC2:TIDIG_COMP_CNT: 0
	.section	.text._ZN2at6native32elementwise_kernel_manual_unrollILi128ELi4EZNS0_15gpu_kernel_implIZZZNS0_12_GLOBAL__N_116addr_kernel_cudaERNS_14TensorIteratorERKN3c106ScalarES9_ENKUlvE_clEvENKUlvE2_clEvEUllllE0_EEvRNS_18TensorIteratorBaseERKT_EUlibE0_EEviT1_,"axG",@progbits,_ZN2at6native32elementwise_kernel_manual_unrollILi128ELi4EZNS0_15gpu_kernel_implIZZZNS0_12_GLOBAL__N_116addr_kernel_cudaERNS_14TensorIteratorERKN3c106ScalarES9_ENKUlvE_clEvENKUlvE2_clEvEUllllE0_EEvRNS_18TensorIteratorBaseERKT_EUlibE0_EEviT1_,comdat
	.globl	_ZN2at6native32elementwise_kernel_manual_unrollILi128ELi4EZNS0_15gpu_kernel_implIZZZNS0_12_GLOBAL__N_116addr_kernel_cudaERNS_14TensorIteratorERKN3c106ScalarES9_ENKUlvE_clEvENKUlvE2_clEvEUllllE0_EEvRNS_18TensorIteratorBaseERKT_EUlibE0_EEviT1_ ; -- Begin function _ZN2at6native32elementwise_kernel_manual_unrollILi128ELi4EZNS0_15gpu_kernel_implIZZZNS0_12_GLOBAL__N_116addr_kernel_cudaERNS_14TensorIteratorERKN3c106ScalarES9_ENKUlvE_clEvENKUlvE2_clEvEUllllE0_EEvRNS_18TensorIteratorBaseERKT_EUlibE0_EEviT1_
	.p2align	8
	.type	_ZN2at6native32elementwise_kernel_manual_unrollILi128ELi4EZNS0_15gpu_kernel_implIZZZNS0_12_GLOBAL__N_116addr_kernel_cudaERNS_14TensorIteratorERKN3c106ScalarES9_ENKUlvE_clEvENKUlvE2_clEvEUllllE0_EEvRNS_18TensorIteratorBaseERKT_EUlibE0_EEviT1_,@function
_ZN2at6native32elementwise_kernel_manual_unrollILi128ELi4EZNS0_15gpu_kernel_implIZZZNS0_12_GLOBAL__N_116addr_kernel_cudaERNS_14TensorIteratorERKN3c106ScalarES9_ENKUlvE_clEvENKUlvE2_clEvEUllllE0_EEvRNS_18TensorIteratorBaseERKT_EUlibE0_EEviT1_: ; @_ZN2at6native32elementwise_kernel_manual_unrollILi128ELi4EZNS0_15gpu_kernel_implIZZZNS0_12_GLOBAL__N_116addr_kernel_cudaERNS_14TensorIteratorERKN3c106ScalarES9_ENKUlvE_clEvENKUlvE2_clEvEUllllE0_EEvRNS_18TensorIteratorBaseERKT_EUlibE0_EEviT1_
; %bb.0:
	s_clause 0x1
	s_load_b32 s33, s[0:1], 0x8
	s_load_b32 s47, s[0:1], 0x0
	s_bfe_u32 s2, ttmp6, 0x4000c
	s_and_b32 s3, ttmp6, 15
	s_add_co_i32 s2, s2, 1
	s_getreg_b32 s4, hwreg(HW_REG_IB_STS2, 6, 4)
	s_mul_i32 s2, ttmp9, s2
	s_mov_b32 s39, 0
	s_add_co_i32 s3, s3, s2
	s_cmp_eq_u32 s4, 0
	s_mov_b32 s35, -1
	s_cselect_b32 s2, ttmp9, s3
	s_mov_b32 s12, 0
	v_lshl_or_b32 v0, s2, 9, v0
	s_add_nc_u64 s[2:3], s[0:1], 8
	s_wait_xcnt 0x0
	s_mov_b32 s0, exec_lo
	s_delay_alu instid0(VALU_DEP_1) | instskip(SKIP_2) | instid1(SALU_CYCLE_1)
	v_or_b32_e32 v1, 0x180, v0
	s_wait_kmcnt 0x0
	s_add_co_i32 s38, s33, -1
	s_cmp_gt_u32 s38, 1
	s_cselect_b32 s40, -1, 0
	v_cmpx_le_i32_e64 s47, v1
	s_xor_b32 s41, exec_lo, s0
	s_cbranch_execz .LBB79_2061
; %bb.1:
	s_clause 0x5
	s_load_b128 s[24:27], s[2:3], 0x4
	s_load_b64 s[0:1], s[2:3], 0x14
	s_load_b32 s42, s[2:3], 0x1f8
	s_load_b128 s[20:23], s[2:3], 0x1e8
	s_load_b256 s[12:19], s[2:3], 0xc4
	s_load_b256 s[4:11], s[2:3], 0x1c8
	s_cmp_lg_u32 s33, 0
	s_mov_b32 s29, 0
	s_cselect_b32 s49, -1, 0
	s_min_u32 s46, s38, 15
	s_cmp_gt_u32 s33, 1
	s_mov_b32 s31, s29
	s_mov_b32 s52, s29
	;; [unrolled: 1-line block ×3, first 2 shown]
	s_cselect_b32 s45, -1, 0
	s_mov_b32 s50, s29
	s_mov_b32 s48, s29
	s_mov_b32 s53, exec_lo
	s_wait_kmcnt 0x0
	s_mov_b32 s28, s25
	s_mov_b32 s30, s0
	s_lshr_b32 s43, s42, 16
	s_lshr_b32 s44, s42, 8
	;; [unrolled: 1-line block ×3, first 2 shown]
	v_cmpx_gt_i32_e64 s47, v0
	s_cbranch_execz .LBB79_511
; %bb.2:
	s_and_not1_b32 vcc_lo, exec_lo, s40
	s_cbranch_vccnz .LBB79_8
; %bb.3:
	s_and_not1_b32 vcc_lo, exec_lo, s49
	s_cbranch_vccnz .LBB79_9
; %bb.4:
	v_dual_mov_b32 v8, 0 :: v_dual_mov_b32 v1, v0
	v_dual_mov_b32 v6, 0 :: v_dual_mov_b32 v2, 0
	v_mov_b32_e32 v4, 0
	s_add_co_i32 s0, s46, 1
	s_mov_b64 s[34:35], 0xffffffffffffffe0
	s_and_b32 s0, s0, 30
	s_add_nc_u64 s[34:35], s[2:3], s[34:35]
	s_mov_b64 s[36:37], s[2:3]
.LBB79_5:                               ; =>This Inner Loop Header: Depth=1
	s_clause 0x1
	s_load_b128 s[64:67], s[36:37], 0x4
	s_load_b64 s[50:51], s[36:37], 0x14
	s_load_b256 s[56:63], s[34:35], 0xe4
	s_add_co_i32 s0, s0, -2
	s_wait_xcnt 0x0
	s_add_nc_u64 s[36:37], s[36:37], 24
	s_cmp_lg_u32 s0, 0
	s_add_nc_u64 s[34:35], s[34:35], 32
	s_wait_kmcnt 0x0
	v_mul_hi_u32 v3, s65, v1
	s_delay_alu instid0(VALU_DEP_1) | instskip(NEXT) | instid1(VALU_DEP_1)
	v_add_nc_u32_e32 v3, v1, v3
	v_lshrrev_b32_e32 v3, s66, v3
	s_delay_alu instid0(VALU_DEP_1) | instskip(SKIP_1) | instid1(VALU_DEP_1)
	v_mul_hi_u32 v5, s50, v3
	v_mul_lo_u32 v7, v3, s64
	v_dual_add_nc_u32 v5, v3, v5 :: v_dual_sub_nc_u32 v7, v1, v7
	s_delay_alu instid0(VALU_DEP_1) | instskip(NEXT) | instid1(VALU_DEP_2)
	v_lshrrev_b32_e32 v1, s51, v5
	v_mad_u32 v4, v7, s57, v4
	v_mad_u32 v2, v7, s56, v2
	;; [unrolled: 1-line block ×4, first 2 shown]
	v_mul_lo_u32 v5, v1, s67
	s_delay_alu instid0(VALU_DEP_1) | instskip(NEXT) | instid1(VALU_DEP_1)
	v_sub_nc_u32_e32 v3, v3, v5
	v_mad_u32 v4, v3, s61, v4
	v_mad_u32 v2, v3, s60, v2
	;; [unrolled: 1-line block ×4, first 2 shown]
	s_cbranch_scc1 .LBB79_5
; %bb.6:
	s_bitcmp1_b32 s46, 0
	s_cselect_b32 s0, -1, 0
	s_delay_alu instid0(SALU_CYCLE_1)
	s_and_b32 vcc_lo, exec_lo, s0
	s_cbranch_vccnz .LBB79_10
; %bb.7:
	s_load_b96 s[60:62], s[36:37], 0x4
	s_load_b128 s[56:59], s[34:35], 0xe4
	s_wait_kmcnt 0x0
	v_mul_hi_u32 v3, s61, v1
	s_delay_alu instid0(VALU_DEP_1) | instskip(NEXT) | instid1(VALU_DEP_1)
	v_add_nc_u32_e32 v3, v1, v3
	v_lshrrev_b32_e32 v3, s62, v3
	s_delay_alu instid0(VALU_DEP_1) | instskip(NEXT) | instid1(VALU_DEP_1)
	v_mul_lo_u32 v3, v3, s60
	v_sub_nc_u32_e32 v1, v1, v3
	s_delay_alu instid0(VALU_DEP_1)
	v_mad_u32 v2, v1, s56, v2
	v_mad_u32 v4, v1, s57, v4
	;; [unrolled: 1-line block ×4, first 2 shown]
	s_cbranch_execz .LBB79_11
	s_branch .LBB79_13
.LBB79_8:
                                        ; implicit-def: $vgpr4
                                        ; implicit-def: $vgpr2
                                        ; implicit-def: $vgpr6
                                        ; implicit-def: $vgpr8
	s_branch .LBB79_11
.LBB79_9:
	v_dual_mov_b32 v4, 0 :: v_dual_mov_b32 v2, 0
	v_dual_mov_b32 v6, 0 :: v_dual_mov_b32 v8, 0
.LBB79_10:
	s_cbranch_execnz .LBB79_13
.LBB79_11:
	v_mov_b32_e32 v1, 0
	s_and_not1_b32 vcc_lo, exec_lo, s45
	s_delay_alu instid0(VALU_DEP_1) | instskip(NEXT) | instid1(VALU_DEP_1)
	v_mul_u64_e32 v[2:3], s[28:29], v[0:1]
	v_add_nc_u32_e32 v2, v0, v3
	s_delay_alu instid0(VALU_DEP_1) | instskip(NEXT) | instid1(VALU_DEP_1)
	v_lshrrev_b32_e32 v10, s26, v2
	v_mul_lo_u32 v2, v10, s24
	s_delay_alu instid0(VALU_DEP_1) | instskip(NEXT) | instid1(VALU_DEP_1)
	v_sub_nc_u32_e32 v3, v0, v2
	v_mul_lo_u32 v4, v3, s13
	v_mul_lo_u32 v2, v3, s12
	;; [unrolled: 1-line block ×4, first 2 shown]
	s_cbranch_vccnz .LBB79_13
; %bb.12:
	v_mov_b32_e32 v11, v1
	s_delay_alu instid0(VALU_DEP_1) | instskip(NEXT) | instid1(VALU_DEP_1)
	v_mul_u64_e32 v[12:13], s[30:31], v[10:11]
	v_add_nc_u32_e32 v1, v10, v13
	s_delay_alu instid0(VALU_DEP_1) | instskip(NEXT) | instid1(VALU_DEP_1)
	v_lshrrev_b32_e32 v1, s1, v1
	v_mul_lo_u32 v1, v1, s27
	s_delay_alu instid0(VALU_DEP_1) | instskip(NEXT) | instid1(VALU_DEP_1)
	v_sub_nc_u32_e32 v1, v10, v1
	v_mad_u32 v2, v1, s16, v2
	v_mad_u32 v4, v1, s17, v4
	v_mad_u32 v8, v1, s18, v8
	v_mad_u32 v6, v1, s19, v6
.LBB79_13:
	v_mov_b32_e32 v5, 0
	s_and_b32 s0, s44, 0xff
	s_delay_alu instid0(SALU_CYCLE_1) | instskip(NEXT) | instid1(VALU_DEP_1)
	s_cmp_lt_i32 s0, 11
	v_add_nc_u64_e32 v[10:11], s[6:7], v[4:5]
	s_cbranch_scc1 .LBB79_20
; %bb.14:
	s_and_b32 s35, 0xffff, s0
	s_delay_alu instid0(SALU_CYCLE_1)
	s_cmp_gt_i32 s35, 25
	s_cbranch_scc0 .LBB79_29
; %bb.15:
	s_cmp_gt_i32 s35, 28
	s_cbranch_scc0 .LBB79_39
; %bb.16:
	;; [unrolled: 3-line block ×4, first 2 shown]
	s_cmp_eq_u32 s35, 46
	s_mov_b32 s37, 0
	s_cbranch_scc0 .LBB79_48
; %bb.19:
	global_load_b32 v1, v[10:11], off
	s_mov_b32 s36, -1
	s_mov_b32 s34, 0
	s_wait_loadcnt 0x0
	v_lshlrev_b32_e32 v1, 16, v1
	s_delay_alu instid0(VALU_DEP_1) | instskip(NEXT) | instid1(VALU_DEP_1)
	v_trunc_f32_e32 v1, v1
	v_mul_f32_e64 v3, 0x2f800000, |v1|
	v_ashrrev_i32_e32 v4, 31, v1
	s_delay_alu instid0(VALU_DEP_2) | instskip(NEXT) | instid1(VALU_DEP_1)
	v_floor_f32_e32 v3, v3
	v_fma_f32 v5, 0xcf800000, v3, |v1|
	v_cvt_u32_f32_e32 v1, v3
	s_delay_alu instid0(VALU_DEP_2) | instskip(NEXT) | instid1(VALU_DEP_2)
	v_cvt_u32_f32_e32 v3, v5
	v_dual_mov_b32 v5, v4 :: v_dual_bitop2_b32 v13, v1, v4 bitop3:0x14
	s_delay_alu instid0(VALU_DEP_2) | instskip(NEXT) | instid1(VALU_DEP_1)
	v_xor_b32_e32 v12, v3, v4
	v_sub_nc_u64_e32 v[4:5], v[12:13], v[4:5]
	s_branch .LBB79_50
.LBB79_20:
	s_mov_b32 s34, 0
	s_mov_b32 s36, 0
                                        ; implicit-def: $vgpr4_vgpr5
	s_cbranch_execnz .LBB79_112
.LBB79_21:
	s_and_not1_b32 vcc_lo, exec_lo, s36
	s_cbranch_vccnz .LBB79_159
.LBB79_22:
	v_mov_b32_e32 v9, 0
	s_and_b32 s0, s43, 0xff
	s_delay_alu instid0(SALU_CYCLE_1) | instskip(SKIP_1) | instid1(VALU_DEP_1)
	s_cmp_lt_i32 s0, 11
	s_wait_xcnt 0x0
	v_add_nc_u64_e32 v[10:11], s[8:9], v[8:9]
	s_cbranch_scc1 .LBB79_30
; %bb.23:
	s_and_b32 s36, 0xffff, s0
	s_delay_alu instid0(SALU_CYCLE_1)
	s_cmp_gt_i32 s36, 25
	s_cbranch_scc0 .LBB79_40
; %bb.24:
	s_cmp_gt_i32 s36, 28
	s_cbranch_scc0 .LBB79_43
; %bb.25:
	;; [unrolled: 3-line block ×4, first 2 shown]
	s_cmp_eq_u32 s36, 46
	s_mov_b32 s48, 0
	s_cbranch_scc0 .LBB79_160
; %bb.28:
	global_load_b32 v1, v[10:11], off
	s_mov_b32 s37, -1
	s_mov_b32 s35, 0
	s_wait_loadcnt 0x0
	v_lshlrev_b32_e32 v1, 16, v1
	s_delay_alu instid0(VALU_DEP_1) | instskip(NEXT) | instid1(VALU_DEP_1)
	v_trunc_f32_e32 v1, v1
	v_mul_f32_e64 v3, 0x2f800000, |v1|
	v_ashrrev_i32_e32 v8, 31, v1
	s_delay_alu instid0(VALU_DEP_2) | instskip(NEXT) | instid1(VALU_DEP_2)
	v_floor_f32_e32 v3, v3
	v_mov_b32_e32 v9, v8
	s_delay_alu instid0(VALU_DEP_2) | instskip(SKIP_1) | instid1(VALU_DEP_2)
	v_fma_f32 v7, 0xcf800000, v3, |v1|
	v_cvt_u32_f32_e32 v1, v3
	v_cvt_u32_f32_e32 v3, v7
	s_delay_alu instid0(VALU_DEP_2) | instskip(NEXT) | instid1(VALU_DEP_2)
	v_xor_b32_e32 v13, v1, v8
	v_xor_b32_e32 v12, v3, v8
	s_delay_alu instid0(VALU_DEP_1)
	v_sub_nc_u64_e32 v[8:9], v[12:13], v[8:9]
	s_branch .LBB79_162
.LBB79_29:
	s_mov_b32 s34, 0
	s_mov_b32 s36, 0
                                        ; implicit-def: $vgpr4_vgpr5
	s_cbranch_execnz .LBB79_79
	s_branch .LBB79_111
.LBB79_30:
	s_mov_b32 s35, 0
	s_mov_b32 s37, 0
                                        ; implicit-def: $vgpr8_vgpr9
	s_cbranch_execnz .LBB79_224
.LBB79_31:
	s_and_not1_b32 vcc_lo, exec_lo, s37
	s_cbranch_vccnz .LBB79_272
.LBB79_32:
	v_mov_b32_e32 v7, 0
	s_and_b32 s0, 0xffff, s25
	s_delay_alu instid0(SALU_CYCLE_1) | instskip(NEXT) | instid1(VALU_DEP_1)
	s_cmp_lt_i32 s0, 11
	v_add_nc_u64_e32 v[6:7], s[10:11], v[6:7]
	s_cbranch_scc1 .LBB79_41
; %bb.33:
	s_cmp_gt_i32 s0, 25
	s_cbranch_scc0 .LBB79_44
; %bb.34:
	s_cmp_gt_i32 s0, 28
	s_cbranch_scc0 .LBB79_47
	;; [unrolled: 3-line block ×4, first 2 shown]
; %bb.37:
	s_cmp_eq_u32 s0, 46
	s_mov_b32 s48, 0
	s_cbranch_scc0 .LBB79_273
; %bb.38:
	global_load_b32 v1, v[6:7], off
	s_mov_b32 s37, -1
	s_mov_b32 s36, 0
	s_wait_loadcnt 0x0
	v_lshlrev_b32_e32 v1, 16, v1
	s_delay_alu instid0(VALU_DEP_1) | instskip(NEXT) | instid1(VALU_DEP_1)
	v_trunc_f32_e32 v1, v1
	v_mul_f32_e64 v3, 0x2f800000, |v1|
	v_ashrrev_i32_e32 v10, 31, v1
	s_delay_alu instid0(VALU_DEP_2) | instskip(NEXT) | instid1(VALU_DEP_1)
	v_floor_f32_e32 v3, v3
	v_fma_f32 v11, 0xcf800000, v3, |v1|
	v_cvt_u32_f32_e32 v1, v3
	s_delay_alu instid0(VALU_DEP_2) | instskip(NEXT) | instid1(VALU_DEP_2)
	v_cvt_u32_f32_e32 v3, v11
	v_dual_mov_b32 v11, v10 :: v_dual_bitop2_b32 v13, v1, v10 bitop3:0x14
	s_delay_alu instid0(VALU_DEP_2) | instskip(NEXT) | instid1(VALU_DEP_1)
	v_xor_b32_e32 v12, v3, v10
	v_sub_nc_u64_e32 v[10:11], v[12:13], v[10:11]
	s_branch .LBB79_275
.LBB79_39:
	s_mov_b32 s37, -1
	s_mov_b32 s34, 0
	s_mov_b32 s36, 0
                                        ; implicit-def: $vgpr4_vgpr5
	s_branch .LBB79_62
.LBB79_40:
	s_mov_b32 s48, -1
	s_mov_b32 s35, 0
	s_mov_b32 s37, 0
                                        ; implicit-def: $vgpr8_vgpr9
	s_branch .LBB79_190
.LBB79_41:
	s_mov_b32 s48, -1
	s_mov_b32 s36, 0
	s_mov_b32 s37, 0
                                        ; implicit-def: $vgpr10_vgpr11
	s_branch .LBB79_336
.LBB79_42:
	s_mov_b32 s37, -1
	s_mov_b32 s34, 0
	s_mov_b32 s36, 0
                                        ; implicit-def: $vgpr4_vgpr5
	s_branch .LBB79_57
.LBB79_43:
	s_mov_b32 s48, -1
	s_mov_b32 s35, 0
	s_mov_b32 s37, 0
                                        ; implicit-def: $vgpr8_vgpr9
	s_branch .LBB79_173
.LBB79_44:
	s_mov_b32 s48, -1
	s_mov_b32 s36, 0
	s_mov_b32 s37, 0
                                        ; implicit-def: $vgpr10_vgpr11
	s_branch .LBB79_302
.LBB79_45:
	s_mov_b32 s37, -1
	s_mov_b32 s34, 0
	s_branch .LBB79_49
.LBB79_46:
	s_mov_b32 s48, -1
	s_mov_b32 s35, 0
	s_mov_b32 s37, 0
                                        ; implicit-def: $vgpr8_vgpr9
	s_branch .LBB79_168
.LBB79_47:
	s_mov_b32 s48, -1
	s_mov_b32 s36, 0
	s_mov_b32 s37, 0
                                        ; implicit-def: $vgpr10_vgpr11
	s_branch .LBB79_285
.LBB79_48:
	s_mov_b32 s34, -1
.LBB79_49:
	s_mov_b32 s36, 0
                                        ; implicit-def: $vgpr4_vgpr5
.LBB79_50:
	s_and_b32 vcc_lo, exec_lo, s37
	s_cbranch_vccz .LBB79_56
; %bb.51:
	s_cmp_eq_u32 s35, 44
	s_cbranch_scc0 .LBB79_55
; %bb.52:
	global_load_u8 v1, v[10:11], off
	s_mov_b32 s34, 0
	s_mov_b32 s36, -1
	s_wait_loadcnt 0x0
	v_lshlrev_b32_e32 v3, 23, v1
	v_cmp_ne_u32_e32 vcc_lo, 0, v1
	s_delay_alu instid0(VALU_DEP_2) | instskip(NEXT) | instid1(VALU_DEP_1)
	v_trunc_f32_e32 v3, v3
	v_mul_f32_e64 v4, 0x2f800000, |v3|
	s_delay_alu instid0(VALU_DEP_1) | instskip(SKIP_1) | instid1(VALU_DEP_2)
	v_floor_f32_e32 v5, v4
	v_ashrrev_i32_e32 v4, 31, v3
	v_fma_f32 v7, 0xcf800000, v5, |v3|
	v_cvt_u32_f32_e32 v3, v5
	s_delay_alu instid0(VALU_DEP_3) | instskip(NEXT) | instid1(VALU_DEP_3)
	v_mov_b32_e32 v5, v4
	v_cvt_u32_f32_e32 v7, v7
	s_delay_alu instid0(VALU_DEP_3) | instskip(NEXT) | instid1(VALU_DEP_2)
	v_xor_b32_e32 v13, v3, v4
	v_xor_b32_e32 v12, v7, v4
	s_delay_alu instid0(VALU_DEP_1) | instskip(NEXT) | instid1(VALU_DEP_1)
	v_sub_nc_u64_e32 v[4:5], v[12:13], v[4:5]
	v_dual_cndmask_b32 v5, 0, v5 :: v_dual_cndmask_b32 v4, 0, v4
	s_branch .LBB79_56
.LBB79_53:
	s_mov_b32 s48, -1
	s_mov_b32 s35, 0
	s_branch .LBB79_161
.LBB79_54:
	s_mov_b32 s48, -1
	s_mov_b32 s36, 0
	s_mov_b32 s37, 0
                                        ; implicit-def: $vgpr10_vgpr11
	s_branch .LBB79_280
.LBB79_55:
	s_mov_b32 s34, -1
                                        ; implicit-def: $vgpr4_vgpr5
.LBB79_56:
	s_mov_b32 s37, 0
.LBB79_57:
	s_delay_alu instid0(SALU_CYCLE_1)
	s_and_b32 vcc_lo, exec_lo, s37
	s_cbranch_vccz .LBB79_61
; %bb.58:
	s_cmp_eq_u32 s35, 29
	s_cbranch_scc0 .LBB79_60
; %bb.59:
	global_load_b64 v[4:5], v[10:11], off
	s_mov_b32 s36, -1
	s_mov_b32 s34, 0
	s_branch .LBB79_61
.LBB79_60:
	s_mov_b32 s34, -1
                                        ; implicit-def: $vgpr4_vgpr5
.LBB79_61:
	s_mov_b32 s37, 0
.LBB79_62:
	s_delay_alu instid0(SALU_CYCLE_1)
	s_and_b32 vcc_lo, exec_lo, s37
	s_cbranch_vccz .LBB79_78
; %bb.63:
	s_cmp_lt_i32 s35, 27
	s_cbranch_scc1 .LBB79_66
; %bb.64:
	s_cmp_gt_i32 s35, 27
	s_cbranch_scc0 .LBB79_67
; %bb.65:
	s_wait_loadcnt 0x0
	global_load_b32 v4, v[10:11], off
	v_mov_b32_e32 v5, 0
	s_mov_b32 s36, 0
	s_branch .LBB79_68
.LBB79_66:
	s_mov_b32 s36, -1
                                        ; implicit-def: $vgpr4_vgpr5
	s_branch .LBB79_71
.LBB79_67:
	s_mov_b32 s36, -1
                                        ; implicit-def: $vgpr4_vgpr5
.LBB79_68:
	s_delay_alu instid0(SALU_CYCLE_1)
	s_and_not1_b32 vcc_lo, exec_lo, s36
	s_cbranch_vccnz .LBB79_70
; %bb.69:
	global_load_u16 v1, v[10:11], off
	s_mov_b32 s36, 0
	s_wait_loadcnt 0x1
	v_mov_b32_e32 v5, s36
	s_wait_loadcnt 0x0
	v_and_b32_e32 v4, 0xffff, v1
.LBB79_70:
	s_mov_b32 s36, 0
.LBB79_71:
	s_delay_alu instid0(SALU_CYCLE_1)
	s_and_not1_b32 vcc_lo, exec_lo, s36
	s_cbranch_vccnz .LBB79_77
; %bb.72:
	global_load_u8 v1, v[10:11], off
	s_mov_b32 s37, 0
	s_mov_b32 s36, exec_lo
	s_wait_loadcnt 0x0
	v_cmpx_lt_i16_e32 0x7f, v1
	s_xor_b32 s36, exec_lo, s36
	s_cbranch_execz .LBB79_88
; %bb.73:
	v_cmp_ne_u16_e32 vcc_lo, 0x80, v1
	s_and_b32 s37, vcc_lo, exec_lo
	s_and_not1_saveexec_b32 s36, s36
	s_cbranch_execnz .LBB79_89
.LBB79_74:
	s_or_b32 exec_lo, exec_lo, s36
	v_mov_b64_e32 v[4:5], 0
	s_and_saveexec_b32 s36, s37
	s_cbranch_execz .LBB79_76
.LBB79_75:
	v_and_b32_e32 v3, 0xffff, v1
	s_delay_alu instid0(VALU_DEP_1) | instskip(SKIP_1) | instid1(VALU_DEP_2)
	v_and_b32_e32 v4, 7, v3
	v_bfe_u32 v9, v3, 3, 4
	v_clz_i32_u32_e32 v5, v4
	s_delay_alu instid0(VALU_DEP_2) | instskip(NEXT) | instid1(VALU_DEP_2)
	v_cmp_eq_u32_e32 vcc_lo, 0, v9
	v_min_u32_e32 v5, 32, v5
	s_delay_alu instid0(VALU_DEP_1) | instskip(NEXT) | instid1(VALU_DEP_1)
	v_subrev_nc_u32_e32 v7, 28, v5
	v_dual_lshlrev_b32 v3, v7, v3 :: v_dual_sub_nc_u32 v5, 29, v5
	s_delay_alu instid0(VALU_DEP_1) | instskip(NEXT) | instid1(VALU_DEP_1)
	v_dual_lshlrev_b32 v1, 24, v1 :: v_dual_bitop2_b32 v3, 7, v3 bitop3:0x40
	v_dual_cndmask_b32 v3, v4, v3, vcc_lo :: v_dual_cndmask_b32 v5, v9, v5, vcc_lo
	s_delay_alu instid0(VALU_DEP_2) | instskip(NEXT) | instid1(VALU_DEP_2)
	v_and_b32_e32 v1, 0x80000000, v1
	v_lshlrev_b32_e32 v3, 20, v3
	s_delay_alu instid0(VALU_DEP_3) | instskip(NEXT) | instid1(VALU_DEP_1)
	v_lshl_add_u32 v4, v5, 23, 0x3b800000
	v_or3_b32 v1, v1, v4, v3
	s_delay_alu instid0(VALU_DEP_1) | instskip(NEXT) | instid1(VALU_DEP_1)
	v_trunc_f32_e32 v1, v1
	v_mul_f32_e64 v3, 0x2f800000, |v1|
	v_ashrrev_i32_e32 v4, 31, v1
	s_delay_alu instid0(VALU_DEP_2) | instskip(NEXT) | instid1(VALU_DEP_1)
	v_floor_f32_e32 v3, v3
	v_fma_f32 v5, 0xcf800000, v3, |v1|
	v_cvt_u32_f32_e32 v1, v3
	s_delay_alu instid0(VALU_DEP_2) | instskip(NEXT) | instid1(VALU_DEP_2)
	v_cvt_u32_f32_e32 v3, v5
	v_dual_mov_b32 v5, v4 :: v_dual_bitop2_b32 v13, v1, v4 bitop3:0x14
	s_delay_alu instid0(VALU_DEP_2) | instskip(NEXT) | instid1(VALU_DEP_1)
	v_xor_b32_e32 v12, v3, v4
	v_sub_nc_u64_e32 v[4:5], v[12:13], v[4:5]
.LBB79_76:
	s_or_b32 exec_lo, exec_lo, s36
.LBB79_77:
	s_mov_b32 s36, -1
.LBB79_78:
	s_branch .LBB79_111
.LBB79_79:
	s_cmp_gt_i32 s35, 22
	s_cbranch_scc0 .LBB79_87
; %bb.80:
	s_cmp_lt_i32 s35, 24
	s_cbranch_scc1 .LBB79_90
; %bb.81:
	s_cmp_gt_i32 s35, 24
	s_cbranch_scc0 .LBB79_91
; %bb.82:
	global_load_u8 v1, v[10:11], off
	s_mov_b32 s37, 0
	s_mov_b32 s36, exec_lo
	s_wait_loadcnt 0x0
	v_cmpx_lt_i16_e32 0x7f, v1
	s_xor_b32 s36, exec_lo, s36
	s_cbranch_execz .LBB79_103
; %bb.83:
	v_cmp_ne_u16_e32 vcc_lo, 0x80, v1
	s_and_b32 s37, vcc_lo, exec_lo
	s_and_not1_saveexec_b32 s36, s36
	s_cbranch_execnz .LBB79_104
.LBB79_84:
	s_or_b32 exec_lo, exec_lo, s36
	v_mov_b64_e32 v[4:5], 0
	s_and_saveexec_b32 s36, s37
	s_cbranch_execz .LBB79_86
.LBB79_85:
	v_and_b32_e32 v3, 0xffff, v1
	s_delay_alu instid0(VALU_DEP_1) | instskip(SKIP_1) | instid1(VALU_DEP_2)
	v_and_b32_e32 v4, 3, v3
	v_bfe_u32 v9, v3, 2, 5
	v_clz_i32_u32_e32 v5, v4
	s_delay_alu instid0(VALU_DEP_2) | instskip(NEXT) | instid1(VALU_DEP_2)
	v_cmp_eq_u32_e32 vcc_lo, 0, v9
	v_min_u32_e32 v5, 32, v5
	s_delay_alu instid0(VALU_DEP_1) | instskip(NEXT) | instid1(VALU_DEP_1)
	v_subrev_nc_u32_e32 v7, 29, v5
	v_dual_lshlrev_b32 v3, v7, v3 :: v_dual_sub_nc_u32 v5, 30, v5
	s_delay_alu instid0(VALU_DEP_1) | instskip(NEXT) | instid1(VALU_DEP_1)
	v_dual_lshlrev_b32 v1, 24, v1 :: v_dual_bitop2_b32 v3, 3, v3 bitop3:0x40
	v_dual_cndmask_b32 v3, v4, v3, vcc_lo :: v_dual_cndmask_b32 v5, v9, v5, vcc_lo
	s_delay_alu instid0(VALU_DEP_2) | instskip(NEXT) | instid1(VALU_DEP_2)
	v_and_b32_e32 v1, 0x80000000, v1
	v_lshlrev_b32_e32 v3, 21, v3
	s_delay_alu instid0(VALU_DEP_3) | instskip(NEXT) | instid1(VALU_DEP_1)
	v_lshl_add_u32 v4, v5, 23, 0x37800000
	v_or3_b32 v1, v1, v4, v3
	s_delay_alu instid0(VALU_DEP_1) | instskip(NEXT) | instid1(VALU_DEP_1)
	v_trunc_f32_e32 v1, v1
	v_mul_f32_e64 v3, 0x2f800000, |v1|
	v_ashrrev_i32_e32 v4, 31, v1
	s_delay_alu instid0(VALU_DEP_2) | instskip(NEXT) | instid1(VALU_DEP_1)
	v_floor_f32_e32 v3, v3
	v_fma_f32 v5, 0xcf800000, v3, |v1|
	v_cvt_u32_f32_e32 v1, v3
	s_delay_alu instid0(VALU_DEP_2) | instskip(NEXT) | instid1(VALU_DEP_2)
	v_cvt_u32_f32_e32 v3, v5
	v_dual_mov_b32 v5, v4 :: v_dual_bitop2_b32 v13, v1, v4 bitop3:0x14
	s_delay_alu instid0(VALU_DEP_2) | instskip(NEXT) | instid1(VALU_DEP_1)
	v_xor_b32_e32 v12, v3, v4
	v_sub_nc_u64_e32 v[4:5], v[12:13], v[4:5]
.LBB79_86:
	s_or_b32 exec_lo, exec_lo, s36
	s_mov_b32 s36, 0
	s_branch .LBB79_92
.LBB79_87:
	s_mov_b32 s37, -1
                                        ; implicit-def: $vgpr4_vgpr5
	s_branch .LBB79_98
.LBB79_88:
	s_and_not1_saveexec_b32 s36, s36
	s_cbranch_execz .LBB79_74
.LBB79_89:
	v_cmp_ne_u16_e32 vcc_lo, 0, v1
	s_and_not1_b32 s37, s37, exec_lo
	s_and_b32 s48, vcc_lo, exec_lo
	s_delay_alu instid0(SALU_CYCLE_1)
	s_or_b32 s37, s37, s48
	s_or_b32 exec_lo, exec_lo, s36
	v_mov_b64_e32 v[4:5], 0
	s_and_saveexec_b32 s36, s37
	s_cbranch_execnz .LBB79_75
	s_branch .LBB79_76
.LBB79_90:
	s_mov_b32 s36, -1
                                        ; implicit-def: $vgpr4_vgpr5
	s_branch .LBB79_95
.LBB79_91:
	s_mov_b32 s36, -1
                                        ; implicit-def: $vgpr4_vgpr5
.LBB79_92:
	s_delay_alu instid0(SALU_CYCLE_1)
	s_and_b32 vcc_lo, exec_lo, s36
	s_cbranch_vccz .LBB79_94
; %bb.93:
	global_load_u8 v1, v[10:11], off
	s_wait_loadcnt 0x0
	v_lshlrev_b32_e32 v1, 24, v1
	s_delay_alu instid0(VALU_DEP_1) | instskip(NEXT) | instid1(VALU_DEP_1)
	v_and_b32_e32 v3, 0x7f000000, v1
	v_clz_i32_u32_e32 v4, v3
	v_add_nc_u32_e32 v7, 0x1000000, v3
	v_cmp_ne_u32_e32 vcc_lo, 0, v3
	s_delay_alu instid0(VALU_DEP_3) | instskip(NEXT) | instid1(VALU_DEP_1)
	v_min_u32_e32 v4, 32, v4
	v_sub_nc_u32_e64 v4, v4, 4 clamp
	s_delay_alu instid0(VALU_DEP_1) | instskip(NEXT) | instid1(VALU_DEP_1)
	v_dual_lshlrev_b32 v5, v4, v3 :: v_dual_lshlrev_b32 v4, 23, v4
	v_lshrrev_b32_e32 v5, 4, v5
	s_delay_alu instid0(VALU_DEP_1) | instskip(NEXT) | instid1(VALU_DEP_1)
	v_dual_sub_nc_u32 v4, v5, v4 :: v_dual_ashrrev_i32 v5, 8, v7
	v_add_nc_u32_e32 v4, 0x3c000000, v4
	s_delay_alu instid0(VALU_DEP_1) | instskip(NEXT) | instid1(VALU_DEP_1)
	v_and_or_b32 v4, 0x7f800000, v5, v4
	v_cndmask_b32_e32 v3, 0, v4, vcc_lo
	s_delay_alu instid0(VALU_DEP_1) | instskip(NEXT) | instid1(VALU_DEP_1)
	v_and_or_b32 v1, 0x80000000, v1, v3
	v_trunc_f32_e32 v1, v1
	s_delay_alu instid0(VALU_DEP_1) | instskip(SKIP_1) | instid1(VALU_DEP_2)
	v_mul_f32_e64 v3, 0x2f800000, |v1|
	v_ashrrev_i32_e32 v4, 31, v1
	v_floor_f32_e32 v3, v3
	s_delay_alu instid0(VALU_DEP_1) | instskip(SKIP_1) | instid1(VALU_DEP_2)
	v_fma_f32 v5, 0xcf800000, v3, |v1|
	v_cvt_u32_f32_e32 v1, v3
	v_cvt_u32_f32_e32 v3, v5
	s_delay_alu instid0(VALU_DEP_2) | instskip(NEXT) | instid1(VALU_DEP_2)
	v_dual_mov_b32 v5, v4 :: v_dual_bitop2_b32 v13, v1, v4 bitop3:0x14
	v_xor_b32_e32 v12, v3, v4
	s_delay_alu instid0(VALU_DEP_1)
	v_sub_nc_u64_e32 v[4:5], v[12:13], v[4:5]
.LBB79_94:
	s_mov_b32 s36, 0
.LBB79_95:
	s_delay_alu instid0(SALU_CYCLE_1)
	s_and_not1_b32 vcc_lo, exec_lo, s36
	s_cbranch_vccnz .LBB79_97
; %bb.96:
	global_load_u8 v1, v[10:11], off
	s_wait_loadcnt 0x0
	v_lshlrev_b32_e32 v3, 25, v1
	v_lshlrev_b16 v1, 8, v1
	s_delay_alu instid0(VALU_DEP_1) | instskip(NEXT) | instid1(VALU_DEP_3)
	v_and_or_b32 v5, 0x7f00, v1, 0.5
	v_lshrrev_b32_e32 v4, 4, v3
	v_bfe_i32 v1, v1, 0, 16
	s_delay_alu instid0(VALU_DEP_3) | instskip(NEXT) | instid1(VALU_DEP_3)
	v_add_f32_e32 v5, -0.5, v5
	v_or_b32_e32 v4, 0x70000000, v4
	s_delay_alu instid0(VALU_DEP_1) | instskip(SKIP_1) | instid1(VALU_DEP_2)
	v_mul_f32_e32 v4, 0x7800000, v4
	v_cmp_gt_u32_e32 vcc_lo, 0x8000000, v3
	v_cndmask_b32_e32 v3, v4, v5, vcc_lo
	s_delay_alu instid0(VALU_DEP_1) | instskip(NEXT) | instid1(VALU_DEP_1)
	v_and_or_b32 v1, 0x80000000, v1, v3
	v_trunc_f32_e32 v1, v1
	s_delay_alu instid0(VALU_DEP_1) | instskip(SKIP_1) | instid1(VALU_DEP_2)
	v_mul_f32_e64 v3, 0x2f800000, |v1|
	v_ashrrev_i32_e32 v4, 31, v1
	v_floor_f32_e32 v3, v3
	s_delay_alu instid0(VALU_DEP_1) | instskip(SKIP_1) | instid1(VALU_DEP_2)
	v_fma_f32 v5, 0xcf800000, v3, |v1|
	v_cvt_u32_f32_e32 v1, v3
	v_cvt_u32_f32_e32 v3, v5
	s_delay_alu instid0(VALU_DEP_2) | instskip(NEXT) | instid1(VALU_DEP_2)
	v_dual_mov_b32 v5, v4 :: v_dual_bitop2_b32 v13, v1, v4 bitop3:0x14
	v_xor_b32_e32 v12, v3, v4
	s_delay_alu instid0(VALU_DEP_1)
	v_sub_nc_u64_e32 v[4:5], v[12:13], v[4:5]
.LBB79_97:
	s_mov_b32 s37, 0
	s_mov_b32 s36, -1
.LBB79_98:
	s_and_not1_b32 vcc_lo, exec_lo, s37
	s_cbranch_vccnz .LBB79_111
; %bb.99:
	s_cmp_gt_i32 s35, 14
	s_cbranch_scc0 .LBB79_102
; %bb.100:
	s_cmp_eq_u32 s35, 15
	s_cbranch_scc0 .LBB79_105
; %bb.101:
	global_load_u16 v1, v[10:11], off
	s_mov_b32 s36, -1
	s_mov_b32 s34, 0
	s_wait_loadcnt 0x0
	v_lshlrev_b32_e32 v1, 16, v1
	s_delay_alu instid0(VALU_DEP_1) | instskip(NEXT) | instid1(VALU_DEP_1)
	v_trunc_f32_e32 v1, v1
	v_mul_f32_e64 v3, 0x2f800000, |v1|
	v_ashrrev_i32_e32 v4, 31, v1
	s_delay_alu instid0(VALU_DEP_2) | instskip(NEXT) | instid1(VALU_DEP_1)
	v_floor_f32_e32 v3, v3
	v_fma_f32 v5, 0xcf800000, v3, |v1|
	v_cvt_u32_f32_e32 v1, v3
	s_delay_alu instid0(VALU_DEP_2) | instskip(NEXT) | instid1(VALU_DEP_2)
	v_cvt_u32_f32_e32 v3, v5
	v_dual_mov_b32 v5, v4 :: v_dual_bitop2_b32 v13, v1, v4 bitop3:0x14
	s_delay_alu instid0(VALU_DEP_2) | instskip(NEXT) | instid1(VALU_DEP_1)
	v_xor_b32_e32 v12, v3, v4
	v_sub_nc_u64_e32 v[4:5], v[12:13], v[4:5]
	s_branch .LBB79_106
.LBB79_102:
	s_mov_b32 s37, -1
                                        ; implicit-def: $vgpr4_vgpr5
	s_branch .LBB79_107
.LBB79_103:
	s_and_not1_saveexec_b32 s36, s36
	s_cbranch_execz .LBB79_84
.LBB79_104:
	v_cmp_ne_u16_e32 vcc_lo, 0, v1
	s_and_not1_b32 s37, s37, exec_lo
	s_and_b32 s48, vcc_lo, exec_lo
	s_delay_alu instid0(SALU_CYCLE_1)
	s_or_b32 s37, s37, s48
	s_or_b32 exec_lo, exec_lo, s36
	v_mov_b64_e32 v[4:5], 0
	s_and_saveexec_b32 s36, s37
	s_cbranch_execnz .LBB79_85
	s_branch .LBB79_86
.LBB79_105:
	s_mov_b32 s34, -1
                                        ; implicit-def: $vgpr4_vgpr5
.LBB79_106:
	s_mov_b32 s37, 0
.LBB79_107:
	s_delay_alu instid0(SALU_CYCLE_1)
	s_and_b32 vcc_lo, exec_lo, s37
	s_cbranch_vccz .LBB79_111
; %bb.108:
	s_cmp_eq_u32 s35, 11
	s_cbranch_scc0 .LBB79_110
; %bb.109:
	global_load_u8 v1, v[10:11], off
	s_mov_b32 s34, 0
	s_mov_b32 s36, -1
	s_wait_loadcnt 0x1
	v_mov_b32_e32 v5, s34
	s_wait_loadcnt 0x0
	v_cmp_ne_u16_e32 vcc_lo, 0, v1
	v_cndmask_b32_e64 v4, 0, 1, vcc_lo
	s_branch .LBB79_111
.LBB79_110:
	s_mov_b32 s34, -1
                                        ; implicit-def: $vgpr4_vgpr5
.LBB79_111:
	s_branch .LBB79_21
.LBB79_112:
	s_and_b32 s0, 0xffff, s0
	s_delay_alu instid0(SALU_CYCLE_1)
	s_cmp_lt_i32 s0, 5
	s_cbranch_scc1 .LBB79_117
; %bb.113:
	s_cmp_lt_i32 s0, 8
	s_cbranch_scc1 .LBB79_118
; %bb.114:
	;; [unrolled: 3-line block ×3, first 2 shown]
	s_cmp_gt_i32 s0, 9
	s_cbranch_scc0 .LBB79_120
; %bb.116:
	s_wait_loadcnt 0x0
	global_load_b64 v[4:5], v[10:11], off
	s_mov_b32 s35, 0
	s_wait_loadcnt 0x0
	v_trunc_f64_e32 v[4:5], v[4:5]
	s_delay_alu instid0(VALU_DEP_1) | instskip(NEXT) | instid1(VALU_DEP_1)
	v_ldexp_f64 v[12:13], v[4:5], 0xffffffe0
	v_floor_f64_e32 v[12:13], v[12:13]
	s_delay_alu instid0(VALU_DEP_1) | instskip(SKIP_1) | instid1(VALU_DEP_2)
	v_fmamk_f64 v[14:15], v[12:13], 0xc1f00000, v[4:5]
	v_cvt_i32_f64_e32 v5, v[12:13]
	v_cvt_u32_f64_e32 v4, v[14:15]
	s_branch .LBB79_121
.LBB79_117:
                                        ; implicit-def: $vgpr4_vgpr5
	s_branch .LBB79_139
.LBB79_118:
	s_mov_b32 s35, -1
                                        ; implicit-def: $vgpr4_vgpr5
	s_branch .LBB79_127
.LBB79_119:
	s_mov_b32 s35, -1
                                        ; implicit-def: $vgpr4_vgpr5
	s_branch .LBB79_124
.LBB79_120:
	s_mov_b32 s35, -1
                                        ; implicit-def: $vgpr4_vgpr5
.LBB79_121:
	s_delay_alu instid0(SALU_CYCLE_1)
	s_and_not1_b32 vcc_lo, exec_lo, s35
	s_cbranch_vccnz .LBB79_123
; %bb.122:
	global_load_b32 v1, v[10:11], off
	s_wait_loadcnt 0x0
	v_trunc_f32_e32 v1, v1
	s_delay_alu instid0(VALU_DEP_1) | instskip(SKIP_1) | instid1(VALU_DEP_2)
	v_mul_f32_e64 v3, 0x2f800000, |v1|
	v_ashrrev_i32_e32 v4, 31, v1
	v_floor_f32_e32 v3, v3
	s_delay_alu instid0(VALU_DEP_1) | instskip(SKIP_1) | instid1(VALU_DEP_2)
	v_fma_f32 v5, 0xcf800000, v3, |v1|
	v_cvt_u32_f32_e32 v1, v3
	v_cvt_u32_f32_e32 v3, v5
	s_delay_alu instid0(VALU_DEP_2) | instskip(NEXT) | instid1(VALU_DEP_2)
	v_dual_mov_b32 v5, v4 :: v_dual_bitop2_b32 v13, v1, v4 bitop3:0x14
	v_xor_b32_e32 v12, v3, v4
	s_delay_alu instid0(VALU_DEP_1)
	v_sub_nc_u64_e32 v[4:5], v[12:13], v[4:5]
.LBB79_123:
	s_mov_b32 s35, 0
.LBB79_124:
	s_delay_alu instid0(SALU_CYCLE_1)
	s_and_not1_b32 vcc_lo, exec_lo, s35
	s_cbranch_vccnz .LBB79_126
; %bb.125:
	global_load_b32 v1, v[10:11], off
	s_wait_loadcnt 0x0
	v_cvt_f32_f16_e32 v1, v1
	s_delay_alu instid0(VALU_DEP_1) | instskip(NEXT) | instid1(VALU_DEP_1)
	v_cvt_i32_f32_e32 v4, v1
	v_ashrrev_i32_e32 v5, 31, v4
.LBB79_126:
	s_mov_b32 s35, 0
.LBB79_127:
	s_delay_alu instid0(SALU_CYCLE_1)
	s_and_not1_b32 vcc_lo, exec_lo, s35
	s_cbranch_vccnz .LBB79_138
; %bb.128:
	s_cmp_lt_i32 s0, 6
	s_cbranch_scc1 .LBB79_131
; %bb.129:
	s_cmp_gt_i32 s0, 6
	s_cbranch_scc0 .LBB79_132
; %bb.130:
	s_wait_loadcnt 0x0
	global_load_b64 v[4:5], v[10:11], off
	s_mov_b32 s35, 0
	s_wait_loadcnt 0x0
	v_trunc_f64_e32 v[4:5], v[4:5]
	s_delay_alu instid0(VALU_DEP_1) | instskip(NEXT) | instid1(VALU_DEP_1)
	v_ldexp_f64 v[12:13], v[4:5], 0xffffffe0
	v_floor_f64_e32 v[12:13], v[12:13]
	s_delay_alu instid0(VALU_DEP_1) | instskip(SKIP_1) | instid1(VALU_DEP_2)
	v_fmamk_f64 v[14:15], v[12:13], 0xc1f00000, v[4:5]
	v_cvt_i32_f64_e32 v5, v[12:13]
	v_cvt_u32_f64_e32 v4, v[14:15]
	s_branch .LBB79_133
.LBB79_131:
	s_mov_b32 s35, -1
                                        ; implicit-def: $vgpr4_vgpr5
	s_branch .LBB79_136
.LBB79_132:
	s_mov_b32 s35, -1
                                        ; implicit-def: $vgpr4_vgpr5
.LBB79_133:
	s_delay_alu instid0(SALU_CYCLE_1)
	s_and_not1_b32 vcc_lo, exec_lo, s35
	s_cbranch_vccnz .LBB79_135
; %bb.134:
	global_load_b32 v1, v[10:11], off
	s_wait_loadcnt 0x0
	v_trunc_f32_e32 v1, v1
	s_delay_alu instid0(VALU_DEP_1) | instskip(SKIP_1) | instid1(VALU_DEP_2)
	v_mul_f32_e64 v3, 0x2f800000, |v1|
	v_ashrrev_i32_e32 v4, 31, v1
	v_floor_f32_e32 v3, v3
	s_delay_alu instid0(VALU_DEP_1) | instskip(SKIP_1) | instid1(VALU_DEP_2)
	v_fma_f32 v5, 0xcf800000, v3, |v1|
	v_cvt_u32_f32_e32 v1, v3
	v_cvt_u32_f32_e32 v3, v5
	s_delay_alu instid0(VALU_DEP_2) | instskip(NEXT) | instid1(VALU_DEP_2)
	v_dual_mov_b32 v5, v4 :: v_dual_bitop2_b32 v13, v1, v4 bitop3:0x14
	v_xor_b32_e32 v12, v3, v4
	s_delay_alu instid0(VALU_DEP_1)
	v_sub_nc_u64_e32 v[4:5], v[12:13], v[4:5]
.LBB79_135:
	s_mov_b32 s35, 0
.LBB79_136:
	s_delay_alu instid0(SALU_CYCLE_1)
	s_and_not1_b32 vcc_lo, exec_lo, s35
	s_cbranch_vccnz .LBB79_138
; %bb.137:
	global_load_u16 v1, v[10:11], off
	s_wait_loadcnt 0x0
	v_cvt_f32_f16_e32 v1, v1
	s_delay_alu instid0(VALU_DEP_1) | instskip(NEXT) | instid1(VALU_DEP_1)
	v_cvt_i32_f32_e32 v4, v1
	v_ashrrev_i32_e32 v5, 31, v4
.LBB79_138:
	s_cbranch_execnz .LBB79_158
.LBB79_139:
	s_cmp_lt_i32 s0, 2
	s_cbranch_scc1 .LBB79_143
; %bb.140:
	s_cmp_lt_i32 s0, 3
	s_cbranch_scc1 .LBB79_144
; %bb.141:
	s_cmp_gt_i32 s0, 3
	s_cbranch_scc0 .LBB79_145
; %bb.142:
	s_wait_loadcnt 0x0
	global_load_b64 v[4:5], v[10:11], off
	s_mov_b32 s35, 0
	s_branch .LBB79_146
.LBB79_143:
	s_mov_b32 s35, -1
                                        ; implicit-def: $vgpr4_vgpr5
	s_branch .LBB79_152
.LBB79_144:
	s_mov_b32 s35, -1
                                        ; implicit-def: $vgpr4_vgpr5
	s_branch .LBB79_149
.LBB79_145:
	s_mov_b32 s35, -1
                                        ; implicit-def: $vgpr4_vgpr5
.LBB79_146:
	s_delay_alu instid0(SALU_CYCLE_1)
	s_and_not1_b32 vcc_lo, exec_lo, s35
	s_cbranch_vccnz .LBB79_148
; %bb.147:
	s_wait_loadcnt 0x0
	global_load_b32 v4, v[10:11], off
	s_wait_loadcnt 0x0
	v_ashrrev_i32_e32 v5, 31, v4
.LBB79_148:
	s_mov_b32 s35, 0
.LBB79_149:
	s_delay_alu instid0(SALU_CYCLE_1)
	s_and_not1_b32 vcc_lo, exec_lo, s35
	s_cbranch_vccnz .LBB79_151
; %bb.150:
	global_load_u16 v1, v[10:11], off
	s_wait_loadcnt 0x0
	v_bfe_i32 v4, v1, 0, 16
	s_delay_alu instid0(VALU_DEP_1)
	v_ashrrev_i32_e32 v5, 31, v4
.LBB79_151:
	s_mov_b32 s35, 0
.LBB79_152:
	s_delay_alu instid0(SALU_CYCLE_1)
	s_and_not1_b32 vcc_lo, exec_lo, s35
	s_cbranch_vccnz .LBB79_158
; %bb.153:
	s_cmp_gt_i32 s0, 0
	s_mov_b32 s0, 0
	s_cbranch_scc0 .LBB79_155
; %bb.154:
	global_load_i8 v1, v[10:11], off
	s_wait_loadcnt 0x0
	v_bfe_i32 v4, v1, 0, 16
	s_delay_alu instid0(VALU_DEP_1)
	v_ashrrev_i32_e32 v5, 31, v4
	s_branch .LBB79_156
.LBB79_155:
	s_mov_b32 s0, -1
                                        ; implicit-def: $vgpr4_vgpr5
.LBB79_156:
	s_delay_alu instid0(SALU_CYCLE_1)
	s_and_not1_b32 vcc_lo, exec_lo, s0
	s_cbranch_vccnz .LBB79_158
; %bb.157:
	global_load_u8 v1, v[10:11], off
	s_mov_b32 s0, 0
	s_wait_loadcnt 0x1
	v_mov_b32_e32 v5, s0
	s_wait_loadcnt 0x0
	v_and_b32_e32 v4, 0xffff, v1
.LBB79_158:
	s_branch .LBB79_22
.LBB79_159:
	s_mov_b32 s0, 0
	s_mov_b32 s36, 0
	;; [unrolled: 1-line block ×3, first 2 shown]
	s_branch .LBB79_509
.LBB79_160:
	s_mov_b32 s35, -1
.LBB79_161:
	s_mov_b32 s37, 0
                                        ; implicit-def: $vgpr8_vgpr9
.LBB79_162:
	s_and_b32 vcc_lo, exec_lo, s48
	s_cbranch_vccz .LBB79_167
; %bb.163:
	s_cmp_eq_u32 s36, 44
	s_cbranch_scc0 .LBB79_166
; %bb.164:
	global_load_u8 v1, v[10:11], off
	s_mov_b32 s35, 0
	s_mov_b32 s37, -1
	s_wait_loadcnt 0x0
	v_lshlrev_b32_e32 v3, 23, v1
	v_cmp_ne_u32_e32 vcc_lo, 0, v1
	s_delay_alu instid0(VALU_DEP_2) | instskip(NEXT) | instid1(VALU_DEP_1)
	v_trunc_f32_e32 v3, v3
	v_mul_f32_e64 v7, 0x2f800000, |v3|
	v_ashrrev_i32_e32 v8, 31, v3
	s_delay_alu instid0(VALU_DEP_2) | instskip(NEXT) | instid1(VALU_DEP_1)
	v_floor_f32_e32 v7, v7
	v_fma_f32 v9, 0xcf800000, v7, |v3|
	v_cvt_u32_f32_e32 v3, v7
	s_delay_alu instid0(VALU_DEP_2) | instskip(NEXT) | instid1(VALU_DEP_2)
	v_cvt_u32_f32_e32 v7, v9
	v_dual_mov_b32 v9, v8 :: v_dual_bitop2_b32 v13, v3, v8 bitop3:0x14
	s_delay_alu instid0(VALU_DEP_2) | instskip(NEXT) | instid1(VALU_DEP_1)
	v_xor_b32_e32 v12, v7, v8
	v_sub_nc_u64_e32 v[8:9], v[12:13], v[8:9]
	s_delay_alu instid0(VALU_DEP_1)
	v_dual_cndmask_b32 v9, 0, v9 :: v_dual_cndmask_b32 v8, 0, v8
	s_branch .LBB79_167
.LBB79_165:
	s_mov_b32 s48, -1
	s_mov_b32 s36, 0
	s_branch .LBB79_274
.LBB79_166:
	s_mov_b32 s35, -1
                                        ; implicit-def: $vgpr8_vgpr9
.LBB79_167:
	s_mov_b32 s48, 0
.LBB79_168:
	s_delay_alu instid0(SALU_CYCLE_1)
	s_and_b32 vcc_lo, exec_lo, s48
	s_cbranch_vccz .LBB79_172
; %bb.169:
	s_cmp_eq_u32 s36, 29
	s_cbranch_scc0 .LBB79_171
; %bb.170:
	global_load_b64 v[8:9], v[10:11], off
	s_mov_b32 s37, -1
	s_mov_b32 s35, 0
	s_branch .LBB79_172
.LBB79_171:
	s_mov_b32 s35, -1
                                        ; implicit-def: $vgpr8_vgpr9
.LBB79_172:
	s_mov_b32 s48, 0
.LBB79_173:
	s_delay_alu instid0(SALU_CYCLE_1)
	s_and_b32 vcc_lo, exec_lo, s48
	s_cbranch_vccz .LBB79_189
; %bb.174:
	s_cmp_lt_i32 s36, 27
	s_cbranch_scc1 .LBB79_177
; %bb.175:
	s_cmp_gt_i32 s36, 27
	s_cbranch_scc0 .LBB79_178
; %bb.176:
	s_wait_loadcnt 0x0
	global_load_b32 v8, v[10:11], off
	v_mov_b32_e32 v9, 0
	s_mov_b32 s37, 0
	s_branch .LBB79_179
.LBB79_177:
	s_mov_b32 s37, -1
                                        ; implicit-def: $vgpr8_vgpr9
	s_branch .LBB79_182
.LBB79_178:
	s_mov_b32 s37, -1
                                        ; implicit-def: $vgpr8_vgpr9
.LBB79_179:
	s_delay_alu instid0(SALU_CYCLE_1)
	s_and_not1_b32 vcc_lo, exec_lo, s37
	s_cbranch_vccnz .LBB79_181
; %bb.180:
	global_load_u16 v1, v[10:11], off
	s_mov_b32 s37, 0
	s_wait_loadcnt 0x1
	v_mov_b32_e32 v9, s37
	s_wait_loadcnt 0x0
	v_and_b32_e32 v8, 0xffff, v1
.LBB79_181:
	s_mov_b32 s37, 0
.LBB79_182:
	s_delay_alu instid0(SALU_CYCLE_1)
	s_and_not1_b32 vcc_lo, exec_lo, s37
	s_cbranch_vccnz .LBB79_188
; %bb.183:
	global_load_u8 v1, v[10:11], off
	s_mov_b32 s48, 0
	s_mov_b32 s37, exec_lo
	s_wait_loadcnt 0x0
	v_cmpx_lt_i16_e32 0x7f, v1
	s_xor_b32 s37, exec_lo, s37
	s_cbranch_execz .LBB79_200
; %bb.184:
	v_cmp_ne_u16_e32 vcc_lo, 0x80, v1
	s_and_b32 s48, vcc_lo, exec_lo
	s_and_not1_saveexec_b32 s37, s37
	s_cbranch_execnz .LBB79_201
.LBB79_185:
	s_or_b32 exec_lo, exec_lo, s37
	v_mov_b64_e32 v[8:9], 0
	s_and_saveexec_b32 s37, s48
	s_cbranch_execz .LBB79_187
.LBB79_186:
	v_and_b32_e32 v3, 0xffff, v1
	s_delay_alu instid0(VALU_DEP_1) | instskip(SKIP_1) | instid1(VALU_DEP_2)
	v_and_b32_e32 v7, 7, v3
	v_bfe_u32 v12, v3, 3, 4
	v_clz_i32_u32_e32 v8, v7
	s_delay_alu instid0(VALU_DEP_2) | instskip(NEXT) | instid1(VALU_DEP_2)
	v_cmp_eq_u32_e32 vcc_lo, 0, v12
	v_min_u32_e32 v8, 32, v8
	s_delay_alu instid0(VALU_DEP_1) | instskip(NEXT) | instid1(VALU_DEP_1)
	v_subrev_nc_u32_e32 v9, 28, v8
	v_dual_lshlrev_b32 v3, v9, v3 :: v_dual_sub_nc_u32 v8, 29, v8
	s_delay_alu instid0(VALU_DEP_1) | instskip(NEXT) | instid1(VALU_DEP_1)
	v_dual_lshlrev_b32 v1, 24, v1 :: v_dual_bitop2_b32 v3, 7, v3 bitop3:0x40
	v_dual_cndmask_b32 v8, v12, v8 :: v_dual_cndmask_b32 v3, v7, v3
	s_delay_alu instid0(VALU_DEP_2) | instskip(NEXT) | instid1(VALU_DEP_2)
	v_and_b32_e32 v1, 0x80000000, v1
	v_lshl_add_u32 v7, v8, 23, 0x3b800000
	s_delay_alu instid0(VALU_DEP_3) | instskip(NEXT) | instid1(VALU_DEP_1)
	v_lshlrev_b32_e32 v3, 20, v3
	v_or3_b32 v1, v1, v7, v3
	s_delay_alu instid0(VALU_DEP_1) | instskip(NEXT) | instid1(VALU_DEP_1)
	v_trunc_f32_e32 v1, v1
	v_mul_f32_e64 v3, 0x2f800000, |v1|
	v_ashrrev_i32_e32 v8, 31, v1
	s_delay_alu instid0(VALU_DEP_2) | instskip(NEXT) | instid1(VALU_DEP_2)
	v_floor_f32_e32 v3, v3
	v_mov_b32_e32 v9, v8
	s_delay_alu instid0(VALU_DEP_2) | instskip(SKIP_1) | instid1(VALU_DEP_2)
	v_fma_f32 v7, 0xcf800000, v3, |v1|
	v_cvt_u32_f32_e32 v1, v3
	v_cvt_u32_f32_e32 v3, v7
	s_delay_alu instid0(VALU_DEP_2) | instskip(NEXT) | instid1(VALU_DEP_2)
	v_xor_b32_e32 v13, v1, v8
	v_xor_b32_e32 v12, v3, v8
	s_delay_alu instid0(VALU_DEP_1)
	v_sub_nc_u64_e32 v[8:9], v[12:13], v[8:9]
.LBB79_187:
	s_or_b32 exec_lo, exec_lo, s37
.LBB79_188:
	s_mov_b32 s37, -1
.LBB79_189:
	s_mov_b32 s48, 0
.LBB79_190:
	s_delay_alu instid0(SALU_CYCLE_1)
	s_and_b32 vcc_lo, exec_lo, s48
	s_cbranch_vccz .LBB79_223
; %bb.191:
	s_cmp_gt_i32 s36, 22
	s_cbranch_scc0 .LBB79_199
; %bb.192:
	s_cmp_lt_i32 s36, 24
	s_cbranch_scc1 .LBB79_202
; %bb.193:
	s_cmp_gt_i32 s36, 24
	s_cbranch_scc0 .LBB79_203
; %bb.194:
	global_load_u8 v1, v[10:11], off
	s_mov_b32 s48, 0
	s_mov_b32 s37, exec_lo
	s_wait_loadcnt 0x0
	v_cmpx_lt_i16_e32 0x7f, v1
	s_xor_b32 s37, exec_lo, s37
	s_cbranch_execz .LBB79_215
; %bb.195:
	v_cmp_ne_u16_e32 vcc_lo, 0x80, v1
	s_and_b32 s48, vcc_lo, exec_lo
	s_and_not1_saveexec_b32 s37, s37
	s_cbranch_execnz .LBB79_216
.LBB79_196:
	s_or_b32 exec_lo, exec_lo, s37
	v_mov_b64_e32 v[8:9], 0
	s_and_saveexec_b32 s37, s48
	s_cbranch_execz .LBB79_198
.LBB79_197:
	v_and_b32_e32 v3, 0xffff, v1
	s_delay_alu instid0(VALU_DEP_1) | instskip(SKIP_1) | instid1(VALU_DEP_2)
	v_and_b32_e32 v7, 3, v3
	v_bfe_u32 v12, v3, 2, 5
	v_clz_i32_u32_e32 v8, v7
	s_delay_alu instid0(VALU_DEP_2) | instskip(NEXT) | instid1(VALU_DEP_2)
	v_cmp_eq_u32_e32 vcc_lo, 0, v12
	v_min_u32_e32 v8, 32, v8
	s_delay_alu instid0(VALU_DEP_1) | instskip(NEXT) | instid1(VALU_DEP_1)
	v_subrev_nc_u32_e32 v9, 29, v8
	v_dual_lshlrev_b32 v3, v9, v3 :: v_dual_sub_nc_u32 v8, 30, v8
	s_delay_alu instid0(VALU_DEP_1) | instskip(NEXT) | instid1(VALU_DEP_1)
	v_dual_lshlrev_b32 v1, 24, v1 :: v_dual_bitop2_b32 v3, 3, v3 bitop3:0x40
	v_dual_cndmask_b32 v8, v12, v8 :: v_dual_cndmask_b32 v3, v7, v3
	s_delay_alu instid0(VALU_DEP_2) | instskip(NEXT) | instid1(VALU_DEP_2)
	v_and_b32_e32 v1, 0x80000000, v1
	v_lshl_add_u32 v7, v8, 23, 0x37800000
	s_delay_alu instid0(VALU_DEP_3) | instskip(NEXT) | instid1(VALU_DEP_1)
	v_lshlrev_b32_e32 v3, 21, v3
	v_or3_b32 v1, v1, v7, v3
	s_delay_alu instid0(VALU_DEP_1) | instskip(NEXT) | instid1(VALU_DEP_1)
	v_trunc_f32_e32 v1, v1
	v_mul_f32_e64 v3, 0x2f800000, |v1|
	v_ashrrev_i32_e32 v8, 31, v1
	s_delay_alu instid0(VALU_DEP_2) | instskip(NEXT) | instid1(VALU_DEP_2)
	v_floor_f32_e32 v3, v3
	v_mov_b32_e32 v9, v8
	s_delay_alu instid0(VALU_DEP_2) | instskip(SKIP_1) | instid1(VALU_DEP_2)
	v_fma_f32 v7, 0xcf800000, v3, |v1|
	v_cvt_u32_f32_e32 v1, v3
	v_cvt_u32_f32_e32 v3, v7
	s_delay_alu instid0(VALU_DEP_2) | instskip(NEXT) | instid1(VALU_DEP_2)
	v_xor_b32_e32 v13, v1, v8
	v_xor_b32_e32 v12, v3, v8
	s_delay_alu instid0(VALU_DEP_1)
	v_sub_nc_u64_e32 v[8:9], v[12:13], v[8:9]
.LBB79_198:
	s_or_b32 exec_lo, exec_lo, s37
	s_mov_b32 s37, 0
	s_branch .LBB79_204
.LBB79_199:
	s_mov_b32 s48, -1
                                        ; implicit-def: $vgpr8_vgpr9
	s_branch .LBB79_210
.LBB79_200:
	s_and_not1_saveexec_b32 s37, s37
	s_cbranch_execz .LBB79_185
.LBB79_201:
	v_cmp_ne_u16_e32 vcc_lo, 0, v1
	s_and_not1_b32 s48, s48, exec_lo
	s_and_b32 s50, vcc_lo, exec_lo
	s_delay_alu instid0(SALU_CYCLE_1)
	s_or_b32 s48, s48, s50
	s_or_b32 exec_lo, exec_lo, s37
	v_mov_b64_e32 v[8:9], 0
	s_and_saveexec_b32 s37, s48
	s_cbranch_execnz .LBB79_186
	s_branch .LBB79_187
.LBB79_202:
	s_mov_b32 s37, -1
                                        ; implicit-def: $vgpr8_vgpr9
	s_branch .LBB79_207
.LBB79_203:
	s_mov_b32 s37, -1
                                        ; implicit-def: $vgpr8_vgpr9
.LBB79_204:
	s_delay_alu instid0(SALU_CYCLE_1)
	s_and_b32 vcc_lo, exec_lo, s37
	s_cbranch_vccz .LBB79_206
; %bb.205:
	global_load_u8 v1, v[10:11], off
	s_wait_loadcnt 0x0
	v_lshlrev_b32_e32 v1, 24, v1
	s_delay_alu instid0(VALU_DEP_1) | instskip(NEXT) | instid1(VALU_DEP_1)
	v_and_b32_e32 v3, 0x7f000000, v1
	v_clz_i32_u32_e32 v7, v3
	v_add_nc_u32_e32 v9, 0x1000000, v3
	v_cmp_ne_u32_e32 vcc_lo, 0, v3
	s_delay_alu instid0(VALU_DEP_3) | instskip(NEXT) | instid1(VALU_DEP_1)
	v_min_u32_e32 v7, 32, v7
	v_sub_nc_u32_e64 v7, v7, 4 clamp
	s_delay_alu instid0(VALU_DEP_1) | instskip(NEXT) | instid1(VALU_DEP_1)
	v_lshlrev_b32_e32 v8, v7, v3
	v_dual_lshlrev_b32 v7, 23, v7 :: v_dual_lshrrev_b32 v8, 4, v8
	s_delay_alu instid0(VALU_DEP_1) | instskip(NEXT) | instid1(VALU_DEP_1)
	v_dual_sub_nc_u32 v7, v8, v7 :: v_dual_ashrrev_i32 v8, 8, v9
	v_add_nc_u32_e32 v7, 0x3c000000, v7
	s_delay_alu instid0(VALU_DEP_1) | instskip(NEXT) | instid1(VALU_DEP_1)
	v_and_or_b32 v7, 0x7f800000, v8, v7
	v_cndmask_b32_e32 v3, 0, v7, vcc_lo
	s_delay_alu instid0(VALU_DEP_1) | instskip(NEXT) | instid1(VALU_DEP_1)
	v_and_or_b32 v1, 0x80000000, v1, v3
	v_trunc_f32_e32 v1, v1
	s_delay_alu instid0(VALU_DEP_1) | instskip(SKIP_1) | instid1(VALU_DEP_2)
	v_mul_f32_e64 v3, 0x2f800000, |v1|
	v_ashrrev_i32_e32 v8, 31, v1
	v_floor_f32_e32 v3, v3
	s_delay_alu instid0(VALU_DEP_1) | instskip(SKIP_1) | instid1(VALU_DEP_4)
	v_fma_f32 v7, 0xcf800000, v3, |v1|
	v_cvt_u32_f32_e32 v1, v3
	v_mov_b32_e32 v9, v8
	s_delay_alu instid0(VALU_DEP_3) | instskip(NEXT) | instid1(VALU_DEP_3)
	v_cvt_u32_f32_e32 v3, v7
	v_xor_b32_e32 v13, v1, v8
	s_delay_alu instid0(VALU_DEP_2) | instskip(NEXT) | instid1(VALU_DEP_1)
	v_xor_b32_e32 v12, v3, v8
	v_sub_nc_u64_e32 v[8:9], v[12:13], v[8:9]
.LBB79_206:
	s_mov_b32 s37, 0
.LBB79_207:
	s_delay_alu instid0(SALU_CYCLE_1)
	s_and_not1_b32 vcc_lo, exec_lo, s37
	s_cbranch_vccnz .LBB79_209
; %bb.208:
	global_load_u8 v1, v[10:11], off
	s_wait_loadcnt 0x0
	v_lshlrev_b32_e32 v3, 25, v1
	v_lshlrev_b16 v1, 8, v1
	s_delay_alu instid0(VALU_DEP_1) | instskip(SKIP_1) | instid1(VALU_DEP_2)
	v_and_or_b32 v8, 0x7f00, v1, 0.5
	v_bfe_i32 v1, v1, 0, 16
	v_dual_add_f32 v8, -0.5, v8 :: v_dual_lshrrev_b32 v7, 4, v3
	v_cmp_gt_u32_e32 vcc_lo, 0x8000000, v3
	s_delay_alu instid0(VALU_DEP_2) | instskip(NEXT) | instid1(VALU_DEP_1)
	v_or_b32_e32 v7, 0x70000000, v7
	v_mul_f32_e32 v7, 0x7800000, v7
	s_delay_alu instid0(VALU_DEP_1) | instskip(NEXT) | instid1(VALU_DEP_1)
	v_cndmask_b32_e32 v3, v7, v8, vcc_lo
	v_and_or_b32 v1, 0x80000000, v1, v3
	s_delay_alu instid0(VALU_DEP_1) | instskip(NEXT) | instid1(VALU_DEP_1)
	v_trunc_f32_e32 v1, v1
	v_mul_f32_e64 v3, 0x2f800000, |v1|
	v_ashrrev_i32_e32 v8, 31, v1
	s_delay_alu instid0(VALU_DEP_2) | instskip(NEXT) | instid1(VALU_DEP_2)
	v_floor_f32_e32 v3, v3
	v_mov_b32_e32 v9, v8
	s_delay_alu instid0(VALU_DEP_2) | instskip(SKIP_1) | instid1(VALU_DEP_2)
	v_fma_f32 v7, 0xcf800000, v3, |v1|
	v_cvt_u32_f32_e32 v1, v3
	v_cvt_u32_f32_e32 v3, v7
	s_delay_alu instid0(VALU_DEP_2) | instskip(NEXT) | instid1(VALU_DEP_2)
	v_xor_b32_e32 v13, v1, v8
	v_xor_b32_e32 v12, v3, v8
	s_delay_alu instid0(VALU_DEP_1)
	v_sub_nc_u64_e32 v[8:9], v[12:13], v[8:9]
.LBB79_209:
	s_mov_b32 s48, 0
	s_mov_b32 s37, -1
.LBB79_210:
	s_and_not1_b32 vcc_lo, exec_lo, s48
	s_cbranch_vccnz .LBB79_223
; %bb.211:
	s_cmp_gt_i32 s36, 14
	s_cbranch_scc0 .LBB79_214
; %bb.212:
	s_cmp_eq_u32 s36, 15
	s_cbranch_scc0 .LBB79_217
; %bb.213:
	global_load_u16 v1, v[10:11], off
	s_mov_b32 s37, -1
	s_mov_b32 s35, 0
	s_wait_loadcnt 0x0
	v_lshlrev_b32_e32 v1, 16, v1
	s_delay_alu instid0(VALU_DEP_1) | instskip(NEXT) | instid1(VALU_DEP_1)
	v_trunc_f32_e32 v1, v1
	v_mul_f32_e64 v3, 0x2f800000, |v1|
	v_ashrrev_i32_e32 v8, 31, v1
	s_delay_alu instid0(VALU_DEP_2) | instskip(NEXT) | instid1(VALU_DEP_2)
	v_floor_f32_e32 v3, v3
	v_mov_b32_e32 v9, v8
	s_delay_alu instid0(VALU_DEP_2) | instskip(SKIP_1) | instid1(VALU_DEP_2)
	v_fma_f32 v7, 0xcf800000, v3, |v1|
	v_cvt_u32_f32_e32 v1, v3
	v_cvt_u32_f32_e32 v3, v7
	s_delay_alu instid0(VALU_DEP_2) | instskip(NEXT) | instid1(VALU_DEP_2)
	v_xor_b32_e32 v13, v1, v8
	v_xor_b32_e32 v12, v3, v8
	s_delay_alu instid0(VALU_DEP_1)
	v_sub_nc_u64_e32 v[8:9], v[12:13], v[8:9]
	s_branch .LBB79_218
.LBB79_214:
	s_mov_b32 s48, -1
                                        ; implicit-def: $vgpr8_vgpr9
	s_branch .LBB79_219
.LBB79_215:
	s_and_not1_saveexec_b32 s37, s37
	s_cbranch_execz .LBB79_196
.LBB79_216:
	v_cmp_ne_u16_e32 vcc_lo, 0, v1
	s_and_not1_b32 s48, s48, exec_lo
	s_and_b32 s50, vcc_lo, exec_lo
	s_delay_alu instid0(SALU_CYCLE_1)
	s_or_b32 s48, s48, s50
	s_or_b32 exec_lo, exec_lo, s37
	v_mov_b64_e32 v[8:9], 0
	s_and_saveexec_b32 s37, s48
	s_cbranch_execnz .LBB79_197
	s_branch .LBB79_198
.LBB79_217:
	s_mov_b32 s35, -1
                                        ; implicit-def: $vgpr8_vgpr9
.LBB79_218:
	s_mov_b32 s48, 0
.LBB79_219:
	s_delay_alu instid0(SALU_CYCLE_1)
	s_and_b32 vcc_lo, exec_lo, s48
	s_cbranch_vccz .LBB79_223
; %bb.220:
	s_cmp_eq_u32 s36, 11
	s_cbranch_scc0 .LBB79_222
; %bb.221:
	global_load_u8 v1, v[10:11], off
	s_mov_b32 s35, 0
	s_mov_b32 s37, -1
	s_wait_loadcnt 0x1
	v_mov_b32_e32 v9, s35
	s_wait_loadcnt 0x0
	v_cmp_ne_u16_e32 vcc_lo, 0, v1
	v_cndmask_b32_e64 v8, 0, 1, vcc_lo
	s_branch .LBB79_223
.LBB79_222:
	s_mov_b32 s35, -1
                                        ; implicit-def: $vgpr8_vgpr9
.LBB79_223:
	s_branch .LBB79_31
.LBB79_224:
	s_and_b32 s0, 0xffff, s0
	s_delay_alu instid0(SALU_CYCLE_1)
	s_cmp_lt_i32 s0, 5
	s_cbranch_scc1 .LBB79_229
; %bb.225:
	s_cmp_lt_i32 s0, 8
	s_cbranch_scc1 .LBB79_230
; %bb.226:
	;; [unrolled: 3-line block ×3, first 2 shown]
	s_cmp_gt_i32 s0, 9
	s_cbranch_scc0 .LBB79_232
; %bb.228:
	s_wait_loadcnt 0x0
	global_load_b64 v[8:9], v[10:11], off
	s_mov_b32 s36, 0
	s_wait_loadcnt 0x0
	v_trunc_f64_e32 v[8:9], v[8:9]
	s_delay_alu instid0(VALU_DEP_1) | instskip(NEXT) | instid1(VALU_DEP_1)
	v_ldexp_f64 v[12:13], v[8:9], 0xffffffe0
	v_floor_f64_e32 v[12:13], v[12:13]
	s_delay_alu instid0(VALU_DEP_1) | instskip(SKIP_1) | instid1(VALU_DEP_2)
	v_fmamk_f64 v[14:15], v[12:13], 0xc1f00000, v[8:9]
	v_cvt_i32_f64_e32 v9, v[12:13]
	v_cvt_u32_f64_e32 v8, v[14:15]
	s_branch .LBB79_233
.LBB79_229:
	s_mov_b32 s36, -1
                                        ; implicit-def: $vgpr8_vgpr9
	s_branch .LBB79_251
.LBB79_230:
	s_mov_b32 s36, -1
                                        ; implicit-def: $vgpr8_vgpr9
	s_branch .LBB79_239
.LBB79_231:
	s_mov_b32 s36, -1
                                        ; implicit-def: $vgpr8_vgpr9
	s_branch .LBB79_236
.LBB79_232:
	s_mov_b32 s36, -1
                                        ; implicit-def: $vgpr8_vgpr9
.LBB79_233:
	s_delay_alu instid0(SALU_CYCLE_1)
	s_and_not1_b32 vcc_lo, exec_lo, s36
	s_cbranch_vccnz .LBB79_235
; %bb.234:
	global_load_b32 v1, v[10:11], off
	s_wait_loadcnt 0x0
	v_trunc_f32_e32 v1, v1
	s_delay_alu instid0(VALU_DEP_1) | instskip(SKIP_1) | instid1(VALU_DEP_2)
	v_mul_f32_e64 v3, 0x2f800000, |v1|
	v_ashrrev_i32_e32 v8, 31, v1
	v_floor_f32_e32 v3, v3
	s_delay_alu instid0(VALU_DEP_1) | instskip(SKIP_1) | instid1(VALU_DEP_4)
	v_fma_f32 v7, 0xcf800000, v3, |v1|
	v_cvt_u32_f32_e32 v1, v3
	v_mov_b32_e32 v9, v8
	s_delay_alu instid0(VALU_DEP_3) | instskip(NEXT) | instid1(VALU_DEP_3)
	v_cvt_u32_f32_e32 v3, v7
	v_xor_b32_e32 v13, v1, v8
	s_delay_alu instid0(VALU_DEP_2) | instskip(NEXT) | instid1(VALU_DEP_1)
	v_xor_b32_e32 v12, v3, v8
	v_sub_nc_u64_e32 v[8:9], v[12:13], v[8:9]
.LBB79_235:
	s_mov_b32 s36, 0
.LBB79_236:
	s_delay_alu instid0(SALU_CYCLE_1)
	s_and_not1_b32 vcc_lo, exec_lo, s36
	s_cbranch_vccnz .LBB79_238
; %bb.237:
	global_load_b32 v1, v[10:11], off
	s_wait_loadcnt 0x0
	v_cvt_f32_f16_e32 v1, v1
	s_delay_alu instid0(VALU_DEP_1) | instskip(NEXT) | instid1(VALU_DEP_1)
	v_cvt_i32_f32_e32 v8, v1
	v_ashrrev_i32_e32 v9, 31, v8
.LBB79_238:
	s_mov_b32 s36, 0
.LBB79_239:
	s_delay_alu instid0(SALU_CYCLE_1)
	s_and_not1_b32 vcc_lo, exec_lo, s36
	s_cbranch_vccnz .LBB79_250
; %bb.240:
	s_cmp_lt_i32 s0, 6
	s_cbranch_scc1 .LBB79_243
; %bb.241:
	s_cmp_gt_i32 s0, 6
	s_cbranch_scc0 .LBB79_244
; %bb.242:
	s_wait_loadcnt 0x0
	global_load_b64 v[8:9], v[10:11], off
	s_mov_b32 s36, 0
	s_wait_loadcnt 0x0
	v_trunc_f64_e32 v[8:9], v[8:9]
	s_delay_alu instid0(VALU_DEP_1) | instskip(NEXT) | instid1(VALU_DEP_1)
	v_ldexp_f64 v[12:13], v[8:9], 0xffffffe0
	v_floor_f64_e32 v[12:13], v[12:13]
	s_delay_alu instid0(VALU_DEP_1) | instskip(SKIP_1) | instid1(VALU_DEP_2)
	v_fmamk_f64 v[14:15], v[12:13], 0xc1f00000, v[8:9]
	v_cvt_i32_f64_e32 v9, v[12:13]
	v_cvt_u32_f64_e32 v8, v[14:15]
	s_branch .LBB79_245
.LBB79_243:
	s_mov_b32 s36, -1
                                        ; implicit-def: $vgpr8_vgpr9
	s_branch .LBB79_248
.LBB79_244:
	s_mov_b32 s36, -1
                                        ; implicit-def: $vgpr8_vgpr9
.LBB79_245:
	s_delay_alu instid0(SALU_CYCLE_1)
	s_and_not1_b32 vcc_lo, exec_lo, s36
	s_cbranch_vccnz .LBB79_247
; %bb.246:
	global_load_b32 v1, v[10:11], off
	s_wait_loadcnt 0x0
	v_trunc_f32_e32 v1, v1
	s_delay_alu instid0(VALU_DEP_1) | instskip(SKIP_1) | instid1(VALU_DEP_2)
	v_mul_f32_e64 v3, 0x2f800000, |v1|
	v_ashrrev_i32_e32 v8, 31, v1
	v_floor_f32_e32 v3, v3
	s_delay_alu instid0(VALU_DEP_1) | instskip(SKIP_1) | instid1(VALU_DEP_4)
	v_fma_f32 v7, 0xcf800000, v3, |v1|
	v_cvt_u32_f32_e32 v1, v3
	v_mov_b32_e32 v9, v8
	s_delay_alu instid0(VALU_DEP_3) | instskip(NEXT) | instid1(VALU_DEP_3)
	v_cvt_u32_f32_e32 v3, v7
	v_xor_b32_e32 v13, v1, v8
	s_delay_alu instid0(VALU_DEP_2) | instskip(NEXT) | instid1(VALU_DEP_1)
	v_xor_b32_e32 v12, v3, v8
	v_sub_nc_u64_e32 v[8:9], v[12:13], v[8:9]
.LBB79_247:
	s_mov_b32 s36, 0
.LBB79_248:
	s_delay_alu instid0(SALU_CYCLE_1)
	s_and_not1_b32 vcc_lo, exec_lo, s36
	s_cbranch_vccnz .LBB79_250
; %bb.249:
	global_load_u16 v1, v[10:11], off
	s_wait_loadcnt 0x0
	v_cvt_f32_f16_e32 v1, v1
	s_delay_alu instid0(VALU_DEP_1) | instskip(NEXT) | instid1(VALU_DEP_1)
	v_cvt_i32_f32_e32 v8, v1
	v_ashrrev_i32_e32 v9, 31, v8
.LBB79_250:
	s_mov_b32 s36, 0
.LBB79_251:
	s_delay_alu instid0(SALU_CYCLE_1)
	s_and_not1_b32 vcc_lo, exec_lo, s36
	s_cbranch_vccnz .LBB79_271
; %bb.252:
	s_cmp_lt_i32 s0, 2
	s_cbranch_scc1 .LBB79_256
; %bb.253:
	s_cmp_lt_i32 s0, 3
	s_cbranch_scc1 .LBB79_257
; %bb.254:
	s_cmp_gt_i32 s0, 3
	s_cbranch_scc0 .LBB79_258
; %bb.255:
	s_wait_loadcnt 0x0
	global_load_b64 v[8:9], v[10:11], off
	s_mov_b32 s36, 0
	s_branch .LBB79_259
.LBB79_256:
	s_mov_b32 s36, -1
                                        ; implicit-def: $vgpr8_vgpr9
	s_branch .LBB79_265
.LBB79_257:
	s_mov_b32 s36, -1
                                        ; implicit-def: $vgpr8_vgpr9
	s_branch .LBB79_262
.LBB79_258:
	s_mov_b32 s36, -1
                                        ; implicit-def: $vgpr8_vgpr9
.LBB79_259:
	s_delay_alu instid0(SALU_CYCLE_1)
	s_and_not1_b32 vcc_lo, exec_lo, s36
	s_cbranch_vccnz .LBB79_261
; %bb.260:
	s_wait_loadcnt 0x0
	global_load_b32 v8, v[10:11], off
	s_wait_loadcnt 0x0
	v_ashrrev_i32_e32 v9, 31, v8
.LBB79_261:
	s_mov_b32 s36, 0
.LBB79_262:
	s_delay_alu instid0(SALU_CYCLE_1)
	s_and_not1_b32 vcc_lo, exec_lo, s36
	s_cbranch_vccnz .LBB79_264
; %bb.263:
	global_load_u16 v1, v[10:11], off
	s_wait_loadcnt 0x0
	v_bfe_i32 v8, v1, 0, 16
	s_delay_alu instid0(VALU_DEP_1)
	v_ashrrev_i32_e32 v9, 31, v8
.LBB79_264:
	s_mov_b32 s36, 0
.LBB79_265:
	s_delay_alu instid0(SALU_CYCLE_1)
	s_and_not1_b32 vcc_lo, exec_lo, s36
	s_cbranch_vccnz .LBB79_271
; %bb.266:
	s_cmp_gt_i32 s0, 0
	s_mov_b32 s0, 0
	s_cbranch_scc0 .LBB79_268
; %bb.267:
	global_load_i8 v1, v[10:11], off
	s_wait_loadcnt 0x0
	v_bfe_i32 v8, v1, 0, 16
	s_delay_alu instid0(VALU_DEP_1)
	v_ashrrev_i32_e32 v9, 31, v8
	s_branch .LBB79_269
.LBB79_268:
	s_mov_b32 s0, -1
                                        ; implicit-def: $vgpr8_vgpr9
.LBB79_269:
	s_delay_alu instid0(SALU_CYCLE_1)
	s_and_not1_b32 vcc_lo, exec_lo, s0
	s_cbranch_vccnz .LBB79_271
; %bb.270:
	global_load_u8 v1, v[10:11], off
	s_mov_b32 s0, 0
	s_wait_loadcnt 0x1
	v_mov_b32_e32 v9, s0
	s_wait_loadcnt 0x0
	v_and_b32_e32 v8, 0xffff, v1
.LBB79_271:
	s_branch .LBB79_32
.LBB79_272:
	s_mov_b32 s0, 0
	s_mov_b32 s36, 0
	s_branch .LBB79_509
.LBB79_273:
	s_mov_b32 s36, -1
.LBB79_274:
	s_mov_b32 s37, 0
                                        ; implicit-def: $vgpr10_vgpr11
.LBB79_275:
	s_and_b32 vcc_lo, exec_lo, s48
	s_cbranch_vccz .LBB79_279
; %bb.276:
	s_cmp_eq_u32 s0, 44
	s_cbranch_scc0 .LBB79_278
; %bb.277:
	global_load_u8 v1, v[6:7], off
	s_mov_b32 s36, 0
	s_mov_b32 s37, -1
	s_wait_loadcnt 0x0
	v_lshlrev_b32_e32 v3, 23, v1
	v_cmp_ne_u32_e32 vcc_lo, 0, v1
	s_delay_alu instid0(VALU_DEP_2) | instskip(NEXT) | instid1(VALU_DEP_1)
	v_trunc_f32_e32 v3, v3
	v_mul_f32_e64 v10, 0x2f800000, |v3|
	s_delay_alu instid0(VALU_DEP_1) | instskip(SKIP_1) | instid1(VALU_DEP_2)
	v_floor_f32_e32 v11, v10
	v_ashrrev_i32_e32 v10, 31, v3
	v_fma_f32 v12, 0xcf800000, v11, |v3|
	v_cvt_u32_f32_e32 v3, v11
	s_delay_alu instid0(VALU_DEP_3) | instskip(NEXT) | instid1(VALU_DEP_3)
	v_mov_b32_e32 v11, v10
	v_cvt_u32_f32_e32 v12, v12
	s_delay_alu instid0(VALU_DEP_3) | instskip(NEXT) | instid1(VALU_DEP_2)
	v_xor_b32_e32 v13, v3, v10
	v_xor_b32_e32 v12, v12, v10
	s_delay_alu instid0(VALU_DEP_1) | instskip(NEXT) | instid1(VALU_DEP_1)
	v_sub_nc_u64_e32 v[10:11], v[12:13], v[10:11]
	v_dual_cndmask_b32 v11, 0, v11 :: v_dual_cndmask_b32 v10, 0, v10
	s_branch .LBB79_279
.LBB79_278:
	s_mov_b32 s36, -1
                                        ; implicit-def: $vgpr10_vgpr11
.LBB79_279:
	s_mov_b32 s48, 0
.LBB79_280:
	s_delay_alu instid0(SALU_CYCLE_1)
	s_and_b32 vcc_lo, exec_lo, s48
	s_cbranch_vccz .LBB79_284
; %bb.281:
	s_cmp_eq_u32 s0, 29
	s_cbranch_scc0 .LBB79_283
; %bb.282:
	global_load_b64 v[10:11], v[6:7], off
	s_mov_b32 s37, -1
	s_mov_b32 s36, 0
	s_branch .LBB79_284
.LBB79_283:
	s_mov_b32 s36, -1
                                        ; implicit-def: $vgpr10_vgpr11
.LBB79_284:
	s_mov_b32 s48, 0
.LBB79_285:
	s_delay_alu instid0(SALU_CYCLE_1)
	s_and_b32 vcc_lo, exec_lo, s48
	s_cbranch_vccz .LBB79_301
; %bb.286:
	s_cmp_lt_i32 s0, 27
	s_cbranch_scc1 .LBB79_289
; %bb.287:
	s_cmp_gt_i32 s0, 27
	s_cbranch_scc0 .LBB79_290
; %bb.288:
	s_wait_loadcnt 0x0
	global_load_b32 v10, v[6:7], off
	v_mov_b32_e32 v11, 0
	s_mov_b32 s37, 0
	s_branch .LBB79_291
.LBB79_289:
	s_mov_b32 s37, -1
                                        ; implicit-def: $vgpr10_vgpr11
	s_branch .LBB79_294
.LBB79_290:
	s_mov_b32 s37, -1
                                        ; implicit-def: $vgpr10_vgpr11
.LBB79_291:
	s_delay_alu instid0(SALU_CYCLE_1)
	s_and_not1_b32 vcc_lo, exec_lo, s37
	s_cbranch_vccnz .LBB79_293
; %bb.292:
	global_load_u16 v1, v[6:7], off
	s_mov_b32 s37, 0
	s_wait_loadcnt 0x1
	s_wait_xcnt 0x1
	v_mov_b32_e32 v11, s37
	s_wait_loadcnt 0x0
	v_and_b32_e32 v10, 0xffff, v1
.LBB79_293:
	s_mov_b32 s37, 0
.LBB79_294:
	s_delay_alu instid0(SALU_CYCLE_1)
	s_and_not1_b32 vcc_lo, exec_lo, s37
	s_cbranch_vccnz .LBB79_300
; %bb.295:
	global_load_u8 v1, v[6:7], off
	s_mov_b32 s48, 0
	s_mov_b32 s37, exec_lo
	s_wait_loadcnt 0x0
	v_cmpx_lt_i16_e32 0x7f, v1
	s_xor_b32 s37, exec_lo, s37
	s_cbranch_execz .LBB79_312
; %bb.296:
	v_cmp_ne_u16_e32 vcc_lo, 0x80, v1
	s_and_b32 s48, vcc_lo, exec_lo
	s_and_not1_saveexec_b32 s37, s37
	s_cbranch_execnz .LBB79_313
.LBB79_297:
	s_or_b32 exec_lo, exec_lo, s37
	v_mov_b64_e32 v[10:11], 0
	s_and_saveexec_b32 s37, s48
	s_cbranch_execz .LBB79_299
.LBB79_298:
	v_and_b32_e32 v3, 0xffff, v1
	s_delay_alu instid0(VALU_DEP_1) | instskip(SKIP_1) | instid1(VALU_DEP_2)
	v_dual_lshlrev_b32 v1, 24, v1 :: v_dual_bitop2_b32 v10, 7, v3 bitop3:0x40
	v_bfe_u32 v13, v3, 3, 4
	v_and_b32_e32 v1, 0x80000000, v1
	s_delay_alu instid0(VALU_DEP_3) | instskip(NEXT) | instid1(VALU_DEP_3)
	v_clz_i32_u32_e32 v11, v10
	v_cmp_eq_u32_e32 vcc_lo, 0, v13
	s_delay_alu instid0(VALU_DEP_2) | instskip(NEXT) | instid1(VALU_DEP_1)
	v_min_u32_e32 v11, 32, v11
	v_subrev_nc_u32_e32 v12, 28, v11
	v_sub_nc_u32_e32 v11, 29, v11
	s_delay_alu instid0(VALU_DEP_2) | instskip(NEXT) | instid1(VALU_DEP_2)
	v_lshlrev_b32_e32 v3, v12, v3
	v_cndmask_b32_e32 v11, v13, v11, vcc_lo
	s_delay_alu instid0(VALU_DEP_2) | instskip(NEXT) | instid1(VALU_DEP_1)
	v_and_b32_e32 v3, 7, v3
	v_cndmask_b32_e32 v3, v10, v3, vcc_lo
	s_delay_alu instid0(VALU_DEP_3) | instskip(NEXT) | instid1(VALU_DEP_2)
	v_lshl_add_u32 v10, v11, 23, 0x3b800000
	v_lshlrev_b32_e32 v3, 20, v3
	s_delay_alu instid0(VALU_DEP_1) | instskip(NEXT) | instid1(VALU_DEP_1)
	v_or3_b32 v1, v1, v10, v3
	v_trunc_f32_e32 v1, v1
	s_delay_alu instid0(VALU_DEP_1) | instskip(SKIP_1) | instid1(VALU_DEP_2)
	v_mul_f32_e64 v3, 0x2f800000, |v1|
	v_ashrrev_i32_e32 v10, 31, v1
	v_floor_f32_e32 v3, v3
	s_delay_alu instid0(VALU_DEP_1) | instskip(SKIP_1) | instid1(VALU_DEP_2)
	v_fma_f32 v11, 0xcf800000, v3, |v1|
	v_cvt_u32_f32_e32 v1, v3
	v_cvt_u32_f32_e32 v3, v11
	s_delay_alu instid0(VALU_DEP_2) | instskip(NEXT) | instid1(VALU_DEP_2)
	v_dual_mov_b32 v11, v10 :: v_dual_bitop2_b32 v13, v1, v10 bitop3:0x14
	v_xor_b32_e32 v12, v3, v10
	s_delay_alu instid0(VALU_DEP_1)
	v_sub_nc_u64_e32 v[10:11], v[12:13], v[10:11]
.LBB79_299:
	s_or_b32 exec_lo, exec_lo, s37
.LBB79_300:
	s_mov_b32 s37, -1
.LBB79_301:
	s_mov_b32 s48, 0
.LBB79_302:
	s_delay_alu instid0(SALU_CYCLE_1)
	s_and_b32 vcc_lo, exec_lo, s48
	s_cbranch_vccz .LBB79_335
; %bb.303:
	s_cmp_gt_i32 s0, 22
	s_cbranch_scc0 .LBB79_311
; %bb.304:
	s_cmp_lt_i32 s0, 24
	s_cbranch_scc1 .LBB79_314
; %bb.305:
	s_cmp_gt_i32 s0, 24
	s_cbranch_scc0 .LBB79_315
; %bb.306:
	global_load_u8 v1, v[6:7], off
	s_mov_b32 s48, 0
	s_mov_b32 s37, exec_lo
	s_wait_loadcnt 0x0
	v_cmpx_lt_i16_e32 0x7f, v1
	s_xor_b32 s37, exec_lo, s37
	s_cbranch_execz .LBB79_327
; %bb.307:
	v_cmp_ne_u16_e32 vcc_lo, 0x80, v1
	s_and_b32 s48, vcc_lo, exec_lo
	s_and_not1_saveexec_b32 s37, s37
	s_cbranch_execnz .LBB79_328
.LBB79_308:
	s_or_b32 exec_lo, exec_lo, s37
	v_mov_b64_e32 v[10:11], 0
	s_and_saveexec_b32 s37, s48
	s_cbranch_execz .LBB79_310
.LBB79_309:
	v_and_b32_e32 v3, 0xffff, v1
	s_delay_alu instid0(VALU_DEP_1) | instskip(SKIP_1) | instid1(VALU_DEP_2)
	v_dual_lshlrev_b32 v1, 24, v1 :: v_dual_bitop2_b32 v10, 3, v3 bitop3:0x40
	v_bfe_u32 v13, v3, 2, 5
	v_and_b32_e32 v1, 0x80000000, v1
	s_delay_alu instid0(VALU_DEP_3) | instskip(NEXT) | instid1(VALU_DEP_3)
	v_clz_i32_u32_e32 v11, v10
	v_cmp_eq_u32_e32 vcc_lo, 0, v13
	s_delay_alu instid0(VALU_DEP_2) | instskip(NEXT) | instid1(VALU_DEP_1)
	v_min_u32_e32 v11, 32, v11
	v_subrev_nc_u32_e32 v12, 29, v11
	v_sub_nc_u32_e32 v11, 30, v11
	s_delay_alu instid0(VALU_DEP_2) | instskip(NEXT) | instid1(VALU_DEP_2)
	v_lshlrev_b32_e32 v3, v12, v3
	v_cndmask_b32_e32 v11, v13, v11, vcc_lo
	s_delay_alu instid0(VALU_DEP_2) | instskip(NEXT) | instid1(VALU_DEP_1)
	v_and_b32_e32 v3, 3, v3
	v_cndmask_b32_e32 v3, v10, v3, vcc_lo
	s_delay_alu instid0(VALU_DEP_3) | instskip(NEXT) | instid1(VALU_DEP_2)
	v_lshl_add_u32 v10, v11, 23, 0x37800000
	v_lshlrev_b32_e32 v3, 21, v3
	s_delay_alu instid0(VALU_DEP_1) | instskip(NEXT) | instid1(VALU_DEP_1)
	v_or3_b32 v1, v1, v10, v3
	v_trunc_f32_e32 v1, v1
	s_delay_alu instid0(VALU_DEP_1) | instskip(SKIP_1) | instid1(VALU_DEP_2)
	v_mul_f32_e64 v3, 0x2f800000, |v1|
	v_ashrrev_i32_e32 v10, 31, v1
	v_floor_f32_e32 v3, v3
	s_delay_alu instid0(VALU_DEP_1) | instskip(SKIP_1) | instid1(VALU_DEP_2)
	v_fma_f32 v11, 0xcf800000, v3, |v1|
	v_cvt_u32_f32_e32 v1, v3
	v_cvt_u32_f32_e32 v3, v11
	s_delay_alu instid0(VALU_DEP_2) | instskip(NEXT) | instid1(VALU_DEP_2)
	v_dual_mov_b32 v11, v10 :: v_dual_bitop2_b32 v13, v1, v10 bitop3:0x14
	v_xor_b32_e32 v12, v3, v10
	s_delay_alu instid0(VALU_DEP_1)
	v_sub_nc_u64_e32 v[10:11], v[12:13], v[10:11]
.LBB79_310:
	s_or_b32 exec_lo, exec_lo, s37
	s_mov_b32 s37, 0
	s_branch .LBB79_316
.LBB79_311:
	s_mov_b32 s48, -1
                                        ; implicit-def: $vgpr10_vgpr11
	s_branch .LBB79_322
.LBB79_312:
	s_and_not1_saveexec_b32 s37, s37
	s_cbranch_execz .LBB79_297
.LBB79_313:
	v_cmp_ne_u16_e32 vcc_lo, 0, v1
	s_and_not1_b32 s48, s48, exec_lo
	s_and_b32 s50, vcc_lo, exec_lo
	s_delay_alu instid0(SALU_CYCLE_1)
	s_or_b32 s48, s48, s50
	s_or_b32 exec_lo, exec_lo, s37
	v_mov_b64_e32 v[10:11], 0
	s_and_saveexec_b32 s37, s48
	s_cbranch_execnz .LBB79_298
	s_branch .LBB79_299
.LBB79_314:
	s_mov_b32 s37, -1
                                        ; implicit-def: $vgpr10_vgpr11
	s_branch .LBB79_319
.LBB79_315:
	s_mov_b32 s37, -1
                                        ; implicit-def: $vgpr10_vgpr11
.LBB79_316:
	s_delay_alu instid0(SALU_CYCLE_1)
	s_and_b32 vcc_lo, exec_lo, s37
	s_cbranch_vccz .LBB79_318
; %bb.317:
	global_load_u8 v1, v[6:7], off
	s_wait_loadcnt 0x0
	v_lshlrev_b32_e32 v1, 24, v1
	s_delay_alu instid0(VALU_DEP_1) | instskip(NEXT) | instid1(VALU_DEP_1)
	v_and_b32_e32 v3, 0x7f000000, v1
	v_clz_i32_u32_e32 v10, v3
	v_cmp_ne_u32_e32 vcc_lo, 0, v3
	v_add_nc_u32_e32 v12, 0x1000000, v3
	s_delay_alu instid0(VALU_DEP_3) | instskip(NEXT) | instid1(VALU_DEP_1)
	v_min_u32_e32 v10, 32, v10
	v_sub_nc_u32_e64 v10, v10, 4 clamp
	s_delay_alu instid0(VALU_DEP_1) | instskip(NEXT) | instid1(VALU_DEP_1)
	v_dual_lshlrev_b32 v11, v10, v3 :: v_dual_lshlrev_b32 v10, 23, v10
	v_lshrrev_b32_e32 v11, 4, v11
	s_delay_alu instid0(VALU_DEP_1) | instskip(NEXT) | instid1(VALU_DEP_1)
	v_dual_sub_nc_u32 v10, v11, v10 :: v_dual_ashrrev_i32 v11, 8, v12
	v_add_nc_u32_e32 v10, 0x3c000000, v10
	s_delay_alu instid0(VALU_DEP_1) | instskip(NEXT) | instid1(VALU_DEP_1)
	v_and_or_b32 v10, 0x7f800000, v11, v10
	v_cndmask_b32_e32 v3, 0, v10, vcc_lo
	s_delay_alu instid0(VALU_DEP_1) | instskip(NEXT) | instid1(VALU_DEP_1)
	v_and_or_b32 v1, 0x80000000, v1, v3
	v_trunc_f32_e32 v1, v1
	s_delay_alu instid0(VALU_DEP_1) | instskip(SKIP_1) | instid1(VALU_DEP_2)
	v_mul_f32_e64 v3, 0x2f800000, |v1|
	v_ashrrev_i32_e32 v10, 31, v1
	v_floor_f32_e32 v3, v3
	s_delay_alu instid0(VALU_DEP_1) | instskip(SKIP_1) | instid1(VALU_DEP_2)
	v_fma_f32 v11, 0xcf800000, v3, |v1|
	v_cvt_u32_f32_e32 v1, v3
	v_cvt_u32_f32_e32 v3, v11
	s_delay_alu instid0(VALU_DEP_2) | instskip(NEXT) | instid1(VALU_DEP_2)
	v_dual_mov_b32 v11, v10 :: v_dual_bitop2_b32 v13, v1, v10 bitop3:0x14
	v_xor_b32_e32 v12, v3, v10
	s_delay_alu instid0(VALU_DEP_1)
	v_sub_nc_u64_e32 v[10:11], v[12:13], v[10:11]
.LBB79_318:
	s_mov_b32 s37, 0
.LBB79_319:
	s_delay_alu instid0(SALU_CYCLE_1)
	s_and_not1_b32 vcc_lo, exec_lo, s37
	s_cbranch_vccnz .LBB79_321
; %bb.320:
	global_load_u8 v1, v[6:7], off
	s_wait_loadcnt 0x0
	v_lshlrev_b32_e32 v3, 25, v1
	v_lshlrev_b16 v1, 8, v1
	s_delay_alu instid0(VALU_DEP_1) | instskip(SKIP_1) | instid1(VALU_DEP_2)
	v_and_or_b32 v11, 0x7f00, v1, 0.5
	v_bfe_i32 v1, v1, 0, 16
	v_add_f32_e32 v11, -0.5, v11
	v_lshrrev_b32_e32 v10, 4, v3
	v_cmp_gt_u32_e32 vcc_lo, 0x8000000, v3
	s_delay_alu instid0(VALU_DEP_2) | instskip(NEXT) | instid1(VALU_DEP_1)
	v_or_b32_e32 v10, 0x70000000, v10
	v_mul_f32_e32 v10, 0x7800000, v10
	s_delay_alu instid0(VALU_DEP_1) | instskip(NEXT) | instid1(VALU_DEP_1)
	v_cndmask_b32_e32 v3, v10, v11, vcc_lo
	v_and_or_b32 v1, 0x80000000, v1, v3
	s_delay_alu instid0(VALU_DEP_1) | instskip(NEXT) | instid1(VALU_DEP_1)
	v_trunc_f32_e32 v1, v1
	v_mul_f32_e64 v3, 0x2f800000, |v1|
	v_ashrrev_i32_e32 v10, 31, v1
	s_delay_alu instid0(VALU_DEP_2) | instskip(NEXT) | instid1(VALU_DEP_1)
	v_floor_f32_e32 v3, v3
	v_fma_f32 v11, 0xcf800000, v3, |v1|
	v_cvt_u32_f32_e32 v1, v3
	s_delay_alu instid0(VALU_DEP_2) | instskip(NEXT) | instid1(VALU_DEP_2)
	v_cvt_u32_f32_e32 v3, v11
	v_dual_mov_b32 v11, v10 :: v_dual_bitop2_b32 v13, v1, v10 bitop3:0x14
	s_delay_alu instid0(VALU_DEP_2) | instskip(NEXT) | instid1(VALU_DEP_1)
	v_xor_b32_e32 v12, v3, v10
	v_sub_nc_u64_e32 v[10:11], v[12:13], v[10:11]
.LBB79_321:
	s_mov_b32 s48, 0
	s_mov_b32 s37, -1
.LBB79_322:
	s_and_not1_b32 vcc_lo, exec_lo, s48
	s_cbranch_vccnz .LBB79_335
; %bb.323:
	s_cmp_gt_i32 s0, 14
	s_cbranch_scc0 .LBB79_326
; %bb.324:
	s_cmp_eq_u32 s0, 15
	s_cbranch_scc0 .LBB79_329
; %bb.325:
	global_load_u16 v1, v[6:7], off
	s_mov_b32 s37, -1
	s_mov_b32 s36, 0
	s_wait_loadcnt 0x0
	v_lshlrev_b32_e32 v1, 16, v1
	s_delay_alu instid0(VALU_DEP_1) | instskip(NEXT) | instid1(VALU_DEP_1)
	v_trunc_f32_e32 v1, v1
	v_mul_f32_e64 v3, 0x2f800000, |v1|
	v_ashrrev_i32_e32 v10, 31, v1
	s_delay_alu instid0(VALU_DEP_2) | instskip(NEXT) | instid1(VALU_DEP_1)
	v_floor_f32_e32 v3, v3
	v_fma_f32 v11, 0xcf800000, v3, |v1|
	v_cvt_u32_f32_e32 v1, v3
	s_delay_alu instid0(VALU_DEP_2) | instskip(NEXT) | instid1(VALU_DEP_2)
	v_cvt_u32_f32_e32 v3, v11
	v_dual_mov_b32 v11, v10 :: v_dual_bitop2_b32 v13, v1, v10 bitop3:0x14
	s_delay_alu instid0(VALU_DEP_2) | instskip(NEXT) | instid1(VALU_DEP_1)
	v_xor_b32_e32 v12, v3, v10
	v_sub_nc_u64_e32 v[10:11], v[12:13], v[10:11]
	s_branch .LBB79_330
.LBB79_326:
	s_mov_b32 s48, -1
                                        ; implicit-def: $vgpr10_vgpr11
	s_branch .LBB79_331
.LBB79_327:
	s_and_not1_saveexec_b32 s37, s37
	s_cbranch_execz .LBB79_308
.LBB79_328:
	v_cmp_ne_u16_e32 vcc_lo, 0, v1
	s_and_not1_b32 s48, s48, exec_lo
	s_and_b32 s50, vcc_lo, exec_lo
	s_delay_alu instid0(SALU_CYCLE_1)
	s_or_b32 s48, s48, s50
	s_or_b32 exec_lo, exec_lo, s37
	v_mov_b64_e32 v[10:11], 0
	s_and_saveexec_b32 s37, s48
	s_cbranch_execnz .LBB79_309
	s_branch .LBB79_310
.LBB79_329:
	s_mov_b32 s36, -1
                                        ; implicit-def: $vgpr10_vgpr11
.LBB79_330:
	s_mov_b32 s48, 0
.LBB79_331:
	s_delay_alu instid0(SALU_CYCLE_1)
	s_and_b32 vcc_lo, exec_lo, s48
	s_cbranch_vccz .LBB79_335
; %bb.332:
	s_cmp_eq_u32 s0, 11
	s_cbranch_scc0 .LBB79_334
; %bb.333:
	global_load_u8 v1, v[6:7], off
	s_mov_b32 s36, 0
	s_mov_b32 s37, -1
	s_wait_loadcnt 0x1
	s_wait_xcnt 0x1
	v_mov_b32_e32 v11, s36
	s_wait_loadcnt 0x0
	v_cmp_ne_u16_e32 vcc_lo, 0, v1
	v_cndmask_b32_e64 v10, 0, 1, vcc_lo
	s_branch .LBB79_335
.LBB79_334:
	s_mov_b32 s36, -1
                                        ; implicit-def: $vgpr10_vgpr11
.LBB79_335:
	s_mov_b32 s48, 0
.LBB79_336:
	s_delay_alu instid0(SALU_CYCLE_1)
	s_and_b32 vcc_lo, exec_lo, s48
	s_cbranch_vccz .LBB79_385
; %bb.337:
	s_cmp_lt_i32 s0, 5
	s_cbranch_scc1 .LBB79_342
; %bb.338:
	s_cmp_lt_i32 s0, 8
	s_cbranch_scc1 .LBB79_343
	;; [unrolled: 3-line block ×3, first 2 shown]
; %bb.340:
	s_cmp_gt_i32 s0, 9
	s_cbranch_scc0 .LBB79_345
; %bb.341:
	s_wait_loadcnt 0x0
	global_load_b64 v[10:11], v[6:7], off
	s_mov_b32 s37, 0
	s_wait_loadcnt 0x0
	v_trunc_f64_e32 v[10:11], v[10:11]
	s_delay_alu instid0(VALU_DEP_1) | instskip(NEXT) | instid1(VALU_DEP_1)
	v_ldexp_f64 v[12:13], v[10:11], 0xffffffe0
	v_floor_f64_e32 v[12:13], v[12:13]
	s_delay_alu instid0(VALU_DEP_1) | instskip(SKIP_1) | instid1(VALU_DEP_2)
	v_fmamk_f64 v[14:15], v[12:13], 0xc1f00000, v[10:11]
	v_cvt_i32_f64_e32 v11, v[12:13]
	v_cvt_u32_f64_e32 v10, v[14:15]
	s_branch .LBB79_346
.LBB79_342:
	s_mov_b32 s37, -1
                                        ; implicit-def: $vgpr10_vgpr11
	s_branch .LBB79_364
.LBB79_343:
	s_mov_b32 s37, -1
                                        ; implicit-def: $vgpr10_vgpr11
	s_branch .LBB79_352
.LBB79_344:
	s_mov_b32 s37, -1
                                        ; implicit-def: $vgpr10_vgpr11
	s_branch .LBB79_349
.LBB79_345:
	s_mov_b32 s37, -1
                                        ; implicit-def: $vgpr10_vgpr11
.LBB79_346:
	s_delay_alu instid0(SALU_CYCLE_1)
	s_and_not1_b32 vcc_lo, exec_lo, s37
	s_cbranch_vccnz .LBB79_348
; %bb.347:
	global_load_b32 v1, v[6:7], off
	s_wait_loadcnt 0x0
	v_trunc_f32_e32 v1, v1
	s_delay_alu instid0(VALU_DEP_1) | instskip(SKIP_1) | instid1(VALU_DEP_2)
	v_mul_f32_e64 v3, 0x2f800000, |v1|
	v_ashrrev_i32_e32 v10, 31, v1
	v_floor_f32_e32 v3, v3
	s_delay_alu instid0(VALU_DEP_1) | instskip(SKIP_1) | instid1(VALU_DEP_2)
	v_fma_f32 v11, 0xcf800000, v3, |v1|
	v_cvt_u32_f32_e32 v1, v3
	v_cvt_u32_f32_e32 v3, v11
	s_delay_alu instid0(VALU_DEP_2) | instskip(NEXT) | instid1(VALU_DEP_2)
	v_dual_mov_b32 v11, v10 :: v_dual_bitop2_b32 v13, v1, v10 bitop3:0x14
	v_xor_b32_e32 v12, v3, v10
	s_delay_alu instid0(VALU_DEP_1)
	v_sub_nc_u64_e32 v[10:11], v[12:13], v[10:11]
.LBB79_348:
	s_mov_b32 s37, 0
.LBB79_349:
	s_delay_alu instid0(SALU_CYCLE_1)
	s_and_not1_b32 vcc_lo, exec_lo, s37
	s_cbranch_vccnz .LBB79_351
; %bb.350:
	global_load_b32 v1, v[6:7], off
	s_wait_loadcnt 0x0
	v_cvt_f32_f16_e32 v1, v1
	s_delay_alu instid0(VALU_DEP_1) | instskip(NEXT) | instid1(VALU_DEP_1)
	v_cvt_i32_f32_e32 v10, v1
	v_ashrrev_i32_e32 v11, 31, v10
.LBB79_351:
	s_mov_b32 s37, 0
.LBB79_352:
	s_delay_alu instid0(SALU_CYCLE_1)
	s_and_not1_b32 vcc_lo, exec_lo, s37
	s_cbranch_vccnz .LBB79_363
; %bb.353:
	s_cmp_lt_i32 s0, 6
	s_cbranch_scc1 .LBB79_356
; %bb.354:
	s_cmp_gt_i32 s0, 6
	s_cbranch_scc0 .LBB79_357
; %bb.355:
	s_wait_loadcnt 0x0
	global_load_b64 v[10:11], v[6:7], off
	s_mov_b32 s37, 0
	s_wait_loadcnt 0x0
	v_trunc_f64_e32 v[10:11], v[10:11]
	s_delay_alu instid0(VALU_DEP_1) | instskip(NEXT) | instid1(VALU_DEP_1)
	v_ldexp_f64 v[12:13], v[10:11], 0xffffffe0
	v_floor_f64_e32 v[12:13], v[12:13]
	s_delay_alu instid0(VALU_DEP_1) | instskip(SKIP_1) | instid1(VALU_DEP_2)
	v_fmamk_f64 v[14:15], v[12:13], 0xc1f00000, v[10:11]
	v_cvt_i32_f64_e32 v11, v[12:13]
	v_cvt_u32_f64_e32 v10, v[14:15]
	s_branch .LBB79_358
.LBB79_356:
	s_mov_b32 s37, -1
                                        ; implicit-def: $vgpr10_vgpr11
	s_branch .LBB79_361
.LBB79_357:
	s_mov_b32 s37, -1
                                        ; implicit-def: $vgpr10_vgpr11
.LBB79_358:
	s_delay_alu instid0(SALU_CYCLE_1)
	s_and_not1_b32 vcc_lo, exec_lo, s37
	s_cbranch_vccnz .LBB79_360
; %bb.359:
	global_load_b32 v1, v[6:7], off
	s_wait_loadcnt 0x0
	v_trunc_f32_e32 v1, v1
	s_delay_alu instid0(VALU_DEP_1) | instskip(SKIP_1) | instid1(VALU_DEP_2)
	v_mul_f32_e64 v3, 0x2f800000, |v1|
	v_ashrrev_i32_e32 v10, 31, v1
	v_floor_f32_e32 v3, v3
	s_delay_alu instid0(VALU_DEP_1) | instskip(SKIP_1) | instid1(VALU_DEP_2)
	v_fma_f32 v11, 0xcf800000, v3, |v1|
	v_cvt_u32_f32_e32 v1, v3
	v_cvt_u32_f32_e32 v3, v11
	s_delay_alu instid0(VALU_DEP_2) | instskip(NEXT) | instid1(VALU_DEP_2)
	v_dual_mov_b32 v11, v10 :: v_dual_bitop2_b32 v13, v1, v10 bitop3:0x14
	v_xor_b32_e32 v12, v3, v10
	s_delay_alu instid0(VALU_DEP_1)
	v_sub_nc_u64_e32 v[10:11], v[12:13], v[10:11]
.LBB79_360:
	s_mov_b32 s37, 0
.LBB79_361:
	s_delay_alu instid0(SALU_CYCLE_1)
	s_and_not1_b32 vcc_lo, exec_lo, s37
	s_cbranch_vccnz .LBB79_363
; %bb.362:
	global_load_u16 v1, v[6:7], off
	s_wait_loadcnt 0x0
	v_cvt_f32_f16_e32 v1, v1
	s_delay_alu instid0(VALU_DEP_1) | instskip(NEXT) | instid1(VALU_DEP_1)
	v_cvt_i32_f32_e32 v10, v1
	v_ashrrev_i32_e32 v11, 31, v10
.LBB79_363:
	s_mov_b32 s37, 0
.LBB79_364:
	s_delay_alu instid0(SALU_CYCLE_1)
	s_and_not1_b32 vcc_lo, exec_lo, s37
	s_cbranch_vccnz .LBB79_384
; %bb.365:
	s_cmp_lt_i32 s0, 2
	s_cbranch_scc1 .LBB79_369
; %bb.366:
	s_cmp_lt_i32 s0, 3
	s_cbranch_scc1 .LBB79_370
; %bb.367:
	s_cmp_gt_i32 s0, 3
	s_cbranch_scc0 .LBB79_371
; %bb.368:
	s_wait_loadcnt 0x0
	global_load_b64 v[10:11], v[6:7], off
	s_mov_b32 s37, 0
	s_branch .LBB79_372
.LBB79_369:
	s_mov_b32 s37, -1
                                        ; implicit-def: $vgpr10_vgpr11
	s_branch .LBB79_378
.LBB79_370:
	s_mov_b32 s37, -1
                                        ; implicit-def: $vgpr10_vgpr11
	s_branch .LBB79_375
.LBB79_371:
	s_mov_b32 s37, -1
                                        ; implicit-def: $vgpr10_vgpr11
.LBB79_372:
	s_delay_alu instid0(SALU_CYCLE_1)
	s_and_not1_b32 vcc_lo, exec_lo, s37
	s_cbranch_vccnz .LBB79_374
; %bb.373:
	s_wait_loadcnt 0x0
	global_load_b32 v10, v[6:7], off
	s_wait_loadcnt 0x0
	v_ashrrev_i32_e32 v11, 31, v10
.LBB79_374:
	s_mov_b32 s37, 0
.LBB79_375:
	s_delay_alu instid0(SALU_CYCLE_1)
	s_and_not1_b32 vcc_lo, exec_lo, s37
	s_cbranch_vccnz .LBB79_377
; %bb.376:
	global_load_u16 v1, v[6:7], off
	s_wait_loadcnt 0x0
	v_bfe_i32 v10, v1, 0, 16
	s_delay_alu instid0(VALU_DEP_1)
	v_ashrrev_i32_e32 v11, 31, v10
.LBB79_377:
	s_mov_b32 s37, 0
.LBB79_378:
	s_delay_alu instid0(SALU_CYCLE_1)
	s_and_not1_b32 vcc_lo, exec_lo, s37
	s_cbranch_vccnz .LBB79_384
; %bb.379:
	s_cmp_gt_i32 s0, 0
	s_mov_b32 s0, 0
	s_cbranch_scc0 .LBB79_381
; %bb.380:
	global_load_i8 v1, v[6:7], off
	s_wait_loadcnt 0x0
	v_bfe_i32 v10, v1, 0, 16
	s_delay_alu instid0(VALU_DEP_1)
	v_ashrrev_i32_e32 v11, 31, v10
	s_branch .LBB79_382
.LBB79_381:
	s_mov_b32 s0, -1
                                        ; implicit-def: $vgpr10_vgpr11
.LBB79_382:
	s_delay_alu instid0(SALU_CYCLE_1)
	s_and_not1_b32 vcc_lo, exec_lo, s0
	s_cbranch_vccnz .LBB79_384
; %bb.383:
	global_load_u8 v1, v[6:7], off
	s_mov_b32 s0, 0
	s_wait_loadcnt 0x1
	s_wait_xcnt 0x1
	v_mov_b32_e32 v11, s0
	s_wait_loadcnt 0x0
	v_and_b32_e32 v10, 0xffff, v1
.LBB79_384:
	s_mov_b32 s37, -1
.LBB79_385:
	s_delay_alu instid0(SALU_CYCLE_1)
	s_and_not1_b32 vcc_lo, exec_lo, s37
	s_cbranch_vccnz .LBB79_393
; %bb.386:
	s_wait_loadcnt 0x0
	v_mul_u64_e32 v[4:5], s[20:21], v[4:5]
	s_delay_alu instid0(VALU_DEP_4) | instskip(SKIP_2) | instid1(SALU_CYCLE_1)
	v_mul_u64_e32 v[6:7], s[22:23], v[8:9]
	v_mov_b32_e32 v3, 0
	s_and_b32 s37, s42, 0xff
	s_cmp_lt_i32 s37, 11
	s_delay_alu instid0(VALU_DEP_1) | instskip(NEXT) | instid1(VALU_DEP_3)
	v_add_nc_u64_e32 v[2:3], s[4:5], v[2:3]
	v_mad_nc_u64_u32 v[4:5], v6, v10, v[4:5]
	s_delay_alu instid0(VALU_DEP_1) | instskip(NEXT) | instid1(VALU_DEP_1)
	v_mad_u32 v1, v7, v10, v5
	v_mad_u32 v5, v6, v11, v1
	s_cbranch_scc1 .LBB79_394
; %bb.387:
	s_and_b32 s48, 0xffff, s37
	s_delay_alu instid0(SALU_CYCLE_1)
	s_cmp_gt_i32 s48, 25
	s_cbranch_scc0 .LBB79_395
; %bb.388:
	s_cmp_gt_i32 s48, 28
	s_cbranch_scc0 .LBB79_396
; %bb.389:
	;; [unrolled: 3-line block ×4, first 2 shown]
	s_mov_b32 s51, 0
	s_mov_b32 s0, -1
	s_cmp_eq_u32 s48, 46
	s_mov_b32 s50, 0
	s_cbranch_scc0 .LBB79_399
; %bb.392:
	v_xor_b32_e32 v1, v4, v5
	v_cls_i32_e32 v6, v5
	s_mov_b32 s50, -1
	s_mov_b32 s0, 0
	s_delay_alu instid0(VALU_DEP_2) | instskip(NEXT) | instid1(VALU_DEP_1)
	v_ashrrev_i32_e32 v1, 31, v1
	v_add_nc_u32_e32 v1, 32, v1
	s_delay_alu instid0(VALU_DEP_1) | instskip(NEXT) | instid1(VALU_DEP_1)
	v_add_min_u32_e64 v1, v6, -1, v1
	v_lshlrev_b64_e32 v[6:7], v1, v[4:5]
	v_sub_nc_u32_e32 v1, 32, v1
	s_delay_alu instid0(VALU_DEP_2) | instskip(NEXT) | instid1(VALU_DEP_1)
	v_min_u32_e32 v6, 1, v6
	v_or_b32_e32 v6, v7, v6
	s_delay_alu instid0(VALU_DEP_1) | instskip(NEXT) | instid1(VALU_DEP_1)
	v_cvt_f32_i32_e32 v6, v6
	v_ldexp_f32 v1, v6, v1
	s_delay_alu instid0(VALU_DEP_1) | instskip(NEXT) | instid1(VALU_DEP_1)
	v_bfe_u32 v6, v1, 16, 1
	v_add3_u32 v1, v1, v6, 0x7fff
	s_delay_alu instid0(VALU_DEP_1)
	v_lshrrev_b32_e32 v1, 16, v1
	global_store_b32 v[2:3], v1, off
	s_branch .LBB79_399
.LBB79_393:
	s_mov_b32 s0, 0
	s_branch .LBB79_509
.LBB79_394:
	s_mov_b32 s48, -1
	s_mov_b32 s0, 0
	s_mov_b32 s50, 0
	s_branch .LBB79_468
.LBB79_395:
	s_mov_b32 s51, -1
	s_mov_b32 s0, 0
	s_mov_b32 s50, 0
	s_branch .LBB79_426
.LBB79_396:
	s_mov_b32 s51, -1
	s_mov_b32 s0, 0
	s_mov_b32 s50, 0
	s_branch .LBB79_409
.LBB79_397:
	s_mov_b32 s51, -1
	s_mov_b32 s0, 0
	s_mov_b32 s50, 0
	s_branch .LBB79_405
.LBB79_398:
	s_mov_b32 s51, -1
	s_mov_b32 s0, 0
	s_mov_b32 s50, 0
.LBB79_399:
	s_and_b32 vcc_lo, exec_lo, s51
	s_cbranch_vccz .LBB79_404
; %bb.400:
	s_cmp_eq_u32 s48, 44
	s_mov_b32 s0, -1
	s_cbranch_scc0 .LBB79_404
; %bb.401:
	s_wait_xcnt 0x0
	v_xor_b32_e32 v1, v4, v5
	v_cls_i32_e32 v6, v5
	s_mov_b32 s50, -1
	s_mov_b32 s51, exec_lo
	s_delay_alu instid0(VALU_DEP_2) | instskip(NEXT) | instid1(VALU_DEP_1)
	v_ashrrev_i32_e32 v1, 31, v1
	v_add_nc_u32_e32 v1, 32, v1
	s_delay_alu instid0(VALU_DEP_1) | instskip(NEXT) | instid1(VALU_DEP_1)
	v_add_min_u32_e64 v1, v6, -1, v1
	v_lshlrev_b64_e32 v[6:7], v1, v[4:5]
	v_sub_nc_u32_e32 v1, 32, v1
	s_delay_alu instid0(VALU_DEP_2) | instskip(NEXT) | instid1(VALU_DEP_1)
	v_min_u32_e32 v6, 1, v6
	v_or_b32_e32 v6, v7, v6
	s_delay_alu instid0(VALU_DEP_1) | instskip(NEXT) | instid1(VALU_DEP_1)
	v_cvt_f32_i32_e32 v6, v6
	v_ldexp_f32 v1, v6, v1
	v_mov_b32_e32 v6, 0xff
	s_delay_alu instid0(VALU_DEP_2) | instskip(NEXT) | instid1(VALU_DEP_1)
	v_bfe_u32 v7, v1, 23, 8
	v_cmpx_ne_u32_e32 0xff, v7
	s_cbranch_execz .LBB79_403
; %bb.402:
	v_and_b32_e32 v6, 0x400000, v1
	v_and_or_b32 v7, 0x3fffff, v1, v7
	v_lshrrev_b32_e32 v1, 23, v1
	s_delay_alu instid0(VALU_DEP_3) | instskip(NEXT) | instid1(VALU_DEP_3)
	v_cmp_ne_u32_e32 vcc_lo, 0, v6
	v_cmp_ne_u32_e64 s0, 0, v7
	s_and_b32 s0, vcc_lo, s0
	s_delay_alu instid0(SALU_CYCLE_1) | instskip(NEXT) | instid1(VALU_DEP_1)
	v_cndmask_b32_e64 v6, 0, 1, s0
	v_add_nc_u32_e32 v6, v1, v6
.LBB79_403:
	s_or_b32 exec_lo, exec_lo, s51
	s_mov_b32 s0, 0
	global_store_b8 v[2:3], v6, off
.LBB79_404:
	s_mov_b32 s51, 0
.LBB79_405:
	s_delay_alu instid0(SALU_CYCLE_1)
	s_and_b32 vcc_lo, exec_lo, s51
	s_cbranch_vccz .LBB79_408
; %bb.406:
	s_cmp_eq_u32 s48, 29
	s_mov_b32 s0, -1
	s_cbranch_scc0 .LBB79_408
; %bb.407:
	s_mov_b32 s50, -1
	s_mov_b32 s0, 0
	global_store_b64 v[2:3], v[4:5], off
.LBB79_408:
	s_mov_b32 s51, 0
.LBB79_409:
	s_delay_alu instid0(SALU_CYCLE_1)
	s_and_b32 vcc_lo, exec_lo, s51
	s_cbranch_vccz .LBB79_425
; %bb.410:
	s_cmp_lt_i32 s48, 27
	s_mov_b32 s50, -1
	s_cbranch_scc1 .LBB79_416
; %bb.411:
	s_cmp_gt_i32 s48, 27
	s_cbranch_scc0 .LBB79_413
; %bb.412:
	s_mov_b32 s50, 0
	global_store_b32 v[2:3], v4, off
.LBB79_413:
	s_and_not1_b32 vcc_lo, exec_lo, s50
	s_cbranch_vccnz .LBB79_415
; %bb.414:
	global_store_b16 v[2:3], v4, off
.LBB79_415:
	s_mov_b32 s50, 0
.LBB79_416:
	s_delay_alu instid0(SALU_CYCLE_1)
	s_and_not1_b32 vcc_lo, exec_lo, s50
	s_cbranch_vccnz .LBB79_424
; %bb.417:
	s_wait_xcnt 0x0
	v_xor_b32_e32 v1, v4, v5
	v_cls_i32_e32 v6, v5
	s_mov_b32 s50, exec_lo
	s_delay_alu instid0(VALU_DEP_2) | instskip(NEXT) | instid1(VALU_DEP_1)
	v_ashrrev_i32_e32 v1, 31, v1
	v_add_nc_u32_e32 v1, 32, v1
	s_delay_alu instid0(VALU_DEP_1) | instskip(NEXT) | instid1(VALU_DEP_1)
	v_add_min_u32_e64 v1, v6, -1, v1
	v_lshlrev_b64_e32 v[6:7], v1, v[4:5]
	v_sub_nc_u32_e32 v1, 32, v1
	s_delay_alu instid0(VALU_DEP_2) | instskip(NEXT) | instid1(VALU_DEP_1)
	v_min_u32_e32 v6, 1, v6
	v_or_b32_e32 v6, v7, v6
	v_mov_b32_e32 v7, 0x80
	s_delay_alu instid0(VALU_DEP_2) | instskip(NEXT) | instid1(VALU_DEP_1)
	v_cvt_f32_i32_e32 v6, v6
	v_ldexp_f32 v1, v6, v1
	s_delay_alu instid0(VALU_DEP_1) | instskip(NEXT) | instid1(VALU_DEP_1)
	v_and_b32_e32 v6, 0x7fffffff, v1
	v_cmpx_gt_u32_e32 0x43800000, v6
	s_cbranch_execz .LBB79_423
; %bb.418:
	v_cmp_lt_u32_e32 vcc_lo, 0x3bffffff, v6
	s_mov_b32 s51, 0
                                        ; implicit-def: $vgpr6
	s_and_saveexec_b32 s52, vcc_lo
	s_delay_alu instid0(SALU_CYCLE_1)
	s_xor_b32 s52, exec_lo, s52
	s_cbranch_execz .LBB79_664
; %bb.419:
	v_bfe_u32 v6, v1, 20, 1
	s_mov_b32 s51, exec_lo
	s_delay_alu instid0(VALU_DEP_1) | instskip(NEXT) | instid1(VALU_DEP_1)
	v_add3_u32 v6, v1, v6, 0x487ffff
	v_lshrrev_b32_e32 v6, 20, v6
	s_and_not1_saveexec_b32 s52, s52
	s_cbranch_execnz .LBB79_665
.LBB79_420:
	s_or_b32 exec_lo, exec_lo, s52
	v_mov_b32_e32 v7, 0
	s_and_saveexec_b32 s52, s51
.LBB79_421:
	v_lshrrev_b32_e32 v1, 24, v1
	s_delay_alu instid0(VALU_DEP_1)
	v_and_or_b32 v7, 0x80, v1, v6
.LBB79_422:
	s_or_b32 exec_lo, exec_lo, s52
.LBB79_423:
	s_delay_alu instid0(SALU_CYCLE_1)
	s_or_b32 exec_lo, exec_lo, s50
	global_store_b8 v[2:3], v7, off
.LBB79_424:
	s_mov_b32 s50, -1
.LBB79_425:
	s_mov_b32 s51, 0
.LBB79_426:
	s_delay_alu instid0(SALU_CYCLE_1)
	s_and_b32 vcc_lo, exec_lo, s51
	s_cbranch_vccz .LBB79_467
; %bb.427:
	s_cmp_gt_i32 s48, 22
	s_mov_b32 s51, -1
	s_cbranch_scc0 .LBB79_459
; %bb.428:
	s_cmp_lt_i32 s48, 24
	s_mov_b32 s50, -1
	s_cbranch_scc1 .LBB79_448
; %bb.429:
	s_cmp_gt_i32 s48, 24
	s_cbranch_scc0 .LBB79_437
; %bb.430:
	s_wait_xcnt 0x0
	v_xor_b32_e32 v1, v4, v5
	v_cls_i32_e32 v6, v5
	s_mov_b32 s50, exec_lo
	s_delay_alu instid0(VALU_DEP_2) | instskip(NEXT) | instid1(VALU_DEP_1)
	v_ashrrev_i32_e32 v1, 31, v1
	v_add_nc_u32_e32 v1, 32, v1
	s_delay_alu instid0(VALU_DEP_1) | instskip(NEXT) | instid1(VALU_DEP_1)
	v_add_min_u32_e64 v1, v6, -1, v1
	v_lshlrev_b64_e32 v[6:7], v1, v[4:5]
	v_sub_nc_u32_e32 v1, 32, v1
	s_delay_alu instid0(VALU_DEP_2) | instskip(NEXT) | instid1(VALU_DEP_1)
	v_min_u32_e32 v6, 1, v6
	v_or_b32_e32 v6, v7, v6
	v_mov_b32_e32 v7, 0x80
	s_delay_alu instid0(VALU_DEP_2) | instskip(NEXT) | instid1(VALU_DEP_1)
	v_cvt_f32_i32_e32 v6, v6
	v_ldexp_f32 v1, v6, v1
	s_delay_alu instid0(VALU_DEP_1) | instskip(NEXT) | instid1(VALU_DEP_1)
	v_and_b32_e32 v6, 0x7fffffff, v1
	v_cmpx_gt_u32_e32 0x47800000, v6
	s_cbranch_execz .LBB79_436
; %bb.431:
	v_cmp_lt_u32_e32 vcc_lo, 0x37ffffff, v6
	s_mov_b32 s51, 0
                                        ; implicit-def: $vgpr6
	s_and_saveexec_b32 s52, vcc_lo
	s_delay_alu instid0(SALU_CYCLE_1)
	s_xor_b32 s52, exec_lo, s52
	s_cbranch_execz .LBB79_792
; %bb.432:
	v_bfe_u32 v6, v1, 21, 1
	s_mov_b32 s51, exec_lo
	s_delay_alu instid0(VALU_DEP_1) | instskip(NEXT) | instid1(VALU_DEP_1)
	v_add3_u32 v6, v1, v6, 0x88fffff
	v_lshrrev_b32_e32 v6, 21, v6
	s_and_not1_saveexec_b32 s52, s52
	s_cbranch_execnz .LBB79_793
.LBB79_433:
	s_or_b32 exec_lo, exec_lo, s52
	v_mov_b32_e32 v7, 0
	s_and_saveexec_b32 s52, s51
.LBB79_434:
	v_lshrrev_b32_e32 v1, 24, v1
	s_delay_alu instid0(VALU_DEP_1)
	v_and_or_b32 v7, 0x80, v1, v6
.LBB79_435:
	s_or_b32 exec_lo, exec_lo, s52
.LBB79_436:
	s_delay_alu instid0(SALU_CYCLE_1)
	s_or_b32 exec_lo, exec_lo, s50
	s_mov_b32 s50, 0
	global_store_b8 v[2:3], v7, off
.LBB79_437:
	s_and_b32 vcc_lo, exec_lo, s50
	s_cbranch_vccz .LBB79_447
; %bb.438:
	s_wait_xcnt 0x0
	v_xor_b32_e32 v1, v4, v5
	v_cls_i32_e32 v6, v5
	s_mov_b32 s50, exec_lo
	s_delay_alu instid0(VALU_DEP_2) | instskip(NEXT) | instid1(VALU_DEP_1)
	v_ashrrev_i32_e32 v1, 31, v1
	v_add_nc_u32_e32 v1, 32, v1
	s_delay_alu instid0(VALU_DEP_1) | instskip(NEXT) | instid1(VALU_DEP_1)
	v_add_min_u32_e64 v1, v6, -1, v1
	v_lshlrev_b64_e32 v[6:7], v1, v[4:5]
	v_sub_nc_u32_e32 v1, 32, v1
	s_delay_alu instid0(VALU_DEP_2) | instskip(NEXT) | instid1(VALU_DEP_1)
	v_min_u32_e32 v6, 1, v6
	v_or_b32_e32 v6, v7, v6
	s_delay_alu instid0(VALU_DEP_1) | instskip(NEXT) | instid1(VALU_DEP_1)
	v_cvt_f32_i32_e32 v6, v6
	v_ldexp_f32 v1, v6, v1
                                        ; implicit-def: $vgpr6
	s_delay_alu instid0(VALU_DEP_1) | instskip(NEXT) | instid1(VALU_DEP_1)
	v_and_b32_e32 v7, 0x7fffffff, v1
	v_cmpx_gt_u32_e32 0x43f00000, v7
	s_xor_b32 s50, exec_lo, s50
	s_cbranch_execz .LBB79_444
; %bb.439:
	s_mov_b32 s51, exec_lo
                                        ; implicit-def: $vgpr6
	v_cmpx_lt_u32_e32 0x3c7fffff, v7
	s_xor_b32 s51, exec_lo, s51
; %bb.440:
	v_bfe_u32 v6, v1, 20, 1
	s_delay_alu instid0(VALU_DEP_1) | instskip(NEXT) | instid1(VALU_DEP_1)
	v_add3_u32 v6, v1, v6, 0x407ffff
	v_and_b32_e32 v7, 0xff00000, v6
	v_lshrrev_b32_e32 v6, 20, v6
	s_delay_alu instid0(VALU_DEP_2) | instskip(NEXT) | instid1(VALU_DEP_2)
	v_cmp_ne_u32_e32 vcc_lo, 0x7f00000, v7
	v_cndmask_b32_e32 v6, 0x7e, v6, vcc_lo
; %bb.441:
	s_and_not1_saveexec_b32 s51, s51
; %bb.442:
	v_add_f32_e64 v6, 0x46800000, |v1|
; %bb.443:
	s_or_b32 exec_lo, exec_lo, s51
                                        ; implicit-def: $vgpr7
.LBB79_444:
	s_and_not1_saveexec_b32 s50, s50
; %bb.445:
	v_mov_b32_e32 v6, 0x7f
	v_cmp_lt_u32_e32 vcc_lo, 0x7f800000, v7
	s_delay_alu instid0(VALU_DEP_2)
	v_cndmask_b32_e32 v6, 0x7e, v6, vcc_lo
; %bb.446:
	s_or_b32 exec_lo, exec_lo, s50
	v_lshrrev_b32_e32 v1, 24, v1
	s_delay_alu instid0(VALU_DEP_1)
	v_and_or_b32 v1, 0x80, v1, v6
	global_store_b8 v[2:3], v1, off
.LBB79_447:
	s_mov_b32 s50, 0
.LBB79_448:
	s_delay_alu instid0(SALU_CYCLE_1)
	s_and_not1_b32 vcc_lo, exec_lo, s50
	s_cbranch_vccnz .LBB79_458
; %bb.449:
	s_wait_xcnt 0x0
	v_xor_b32_e32 v1, v4, v5
	v_cls_i32_e32 v6, v5
	s_mov_b32 s50, exec_lo
	s_delay_alu instid0(VALU_DEP_2) | instskip(NEXT) | instid1(VALU_DEP_1)
	v_ashrrev_i32_e32 v1, 31, v1
	v_add_nc_u32_e32 v1, 32, v1
	s_delay_alu instid0(VALU_DEP_1) | instskip(NEXT) | instid1(VALU_DEP_1)
	v_add_min_u32_e64 v1, v6, -1, v1
	v_lshlrev_b64_e32 v[6:7], v1, v[4:5]
	v_sub_nc_u32_e32 v1, 32, v1
	s_delay_alu instid0(VALU_DEP_2) | instskip(NEXT) | instid1(VALU_DEP_1)
	v_min_u32_e32 v6, 1, v6
	v_or_b32_e32 v6, v7, v6
	s_delay_alu instid0(VALU_DEP_1) | instskip(NEXT) | instid1(VALU_DEP_1)
	v_cvt_f32_i32_e32 v6, v6
	v_ldexp_f32 v1, v6, v1
                                        ; implicit-def: $vgpr6
	s_delay_alu instid0(VALU_DEP_1) | instskip(NEXT) | instid1(VALU_DEP_1)
	v_and_b32_e32 v7, 0x7fffffff, v1
	v_cmpx_gt_u32_e32 0x47800000, v7
	s_xor_b32 s50, exec_lo, s50
	s_cbranch_execz .LBB79_455
; %bb.450:
	s_mov_b32 s51, exec_lo
                                        ; implicit-def: $vgpr6
	v_cmpx_lt_u32_e32 0x387fffff, v7
	s_xor_b32 s51, exec_lo, s51
; %bb.451:
	v_bfe_u32 v6, v1, 21, 1
	s_delay_alu instid0(VALU_DEP_1) | instskip(NEXT) | instid1(VALU_DEP_1)
	v_add3_u32 v6, v1, v6, 0x80fffff
	v_lshrrev_b32_e32 v6, 21, v6
; %bb.452:
	s_and_not1_saveexec_b32 s51, s51
; %bb.453:
	v_add_f32_e64 v6, 0x43000000, |v1|
; %bb.454:
	s_or_b32 exec_lo, exec_lo, s51
                                        ; implicit-def: $vgpr7
.LBB79_455:
	s_and_not1_saveexec_b32 s50, s50
; %bb.456:
	v_mov_b32_e32 v6, 0x7f
	v_cmp_lt_u32_e32 vcc_lo, 0x7f800000, v7
	s_delay_alu instid0(VALU_DEP_2)
	v_cndmask_b32_e32 v6, 0x7c, v6, vcc_lo
; %bb.457:
	s_or_b32 exec_lo, exec_lo, s50
	v_lshrrev_b32_e32 v1, 24, v1
	s_delay_alu instid0(VALU_DEP_1)
	v_and_or_b32 v1, 0x80, v1, v6
	global_store_b8 v[2:3], v1, off
.LBB79_458:
	s_mov_b32 s51, 0
	s_mov_b32 s50, -1
.LBB79_459:
	s_and_not1_b32 vcc_lo, exec_lo, s51
	s_cbranch_vccnz .LBB79_467
; %bb.460:
	s_cmp_gt_i32 s48, 14
	s_mov_b32 s51, -1
	s_cbranch_scc0 .LBB79_464
; %bb.461:
	s_cmp_eq_u32 s48, 15
	s_mov_b32 s0, -1
	s_cbranch_scc0 .LBB79_463
; %bb.462:
	s_wait_xcnt 0x0
	v_xor_b32_e32 v1, v4, v5
	v_cls_i32_e32 v6, v5
	s_mov_b32 s50, -1
	s_mov_b32 s0, 0
	s_delay_alu instid0(VALU_DEP_2) | instskip(NEXT) | instid1(VALU_DEP_1)
	v_ashrrev_i32_e32 v1, 31, v1
	v_add_nc_u32_e32 v1, 32, v1
	s_delay_alu instid0(VALU_DEP_1) | instskip(NEXT) | instid1(VALU_DEP_1)
	v_add_min_u32_e64 v1, v6, -1, v1
	v_lshlrev_b64_e32 v[6:7], v1, v[4:5]
	v_sub_nc_u32_e32 v1, 32, v1
	s_delay_alu instid0(VALU_DEP_2) | instskip(NEXT) | instid1(VALU_DEP_1)
	v_min_u32_e32 v6, 1, v6
	v_or_b32_e32 v6, v7, v6
	s_delay_alu instid0(VALU_DEP_1) | instskip(NEXT) | instid1(VALU_DEP_1)
	v_cvt_f32_i32_e32 v6, v6
	v_ldexp_f32 v1, v6, v1
	s_delay_alu instid0(VALU_DEP_1) | instskip(NEXT) | instid1(VALU_DEP_1)
	v_bfe_u32 v6, v1, 16, 1
	v_add3_u32 v1, v1, v6, 0x7fff
	global_store_d16_hi_b16 v[2:3], v1, off
.LBB79_463:
	s_mov_b32 s51, 0
.LBB79_464:
	s_delay_alu instid0(SALU_CYCLE_1)
	s_and_b32 vcc_lo, exec_lo, s51
	s_cbranch_vccz .LBB79_467
; %bb.465:
	s_cmp_eq_u32 s48, 11
	s_mov_b32 s0, -1
	s_cbranch_scc0 .LBB79_467
; %bb.466:
	v_cmp_ne_u64_e32 vcc_lo, 0, v[4:5]
	s_mov_b32 s50, -1
	s_mov_b32 s0, 0
	s_wait_xcnt 0x0
	v_cndmask_b32_e64 v1, 0, 1, vcc_lo
	global_store_b8 v[2:3], v1, off
.LBB79_467:
	s_mov_b32 s48, 0
.LBB79_468:
	s_delay_alu instid0(SALU_CYCLE_1)
	s_and_b32 vcc_lo, exec_lo, s48
	s_cbranch_vccz .LBB79_507
; %bb.469:
	s_and_b32 s37, 0xffff, s37
	s_mov_b32 s48, -1
	s_cmp_lt_i32 s37, 5
	s_cbranch_scc1 .LBB79_490
; %bb.470:
	s_cmp_lt_i32 s37, 8
	s_cbranch_scc1 .LBB79_480
; %bb.471:
	s_cmp_lt_i32 s37, 9
	s_cbranch_scc1 .LBB79_477
; %bb.472:
	s_cmp_gt_i32 s37, 9
	s_cbranch_scc0 .LBB79_474
; %bb.473:
	s_wait_xcnt 0x0
	v_cvt_f64_i32_e32 v[6:7], v5
	v_cvt_f64_u32_e32 v[8:9], v4
	s_mov_b32 s48, 0
	s_delay_alu instid0(VALU_DEP_2) | instskip(NEXT) | instid1(VALU_DEP_1)
	v_ldexp_f64 v[6:7], v[6:7], 32
	v_dual_add_f64 v[6:7], v[6:7], v[8:9] :: v_dual_mov_b32 v8, 0
	s_delay_alu instid0(VALU_DEP_1)
	v_mov_b32_e32 v9, v8
	global_store_b128 v[2:3], v[6:9], off
.LBB79_474:
	s_and_not1_b32 vcc_lo, exec_lo, s48
	s_cbranch_vccnz .LBB79_476
; %bb.475:
	s_wait_xcnt 0x0
	v_xor_b32_e32 v1, v4, v5
	v_cls_i32_e32 v6, v5
	s_delay_alu instid0(VALU_DEP_2) | instskip(NEXT) | instid1(VALU_DEP_1)
	v_ashrrev_i32_e32 v1, 31, v1
	v_add_nc_u32_e32 v1, 32, v1
	s_delay_alu instid0(VALU_DEP_1) | instskip(NEXT) | instid1(VALU_DEP_1)
	v_add_min_u32_e64 v1, v6, -1, v1
	v_lshlrev_b64_e32 v[6:7], v1, v[4:5]
	v_sub_nc_u32_e32 v1, 32, v1
	s_delay_alu instid0(VALU_DEP_2) | instskip(NEXT) | instid1(VALU_DEP_1)
	v_min_u32_e32 v6, 1, v6
	v_dual_mov_b32 v7, 0 :: v_dual_bitop2_b32 v6, v7, v6 bitop3:0x54
	s_delay_alu instid0(VALU_DEP_1) | instskip(NEXT) | instid1(VALU_DEP_1)
	v_cvt_f32_i32_e32 v6, v6
	v_ldexp_f32 v6, v6, v1
	global_store_b64 v[2:3], v[6:7], off
.LBB79_476:
	s_mov_b32 s48, 0
.LBB79_477:
	s_delay_alu instid0(SALU_CYCLE_1)
	s_and_not1_b32 vcc_lo, exec_lo, s48
	s_cbranch_vccnz .LBB79_479
; %bb.478:
	s_wait_xcnt 0x0
	v_xor_b32_e32 v1, v4, v5
	v_cls_i32_e32 v6, v5
	s_delay_alu instid0(VALU_DEP_2) | instskip(NEXT) | instid1(VALU_DEP_1)
	v_ashrrev_i32_e32 v1, 31, v1
	v_add_nc_u32_e32 v1, 32, v1
	s_delay_alu instid0(VALU_DEP_1) | instskip(NEXT) | instid1(VALU_DEP_1)
	v_add_min_u32_e64 v1, v6, -1, v1
	v_lshlrev_b64_e32 v[6:7], v1, v[4:5]
	v_sub_nc_u32_e32 v1, 32, v1
	s_delay_alu instid0(VALU_DEP_2) | instskip(NEXT) | instid1(VALU_DEP_1)
	v_min_u32_e32 v6, 1, v6
	v_or_b32_e32 v6, v7, v6
	s_delay_alu instid0(VALU_DEP_1) | instskip(NEXT) | instid1(VALU_DEP_1)
	v_cvt_f32_i32_e32 v6, v6
	v_ldexp_f32 v1, v6, v1
	s_delay_alu instid0(VALU_DEP_1) | instskip(NEXT) | instid1(VALU_DEP_1)
	v_cvt_f16_f32_e32 v1, v1
	v_and_b32_e32 v1, 0xffff, v1
	global_store_b32 v[2:3], v1, off
.LBB79_479:
	s_mov_b32 s48, 0
.LBB79_480:
	s_delay_alu instid0(SALU_CYCLE_1)
	s_and_not1_b32 vcc_lo, exec_lo, s48
	s_cbranch_vccnz .LBB79_489
; %bb.481:
	s_cmp_lt_i32 s37, 6
	s_mov_b32 s48, -1
	s_cbranch_scc1 .LBB79_487
; %bb.482:
	s_cmp_gt_i32 s37, 6
	s_cbranch_scc0 .LBB79_484
; %bb.483:
	s_wait_xcnt 0x0
	v_cvt_f64_i32_e32 v[6:7], v5
	v_cvt_f64_u32_e32 v[8:9], v4
	s_mov_b32 s48, 0
	s_delay_alu instid0(VALU_DEP_2) | instskip(NEXT) | instid1(VALU_DEP_1)
	v_ldexp_f64 v[6:7], v[6:7], 32
	v_add_f64_e32 v[6:7], v[6:7], v[8:9]
	global_store_b64 v[2:3], v[6:7], off
.LBB79_484:
	s_and_not1_b32 vcc_lo, exec_lo, s48
	s_cbranch_vccnz .LBB79_486
; %bb.485:
	s_wait_xcnt 0x0
	v_xor_b32_e32 v1, v4, v5
	v_cls_i32_e32 v6, v5
	s_delay_alu instid0(VALU_DEP_2) | instskip(NEXT) | instid1(VALU_DEP_1)
	v_ashrrev_i32_e32 v1, 31, v1
	v_add_nc_u32_e32 v1, 32, v1
	s_delay_alu instid0(VALU_DEP_1) | instskip(NEXT) | instid1(VALU_DEP_1)
	v_add_min_u32_e64 v1, v6, -1, v1
	v_lshlrev_b64_e32 v[6:7], v1, v[4:5]
	v_sub_nc_u32_e32 v1, 32, v1
	s_delay_alu instid0(VALU_DEP_2) | instskip(NEXT) | instid1(VALU_DEP_1)
	v_min_u32_e32 v6, 1, v6
	v_or_b32_e32 v6, v7, v6
	s_delay_alu instid0(VALU_DEP_1) | instskip(NEXT) | instid1(VALU_DEP_1)
	v_cvt_f32_i32_e32 v6, v6
	v_ldexp_f32 v1, v6, v1
	global_store_b32 v[2:3], v1, off
.LBB79_486:
	s_mov_b32 s48, 0
.LBB79_487:
	s_delay_alu instid0(SALU_CYCLE_1)
	s_and_not1_b32 vcc_lo, exec_lo, s48
	s_cbranch_vccnz .LBB79_489
; %bb.488:
	s_wait_xcnt 0x0
	v_xor_b32_e32 v1, v4, v5
	v_cls_i32_e32 v6, v5
	s_delay_alu instid0(VALU_DEP_2) | instskip(NEXT) | instid1(VALU_DEP_1)
	v_ashrrev_i32_e32 v1, 31, v1
	v_add_nc_u32_e32 v1, 32, v1
	s_delay_alu instid0(VALU_DEP_1) | instskip(NEXT) | instid1(VALU_DEP_1)
	v_add_min_u32_e64 v1, v6, -1, v1
	v_lshlrev_b64_e32 v[6:7], v1, v[4:5]
	v_sub_nc_u32_e32 v1, 32, v1
	s_delay_alu instid0(VALU_DEP_2) | instskip(NEXT) | instid1(VALU_DEP_1)
	v_min_u32_e32 v6, 1, v6
	v_or_b32_e32 v6, v7, v6
	s_delay_alu instid0(VALU_DEP_1) | instskip(NEXT) | instid1(VALU_DEP_1)
	v_cvt_f32_i32_e32 v6, v6
	v_ldexp_f32 v1, v6, v1
	s_delay_alu instid0(VALU_DEP_1)
	v_cvt_f16_f32_e32 v1, v1
	global_store_b16 v[2:3], v1, off
.LBB79_489:
	s_mov_b32 s48, 0
.LBB79_490:
	s_delay_alu instid0(SALU_CYCLE_1)
	s_and_not1_b32 vcc_lo, exec_lo, s48
	s_cbranch_vccnz .LBB79_506
; %bb.491:
	s_cmp_lt_i32 s37, 2
	s_mov_b32 s48, -1
	s_cbranch_scc1 .LBB79_501
; %bb.492:
	s_cmp_lt_i32 s37, 3
	s_cbranch_scc1 .LBB79_498
; %bb.493:
	s_cmp_gt_i32 s37, 3
	s_cbranch_scc0 .LBB79_495
; %bb.494:
	s_mov_b32 s48, 0
	global_store_b64 v[2:3], v[4:5], off
.LBB79_495:
	s_and_not1_b32 vcc_lo, exec_lo, s48
	s_cbranch_vccnz .LBB79_497
; %bb.496:
	global_store_b32 v[2:3], v4, off
.LBB79_497:
	s_mov_b32 s48, 0
.LBB79_498:
	s_delay_alu instid0(SALU_CYCLE_1)
	s_and_not1_b32 vcc_lo, exec_lo, s48
	s_cbranch_vccnz .LBB79_500
; %bb.499:
	global_store_b16 v[2:3], v4, off
.LBB79_500:
	s_mov_b32 s48, 0
.LBB79_501:
	s_delay_alu instid0(SALU_CYCLE_1)
	s_and_not1_b32 vcc_lo, exec_lo, s48
	s_cbranch_vccnz .LBB79_506
; %bb.502:
	s_cmp_gt_i32 s37, 0
	s_mov_b32 s37, -1
	s_cbranch_scc0 .LBB79_504
; %bb.503:
	s_mov_b32 s37, 0
	global_store_b8 v[2:3], v4, off
.LBB79_504:
	s_and_not1_b32 vcc_lo, exec_lo, s37
	s_cbranch_vccnz .LBB79_506
; %bb.505:
	global_store_b8 v[2:3], v4, off
.LBB79_506:
	s_mov_b32 s50, -1
.LBB79_507:
	s_delay_alu instid0(SALU_CYCLE_1)
	s_and_not1_b32 vcc_lo, exec_lo, s50
	s_cbranch_vccnz .LBB79_509
; %bb.508:
	v_add_nc_u32_e32 v0, 0x80, v0
	s_mov_b32 s37, -1
	s_branch .LBB79_510
.LBB79_509:
	s_mov_b32 s37, 0
                                        ; implicit-def: $vgpr0
.LBB79_510:
	s_and_b32 s48, s0, exec_lo
	s_and_b32 s50, s36, exec_lo
	;; [unrolled: 1-line block ×4, first 2 shown]
	s_or_not1_b32 s35, s37, exec_lo
.LBB79_511:
	s_wait_xcnt 0x0
	s_or_b32 exec_lo, exec_lo, s53
	s_mov_b32 s36, 0
	s_mov_b32 s34, 0
                                        ; implicit-def: $sgpr0
                                        ; implicit-def: $vgpr10_vgpr11
                                        ; implicit-def: $vgpr2
                                        ; implicit-def: $vgpr6
                                        ; implicit-def: $vgpr8
                                        ; implicit-def: $vgpr4_vgpr5
	s_and_saveexec_b32 s53, s35
	s_cbranch_execz .LBB79_519
; %bb.512:
	s_mov_b32 s37, -1
	s_mov_b32 s54, s52
	s_mov_b32 s57, s51
	;; [unrolled: 1-line block ×4, first 2 shown]
	s_mov_b32 s58, exec_lo
	v_cmpx_gt_i32_e64 s47, v0
	s_cbranch_execz .LBB79_1033
; %bb.513:
	s_and_not1_b32 vcc_lo, exec_lo, s40
	s_cbranch_vccnz .LBB79_522
; %bb.514:
	s_and_not1_b32 vcc_lo, exec_lo, s49
	s_cbranch_vccnz .LBB79_523
; %bb.515:
	s_wait_loadcnt 0x0
	v_dual_mov_b32 v8, 0 :: v_dual_mov_b32 v1, v0
	v_dual_mov_b32 v6, 0 :: v_dual_mov_b32 v2, 0
	v_mov_b32_e32 v4, 0
	s_add_co_i32 s0, s46, 1
	s_mov_b64 s[34:35], 0xffffffffffffffe0
	s_and_b32 s0, s0, 30
	s_add_nc_u64 s[34:35], s[2:3], s[34:35]
	s_mov_b64 s[36:37], s[2:3]
.LBB79_516:                             ; =>This Inner Loop Header: Depth=1
	s_clause 0x1
	s_load_b128 s[68:71], s[36:37], 0x4
	s_load_b64 s[54:55], s[36:37], 0x14
	s_load_b256 s[60:67], s[34:35], 0xe4
	s_add_co_i32 s0, s0, -2
	s_wait_xcnt 0x0
	s_add_nc_u64 s[36:37], s[36:37], 24
	s_cmp_eq_u32 s0, 0
	s_add_nc_u64 s[34:35], s[34:35], 32
	s_wait_kmcnt 0x0
	v_mul_hi_u32 v3, s69, v1
	s_delay_alu instid0(VALU_DEP_1) | instskip(NEXT) | instid1(VALU_DEP_1)
	v_add_nc_u32_e32 v3, v1, v3
	v_lshrrev_b32_e32 v3, s70, v3
	s_delay_alu instid0(VALU_DEP_1) | instskip(SKIP_1) | instid1(VALU_DEP_1)
	v_mul_hi_u32 v5, s54, v3
	v_mul_lo_u32 v7, v3, s68
	v_dual_add_nc_u32 v5, v3, v5 :: v_dual_sub_nc_u32 v7, v1, v7
	s_delay_alu instid0(VALU_DEP_1) | instskip(NEXT) | instid1(VALU_DEP_2)
	v_lshrrev_b32_e32 v1, s55, v5
	v_mad_u32 v4, v7, s61, v4
	v_mad_u32 v2, v7, s60, v2
	;; [unrolled: 1-line block ×4, first 2 shown]
	v_mul_lo_u32 v5, v1, s71
	s_delay_alu instid0(VALU_DEP_1) | instskip(NEXT) | instid1(VALU_DEP_1)
	v_sub_nc_u32_e32 v3, v3, v5
	v_mad_u32 v4, v3, s65, v4
	v_mad_u32 v2, v3, s64, v2
	;; [unrolled: 1-line block ×4, first 2 shown]
	s_cbranch_scc0 .LBB79_516
; %bb.517:
	s_bitcmp1_b32 s46, 0
	s_cselect_b32 s0, -1, 0
	s_delay_alu instid0(SALU_CYCLE_1)
	s_and_b32 vcc_lo, exec_lo, s0
	s_cbranch_vccnz .LBB79_524
; %bb.518:
	s_load_b96 s[64:66], s[36:37], 0x4
	s_load_b128 s[60:63], s[34:35], 0xe4
	s_wait_kmcnt 0x0
	v_mul_hi_u32 v3, s65, v1
	s_delay_alu instid0(VALU_DEP_1) | instskip(NEXT) | instid1(VALU_DEP_1)
	v_add_nc_u32_e32 v3, v1, v3
	v_lshrrev_b32_e32 v3, s66, v3
	s_delay_alu instid0(VALU_DEP_1) | instskip(NEXT) | instid1(VALU_DEP_1)
	v_mul_lo_u32 v3, v3, s64
	v_sub_nc_u32_e32 v1, v1, v3
	s_delay_alu instid0(VALU_DEP_1)
	v_mad_u32 v2, v1, s60, v2
	v_mad_u32 v4, v1, s61, v4
	;; [unrolled: 1-line block ×4, first 2 shown]
	s_branch .LBB79_524
.LBB79_519:
	s_or_b32 exec_lo, exec_lo, s53
	s_mov_b32 s1, 0
	s_and_saveexec_b32 s6, s52
	s_cbranch_execnz .LBB79_1645
.LBB79_520:
	s_or_b32 exec_lo, exec_lo, s6
	s_and_saveexec_b32 s6, s29
	s_delay_alu instid0(SALU_CYCLE_1)
	s_xor_b32 s6, exec_lo, s6
	s_cbranch_execz .LBB79_1646
.LBB79_521:
	s_wait_loadcnt 0x0
	global_load_u8 v0, v[10:11], off
	s_mov_b32 s7, 0
	s_or_b32 s34, s34, exec_lo
	v_mov_b32_e32 v5, s7
	s_wait_loadcnt 0x0
	v_cmp_ne_u16_e32 vcc_lo, 0, v0
	v_cndmask_b32_e64 v4, 0, 1, vcc_lo
	s_wait_xcnt 0x0
	s_or_b32 exec_lo, exec_lo, s6
	s_and_saveexec_b32 s6, s36
	s_cbranch_execz .LBB79_1692
	s_branch .LBB79_1647
.LBB79_522:
                                        ; implicit-def: $vgpr4
                                        ; implicit-def: $vgpr2
                                        ; implicit-def: $vgpr6
                                        ; implicit-def: $vgpr8
	s_branch .LBB79_525
.LBB79_523:
	s_wait_loadcnt 0x0
	v_dual_mov_b32 v4, 0 :: v_dual_mov_b32 v2, 0
	v_dual_mov_b32 v6, 0 :: v_dual_mov_b32 v8, 0
.LBB79_524:
	s_cbranch_execnz .LBB79_527
.LBB79_525:
	v_mov_b32_e32 v1, 0
	s_and_not1_b32 vcc_lo, exec_lo, s45
	s_delay_alu instid0(VALU_DEP_1) | instskip(NEXT) | instid1(VALU_DEP_1)
	v_mul_u64_e32 v[2:3], s[28:29], v[0:1]
	v_add_nc_u32_e32 v2, v0, v3
	s_wait_loadcnt 0x0
	s_delay_alu instid0(VALU_DEP_1) | instskip(NEXT) | instid1(VALU_DEP_1)
	v_lshrrev_b32_e32 v10, s26, v2
	v_mul_lo_u32 v2, v10, s24
	s_delay_alu instid0(VALU_DEP_1) | instskip(NEXT) | instid1(VALU_DEP_1)
	v_sub_nc_u32_e32 v3, v0, v2
	v_mul_lo_u32 v4, v3, s13
	v_mul_lo_u32 v2, v3, s12
	;; [unrolled: 1-line block ×4, first 2 shown]
	s_cbranch_vccnz .LBB79_527
; %bb.526:
	v_mov_b32_e32 v11, v1
	s_delay_alu instid0(VALU_DEP_1) | instskip(NEXT) | instid1(VALU_DEP_1)
	v_mul_u64_e32 v[12:13], s[30:31], v[10:11]
	v_add_nc_u32_e32 v1, v10, v13
	s_delay_alu instid0(VALU_DEP_1) | instskip(NEXT) | instid1(VALU_DEP_1)
	v_lshrrev_b32_e32 v1, s1, v1
	v_mul_lo_u32 v1, v1, s27
	s_delay_alu instid0(VALU_DEP_1) | instskip(NEXT) | instid1(VALU_DEP_1)
	v_sub_nc_u32_e32 v1, v10, v1
	v_mad_u32 v2, v1, s16, v2
	v_mad_u32 v4, v1, s17, v4
	;; [unrolled: 1-line block ×4, first 2 shown]
.LBB79_527:
	s_wait_loadcnt 0x0
	v_mov_b32_e32 v5, 0
	s_and_b32 s0, s44, 0xff
	s_delay_alu instid0(SALU_CYCLE_1) | instskip(NEXT) | instid1(VALU_DEP_1)
	s_cmp_lt_i32 s0, 11
	v_add_nc_u64_e32 v[10:11], s[6:7], v[4:5]
	s_cbranch_scc1 .LBB79_534
; %bb.528:
	s_and_b32 s35, 0xffff, s0
	s_delay_alu instid0(SALU_CYCLE_1)
	s_cmp_gt_i32 s35, 25
	s_cbranch_scc0 .LBB79_543
; %bb.529:
	s_cmp_gt_i32 s35, 28
	s_cbranch_scc0 .LBB79_545
; %bb.530:
	;; [unrolled: 3-line block ×4, first 2 shown]
	s_cmp_eq_u32 s35, 46
	s_mov_b32 s37, 0
	s_cbranch_scc0 .LBB79_551
; %bb.533:
	global_load_b32 v1, v[10:11], off
	s_mov_b32 s36, -1
	s_mov_b32 s34, 0
	s_wait_loadcnt 0x0
	v_lshlrev_b32_e32 v1, 16, v1
	s_delay_alu instid0(VALU_DEP_1) | instskip(NEXT) | instid1(VALU_DEP_1)
	v_trunc_f32_e32 v1, v1
	v_mul_f32_e64 v3, 0x2f800000, |v1|
	v_ashrrev_i32_e32 v4, 31, v1
	s_delay_alu instid0(VALU_DEP_2) | instskip(NEXT) | instid1(VALU_DEP_1)
	v_floor_f32_e32 v3, v3
	v_fma_f32 v5, 0xcf800000, v3, |v1|
	v_cvt_u32_f32_e32 v1, v3
	s_delay_alu instid0(VALU_DEP_2) | instskip(NEXT) | instid1(VALU_DEP_2)
	v_cvt_u32_f32_e32 v3, v5
	v_dual_mov_b32 v5, v4 :: v_dual_bitop2_b32 v13, v1, v4 bitop3:0x14
	s_delay_alu instid0(VALU_DEP_2) | instskip(NEXT) | instid1(VALU_DEP_1)
	v_xor_b32_e32 v12, v3, v4
	v_sub_nc_u64_e32 v[4:5], v[12:13], v[4:5]
	s_branch .LBB79_553
.LBB79_534:
	s_mov_b32 s36, 0
	s_mov_b32 s34, s52
                                        ; implicit-def: $vgpr4_vgpr5
	s_cbranch_execnz .LBB79_615
.LBB79_535:
	s_and_not1_b32 vcc_lo, exec_lo, s36
	s_cbranch_vccnz .LBB79_663
.LBB79_536:
	v_mov_b32_e32 v9, 0
	s_and_b32 s0, s43, 0xff
	s_delay_alu instid0(SALU_CYCLE_1) | instskip(SKIP_1) | instid1(VALU_DEP_1)
	s_cmp_lt_i32 s0, 11
	s_wait_xcnt 0x0
	v_add_nc_u64_e32 v[10:11], s[8:9], v[8:9]
	s_cbranch_scc1 .LBB79_544
; %bb.537:
	s_and_b32 s36, 0xffff, s0
	s_delay_alu instid0(SALU_CYCLE_1)
	s_cmp_gt_i32 s36, 25
	s_cbranch_scc0 .LBB79_546
; %bb.538:
	s_cmp_gt_i32 s36, 28
	s_cbranch_scc0 .LBB79_548
; %bb.539:
	;; [unrolled: 3-line block ×4, first 2 shown]
	s_cmp_eq_u32 s36, 46
	s_mov_b32 s54, 0
	s_cbranch_scc0 .LBB79_666
; %bb.542:
	global_load_b32 v1, v[10:11], off
	s_mov_b32 s37, -1
	s_mov_b32 s35, 0
	s_wait_loadcnt 0x0
	v_lshlrev_b32_e32 v1, 16, v1
	s_delay_alu instid0(VALU_DEP_1) | instskip(NEXT) | instid1(VALU_DEP_1)
	v_trunc_f32_e32 v1, v1
	v_mul_f32_e64 v3, 0x2f800000, |v1|
	v_ashrrev_i32_e32 v8, 31, v1
	s_delay_alu instid0(VALU_DEP_2) | instskip(NEXT) | instid1(VALU_DEP_2)
	v_floor_f32_e32 v3, v3
	v_mov_b32_e32 v9, v8
	s_delay_alu instid0(VALU_DEP_2) | instskip(SKIP_1) | instid1(VALU_DEP_2)
	v_fma_f32 v7, 0xcf800000, v3, |v1|
	v_cvt_u32_f32_e32 v1, v3
	v_cvt_u32_f32_e32 v3, v7
	s_delay_alu instid0(VALU_DEP_2) | instskip(NEXT) | instid1(VALU_DEP_2)
	v_xor_b32_e32 v13, v1, v8
	v_xor_b32_e32 v12, v3, v8
	s_delay_alu instid0(VALU_DEP_1)
	v_sub_nc_u64_e32 v[8:9], v[12:13], v[8:9]
	s_branch .LBB79_668
.LBB79_543:
	s_mov_b32 s37, -1
	s_mov_b32 s36, 0
	s_mov_b32 s34, s52
                                        ; implicit-def: $vgpr4_vgpr5
	s_branch .LBB79_581
.LBB79_544:
	s_mov_b32 s36, -1
	s_mov_b32 s37, 0
	s_mov_b32 s35, s51
                                        ; implicit-def: $vgpr8_vgpr9
	s_branch .LBB79_729
.LBB79_545:
	s_mov_b32 s37, -1
	s_mov_b32 s36, 0
	s_mov_b32 s34, s52
                                        ; implicit-def: $vgpr4_vgpr5
	s_branch .LBB79_564
.LBB79_546:
	s_mov_b32 s54, -1
	s_mov_b32 s37, 0
	s_mov_b32 s35, s51
                                        ; implicit-def: $vgpr8_vgpr9
	s_branch .LBB79_695
.LBB79_547:
	s_mov_b32 s37, -1
	s_mov_b32 s36, 0
	s_mov_b32 s34, s52
                                        ; implicit-def: $vgpr4_vgpr5
	s_branch .LBB79_559
.LBB79_548:
	s_mov_b32 s54, -1
	s_mov_b32 s37, 0
	s_mov_b32 s35, s51
                                        ; implicit-def: $vgpr8_vgpr9
	s_branch .LBB79_678
.LBB79_549:
	s_mov_b32 s37, -1
	s_mov_b32 s36, 0
	s_mov_b32 s34, s52
	s_branch .LBB79_552
.LBB79_550:
	s_mov_b32 s54, -1
	s_mov_b32 s37, 0
	s_mov_b32 s35, s51
                                        ; implicit-def: $vgpr8_vgpr9
	s_branch .LBB79_673
.LBB79_551:
	s_mov_b32 s34, -1
	s_mov_b32 s36, 0
.LBB79_552:
                                        ; implicit-def: $vgpr4_vgpr5
.LBB79_553:
	s_and_b32 vcc_lo, exec_lo, s37
	s_cbranch_vccz .LBB79_558
; %bb.554:
	s_cmp_eq_u32 s35, 44
	s_cbranch_scc0 .LBB79_557
; %bb.555:
	global_load_u8 v1, v[10:11], off
	s_mov_b32 s34, 0
	s_mov_b32 s36, -1
	s_wait_loadcnt 0x0
	v_lshlrev_b32_e32 v3, 23, v1
	v_cmp_ne_u32_e32 vcc_lo, 0, v1
	s_delay_alu instid0(VALU_DEP_2) | instskip(NEXT) | instid1(VALU_DEP_1)
	v_trunc_f32_e32 v3, v3
	v_mul_f32_e64 v4, 0x2f800000, |v3|
	s_delay_alu instid0(VALU_DEP_1) | instskip(SKIP_1) | instid1(VALU_DEP_2)
	v_floor_f32_e32 v5, v4
	v_ashrrev_i32_e32 v4, 31, v3
	v_fma_f32 v7, 0xcf800000, v5, |v3|
	v_cvt_u32_f32_e32 v3, v5
	s_delay_alu instid0(VALU_DEP_3) | instskip(NEXT) | instid1(VALU_DEP_3)
	v_mov_b32_e32 v5, v4
	v_cvt_u32_f32_e32 v7, v7
	s_delay_alu instid0(VALU_DEP_3) | instskip(NEXT) | instid1(VALU_DEP_2)
	v_xor_b32_e32 v13, v3, v4
	v_xor_b32_e32 v12, v7, v4
	s_delay_alu instid0(VALU_DEP_1) | instskip(NEXT) | instid1(VALU_DEP_1)
	v_sub_nc_u64_e32 v[4:5], v[12:13], v[4:5]
	v_dual_cndmask_b32 v5, 0, v5 :: v_dual_cndmask_b32 v4, 0, v4
	s_branch .LBB79_558
.LBB79_556:
	s_mov_b32 s54, -1
	s_mov_b32 s37, 0
	s_mov_b32 s35, s51
	s_branch .LBB79_667
.LBB79_557:
	s_mov_b32 s34, -1
                                        ; implicit-def: $vgpr4_vgpr5
.LBB79_558:
	s_mov_b32 s37, 0
.LBB79_559:
	s_delay_alu instid0(SALU_CYCLE_1)
	s_and_b32 vcc_lo, exec_lo, s37
	s_cbranch_vccz .LBB79_563
; %bb.560:
	s_cmp_eq_u32 s35, 29
	s_cbranch_scc0 .LBB79_562
; %bb.561:
	global_load_b64 v[4:5], v[10:11], off
	s_mov_b32 s36, -1
	s_mov_b32 s34, 0
	s_branch .LBB79_563
.LBB79_562:
	s_mov_b32 s34, -1
                                        ; implicit-def: $vgpr4_vgpr5
.LBB79_563:
	s_mov_b32 s37, 0
.LBB79_564:
	s_delay_alu instid0(SALU_CYCLE_1)
	s_and_b32 vcc_lo, exec_lo, s37
	s_cbranch_vccz .LBB79_580
; %bb.565:
	s_cmp_lt_i32 s35, 27
	s_cbranch_scc1 .LBB79_568
; %bb.566:
	s_cmp_gt_i32 s35, 27
	s_cbranch_scc0 .LBB79_569
; %bb.567:
	s_wait_loadcnt 0x0
	global_load_b32 v4, v[10:11], off
	v_mov_b32_e32 v5, 0
	s_mov_b32 s36, 0
	s_branch .LBB79_570
.LBB79_568:
	s_mov_b32 s36, -1
                                        ; implicit-def: $vgpr4_vgpr5
	s_branch .LBB79_573
.LBB79_569:
	s_mov_b32 s36, -1
                                        ; implicit-def: $vgpr4_vgpr5
.LBB79_570:
	s_delay_alu instid0(SALU_CYCLE_1)
	s_and_not1_b32 vcc_lo, exec_lo, s36
	s_cbranch_vccnz .LBB79_572
; %bb.571:
	global_load_u16 v1, v[10:11], off
	s_mov_b32 s36, 0
	s_wait_loadcnt 0x1
	v_mov_b32_e32 v5, s36
	s_wait_loadcnt 0x0
	v_and_b32_e32 v4, 0xffff, v1
.LBB79_572:
	s_mov_b32 s36, 0
.LBB79_573:
	s_delay_alu instid0(SALU_CYCLE_1)
	s_and_not1_b32 vcc_lo, exec_lo, s36
	s_cbranch_vccnz .LBB79_579
; %bb.574:
	global_load_u8 v1, v[10:11], off
	s_mov_b32 s37, 0
	s_mov_b32 s36, exec_lo
	s_wait_loadcnt 0x0
	v_cmpx_lt_i16_e32 0x7f, v1
	s_xor_b32 s36, exec_lo, s36
	s_cbranch_execz .LBB79_591
; %bb.575:
	v_cmp_ne_u16_e32 vcc_lo, 0x80, v1
	s_and_b32 s37, vcc_lo, exec_lo
	s_and_not1_saveexec_b32 s36, s36
	s_cbranch_execnz .LBB79_592
.LBB79_576:
	s_or_b32 exec_lo, exec_lo, s36
	v_mov_b64_e32 v[4:5], 0
	s_and_saveexec_b32 s36, s37
	s_cbranch_execz .LBB79_578
.LBB79_577:
	v_and_b32_e32 v3, 0xffff, v1
	s_delay_alu instid0(VALU_DEP_1) | instskip(SKIP_1) | instid1(VALU_DEP_2)
	v_and_b32_e32 v4, 7, v3
	v_bfe_u32 v9, v3, 3, 4
	v_clz_i32_u32_e32 v5, v4
	s_delay_alu instid0(VALU_DEP_2) | instskip(NEXT) | instid1(VALU_DEP_2)
	v_cmp_eq_u32_e32 vcc_lo, 0, v9
	v_min_u32_e32 v5, 32, v5
	s_delay_alu instid0(VALU_DEP_1) | instskip(NEXT) | instid1(VALU_DEP_1)
	v_subrev_nc_u32_e32 v7, 28, v5
	v_dual_lshlrev_b32 v3, v7, v3 :: v_dual_sub_nc_u32 v5, 29, v5
	s_delay_alu instid0(VALU_DEP_1) | instskip(NEXT) | instid1(VALU_DEP_1)
	v_dual_lshlrev_b32 v1, 24, v1 :: v_dual_bitop2_b32 v3, 7, v3 bitop3:0x40
	v_dual_cndmask_b32 v3, v4, v3, vcc_lo :: v_dual_cndmask_b32 v5, v9, v5, vcc_lo
	s_delay_alu instid0(VALU_DEP_2) | instskip(NEXT) | instid1(VALU_DEP_2)
	v_and_b32_e32 v1, 0x80000000, v1
	v_lshlrev_b32_e32 v3, 20, v3
	s_delay_alu instid0(VALU_DEP_3) | instskip(NEXT) | instid1(VALU_DEP_1)
	v_lshl_add_u32 v4, v5, 23, 0x3b800000
	v_or3_b32 v1, v1, v4, v3
	s_delay_alu instid0(VALU_DEP_1) | instskip(NEXT) | instid1(VALU_DEP_1)
	v_trunc_f32_e32 v1, v1
	v_mul_f32_e64 v3, 0x2f800000, |v1|
	v_ashrrev_i32_e32 v4, 31, v1
	s_delay_alu instid0(VALU_DEP_2) | instskip(NEXT) | instid1(VALU_DEP_1)
	v_floor_f32_e32 v3, v3
	v_fma_f32 v5, 0xcf800000, v3, |v1|
	v_cvt_u32_f32_e32 v1, v3
	s_delay_alu instid0(VALU_DEP_2) | instskip(NEXT) | instid1(VALU_DEP_2)
	v_cvt_u32_f32_e32 v3, v5
	v_dual_mov_b32 v5, v4 :: v_dual_bitop2_b32 v13, v1, v4 bitop3:0x14
	s_delay_alu instid0(VALU_DEP_2) | instskip(NEXT) | instid1(VALU_DEP_1)
	v_xor_b32_e32 v12, v3, v4
	v_sub_nc_u64_e32 v[4:5], v[12:13], v[4:5]
.LBB79_578:
	s_or_b32 exec_lo, exec_lo, s36
.LBB79_579:
	s_mov_b32 s36, -1
.LBB79_580:
	s_mov_b32 s37, 0
.LBB79_581:
	s_delay_alu instid0(SALU_CYCLE_1)
	s_and_b32 vcc_lo, exec_lo, s37
	s_cbranch_vccz .LBB79_614
; %bb.582:
	s_cmp_gt_i32 s35, 22
	s_cbranch_scc0 .LBB79_590
; %bb.583:
	s_cmp_lt_i32 s35, 24
	s_cbranch_scc1 .LBB79_593
; %bb.584:
	s_cmp_gt_i32 s35, 24
	s_cbranch_scc0 .LBB79_594
; %bb.585:
	global_load_u8 v1, v[10:11], off
	s_mov_b32 s37, 0
	s_mov_b32 s36, exec_lo
	s_wait_loadcnt 0x0
	v_cmpx_lt_i16_e32 0x7f, v1
	s_xor_b32 s36, exec_lo, s36
	s_cbranch_execz .LBB79_606
; %bb.586:
	v_cmp_ne_u16_e32 vcc_lo, 0x80, v1
	s_and_b32 s37, vcc_lo, exec_lo
	s_and_not1_saveexec_b32 s36, s36
	s_cbranch_execnz .LBB79_607
.LBB79_587:
	s_or_b32 exec_lo, exec_lo, s36
	v_mov_b64_e32 v[4:5], 0
	s_and_saveexec_b32 s36, s37
	s_cbranch_execz .LBB79_589
.LBB79_588:
	v_and_b32_e32 v3, 0xffff, v1
	s_delay_alu instid0(VALU_DEP_1) | instskip(SKIP_1) | instid1(VALU_DEP_2)
	v_and_b32_e32 v4, 3, v3
	v_bfe_u32 v9, v3, 2, 5
	v_clz_i32_u32_e32 v5, v4
	s_delay_alu instid0(VALU_DEP_2) | instskip(NEXT) | instid1(VALU_DEP_2)
	v_cmp_eq_u32_e32 vcc_lo, 0, v9
	v_min_u32_e32 v5, 32, v5
	s_delay_alu instid0(VALU_DEP_1) | instskip(NEXT) | instid1(VALU_DEP_1)
	v_subrev_nc_u32_e32 v7, 29, v5
	v_dual_lshlrev_b32 v3, v7, v3 :: v_dual_sub_nc_u32 v5, 30, v5
	s_delay_alu instid0(VALU_DEP_1) | instskip(NEXT) | instid1(VALU_DEP_1)
	v_dual_lshlrev_b32 v1, 24, v1 :: v_dual_bitop2_b32 v3, 3, v3 bitop3:0x40
	v_dual_cndmask_b32 v3, v4, v3, vcc_lo :: v_dual_cndmask_b32 v5, v9, v5, vcc_lo
	s_delay_alu instid0(VALU_DEP_2) | instskip(NEXT) | instid1(VALU_DEP_2)
	v_and_b32_e32 v1, 0x80000000, v1
	v_lshlrev_b32_e32 v3, 21, v3
	s_delay_alu instid0(VALU_DEP_3) | instskip(NEXT) | instid1(VALU_DEP_1)
	v_lshl_add_u32 v4, v5, 23, 0x37800000
	v_or3_b32 v1, v1, v4, v3
	s_delay_alu instid0(VALU_DEP_1) | instskip(NEXT) | instid1(VALU_DEP_1)
	v_trunc_f32_e32 v1, v1
	v_mul_f32_e64 v3, 0x2f800000, |v1|
	v_ashrrev_i32_e32 v4, 31, v1
	s_delay_alu instid0(VALU_DEP_2) | instskip(NEXT) | instid1(VALU_DEP_1)
	v_floor_f32_e32 v3, v3
	v_fma_f32 v5, 0xcf800000, v3, |v1|
	v_cvt_u32_f32_e32 v1, v3
	s_delay_alu instid0(VALU_DEP_2) | instskip(NEXT) | instid1(VALU_DEP_2)
	v_cvt_u32_f32_e32 v3, v5
	v_dual_mov_b32 v5, v4 :: v_dual_bitop2_b32 v13, v1, v4 bitop3:0x14
	s_delay_alu instid0(VALU_DEP_2) | instskip(NEXT) | instid1(VALU_DEP_1)
	v_xor_b32_e32 v12, v3, v4
	v_sub_nc_u64_e32 v[4:5], v[12:13], v[4:5]
.LBB79_589:
	s_or_b32 exec_lo, exec_lo, s36
	s_mov_b32 s36, 0
	s_branch .LBB79_595
.LBB79_590:
	s_mov_b32 s37, -1
                                        ; implicit-def: $vgpr4_vgpr5
	s_branch .LBB79_601
.LBB79_591:
	s_and_not1_saveexec_b32 s36, s36
	s_cbranch_execz .LBB79_576
.LBB79_592:
	v_cmp_ne_u16_e32 vcc_lo, 0, v1
	s_and_not1_b32 s37, s37, exec_lo
	s_and_b32 s54, vcc_lo, exec_lo
	s_delay_alu instid0(SALU_CYCLE_1)
	s_or_b32 s37, s37, s54
	s_or_b32 exec_lo, exec_lo, s36
	v_mov_b64_e32 v[4:5], 0
	s_and_saveexec_b32 s36, s37
	s_cbranch_execnz .LBB79_577
	s_branch .LBB79_578
.LBB79_593:
	s_mov_b32 s36, -1
                                        ; implicit-def: $vgpr4_vgpr5
	s_branch .LBB79_598
.LBB79_594:
	s_mov_b32 s36, -1
                                        ; implicit-def: $vgpr4_vgpr5
.LBB79_595:
	s_delay_alu instid0(SALU_CYCLE_1)
	s_and_b32 vcc_lo, exec_lo, s36
	s_cbranch_vccz .LBB79_597
; %bb.596:
	global_load_u8 v1, v[10:11], off
	s_wait_loadcnt 0x0
	v_lshlrev_b32_e32 v1, 24, v1
	s_delay_alu instid0(VALU_DEP_1) | instskip(NEXT) | instid1(VALU_DEP_1)
	v_and_b32_e32 v3, 0x7f000000, v1
	v_clz_i32_u32_e32 v4, v3
	v_add_nc_u32_e32 v7, 0x1000000, v3
	v_cmp_ne_u32_e32 vcc_lo, 0, v3
	s_delay_alu instid0(VALU_DEP_3) | instskip(NEXT) | instid1(VALU_DEP_1)
	v_min_u32_e32 v4, 32, v4
	v_sub_nc_u32_e64 v4, v4, 4 clamp
	s_delay_alu instid0(VALU_DEP_1) | instskip(NEXT) | instid1(VALU_DEP_1)
	v_dual_lshlrev_b32 v5, v4, v3 :: v_dual_lshlrev_b32 v4, 23, v4
	v_lshrrev_b32_e32 v5, 4, v5
	s_delay_alu instid0(VALU_DEP_1) | instskip(NEXT) | instid1(VALU_DEP_1)
	v_dual_sub_nc_u32 v4, v5, v4 :: v_dual_ashrrev_i32 v5, 8, v7
	v_add_nc_u32_e32 v4, 0x3c000000, v4
	s_delay_alu instid0(VALU_DEP_1) | instskip(NEXT) | instid1(VALU_DEP_1)
	v_and_or_b32 v4, 0x7f800000, v5, v4
	v_cndmask_b32_e32 v3, 0, v4, vcc_lo
	s_delay_alu instid0(VALU_DEP_1) | instskip(NEXT) | instid1(VALU_DEP_1)
	v_and_or_b32 v1, 0x80000000, v1, v3
	v_trunc_f32_e32 v1, v1
	s_delay_alu instid0(VALU_DEP_1) | instskip(SKIP_1) | instid1(VALU_DEP_2)
	v_mul_f32_e64 v3, 0x2f800000, |v1|
	v_ashrrev_i32_e32 v4, 31, v1
	v_floor_f32_e32 v3, v3
	s_delay_alu instid0(VALU_DEP_1) | instskip(SKIP_1) | instid1(VALU_DEP_2)
	v_fma_f32 v5, 0xcf800000, v3, |v1|
	v_cvt_u32_f32_e32 v1, v3
	v_cvt_u32_f32_e32 v3, v5
	s_delay_alu instid0(VALU_DEP_2) | instskip(NEXT) | instid1(VALU_DEP_2)
	v_dual_mov_b32 v5, v4 :: v_dual_bitop2_b32 v13, v1, v4 bitop3:0x14
	v_xor_b32_e32 v12, v3, v4
	s_delay_alu instid0(VALU_DEP_1)
	v_sub_nc_u64_e32 v[4:5], v[12:13], v[4:5]
.LBB79_597:
	s_mov_b32 s36, 0
.LBB79_598:
	s_delay_alu instid0(SALU_CYCLE_1)
	s_and_not1_b32 vcc_lo, exec_lo, s36
	s_cbranch_vccnz .LBB79_600
; %bb.599:
	global_load_u8 v1, v[10:11], off
	s_wait_loadcnt 0x0
	v_lshlrev_b32_e32 v3, 25, v1
	v_lshlrev_b16 v1, 8, v1
	s_delay_alu instid0(VALU_DEP_1) | instskip(NEXT) | instid1(VALU_DEP_3)
	v_and_or_b32 v5, 0x7f00, v1, 0.5
	v_lshrrev_b32_e32 v4, 4, v3
	v_bfe_i32 v1, v1, 0, 16
	s_delay_alu instid0(VALU_DEP_3) | instskip(NEXT) | instid1(VALU_DEP_3)
	v_add_f32_e32 v5, -0.5, v5
	v_or_b32_e32 v4, 0x70000000, v4
	s_delay_alu instid0(VALU_DEP_1) | instskip(SKIP_1) | instid1(VALU_DEP_2)
	v_mul_f32_e32 v4, 0x7800000, v4
	v_cmp_gt_u32_e32 vcc_lo, 0x8000000, v3
	v_cndmask_b32_e32 v3, v4, v5, vcc_lo
	s_delay_alu instid0(VALU_DEP_1) | instskip(NEXT) | instid1(VALU_DEP_1)
	v_and_or_b32 v1, 0x80000000, v1, v3
	v_trunc_f32_e32 v1, v1
	s_delay_alu instid0(VALU_DEP_1) | instskip(SKIP_1) | instid1(VALU_DEP_2)
	v_mul_f32_e64 v3, 0x2f800000, |v1|
	v_ashrrev_i32_e32 v4, 31, v1
	v_floor_f32_e32 v3, v3
	s_delay_alu instid0(VALU_DEP_1) | instskip(SKIP_1) | instid1(VALU_DEP_2)
	v_fma_f32 v5, 0xcf800000, v3, |v1|
	v_cvt_u32_f32_e32 v1, v3
	v_cvt_u32_f32_e32 v3, v5
	s_delay_alu instid0(VALU_DEP_2) | instskip(NEXT) | instid1(VALU_DEP_2)
	v_dual_mov_b32 v5, v4 :: v_dual_bitop2_b32 v13, v1, v4 bitop3:0x14
	v_xor_b32_e32 v12, v3, v4
	s_delay_alu instid0(VALU_DEP_1)
	v_sub_nc_u64_e32 v[4:5], v[12:13], v[4:5]
.LBB79_600:
	s_mov_b32 s37, 0
	s_mov_b32 s36, -1
.LBB79_601:
	s_and_not1_b32 vcc_lo, exec_lo, s37
	s_cbranch_vccnz .LBB79_614
; %bb.602:
	s_cmp_gt_i32 s35, 14
	s_cbranch_scc0 .LBB79_605
; %bb.603:
	s_cmp_eq_u32 s35, 15
	s_cbranch_scc0 .LBB79_608
; %bb.604:
	global_load_u16 v1, v[10:11], off
	s_mov_b32 s36, -1
	s_mov_b32 s34, 0
	s_wait_loadcnt 0x0
	v_lshlrev_b32_e32 v1, 16, v1
	s_delay_alu instid0(VALU_DEP_1) | instskip(NEXT) | instid1(VALU_DEP_1)
	v_trunc_f32_e32 v1, v1
	v_mul_f32_e64 v3, 0x2f800000, |v1|
	v_ashrrev_i32_e32 v4, 31, v1
	s_delay_alu instid0(VALU_DEP_2) | instskip(NEXT) | instid1(VALU_DEP_1)
	v_floor_f32_e32 v3, v3
	v_fma_f32 v5, 0xcf800000, v3, |v1|
	v_cvt_u32_f32_e32 v1, v3
	s_delay_alu instid0(VALU_DEP_2) | instskip(NEXT) | instid1(VALU_DEP_2)
	v_cvt_u32_f32_e32 v3, v5
	v_dual_mov_b32 v5, v4 :: v_dual_bitop2_b32 v13, v1, v4 bitop3:0x14
	s_delay_alu instid0(VALU_DEP_2) | instskip(NEXT) | instid1(VALU_DEP_1)
	v_xor_b32_e32 v12, v3, v4
	v_sub_nc_u64_e32 v[4:5], v[12:13], v[4:5]
	s_branch .LBB79_609
.LBB79_605:
	s_mov_b32 s37, -1
                                        ; implicit-def: $vgpr4_vgpr5
	s_branch .LBB79_610
.LBB79_606:
	s_and_not1_saveexec_b32 s36, s36
	s_cbranch_execz .LBB79_587
.LBB79_607:
	v_cmp_ne_u16_e32 vcc_lo, 0, v1
	s_and_not1_b32 s37, s37, exec_lo
	s_and_b32 s54, vcc_lo, exec_lo
	s_delay_alu instid0(SALU_CYCLE_1)
	s_or_b32 s37, s37, s54
	s_or_b32 exec_lo, exec_lo, s36
	v_mov_b64_e32 v[4:5], 0
	s_and_saveexec_b32 s36, s37
	s_cbranch_execnz .LBB79_588
	s_branch .LBB79_589
.LBB79_608:
	s_mov_b32 s34, -1
                                        ; implicit-def: $vgpr4_vgpr5
.LBB79_609:
	s_mov_b32 s37, 0
.LBB79_610:
	s_delay_alu instid0(SALU_CYCLE_1)
	s_and_b32 vcc_lo, exec_lo, s37
	s_cbranch_vccz .LBB79_614
; %bb.611:
	s_cmp_eq_u32 s35, 11
	s_cbranch_scc0 .LBB79_613
; %bb.612:
	global_load_u8 v1, v[10:11], off
	s_mov_b32 s34, 0
	s_mov_b32 s36, -1
	s_wait_loadcnt 0x1
	v_mov_b32_e32 v5, s34
	s_wait_loadcnt 0x0
	v_cmp_ne_u16_e32 vcc_lo, 0, v1
	v_cndmask_b32_e64 v4, 0, 1, vcc_lo
	s_branch .LBB79_614
.LBB79_613:
	s_mov_b32 s34, -1
                                        ; implicit-def: $vgpr4_vgpr5
.LBB79_614:
	s_branch .LBB79_535
.LBB79_615:
	s_and_b32 s0, 0xffff, s0
	s_delay_alu instid0(SALU_CYCLE_1)
	s_cmp_lt_i32 s0, 5
	s_cbranch_scc1 .LBB79_620
; %bb.616:
	s_cmp_lt_i32 s0, 8
	s_cbranch_scc1 .LBB79_621
; %bb.617:
	;; [unrolled: 3-line block ×3, first 2 shown]
	s_cmp_gt_i32 s0, 9
	s_cbranch_scc0 .LBB79_623
; %bb.619:
	s_wait_loadcnt 0x0
	global_load_b64 v[4:5], v[10:11], off
	s_mov_b32 s35, 0
	s_wait_loadcnt 0x0
	v_trunc_f64_e32 v[4:5], v[4:5]
	s_delay_alu instid0(VALU_DEP_1) | instskip(NEXT) | instid1(VALU_DEP_1)
	v_ldexp_f64 v[12:13], v[4:5], 0xffffffe0
	v_floor_f64_e32 v[12:13], v[12:13]
	s_delay_alu instid0(VALU_DEP_1) | instskip(SKIP_1) | instid1(VALU_DEP_2)
	v_fmamk_f64 v[14:15], v[12:13], 0xc1f00000, v[4:5]
	v_cvt_i32_f64_e32 v5, v[12:13]
	v_cvt_u32_f64_e32 v4, v[14:15]
	s_branch .LBB79_624
.LBB79_620:
	s_mov_b32 s35, -1
                                        ; implicit-def: $vgpr4_vgpr5
	s_branch .LBB79_642
.LBB79_621:
	s_mov_b32 s35, -1
                                        ; implicit-def: $vgpr4_vgpr5
	s_branch .LBB79_630
.LBB79_622:
	s_mov_b32 s35, -1
                                        ; implicit-def: $vgpr4_vgpr5
	s_branch .LBB79_627
.LBB79_623:
	s_mov_b32 s35, -1
                                        ; implicit-def: $vgpr4_vgpr5
.LBB79_624:
	s_delay_alu instid0(SALU_CYCLE_1)
	s_and_not1_b32 vcc_lo, exec_lo, s35
	s_cbranch_vccnz .LBB79_626
; %bb.625:
	global_load_b32 v1, v[10:11], off
	s_wait_loadcnt 0x0
	v_trunc_f32_e32 v1, v1
	s_delay_alu instid0(VALU_DEP_1) | instskip(SKIP_1) | instid1(VALU_DEP_2)
	v_mul_f32_e64 v3, 0x2f800000, |v1|
	v_ashrrev_i32_e32 v4, 31, v1
	v_floor_f32_e32 v3, v3
	s_delay_alu instid0(VALU_DEP_1) | instskip(SKIP_1) | instid1(VALU_DEP_2)
	v_fma_f32 v5, 0xcf800000, v3, |v1|
	v_cvt_u32_f32_e32 v1, v3
	v_cvt_u32_f32_e32 v3, v5
	s_delay_alu instid0(VALU_DEP_2) | instskip(NEXT) | instid1(VALU_DEP_2)
	v_dual_mov_b32 v5, v4 :: v_dual_bitop2_b32 v13, v1, v4 bitop3:0x14
	v_xor_b32_e32 v12, v3, v4
	s_delay_alu instid0(VALU_DEP_1)
	v_sub_nc_u64_e32 v[4:5], v[12:13], v[4:5]
.LBB79_626:
	s_mov_b32 s35, 0
.LBB79_627:
	s_delay_alu instid0(SALU_CYCLE_1)
	s_and_not1_b32 vcc_lo, exec_lo, s35
	s_cbranch_vccnz .LBB79_629
; %bb.628:
	global_load_b32 v1, v[10:11], off
	s_wait_loadcnt 0x0
	v_cvt_f32_f16_e32 v1, v1
	s_delay_alu instid0(VALU_DEP_1) | instskip(NEXT) | instid1(VALU_DEP_1)
	v_cvt_i32_f32_e32 v4, v1
	v_ashrrev_i32_e32 v5, 31, v4
.LBB79_629:
	s_mov_b32 s35, 0
.LBB79_630:
	s_delay_alu instid0(SALU_CYCLE_1)
	s_and_not1_b32 vcc_lo, exec_lo, s35
	s_cbranch_vccnz .LBB79_641
; %bb.631:
	s_cmp_lt_i32 s0, 6
	s_cbranch_scc1 .LBB79_634
; %bb.632:
	s_cmp_gt_i32 s0, 6
	s_cbranch_scc0 .LBB79_635
; %bb.633:
	s_wait_loadcnt 0x0
	global_load_b64 v[4:5], v[10:11], off
	s_mov_b32 s35, 0
	s_wait_loadcnt 0x0
	v_trunc_f64_e32 v[4:5], v[4:5]
	s_delay_alu instid0(VALU_DEP_1) | instskip(NEXT) | instid1(VALU_DEP_1)
	v_ldexp_f64 v[12:13], v[4:5], 0xffffffe0
	v_floor_f64_e32 v[12:13], v[12:13]
	s_delay_alu instid0(VALU_DEP_1) | instskip(SKIP_1) | instid1(VALU_DEP_2)
	v_fmamk_f64 v[14:15], v[12:13], 0xc1f00000, v[4:5]
	v_cvt_i32_f64_e32 v5, v[12:13]
	v_cvt_u32_f64_e32 v4, v[14:15]
	s_branch .LBB79_636
.LBB79_634:
	s_mov_b32 s35, -1
                                        ; implicit-def: $vgpr4_vgpr5
	s_branch .LBB79_639
.LBB79_635:
	s_mov_b32 s35, -1
                                        ; implicit-def: $vgpr4_vgpr5
.LBB79_636:
	s_delay_alu instid0(SALU_CYCLE_1)
	s_and_not1_b32 vcc_lo, exec_lo, s35
	s_cbranch_vccnz .LBB79_638
; %bb.637:
	global_load_b32 v1, v[10:11], off
	s_wait_loadcnt 0x0
	v_trunc_f32_e32 v1, v1
	s_delay_alu instid0(VALU_DEP_1) | instskip(SKIP_1) | instid1(VALU_DEP_2)
	v_mul_f32_e64 v3, 0x2f800000, |v1|
	v_ashrrev_i32_e32 v4, 31, v1
	v_floor_f32_e32 v3, v3
	s_delay_alu instid0(VALU_DEP_1) | instskip(SKIP_1) | instid1(VALU_DEP_2)
	v_fma_f32 v5, 0xcf800000, v3, |v1|
	v_cvt_u32_f32_e32 v1, v3
	v_cvt_u32_f32_e32 v3, v5
	s_delay_alu instid0(VALU_DEP_2) | instskip(NEXT) | instid1(VALU_DEP_2)
	v_dual_mov_b32 v5, v4 :: v_dual_bitop2_b32 v13, v1, v4 bitop3:0x14
	v_xor_b32_e32 v12, v3, v4
	s_delay_alu instid0(VALU_DEP_1)
	v_sub_nc_u64_e32 v[4:5], v[12:13], v[4:5]
.LBB79_638:
	s_mov_b32 s35, 0
.LBB79_639:
	s_delay_alu instid0(SALU_CYCLE_1)
	s_and_not1_b32 vcc_lo, exec_lo, s35
	s_cbranch_vccnz .LBB79_641
; %bb.640:
	global_load_u16 v1, v[10:11], off
	s_wait_loadcnt 0x0
	v_cvt_f32_f16_e32 v1, v1
	s_delay_alu instid0(VALU_DEP_1) | instskip(NEXT) | instid1(VALU_DEP_1)
	v_cvt_i32_f32_e32 v4, v1
	v_ashrrev_i32_e32 v5, 31, v4
.LBB79_641:
	s_mov_b32 s35, 0
.LBB79_642:
	s_delay_alu instid0(SALU_CYCLE_1)
	s_and_not1_b32 vcc_lo, exec_lo, s35
	s_cbranch_vccnz .LBB79_662
; %bb.643:
	s_cmp_lt_i32 s0, 2
	s_cbranch_scc1 .LBB79_647
; %bb.644:
	s_cmp_lt_i32 s0, 3
	s_cbranch_scc1 .LBB79_648
; %bb.645:
	s_cmp_gt_i32 s0, 3
	s_cbranch_scc0 .LBB79_649
; %bb.646:
	s_wait_loadcnt 0x0
	global_load_b64 v[4:5], v[10:11], off
	s_mov_b32 s35, 0
	s_branch .LBB79_650
.LBB79_647:
	s_mov_b32 s35, -1
                                        ; implicit-def: $vgpr4_vgpr5
	s_branch .LBB79_656
.LBB79_648:
	s_mov_b32 s35, -1
                                        ; implicit-def: $vgpr4_vgpr5
	s_branch .LBB79_653
.LBB79_649:
	s_mov_b32 s35, -1
                                        ; implicit-def: $vgpr4_vgpr5
.LBB79_650:
	s_delay_alu instid0(SALU_CYCLE_1)
	s_and_not1_b32 vcc_lo, exec_lo, s35
	s_cbranch_vccnz .LBB79_652
; %bb.651:
	s_wait_loadcnt 0x0
	global_load_b32 v4, v[10:11], off
	s_wait_loadcnt 0x0
	v_ashrrev_i32_e32 v5, 31, v4
.LBB79_652:
	s_mov_b32 s35, 0
.LBB79_653:
	s_delay_alu instid0(SALU_CYCLE_1)
	s_and_not1_b32 vcc_lo, exec_lo, s35
	s_cbranch_vccnz .LBB79_655
; %bb.654:
	global_load_u16 v1, v[10:11], off
	s_wait_loadcnt 0x0
	v_bfe_i32 v4, v1, 0, 16
	s_delay_alu instid0(VALU_DEP_1)
	v_ashrrev_i32_e32 v5, 31, v4
.LBB79_655:
	s_mov_b32 s35, 0
.LBB79_656:
	s_delay_alu instid0(SALU_CYCLE_1)
	s_and_not1_b32 vcc_lo, exec_lo, s35
	s_cbranch_vccnz .LBB79_662
; %bb.657:
	s_cmp_gt_i32 s0, 0
	s_mov_b32 s0, 0
	s_cbranch_scc0 .LBB79_659
; %bb.658:
	global_load_i8 v1, v[10:11], off
	s_wait_loadcnt 0x0
	v_bfe_i32 v4, v1, 0, 16
	s_delay_alu instid0(VALU_DEP_1)
	v_ashrrev_i32_e32 v5, 31, v4
	s_branch .LBB79_660
.LBB79_659:
	s_mov_b32 s0, -1
                                        ; implicit-def: $vgpr4_vgpr5
.LBB79_660:
	s_delay_alu instid0(SALU_CYCLE_1)
	s_and_not1_b32 vcc_lo, exec_lo, s0
	s_cbranch_vccnz .LBB79_662
; %bb.661:
	global_load_u8 v1, v[10:11], off
	s_mov_b32 s0, 0
	s_wait_loadcnt 0x1
	v_mov_b32_e32 v5, s0
	s_wait_loadcnt 0x0
	v_and_b32_e32 v4, 0xffff, v1
.LBB79_662:
	s_branch .LBB79_536
.LBB79_663:
	s_mov_b32 s37, 0
	s_mov_b32 s0, s48
	;; [unrolled: 1-line block ×4, first 2 shown]
	s_branch .LBB79_1031
.LBB79_664:
	s_and_not1_saveexec_b32 s52, s52
	s_cbranch_execz .LBB79_420
.LBB79_665:
	v_add_f32_e64 v6, 0x46000000, |v1|
	s_and_not1_b32 s51, s51, exec_lo
	s_delay_alu instid0(VALU_DEP_1) | instskip(NEXT) | instid1(VALU_DEP_1)
	v_and_b32_e32 v6, 0xff, v6
	v_cmp_ne_u32_e32 vcc_lo, 0, v6
	s_and_b32 s54, vcc_lo, exec_lo
	s_delay_alu instid0(SALU_CYCLE_1)
	s_or_b32 s51, s51, s54
	s_or_b32 exec_lo, exec_lo, s52
	v_mov_b32_e32 v7, 0
	s_and_saveexec_b32 s52, s51
	s_cbranch_execnz .LBB79_421
	s_branch .LBB79_422
.LBB79_666:
	s_mov_b32 s35, -1
	s_mov_b32 s37, 0
.LBB79_667:
                                        ; implicit-def: $vgpr8_vgpr9
.LBB79_668:
	s_and_b32 vcc_lo, exec_lo, s54
	s_cbranch_vccz .LBB79_672
; %bb.669:
	s_cmp_eq_u32 s36, 44
	s_cbranch_scc0 .LBB79_671
; %bb.670:
	global_load_u8 v1, v[10:11], off
	s_mov_b32 s35, 0
	s_mov_b32 s37, -1
	s_wait_loadcnt 0x0
	v_lshlrev_b32_e32 v3, 23, v1
	v_cmp_ne_u32_e32 vcc_lo, 0, v1
	s_delay_alu instid0(VALU_DEP_2) | instskip(NEXT) | instid1(VALU_DEP_1)
	v_trunc_f32_e32 v3, v3
	v_mul_f32_e64 v7, 0x2f800000, |v3|
	v_ashrrev_i32_e32 v8, 31, v3
	s_delay_alu instid0(VALU_DEP_2) | instskip(NEXT) | instid1(VALU_DEP_1)
	v_floor_f32_e32 v7, v7
	v_fma_f32 v9, 0xcf800000, v7, |v3|
	v_cvt_u32_f32_e32 v3, v7
	s_delay_alu instid0(VALU_DEP_2) | instskip(NEXT) | instid1(VALU_DEP_2)
	v_cvt_u32_f32_e32 v7, v9
	v_dual_mov_b32 v9, v8 :: v_dual_bitop2_b32 v13, v3, v8 bitop3:0x14
	s_delay_alu instid0(VALU_DEP_2) | instskip(NEXT) | instid1(VALU_DEP_1)
	v_xor_b32_e32 v12, v7, v8
	v_sub_nc_u64_e32 v[8:9], v[12:13], v[8:9]
	s_delay_alu instid0(VALU_DEP_1)
	v_dual_cndmask_b32 v9, 0, v9 :: v_dual_cndmask_b32 v8, 0, v8
	s_branch .LBB79_672
.LBB79_671:
	s_mov_b32 s35, -1
                                        ; implicit-def: $vgpr8_vgpr9
.LBB79_672:
	s_mov_b32 s54, 0
.LBB79_673:
	s_delay_alu instid0(SALU_CYCLE_1)
	s_and_b32 vcc_lo, exec_lo, s54
	s_cbranch_vccz .LBB79_677
; %bb.674:
	s_cmp_eq_u32 s36, 29
	s_cbranch_scc0 .LBB79_676
; %bb.675:
	global_load_b64 v[8:9], v[10:11], off
	s_mov_b32 s37, -1
	s_mov_b32 s35, 0
	s_branch .LBB79_677
.LBB79_676:
	s_mov_b32 s35, -1
                                        ; implicit-def: $vgpr8_vgpr9
.LBB79_677:
	s_mov_b32 s54, 0
.LBB79_678:
	s_delay_alu instid0(SALU_CYCLE_1)
	s_and_b32 vcc_lo, exec_lo, s54
	s_cbranch_vccz .LBB79_694
; %bb.679:
	s_cmp_lt_i32 s36, 27
	s_cbranch_scc1 .LBB79_682
; %bb.680:
	s_cmp_gt_i32 s36, 27
	s_cbranch_scc0 .LBB79_683
; %bb.681:
	s_wait_loadcnt 0x0
	global_load_b32 v8, v[10:11], off
	v_mov_b32_e32 v9, 0
	s_mov_b32 s37, 0
	s_branch .LBB79_684
.LBB79_682:
	s_mov_b32 s37, -1
                                        ; implicit-def: $vgpr8_vgpr9
	s_branch .LBB79_687
.LBB79_683:
	s_mov_b32 s37, -1
                                        ; implicit-def: $vgpr8_vgpr9
.LBB79_684:
	s_delay_alu instid0(SALU_CYCLE_1)
	s_and_not1_b32 vcc_lo, exec_lo, s37
	s_cbranch_vccnz .LBB79_686
; %bb.685:
	global_load_u16 v1, v[10:11], off
	s_mov_b32 s37, 0
	s_wait_loadcnt 0x1
	v_mov_b32_e32 v9, s37
	s_wait_loadcnt 0x0
	v_and_b32_e32 v8, 0xffff, v1
.LBB79_686:
	s_mov_b32 s37, 0
.LBB79_687:
	s_delay_alu instid0(SALU_CYCLE_1)
	s_and_not1_b32 vcc_lo, exec_lo, s37
	s_cbranch_vccnz .LBB79_693
; %bb.688:
	global_load_u8 v1, v[10:11], off
	s_mov_b32 s54, 0
	s_mov_b32 s37, exec_lo
	s_wait_loadcnt 0x0
	v_cmpx_lt_i16_e32 0x7f, v1
	s_xor_b32 s37, exec_lo, s37
	s_cbranch_execz .LBB79_705
; %bb.689:
	v_cmp_ne_u16_e32 vcc_lo, 0x80, v1
	s_and_b32 s54, vcc_lo, exec_lo
	s_and_not1_saveexec_b32 s37, s37
	s_cbranch_execnz .LBB79_706
.LBB79_690:
	s_or_b32 exec_lo, exec_lo, s37
	v_mov_b64_e32 v[8:9], 0
	s_and_saveexec_b32 s37, s54
	s_cbranch_execz .LBB79_692
.LBB79_691:
	v_and_b32_e32 v3, 0xffff, v1
	s_delay_alu instid0(VALU_DEP_1) | instskip(SKIP_1) | instid1(VALU_DEP_2)
	v_and_b32_e32 v7, 7, v3
	v_bfe_u32 v12, v3, 3, 4
	v_clz_i32_u32_e32 v8, v7
	s_delay_alu instid0(VALU_DEP_2) | instskip(NEXT) | instid1(VALU_DEP_2)
	v_cmp_eq_u32_e32 vcc_lo, 0, v12
	v_min_u32_e32 v8, 32, v8
	s_delay_alu instid0(VALU_DEP_1) | instskip(NEXT) | instid1(VALU_DEP_1)
	v_subrev_nc_u32_e32 v9, 28, v8
	v_dual_lshlrev_b32 v3, v9, v3 :: v_dual_sub_nc_u32 v8, 29, v8
	s_delay_alu instid0(VALU_DEP_1) | instskip(NEXT) | instid1(VALU_DEP_1)
	v_dual_lshlrev_b32 v1, 24, v1 :: v_dual_bitop2_b32 v3, 7, v3 bitop3:0x40
	v_dual_cndmask_b32 v8, v12, v8 :: v_dual_cndmask_b32 v3, v7, v3
	s_delay_alu instid0(VALU_DEP_2) | instskip(NEXT) | instid1(VALU_DEP_2)
	v_and_b32_e32 v1, 0x80000000, v1
	v_lshl_add_u32 v7, v8, 23, 0x3b800000
	s_delay_alu instid0(VALU_DEP_3) | instskip(NEXT) | instid1(VALU_DEP_1)
	v_lshlrev_b32_e32 v3, 20, v3
	v_or3_b32 v1, v1, v7, v3
	s_delay_alu instid0(VALU_DEP_1) | instskip(NEXT) | instid1(VALU_DEP_1)
	v_trunc_f32_e32 v1, v1
	v_mul_f32_e64 v3, 0x2f800000, |v1|
	v_ashrrev_i32_e32 v8, 31, v1
	s_delay_alu instid0(VALU_DEP_2) | instskip(NEXT) | instid1(VALU_DEP_2)
	v_floor_f32_e32 v3, v3
	v_mov_b32_e32 v9, v8
	s_delay_alu instid0(VALU_DEP_2) | instskip(SKIP_1) | instid1(VALU_DEP_2)
	v_fma_f32 v7, 0xcf800000, v3, |v1|
	v_cvt_u32_f32_e32 v1, v3
	v_cvt_u32_f32_e32 v3, v7
	s_delay_alu instid0(VALU_DEP_2) | instskip(NEXT) | instid1(VALU_DEP_2)
	v_xor_b32_e32 v13, v1, v8
	v_xor_b32_e32 v12, v3, v8
	s_delay_alu instid0(VALU_DEP_1)
	v_sub_nc_u64_e32 v[8:9], v[12:13], v[8:9]
.LBB79_692:
	s_or_b32 exec_lo, exec_lo, s37
.LBB79_693:
	s_mov_b32 s37, -1
.LBB79_694:
	s_mov_b32 s54, 0
.LBB79_695:
	s_delay_alu instid0(SALU_CYCLE_1)
	s_and_b32 vcc_lo, exec_lo, s54
	s_cbranch_vccz .LBB79_728
; %bb.696:
	s_cmp_gt_i32 s36, 22
	s_cbranch_scc0 .LBB79_704
; %bb.697:
	s_cmp_lt_i32 s36, 24
	s_cbranch_scc1 .LBB79_707
; %bb.698:
	s_cmp_gt_i32 s36, 24
	s_cbranch_scc0 .LBB79_708
; %bb.699:
	global_load_u8 v1, v[10:11], off
	s_mov_b32 s54, 0
	s_mov_b32 s37, exec_lo
	s_wait_loadcnt 0x0
	v_cmpx_lt_i16_e32 0x7f, v1
	s_xor_b32 s37, exec_lo, s37
	s_cbranch_execz .LBB79_720
; %bb.700:
	v_cmp_ne_u16_e32 vcc_lo, 0x80, v1
	s_and_b32 s54, vcc_lo, exec_lo
	s_and_not1_saveexec_b32 s37, s37
	s_cbranch_execnz .LBB79_721
.LBB79_701:
	s_or_b32 exec_lo, exec_lo, s37
	v_mov_b64_e32 v[8:9], 0
	s_and_saveexec_b32 s37, s54
	s_cbranch_execz .LBB79_703
.LBB79_702:
	v_and_b32_e32 v3, 0xffff, v1
	s_delay_alu instid0(VALU_DEP_1) | instskip(SKIP_1) | instid1(VALU_DEP_2)
	v_and_b32_e32 v7, 3, v3
	v_bfe_u32 v12, v3, 2, 5
	v_clz_i32_u32_e32 v8, v7
	s_delay_alu instid0(VALU_DEP_2) | instskip(NEXT) | instid1(VALU_DEP_2)
	v_cmp_eq_u32_e32 vcc_lo, 0, v12
	v_min_u32_e32 v8, 32, v8
	s_delay_alu instid0(VALU_DEP_1) | instskip(NEXT) | instid1(VALU_DEP_1)
	v_subrev_nc_u32_e32 v9, 29, v8
	v_dual_lshlrev_b32 v3, v9, v3 :: v_dual_sub_nc_u32 v8, 30, v8
	s_delay_alu instid0(VALU_DEP_1) | instskip(NEXT) | instid1(VALU_DEP_1)
	v_dual_lshlrev_b32 v1, 24, v1 :: v_dual_bitop2_b32 v3, 3, v3 bitop3:0x40
	v_dual_cndmask_b32 v8, v12, v8 :: v_dual_cndmask_b32 v3, v7, v3
	s_delay_alu instid0(VALU_DEP_2) | instskip(NEXT) | instid1(VALU_DEP_2)
	v_and_b32_e32 v1, 0x80000000, v1
	v_lshl_add_u32 v7, v8, 23, 0x37800000
	s_delay_alu instid0(VALU_DEP_3) | instskip(NEXT) | instid1(VALU_DEP_1)
	v_lshlrev_b32_e32 v3, 21, v3
	v_or3_b32 v1, v1, v7, v3
	s_delay_alu instid0(VALU_DEP_1) | instskip(NEXT) | instid1(VALU_DEP_1)
	v_trunc_f32_e32 v1, v1
	v_mul_f32_e64 v3, 0x2f800000, |v1|
	v_ashrrev_i32_e32 v8, 31, v1
	s_delay_alu instid0(VALU_DEP_2) | instskip(NEXT) | instid1(VALU_DEP_2)
	v_floor_f32_e32 v3, v3
	v_mov_b32_e32 v9, v8
	s_delay_alu instid0(VALU_DEP_2) | instskip(SKIP_1) | instid1(VALU_DEP_2)
	v_fma_f32 v7, 0xcf800000, v3, |v1|
	v_cvt_u32_f32_e32 v1, v3
	v_cvt_u32_f32_e32 v3, v7
	s_delay_alu instid0(VALU_DEP_2) | instskip(NEXT) | instid1(VALU_DEP_2)
	v_xor_b32_e32 v13, v1, v8
	v_xor_b32_e32 v12, v3, v8
	s_delay_alu instid0(VALU_DEP_1)
	v_sub_nc_u64_e32 v[8:9], v[12:13], v[8:9]
.LBB79_703:
	s_or_b32 exec_lo, exec_lo, s37
	s_mov_b32 s37, 0
	s_branch .LBB79_709
.LBB79_704:
	s_mov_b32 s54, -1
                                        ; implicit-def: $vgpr8_vgpr9
	s_branch .LBB79_715
.LBB79_705:
	s_and_not1_saveexec_b32 s37, s37
	s_cbranch_execz .LBB79_690
.LBB79_706:
	v_cmp_ne_u16_e32 vcc_lo, 0, v1
	s_and_not1_b32 s54, s54, exec_lo
	s_and_b32 s55, vcc_lo, exec_lo
	s_delay_alu instid0(SALU_CYCLE_1)
	s_or_b32 s54, s54, s55
	s_or_b32 exec_lo, exec_lo, s37
	v_mov_b64_e32 v[8:9], 0
	s_and_saveexec_b32 s37, s54
	s_cbranch_execnz .LBB79_691
	s_branch .LBB79_692
.LBB79_707:
	s_mov_b32 s37, -1
                                        ; implicit-def: $vgpr8_vgpr9
	s_branch .LBB79_712
.LBB79_708:
	s_mov_b32 s37, -1
                                        ; implicit-def: $vgpr8_vgpr9
.LBB79_709:
	s_delay_alu instid0(SALU_CYCLE_1)
	s_and_b32 vcc_lo, exec_lo, s37
	s_cbranch_vccz .LBB79_711
; %bb.710:
	global_load_u8 v1, v[10:11], off
	s_wait_loadcnt 0x0
	v_lshlrev_b32_e32 v1, 24, v1
	s_delay_alu instid0(VALU_DEP_1) | instskip(NEXT) | instid1(VALU_DEP_1)
	v_and_b32_e32 v3, 0x7f000000, v1
	v_clz_i32_u32_e32 v7, v3
	v_add_nc_u32_e32 v9, 0x1000000, v3
	v_cmp_ne_u32_e32 vcc_lo, 0, v3
	s_delay_alu instid0(VALU_DEP_3) | instskip(NEXT) | instid1(VALU_DEP_1)
	v_min_u32_e32 v7, 32, v7
	v_sub_nc_u32_e64 v7, v7, 4 clamp
	s_delay_alu instid0(VALU_DEP_1) | instskip(NEXT) | instid1(VALU_DEP_1)
	v_lshlrev_b32_e32 v8, v7, v3
	v_dual_lshlrev_b32 v7, 23, v7 :: v_dual_lshrrev_b32 v8, 4, v8
	s_delay_alu instid0(VALU_DEP_1) | instskip(NEXT) | instid1(VALU_DEP_1)
	v_dual_sub_nc_u32 v7, v8, v7 :: v_dual_ashrrev_i32 v8, 8, v9
	v_add_nc_u32_e32 v7, 0x3c000000, v7
	s_delay_alu instid0(VALU_DEP_1) | instskip(NEXT) | instid1(VALU_DEP_1)
	v_and_or_b32 v7, 0x7f800000, v8, v7
	v_cndmask_b32_e32 v3, 0, v7, vcc_lo
	s_delay_alu instid0(VALU_DEP_1) | instskip(NEXT) | instid1(VALU_DEP_1)
	v_and_or_b32 v1, 0x80000000, v1, v3
	v_trunc_f32_e32 v1, v1
	s_delay_alu instid0(VALU_DEP_1) | instskip(SKIP_1) | instid1(VALU_DEP_2)
	v_mul_f32_e64 v3, 0x2f800000, |v1|
	v_ashrrev_i32_e32 v8, 31, v1
	v_floor_f32_e32 v3, v3
	s_delay_alu instid0(VALU_DEP_1) | instskip(SKIP_1) | instid1(VALU_DEP_4)
	v_fma_f32 v7, 0xcf800000, v3, |v1|
	v_cvt_u32_f32_e32 v1, v3
	v_mov_b32_e32 v9, v8
	s_delay_alu instid0(VALU_DEP_3) | instskip(NEXT) | instid1(VALU_DEP_3)
	v_cvt_u32_f32_e32 v3, v7
	v_xor_b32_e32 v13, v1, v8
	s_delay_alu instid0(VALU_DEP_2) | instskip(NEXT) | instid1(VALU_DEP_1)
	v_xor_b32_e32 v12, v3, v8
	v_sub_nc_u64_e32 v[8:9], v[12:13], v[8:9]
.LBB79_711:
	s_mov_b32 s37, 0
.LBB79_712:
	s_delay_alu instid0(SALU_CYCLE_1)
	s_and_not1_b32 vcc_lo, exec_lo, s37
	s_cbranch_vccnz .LBB79_714
; %bb.713:
	global_load_u8 v1, v[10:11], off
	s_wait_loadcnt 0x0
	v_lshlrev_b32_e32 v3, 25, v1
	v_lshlrev_b16 v1, 8, v1
	s_delay_alu instid0(VALU_DEP_1) | instskip(SKIP_1) | instid1(VALU_DEP_2)
	v_and_or_b32 v8, 0x7f00, v1, 0.5
	v_bfe_i32 v1, v1, 0, 16
	v_dual_add_f32 v8, -0.5, v8 :: v_dual_lshrrev_b32 v7, 4, v3
	v_cmp_gt_u32_e32 vcc_lo, 0x8000000, v3
	s_delay_alu instid0(VALU_DEP_2) | instskip(NEXT) | instid1(VALU_DEP_1)
	v_or_b32_e32 v7, 0x70000000, v7
	v_mul_f32_e32 v7, 0x7800000, v7
	s_delay_alu instid0(VALU_DEP_1) | instskip(NEXT) | instid1(VALU_DEP_1)
	v_cndmask_b32_e32 v3, v7, v8, vcc_lo
	v_and_or_b32 v1, 0x80000000, v1, v3
	s_delay_alu instid0(VALU_DEP_1) | instskip(NEXT) | instid1(VALU_DEP_1)
	v_trunc_f32_e32 v1, v1
	v_mul_f32_e64 v3, 0x2f800000, |v1|
	v_ashrrev_i32_e32 v8, 31, v1
	s_delay_alu instid0(VALU_DEP_2) | instskip(NEXT) | instid1(VALU_DEP_2)
	v_floor_f32_e32 v3, v3
	v_mov_b32_e32 v9, v8
	s_delay_alu instid0(VALU_DEP_2) | instskip(SKIP_1) | instid1(VALU_DEP_2)
	v_fma_f32 v7, 0xcf800000, v3, |v1|
	v_cvt_u32_f32_e32 v1, v3
	v_cvt_u32_f32_e32 v3, v7
	s_delay_alu instid0(VALU_DEP_2) | instskip(NEXT) | instid1(VALU_DEP_2)
	v_xor_b32_e32 v13, v1, v8
	v_xor_b32_e32 v12, v3, v8
	s_delay_alu instid0(VALU_DEP_1)
	v_sub_nc_u64_e32 v[8:9], v[12:13], v[8:9]
.LBB79_714:
	s_mov_b32 s54, 0
	s_mov_b32 s37, -1
.LBB79_715:
	s_and_not1_b32 vcc_lo, exec_lo, s54
	s_cbranch_vccnz .LBB79_728
; %bb.716:
	s_cmp_gt_i32 s36, 14
	s_cbranch_scc0 .LBB79_719
; %bb.717:
	s_cmp_eq_u32 s36, 15
	s_cbranch_scc0 .LBB79_722
; %bb.718:
	global_load_u16 v1, v[10:11], off
	s_mov_b32 s37, -1
	s_mov_b32 s35, 0
	s_wait_loadcnt 0x0
	v_lshlrev_b32_e32 v1, 16, v1
	s_delay_alu instid0(VALU_DEP_1) | instskip(NEXT) | instid1(VALU_DEP_1)
	v_trunc_f32_e32 v1, v1
	v_mul_f32_e64 v3, 0x2f800000, |v1|
	v_ashrrev_i32_e32 v8, 31, v1
	s_delay_alu instid0(VALU_DEP_2) | instskip(NEXT) | instid1(VALU_DEP_2)
	v_floor_f32_e32 v3, v3
	v_mov_b32_e32 v9, v8
	s_delay_alu instid0(VALU_DEP_2) | instskip(SKIP_1) | instid1(VALU_DEP_2)
	v_fma_f32 v7, 0xcf800000, v3, |v1|
	v_cvt_u32_f32_e32 v1, v3
	v_cvt_u32_f32_e32 v3, v7
	s_delay_alu instid0(VALU_DEP_2) | instskip(NEXT) | instid1(VALU_DEP_2)
	v_xor_b32_e32 v13, v1, v8
	v_xor_b32_e32 v12, v3, v8
	s_delay_alu instid0(VALU_DEP_1)
	v_sub_nc_u64_e32 v[8:9], v[12:13], v[8:9]
	s_branch .LBB79_723
.LBB79_719:
	s_mov_b32 s54, -1
                                        ; implicit-def: $vgpr8_vgpr9
	s_branch .LBB79_724
.LBB79_720:
	s_and_not1_saveexec_b32 s37, s37
	s_cbranch_execz .LBB79_701
.LBB79_721:
	v_cmp_ne_u16_e32 vcc_lo, 0, v1
	s_and_not1_b32 s54, s54, exec_lo
	s_and_b32 s55, vcc_lo, exec_lo
	s_delay_alu instid0(SALU_CYCLE_1)
	s_or_b32 s54, s54, s55
	s_or_b32 exec_lo, exec_lo, s37
	v_mov_b64_e32 v[8:9], 0
	s_and_saveexec_b32 s37, s54
	s_cbranch_execnz .LBB79_702
	s_branch .LBB79_703
.LBB79_722:
	s_mov_b32 s35, -1
                                        ; implicit-def: $vgpr8_vgpr9
.LBB79_723:
	s_mov_b32 s54, 0
.LBB79_724:
	s_delay_alu instid0(SALU_CYCLE_1)
	s_and_b32 vcc_lo, exec_lo, s54
	s_cbranch_vccz .LBB79_728
; %bb.725:
	s_cmp_eq_u32 s36, 11
	s_cbranch_scc0 .LBB79_727
; %bb.726:
	global_load_u8 v1, v[10:11], off
	s_mov_b32 s35, 0
	s_mov_b32 s37, -1
	s_wait_loadcnt 0x1
	v_mov_b32_e32 v9, s35
	s_wait_loadcnt 0x0
	v_cmp_ne_u16_e32 vcc_lo, 0, v1
	v_cndmask_b32_e64 v8, 0, 1, vcc_lo
	s_branch .LBB79_728
.LBB79_727:
	s_mov_b32 s35, -1
                                        ; implicit-def: $vgpr8_vgpr9
.LBB79_728:
	s_mov_b32 s36, 0
.LBB79_729:
	s_delay_alu instid0(SALU_CYCLE_1)
	s_and_b32 vcc_lo, exec_lo, s36
	s_cbranch_vccz .LBB79_778
; %bb.730:
	s_and_b32 s0, 0xffff, s0
	s_delay_alu instid0(SALU_CYCLE_1)
	s_cmp_lt_i32 s0, 5
	s_cbranch_scc1 .LBB79_735
; %bb.731:
	s_cmp_lt_i32 s0, 8
	s_cbranch_scc1 .LBB79_736
; %bb.732:
	;; [unrolled: 3-line block ×3, first 2 shown]
	s_cmp_gt_i32 s0, 9
	s_cbranch_scc0 .LBB79_738
; %bb.734:
	s_wait_loadcnt 0x0
	global_load_b64 v[8:9], v[10:11], off
	s_mov_b32 s36, 0
	s_wait_loadcnt 0x0
	v_trunc_f64_e32 v[8:9], v[8:9]
	s_delay_alu instid0(VALU_DEP_1) | instskip(NEXT) | instid1(VALU_DEP_1)
	v_ldexp_f64 v[12:13], v[8:9], 0xffffffe0
	v_floor_f64_e32 v[12:13], v[12:13]
	s_delay_alu instid0(VALU_DEP_1) | instskip(SKIP_1) | instid1(VALU_DEP_2)
	v_fmamk_f64 v[14:15], v[12:13], 0xc1f00000, v[8:9]
	v_cvt_i32_f64_e32 v9, v[12:13]
	v_cvt_u32_f64_e32 v8, v[14:15]
	s_branch .LBB79_739
.LBB79_735:
	s_mov_b32 s36, -1
                                        ; implicit-def: $vgpr8_vgpr9
	s_branch .LBB79_757
.LBB79_736:
	s_mov_b32 s36, -1
                                        ; implicit-def: $vgpr8_vgpr9
	s_branch .LBB79_745
.LBB79_737:
	s_mov_b32 s36, -1
                                        ; implicit-def: $vgpr8_vgpr9
	s_branch .LBB79_742
.LBB79_738:
	s_mov_b32 s36, -1
                                        ; implicit-def: $vgpr8_vgpr9
.LBB79_739:
	s_delay_alu instid0(SALU_CYCLE_1)
	s_and_not1_b32 vcc_lo, exec_lo, s36
	s_cbranch_vccnz .LBB79_741
; %bb.740:
	global_load_b32 v1, v[10:11], off
	s_wait_loadcnt 0x0
	v_trunc_f32_e32 v1, v1
	s_delay_alu instid0(VALU_DEP_1) | instskip(SKIP_1) | instid1(VALU_DEP_2)
	v_mul_f32_e64 v3, 0x2f800000, |v1|
	v_ashrrev_i32_e32 v8, 31, v1
	v_floor_f32_e32 v3, v3
	s_delay_alu instid0(VALU_DEP_1) | instskip(SKIP_1) | instid1(VALU_DEP_4)
	v_fma_f32 v7, 0xcf800000, v3, |v1|
	v_cvt_u32_f32_e32 v1, v3
	v_mov_b32_e32 v9, v8
	s_delay_alu instid0(VALU_DEP_3) | instskip(NEXT) | instid1(VALU_DEP_3)
	v_cvt_u32_f32_e32 v3, v7
	v_xor_b32_e32 v13, v1, v8
	s_delay_alu instid0(VALU_DEP_2) | instskip(NEXT) | instid1(VALU_DEP_1)
	v_xor_b32_e32 v12, v3, v8
	v_sub_nc_u64_e32 v[8:9], v[12:13], v[8:9]
.LBB79_741:
	s_mov_b32 s36, 0
.LBB79_742:
	s_delay_alu instid0(SALU_CYCLE_1)
	s_and_not1_b32 vcc_lo, exec_lo, s36
	s_cbranch_vccnz .LBB79_744
; %bb.743:
	global_load_b32 v1, v[10:11], off
	s_wait_loadcnt 0x0
	v_cvt_f32_f16_e32 v1, v1
	s_delay_alu instid0(VALU_DEP_1) | instskip(NEXT) | instid1(VALU_DEP_1)
	v_cvt_i32_f32_e32 v8, v1
	v_ashrrev_i32_e32 v9, 31, v8
.LBB79_744:
	s_mov_b32 s36, 0
.LBB79_745:
	s_delay_alu instid0(SALU_CYCLE_1)
	s_and_not1_b32 vcc_lo, exec_lo, s36
	s_cbranch_vccnz .LBB79_756
; %bb.746:
	s_cmp_lt_i32 s0, 6
	s_cbranch_scc1 .LBB79_749
; %bb.747:
	s_cmp_gt_i32 s0, 6
	s_cbranch_scc0 .LBB79_750
; %bb.748:
	s_wait_loadcnt 0x0
	global_load_b64 v[8:9], v[10:11], off
	s_mov_b32 s36, 0
	s_wait_loadcnt 0x0
	v_trunc_f64_e32 v[8:9], v[8:9]
	s_delay_alu instid0(VALU_DEP_1) | instskip(NEXT) | instid1(VALU_DEP_1)
	v_ldexp_f64 v[12:13], v[8:9], 0xffffffe0
	v_floor_f64_e32 v[12:13], v[12:13]
	s_delay_alu instid0(VALU_DEP_1) | instskip(SKIP_1) | instid1(VALU_DEP_2)
	v_fmamk_f64 v[14:15], v[12:13], 0xc1f00000, v[8:9]
	v_cvt_i32_f64_e32 v9, v[12:13]
	v_cvt_u32_f64_e32 v8, v[14:15]
	s_branch .LBB79_751
.LBB79_749:
	s_mov_b32 s36, -1
                                        ; implicit-def: $vgpr8_vgpr9
	s_branch .LBB79_754
.LBB79_750:
	s_mov_b32 s36, -1
                                        ; implicit-def: $vgpr8_vgpr9
.LBB79_751:
	s_delay_alu instid0(SALU_CYCLE_1)
	s_and_not1_b32 vcc_lo, exec_lo, s36
	s_cbranch_vccnz .LBB79_753
; %bb.752:
	global_load_b32 v1, v[10:11], off
	s_wait_loadcnt 0x0
	v_trunc_f32_e32 v1, v1
	s_delay_alu instid0(VALU_DEP_1) | instskip(SKIP_1) | instid1(VALU_DEP_2)
	v_mul_f32_e64 v3, 0x2f800000, |v1|
	v_ashrrev_i32_e32 v8, 31, v1
	v_floor_f32_e32 v3, v3
	s_delay_alu instid0(VALU_DEP_1) | instskip(SKIP_1) | instid1(VALU_DEP_4)
	v_fma_f32 v7, 0xcf800000, v3, |v1|
	v_cvt_u32_f32_e32 v1, v3
	v_mov_b32_e32 v9, v8
	s_delay_alu instid0(VALU_DEP_3) | instskip(NEXT) | instid1(VALU_DEP_3)
	v_cvt_u32_f32_e32 v3, v7
	v_xor_b32_e32 v13, v1, v8
	s_delay_alu instid0(VALU_DEP_2) | instskip(NEXT) | instid1(VALU_DEP_1)
	v_xor_b32_e32 v12, v3, v8
	v_sub_nc_u64_e32 v[8:9], v[12:13], v[8:9]
.LBB79_753:
	s_mov_b32 s36, 0
.LBB79_754:
	s_delay_alu instid0(SALU_CYCLE_1)
	s_and_not1_b32 vcc_lo, exec_lo, s36
	s_cbranch_vccnz .LBB79_756
; %bb.755:
	global_load_u16 v1, v[10:11], off
	s_wait_loadcnt 0x0
	v_cvt_f32_f16_e32 v1, v1
	s_delay_alu instid0(VALU_DEP_1) | instskip(NEXT) | instid1(VALU_DEP_1)
	v_cvt_i32_f32_e32 v8, v1
	v_ashrrev_i32_e32 v9, 31, v8
.LBB79_756:
	s_mov_b32 s36, 0
.LBB79_757:
	s_delay_alu instid0(SALU_CYCLE_1)
	s_and_not1_b32 vcc_lo, exec_lo, s36
	s_cbranch_vccnz .LBB79_777
; %bb.758:
	s_cmp_lt_i32 s0, 2
	s_cbranch_scc1 .LBB79_762
; %bb.759:
	s_cmp_lt_i32 s0, 3
	s_cbranch_scc1 .LBB79_763
; %bb.760:
	s_cmp_gt_i32 s0, 3
	s_cbranch_scc0 .LBB79_764
; %bb.761:
	s_wait_loadcnt 0x0
	global_load_b64 v[8:9], v[10:11], off
	s_mov_b32 s36, 0
	s_branch .LBB79_765
.LBB79_762:
	s_mov_b32 s36, -1
                                        ; implicit-def: $vgpr8_vgpr9
	s_branch .LBB79_771
.LBB79_763:
	s_mov_b32 s36, -1
                                        ; implicit-def: $vgpr8_vgpr9
	s_branch .LBB79_768
.LBB79_764:
	s_mov_b32 s36, -1
                                        ; implicit-def: $vgpr8_vgpr9
.LBB79_765:
	s_delay_alu instid0(SALU_CYCLE_1)
	s_and_not1_b32 vcc_lo, exec_lo, s36
	s_cbranch_vccnz .LBB79_767
; %bb.766:
	s_wait_loadcnt 0x0
	global_load_b32 v8, v[10:11], off
	s_wait_loadcnt 0x0
	v_ashrrev_i32_e32 v9, 31, v8
.LBB79_767:
	s_mov_b32 s36, 0
.LBB79_768:
	s_delay_alu instid0(SALU_CYCLE_1)
	s_and_not1_b32 vcc_lo, exec_lo, s36
	s_cbranch_vccnz .LBB79_770
; %bb.769:
	global_load_u16 v1, v[10:11], off
	s_wait_loadcnt 0x0
	v_bfe_i32 v8, v1, 0, 16
	s_delay_alu instid0(VALU_DEP_1)
	v_ashrrev_i32_e32 v9, 31, v8
.LBB79_770:
	s_mov_b32 s36, 0
.LBB79_771:
	s_delay_alu instid0(SALU_CYCLE_1)
	s_and_not1_b32 vcc_lo, exec_lo, s36
	s_cbranch_vccnz .LBB79_777
; %bb.772:
	s_cmp_gt_i32 s0, 0
	s_mov_b32 s0, 0
	s_cbranch_scc0 .LBB79_774
; %bb.773:
	global_load_i8 v1, v[10:11], off
	s_wait_loadcnt 0x0
	v_bfe_i32 v8, v1, 0, 16
	s_delay_alu instid0(VALU_DEP_1)
	v_ashrrev_i32_e32 v9, 31, v8
	s_branch .LBB79_775
.LBB79_774:
	s_mov_b32 s0, -1
                                        ; implicit-def: $vgpr8_vgpr9
.LBB79_775:
	s_delay_alu instid0(SALU_CYCLE_1)
	s_and_not1_b32 vcc_lo, exec_lo, s0
	s_cbranch_vccnz .LBB79_777
; %bb.776:
	global_load_u8 v1, v[10:11], off
	s_mov_b32 s0, 0
	s_wait_loadcnt 0x1
	v_mov_b32_e32 v9, s0
	s_wait_loadcnt 0x0
	v_and_b32_e32 v8, 0xffff, v1
.LBB79_777:
	s_mov_b32 s37, -1
.LBB79_778:
	s_delay_alu instid0(SALU_CYCLE_1)
	s_and_not1_b32 vcc_lo, exec_lo, s37
	s_cbranch_vccnz .LBB79_786
; %bb.779:
	v_mov_b32_e32 v7, 0
	s_and_b32 s0, 0xffff, s25
	s_delay_alu instid0(SALU_CYCLE_1) | instskip(NEXT) | instid1(VALU_DEP_1)
	s_cmp_lt_i32 s0, 11
	v_add_nc_u64_e32 v[6:7], s[10:11], v[6:7]
	s_cbranch_scc1 .LBB79_787
; %bb.780:
	s_cmp_gt_i32 s0, 25
	s_cbranch_scc0 .LBB79_788
; %bb.781:
	s_cmp_gt_i32 s0, 28
	s_cbranch_scc0 .LBB79_789
; %bb.782:
	s_cmp_gt_i32 s0, 43
	s_cbranch_scc0 .LBB79_790
; %bb.783:
	s_cmp_gt_i32 s0, 45
	s_cbranch_scc0 .LBB79_791
; %bb.784:
	s_cmp_eq_u32 s0, 46
	s_mov_b32 s54, 0
	s_cbranch_scc0 .LBB79_794
; %bb.785:
	global_load_b32 v1, v[6:7], off
	s_mov_b32 s37, -1
	s_mov_b32 s36, 0
	s_wait_loadcnt 0x0
	v_lshlrev_b32_e32 v1, 16, v1
	s_delay_alu instid0(VALU_DEP_1) | instskip(NEXT) | instid1(VALU_DEP_1)
	v_trunc_f32_e32 v1, v1
	v_mul_f32_e64 v3, 0x2f800000, |v1|
	s_wait_xcnt 0x1
	v_ashrrev_i32_e32 v10, 31, v1
	s_delay_alu instid0(VALU_DEP_2) | instskip(NEXT) | instid1(VALU_DEP_1)
	v_floor_f32_e32 v3, v3
	v_fma_f32 v11, 0xcf800000, v3, |v1|
	v_cvt_u32_f32_e32 v1, v3
	s_delay_alu instid0(VALU_DEP_2) | instskip(NEXT) | instid1(VALU_DEP_2)
	v_cvt_u32_f32_e32 v3, v11
	v_dual_mov_b32 v11, v10 :: v_dual_bitop2_b32 v13, v1, v10 bitop3:0x14
	s_delay_alu instid0(VALU_DEP_2) | instskip(NEXT) | instid1(VALU_DEP_1)
	v_xor_b32_e32 v12, v3, v10
	v_sub_nc_u64_e32 v[10:11], v[12:13], v[10:11]
	s_branch .LBB79_796
.LBB79_786:
	s_mov_b32 s37, 0
	s_mov_b32 s0, s48
	;; [unrolled: 1-line block ×3, first 2 shown]
	s_branch .LBB79_1031
.LBB79_787:
	s_mov_b32 s54, -1
	s_mov_b32 s37, 0
	s_mov_b32 s36, s50
                                        ; implicit-def: $vgpr10_vgpr11
	s_branch .LBB79_857
.LBB79_788:
	s_mov_b32 s54, -1
	s_mov_b32 s37, 0
	s_mov_b32 s36, s50
                                        ; implicit-def: $vgpr10_vgpr11
	s_branch .LBB79_823
.LBB79_789:
	s_mov_b32 s54, -1
	s_mov_b32 s37, 0
	s_mov_b32 s36, s50
                                        ; implicit-def: $vgpr10_vgpr11
	s_branch .LBB79_806
.LBB79_790:
	s_mov_b32 s54, -1
	s_mov_b32 s37, 0
	s_mov_b32 s36, s50
                                        ; implicit-def: $vgpr10_vgpr11
	s_branch .LBB79_801
.LBB79_791:
	s_mov_b32 s54, -1
	s_mov_b32 s37, 0
	s_mov_b32 s36, s50
	s_branch .LBB79_795
.LBB79_792:
	s_and_not1_saveexec_b32 s52, s52
	s_cbranch_execz .LBB79_433
.LBB79_793:
	v_add_f32_e64 v6, 0x42800000, |v1|
	s_and_not1_b32 s51, s51, exec_lo
	s_delay_alu instid0(VALU_DEP_1) | instskip(NEXT) | instid1(VALU_DEP_1)
	v_and_b32_e32 v6, 0xff, v6
	v_cmp_ne_u32_e32 vcc_lo, 0, v6
	s_and_b32 s54, vcc_lo, exec_lo
	s_delay_alu instid0(SALU_CYCLE_1)
	s_or_b32 s51, s51, s54
	s_or_b32 exec_lo, exec_lo, s52
	v_mov_b32_e32 v7, 0
	s_and_saveexec_b32 s52, s51
	s_cbranch_execnz .LBB79_434
	s_branch .LBB79_435
.LBB79_794:
	s_mov_b32 s36, -1
	s_mov_b32 s37, 0
.LBB79_795:
                                        ; implicit-def: $vgpr10_vgpr11
.LBB79_796:
	s_and_b32 vcc_lo, exec_lo, s54
	s_cbranch_vccz .LBB79_800
; %bb.797:
	s_cmp_eq_u32 s0, 44
	s_cbranch_scc0 .LBB79_799
; %bb.798:
	global_load_u8 v1, v[6:7], off
	s_mov_b32 s36, 0
	s_mov_b32 s37, -1
	s_wait_loadcnt 0x0
	v_lshlrev_b32_e32 v3, 23, v1
	v_cmp_ne_u32_e32 vcc_lo, 0, v1
	s_delay_alu instid0(VALU_DEP_2) | instskip(SKIP_1) | instid1(VALU_DEP_1)
	v_trunc_f32_e32 v3, v3
	s_wait_xcnt 0x1
	v_mul_f32_e64 v10, 0x2f800000, |v3|
	s_delay_alu instid0(VALU_DEP_1) | instskip(SKIP_1) | instid1(VALU_DEP_2)
	v_floor_f32_e32 v11, v10
	v_ashrrev_i32_e32 v10, 31, v3
	v_fma_f32 v12, 0xcf800000, v11, |v3|
	v_cvt_u32_f32_e32 v3, v11
	s_delay_alu instid0(VALU_DEP_3) | instskip(NEXT) | instid1(VALU_DEP_3)
	v_mov_b32_e32 v11, v10
	v_cvt_u32_f32_e32 v12, v12
	s_delay_alu instid0(VALU_DEP_3) | instskip(NEXT) | instid1(VALU_DEP_2)
	v_xor_b32_e32 v13, v3, v10
	v_xor_b32_e32 v12, v12, v10
	s_delay_alu instid0(VALU_DEP_1) | instskip(NEXT) | instid1(VALU_DEP_1)
	v_sub_nc_u64_e32 v[10:11], v[12:13], v[10:11]
	v_dual_cndmask_b32 v11, 0, v11 :: v_dual_cndmask_b32 v10, 0, v10
	s_branch .LBB79_800
.LBB79_799:
	s_mov_b32 s36, -1
                                        ; implicit-def: $vgpr10_vgpr11
.LBB79_800:
	s_mov_b32 s54, 0
.LBB79_801:
	s_delay_alu instid0(SALU_CYCLE_1)
	s_and_b32 vcc_lo, exec_lo, s54
	s_cbranch_vccz .LBB79_805
; %bb.802:
	s_cmp_eq_u32 s0, 29
	s_cbranch_scc0 .LBB79_804
; %bb.803:
	global_load_b64 v[10:11], v[6:7], off
	s_mov_b32 s37, -1
	s_mov_b32 s36, 0
	s_branch .LBB79_805
.LBB79_804:
	s_mov_b32 s36, -1
                                        ; implicit-def: $vgpr10_vgpr11
.LBB79_805:
	s_mov_b32 s54, 0
.LBB79_806:
	s_delay_alu instid0(SALU_CYCLE_1)
	s_and_b32 vcc_lo, exec_lo, s54
	s_cbranch_vccz .LBB79_822
; %bb.807:
	s_cmp_lt_i32 s0, 27
	s_cbranch_scc1 .LBB79_810
; %bb.808:
	s_cmp_gt_i32 s0, 27
	s_cbranch_scc0 .LBB79_811
; %bb.809:
	s_wait_loadcnt 0x0
	global_load_b32 v10, v[6:7], off
	v_mov_b32_e32 v11, 0
	s_mov_b32 s37, 0
	s_branch .LBB79_812
.LBB79_810:
	s_mov_b32 s37, -1
                                        ; implicit-def: $vgpr10_vgpr11
	s_branch .LBB79_815
.LBB79_811:
	s_mov_b32 s37, -1
                                        ; implicit-def: $vgpr10_vgpr11
.LBB79_812:
	s_delay_alu instid0(SALU_CYCLE_1)
	s_and_not1_b32 vcc_lo, exec_lo, s37
	s_cbranch_vccnz .LBB79_814
; %bb.813:
	global_load_u16 v1, v[6:7], off
	s_mov_b32 s37, 0
	s_wait_loadcnt 0x1
	s_wait_xcnt 0x1
	v_mov_b32_e32 v11, s37
	s_wait_loadcnt 0x0
	v_and_b32_e32 v10, 0xffff, v1
.LBB79_814:
	s_mov_b32 s37, 0
.LBB79_815:
	s_delay_alu instid0(SALU_CYCLE_1)
	s_and_not1_b32 vcc_lo, exec_lo, s37
	s_cbranch_vccnz .LBB79_821
; %bb.816:
	global_load_u8 v1, v[6:7], off
	s_mov_b32 s54, 0
	s_mov_b32 s37, exec_lo
	s_wait_loadcnt 0x0
	v_cmpx_lt_i16_e32 0x7f, v1
	s_xor_b32 s37, exec_lo, s37
	s_cbranch_execz .LBB79_833
; %bb.817:
	v_cmp_ne_u16_e32 vcc_lo, 0x80, v1
	s_and_b32 s54, vcc_lo, exec_lo
	s_and_not1_saveexec_b32 s37, s37
	s_cbranch_execnz .LBB79_834
.LBB79_818:
	s_or_b32 exec_lo, exec_lo, s37
	v_mov_b64_e32 v[10:11], 0
	s_and_saveexec_b32 s37, s54
	s_cbranch_execz .LBB79_820
.LBB79_819:
	v_and_b32_e32 v3, 0xffff, v1
	s_delay_alu instid0(VALU_DEP_1) | instskip(SKIP_1) | instid1(VALU_DEP_2)
	v_dual_lshlrev_b32 v1, 24, v1 :: v_dual_bitop2_b32 v10, 7, v3 bitop3:0x40
	v_bfe_u32 v13, v3, 3, 4
	v_and_b32_e32 v1, 0x80000000, v1
	s_delay_alu instid0(VALU_DEP_3) | instskip(NEXT) | instid1(VALU_DEP_3)
	v_clz_i32_u32_e32 v11, v10
	v_cmp_eq_u32_e32 vcc_lo, 0, v13
	s_delay_alu instid0(VALU_DEP_2) | instskip(NEXT) | instid1(VALU_DEP_1)
	v_min_u32_e32 v11, 32, v11
	v_subrev_nc_u32_e32 v12, 28, v11
	v_sub_nc_u32_e32 v11, 29, v11
	s_delay_alu instid0(VALU_DEP_2) | instskip(NEXT) | instid1(VALU_DEP_2)
	v_lshlrev_b32_e32 v3, v12, v3
	v_cndmask_b32_e32 v11, v13, v11, vcc_lo
	s_delay_alu instid0(VALU_DEP_2) | instskip(NEXT) | instid1(VALU_DEP_1)
	v_and_b32_e32 v3, 7, v3
	v_cndmask_b32_e32 v3, v10, v3, vcc_lo
	s_delay_alu instid0(VALU_DEP_3) | instskip(NEXT) | instid1(VALU_DEP_2)
	v_lshl_add_u32 v10, v11, 23, 0x3b800000
	v_lshlrev_b32_e32 v3, 20, v3
	s_delay_alu instid0(VALU_DEP_1) | instskip(NEXT) | instid1(VALU_DEP_1)
	v_or3_b32 v1, v1, v10, v3
	v_trunc_f32_e32 v1, v1
	s_delay_alu instid0(VALU_DEP_1) | instskip(SKIP_1) | instid1(VALU_DEP_2)
	v_mul_f32_e64 v3, 0x2f800000, |v1|
	v_ashrrev_i32_e32 v10, 31, v1
	v_floor_f32_e32 v3, v3
	s_delay_alu instid0(VALU_DEP_1) | instskip(SKIP_1) | instid1(VALU_DEP_2)
	v_fma_f32 v11, 0xcf800000, v3, |v1|
	v_cvt_u32_f32_e32 v1, v3
	v_cvt_u32_f32_e32 v3, v11
	s_delay_alu instid0(VALU_DEP_2) | instskip(NEXT) | instid1(VALU_DEP_2)
	v_dual_mov_b32 v11, v10 :: v_dual_bitop2_b32 v13, v1, v10 bitop3:0x14
	v_xor_b32_e32 v12, v3, v10
	s_delay_alu instid0(VALU_DEP_1)
	v_sub_nc_u64_e32 v[10:11], v[12:13], v[10:11]
.LBB79_820:
	s_or_b32 exec_lo, exec_lo, s37
.LBB79_821:
	s_mov_b32 s37, -1
.LBB79_822:
	s_mov_b32 s54, 0
.LBB79_823:
	s_delay_alu instid0(SALU_CYCLE_1)
	s_and_b32 vcc_lo, exec_lo, s54
	s_cbranch_vccz .LBB79_856
; %bb.824:
	s_cmp_gt_i32 s0, 22
	s_cbranch_scc0 .LBB79_832
; %bb.825:
	s_cmp_lt_i32 s0, 24
	s_cbranch_scc1 .LBB79_835
; %bb.826:
	s_cmp_gt_i32 s0, 24
	s_cbranch_scc0 .LBB79_836
; %bb.827:
	global_load_u8 v1, v[6:7], off
	s_mov_b32 s54, 0
	s_mov_b32 s37, exec_lo
	s_wait_loadcnt 0x0
	v_cmpx_lt_i16_e32 0x7f, v1
	s_xor_b32 s37, exec_lo, s37
	s_cbranch_execz .LBB79_848
; %bb.828:
	v_cmp_ne_u16_e32 vcc_lo, 0x80, v1
	s_and_b32 s54, vcc_lo, exec_lo
	s_and_not1_saveexec_b32 s37, s37
	s_cbranch_execnz .LBB79_849
.LBB79_829:
	s_or_b32 exec_lo, exec_lo, s37
	v_mov_b64_e32 v[10:11], 0
	s_and_saveexec_b32 s37, s54
	s_cbranch_execz .LBB79_831
.LBB79_830:
	v_and_b32_e32 v3, 0xffff, v1
	s_delay_alu instid0(VALU_DEP_1) | instskip(SKIP_1) | instid1(VALU_DEP_2)
	v_dual_lshlrev_b32 v1, 24, v1 :: v_dual_bitop2_b32 v10, 3, v3 bitop3:0x40
	v_bfe_u32 v13, v3, 2, 5
	v_and_b32_e32 v1, 0x80000000, v1
	s_delay_alu instid0(VALU_DEP_3) | instskip(NEXT) | instid1(VALU_DEP_3)
	v_clz_i32_u32_e32 v11, v10
	v_cmp_eq_u32_e32 vcc_lo, 0, v13
	s_delay_alu instid0(VALU_DEP_2) | instskip(NEXT) | instid1(VALU_DEP_1)
	v_min_u32_e32 v11, 32, v11
	v_subrev_nc_u32_e32 v12, 29, v11
	v_sub_nc_u32_e32 v11, 30, v11
	s_delay_alu instid0(VALU_DEP_2) | instskip(NEXT) | instid1(VALU_DEP_2)
	v_lshlrev_b32_e32 v3, v12, v3
	v_cndmask_b32_e32 v11, v13, v11, vcc_lo
	s_delay_alu instid0(VALU_DEP_2) | instskip(NEXT) | instid1(VALU_DEP_1)
	v_and_b32_e32 v3, 3, v3
	v_cndmask_b32_e32 v3, v10, v3, vcc_lo
	s_delay_alu instid0(VALU_DEP_3) | instskip(NEXT) | instid1(VALU_DEP_2)
	v_lshl_add_u32 v10, v11, 23, 0x37800000
	v_lshlrev_b32_e32 v3, 21, v3
	s_delay_alu instid0(VALU_DEP_1) | instskip(NEXT) | instid1(VALU_DEP_1)
	v_or3_b32 v1, v1, v10, v3
	v_trunc_f32_e32 v1, v1
	s_delay_alu instid0(VALU_DEP_1) | instskip(SKIP_1) | instid1(VALU_DEP_2)
	v_mul_f32_e64 v3, 0x2f800000, |v1|
	v_ashrrev_i32_e32 v10, 31, v1
	v_floor_f32_e32 v3, v3
	s_delay_alu instid0(VALU_DEP_1) | instskip(SKIP_1) | instid1(VALU_DEP_2)
	v_fma_f32 v11, 0xcf800000, v3, |v1|
	v_cvt_u32_f32_e32 v1, v3
	v_cvt_u32_f32_e32 v3, v11
	s_delay_alu instid0(VALU_DEP_2) | instskip(NEXT) | instid1(VALU_DEP_2)
	v_dual_mov_b32 v11, v10 :: v_dual_bitop2_b32 v13, v1, v10 bitop3:0x14
	v_xor_b32_e32 v12, v3, v10
	s_delay_alu instid0(VALU_DEP_1)
	v_sub_nc_u64_e32 v[10:11], v[12:13], v[10:11]
.LBB79_831:
	s_or_b32 exec_lo, exec_lo, s37
	s_mov_b32 s37, 0
	s_branch .LBB79_837
.LBB79_832:
	s_mov_b32 s54, -1
                                        ; implicit-def: $vgpr10_vgpr11
	s_branch .LBB79_843
.LBB79_833:
	s_and_not1_saveexec_b32 s37, s37
	s_cbranch_execz .LBB79_818
.LBB79_834:
	v_cmp_ne_u16_e32 vcc_lo, 0, v1
	s_and_not1_b32 s54, s54, exec_lo
	s_and_b32 s55, vcc_lo, exec_lo
	s_delay_alu instid0(SALU_CYCLE_1)
	s_or_b32 s54, s54, s55
	s_or_b32 exec_lo, exec_lo, s37
	v_mov_b64_e32 v[10:11], 0
	s_and_saveexec_b32 s37, s54
	s_cbranch_execnz .LBB79_819
	s_branch .LBB79_820
.LBB79_835:
	s_mov_b32 s37, -1
                                        ; implicit-def: $vgpr10_vgpr11
	s_branch .LBB79_840
.LBB79_836:
	s_mov_b32 s37, -1
                                        ; implicit-def: $vgpr10_vgpr11
.LBB79_837:
	s_delay_alu instid0(SALU_CYCLE_1)
	s_and_b32 vcc_lo, exec_lo, s37
	s_cbranch_vccz .LBB79_839
; %bb.838:
	global_load_u8 v1, v[6:7], off
	s_wait_loadcnt 0x0
	v_lshlrev_b32_e32 v1, 24, v1
	s_delay_alu instid0(VALU_DEP_1) | instskip(SKIP_1) | instid1(VALU_DEP_1)
	v_and_b32_e32 v3, 0x7f000000, v1
	s_wait_xcnt 0x1
	v_clz_i32_u32_e32 v10, v3
	v_cmp_ne_u32_e32 vcc_lo, 0, v3
	v_add_nc_u32_e32 v12, 0x1000000, v3
	s_delay_alu instid0(VALU_DEP_3) | instskip(NEXT) | instid1(VALU_DEP_1)
	v_min_u32_e32 v10, 32, v10
	v_sub_nc_u32_e64 v10, v10, 4 clamp
	s_delay_alu instid0(VALU_DEP_1) | instskip(NEXT) | instid1(VALU_DEP_1)
	v_dual_lshlrev_b32 v11, v10, v3 :: v_dual_lshlrev_b32 v10, 23, v10
	v_lshrrev_b32_e32 v11, 4, v11
	s_delay_alu instid0(VALU_DEP_1) | instskip(NEXT) | instid1(VALU_DEP_1)
	v_dual_sub_nc_u32 v10, v11, v10 :: v_dual_ashrrev_i32 v11, 8, v12
	v_add_nc_u32_e32 v10, 0x3c000000, v10
	s_delay_alu instid0(VALU_DEP_1) | instskip(NEXT) | instid1(VALU_DEP_1)
	v_and_or_b32 v10, 0x7f800000, v11, v10
	v_cndmask_b32_e32 v3, 0, v10, vcc_lo
	s_delay_alu instid0(VALU_DEP_1) | instskip(NEXT) | instid1(VALU_DEP_1)
	v_and_or_b32 v1, 0x80000000, v1, v3
	v_trunc_f32_e32 v1, v1
	s_delay_alu instid0(VALU_DEP_1) | instskip(SKIP_1) | instid1(VALU_DEP_2)
	v_mul_f32_e64 v3, 0x2f800000, |v1|
	v_ashrrev_i32_e32 v10, 31, v1
	v_floor_f32_e32 v3, v3
	s_delay_alu instid0(VALU_DEP_1) | instskip(SKIP_1) | instid1(VALU_DEP_2)
	v_fma_f32 v11, 0xcf800000, v3, |v1|
	v_cvt_u32_f32_e32 v1, v3
	v_cvt_u32_f32_e32 v3, v11
	s_delay_alu instid0(VALU_DEP_2) | instskip(NEXT) | instid1(VALU_DEP_2)
	v_dual_mov_b32 v11, v10 :: v_dual_bitop2_b32 v13, v1, v10 bitop3:0x14
	v_xor_b32_e32 v12, v3, v10
	s_delay_alu instid0(VALU_DEP_1)
	v_sub_nc_u64_e32 v[10:11], v[12:13], v[10:11]
.LBB79_839:
	s_mov_b32 s37, 0
.LBB79_840:
	s_delay_alu instid0(SALU_CYCLE_1)
	s_and_not1_b32 vcc_lo, exec_lo, s37
	s_cbranch_vccnz .LBB79_842
; %bb.841:
	global_load_u8 v1, v[6:7], off
	s_wait_loadcnt 0x0
	v_lshlrev_b32_e32 v3, 25, v1
	v_lshlrev_b16 v1, 8, v1
	s_wait_xcnt 0x1
	s_delay_alu instid0(VALU_DEP_1) | instskip(SKIP_1) | instid1(VALU_DEP_2)
	v_and_or_b32 v11, 0x7f00, v1, 0.5
	v_bfe_i32 v1, v1, 0, 16
	v_add_f32_e32 v11, -0.5, v11
	v_lshrrev_b32_e32 v10, 4, v3
	v_cmp_gt_u32_e32 vcc_lo, 0x8000000, v3
	s_delay_alu instid0(VALU_DEP_2) | instskip(NEXT) | instid1(VALU_DEP_1)
	v_or_b32_e32 v10, 0x70000000, v10
	v_mul_f32_e32 v10, 0x7800000, v10
	s_delay_alu instid0(VALU_DEP_1) | instskip(NEXT) | instid1(VALU_DEP_1)
	v_cndmask_b32_e32 v3, v10, v11, vcc_lo
	v_and_or_b32 v1, 0x80000000, v1, v3
	s_delay_alu instid0(VALU_DEP_1) | instskip(NEXT) | instid1(VALU_DEP_1)
	v_trunc_f32_e32 v1, v1
	v_mul_f32_e64 v3, 0x2f800000, |v1|
	v_ashrrev_i32_e32 v10, 31, v1
	s_delay_alu instid0(VALU_DEP_2) | instskip(NEXT) | instid1(VALU_DEP_1)
	v_floor_f32_e32 v3, v3
	v_fma_f32 v11, 0xcf800000, v3, |v1|
	v_cvt_u32_f32_e32 v1, v3
	s_delay_alu instid0(VALU_DEP_2) | instskip(NEXT) | instid1(VALU_DEP_2)
	v_cvt_u32_f32_e32 v3, v11
	v_dual_mov_b32 v11, v10 :: v_dual_bitop2_b32 v13, v1, v10 bitop3:0x14
	s_delay_alu instid0(VALU_DEP_2) | instskip(NEXT) | instid1(VALU_DEP_1)
	v_xor_b32_e32 v12, v3, v10
	v_sub_nc_u64_e32 v[10:11], v[12:13], v[10:11]
.LBB79_842:
	s_mov_b32 s54, 0
	s_mov_b32 s37, -1
.LBB79_843:
	s_and_not1_b32 vcc_lo, exec_lo, s54
	s_cbranch_vccnz .LBB79_856
; %bb.844:
	s_cmp_gt_i32 s0, 14
	s_cbranch_scc0 .LBB79_847
; %bb.845:
	s_cmp_eq_u32 s0, 15
	s_cbranch_scc0 .LBB79_850
; %bb.846:
	global_load_u16 v1, v[6:7], off
	s_mov_b32 s37, -1
	s_mov_b32 s36, 0
	s_wait_loadcnt 0x0
	v_lshlrev_b32_e32 v1, 16, v1
	s_delay_alu instid0(VALU_DEP_1) | instskip(NEXT) | instid1(VALU_DEP_1)
	v_trunc_f32_e32 v1, v1
	v_mul_f32_e64 v3, 0x2f800000, |v1|
	s_wait_xcnt 0x1
	v_ashrrev_i32_e32 v10, 31, v1
	s_delay_alu instid0(VALU_DEP_2) | instskip(NEXT) | instid1(VALU_DEP_1)
	v_floor_f32_e32 v3, v3
	v_fma_f32 v11, 0xcf800000, v3, |v1|
	v_cvt_u32_f32_e32 v1, v3
	s_delay_alu instid0(VALU_DEP_2) | instskip(NEXT) | instid1(VALU_DEP_2)
	v_cvt_u32_f32_e32 v3, v11
	v_dual_mov_b32 v11, v10 :: v_dual_bitop2_b32 v13, v1, v10 bitop3:0x14
	s_delay_alu instid0(VALU_DEP_2) | instskip(NEXT) | instid1(VALU_DEP_1)
	v_xor_b32_e32 v12, v3, v10
	v_sub_nc_u64_e32 v[10:11], v[12:13], v[10:11]
	s_branch .LBB79_851
.LBB79_847:
	s_mov_b32 s54, -1
                                        ; implicit-def: $vgpr10_vgpr11
	s_branch .LBB79_852
.LBB79_848:
	s_and_not1_saveexec_b32 s37, s37
	s_cbranch_execz .LBB79_829
.LBB79_849:
	v_cmp_ne_u16_e32 vcc_lo, 0, v1
	s_and_not1_b32 s54, s54, exec_lo
	s_and_b32 s55, vcc_lo, exec_lo
	s_delay_alu instid0(SALU_CYCLE_1)
	s_or_b32 s54, s54, s55
	s_or_b32 exec_lo, exec_lo, s37
	v_mov_b64_e32 v[10:11], 0
	s_and_saveexec_b32 s37, s54
	s_cbranch_execnz .LBB79_830
	s_branch .LBB79_831
.LBB79_850:
	s_mov_b32 s36, -1
                                        ; implicit-def: $vgpr10_vgpr11
.LBB79_851:
	s_mov_b32 s54, 0
.LBB79_852:
	s_delay_alu instid0(SALU_CYCLE_1)
	s_and_b32 vcc_lo, exec_lo, s54
	s_cbranch_vccz .LBB79_856
; %bb.853:
	s_cmp_eq_u32 s0, 11
	s_cbranch_scc0 .LBB79_855
; %bb.854:
	global_load_u8 v1, v[6:7], off
	s_mov_b32 s36, 0
	s_mov_b32 s37, -1
	s_wait_loadcnt 0x1
	s_wait_xcnt 0x1
	v_mov_b32_e32 v11, s36
	s_wait_loadcnt 0x0
	v_cmp_ne_u16_e32 vcc_lo, 0, v1
	v_cndmask_b32_e64 v10, 0, 1, vcc_lo
	s_branch .LBB79_856
.LBB79_855:
	s_mov_b32 s36, -1
                                        ; implicit-def: $vgpr10_vgpr11
.LBB79_856:
	s_mov_b32 s54, 0
.LBB79_857:
	s_delay_alu instid0(SALU_CYCLE_1)
	s_and_b32 vcc_lo, exec_lo, s54
	s_cbranch_vccz .LBB79_906
; %bb.858:
	s_cmp_lt_i32 s0, 5
	s_cbranch_scc1 .LBB79_863
; %bb.859:
	s_cmp_lt_i32 s0, 8
	s_cbranch_scc1 .LBB79_864
	;; [unrolled: 3-line block ×3, first 2 shown]
; %bb.861:
	s_cmp_gt_i32 s0, 9
	s_cbranch_scc0 .LBB79_866
; %bb.862:
	s_wait_loadcnt 0x0
	global_load_b64 v[10:11], v[6:7], off
	s_mov_b32 s37, 0
	s_wait_loadcnt 0x0
	v_trunc_f64_e32 v[10:11], v[10:11]
	s_delay_alu instid0(VALU_DEP_1) | instskip(NEXT) | instid1(VALU_DEP_1)
	v_ldexp_f64 v[12:13], v[10:11], 0xffffffe0
	v_floor_f64_e32 v[12:13], v[12:13]
	s_delay_alu instid0(VALU_DEP_1) | instskip(SKIP_1) | instid1(VALU_DEP_2)
	v_fmamk_f64 v[14:15], v[12:13], 0xc1f00000, v[10:11]
	v_cvt_i32_f64_e32 v11, v[12:13]
	v_cvt_u32_f64_e32 v10, v[14:15]
	s_branch .LBB79_867
.LBB79_863:
	s_mov_b32 s37, -1
                                        ; implicit-def: $vgpr10_vgpr11
	s_branch .LBB79_885
.LBB79_864:
	s_mov_b32 s37, -1
                                        ; implicit-def: $vgpr10_vgpr11
	s_branch .LBB79_873
.LBB79_865:
	s_mov_b32 s37, -1
                                        ; implicit-def: $vgpr10_vgpr11
	s_branch .LBB79_870
.LBB79_866:
	s_mov_b32 s37, -1
                                        ; implicit-def: $vgpr10_vgpr11
.LBB79_867:
	s_delay_alu instid0(SALU_CYCLE_1)
	s_and_not1_b32 vcc_lo, exec_lo, s37
	s_cbranch_vccnz .LBB79_869
; %bb.868:
	global_load_b32 v1, v[6:7], off
	s_wait_loadcnt 0x0
	v_trunc_f32_e32 v1, v1
	s_delay_alu instid0(VALU_DEP_1) | instskip(SKIP_2) | instid1(VALU_DEP_2)
	v_mul_f32_e64 v3, 0x2f800000, |v1|
	s_wait_xcnt 0x1
	v_ashrrev_i32_e32 v10, 31, v1
	v_floor_f32_e32 v3, v3
	s_delay_alu instid0(VALU_DEP_1) | instskip(SKIP_1) | instid1(VALU_DEP_2)
	v_fma_f32 v11, 0xcf800000, v3, |v1|
	v_cvt_u32_f32_e32 v1, v3
	v_cvt_u32_f32_e32 v3, v11
	s_delay_alu instid0(VALU_DEP_2) | instskip(NEXT) | instid1(VALU_DEP_2)
	v_dual_mov_b32 v11, v10 :: v_dual_bitop2_b32 v13, v1, v10 bitop3:0x14
	v_xor_b32_e32 v12, v3, v10
	s_delay_alu instid0(VALU_DEP_1)
	v_sub_nc_u64_e32 v[10:11], v[12:13], v[10:11]
.LBB79_869:
	s_mov_b32 s37, 0
.LBB79_870:
	s_delay_alu instid0(SALU_CYCLE_1)
	s_and_not1_b32 vcc_lo, exec_lo, s37
	s_cbranch_vccnz .LBB79_872
; %bb.871:
	global_load_b32 v1, v[6:7], off
	s_wait_loadcnt 0x0
	v_cvt_f32_f16_e32 v1, v1
	s_wait_xcnt 0x1
	s_delay_alu instid0(VALU_DEP_1) | instskip(NEXT) | instid1(VALU_DEP_1)
	v_cvt_i32_f32_e32 v10, v1
	v_ashrrev_i32_e32 v11, 31, v10
.LBB79_872:
	s_mov_b32 s37, 0
.LBB79_873:
	s_delay_alu instid0(SALU_CYCLE_1)
	s_and_not1_b32 vcc_lo, exec_lo, s37
	s_cbranch_vccnz .LBB79_884
; %bb.874:
	s_cmp_lt_i32 s0, 6
	s_cbranch_scc1 .LBB79_877
; %bb.875:
	s_cmp_gt_i32 s0, 6
	s_cbranch_scc0 .LBB79_878
; %bb.876:
	s_wait_loadcnt 0x0
	global_load_b64 v[10:11], v[6:7], off
	s_mov_b32 s37, 0
	s_wait_loadcnt 0x0
	v_trunc_f64_e32 v[10:11], v[10:11]
	s_delay_alu instid0(VALU_DEP_1) | instskip(NEXT) | instid1(VALU_DEP_1)
	v_ldexp_f64 v[12:13], v[10:11], 0xffffffe0
	v_floor_f64_e32 v[12:13], v[12:13]
	s_delay_alu instid0(VALU_DEP_1) | instskip(SKIP_1) | instid1(VALU_DEP_2)
	v_fmamk_f64 v[14:15], v[12:13], 0xc1f00000, v[10:11]
	v_cvt_i32_f64_e32 v11, v[12:13]
	v_cvt_u32_f64_e32 v10, v[14:15]
	s_branch .LBB79_879
.LBB79_877:
	s_mov_b32 s37, -1
                                        ; implicit-def: $vgpr10_vgpr11
	s_branch .LBB79_882
.LBB79_878:
	s_mov_b32 s37, -1
                                        ; implicit-def: $vgpr10_vgpr11
.LBB79_879:
	s_delay_alu instid0(SALU_CYCLE_1)
	s_and_not1_b32 vcc_lo, exec_lo, s37
	s_cbranch_vccnz .LBB79_881
; %bb.880:
	global_load_b32 v1, v[6:7], off
	s_wait_loadcnt 0x0
	v_trunc_f32_e32 v1, v1
	s_delay_alu instid0(VALU_DEP_1) | instskip(SKIP_2) | instid1(VALU_DEP_2)
	v_mul_f32_e64 v3, 0x2f800000, |v1|
	s_wait_xcnt 0x1
	v_ashrrev_i32_e32 v10, 31, v1
	v_floor_f32_e32 v3, v3
	s_delay_alu instid0(VALU_DEP_1) | instskip(SKIP_1) | instid1(VALU_DEP_2)
	v_fma_f32 v11, 0xcf800000, v3, |v1|
	v_cvt_u32_f32_e32 v1, v3
	v_cvt_u32_f32_e32 v3, v11
	s_delay_alu instid0(VALU_DEP_2) | instskip(NEXT) | instid1(VALU_DEP_2)
	v_dual_mov_b32 v11, v10 :: v_dual_bitop2_b32 v13, v1, v10 bitop3:0x14
	v_xor_b32_e32 v12, v3, v10
	s_delay_alu instid0(VALU_DEP_1)
	v_sub_nc_u64_e32 v[10:11], v[12:13], v[10:11]
.LBB79_881:
	s_mov_b32 s37, 0
.LBB79_882:
	s_delay_alu instid0(SALU_CYCLE_1)
	s_and_not1_b32 vcc_lo, exec_lo, s37
	s_cbranch_vccnz .LBB79_884
; %bb.883:
	global_load_u16 v1, v[6:7], off
	s_wait_loadcnt 0x0
	v_cvt_f32_f16_e32 v1, v1
	s_wait_xcnt 0x1
	s_delay_alu instid0(VALU_DEP_1) | instskip(NEXT) | instid1(VALU_DEP_1)
	v_cvt_i32_f32_e32 v10, v1
	v_ashrrev_i32_e32 v11, 31, v10
.LBB79_884:
	s_mov_b32 s37, 0
.LBB79_885:
	s_delay_alu instid0(SALU_CYCLE_1)
	s_and_not1_b32 vcc_lo, exec_lo, s37
	s_cbranch_vccnz .LBB79_905
; %bb.886:
	s_cmp_lt_i32 s0, 2
	s_cbranch_scc1 .LBB79_890
; %bb.887:
	s_cmp_lt_i32 s0, 3
	s_cbranch_scc1 .LBB79_891
; %bb.888:
	s_cmp_gt_i32 s0, 3
	s_cbranch_scc0 .LBB79_892
; %bb.889:
	s_wait_loadcnt 0x0
	global_load_b64 v[10:11], v[6:7], off
	s_mov_b32 s37, 0
	s_branch .LBB79_893
.LBB79_890:
	s_mov_b32 s37, -1
                                        ; implicit-def: $vgpr10_vgpr11
	s_branch .LBB79_899
.LBB79_891:
	s_mov_b32 s37, -1
                                        ; implicit-def: $vgpr10_vgpr11
	s_branch .LBB79_896
.LBB79_892:
	s_mov_b32 s37, -1
                                        ; implicit-def: $vgpr10_vgpr11
.LBB79_893:
	s_delay_alu instid0(SALU_CYCLE_1)
	s_and_not1_b32 vcc_lo, exec_lo, s37
	s_cbranch_vccnz .LBB79_895
; %bb.894:
	s_wait_loadcnt 0x0
	global_load_b32 v10, v[6:7], off
	s_wait_loadcnt 0x0
	v_ashrrev_i32_e32 v11, 31, v10
.LBB79_895:
	s_mov_b32 s37, 0
.LBB79_896:
	s_delay_alu instid0(SALU_CYCLE_1)
	s_and_not1_b32 vcc_lo, exec_lo, s37
	s_cbranch_vccnz .LBB79_898
; %bb.897:
	global_load_u16 v1, v[6:7], off
	s_wait_loadcnt 0x0
	s_wait_xcnt 0x1
	v_bfe_i32 v10, v1, 0, 16
	s_delay_alu instid0(VALU_DEP_1)
	v_ashrrev_i32_e32 v11, 31, v10
.LBB79_898:
	s_mov_b32 s37, 0
.LBB79_899:
	s_delay_alu instid0(SALU_CYCLE_1)
	s_and_not1_b32 vcc_lo, exec_lo, s37
	s_cbranch_vccnz .LBB79_905
; %bb.900:
	s_cmp_gt_i32 s0, 0
	s_mov_b32 s0, 0
	s_cbranch_scc0 .LBB79_902
; %bb.901:
	global_load_i8 v1, v[6:7], off
	s_wait_loadcnt 0x0
	s_wait_xcnt 0x1
	v_bfe_i32 v10, v1, 0, 16
	s_delay_alu instid0(VALU_DEP_1)
	v_ashrrev_i32_e32 v11, 31, v10
	s_branch .LBB79_903
.LBB79_902:
	s_mov_b32 s0, -1
                                        ; implicit-def: $vgpr10_vgpr11
.LBB79_903:
	s_delay_alu instid0(SALU_CYCLE_1)
	s_and_not1_b32 vcc_lo, exec_lo, s0
	s_cbranch_vccnz .LBB79_905
; %bb.904:
	global_load_u8 v1, v[6:7], off
	s_mov_b32 s0, 0
	s_wait_loadcnt 0x1
	s_wait_xcnt 0x1
	v_mov_b32_e32 v11, s0
	s_wait_loadcnt 0x0
	v_and_b32_e32 v10, 0xffff, v1
.LBB79_905:
	s_mov_b32 s37, -1
.LBB79_906:
	s_delay_alu instid0(SALU_CYCLE_1)
	s_and_not1_b32 vcc_lo, exec_lo, s37
	s_cbranch_vccnz .LBB79_914
; %bb.907:
	s_wait_loadcnt 0x0
	v_mul_u64_e32 v[4:5], s[20:21], v[4:5]
	s_wait_xcnt 0x0
	s_delay_alu instid0(VALU_DEP_4) | instskip(SKIP_2) | instid1(SALU_CYCLE_1)
	v_mul_u64_e32 v[6:7], s[22:23], v[8:9]
	v_mov_b32_e32 v3, 0
	s_and_b32 s37, s42, 0xff
	s_cmp_lt_i32 s37, 11
	s_delay_alu instid0(VALU_DEP_1) | instskip(NEXT) | instid1(VALU_DEP_3)
	v_add_nc_u64_e32 v[2:3], s[4:5], v[2:3]
	v_mad_nc_u64_u32 v[4:5], v6, v10, v[4:5]
	s_delay_alu instid0(VALU_DEP_1) | instskip(NEXT) | instid1(VALU_DEP_1)
	v_mad_u32 v1, v7, v10, v5
	v_mad_u32 v5, v6, v11, v1
	s_cbranch_scc1 .LBB79_915
; %bb.908:
	s_and_b32 s54, 0xffff, s37
	s_delay_alu instid0(SALU_CYCLE_1)
	s_cmp_gt_i32 s54, 25
	s_cbranch_scc0 .LBB79_916
; %bb.909:
	s_cmp_gt_i32 s54, 28
	s_cbranch_scc0 .LBB79_917
; %bb.910:
	s_cmp_gt_i32 s54, 43
	s_cbranch_scc0 .LBB79_918
; %bb.911:
	s_cmp_gt_i32 s54, 45
	s_cbranch_scc0 .LBB79_919
; %bb.912:
	s_mov_b32 s56, 0
	s_mov_b32 s0, -1
	s_cmp_eq_u32 s54, 46
	s_mov_b32 s55, 0
	s_cbranch_scc0 .LBB79_920
; %bb.913:
	v_xor_b32_e32 v1, v4, v5
	v_cls_i32_e32 v6, v5
	s_mov_b32 s55, -1
	s_mov_b32 s0, 0
	s_delay_alu instid0(VALU_DEP_2) | instskip(NEXT) | instid1(VALU_DEP_1)
	v_ashrrev_i32_e32 v1, 31, v1
	v_add_nc_u32_e32 v1, 32, v1
	s_delay_alu instid0(VALU_DEP_1) | instskip(NEXT) | instid1(VALU_DEP_1)
	v_add_min_u32_e64 v1, v6, -1, v1
	v_lshlrev_b64_e32 v[6:7], v1, v[4:5]
	v_sub_nc_u32_e32 v1, 32, v1
	s_delay_alu instid0(VALU_DEP_2) | instskip(NEXT) | instid1(VALU_DEP_1)
	v_min_u32_e32 v6, 1, v6
	v_or_b32_e32 v6, v7, v6
	s_delay_alu instid0(VALU_DEP_1) | instskip(NEXT) | instid1(VALU_DEP_1)
	v_cvt_f32_i32_e32 v6, v6
	v_ldexp_f32 v1, v6, v1
	s_delay_alu instid0(VALU_DEP_1) | instskip(NEXT) | instid1(VALU_DEP_1)
	v_bfe_u32 v6, v1, 16, 1
	v_add3_u32 v1, v1, v6, 0x7fff
	s_delay_alu instid0(VALU_DEP_1)
	v_lshrrev_b32_e32 v1, 16, v1
	global_store_b32 v[2:3], v1, off
	s_branch .LBB79_920
.LBB79_914:
	s_mov_b32 s37, 0
	s_mov_b32 s0, s48
	s_branch .LBB79_1031
.LBB79_915:
	s_mov_b32 s54, -1
	s_mov_b32 s55, 0
	s_mov_b32 s0, s48
	s_branch .LBB79_989
.LBB79_916:
	s_mov_b32 s56, -1
	s_mov_b32 s55, 0
	s_mov_b32 s0, s48
	s_branch .LBB79_947
.LBB79_917:
	s_mov_b32 s56, -1
	s_mov_b32 s55, 0
	s_mov_b32 s0, s48
	s_branch .LBB79_930
.LBB79_918:
	s_mov_b32 s56, -1
	s_mov_b32 s55, 0
	s_mov_b32 s0, s48
	s_branch .LBB79_926
.LBB79_919:
	s_mov_b32 s56, -1
	s_mov_b32 s55, 0
	s_mov_b32 s0, s48
.LBB79_920:
	s_and_b32 vcc_lo, exec_lo, s56
	s_cbranch_vccz .LBB79_925
; %bb.921:
	s_cmp_eq_u32 s54, 44
	s_mov_b32 s0, -1
	s_cbranch_scc0 .LBB79_925
; %bb.922:
	s_wait_xcnt 0x0
	v_xor_b32_e32 v1, v4, v5
	v_cls_i32_e32 v6, v5
	s_mov_b32 s55, -1
	s_mov_b32 s56, exec_lo
	s_delay_alu instid0(VALU_DEP_2) | instskip(NEXT) | instid1(VALU_DEP_1)
	v_ashrrev_i32_e32 v1, 31, v1
	v_add_nc_u32_e32 v1, 32, v1
	s_delay_alu instid0(VALU_DEP_1) | instskip(NEXT) | instid1(VALU_DEP_1)
	v_add_min_u32_e64 v1, v6, -1, v1
	v_lshlrev_b64_e32 v[6:7], v1, v[4:5]
	v_sub_nc_u32_e32 v1, 32, v1
	s_delay_alu instid0(VALU_DEP_2) | instskip(NEXT) | instid1(VALU_DEP_1)
	v_min_u32_e32 v6, 1, v6
	v_or_b32_e32 v6, v7, v6
	s_delay_alu instid0(VALU_DEP_1) | instskip(NEXT) | instid1(VALU_DEP_1)
	v_cvt_f32_i32_e32 v6, v6
	v_ldexp_f32 v1, v6, v1
	v_mov_b32_e32 v6, 0xff
	s_delay_alu instid0(VALU_DEP_2) | instskip(NEXT) | instid1(VALU_DEP_1)
	v_bfe_u32 v7, v1, 23, 8
	v_cmpx_ne_u32_e32 0xff, v7
	s_cbranch_execz .LBB79_924
; %bb.923:
	v_and_b32_e32 v6, 0x400000, v1
	v_and_or_b32 v7, 0x3fffff, v1, v7
	v_lshrrev_b32_e32 v1, 23, v1
	s_delay_alu instid0(VALU_DEP_3) | instskip(NEXT) | instid1(VALU_DEP_3)
	v_cmp_ne_u32_e32 vcc_lo, 0, v6
	v_cmp_ne_u32_e64 s0, 0, v7
	s_and_b32 s0, vcc_lo, s0
	s_delay_alu instid0(SALU_CYCLE_1) | instskip(NEXT) | instid1(VALU_DEP_1)
	v_cndmask_b32_e64 v6, 0, 1, s0
	v_add_nc_u32_e32 v6, v1, v6
.LBB79_924:
	s_or_b32 exec_lo, exec_lo, s56
	s_mov_b32 s0, 0
	global_store_b8 v[2:3], v6, off
.LBB79_925:
	s_mov_b32 s56, 0
.LBB79_926:
	s_delay_alu instid0(SALU_CYCLE_1)
	s_and_b32 vcc_lo, exec_lo, s56
	s_cbranch_vccz .LBB79_929
; %bb.927:
	s_cmp_eq_u32 s54, 29
	s_mov_b32 s0, -1
	s_cbranch_scc0 .LBB79_929
; %bb.928:
	s_mov_b32 s55, -1
	s_mov_b32 s0, 0
	global_store_b64 v[2:3], v[4:5], off
.LBB79_929:
	s_mov_b32 s56, 0
.LBB79_930:
	s_delay_alu instid0(SALU_CYCLE_1)
	s_and_b32 vcc_lo, exec_lo, s56
	s_cbranch_vccz .LBB79_946
; %bb.931:
	s_cmp_lt_i32 s54, 27
	s_mov_b32 s55, -1
	s_cbranch_scc1 .LBB79_937
; %bb.932:
	s_cmp_gt_i32 s54, 27
	s_cbranch_scc0 .LBB79_934
; %bb.933:
	s_mov_b32 s55, 0
	global_store_b32 v[2:3], v4, off
.LBB79_934:
	s_and_not1_b32 vcc_lo, exec_lo, s55
	s_cbranch_vccnz .LBB79_936
; %bb.935:
	global_store_b16 v[2:3], v4, off
.LBB79_936:
	s_mov_b32 s55, 0
.LBB79_937:
	s_delay_alu instid0(SALU_CYCLE_1)
	s_and_not1_b32 vcc_lo, exec_lo, s55
	s_cbranch_vccnz .LBB79_945
; %bb.938:
	s_wait_xcnt 0x0
	v_xor_b32_e32 v1, v4, v5
	v_cls_i32_e32 v6, v5
	s_mov_b32 s55, exec_lo
	s_delay_alu instid0(VALU_DEP_2) | instskip(NEXT) | instid1(VALU_DEP_1)
	v_ashrrev_i32_e32 v1, 31, v1
	v_add_nc_u32_e32 v1, 32, v1
	s_delay_alu instid0(VALU_DEP_1) | instskip(NEXT) | instid1(VALU_DEP_1)
	v_add_min_u32_e64 v1, v6, -1, v1
	v_lshlrev_b64_e32 v[6:7], v1, v[4:5]
	v_sub_nc_u32_e32 v1, 32, v1
	s_delay_alu instid0(VALU_DEP_2) | instskip(NEXT) | instid1(VALU_DEP_1)
	v_min_u32_e32 v6, 1, v6
	v_or_b32_e32 v6, v7, v6
	v_mov_b32_e32 v7, 0x80
	s_delay_alu instid0(VALU_DEP_2) | instskip(NEXT) | instid1(VALU_DEP_1)
	v_cvt_f32_i32_e32 v6, v6
	v_ldexp_f32 v1, v6, v1
	s_delay_alu instid0(VALU_DEP_1) | instskip(NEXT) | instid1(VALU_DEP_1)
	v_and_b32_e32 v6, 0x7fffffff, v1
	v_cmpx_gt_u32_e32 0x43800000, v6
	s_cbranch_execz .LBB79_944
; %bb.939:
	v_cmp_lt_u32_e32 vcc_lo, 0x3bffffff, v6
	s_mov_b32 s56, 0
                                        ; implicit-def: $vgpr6
	s_and_saveexec_b32 s57, vcc_lo
	s_delay_alu instid0(SALU_CYCLE_1)
	s_xor_b32 s57, exec_lo, s57
	s_cbranch_execz .LBB79_1185
; %bb.940:
	v_bfe_u32 v6, v1, 20, 1
	s_mov_b32 s56, exec_lo
	s_delay_alu instid0(VALU_DEP_1) | instskip(NEXT) | instid1(VALU_DEP_1)
	v_add3_u32 v6, v1, v6, 0x487ffff
	v_lshrrev_b32_e32 v6, 20, v6
	s_and_not1_saveexec_b32 s57, s57
	s_cbranch_execnz .LBB79_1186
.LBB79_941:
	s_or_b32 exec_lo, exec_lo, s57
	v_mov_b32_e32 v7, 0
	s_and_saveexec_b32 s57, s56
.LBB79_942:
	v_lshrrev_b32_e32 v1, 24, v1
	s_delay_alu instid0(VALU_DEP_1)
	v_and_or_b32 v7, 0x80, v1, v6
.LBB79_943:
	s_or_b32 exec_lo, exec_lo, s57
.LBB79_944:
	s_delay_alu instid0(SALU_CYCLE_1)
	s_or_b32 exec_lo, exec_lo, s55
	global_store_b8 v[2:3], v7, off
.LBB79_945:
	s_mov_b32 s55, -1
.LBB79_946:
	s_mov_b32 s56, 0
.LBB79_947:
	s_delay_alu instid0(SALU_CYCLE_1)
	s_and_b32 vcc_lo, exec_lo, s56
	s_cbranch_vccz .LBB79_988
; %bb.948:
	s_cmp_gt_i32 s54, 22
	s_mov_b32 s56, -1
	s_cbranch_scc0 .LBB79_980
; %bb.949:
	s_cmp_lt_i32 s54, 24
	s_mov_b32 s55, -1
	s_cbranch_scc1 .LBB79_969
; %bb.950:
	s_cmp_gt_i32 s54, 24
	s_cbranch_scc0 .LBB79_958
; %bb.951:
	s_wait_xcnt 0x0
	v_xor_b32_e32 v1, v4, v5
	v_cls_i32_e32 v6, v5
	s_mov_b32 s55, exec_lo
	s_delay_alu instid0(VALU_DEP_2) | instskip(NEXT) | instid1(VALU_DEP_1)
	v_ashrrev_i32_e32 v1, 31, v1
	v_add_nc_u32_e32 v1, 32, v1
	s_delay_alu instid0(VALU_DEP_1) | instskip(NEXT) | instid1(VALU_DEP_1)
	v_add_min_u32_e64 v1, v6, -1, v1
	v_lshlrev_b64_e32 v[6:7], v1, v[4:5]
	v_sub_nc_u32_e32 v1, 32, v1
	s_delay_alu instid0(VALU_DEP_2) | instskip(NEXT) | instid1(VALU_DEP_1)
	v_min_u32_e32 v6, 1, v6
	v_or_b32_e32 v6, v7, v6
	v_mov_b32_e32 v7, 0x80
	s_delay_alu instid0(VALU_DEP_2) | instskip(NEXT) | instid1(VALU_DEP_1)
	v_cvt_f32_i32_e32 v6, v6
	v_ldexp_f32 v1, v6, v1
	s_delay_alu instid0(VALU_DEP_1) | instskip(NEXT) | instid1(VALU_DEP_1)
	v_and_b32_e32 v6, 0x7fffffff, v1
	v_cmpx_gt_u32_e32 0x47800000, v6
	s_cbranch_execz .LBB79_957
; %bb.952:
	v_cmp_lt_u32_e32 vcc_lo, 0x37ffffff, v6
	s_mov_b32 s56, 0
                                        ; implicit-def: $vgpr6
	s_and_saveexec_b32 s57, vcc_lo
	s_delay_alu instid0(SALU_CYCLE_1)
	s_xor_b32 s57, exec_lo, s57
	s_cbranch_execz .LBB79_1313
; %bb.953:
	v_bfe_u32 v6, v1, 21, 1
	s_mov_b32 s56, exec_lo
	s_delay_alu instid0(VALU_DEP_1) | instskip(NEXT) | instid1(VALU_DEP_1)
	v_add3_u32 v6, v1, v6, 0x88fffff
	v_lshrrev_b32_e32 v6, 21, v6
	s_and_not1_saveexec_b32 s57, s57
	s_cbranch_execnz .LBB79_1314
.LBB79_954:
	s_or_b32 exec_lo, exec_lo, s57
	v_mov_b32_e32 v7, 0
	s_and_saveexec_b32 s57, s56
.LBB79_955:
	v_lshrrev_b32_e32 v1, 24, v1
	s_delay_alu instid0(VALU_DEP_1)
	v_and_or_b32 v7, 0x80, v1, v6
.LBB79_956:
	s_or_b32 exec_lo, exec_lo, s57
.LBB79_957:
	s_delay_alu instid0(SALU_CYCLE_1)
	s_or_b32 exec_lo, exec_lo, s55
	s_mov_b32 s55, 0
	global_store_b8 v[2:3], v7, off
.LBB79_958:
	s_and_b32 vcc_lo, exec_lo, s55
	s_cbranch_vccz .LBB79_968
; %bb.959:
	s_wait_xcnt 0x0
	v_xor_b32_e32 v1, v4, v5
	v_cls_i32_e32 v6, v5
	s_mov_b32 s55, exec_lo
	s_delay_alu instid0(VALU_DEP_2) | instskip(NEXT) | instid1(VALU_DEP_1)
	v_ashrrev_i32_e32 v1, 31, v1
	v_add_nc_u32_e32 v1, 32, v1
	s_delay_alu instid0(VALU_DEP_1) | instskip(NEXT) | instid1(VALU_DEP_1)
	v_add_min_u32_e64 v1, v6, -1, v1
	v_lshlrev_b64_e32 v[6:7], v1, v[4:5]
	v_sub_nc_u32_e32 v1, 32, v1
	s_delay_alu instid0(VALU_DEP_2) | instskip(NEXT) | instid1(VALU_DEP_1)
	v_min_u32_e32 v6, 1, v6
	v_or_b32_e32 v6, v7, v6
	s_delay_alu instid0(VALU_DEP_1) | instskip(NEXT) | instid1(VALU_DEP_1)
	v_cvt_f32_i32_e32 v6, v6
	v_ldexp_f32 v1, v6, v1
                                        ; implicit-def: $vgpr6
	s_delay_alu instid0(VALU_DEP_1) | instskip(NEXT) | instid1(VALU_DEP_1)
	v_and_b32_e32 v7, 0x7fffffff, v1
	v_cmpx_gt_u32_e32 0x43f00000, v7
	s_xor_b32 s55, exec_lo, s55
	s_cbranch_execz .LBB79_965
; %bb.960:
	s_mov_b32 s56, exec_lo
                                        ; implicit-def: $vgpr6
	v_cmpx_lt_u32_e32 0x3c7fffff, v7
	s_xor_b32 s56, exec_lo, s56
; %bb.961:
	v_bfe_u32 v6, v1, 20, 1
	s_delay_alu instid0(VALU_DEP_1) | instskip(NEXT) | instid1(VALU_DEP_1)
	v_add3_u32 v6, v1, v6, 0x407ffff
	v_and_b32_e32 v7, 0xff00000, v6
	v_lshrrev_b32_e32 v6, 20, v6
	s_delay_alu instid0(VALU_DEP_2) | instskip(NEXT) | instid1(VALU_DEP_2)
	v_cmp_ne_u32_e32 vcc_lo, 0x7f00000, v7
	v_cndmask_b32_e32 v6, 0x7e, v6, vcc_lo
; %bb.962:
	s_and_not1_saveexec_b32 s56, s56
; %bb.963:
	v_add_f32_e64 v6, 0x46800000, |v1|
; %bb.964:
	s_or_b32 exec_lo, exec_lo, s56
                                        ; implicit-def: $vgpr7
.LBB79_965:
	s_and_not1_saveexec_b32 s55, s55
; %bb.966:
	v_mov_b32_e32 v6, 0x7f
	v_cmp_lt_u32_e32 vcc_lo, 0x7f800000, v7
	s_delay_alu instid0(VALU_DEP_2)
	v_cndmask_b32_e32 v6, 0x7e, v6, vcc_lo
; %bb.967:
	s_or_b32 exec_lo, exec_lo, s55
	v_lshrrev_b32_e32 v1, 24, v1
	s_delay_alu instid0(VALU_DEP_1)
	v_and_or_b32 v1, 0x80, v1, v6
	global_store_b8 v[2:3], v1, off
.LBB79_968:
	s_mov_b32 s55, 0
.LBB79_969:
	s_delay_alu instid0(SALU_CYCLE_1)
	s_and_not1_b32 vcc_lo, exec_lo, s55
	s_cbranch_vccnz .LBB79_979
; %bb.970:
	s_wait_xcnt 0x0
	v_xor_b32_e32 v1, v4, v5
	v_cls_i32_e32 v6, v5
	s_mov_b32 s55, exec_lo
	s_delay_alu instid0(VALU_DEP_2) | instskip(NEXT) | instid1(VALU_DEP_1)
	v_ashrrev_i32_e32 v1, 31, v1
	v_add_nc_u32_e32 v1, 32, v1
	s_delay_alu instid0(VALU_DEP_1) | instskip(NEXT) | instid1(VALU_DEP_1)
	v_add_min_u32_e64 v1, v6, -1, v1
	v_lshlrev_b64_e32 v[6:7], v1, v[4:5]
	v_sub_nc_u32_e32 v1, 32, v1
	s_delay_alu instid0(VALU_DEP_2) | instskip(NEXT) | instid1(VALU_DEP_1)
	v_min_u32_e32 v6, 1, v6
	v_or_b32_e32 v6, v7, v6
	s_delay_alu instid0(VALU_DEP_1) | instskip(NEXT) | instid1(VALU_DEP_1)
	v_cvt_f32_i32_e32 v6, v6
	v_ldexp_f32 v1, v6, v1
                                        ; implicit-def: $vgpr6
	s_delay_alu instid0(VALU_DEP_1) | instskip(NEXT) | instid1(VALU_DEP_1)
	v_and_b32_e32 v7, 0x7fffffff, v1
	v_cmpx_gt_u32_e32 0x47800000, v7
	s_xor_b32 s55, exec_lo, s55
	s_cbranch_execz .LBB79_976
; %bb.971:
	s_mov_b32 s56, exec_lo
                                        ; implicit-def: $vgpr6
	v_cmpx_lt_u32_e32 0x387fffff, v7
	s_xor_b32 s56, exec_lo, s56
; %bb.972:
	v_bfe_u32 v6, v1, 21, 1
	s_delay_alu instid0(VALU_DEP_1) | instskip(NEXT) | instid1(VALU_DEP_1)
	v_add3_u32 v6, v1, v6, 0x80fffff
	v_lshrrev_b32_e32 v6, 21, v6
; %bb.973:
	s_and_not1_saveexec_b32 s56, s56
; %bb.974:
	v_add_f32_e64 v6, 0x43000000, |v1|
; %bb.975:
	s_or_b32 exec_lo, exec_lo, s56
                                        ; implicit-def: $vgpr7
.LBB79_976:
	s_and_not1_saveexec_b32 s55, s55
; %bb.977:
	v_mov_b32_e32 v6, 0x7f
	v_cmp_lt_u32_e32 vcc_lo, 0x7f800000, v7
	s_delay_alu instid0(VALU_DEP_2)
	v_cndmask_b32_e32 v6, 0x7c, v6, vcc_lo
; %bb.978:
	s_or_b32 exec_lo, exec_lo, s55
	v_lshrrev_b32_e32 v1, 24, v1
	s_delay_alu instid0(VALU_DEP_1)
	v_and_or_b32 v1, 0x80, v1, v6
	global_store_b8 v[2:3], v1, off
.LBB79_979:
	s_mov_b32 s56, 0
	s_mov_b32 s55, -1
.LBB79_980:
	s_and_not1_b32 vcc_lo, exec_lo, s56
	s_cbranch_vccnz .LBB79_988
; %bb.981:
	s_cmp_gt_i32 s54, 14
	s_mov_b32 s56, -1
	s_cbranch_scc0 .LBB79_985
; %bb.982:
	s_cmp_eq_u32 s54, 15
	s_mov_b32 s0, -1
	s_cbranch_scc0 .LBB79_984
; %bb.983:
	s_wait_xcnt 0x0
	v_xor_b32_e32 v1, v4, v5
	v_cls_i32_e32 v6, v5
	s_mov_b32 s55, -1
	s_mov_b32 s0, 0
	s_delay_alu instid0(VALU_DEP_2) | instskip(NEXT) | instid1(VALU_DEP_1)
	v_ashrrev_i32_e32 v1, 31, v1
	v_add_nc_u32_e32 v1, 32, v1
	s_delay_alu instid0(VALU_DEP_1) | instskip(NEXT) | instid1(VALU_DEP_1)
	v_add_min_u32_e64 v1, v6, -1, v1
	v_lshlrev_b64_e32 v[6:7], v1, v[4:5]
	v_sub_nc_u32_e32 v1, 32, v1
	s_delay_alu instid0(VALU_DEP_2) | instskip(NEXT) | instid1(VALU_DEP_1)
	v_min_u32_e32 v6, 1, v6
	v_or_b32_e32 v6, v7, v6
	s_delay_alu instid0(VALU_DEP_1) | instskip(NEXT) | instid1(VALU_DEP_1)
	v_cvt_f32_i32_e32 v6, v6
	v_ldexp_f32 v1, v6, v1
	s_delay_alu instid0(VALU_DEP_1) | instskip(NEXT) | instid1(VALU_DEP_1)
	v_bfe_u32 v6, v1, 16, 1
	v_add3_u32 v1, v1, v6, 0x7fff
	global_store_d16_hi_b16 v[2:3], v1, off
.LBB79_984:
	s_mov_b32 s56, 0
.LBB79_985:
	s_delay_alu instid0(SALU_CYCLE_1)
	s_and_b32 vcc_lo, exec_lo, s56
	s_cbranch_vccz .LBB79_988
; %bb.986:
	s_cmp_eq_u32 s54, 11
	s_mov_b32 s0, -1
	s_cbranch_scc0 .LBB79_988
; %bb.987:
	v_cmp_ne_u64_e32 vcc_lo, 0, v[4:5]
	s_mov_b32 s55, -1
	s_mov_b32 s0, 0
	s_wait_xcnt 0x0
	v_cndmask_b32_e64 v1, 0, 1, vcc_lo
	global_store_b8 v[2:3], v1, off
.LBB79_988:
	s_mov_b32 s54, 0
.LBB79_989:
	s_delay_alu instid0(SALU_CYCLE_1)
	s_and_b32 vcc_lo, exec_lo, s54
	s_cbranch_vccz .LBB79_1028
; %bb.990:
	s_and_b32 s37, 0xffff, s37
	s_mov_b32 s54, -1
	s_cmp_lt_i32 s37, 5
	s_cbranch_scc1 .LBB79_1011
; %bb.991:
	s_cmp_lt_i32 s37, 8
	s_cbranch_scc1 .LBB79_1001
; %bb.992:
	;; [unrolled: 3-line block ×3, first 2 shown]
	s_cmp_gt_i32 s37, 9
	s_cbranch_scc0 .LBB79_995
; %bb.994:
	s_wait_xcnt 0x0
	v_cvt_f64_i32_e32 v[6:7], v5
	v_cvt_f64_u32_e32 v[8:9], v4
	s_mov_b32 s54, 0
	s_delay_alu instid0(VALU_DEP_2) | instskip(NEXT) | instid1(VALU_DEP_1)
	v_ldexp_f64 v[6:7], v[6:7], 32
	v_dual_add_f64 v[6:7], v[6:7], v[8:9] :: v_dual_mov_b32 v8, 0
	s_delay_alu instid0(VALU_DEP_1)
	v_mov_b32_e32 v9, v8
	global_store_b128 v[2:3], v[6:9], off
.LBB79_995:
	s_and_not1_b32 vcc_lo, exec_lo, s54
	s_cbranch_vccnz .LBB79_997
; %bb.996:
	s_wait_xcnt 0x0
	v_xor_b32_e32 v1, v4, v5
	v_cls_i32_e32 v6, v5
	s_delay_alu instid0(VALU_DEP_2) | instskip(NEXT) | instid1(VALU_DEP_1)
	v_ashrrev_i32_e32 v1, 31, v1
	v_add_nc_u32_e32 v1, 32, v1
	s_delay_alu instid0(VALU_DEP_1) | instskip(NEXT) | instid1(VALU_DEP_1)
	v_add_min_u32_e64 v1, v6, -1, v1
	v_lshlrev_b64_e32 v[6:7], v1, v[4:5]
	v_sub_nc_u32_e32 v1, 32, v1
	s_delay_alu instid0(VALU_DEP_2) | instskip(NEXT) | instid1(VALU_DEP_1)
	v_min_u32_e32 v6, 1, v6
	v_dual_mov_b32 v7, 0 :: v_dual_bitop2_b32 v6, v7, v6 bitop3:0x54
	s_delay_alu instid0(VALU_DEP_1) | instskip(NEXT) | instid1(VALU_DEP_1)
	v_cvt_f32_i32_e32 v6, v6
	v_ldexp_f32 v6, v6, v1
	global_store_b64 v[2:3], v[6:7], off
.LBB79_997:
	s_mov_b32 s54, 0
.LBB79_998:
	s_delay_alu instid0(SALU_CYCLE_1)
	s_and_not1_b32 vcc_lo, exec_lo, s54
	s_cbranch_vccnz .LBB79_1000
; %bb.999:
	s_wait_xcnt 0x0
	v_xor_b32_e32 v1, v4, v5
	v_cls_i32_e32 v6, v5
	s_delay_alu instid0(VALU_DEP_2) | instskip(NEXT) | instid1(VALU_DEP_1)
	v_ashrrev_i32_e32 v1, 31, v1
	v_add_nc_u32_e32 v1, 32, v1
	s_delay_alu instid0(VALU_DEP_1) | instskip(NEXT) | instid1(VALU_DEP_1)
	v_add_min_u32_e64 v1, v6, -1, v1
	v_lshlrev_b64_e32 v[6:7], v1, v[4:5]
	v_sub_nc_u32_e32 v1, 32, v1
	s_delay_alu instid0(VALU_DEP_2) | instskip(NEXT) | instid1(VALU_DEP_1)
	v_min_u32_e32 v6, 1, v6
	v_or_b32_e32 v6, v7, v6
	s_delay_alu instid0(VALU_DEP_1) | instskip(NEXT) | instid1(VALU_DEP_1)
	v_cvt_f32_i32_e32 v6, v6
	v_ldexp_f32 v1, v6, v1
	s_delay_alu instid0(VALU_DEP_1) | instskip(NEXT) | instid1(VALU_DEP_1)
	v_cvt_f16_f32_e32 v1, v1
	v_and_b32_e32 v1, 0xffff, v1
	global_store_b32 v[2:3], v1, off
.LBB79_1000:
	s_mov_b32 s54, 0
.LBB79_1001:
	s_delay_alu instid0(SALU_CYCLE_1)
	s_and_not1_b32 vcc_lo, exec_lo, s54
	s_cbranch_vccnz .LBB79_1010
; %bb.1002:
	s_cmp_lt_i32 s37, 6
	s_mov_b32 s54, -1
	s_cbranch_scc1 .LBB79_1008
; %bb.1003:
	s_cmp_gt_i32 s37, 6
	s_cbranch_scc0 .LBB79_1005
; %bb.1004:
	s_wait_xcnt 0x0
	v_cvt_f64_i32_e32 v[6:7], v5
	v_cvt_f64_u32_e32 v[8:9], v4
	s_mov_b32 s54, 0
	s_delay_alu instid0(VALU_DEP_2) | instskip(NEXT) | instid1(VALU_DEP_1)
	v_ldexp_f64 v[6:7], v[6:7], 32
	v_add_f64_e32 v[6:7], v[6:7], v[8:9]
	global_store_b64 v[2:3], v[6:7], off
.LBB79_1005:
	s_and_not1_b32 vcc_lo, exec_lo, s54
	s_cbranch_vccnz .LBB79_1007
; %bb.1006:
	s_wait_xcnt 0x0
	v_xor_b32_e32 v1, v4, v5
	v_cls_i32_e32 v6, v5
	s_delay_alu instid0(VALU_DEP_2) | instskip(NEXT) | instid1(VALU_DEP_1)
	v_ashrrev_i32_e32 v1, 31, v1
	v_add_nc_u32_e32 v1, 32, v1
	s_delay_alu instid0(VALU_DEP_1) | instskip(NEXT) | instid1(VALU_DEP_1)
	v_add_min_u32_e64 v1, v6, -1, v1
	v_lshlrev_b64_e32 v[6:7], v1, v[4:5]
	v_sub_nc_u32_e32 v1, 32, v1
	s_delay_alu instid0(VALU_DEP_2) | instskip(NEXT) | instid1(VALU_DEP_1)
	v_min_u32_e32 v6, 1, v6
	v_or_b32_e32 v6, v7, v6
	s_delay_alu instid0(VALU_DEP_1) | instskip(NEXT) | instid1(VALU_DEP_1)
	v_cvt_f32_i32_e32 v6, v6
	v_ldexp_f32 v1, v6, v1
	global_store_b32 v[2:3], v1, off
.LBB79_1007:
	s_mov_b32 s54, 0
.LBB79_1008:
	s_delay_alu instid0(SALU_CYCLE_1)
	s_and_not1_b32 vcc_lo, exec_lo, s54
	s_cbranch_vccnz .LBB79_1010
; %bb.1009:
	s_wait_xcnt 0x0
	v_xor_b32_e32 v1, v4, v5
	v_cls_i32_e32 v6, v5
	s_delay_alu instid0(VALU_DEP_2) | instskip(NEXT) | instid1(VALU_DEP_1)
	v_ashrrev_i32_e32 v1, 31, v1
	v_add_nc_u32_e32 v1, 32, v1
	s_delay_alu instid0(VALU_DEP_1) | instskip(NEXT) | instid1(VALU_DEP_1)
	v_add_min_u32_e64 v1, v6, -1, v1
	v_lshlrev_b64_e32 v[6:7], v1, v[4:5]
	v_sub_nc_u32_e32 v1, 32, v1
	s_delay_alu instid0(VALU_DEP_2) | instskip(NEXT) | instid1(VALU_DEP_1)
	v_min_u32_e32 v6, 1, v6
	v_or_b32_e32 v6, v7, v6
	s_delay_alu instid0(VALU_DEP_1) | instskip(NEXT) | instid1(VALU_DEP_1)
	v_cvt_f32_i32_e32 v6, v6
	v_ldexp_f32 v1, v6, v1
	s_delay_alu instid0(VALU_DEP_1)
	v_cvt_f16_f32_e32 v1, v1
	global_store_b16 v[2:3], v1, off
.LBB79_1010:
	s_mov_b32 s54, 0
.LBB79_1011:
	s_delay_alu instid0(SALU_CYCLE_1)
	s_and_not1_b32 vcc_lo, exec_lo, s54
	s_cbranch_vccnz .LBB79_1027
; %bb.1012:
	s_cmp_lt_i32 s37, 2
	s_mov_b32 s54, -1
	s_cbranch_scc1 .LBB79_1022
; %bb.1013:
	s_cmp_lt_i32 s37, 3
	s_cbranch_scc1 .LBB79_1019
; %bb.1014:
	s_cmp_gt_i32 s37, 3
	s_cbranch_scc0 .LBB79_1016
; %bb.1015:
	s_mov_b32 s54, 0
	global_store_b64 v[2:3], v[4:5], off
.LBB79_1016:
	s_and_not1_b32 vcc_lo, exec_lo, s54
	s_cbranch_vccnz .LBB79_1018
; %bb.1017:
	global_store_b32 v[2:3], v4, off
.LBB79_1018:
	s_mov_b32 s54, 0
.LBB79_1019:
	s_delay_alu instid0(SALU_CYCLE_1)
	s_and_not1_b32 vcc_lo, exec_lo, s54
	s_cbranch_vccnz .LBB79_1021
; %bb.1020:
	global_store_b16 v[2:3], v4, off
.LBB79_1021:
	s_mov_b32 s54, 0
.LBB79_1022:
	s_delay_alu instid0(SALU_CYCLE_1)
	s_and_not1_b32 vcc_lo, exec_lo, s54
	s_cbranch_vccnz .LBB79_1027
; %bb.1023:
	s_cmp_gt_i32 s37, 0
	s_mov_b32 s37, -1
	s_cbranch_scc0 .LBB79_1025
; %bb.1024:
	s_mov_b32 s37, 0
	global_store_b8 v[2:3], v4, off
.LBB79_1025:
	s_and_not1_b32 vcc_lo, exec_lo, s37
	s_cbranch_vccnz .LBB79_1027
; %bb.1026:
	global_store_b8 v[2:3], v4, off
.LBB79_1027:
	s_mov_b32 s55, -1
.LBB79_1028:
	s_delay_alu instid0(SALU_CYCLE_1)
	s_and_not1_b32 vcc_lo, exec_lo, s55
	s_cbranch_vccnz .LBB79_1030
; %bb.1029:
	v_add_nc_u32_e32 v0, 0x80, v0
	s_mov_b32 s37, -1
	s_branch .LBB79_1032
.LBB79_1030:
	s_mov_b32 s37, 0
.LBB79_1031:
                                        ; implicit-def: $vgpr0
.LBB79_1032:
	s_and_not1_b32 s54, s48, exec_lo
	s_and_b32 s0, s0, exec_lo
	s_and_not1_b32 s56, s50, exec_lo
	s_and_b32 s36, s36, exec_lo
	s_or_b32 s55, s54, s0
	s_or_b32 s56, s56, s36
	s_and_not1_b32 s0, s51, exec_lo
	s_and_b32 s35, s35, exec_lo
	s_and_not1_b32 s36, s52, exec_lo
	s_and_b32 s34, s34, exec_lo
	s_or_b32 s57, s0, s35
	s_or_b32 s54, s36, s34
	s_or_not1_b32 s37, s37, exec_lo
.LBB79_1033:
	s_wait_xcnt 0x0
	s_or_b32 exec_lo, exec_lo, s58
	s_mov_b32 s35, 0
	s_mov_b32 s36, 0
	;; [unrolled: 1-line block ×3, first 2 shown]
                                        ; implicit-def: $sgpr0
                                        ; implicit-def: $vgpr10_vgpr11
                                        ; implicit-def: $vgpr2
                                        ; implicit-def: $vgpr6
                                        ; implicit-def: $vgpr8
                                        ; implicit-def: $vgpr4_vgpr5
	s_and_saveexec_b32 s58, s37
	s_cbranch_execz .LBB79_1644
; %bb.1034:
	s_mov_b32 s37, -1
	s_mov_b32 s60, s54
	s_mov_b32 s62, s57
	;; [unrolled: 1-line block ×4, first 2 shown]
	s_mov_b32 s59, exec_lo
	v_cmpx_gt_i32_e64 s47, v0
	s_cbranch_execz .LBB79_1554
; %bb.1035:
	s_and_not1_b32 vcc_lo, exec_lo, s40
	s_cbranch_vccnz .LBB79_1041
; %bb.1036:
	s_and_not1_b32 vcc_lo, exec_lo, s49
	s_cbranch_vccnz .LBB79_1042
; %bb.1037:
	s_wait_loadcnt 0x0
	v_dual_mov_b32 v8, 0 :: v_dual_mov_b32 v1, v0
	v_dual_mov_b32 v6, 0 :: v_dual_mov_b32 v2, 0
	v_mov_b32_e32 v4, 0
	s_add_co_i32 s0, s46, 1
	s_mov_b64 s[34:35], 0xffffffffffffffe0
	s_and_b32 s0, s0, 30
	s_add_nc_u64 s[34:35], s[2:3], s[34:35]
	s_mov_b64 s[36:37], s[2:3]
.LBB79_1038:                            ; =>This Inner Loop Header: Depth=1
	s_clause 0x1
	s_load_b128 s[68:71], s[36:37], 0x4
	s_load_b64 s[72:73], s[36:37], 0x14
	s_load_b256 s[60:67], s[34:35], 0xe4
	s_add_co_i32 s0, s0, -2
	s_wait_xcnt 0x0
	s_add_nc_u64 s[36:37], s[36:37], 24
	s_cmp_eq_u32 s0, 0
	s_add_nc_u64 s[34:35], s[34:35], 32
	s_wait_kmcnt 0x0
	v_mul_hi_u32 v3, s69, v1
	s_delay_alu instid0(VALU_DEP_1) | instskip(NEXT) | instid1(VALU_DEP_1)
	v_add_nc_u32_e32 v3, v1, v3
	v_lshrrev_b32_e32 v3, s70, v3
	s_delay_alu instid0(VALU_DEP_1) | instskip(SKIP_1) | instid1(VALU_DEP_1)
	v_mul_hi_u32 v5, s72, v3
	v_mul_lo_u32 v7, v3, s68
	v_dual_add_nc_u32 v5, v3, v5 :: v_dual_sub_nc_u32 v7, v1, v7
	s_delay_alu instid0(VALU_DEP_1) | instskip(NEXT) | instid1(VALU_DEP_2)
	v_lshrrev_b32_e32 v1, s73, v5
	v_mad_u32 v4, v7, s61, v4
	v_mad_u32 v2, v7, s60, v2
	;; [unrolled: 1-line block ×4, first 2 shown]
	v_mul_lo_u32 v5, v1, s71
	s_delay_alu instid0(VALU_DEP_1) | instskip(NEXT) | instid1(VALU_DEP_1)
	v_sub_nc_u32_e32 v3, v3, v5
	v_mad_u32 v4, v3, s65, v4
	v_mad_u32 v2, v3, s64, v2
	;; [unrolled: 1-line block ×4, first 2 shown]
	s_cbranch_scc0 .LBB79_1038
; %bb.1039:
	s_bitcmp1_b32 s46, 0
	s_cselect_b32 s0, -1, 0
	s_delay_alu instid0(SALU_CYCLE_1)
	s_and_b32 vcc_lo, exec_lo, s0
	s_cbranch_vccnz .LBB79_1043
; %bb.1040:
	s_load_b96 s[64:66], s[36:37], 0x4
	s_load_b128 s[60:63], s[34:35], 0xe4
	s_wait_kmcnt 0x0
	v_mul_hi_u32 v3, s65, v1
	s_delay_alu instid0(VALU_DEP_1) | instskip(NEXT) | instid1(VALU_DEP_1)
	v_add_nc_u32_e32 v3, v1, v3
	v_lshrrev_b32_e32 v3, s66, v3
	s_delay_alu instid0(VALU_DEP_1) | instskip(NEXT) | instid1(VALU_DEP_1)
	v_mul_lo_u32 v3, v3, s64
	v_sub_nc_u32_e32 v1, v1, v3
	s_delay_alu instid0(VALU_DEP_1)
	v_mad_u32 v2, v1, s60, v2
	v_mad_u32 v4, v1, s61, v4
	v_mad_u32 v8, v1, s62, v8
	v_mad_u32 v6, v1, s63, v6
	s_branch .LBB79_1043
.LBB79_1041:
	s_mov_b32 s0, -1
                                        ; implicit-def: $vgpr4
                                        ; implicit-def: $vgpr2
                                        ; implicit-def: $vgpr6
                                        ; implicit-def: $vgpr8
	s_branch .LBB79_1044
.LBB79_1042:
	s_wait_loadcnt 0x0
	v_dual_mov_b32 v4, 0 :: v_dual_mov_b32 v2, 0
	v_dual_mov_b32 v6, 0 :: v_dual_mov_b32 v8, 0
.LBB79_1043:
	s_mov_b32 s0, 0
.LBB79_1044:
	s_delay_alu instid0(SALU_CYCLE_1)
	s_and_not1_b32 vcc_lo, exec_lo, s0
	s_cbranch_vccnz .LBB79_1047
; %bb.1045:
	v_mov_b32_e32 v1, 0
	s_and_not1_b32 vcc_lo, exec_lo, s45
	s_delay_alu instid0(VALU_DEP_1) | instskip(NEXT) | instid1(VALU_DEP_1)
	v_mul_u64_e32 v[2:3], s[28:29], v[0:1]
	v_add_nc_u32_e32 v2, v0, v3
	s_wait_loadcnt 0x0
	s_delay_alu instid0(VALU_DEP_1) | instskip(NEXT) | instid1(VALU_DEP_1)
	v_lshrrev_b32_e32 v10, s26, v2
	v_mul_lo_u32 v2, v10, s24
	s_delay_alu instid0(VALU_DEP_1) | instskip(NEXT) | instid1(VALU_DEP_1)
	v_sub_nc_u32_e32 v3, v0, v2
	v_mul_lo_u32 v4, v3, s13
	v_mul_lo_u32 v2, v3, s12
	;; [unrolled: 1-line block ×4, first 2 shown]
	s_cbranch_vccnz .LBB79_1047
; %bb.1046:
	v_mov_b32_e32 v11, v1
	s_delay_alu instid0(VALU_DEP_1) | instskip(NEXT) | instid1(VALU_DEP_1)
	v_mul_u64_e32 v[12:13], s[30:31], v[10:11]
	v_add_nc_u32_e32 v1, v10, v13
	s_delay_alu instid0(VALU_DEP_1) | instskip(NEXT) | instid1(VALU_DEP_1)
	v_lshrrev_b32_e32 v1, s1, v1
	v_mul_lo_u32 v1, v1, s27
	s_delay_alu instid0(VALU_DEP_1) | instskip(NEXT) | instid1(VALU_DEP_1)
	v_sub_nc_u32_e32 v1, v10, v1
	v_mad_u32 v2, v1, s16, v2
	v_mad_u32 v4, v1, s17, v4
	;; [unrolled: 1-line block ×4, first 2 shown]
.LBB79_1047:
	s_wait_loadcnt 0x0
	v_mov_b32_e32 v5, 0
	s_and_b32 s0, s44, 0xff
	s_delay_alu instid0(SALU_CYCLE_1) | instskip(NEXT) | instid1(VALU_DEP_1)
	s_cmp_lt_i32 s0, 11
	v_add_nc_u64_e32 v[10:11], s[6:7], v[4:5]
	s_cbranch_scc1 .LBB79_1054
; %bb.1048:
	s_and_b32 s35, 0xffff, s0
	s_delay_alu instid0(SALU_CYCLE_1)
	s_cmp_gt_i32 s35, 25
	s_cbranch_scc0 .LBB79_1055
; %bb.1049:
	s_cmp_gt_i32 s35, 28
	s_cbranch_scc0 .LBB79_1056
; %bb.1050:
	;; [unrolled: 3-line block ×4, first 2 shown]
	s_cmp_eq_u32 s35, 46
	s_mov_b32 s37, 0
	s_cbranch_scc0 .LBB79_1059
; %bb.1053:
	global_load_b32 v1, v[10:11], off
	s_mov_b32 s36, -1
	s_mov_b32 s34, 0
	s_wait_loadcnt 0x0
	v_lshlrev_b32_e32 v1, 16, v1
	s_delay_alu instid0(VALU_DEP_1) | instskip(NEXT) | instid1(VALU_DEP_1)
	v_trunc_f32_e32 v1, v1
	v_mul_f32_e64 v3, 0x2f800000, |v1|
	v_ashrrev_i32_e32 v4, 31, v1
	s_delay_alu instid0(VALU_DEP_2) | instskip(NEXT) | instid1(VALU_DEP_1)
	v_floor_f32_e32 v3, v3
	v_fma_f32 v5, 0xcf800000, v3, |v1|
	v_cvt_u32_f32_e32 v1, v3
	s_delay_alu instid0(VALU_DEP_2) | instskip(NEXT) | instid1(VALU_DEP_2)
	v_cvt_u32_f32_e32 v3, v5
	v_dual_mov_b32 v5, v4 :: v_dual_bitop2_b32 v13, v1, v4 bitop3:0x14
	s_delay_alu instid0(VALU_DEP_2) | instskip(NEXT) | instid1(VALU_DEP_1)
	v_xor_b32_e32 v12, v3, v4
	v_sub_nc_u64_e32 v[4:5], v[12:13], v[4:5]
	s_branch .LBB79_1061
.LBB79_1054:
	s_mov_b32 s35, -1
	s_mov_b32 s36, 0
	s_mov_b32 s34, s54
                                        ; implicit-def: $vgpr4_vgpr5
	s_branch .LBB79_1122
.LBB79_1055:
	s_mov_b32 s37, -1
	s_mov_b32 s36, 0
	s_mov_b32 s34, s54
                                        ; implicit-def: $vgpr4_vgpr5
	s_branch .LBB79_1088
.LBB79_1056:
	s_mov_b32 s37, -1
	s_mov_b32 s36, 0
	s_mov_b32 s34, s54
                                        ; implicit-def: $vgpr4_vgpr5
	s_branch .LBB79_1071
.LBB79_1057:
	s_mov_b32 s37, -1
	s_mov_b32 s36, 0
	s_mov_b32 s34, s54
                                        ; implicit-def: $vgpr4_vgpr5
	s_branch .LBB79_1066
.LBB79_1058:
	s_mov_b32 s37, -1
	s_mov_b32 s36, 0
	s_mov_b32 s34, s54
	s_branch .LBB79_1060
.LBB79_1059:
	s_mov_b32 s34, -1
	s_mov_b32 s36, 0
.LBB79_1060:
                                        ; implicit-def: $vgpr4_vgpr5
.LBB79_1061:
	s_and_b32 vcc_lo, exec_lo, s37
	s_cbranch_vccz .LBB79_1065
; %bb.1062:
	s_cmp_eq_u32 s35, 44
	s_cbranch_scc0 .LBB79_1064
; %bb.1063:
	global_load_u8 v1, v[10:11], off
	s_mov_b32 s34, 0
	s_mov_b32 s36, -1
	s_wait_loadcnt 0x0
	v_lshlrev_b32_e32 v3, 23, v1
	v_cmp_ne_u32_e32 vcc_lo, 0, v1
	s_delay_alu instid0(VALU_DEP_2) | instskip(NEXT) | instid1(VALU_DEP_1)
	v_trunc_f32_e32 v3, v3
	v_mul_f32_e64 v4, 0x2f800000, |v3|
	s_delay_alu instid0(VALU_DEP_1) | instskip(SKIP_1) | instid1(VALU_DEP_2)
	v_floor_f32_e32 v5, v4
	v_ashrrev_i32_e32 v4, 31, v3
	v_fma_f32 v7, 0xcf800000, v5, |v3|
	v_cvt_u32_f32_e32 v3, v5
	s_delay_alu instid0(VALU_DEP_3) | instskip(NEXT) | instid1(VALU_DEP_3)
	v_mov_b32_e32 v5, v4
	v_cvt_u32_f32_e32 v7, v7
	s_delay_alu instid0(VALU_DEP_3) | instskip(NEXT) | instid1(VALU_DEP_2)
	v_xor_b32_e32 v13, v3, v4
	v_xor_b32_e32 v12, v7, v4
	s_delay_alu instid0(VALU_DEP_1) | instskip(NEXT) | instid1(VALU_DEP_1)
	v_sub_nc_u64_e32 v[4:5], v[12:13], v[4:5]
	v_dual_cndmask_b32 v5, 0, v5 :: v_dual_cndmask_b32 v4, 0, v4
	s_branch .LBB79_1065
.LBB79_1064:
	s_mov_b32 s34, -1
                                        ; implicit-def: $vgpr4_vgpr5
.LBB79_1065:
	s_mov_b32 s37, 0
.LBB79_1066:
	s_delay_alu instid0(SALU_CYCLE_1)
	s_and_b32 vcc_lo, exec_lo, s37
	s_cbranch_vccz .LBB79_1070
; %bb.1067:
	s_cmp_eq_u32 s35, 29
	s_cbranch_scc0 .LBB79_1069
; %bb.1068:
	global_load_b64 v[4:5], v[10:11], off
	s_mov_b32 s36, -1
	s_mov_b32 s34, 0
	s_branch .LBB79_1070
.LBB79_1069:
	s_mov_b32 s34, -1
                                        ; implicit-def: $vgpr4_vgpr5
.LBB79_1070:
	s_mov_b32 s37, 0
.LBB79_1071:
	s_delay_alu instid0(SALU_CYCLE_1)
	s_and_b32 vcc_lo, exec_lo, s37
	s_cbranch_vccz .LBB79_1087
; %bb.1072:
	s_cmp_lt_i32 s35, 27
	s_cbranch_scc1 .LBB79_1075
; %bb.1073:
	s_cmp_gt_i32 s35, 27
	s_cbranch_scc0 .LBB79_1076
; %bb.1074:
	s_wait_loadcnt 0x0
	global_load_b32 v4, v[10:11], off
	v_mov_b32_e32 v5, 0
	s_mov_b32 s36, 0
	s_branch .LBB79_1077
.LBB79_1075:
	s_mov_b32 s36, -1
                                        ; implicit-def: $vgpr4_vgpr5
	s_branch .LBB79_1080
.LBB79_1076:
	s_mov_b32 s36, -1
                                        ; implicit-def: $vgpr4_vgpr5
.LBB79_1077:
	s_delay_alu instid0(SALU_CYCLE_1)
	s_and_not1_b32 vcc_lo, exec_lo, s36
	s_cbranch_vccnz .LBB79_1079
; %bb.1078:
	global_load_u16 v1, v[10:11], off
	s_mov_b32 s36, 0
	s_wait_loadcnt 0x1
	v_mov_b32_e32 v5, s36
	s_wait_loadcnt 0x0
	v_and_b32_e32 v4, 0xffff, v1
.LBB79_1079:
	s_mov_b32 s36, 0
.LBB79_1080:
	s_delay_alu instid0(SALU_CYCLE_1)
	s_and_not1_b32 vcc_lo, exec_lo, s36
	s_cbranch_vccnz .LBB79_1086
; %bb.1081:
	global_load_u8 v1, v[10:11], off
	s_mov_b32 s37, 0
	s_mov_b32 s36, exec_lo
	s_wait_loadcnt 0x0
	v_cmpx_lt_i16_e32 0x7f, v1
	s_xor_b32 s36, exec_lo, s36
	s_cbranch_execz .LBB79_1098
; %bb.1082:
	v_cmp_ne_u16_e32 vcc_lo, 0x80, v1
	s_and_b32 s37, vcc_lo, exec_lo
	s_and_not1_saveexec_b32 s36, s36
	s_cbranch_execnz .LBB79_1099
.LBB79_1083:
	s_or_b32 exec_lo, exec_lo, s36
	v_mov_b64_e32 v[4:5], 0
	s_and_saveexec_b32 s36, s37
	s_cbranch_execz .LBB79_1085
.LBB79_1084:
	v_and_b32_e32 v3, 0xffff, v1
	s_delay_alu instid0(VALU_DEP_1) | instskip(SKIP_1) | instid1(VALU_DEP_2)
	v_and_b32_e32 v4, 7, v3
	v_bfe_u32 v9, v3, 3, 4
	v_clz_i32_u32_e32 v5, v4
	s_delay_alu instid0(VALU_DEP_2) | instskip(NEXT) | instid1(VALU_DEP_2)
	v_cmp_eq_u32_e32 vcc_lo, 0, v9
	v_min_u32_e32 v5, 32, v5
	s_delay_alu instid0(VALU_DEP_1) | instskip(NEXT) | instid1(VALU_DEP_1)
	v_subrev_nc_u32_e32 v7, 28, v5
	v_dual_lshlrev_b32 v3, v7, v3 :: v_dual_sub_nc_u32 v5, 29, v5
	s_delay_alu instid0(VALU_DEP_1) | instskip(NEXT) | instid1(VALU_DEP_1)
	v_dual_lshlrev_b32 v1, 24, v1 :: v_dual_bitop2_b32 v3, 7, v3 bitop3:0x40
	v_dual_cndmask_b32 v3, v4, v3, vcc_lo :: v_dual_cndmask_b32 v5, v9, v5, vcc_lo
	s_delay_alu instid0(VALU_DEP_2) | instskip(NEXT) | instid1(VALU_DEP_2)
	v_and_b32_e32 v1, 0x80000000, v1
	v_lshlrev_b32_e32 v3, 20, v3
	s_delay_alu instid0(VALU_DEP_3) | instskip(NEXT) | instid1(VALU_DEP_1)
	v_lshl_add_u32 v4, v5, 23, 0x3b800000
	v_or3_b32 v1, v1, v4, v3
	s_delay_alu instid0(VALU_DEP_1) | instskip(NEXT) | instid1(VALU_DEP_1)
	v_trunc_f32_e32 v1, v1
	v_mul_f32_e64 v3, 0x2f800000, |v1|
	v_ashrrev_i32_e32 v4, 31, v1
	s_delay_alu instid0(VALU_DEP_2) | instskip(NEXT) | instid1(VALU_DEP_1)
	v_floor_f32_e32 v3, v3
	v_fma_f32 v5, 0xcf800000, v3, |v1|
	v_cvt_u32_f32_e32 v1, v3
	s_delay_alu instid0(VALU_DEP_2) | instskip(NEXT) | instid1(VALU_DEP_2)
	v_cvt_u32_f32_e32 v3, v5
	v_dual_mov_b32 v5, v4 :: v_dual_bitop2_b32 v13, v1, v4 bitop3:0x14
	s_delay_alu instid0(VALU_DEP_2) | instskip(NEXT) | instid1(VALU_DEP_1)
	v_xor_b32_e32 v12, v3, v4
	v_sub_nc_u64_e32 v[4:5], v[12:13], v[4:5]
.LBB79_1085:
	s_or_b32 exec_lo, exec_lo, s36
.LBB79_1086:
	s_mov_b32 s36, -1
.LBB79_1087:
	s_mov_b32 s37, 0
.LBB79_1088:
	s_delay_alu instid0(SALU_CYCLE_1)
	s_and_b32 vcc_lo, exec_lo, s37
	s_cbranch_vccz .LBB79_1121
; %bb.1089:
	s_cmp_gt_i32 s35, 22
	s_cbranch_scc0 .LBB79_1097
; %bb.1090:
	s_cmp_lt_i32 s35, 24
	s_cbranch_scc1 .LBB79_1100
; %bb.1091:
	s_cmp_gt_i32 s35, 24
	s_cbranch_scc0 .LBB79_1101
; %bb.1092:
	global_load_u8 v1, v[10:11], off
	s_mov_b32 s37, 0
	s_mov_b32 s36, exec_lo
	s_wait_loadcnt 0x0
	v_cmpx_lt_i16_e32 0x7f, v1
	s_xor_b32 s36, exec_lo, s36
	s_cbranch_execz .LBB79_1113
; %bb.1093:
	v_cmp_ne_u16_e32 vcc_lo, 0x80, v1
	s_and_b32 s37, vcc_lo, exec_lo
	s_and_not1_saveexec_b32 s36, s36
	s_cbranch_execnz .LBB79_1114
.LBB79_1094:
	s_or_b32 exec_lo, exec_lo, s36
	v_mov_b64_e32 v[4:5], 0
	s_and_saveexec_b32 s36, s37
	s_cbranch_execz .LBB79_1096
.LBB79_1095:
	v_and_b32_e32 v3, 0xffff, v1
	s_delay_alu instid0(VALU_DEP_1) | instskip(SKIP_1) | instid1(VALU_DEP_2)
	v_and_b32_e32 v4, 3, v3
	v_bfe_u32 v9, v3, 2, 5
	v_clz_i32_u32_e32 v5, v4
	s_delay_alu instid0(VALU_DEP_2) | instskip(NEXT) | instid1(VALU_DEP_2)
	v_cmp_eq_u32_e32 vcc_lo, 0, v9
	v_min_u32_e32 v5, 32, v5
	s_delay_alu instid0(VALU_DEP_1) | instskip(NEXT) | instid1(VALU_DEP_1)
	v_subrev_nc_u32_e32 v7, 29, v5
	v_dual_lshlrev_b32 v3, v7, v3 :: v_dual_sub_nc_u32 v5, 30, v5
	s_delay_alu instid0(VALU_DEP_1) | instskip(NEXT) | instid1(VALU_DEP_1)
	v_dual_lshlrev_b32 v1, 24, v1 :: v_dual_bitop2_b32 v3, 3, v3 bitop3:0x40
	v_dual_cndmask_b32 v3, v4, v3, vcc_lo :: v_dual_cndmask_b32 v5, v9, v5, vcc_lo
	s_delay_alu instid0(VALU_DEP_2) | instskip(NEXT) | instid1(VALU_DEP_2)
	v_and_b32_e32 v1, 0x80000000, v1
	v_lshlrev_b32_e32 v3, 21, v3
	s_delay_alu instid0(VALU_DEP_3) | instskip(NEXT) | instid1(VALU_DEP_1)
	v_lshl_add_u32 v4, v5, 23, 0x37800000
	v_or3_b32 v1, v1, v4, v3
	s_delay_alu instid0(VALU_DEP_1) | instskip(NEXT) | instid1(VALU_DEP_1)
	v_trunc_f32_e32 v1, v1
	v_mul_f32_e64 v3, 0x2f800000, |v1|
	v_ashrrev_i32_e32 v4, 31, v1
	s_delay_alu instid0(VALU_DEP_2) | instskip(NEXT) | instid1(VALU_DEP_1)
	v_floor_f32_e32 v3, v3
	v_fma_f32 v5, 0xcf800000, v3, |v1|
	v_cvt_u32_f32_e32 v1, v3
	s_delay_alu instid0(VALU_DEP_2) | instskip(NEXT) | instid1(VALU_DEP_2)
	v_cvt_u32_f32_e32 v3, v5
	v_dual_mov_b32 v5, v4 :: v_dual_bitop2_b32 v13, v1, v4 bitop3:0x14
	s_delay_alu instid0(VALU_DEP_2) | instskip(NEXT) | instid1(VALU_DEP_1)
	v_xor_b32_e32 v12, v3, v4
	v_sub_nc_u64_e32 v[4:5], v[12:13], v[4:5]
.LBB79_1096:
	s_or_b32 exec_lo, exec_lo, s36
	s_mov_b32 s36, 0
	s_branch .LBB79_1102
.LBB79_1097:
	s_mov_b32 s37, -1
                                        ; implicit-def: $vgpr4_vgpr5
	s_branch .LBB79_1108
.LBB79_1098:
	s_and_not1_saveexec_b32 s36, s36
	s_cbranch_execz .LBB79_1083
.LBB79_1099:
	v_cmp_ne_u16_e32 vcc_lo, 0, v1
	s_and_not1_b32 s37, s37, exec_lo
	s_and_b32 s60, vcc_lo, exec_lo
	s_delay_alu instid0(SALU_CYCLE_1)
	s_or_b32 s37, s37, s60
	s_or_b32 exec_lo, exec_lo, s36
	v_mov_b64_e32 v[4:5], 0
	s_and_saveexec_b32 s36, s37
	s_cbranch_execnz .LBB79_1084
	s_branch .LBB79_1085
.LBB79_1100:
	s_mov_b32 s36, -1
                                        ; implicit-def: $vgpr4_vgpr5
	s_branch .LBB79_1105
.LBB79_1101:
	s_mov_b32 s36, -1
                                        ; implicit-def: $vgpr4_vgpr5
.LBB79_1102:
	s_delay_alu instid0(SALU_CYCLE_1)
	s_and_b32 vcc_lo, exec_lo, s36
	s_cbranch_vccz .LBB79_1104
; %bb.1103:
	global_load_u8 v1, v[10:11], off
	s_wait_loadcnt 0x0
	v_lshlrev_b32_e32 v1, 24, v1
	s_delay_alu instid0(VALU_DEP_1) | instskip(NEXT) | instid1(VALU_DEP_1)
	v_and_b32_e32 v3, 0x7f000000, v1
	v_clz_i32_u32_e32 v4, v3
	v_add_nc_u32_e32 v7, 0x1000000, v3
	v_cmp_ne_u32_e32 vcc_lo, 0, v3
	s_delay_alu instid0(VALU_DEP_3) | instskip(NEXT) | instid1(VALU_DEP_1)
	v_min_u32_e32 v4, 32, v4
	v_sub_nc_u32_e64 v4, v4, 4 clamp
	s_delay_alu instid0(VALU_DEP_1) | instskip(NEXT) | instid1(VALU_DEP_1)
	v_dual_lshlrev_b32 v5, v4, v3 :: v_dual_lshlrev_b32 v4, 23, v4
	v_lshrrev_b32_e32 v5, 4, v5
	s_delay_alu instid0(VALU_DEP_1) | instskip(NEXT) | instid1(VALU_DEP_1)
	v_dual_sub_nc_u32 v4, v5, v4 :: v_dual_ashrrev_i32 v5, 8, v7
	v_add_nc_u32_e32 v4, 0x3c000000, v4
	s_delay_alu instid0(VALU_DEP_1) | instskip(NEXT) | instid1(VALU_DEP_1)
	v_and_or_b32 v4, 0x7f800000, v5, v4
	v_cndmask_b32_e32 v3, 0, v4, vcc_lo
	s_delay_alu instid0(VALU_DEP_1) | instskip(NEXT) | instid1(VALU_DEP_1)
	v_and_or_b32 v1, 0x80000000, v1, v3
	v_trunc_f32_e32 v1, v1
	s_delay_alu instid0(VALU_DEP_1) | instskip(SKIP_1) | instid1(VALU_DEP_2)
	v_mul_f32_e64 v3, 0x2f800000, |v1|
	v_ashrrev_i32_e32 v4, 31, v1
	v_floor_f32_e32 v3, v3
	s_delay_alu instid0(VALU_DEP_1) | instskip(SKIP_1) | instid1(VALU_DEP_2)
	v_fma_f32 v5, 0xcf800000, v3, |v1|
	v_cvt_u32_f32_e32 v1, v3
	v_cvt_u32_f32_e32 v3, v5
	s_delay_alu instid0(VALU_DEP_2) | instskip(NEXT) | instid1(VALU_DEP_2)
	v_dual_mov_b32 v5, v4 :: v_dual_bitop2_b32 v13, v1, v4 bitop3:0x14
	v_xor_b32_e32 v12, v3, v4
	s_delay_alu instid0(VALU_DEP_1)
	v_sub_nc_u64_e32 v[4:5], v[12:13], v[4:5]
.LBB79_1104:
	s_mov_b32 s36, 0
.LBB79_1105:
	s_delay_alu instid0(SALU_CYCLE_1)
	s_and_not1_b32 vcc_lo, exec_lo, s36
	s_cbranch_vccnz .LBB79_1107
; %bb.1106:
	global_load_u8 v1, v[10:11], off
	s_wait_loadcnt 0x0
	v_lshlrev_b32_e32 v3, 25, v1
	v_lshlrev_b16 v1, 8, v1
	s_delay_alu instid0(VALU_DEP_1) | instskip(NEXT) | instid1(VALU_DEP_3)
	v_and_or_b32 v5, 0x7f00, v1, 0.5
	v_lshrrev_b32_e32 v4, 4, v3
	v_bfe_i32 v1, v1, 0, 16
	s_delay_alu instid0(VALU_DEP_3) | instskip(NEXT) | instid1(VALU_DEP_3)
	v_add_f32_e32 v5, -0.5, v5
	v_or_b32_e32 v4, 0x70000000, v4
	s_delay_alu instid0(VALU_DEP_1) | instskip(SKIP_1) | instid1(VALU_DEP_2)
	v_mul_f32_e32 v4, 0x7800000, v4
	v_cmp_gt_u32_e32 vcc_lo, 0x8000000, v3
	v_cndmask_b32_e32 v3, v4, v5, vcc_lo
	s_delay_alu instid0(VALU_DEP_1) | instskip(NEXT) | instid1(VALU_DEP_1)
	v_and_or_b32 v1, 0x80000000, v1, v3
	v_trunc_f32_e32 v1, v1
	s_delay_alu instid0(VALU_DEP_1) | instskip(SKIP_1) | instid1(VALU_DEP_2)
	v_mul_f32_e64 v3, 0x2f800000, |v1|
	v_ashrrev_i32_e32 v4, 31, v1
	v_floor_f32_e32 v3, v3
	s_delay_alu instid0(VALU_DEP_1) | instskip(SKIP_1) | instid1(VALU_DEP_2)
	v_fma_f32 v5, 0xcf800000, v3, |v1|
	v_cvt_u32_f32_e32 v1, v3
	v_cvt_u32_f32_e32 v3, v5
	s_delay_alu instid0(VALU_DEP_2) | instskip(NEXT) | instid1(VALU_DEP_2)
	v_dual_mov_b32 v5, v4 :: v_dual_bitop2_b32 v13, v1, v4 bitop3:0x14
	v_xor_b32_e32 v12, v3, v4
	s_delay_alu instid0(VALU_DEP_1)
	v_sub_nc_u64_e32 v[4:5], v[12:13], v[4:5]
.LBB79_1107:
	s_mov_b32 s37, 0
	s_mov_b32 s36, -1
.LBB79_1108:
	s_and_not1_b32 vcc_lo, exec_lo, s37
	s_cbranch_vccnz .LBB79_1121
; %bb.1109:
	s_cmp_gt_i32 s35, 14
	s_cbranch_scc0 .LBB79_1112
; %bb.1110:
	s_cmp_eq_u32 s35, 15
	s_cbranch_scc0 .LBB79_1115
; %bb.1111:
	global_load_u16 v1, v[10:11], off
	s_mov_b32 s36, -1
	s_mov_b32 s34, 0
	s_wait_loadcnt 0x0
	v_lshlrev_b32_e32 v1, 16, v1
	s_delay_alu instid0(VALU_DEP_1) | instskip(NEXT) | instid1(VALU_DEP_1)
	v_trunc_f32_e32 v1, v1
	v_mul_f32_e64 v3, 0x2f800000, |v1|
	v_ashrrev_i32_e32 v4, 31, v1
	s_delay_alu instid0(VALU_DEP_2) | instskip(NEXT) | instid1(VALU_DEP_1)
	v_floor_f32_e32 v3, v3
	v_fma_f32 v5, 0xcf800000, v3, |v1|
	v_cvt_u32_f32_e32 v1, v3
	s_delay_alu instid0(VALU_DEP_2) | instskip(NEXT) | instid1(VALU_DEP_2)
	v_cvt_u32_f32_e32 v3, v5
	v_dual_mov_b32 v5, v4 :: v_dual_bitop2_b32 v13, v1, v4 bitop3:0x14
	s_delay_alu instid0(VALU_DEP_2) | instskip(NEXT) | instid1(VALU_DEP_1)
	v_xor_b32_e32 v12, v3, v4
	v_sub_nc_u64_e32 v[4:5], v[12:13], v[4:5]
	s_branch .LBB79_1116
.LBB79_1112:
	s_mov_b32 s37, -1
                                        ; implicit-def: $vgpr4_vgpr5
	s_branch .LBB79_1117
.LBB79_1113:
	s_and_not1_saveexec_b32 s36, s36
	s_cbranch_execz .LBB79_1094
.LBB79_1114:
	v_cmp_ne_u16_e32 vcc_lo, 0, v1
	s_and_not1_b32 s37, s37, exec_lo
	s_and_b32 s60, vcc_lo, exec_lo
	s_delay_alu instid0(SALU_CYCLE_1)
	s_or_b32 s37, s37, s60
	s_or_b32 exec_lo, exec_lo, s36
	v_mov_b64_e32 v[4:5], 0
	s_and_saveexec_b32 s36, s37
	s_cbranch_execnz .LBB79_1095
	s_branch .LBB79_1096
.LBB79_1115:
	s_mov_b32 s34, -1
                                        ; implicit-def: $vgpr4_vgpr5
.LBB79_1116:
	s_mov_b32 s37, 0
.LBB79_1117:
	s_delay_alu instid0(SALU_CYCLE_1)
	s_and_b32 vcc_lo, exec_lo, s37
	s_cbranch_vccz .LBB79_1121
; %bb.1118:
	s_cmp_eq_u32 s35, 11
	s_cbranch_scc0 .LBB79_1120
; %bb.1119:
	global_load_u8 v1, v[10:11], off
	s_mov_b32 s34, 0
	s_mov_b32 s36, -1
	s_wait_loadcnt 0x1
	v_mov_b32_e32 v5, s34
	s_wait_loadcnt 0x0
	v_cmp_ne_u16_e32 vcc_lo, 0, v1
	v_cndmask_b32_e64 v4, 0, 1, vcc_lo
	s_branch .LBB79_1121
.LBB79_1120:
	s_mov_b32 s34, -1
                                        ; implicit-def: $vgpr4_vgpr5
.LBB79_1121:
	s_mov_b32 s35, 0
.LBB79_1122:
	s_delay_alu instid0(SALU_CYCLE_1)
	s_and_b32 vcc_lo, exec_lo, s35
	s_cbranch_vccz .LBB79_1171
; %bb.1123:
	s_and_b32 s0, 0xffff, s0
	s_delay_alu instid0(SALU_CYCLE_1)
	s_cmp_lt_i32 s0, 5
	s_cbranch_scc1 .LBB79_1128
; %bb.1124:
	s_cmp_lt_i32 s0, 8
	s_cbranch_scc1 .LBB79_1129
; %bb.1125:
	s_cmp_lt_i32 s0, 9
	s_cbranch_scc1 .LBB79_1130
; %bb.1126:
	s_cmp_gt_i32 s0, 9
	s_cbranch_scc0 .LBB79_1131
; %bb.1127:
	s_wait_loadcnt 0x0
	global_load_b64 v[4:5], v[10:11], off
	s_mov_b32 s35, 0
	s_wait_loadcnt 0x0
	v_trunc_f64_e32 v[4:5], v[4:5]
	s_delay_alu instid0(VALU_DEP_1) | instskip(NEXT) | instid1(VALU_DEP_1)
	v_ldexp_f64 v[12:13], v[4:5], 0xffffffe0
	v_floor_f64_e32 v[12:13], v[12:13]
	s_delay_alu instid0(VALU_DEP_1) | instskip(SKIP_1) | instid1(VALU_DEP_2)
	v_fmamk_f64 v[14:15], v[12:13], 0xc1f00000, v[4:5]
	v_cvt_i32_f64_e32 v5, v[12:13]
	v_cvt_u32_f64_e32 v4, v[14:15]
	s_branch .LBB79_1132
.LBB79_1128:
	s_mov_b32 s35, -1
                                        ; implicit-def: $vgpr4_vgpr5
	s_branch .LBB79_1150
.LBB79_1129:
	s_mov_b32 s35, -1
                                        ; implicit-def: $vgpr4_vgpr5
	s_branch .LBB79_1138
.LBB79_1130:
	s_mov_b32 s35, -1
                                        ; implicit-def: $vgpr4_vgpr5
	s_branch .LBB79_1135
.LBB79_1131:
	s_mov_b32 s35, -1
                                        ; implicit-def: $vgpr4_vgpr5
.LBB79_1132:
	s_delay_alu instid0(SALU_CYCLE_1)
	s_and_not1_b32 vcc_lo, exec_lo, s35
	s_cbranch_vccnz .LBB79_1134
; %bb.1133:
	global_load_b32 v1, v[10:11], off
	s_wait_loadcnt 0x0
	v_trunc_f32_e32 v1, v1
	s_delay_alu instid0(VALU_DEP_1) | instskip(SKIP_1) | instid1(VALU_DEP_2)
	v_mul_f32_e64 v3, 0x2f800000, |v1|
	v_ashrrev_i32_e32 v4, 31, v1
	v_floor_f32_e32 v3, v3
	s_delay_alu instid0(VALU_DEP_1) | instskip(SKIP_1) | instid1(VALU_DEP_2)
	v_fma_f32 v5, 0xcf800000, v3, |v1|
	v_cvt_u32_f32_e32 v1, v3
	v_cvt_u32_f32_e32 v3, v5
	s_delay_alu instid0(VALU_DEP_2) | instskip(NEXT) | instid1(VALU_DEP_2)
	v_dual_mov_b32 v5, v4 :: v_dual_bitop2_b32 v13, v1, v4 bitop3:0x14
	v_xor_b32_e32 v12, v3, v4
	s_delay_alu instid0(VALU_DEP_1)
	v_sub_nc_u64_e32 v[4:5], v[12:13], v[4:5]
.LBB79_1134:
	s_mov_b32 s35, 0
.LBB79_1135:
	s_delay_alu instid0(SALU_CYCLE_1)
	s_and_not1_b32 vcc_lo, exec_lo, s35
	s_cbranch_vccnz .LBB79_1137
; %bb.1136:
	global_load_b32 v1, v[10:11], off
	s_wait_loadcnt 0x0
	v_cvt_f32_f16_e32 v1, v1
	s_delay_alu instid0(VALU_DEP_1) | instskip(NEXT) | instid1(VALU_DEP_1)
	v_cvt_i32_f32_e32 v4, v1
	v_ashrrev_i32_e32 v5, 31, v4
.LBB79_1137:
	s_mov_b32 s35, 0
.LBB79_1138:
	s_delay_alu instid0(SALU_CYCLE_1)
	s_and_not1_b32 vcc_lo, exec_lo, s35
	s_cbranch_vccnz .LBB79_1149
; %bb.1139:
	s_cmp_lt_i32 s0, 6
	s_cbranch_scc1 .LBB79_1142
; %bb.1140:
	s_cmp_gt_i32 s0, 6
	s_cbranch_scc0 .LBB79_1143
; %bb.1141:
	s_wait_loadcnt 0x0
	global_load_b64 v[4:5], v[10:11], off
	s_mov_b32 s35, 0
	s_wait_loadcnt 0x0
	v_trunc_f64_e32 v[4:5], v[4:5]
	s_delay_alu instid0(VALU_DEP_1) | instskip(NEXT) | instid1(VALU_DEP_1)
	v_ldexp_f64 v[12:13], v[4:5], 0xffffffe0
	v_floor_f64_e32 v[12:13], v[12:13]
	s_delay_alu instid0(VALU_DEP_1) | instskip(SKIP_1) | instid1(VALU_DEP_2)
	v_fmamk_f64 v[14:15], v[12:13], 0xc1f00000, v[4:5]
	v_cvt_i32_f64_e32 v5, v[12:13]
	v_cvt_u32_f64_e32 v4, v[14:15]
	s_branch .LBB79_1144
.LBB79_1142:
	s_mov_b32 s35, -1
                                        ; implicit-def: $vgpr4_vgpr5
	s_branch .LBB79_1147
.LBB79_1143:
	s_mov_b32 s35, -1
                                        ; implicit-def: $vgpr4_vgpr5
.LBB79_1144:
	s_delay_alu instid0(SALU_CYCLE_1)
	s_and_not1_b32 vcc_lo, exec_lo, s35
	s_cbranch_vccnz .LBB79_1146
; %bb.1145:
	global_load_b32 v1, v[10:11], off
	s_wait_loadcnt 0x0
	v_trunc_f32_e32 v1, v1
	s_delay_alu instid0(VALU_DEP_1) | instskip(SKIP_1) | instid1(VALU_DEP_2)
	v_mul_f32_e64 v3, 0x2f800000, |v1|
	v_ashrrev_i32_e32 v4, 31, v1
	v_floor_f32_e32 v3, v3
	s_delay_alu instid0(VALU_DEP_1) | instskip(SKIP_1) | instid1(VALU_DEP_2)
	v_fma_f32 v5, 0xcf800000, v3, |v1|
	v_cvt_u32_f32_e32 v1, v3
	v_cvt_u32_f32_e32 v3, v5
	s_delay_alu instid0(VALU_DEP_2) | instskip(NEXT) | instid1(VALU_DEP_2)
	v_dual_mov_b32 v5, v4 :: v_dual_bitop2_b32 v13, v1, v4 bitop3:0x14
	v_xor_b32_e32 v12, v3, v4
	s_delay_alu instid0(VALU_DEP_1)
	v_sub_nc_u64_e32 v[4:5], v[12:13], v[4:5]
.LBB79_1146:
	s_mov_b32 s35, 0
.LBB79_1147:
	s_delay_alu instid0(SALU_CYCLE_1)
	s_and_not1_b32 vcc_lo, exec_lo, s35
	s_cbranch_vccnz .LBB79_1149
; %bb.1148:
	global_load_u16 v1, v[10:11], off
	s_wait_loadcnt 0x0
	v_cvt_f32_f16_e32 v1, v1
	s_delay_alu instid0(VALU_DEP_1) | instskip(NEXT) | instid1(VALU_DEP_1)
	v_cvt_i32_f32_e32 v4, v1
	v_ashrrev_i32_e32 v5, 31, v4
.LBB79_1149:
	s_mov_b32 s35, 0
.LBB79_1150:
	s_delay_alu instid0(SALU_CYCLE_1)
	s_and_not1_b32 vcc_lo, exec_lo, s35
	s_cbranch_vccnz .LBB79_1170
; %bb.1151:
	s_cmp_lt_i32 s0, 2
	s_cbranch_scc1 .LBB79_1155
; %bb.1152:
	s_cmp_lt_i32 s0, 3
	s_cbranch_scc1 .LBB79_1156
; %bb.1153:
	s_cmp_gt_i32 s0, 3
	s_cbranch_scc0 .LBB79_1157
; %bb.1154:
	s_wait_loadcnt 0x0
	global_load_b64 v[4:5], v[10:11], off
	s_mov_b32 s35, 0
	s_branch .LBB79_1158
.LBB79_1155:
	s_mov_b32 s35, -1
                                        ; implicit-def: $vgpr4_vgpr5
	s_branch .LBB79_1164
.LBB79_1156:
	s_mov_b32 s35, -1
                                        ; implicit-def: $vgpr4_vgpr5
	s_branch .LBB79_1161
.LBB79_1157:
	s_mov_b32 s35, -1
                                        ; implicit-def: $vgpr4_vgpr5
.LBB79_1158:
	s_delay_alu instid0(SALU_CYCLE_1)
	s_and_not1_b32 vcc_lo, exec_lo, s35
	s_cbranch_vccnz .LBB79_1160
; %bb.1159:
	s_wait_loadcnt 0x0
	global_load_b32 v4, v[10:11], off
	s_wait_loadcnt 0x0
	v_ashrrev_i32_e32 v5, 31, v4
.LBB79_1160:
	s_mov_b32 s35, 0
.LBB79_1161:
	s_delay_alu instid0(SALU_CYCLE_1)
	s_and_not1_b32 vcc_lo, exec_lo, s35
	s_cbranch_vccnz .LBB79_1163
; %bb.1162:
	global_load_u16 v1, v[10:11], off
	s_wait_loadcnt 0x0
	v_bfe_i32 v4, v1, 0, 16
	s_delay_alu instid0(VALU_DEP_1)
	v_ashrrev_i32_e32 v5, 31, v4
.LBB79_1163:
	s_mov_b32 s35, 0
.LBB79_1164:
	s_delay_alu instid0(SALU_CYCLE_1)
	s_and_not1_b32 vcc_lo, exec_lo, s35
	s_cbranch_vccnz .LBB79_1170
; %bb.1165:
	s_cmp_gt_i32 s0, 0
	s_mov_b32 s0, 0
	s_cbranch_scc0 .LBB79_1167
; %bb.1166:
	global_load_i8 v1, v[10:11], off
	s_wait_loadcnt 0x0
	v_bfe_i32 v4, v1, 0, 16
	s_delay_alu instid0(VALU_DEP_1)
	v_ashrrev_i32_e32 v5, 31, v4
	s_branch .LBB79_1168
.LBB79_1167:
	s_mov_b32 s0, -1
                                        ; implicit-def: $vgpr4_vgpr5
.LBB79_1168:
	s_delay_alu instid0(SALU_CYCLE_1)
	s_and_not1_b32 vcc_lo, exec_lo, s0
	s_cbranch_vccnz .LBB79_1170
; %bb.1169:
	global_load_u8 v1, v[10:11], off
	s_mov_b32 s0, 0
	s_wait_loadcnt 0x1
	v_mov_b32_e32 v5, s0
	s_wait_loadcnt 0x0
	v_and_b32_e32 v4, 0xffff, v1
.LBB79_1170:
	s_mov_b32 s36, -1
.LBB79_1171:
	s_delay_alu instid0(SALU_CYCLE_1)
	s_and_not1_b32 vcc_lo, exec_lo, s36
	s_cbranch_vccnz .LBB79_1179
; %bb.1172:
	v_mov_b32_e32 v9, 0
	s_and_b32 s0, s43, 0xff
	s_delay_alu instid0(SALU_CYCLE_1) | instskip(SKIP_1) | instid1(VALU_DEP_1)
	s_cmp_lt_i32 s0, 11
	s_wait_xcnt 0x0
	v_add_nc_u64_e32 v[10:11], s[8:9], v[8:9]
	s_cbranch_scc1 .LBB79_1180
; %bb.1173:
	s_and_b32 s36, 0xffff, s0
	s_delay_alu instid0(SALU_CYCLE_1)
	s_cmp_gt_i32 s36, 25
	s_cbranch_scc0 .LBB79_1181
; %bb.1174:
	s_cmp_gt_i32 s36, 28
	s_cbranch_scc0 .LBB79_1182
; %bb.1175:
	;; [unrolled: 3-line block ×4, first 2 shown]
	s_cmp_eq_u32 s36, 46
	s_mov_b32 s60, 0
	s_cbranch_scc0 .LBB79_1187
; %bb.1178:
	global_load_b32 v1, v[10:11], off
	s_mov_b32 s37, -1
	s_mov_b32 s35, 0
	s_wait_loadcnt 0x0
	v_lshlrev_b32_e32 v1, 16, v1
	s_delay_alu instid0(VALU_DEP_1) | instskip(NEXT) | instid1(VALU_DEP_1)
	v_trunc_f32_e32 v1, v1
	v_mul_f32_e64 v3, 0x2f800000, |v1|
	v_ashrrev_i32_e32 v8, 31, v1
	s_delay_alu instid0(VALU_DEP_2) | instskip(NEXT) | instid1(VALU_DEP_2)
	v_floor_f32_e32 v3, v3
	v_mov_b32_e32 v9, v8
	s_delay_alu instid0(VALU_DEP_2) | instskip(SKIP_1) | instid1(VALU_DEP_2)
	v_fma_f32 v7, 0xcf800000, v3, |v1|
	v_cvt_u32_f32_e32 v1, v3
	v_cvt_u32_f32_e32 v3, v7
	s_delay_alu instid0(VALU_DEP_2) | instskip(NEXT) | instid1(VALU_DEP_2)
	v_xor_b32_e32 v13, v1, v8
	v_xor_b32_e32 v12, v3, v8
	s_delay_alu instid0(VALU_DEP_1)
	v_sub_nc_u64_e32 v[8:9], v[12:13], v[8:9]
	s_branch .LBB79_1189
.LBB79_1179:
	s_mov_b32 s37, 0
	s_mov_b32 s0, s55
	s_mov_b32 s36, s56
	s_mov_b32 s35, s57
	s_branch .LBB79_1552
.LBB79_1180:
	s_mov_b32 s36, -1
	s_mov_b32 s37, 0
	s_mov_b32 s35, s57
                                        ; implicit-def: $vgpr8_vgpr9
	s_branch .LBB79_1250
.LBB79_1181:
	s_mov_b32 s60, -1
	s_mov_b32 s37, 0
	s_mov_b32 s35, s57
                                        ; implicit-def: $vgpr8_vgpr9
	s_branch .LBB79_1216
.LBB79_1182:
	s_mov_b32 s60, -1
	s_mov_b32 s37, 0
	s_mov_b32 s35, s57
                                        ; implicit-def: $vgpr8_vgpr9
	s_branch .LBB79_1199
.LBB79_1183:
	s_mov_b32 s60, -1
	s_mov_b32 s37, 0
	s_mov_b32 s35, s57
                                        ; implicit-def: $vgpr8_vgpr9
	s_branch .LBB79_1194
.LBB79_1184:
	s_mov_b32 s60, -1
	s_mov_b32 s37, 0
	s_mov_b32 s35, s57
	s_branch .LBB79_1188
.LBB79_1185:
	s_and_not1_saveexec_b32 s57, s57
	s_cbranch_execz .LBB79_941
.LBB79_1186:
	v_add_f32_e64 v6, 0x46000000, |v1|
	s_and_not1_b32 s56, s56, exec_lo
	s_delay_alu instid0(VALU_DEP_1) | instskip(NEXT) | instid1(VALU_DEP_1)
	v_and_b32_e32 v6, 0xff, v6
	v_cmp_ne_u32_e32 vcc_lo, 0, v6
	s_and_b32 s59, vcc_lo, exec_lo
	s_delay_alu instid0(SALU_CYCLE_1)
	s_or_b32 s56, s56, s59
	s_or_b32 exec_lo, exec_lo, s57
	v_mov_b32_e32 v7, 0
	s_and_saveexec_b32 s57, s56
	s_cbranch_execnz .LBB79_942
	s_branch .LBB79_943
.LBB79_1187:
	s_mov_b32 s35, -1
	s_mov_b32 s37, 0
.LBB79_1188:
                                        ; implicit-def: $vgpr8_vgpr9
.LBB79_1189:
	s_and_b32 vcc_lo, exec_lo, s60
	s_cbranch_vccz .LBB79_1193
; %bb.1190:
	s_cmp_eq_u32 s36, 44
	s_cbranch_scc0 .LBB79_1192
; %bb.1191:
	global_load_u8 v1, v[10:11], off
	s_mov_b32 s35, 0
	s_mov_b32 s37, -1
	s_wait_loadcnt 0x0
	v_lshlrev_b32_e32 v3, 23, v1
	v_cmp_ne_u32_e32 vcc_lo, 0, v1
	s_delay_alu instid0(VALU_DEP_2) | instskip(NEXT) | instid1(VALU_DEP_1)
	v_trunc_f32_e32 v3, v3
	v_mul_f32_e64 v7, 0x2f800000, |v3|
	v_ashrrev_i32_e32 v8, 31, v3
	s_delay_alu instid0(VALU_DEP_2) | instskip(NEXT) | instid1(VALU_DEP_1)
	v_floor_f32_e32 v7, v7
	v_fma_f32 v9, 0xcf800000, v7, |v3|
	v_cvt_u32_f32_e32 v3, v7
	s_delay_alu instid0(VALU_DEP_2) | instskip(NEXT) | instid1(VALU_DEP_2)
	v_cvt_u32_f32_e32 v7, v9
	v_dual_mov_b32 v9, v8 :: v_dual_bitop2_b32 v13, v3, v8 bitop3:0x14
	s_delay_alu instid0(VALU_DEP_2) | instskip(NEXT) | instid1(VALU_DEP_1)
	v_xor_b32_e32 v12, v7, v8
	v_sub_nc_u64_e32 v[8:9], v[12:13], v[8:9]
	s_delay_alu instid0(VALU_DEP_1)
	v_dual_cndmask_b32 v9, 0, v9 :: v_dual_cndmask_b32 v8, 0, v8
	s_branch .LBB79_1193
.LBB79_1192:
	s_mov_b32 s35, -1
                                        ; implicit-def: $vgpr8_vgpr9
.LBB79_1193:
	s_mov_b32 s60, 0
.LBB79_1194:
	s_delay_alu instid0(SALU_CYCLE_1)
	s_and_b32 vcc_lo, exec_lo, s60
	s_cbranch_vccz .LBB79_1198
; %bb.1195:
	s_cmp_eq_u32 s36, 29
	s_cbranch_scc0 .LBB79_1197
; %bb.1196:
	global_load_b64 v[8:9], v[10:11], off
	s_mov_b32 s37, -1
	s_mov_b32 s35, 0
	s_branch .LBB79_1198
.LBB79_1197:
	s_mov_b32 s35, -1
                                        ; implicit-def: $vgpr8_vgpr9
.LBB79_1198:
	s_mov_b32 s60, 0
.LBB79_1199:
	s_delay_alu instid0(SALU_CYCLE_1)
	s_and_b32 vcc_lo, exec_lo, s60
	s_cbranch_vccz .LBB79_1215
; %bb.1200:
	s_cmp_lt_i32 s36, 27
	s_cbranch_scc1 .LBB79_1203
; %bb.1201:
	s_cmp_gt_i32 s36, 27
	s_cbranch_scc0 .LBB79_1204
; %bb.1202:
	s_wait_loadcnt 0x0
	global_load_b32 v8, v[10:11], off
	v_mov_b32_e32 v9, 0
	s_mov_b32 s37, 0
	s_branch .LBB79_1205
.LBB79_1203:
	s_mov_b32 s37, -1
                                        ; implicit-def: $vgpr8_vgpr9
	s_branch .LBB79_1208
.LBB79_1204:
	s_mov_b32 s37, -1
                                        ; implicit-def: $vgpr8_vgpr9
.LBB79_1205:
	s_delay_alu instid0(SALU_CYCLE_1)
	s_and_not1_b32 vcc_lo, exec_lo, s37
	s_cbranch_vccnz .LBB79_1207
; %bb.1206:
	global_load_u16 v1, v[10:11], off
	s_mov_b32 s37, 0
	s_wait_loadcnt 0x1
	v_mov_b32_e32 v9, s37
	s_wait_loadcnt 0x0
	v_and_b32_e32 v8, 0xffff, v1
.LBB79_1207:
	s_mov_b32 s37, 0
.LBB79_1208:
	s_delay_alu instid0(SALU_CYCLE_1)
	s_and_not1_b32 vcc_lo, exec_lo, s37
	s_cbranch_vccnz .LBB79_1214
; %bb.1209:
	global_load_u8 v1, v[10:11], off
	s_mov_b32 s60, 0
	s_mov_b32 s37, exec_lo
	s_wait_loadcnt 0x0
	v_cmpx_lt_i16_e32 0x7f, v1
	s_xor_b32 s37, exec_lo, s37
	s_cbranch_execz .LBB79_1226
; %bb.1210:
	v_cmp_ne_u16_e32 vcc_lo, 0x80, v1
	s_and_b32 s60, vcc_lo, exec_lo
	s_and_not1_saveexec_b32 s37, s37
	s_cbranch_execnz .LBB79_1227
.LBB79_1211:
	s_or_b32 exec_lo, exec_lo, s37
	v_mov_b64_e32 v[8:9], 0
	s_and_saveexec_b32 s37, s60
	s_cbranch_execz .LBB79_1213
.LBB79_1212:
	v_and_b32_e32 v3, 0xffff, v1
	s_delay_alu instid0(VALU_DEP_1) | instskip(SKIP_1) | instid1(VALU_DEP_2)
	v_and_b32_e32 v7, 7, v3
	v_bfe_u32 v12, v3, 3, 4
	v_clz_i32_u32_e32 v8, v7
	s_delay_alu instid0(VALU_DEP_2) | instskip(NEXT) | instid1(VALU_DEP_2)
	v_cmp_eq_u32_e32 vcc_lo, 0, v12
	v_min_u32_e32 v8, 32, v8
	s_delay_alu instid0(VALU_DEP_1) | instskip(NEXT) | instid1(VALU_DEP_1)
	v_subrev_nc_u32_e32 v9, 28, v8
	v_dual_lshlrev_b32 v3, v9, v3 :: v_dual_sub_nc_u32 v8, 29, v8
	s_delay_alu instid0(VALU_DEP_1) | instskip(NEXT) | instid1(VALU_DEP_1)
	v_dual_lshlrev_b32 v1, 24, v1 :: v_dual_bitop2_b32 v3, 7, v3 bitop3:0x40
	v_dual_cndmask_b32 v8, v12, v8 :: v_dual_cndmask_b32 v3, v7, v3
	s_delay_alu instid0(VALU_DEP_2) | instskip(NEXT) | instid1(VALU_DEP_2)
	v_and_b32_e32 v1, 0x80000000, v1
	v_lshl_add_u32 v7, v8, 23, 0x3b800000
	s_delay_alu instid0(VALU_DEP_3) | instskip(NEXT) | instid1(VALU_DEP_1)
	v_lshlrev_b32_e32 v3, 20, v3
	v_or3_b32 v1, v1, v7, v3
	s_delay_alu instid0(VALU_DEP_1) | instskip(NEXT) | instid1(VALU_DEP_1)
	v_trunc_f32_e32 v1, v1
	v_mul_f32_e64 v3, 0x2f800000, |v1|
	v_ashrrev_i32_e32 v8, 31, v1
	s_delay_alu instid0(VALU_DEP_2) | instskip(NEXT) | instid1(VALU_DEP_2)
	v_floor_f32_e32 v3, v3
	v_mov_b32_e32 v9, v8
	s_delay_alu instid0(VALU_DEP_2) | instskip(SKIP_1) | instid1(VALU_DEP_2)
	v_fma_f32 v7, 0xcf800000, v3, |v1|
	v_cvt_u32_f32_e32 v1, v3
	v_cvt_u32_f32_e32 v3, v7
	s_delay_alu instid0(VALU_DEP_2) | instskip(NEXT) | instid1(VALU_DEP_2)
	v_xor_b32_e32 v13, v1, v8
	v_xor_b32_e32 v12, v3, v8
	s_delay_alu instid0(VALU_DEP_1)
	v_sub_nc_u64_e32 v[8:9], v[12:13], v[8:9]
.LBB79_1213:
	s_or_b32 exec_lo, exec_lo, s37
.LBB79_1214:
	s_mov_b32 s37, -1
.LBB79_1215:
	s_mov_b32 s60, 0
.LBB79_1216:
	s_delay_alu instid0(SALU_CYCLE_1)
	s_and_b32 vcc_lo, exec_lo, s60
	s_cbranch_vccz .LBB79_1249
; %bb.1217:
	s_cmp_gt_i32 s36, 22
	s_cbranch_scc0 .LBB79_1225
; %bb.1218:
	s_cmp_lt_i32 s36, 24
	s_cbranch_scc1 .LBB79_1228
; %bb.1219:
	s_cmp_gt_i32 s36, 24
	s_cbranch_scc0 .LBB79_1229
; %bb.1220:
	global_load_u8 v1, v[10:11], off
	s_mov_b32 s60, 0
	s_mov_b32 s37, exec_lo
	s_wait_loadcnt 0x0
	v_cmpx_lt_i16_e32 0x7f, v1
	s_xor_b32 s37, exec_lo, s37
	s_cbranch_execz .LBB79_1241
; %bb.1221:
	v_cmp_ne_u16_e32 vcc_lo, 0x80, v1
	s_and_b32 s60, vcc_lo, exec_lo
	s_and_not1_saveexec_b32 s37, s37
	s_cbranch_execnz .LBB79_1242
.LBB79_1222:
	s_or_b32 exec_lo, exec_lo, s37
	v_mov_b64_e32 v[8:9], 0
	s_and_saveexec_b32 s37, s60
	s_cbranch_execz .LBB79_1224
.LBB79_1223:
	v_and_b32_e32 v3, 0xffff, v1
	s_delay_alu instid0(VALU_DEP_1) | instskip(SKIP_1) | instid1(VALU_DEP_2)
	v_and_b32_e32 v7, 3, v3
	v_bfe_u32 v12, v3, 2, 5
	v_clz_i32_u32_e32 v8, v7
	s_delay_alu instid0(VALU_DEP_2) | instskip(NEXT) | instid1(VALU_DEP_2)
	v_cmp_eq_u32_e32 vcc_lo, 0, v12
	v_min_u32_e32 v8, 32, v8
	s_delay_alu instid0(VALU_DEP_1) | instskip(NEXT) | instid1(VALU_DEP_1)
	v_subrev_nc_u32_e32 v9, 29, v8
	v_dual_lshlrev_b32 v3, v9, v3 :: v_dual_sub_nc_u32 v8, 30, v8
	s_delay_alu instid0(VALU_DEP_1) | instskip(NEXT) | instid1(VALU_DEP_1)
	v_dual_lshlrev_b32 v1, 24, v1 :: v_dual_bitop2_b32 v3, 3, v3 bitop3:0x40
	v_dual_cndmask_b32 v8, v12, v8 :: v_dual_cndmask_b32 v3, v7, v3
	s_delay_alu instid0(VALU_DEP_2) | instskip(NEXT) | instid1(VALU_DEP_2)
	v_and_b32_e32 v1, 0x80000000, v1
	v_lshl_add_u32 v7, v8, 23, 0x37800000
	s_delay_alu instid0(VALU_DEP_3) | instskip(NEXT) | instid1(VALU_DEP_1)
	v_lshlrev_b32_e32 v3, 21, v3
	v_or3_b32 v1, v1, v7, v3
	s_delay_alu instid0(VALU_DEP_1) | instskip(NEXT) | instid1(VALU_DEP_1)
	v_trunc_f32_e32 v1, v1
	v_mul_f32_e64 v3, 0x2f800000, |v1|
	v_ashrrev_i32_e32 v8, 31, v1
	s_delay_alu instid0(VALU_DEP_2) | instskip(NEXT) | instid1(VALU_DEP_2)
	v_floor_f32_e32 v3, v3
	v_mov_b32_e32 v9, v8
	s_delay_alu instid0(VALU_DEP_2) | instskip(SKIP_1) | instid1(VALU_DEP_2)
	v_fma_f32 v7, 0xcf800000, v3, |v1|
	v_cvt_u32_f32_e32 v1, v3
	v_cvt_u32_f32_e32 v3, v7
	s_delay_alu instid0(VALU_DEP_2) | instskip(NEXT) | instid1(VALU_DEP_2)
	v_xor_b32_e32 v13, v1, v8
	v_xor_b32_e32 v12, v3, v8
	s_delay_alu instid0(VALU_DEP_1)
	v_sub_nc_u64_e32 v[8:9], v[12:13], v[8:9]
.LBB79_1224:
	s_or_b32 exec_lo, exec_lo, s37
	s_mov_b32 s37, 0
	s_branch .LBB79_1230
.LBB79_1225:
	s_mov_b32 s60, -1
                                        ; implicit-def: $vgpr8_vgpr9
	s_branch .LBB79_1236
.LBB79_1226:
	s_and_not1_saveexec_b32 s37, s37
	s_cbranch_execz .LBB79_1211
.LBB79_1227:
	v_cmp_ne_u16_e32 vcc_lo, 0, v1
	s_and_not1_b32 s60, s60, exec_lo
	s_and_b32 s61, vcc_lo, exec_lo
	s_delay_alu instid0(SALU_CYCLE_1)
	s_or_b32 s60, s60, s61
	s_or_b32 exec_lo, exec_lo, s37
	v_mov_b64_e32 v[8:9], 0
	s_and_saveexec_b32 s37, s60
	s_cbranch_execnz .LBB79_1212
	s_branch .LBB79_1213
.LBB79_1228:
	s_mov_b32 s37, -1
                                        ; implicit-def: $vgpr8_vgpr9
	s_branch .LBB79_1233
.LBB79_1229:
	s_mov_b32 s37, -1
                                        ; implicit-def: $vgpr8_vgpr9
.LBB79_1230:
	s_delay_alu instid0(SALU_CYCLE_1)
	s_and_b32 vcc_lo, exec_lo, s37
	s_cbranch_vccz .LBB79_1232
; %bb.1231:
	global_load_u8 v1, v[10:11], off
	s_wait_loadcnt 0x0
	v_lshlrev_b32_e32 v1, 24, v1
	s_delay_alu instid0(VALU_DEP_1) | instskip(NEXT) | instid1(VALU_DEP_1)
	v_and_b32_e32 v3, 0x7f000000, v1
	v_clz_i32_u32_e32 v7, v3
	v_add_nc_u32_e32 v9, 0x1000000, v3
	v_cmp_ne_u32_e32 vcc_lo, 0, v3
	s_delay_alu instid0(VALU_DEP_3) | instskip(NEXT) | instid1(VALU_DEP_1)
	v_min_u32_e32 v7, 32, v7
	v_sub_nc_u32_e64 v7, v7, 4 clamp
	s_delay_alu instid0(VALU_DEP_1) | instskip(NEXT) | instid1(VALU_DEP_1)
	v_lshlrev_b32_e32 v8, v7, v3
	v_dual_lshlrev_b32 v7, 23, v7 :: v_dual_lshrrev_b32 v8, 4, v8
	s_delay_alu instid0(VALU_DEP_1) | instskip(NEXT) | instid1(VALU_DEP_1)
	v_dual_sub_nc_u32 v7, v8, v7 :: v_dual_ashrrev_i32 v8, 8, v9
	v_add_nc_u32_e32 v7, 0x3c000000, v7
	s_delay_alu instid0(VALU_DEP_1) | instskip(NEXT) | instid1(VALU_DEP_1)
	v_and_or_b32 v7, 0x7f800000, v8, v7
	v_cndmask_b32_e32 v3, 0, v7, vcc_lo
	s_delay_alu instid0(VALU_DEP_1) | instskip(NEXT) | instid1(VALU_DEP_1)
	v_and_or_b32 v1, 0x80000000, v1, v3
	v_trunc_f32_e32 v1, v1
	s_delay_alu instid0(VALU_DEP_1) | instskip(SKIP_1) | instid1(VALU_DEP_2)
	v_mul_f32_e64 v3, 0x2f800000, |v1|
	v_ashrrev_i32_e32 v8, 31, v1
	v_floor_f32_e32 v3, v3
	s_delay_alu instid0(VALU_DEP_1) | instskip(SKIP_1) | instid1(VALU_DEP_4)
	v_fma_f32 v7, 0xcf800000, v3, |v1|
	v_cvt_u32_f32_e32 v1, v3
	v_mov_b32_e32 v9, v8
	s_delay_alu instid0(VALU_DEP_3) | instskip(NEXT) | instid1(VALU_DEP_3)
	v_cvt_u32_f32_e32 v3, v7
	v_xor_b32_e32 v13, v1, v8
	s_delay_alu instid0(VALU_DEP_2) | instskip(NEXT) | instid1(VALU_DEP_1)
	v_xor_b32_e32 v12, v3, v8
	v_sub_nc_u64_e32 v[8:9], v[12:13], v[8:9]
.LBB79_1232:
	s_mov_b32 s37, 0
.LBB79_1233:
	s_delay_alu instid0(SALU_CYCLE_1)
	s_and_not1_b32 vcc_lo, exec_lo, s37
	s_cbranch_vccnz .LBB79_1235
; %bb.1234:
	global_load_u8 v1, v[10:11], off
	s_wait_loadcnt 0x0
	v_lshlrev_b32_e32 v3, 25, v1
	v_lshlrev_b16 v1, 8, v1
	s_delay_alu instid0(VALU_DEP_1) | instskip(SKIP_1) | instid1(VALU_DEP_2)
	v_and_or_b32 v8, 0x7f00, v1, 0.5
	v_bfe_i32 v1, v1, 0, 16
	v_dual_add_f32 v8, -0.5, v8 :: v_dual_lshrrev_b32 v7, 4, v3
	v_cmp_gt_u32_e32 vcc_lo, 0x8000000, v3
	s_delay_alu instid0(VALU_DEP_2) | instskip(NEXT) | instid1(VALU_DEP_1)
	v_or_b32_e32 v7, 0x70000000, v7
	v_mul_f32_e32 v7, 0x7800000, v7
	s_delay_alu instid0(VALU_DEP_1) | instskip(NEXT) | instid1(VALU_DEP_1)
	v_cndmask_b32_e32 v3, v7, v8, vcc_lo
	v_and_or_b32 v1, 0x80000000, v1, v3
	s_delay_alu instid0(VALU_DEP_1) | instskip(NEXT) | instid1(VALU_DEP_1)
	v_trunc_f32_e32 v1, v1
	v_mul_f32_e64 v3, 0x2f800000, |v1|
	v_ashrrev_i32_e32 v8, 31, v1
	s_delay_alu instid0(VALU_DEP_2) | instskip(NEXT) | instid1(VALU_DEP_2)
	v_floor_f32_e32 v3, v3
	v_mov_b32_e32 v9, v8
	s_delay_alu instid0(VALU_DEP_2) | instskip(SKIP_1) | instid1(VALU_DEP_2)
	v_fma_f32 v7, 0xcf800000, v3, |v1|
	v_cvt_u32_f32_e32 v1, v3
	v_cvt_u32_f32_e32 v3, v7
	s_delay_alu instid0(VALU_DEP_2) | instskip(NEXT) | instid1(VALU_DEP_2)
	v_xor_b32_e32 v13, v1, v8
	v_xor_b32_e32 v12, v3, v8
	s_delay_alu instid0(VALU_DEP_1)
	v_sub_nc_u64_e32 v[8:9], v[12:13], v[8:9]
.LBB79_1235:
	s_mov_b32 s60, 0
	s_mov_b32 s37, -1
.LBB79_1236:
	s_and_not1_b32 vcc_lo, exec_lo, s60
	s_cbranch_vccnz .LBB79_1249
; %bb.1237:
	s_cmp_gt_i32 s36, 14
	s_cbranch_scc0 .LBB79_1240
; %bb.1238:
	s_cmp_eq_u32 s36, 15
	s_cbranch_scc0 .LBB79_1243
; %bb.1239:
	global_load_u16 v1, v[10:11], off
	s_mov_b32 s37, -1
	s_mov_b32 s35, 0
	s_wait_loadcnt 0x0
	v_lshlrev_b32_e32 v1, 16, v1
	s_delay_alu instid0(VALU_DEP_1) | instskip(NEXT) | instid1(VALU_DEP_1)
	v_trunc_f32_e32 v1, v1
	v_mul_f32_e64 v3, 0x2f800000, |v1|
	v_ashrrev_i32_e32 v8, 31, v1
	s_delay_alu instid0(VALU_DEP_2) | instskip(NEXT) | instid1(VALU_DEP_2)
	v_floor_f32_e32 v3, v3
	v_mov_b32_e32 v9, v8
	s_delay_alu instid0(VALU_DEP_2) | instskip(SKIP_1) | instid1(VALU_DEP_2)
	v_fma_f32 v7, 0xcf800000, v3, |v1|
	v_cvt_u32_f32_e32 v1, v3
	v_cvt_u32_f32_e32 v3, v7
	s_delay_alu instid0(VALU_DEP_2) | instskip(NEXT) | instid1(VALU_DEP_2)
	v_xor_b32_e32 v13, v1, v8
	v_xor_b32_e32 v12, v3, v8
	s_delay_alu instid0(VALU_DEP_1)
	v_sub_nc_u64_e32 v[8:9], v[12:13], v[8:9]
	s_branch .LBB79_1244
.LBB79_1240:
	s_mov_b32 s60, -1
                                        ; implicit-def: $vgpr8_vgpr9
	s_branch .LBB79_1245
.LBB79_1241:
	s_and_not1_saveexec_b32 s37, s37
	s_cbranch_execz .LBB79_1222
.LBB79_1242:
	v_cmp_ne_u16_e32 vcc_lo, 0, v1
	s_and_not1_b32 s60, s60, exec_lo
	s_and_b32 s61, vcc_lo, exec_lo
	s_delay_alu instid0(SALU_CYCLE_1)
	s_or_b32 s60, s60, s61
	s_or_b32 exec_lo, exec_lo, s37
	v_mov_b64_e32 v[8:9], 0
	s_and_saveexec_b32 s37, s60
	s_cbranch_execnz .LBB79_1223
	s_branch .LBB79_1224
.LBB79_1243:
	s_mov_b32 s35, -1
                                        ; implicit-def: $vgpr8_vgpr9
.LBB79_1244:
	s_mov_b32 s60, 0
.LBB79_1245:
	s_delay_alu instid0(SALU_CYCLE_1)
	s_and_b32 vcc_lo, exec_lo, s60
	s_cbranch_vccz .LBB79_1249
; %bb.1246:
	s_cmp_eq_u32 s36, 11
	s_cbranch_scc0 .LBB79_1248
; %bb.1247:
	global_load_u8 v1, v[10:11], off
	s_mov_b32 s35, 0
	s_mov_b32 s37, -1
	s_wait_loadcnt 0x1
	v_mov_b32_e32 v9, s35
	s_wait_loadcnt 0x0
	v_cmp_ne_u16_e32 vcc_lo, 0, v1
	v_cndmask_b32_e64 v8, 0, 1, vcc_lo
	s_branch .LBB79_1249
.LBB79_1248:
	s_mov_b32 s35, -1
                                        ; implicit-def: $vgpr8_vgpr9
.LBB79_1249:
	s_mov_b32 s36, 0
.LBB79_1250:
	s_delay_alu instid0(SALU_CYCLE_1)
	s_and_b32 vcc_lo, exec_lo, s36
	s_cbranch_vccz .LBB79_1299
; %bb.1251:
	s_and_b32 s0, 0xffff, s0
	s_delay_alu instid0(SALU_CYCLE_1)
	s_cmp_lt_i32 s0, 5
	s_cbranch_scc1 .LBB79_1256
; %bb.1252:
	s_cmp_lt_i32 s0, 8
	s_cbranch_scc1 .LBB79_1257
; %bb.1253:
	;; [unrolled: 3-line block ×3, first 2 shown]
	s_cmp_gt_i32 s0, 9
	s_cbranch_scc0 .LBB79_1259
; %bb.1255:
	s_wait_loadcnt 0x0
	global_load_b64 v[8:9], v[10:11], off
	s_mov_b32 s36, 0
	s_wait_loadcnt 0x0
	v_trunc_f64_e32 v[8:9], v[8:9]
	s_delay_alu instid0(VALU_DEP_1) | instskip(NEXT) | instid1(VALU_DEP_1)
	v_ldexp_f64 v[12:13], v[8:9], 0xffffffe0
	v_floor_f64_e32 v[12:13], v[12:13]
	s_delay_alu instid0(VALU_DEP_1) | instskip(SKIP_1) | instid1(VALU_DEP_2)
	v_fmamk_f64 v[14:15], v[12:13], 0xc1f00000, v[8:9]
	v_cvt_i32_f64_e32 v9, v[12:13]
	v_cvt_u32_f64_e32 v8, v[14:15]
	s_branch .LBB79_1260
.LBB79_1256:
	s_mov_b32 s36, -1
                                        ; implicit-def: $vgpr8_vgpr9
	s_branch .LBB79_1278
.LBB79_1257:
	s_mov_b32 s36, -1
                                        ; implicit-def: $vgpr8_vgpr9
	s_branch .LBB79_1266
.LBB79_1258:
	s_mov_b32 s36, -1
                                        ; implicit-def: $vgpr8_vgpr9
	s_branch .LBB79_1263
.LBB79_1259:
	s_mov_b32 s36, -1
                                        ; implicit-def: $vgpr8_vgpr9
.LBB79_1260:
	s_delay_alu instid0(SALU_CYCLE_1)
	s_and_not1_b32 vcc_lo, exec_lo, s36
	s_cbranch_vccnz .LBB79_1262
; %bb.1261:
	global_load_b32 v1, v[10:11], off
	s_wait_loadcnt 0x0
	v_trunc_f32_e32 v1, v1
	s_delay_alu instid0(VALU_DEP_1) | instskip(SKIP_1) | instid1(VALU_DEP_2)
	v_mul_f32_e64 v3, 0x2f800000, |v1|
	v_ashrrev_i32_e32 v8, 31, v1
	v_floor_f32_e32 v3, v3
	s_delay_alu instid0(VALU_DEP_1) | instskip(SKIP_1) | instid1(VALU_DEP_4)
	v_fma_f32 v7, 0xcf800000, v3, |v1|
	v_cvt_u32_f32_e32 v1, v3
	v_mov_b32_e32 v9, v8
	s_delay_alu instid0(VALU_DEP_3) | instskip(NEXT) | instid1(VALU_DEP_3)
	v_cvt_u32_f32_e32 v3, v7
	v_xor_b32_e32 v13, v1, v8
	s_delay_alu instid0(VALU_DEP_2) | instskip(NEXT) | instid1(VALU_DEP_1)
	v_xor_b32_e32 v12, v3, v8
	v_sub_nc_u64_e32 v[8:9], v[12:13], v[8:9]
.LBB79_1262:
	s_mov_b32 s36, 0
.LBB79_1263:
	s_delay_alu instid0(SALU_CYCLE_1)
	s_and_not1_b32 vcc_lo, exec_lo, s36
	s_cbranch_vccnz .LBB79_1265
; %bb.1264:
	global_load_b32 v1, v[10:11], off
	s_wait_loadcnt 0x0
	v_cvt_f32_f16_e32 v1, v1
	s_delay_alu instid0(VALU_DEP_1) | instskip(NEXT) | instid1(VALU_DEP_1)
	v_cvt_i32_f32_e32 v8, v1
	v_ashrrev_i32_e32 v9, 31, v8
.LBB79_1265:
	s_mov_b32 s36, 0
.LBB79_1266:
	s_delay_alu instid0(SALU_CYCLE_1)
	s_and_not1_b32 vcc_lo, exec_lo, s36
	s_cbranch_vccnz .LBB79_1277
; %bb.1267:
	s_cmp_lt_i32 s0, 6
	s_cbranch_scc1 .LBB79_1270
; %bb.1268:
	s_cmp_gt_i32 s0, 6
	s_cbranch_scc0 .LBB79_1271
; %bb.1269:
	s_wait_loadcnt 0x0
	global_load_b64 v[8:9], v[10:11], off
	s_mov_b32 s36, 0
	s_wait_loadcnt 0x0
	v_trunc_f64_e32 v[8:9], v[8:9]
	s_delay_alu instid0(VALU_DEP_1) | instskip(NEXT) | instid1(VALU_DEP_1)
	v_ldexp_f64 v[12:13], v[8:9], 0xffffffe0
	v_floor_f64_e32 v[12:13], v[12:13]
	s_delay_alu instid0(VALU_DEP_1) | instskip(SKIP_1) | instid1(VALU_DEP_2)
	v_fmamk_f64 v[14:15], v[12:13], 0xc1f00000, v[8:9]
	v_cvt_i32_f64_e32 v9, v[12:13]
	v_cvt_u32_f64_e32 v8, v[14:15]
	s_branch .LBB79_1272
.LBB79_1270:
	s_mov_b32 s36, -1
                                        ; implicit-def: $vgpr8_vgpr9
	s_branch .LBB79_1275
.LBB79_1271:
	s_mov_b32 s36, -1
                                        ; implicit-def: $vgpr8_vgpr9
.LBB79_1272:
	s_delay_alu instid0(SALU_CYCLE_1)
	s_and_not1_b32 vcc_lo, exec_lo, s36
	s_cbranch_vccnz .LBB79_1274
; %bb.1273:
	global_load_b32 v1, v[10:11], off
	s_wait_loadcnt 0x0
	v_trunc_f32_e32 v1, v1
	s_delay_alu instid0(VALU_DEP_1) | instskip(SKIP_1) | instid1(VALU_DEP_2)
	v_mul_f32_e64 v3, 0x2f800000, |v1|
	v_ashrrev_i32_e32 v8, 31, v1
	v_floor_f32_e32 v3, v3
	s_delay_alu instid0(VALU_DEP_1) | instskip(SKIP_1) | instid1(VALU_DEP_4)
	v_fma_f32 v7, 0xcf800000, v3, |v1|
	v_cvt_u32_f32_e32 v1, v3
	v_mov_b32_e32 v9, v8
	s_delay_alu instid0(VALU_DEP_3) | instskip(NEXT) | instid1(VALU_DEP_3)
	v_cvt_u32_f32_e32 v3, v7
	v_xor_b32_e32 v13, v1, v8
	s_delay_alu instid0(VALU_DEP_2) | instskip(NEXT) | instid1(VALU_DEP_1)
	v_xor_b32_e32 v12, v3, v8
	v_sub_nc_u64_e32 v[8:9], v[12:13], v[8:9]
.LBB79_1274:
	s_mov_b32 s36, 0
.LBB79_1275:
	s_delay_alu instid0(SALU_CYCLE_1)
	s_and_not1_b32 vcc_lo, exec_lo, s36
	s_cbranch_vccnz .LBB79_1277
; %bb.1276:
	global_load_u16 v1, v[10:11], off
	s_wait_loadcnt 0x0
	v_cvt_f32_f16_e32 v1, v1
	s_delay_alu instid0(VALU_DEP_1) | instskip(NEXT) | instid1(VALU_DEP_1)
	v_cvt_i32_f32_e32 v8, v1
	v_ashrrev_i32_e32 v9, 31, v8
.LBB79_1277:
	s_mov_b32 s36, 0
.LBB79_1278:
	s_delay_alu instid0(SALU_CYCLE_1)
	s_and_not1_b32 vcc_lo, exec_lo, s36
	s_cbranch_vccnz .LBB79_1298
; %bb.1279:
	s_cmp_lt_i32 s0, 2
	s_cbranch_scc1 .LBB79_1283
; %bb.1280:
	s_cmp_lt_i32 s0, 3
	s_cbranch_scc1 .LBB79_1284
; %bb.1281:
	s_cmp_gt_i32 s0, 3
	s_cbranch_scc0 .LBB79_1285
; %bb.1282:
	s_wait_loadcnt 0x0
	global_load_b64 v[8:9], v[10:11], off
	s_mov_b32 s36, 0
	s_branch .LBB79_1286
.LBB79_1283:
	s_mov_b32 s36, -1
                                        ; implicit-def: $vgpr8_vgpr9
	s_branch .LBB79_1292
.LBB79_1284:
	s_mov_b32 s36, -1
                                        ; implicit-def: $vgpr8_vgpr9
	s_branch .LBB79_1289
.LBB79_1285:
	s_mov_b32 s36, -1
                                        ; implicit-def: $vgpr8_vgpr9
.LBB79_1286:
	s_delay_alu instid0(SALU_CYCLE_1)
	s_and_not1_b32 vcc_lo, exec_lo, s36
	s_cbranch_vccnz .LBB79_1288
; %bb.1287:
	s_wait_loadcnt 0x0
	global_load_b32 v8, v[10:11], off
	s_wait_loadcnt 0x0
	v_ashrrev_i32_e32 v9, 31, v8
.LBB79_1288:
	s_mov_b32 s36, 0
.LBB79_1289:
	s_delay_alu instid0(SALU_CYCLE_1)
	s_and_not1_b32 vcc_lo, exec_lo, s36
	s_cbranch_vccnz .LBB79_1291
; %bb.1290:
	global_load_u16 v1, v[10:11], off
	s_wait_loadcnt 0x0
	v_bfe_i32 v8, v1, 0, 16
	s_delay_alu instid0(VALU_DEP_1)
	v_ashrrev_i32_e32 v9, 31, v8
.LBB79_1291:
	s_mov_b32 s36, 0
.LBB79_1292:
	s_delay_alu instid0(SALU_CYCLE_1)
	s_and_not1_b32 vcc_lo, exec_lo, s36
	s_cbranch_vccnz .LBB79_1298
; %bb.1293:
	s_cmp_gt_i32 s0, 0
	s_mov_b32 s0, 0
	s_cbranch_scc0 .LBB79_1295
; %bb.1294:
	global_load_i8 v1, v[10:11], off
	s_wait_loadcnt 0x0
	v_bfe_i32 v8, v1, 0, 16
	s_delay_alu instid0(VALU_DEP_1)
	v_ashrrev_i32_e32 v9, 31, v8
	s_branch .LBB79_1296
.LBB79_1295:
	s_mov_b32 s0, -1
                                        ; implicit-def: $vgpr8_vgpr9
.LBB79_1296:
	s_delay_alu instid0(SALU_CYCLE_1)
	s_and_not1_b32 vcc_lo, exec_lo, s0
	s_cbranch_vccnz .LBB79_1298
; %bb.1297:
	global_load_u8 v1, v[10:11], off
	s_mov_b32 s0, 0
	s_wait_loadcnt 0x1
	v_mov_b32_e32 v9, s0
	s_wait_loadcnt 0x0
	v_and_b32_e32 v8, 0xffff, v1
.LBB79_1298:
	s_mov_b32 s37, -1
.LBB79_1299:
	s_delay_alu instid0(SALU_CYCLE_1)
	s_and_not1_b32 vcc_lo, exec_lo, s37
	s_cbranch_vccnz .LBB79_1307
; %bb.1300:
	v_mov_b32_e32 v7, 0
	s_and_b32 s0, 0xffff, s25
	s_delay_alu instid0(SALU_CYCLE_1) | instskip(NEXT) | instid1(VALU_DEP_1)
	s_cmp_lt_i32 s0, 11
	v_add_nc_u64_e32 v[6:7], s[10:11], v[6:7]
	s_cbranch_scc1 .LBB79_1308
; %bb.1301:
	s_cmp_gt_i32 s0, 25
	s_cbranch_scc0 .LBB79_1309
; %bb.1302:
	s_cmp_gt_i32 s0, 28
	s_cbranch_scc0 .LBB79_1310
; %bb.1303:
	s_cmp_gt_i32 s0, 43
	s_cbranch_scc0 .LBB79_1311
; %bb.1304:
	s_cmp_gt_i32 s0, 45
	s_cbranch_scc0 .LBB79_1312
; %bb.1305:
	s_cmp_eq_u32 s0, 46
	s_mov_b32 s60, 0
	s_cbranch_scc0 .LBB79_1315
; %bb.1306:
	global_load_b32 v1, v[6:7], off
	s_mov_b32 s37, -1
	s_mov_b32 s36, 0
	s_wait_loadcnt 0x0
	v_lshlrev_b32_e32 v1, 16, v1
	s_delay_alu instid0(VALU_DEP_1) | instskip(NEXT) | instid1(VALU_DEP_1)
	v_trunc_f32_e32 v1, v1
	v_mul_f32_e64 v3, 0x2f800000, |v1|
	s_wait_xcnt 0x1
	v_ashrrev_i32_e32 v10, 31, v1
	s_delay_alu instid0(VALU_DEP_2) | instskip(NEXT) | instid1(VALU_DEP_1)
	v_floor_f32_e32 v3, v3
	v_fma_f32 v11, 0xcf800000, v3, |v1|
	v_cvt_u32_f32_e32 v1, v3
	s_delay_alu instid0(VALU_DEP_2) | instskip(NEXT) | instid1(VALU_DEP_2)
	v_cvt_u32_f32_e32 v3, v11
	v_dual_mov_b32 v11, v10 :: v_dual_bitop2_b32 v13, v1, v10 bitop3:0x14
	s_delay_alu instid0(VALU_DEP_2) | instskip(NEXT) | instid1(VALU_DEP_1)
	v_xor_b32_e32 v12, v3, v10
	v_sub_nc_u64_e32 v[10:11], v[12:13], v[10:11]
	s_branch .LBB79_1317
.LBB79_1307:
	s_mov_b32 s37, 0
	s_mov_b32 s0, s55
	;; [unrolled: 1-line block ×3, first 2 shown]
	s_branch .LBB79_1552
.LBB79_1308:
	s_mov_b32 s60, -1
	s_mov_b32 s37, 0
	s_mov_b32 s36, s56
                                        ; implicit-def: $vgpr10_vgpr11
	s_branch .LBB79_1378
.LBB79_1309:
	s_mov_b32 s60, -1
	s_mov_b32 s37, 0
	s_mov_b32 s36, s56
                                        ; implicit-def: $vgpr10_vgpr11
	s_branch .LBB79_1344
.LBB79_1310:
	s_mov_b32 s60, -1
	s_mov_b32 s37, 0
	s_mov_b32 s36, s56
                                        ; implicit-def: $vgpr10_vgpr11
	s_branch .LBB79_1327
.LBB79_1311:
	s_mov_b32 s60, -1
	s_mov_b32 s37, 0
	s_mov_b32 s36, s56
                                        ; implicit-def: $vgpr10_vgpr11
	s_branch .LBB79_1322
.LBB79_1312:
	s_mov_b32 s60, -1
	s_mov_b32 s37, 0
	s_mov_b32 s36, s56
	s_branch .LBB79_1316
.LBB79_1313:
	s_and_not1_saveexec_b32 s57, s57
	s_cbranch_execz .LBB79_954
.LBB79_1314:
	v_add_f32_e64 v6, 0x42800000, |v1|
	s_and_not1_b32 s56, s56, exec_lo
	s_delay_alu instid0(VALU_DEP_1) | instskip(NEXT) | instid1(VALU_DEP_1)
	v_and_b32_e32 v6, 0xff, v6
	v_cmp_ne_u32_e32 vcc_lo, 0, v6
	s_and_b32 s59, vcc_lo, exec_lo
	s_delay_alu instid0(SALU_CYCLE_1)
	s_or_b32 s56, s56, s59
	s_or_b32 exec_lo, exec_lo, s57
	v_mov_b32_e32 v7, 0
	s_and_saveexec_b32 s57, s56
	s_cbranch_execnz .LBB79_955
	s_branch .LBB79_956
.LBB79_1315:
	s_mov_b32 s36, -1
	s_mov_b32 s37, 0
.LBB79_1316:
                                        ; implicit-def: $vgpr10_vgpr11
.LBB79_1317:
	s_and_b32 vcc_lo, exec_lo, s60
	s_cbranch_vccz .LBB79_1321
; %bb.1318:
	s_cmp_eq_u32 s0, 44
	s_cbranch_scc0 .LBB79_1320
; %bb.1319:
	global_load_u8 v1, v[6:7], off
	s_mov_b32 s36, 0
	s_mov_b32 s37, -1
	s_wait_loadcnt 0x0
	v_lshlrev_b32_e32 v3, 23, v1
	v_cmp_ne_u32_e32 vcc_lo, 0, v1
	s_delay_alu instid0(VALU_DEP_2) | instskip(SKIP_1) | instid1(VALU_DEP_1)
	v_trunc_f32_e32 v3, v3
	s_wait_xcnt 0x1
	v_mul_f32_e64 v10, 0x2f800000, |v3|
	s_delay_alu instid0(VALU_DEP_1) | instskip(SKIP_1) | instid1(VALU_DEP_2)
	v_floor_f32_e32 v11, v10
	v_ashrrev_i32_e32 v10, 31, v3
	v_fma_f32 v12, 0xcf800000, v11, |v3|
	v_cvt_u32_f32_e32 v3, v11
	s_delay_alu instid0(VALU_DEP_3) | instskip(NEXT) | instid1(VALU_DEP_3)
	v_mov_b32_e32 v11, v10
	v_cvt_u32_f32_e32 v12, v12
	s_delay_alu instid0(VALU_DEP_3) | instskip(NEXT) | instid1(VALU_DEP_2)
	v_xor_b32_e32 v13, v3, v10
	v_xor_b32_e32 v12, v12, v10
	s_delay_alu instid0(VALU_DEP_1) | instskip(NEXT) | instid1(VALU_DEP_1)
	v_sub_nc_u64_e32 v[10:11], v[12:13], v[10:11]
	v_dual_cndmask_b32 v11, 0, v11 :: v_dual_cndmask_b32 v10, 0, v10
	s_branch .LBB79_1321
.LBB79_1320:
	s_mov_b32 s36, -1
                                        ; implicit-def: $vgpr10_vgpr11
.LBB79_1321:
	s_mov_b32 s60, 0
.LBB79_1322:
	s_delay_alu instid0(SALU_CYCLE_1)
	s_and_b32 vcc_lo, exec_lo, s60
	s_cbranch_vccz .LBB79_1326
; %bb.1323:
	s_cmp_eq_u32 s0, 29
	s_cbranch_scc0 .LBB79_1325
; %bb.1324:
	global_load_b64 v[10:11], v[6:7], off
	s_mov_b32 s37, -1
	s_mov_b32 s36, 0
	s_branch .LBB79_1326
.LBB79_1325:
	s_mov_b32 s36, -1
                                        ; implicit-def: $vgpr10_vgpr11
.LBB79_1326:
	s_mov_b32 s60, 0
.LBB79_1327:
	s_delay_alu instid0(SALU_CYCLE_1)
	s_and_b32 vcc_lo, exec_lo, s60
	s_cbranch_vccz .LBB79_1343
; %bb.1328:
	s_cmp_lt_i32 s0, 27
	s_cbranch_scc1 .LBB79_1331
; %bb.1329:
	s_cmp_gt_i32 s0, 27
	s_cbranch_scc0 .LBB79_1332
; %bb.1330:
	s_wait_loadcnt 0x0
	global_load_b32 v10, v[6:7], off
	v_mov_b32_e32 v11, 0
	s_mov_b32 s37, 0
	s_branch .LBB79_1333
.LBB79_1331:
	s_mov_b32 s37, -1
                                        ; implicit-def: $vgpr10_vgpr11
	s_branch .LBB79_1336
.LBB79_1332:
	s_mov_b32 s37, -1
                                        ; implicit-def: $vgpr10_vgpr11
.LBB79_1333:
	s_delay_alu instid0(SALU_CYCLE_1)
	s_and_not1_b32 vcc_lo, exec_lo, s37
	s_cbranch_vccnz .LBB79_1335
; %bb.1334:
	global_load_u16 v1, v[6:7], off
	s_mov_b32 s37, 0
	s_wait_loadcnt 0x1
	s_wait_xcnt 0x1
	v_mov_b32_e32 v11, s37
	s_wait_loadcnt 0x0
	v_and_b32_e32 v10, 0xffff, v1
.LBB79_1335:
	s_mov_b32 s37, 0
.LBB79_1336:
	s_delay_alu instid0(SALU_CYCLE_1)
	s_and_not1_b32 vcc_lo, exec_lo, s37
	s_cbranch_vccnz .LBB79_1342
; %bb.1337:
	global_load_u8 v1, v[6:7], off
	s_mov_b32 s60, 0
	s_mov_b32 s37, exec_lo
	s_wait_loadcnt 0x0
	v_cmpx_lt_i16_e32 0x7f, v1
	s_xor_b32 s37, exec_lo, s37
	s_cbranch_execz .LBB79_1354
; %bb.1338:
	v_cmp_ne_u16_e32 vcc_lo, 0x80, v1
	s_and_b32 s60, vcc_lo, exec_lo
	s_and_not1_saveexec_b32 s37, s37
	s_cbranch_execnz .LBB79_1355
.LBB79_1339:
	s_or_b32 exec_lo, exec_lo, s37
	v_mov_b64_e32 v[10:11], 0
	s_and_saveexec_b32 s37, s60
	s_cbranch_execz .LBB79_1341
.LBB79_1340:
	v_and_b32_e32 v3, 0xffff, v1
	s_delay_alu instid0(VALU_DEP_1) | instskip(SKIP_1) | instid1(VALU_DEP_2)
	v_dual_lshlrev_b32 v1, 24, v1 :: v_dual_bitop2_b32 v10, 7, v3 bitop3:0x40
	v_bfe_u32 v13, v3, 3, 4
	v_and_b32_e32 v1, 0x80000000, v1
	s_delay_alu instid0(VALU_DEP_3) | instskip(NEXT) | instid1(VALU_DEP_3)
	v_clz_i32_u32_e32 v11, v10
	v_cmp_eq_u32_e32 vcc_lo, 0, v13
	s_delay_alu instid0(VALU_DEP_2) | instskip(NEXT) | instid1(VALU_DEP_1)
	v_min_u32_e32 v11, 32, v11
	v_subrev_nc_u32_e32 v12, 28, v11
	v_sub_nc_u32_e32 v11, 29, v11
	s_delay_alu instid0(VALU_DEP_2) | instskip(NEXT) | instid1(VALU_DEP_2)
	v_lshlrev_b32_e32 v3, v12, v3
	v_cndmask_b32_e32 v11, v13, v11, vcc_lo
	s_delay_alu instid0(VALU_DEP_2) | instskip(NEXT) | instid1(VALU_DEP_1)
	v_and_b32_e32 v3, 7, v3
	v_cndmask_b32_e32 v3, v10, v3, vcc_lo
	s_delay_alu instid0(VALU_DEP_3) | instskip(NEXT) | instid1(VALU_DEP_2)
	v_lshl_add_u32 v10, v11, 23, 0x3b800000
	v_lshlrev_b32_e32 v3, 20, v3
	s_delay_alu instid0(VALU_DEP_1) | instskip(NEXT) | instid1(VALU_DEP_1)
	v_or3_b32 v1, v1, v10, v3
	v_trunc_f32_e32 v1, v1
	s_delay_alu instid0(VALU_DEP_1) | instskip(SKIP_1) | instid1(VALU_DEP_2)
	v_mul_f32_e64 v3, 0x2f800000, |v1|
	v_ashrrev_i32_e32 v10, 31, v1
	v_floor_f32_e32 v3, v3
	s_delay_alu instid0(VALU_DEP_1) | instskip(SKIP_1) | instid1(VALU_DEP_2)
	v_fma_f32 v11, 0xcf800000, v3, |v1|
	v_cvt_u32_f32_e32 v1, v3
	v_cvt_u32_f32_e32 v3, v11
	s_delay_alu instid0(VALU_DEP_2) | instskip(NEXT) | instid1(VALU_DEP_2)
	v_dual_mov_b32 v11, v10 :: v_dual_bitop2_b32 v13, v1, v10 bitop3:0x14
	v_xor_b32_e32 v12, v3, v10
	s_delay_alu instid0(VALU_DEP_1)
	v_sub_nc_u64_e32 v[10:11], v[12:13], v[10:11]
.LBB79_1341:
	s_or_b32 exec_lo, exec_lo, s37
.LBB79_1342:
	s_mov_b32 s37, -1
.LBB79_1343:
	s_mov_b32 s60, 0
.LBB79_1344:
	s_delay_alu instid0(SALU_CYCLE_1)
	s_and_b32 vcc_lo, exec_lo, s60
	s_cbranch_vccz .LBB79_1377
; %bb.1345:
	s_cmp_gt_i32 s0, 22
	s_cbranch_scc0 .LBB79_1353
; %bb.1346:
	s_cmp_lt_i32 s0, 24
	s_cbranch_scc1 .LBB79_1356
; %bb.1347:
	s_cmp_gt_i32 s0, 24
	s_cbranch_scc0 .LBB79_1357
; %bb.1348:
	global_load_u8 v1, v[6:7], off
	s_mov_b32 s60, 0
	s_mov_b32 s37, exec_lo
	s_wait_loadcnt 0x0
	v_cmpx_lt_i16_e32 0x7f, v1
	s_xor_b32 s37, exec_lo, s37
	s_cbranch_execz .LBB79_1369
; %bb.1349:
	v_cmp_ne_u16_e32 vcc_lo, 0x80, v1
	s_and_b32 s60, vcc_lo, exec_lo
	s_and_not1_saveexec_b32 s37, s37
	s_cbranch_execnz .LBB79_1370
.LBB79_1350:
	s_or_b32 exec_lo, exec_lo, s37
	v_mov_b64_e32 v[10:11], 0
	s_and_saveexec_b32 s37, s60
	s_cbranch_execz .LBB79_1352
.LBB79_1351:
	v_and_b32_e32 v3, 0xffff, v1
	s_delay_alu instid0(VALU_DEP_1) | instskip(SKIP_1) | instid1(VALU_DEP_2)
	v_dual_lshlrev_b32 v1, 24, v1 :: v_dual_bitop2_b32 v10, 3, v3 bitop3:0x40
	v_bfe_u32 v13, v3, 2, 5
	v_and_b32_e32 v1, 0x80000000, v1
	s_delay_alu instid0(VALU_DEP_3) | instskip(NEXT) | instid1(VALU_DEP_3)
	v_clz_i32_u32_e32 v11, v10
	v_cmp_eq_u32_e32 vcc_lo, 0, v13
	s_delay_alu instid0(VALU_DEP_2) | instskip(NEXT) | instid1(VALU_DEP_1)
	v_min_u32_e32 v11, 32, v11
	v_subrev_nc_u32_e32 v12, 29, v11
	v_sub_nc_u32_e32 v11, 30, v11
	s_delay_alu instid0(VALU_DEP_2) | instskip(NEXT) | instid1(VALU_DEP_2)
	v_lshlrev_b32_e32 v3, v12, v3
	v_cndmask_b32_e32 v11, v13, v11, vcc_lo
	s_delay_alu instid0(VALU_DEP_2) | instskip(NEXT) | instid1(VALU_DEP_1)
	v_and_b32_e32 v3, 3, v3
	v_cndmask_b32_e32 v3, v10, v3, vcc_lo
	s_delay_alu instid0(VALU_DEP_3) | instskip(NEXT) | instid1(VALU_DEP_2)
	v_lshl_add_u32 v10, v11, 23, 0x37800000
	v_lshlrev_b32_e32 v3, 21, v3
	s_delay_alu instid0(VALU_DEP_1) | instskip(NEXT) | instid1(VALU_DEP_1)
	v_or3_b32 v1, v1, v10, v3
	v_trunc_f32_e32 v1, v1
	s_delay_alu instid0(VALU_DEP_1) | instskip(SKIP_1) | instid1(VALU_DEP_2)
	v_mul_f32_e64 v3, 0x2f800000, |v1|
	v_ashrrev_i32_e32 v10, 31, v1
	v_floor_f32_e32 v3, v3
	s_delay_alu instid0(VALU_DEP_1) | instskip(SKIP_1) | instid1(VALU_DEP_2)
	v_fma_f32 v11, 0xcf800000, v3, |v1|
	v_cvt_u32_f32_e32 v1, v3
	v_cvt_u32_f32_e32 v3, v11
	s_delay_alu instid0(VALU_DEP_2) | instskip(NEXT) | instid1(VALU_DEP_2)
	v_dual_mov_b32 v11, v10 :: v_dual_bitop2_b32 v13, v1, v10 bitop3:0x14
	v_xor_b32_e32 v12, v3, v10
	s_delay_alu instid0(VALU_DEP_1)
	v_sub_nc_u64_e32 v[10:11], v[12:13], v[10:11]
.LBB79_1352:
	s_or_b32 exec_lo, exec_lo, s37
	s_mov_b32 s37, 0
	s_branch .LBB79_1358
.LBB79_1353:
	s_mov_b32 s60, -1
                                        ; implicit-def: $vgpr10_vgpr11
	s_branch .LBB79_1364
.LBB79_1354:
	s_and_not1_saveexec_b32 s37, s37
	s_cbranch_execz .LBB79_1339
.LBB79_1355:
	v_cmp_ne_u16_e32 vcc_lo, 0, v1
	s_and_not1_b32 s60, s60, exec_lo
	s_and_b32 s61, vcc_lo, exec_lo
	s_delay_alu instid0(SALU_CYCLE_1)
	s_or_b32 s60, s60, s61
	s_or_b32 exec_lo, exec_lo, s37
	v_mov_b64_e32 v[10:11], 0
	s_and_saveexec_b32 s37, s60
	s_cbranch_execnz .LBB79_1340
	s_branch .LBB79_1341
.LBB79_1356:
	s_mov_b32 s37, -1
                                        ; implicit-def: $vgpr10_vgpr11
	s_branch .LBB79_1361
.LBB79_1357:
	s_mov_b32 s37, -1
                                        ; implicit-def: $vgpr10_vgpr11
.LBB79_1358:
	s_delay_alu instid0(SALU_CYCLE_1)
	s_and_b32 vcc_lo, exec_lo, s37
	s_cbranch_vccz .LBB79_1360
; %bb.1359:
	global_load_u8 v1, v[6:7], off
	s_wait_loadcnt 0x0
	v_lshlrev_b32_e32 v1, 24, v1
	s_delay_alu instid0(VALU_DEP_1) | instskip(SKIP_1) | instid1(VALU_DEP_1)
	v_and_b32_e32 v3, 0x7f000000, v1
	s_wait_xcnt 0x1
	v_clz_i32_u32_e32 v10, v3
	v_cmp_ne_u32_e32 vcc_lo, 0, v3
	v_add_nc_u32_e32 v12, 0x1000000, v3
	s_delay_alu instid0(VALU_DEP_3) | instskip(NEXT) | instid1(VALU_DEP_1)
	v_min_u32_e32 v10, 32, v10
	v_sub_nc_u32_e64 v10, v10, 4 clamp
	s_delay_alu instid0(VALU_DEP_1) | instskip(NEXT) | instid1(VALU_DEP_1)
	v_dual_lshlrev_b32 v11, v10, v3 :: v_dual_lshlrev_b32 v10, 23, v10
	v_lshrrev_b32_e32 v11, 4, v11
	s_delay_alu instid0(VALU_DEP_1) | instskip(NEXT) | instid1(VALU_DEP_1)
	v_dual_sub_nc_u32 v10, v11, v10 :: v_dual_ashrrev_i32 v11, 8, v12
	v_add_nc_u32_e32 v10, 0x3c000000, v10
	s_delay_alu instid0(VALU_DEP_1) | instskip(NEXT) | instid1(VALU_DEP_1)
	v_and_or_b32 v10, 0x7f800000, v11, v10
	v_cndmask_b32_e32 v3, 0, v10, vcc_lo
	s_delay_alu instid0(VALU_DEP_1) | instskip(NEXT) | instid1(VALU_DEP_1)
	v_and_or_b32 v1, 0x80000000, v1, v3
	v_trunc_f32_e32 v1, v1
	s_delay_alu instid0(VALU_DEP_1) | instskip(SKIP_1) | instid1(VALU_DEP_2)
	v_mul_f32_e64 v3, 0x2f800000, |v1|
	v_ashrrev_i32_e32 v10, 31, v1
	v_floor_f32_e32 v3, v3
	s_delay_alu instid0(VALU_DEP_1) | instskip(SKIP_1) | instid1(VALU_DEP_2)
	v_fma_f32 v11, 0xcf800000, v3, |v1|
	v_cvt_u32_f32_e32 v1, v3
	v_cvt_u32_f32_e32 v3, v11
	s_delay_alu instid0(VALU_DEP_2) | instskip(NEXT) | instid1(VALU_DEP_2)
	v_dual_mov_b32 v11, v10 :: v_dual_bitop2_b32 v13, v1, v10 bitop3:0x14
	v_xor_b32_e32 v12, v3, v10
	s_delay_alu instid0(VALU_DEP_1)
	v_sub_nc_u64_e32 v[10:11], v[12:13], v[10:11]
.LBB79_1360:
	s_mov_b32 s37, 0
.LBB79_1361:
	s_delay_alu instid0(SALU_CYCLE_1)
	s_and_not1_b32 vcc_lo, exec_lo, s37
	s_cbranch_vccnz .LBB79_1363
; %bb.1362:
	global_load_u8 v1, v[6:7], off
	s_wait_loadcnt 0x0
	v_lshlrev_b32_e32 v3, 25, v1
	v_lshlrev_b16 v1, 8, v1
	s_wait_xcnt 0x1
	s_delay_alu instid0(VALU_DEP_1) | instskip(SKIP_1) | instid1(VALU_DEP_2)
	v_and_or_b32 v11, 0x7f00, v1, 0.5
	v_bfe_i32 v1, v1, 0, 16
	v_add_f32_e32 v11, -0.5, v11
	v_lshrrev_b32_e32 v10, 4, v3
	v_cmp_gt_u32_e32 vcc_lo, 0x8000000, v3
	s_delay_alu instid0(VALU_DEP_2) | instskip(NEXT) | instid1(VALU_DEP_1)
	v_or_b32_e32 v10, 0x70000000, v10
	v_mul_f32_e32 v10, 0x7800000, v10
	s_delay_alu instid0(VALU_DEP_1) | instskip(NEXT) | instid1(VALU_DEP_1)
	v_cndmask_b32_e32 v3, v10, v11, vcc_lo
	v_and_or_b32 v1, 0x80000000, v1, v3
	s_delay_alu instid0(VALU_DEP_1) | instskip(NEXT) | instid1(VALU_DEP_1)
	v_trunc_f32_e32 v1, v1
	v_mul_f32_e64 v3, 0x2f800000, |v1|
	v_ashrrev_i32_e32 v10, 31, v1
	s_delay_alu instid0(VALU_DEP_2) | instskip(NEXT) | instid1(VALU_DEP_1)
	v_floor_f32_e32 v3, v3
	v_fma_f32 v11, 0xcf800000, v3, |v1|
	v_cvt_u32_f32_e32 v1, v3
	s_delay_alu instid0(VALU_DEP_2) | instskip(NEXT) | instid1(VALU_DEP_2)
	v_cvt_u32_f32_e32 v3, v11
	v_dual_mov_b32 v11, v10 :: v_dual_bitop2_b32 v13, v1, v10 bitop3:0x14
	s_delay_alu instid0(VALU_DEP_2) | instskip(NEXT) | instid1(VALU_DEP_1)
	v_xor_b32_e32 v12, v3, v10
	v_sub_nc_u64_e32 v[10:11], v[12:13], v[10:11]
.LBB79_1363:
	s_mov_b32 s60, 0
	s_mov_b32 s37, -1
.LBB79_1364:
	s_and_not1_b32 vcc_lo, exec_lo, s60
	s_cbranch_vccnz .LBB79_1377
; %bb.1365:
	s_cmp_gt_i32 s0, 14
	s_cbranch_scc0 .LBB79_1368
; %bb.1366:
	s_cmp_eq_u32 s0, 15
	s_cbranch_scc0 .LBB79_1371
; %bb.1367:
	global_load_u16 v1, v[6:7], off
	s_mov_b32 s37, -1
	s_mov_b32 s36, 0
	s_wait_loadcnt 0x0
	v_lshlrev_b32_e32 v1, 16, v1
	s_delay_alu instid0(VALU_DEP_1) | instskip(NEXT) | instid1(VALU_DEP_1)
	v_trunc_f32_e32 v1, v1
	v_mul_f32_e64 v3, 0x2f800000, |v1|
	s_wait_xcnt 0x1
	v_ashrrev_i32_e32 v10, 31, v1
	s_delay_alu instid0(VALU_DEP_2) | instskip(NEXT) | instid1(VALU_DEP_1)
	v_floor_f32_e32 v3, v3
	v_fma_f32 v11, 0xcf800000, v3, |v1|
	v_cvt_u32_f32_e32 v1, v3
	s_delay_alu instid0(VALU_DEP_2) | instskip(NEXT) | instid1(VALU_DEP_2)
	v_cvt_u32_f32_e32 v3, v11
	v_dual_mov_b32 v11, v10 :: v_dual_bitop2_b32 v13, v1, v10 bitop3:0x14
	s_delay_alu instid0(VALU_DEP_2) | instskip(NEXT) | instid1(VALU_DEP_1)
	v_xor_b32_e32 v12, v3, v10
	v_sub_nc_u64_e32 v[10:11], v[12:13], v[10:11]
	s_branch .LBB79_1372
.LBB79_1368:
	s_mov_b32 s60, -1
                                        ; implicit-def: $vgpr10_vgpr11
	s_branch .LBB79_1373
.LBB79_1369:
	s_and_not1_saveexec_b32 s37, s37
	s_cbranch_execz .LBB79_1350
.LBB79_1370:
	v_cmp_ne_u16_e32 vcc_lo, 0, v1
	s_and_not1_b32 s60, s60, exec_lo
	s_and_b32 s61, vcc_lo, exec_lo
	s_delay_alu instid0(SALU_CYCLE_1)
	s_or_b32 s60, s60, s61
	s_or_b32 exec_lo, exec_lo, s37
	v_mov_b64_e32 v[10:11], 0
	s_and_saveexec_b32 s37, s60
	s_cbranch_execnz .LBB79_1351
	s_branch .LBB79_1352
.LBB79_1371:
	s_mov_b32 s36, -1
                                        ; implicit-def: $vgpr10_vgpr11
.LBB79_1372:
	s_mov_b32 s60, 0
.LBB79_1373:
	s_delay_alu instid0(SALU_CYCLE_1)
	s_and_b32 vcc_lo, exec_lo, s60
	s_cbranch_vccz .LBB79_1377
; %bb.1374:
	s_cmp_eq_u32 s0, 11
	s_cbranch_scc0 .LBB79_1376
; %bb.1375:
	global_load_u8 v1, v[6:7], off
	s_mov_b32 s36, 0
	s_mov_b32 s37, -1
	s_wait_loadcnt 0x1
	s_wait_xcnt 0x1
	v_mov_b32_e32 v11, s36
	s_wait_loadcnt 0x0
	v_cmp_ne_u16_e32 vcc_lo, 0, v1
	v_cndmask_b32_e64 v10, 0, 1, vcc_lo
	s_branch .LBB79_1377
.LBB79_1376:
	s_mov_b32 s36, -1
                                        ; implicit-def: $vgpr10_vgpr11
.LBB79_1377:
	s_mov_b32 s60, 0
.LBB79_1378:
	s_delay_alu instid0(SALU_CYCLE_1)
	s_and_b32 vcc_lo, exec_lo, s60
	s_cbranch_vccz .LBB79_1427
; %bb.1379:
	s_cmp_lt_i32 s0, 5
	s_cbranch_scc1 .LBB79_1384
; %bb.1380:
	s_cmp_lt_i32 s0, 8
	s_cbranch_scc1 .LBB79_1385
	;; [unrolled: 3-line block ×3, first 2 shown]
; %bb.1382:
	s_cmp_gt_i32 s0, 9
	s_cbranch_scc0 .LBB79_1387
; %bb.1383:
	s_wait_loadcnt 0x0
	global_load_b64 v[10:11], v[6:7], off
	s_mov_b32 s37, 0
	s_wait_loadcnt 0x0
	v_trunc_f64_e32 v[10:11], v[10:11]
	s_delay_alu instid0(VALU_DEP_1) | instskip(NEXT) | instid1(VALU_DEP_1)
	v_ldexp_f64 v[12:13], v[10:11], 0xffffffe0
	v_floor_f64_e32 v[12:13], v[12:13]
	s_delay_alu instid0(VALU_DEP_1) | instskip(SKIP_1) | instid1(VALU_DEP_2)
	v_fmamk_f64 v[14:15], v[12:13], 0xc1f00000, v[10:11]
	v_cvt_i32_f64_e32 v11, v[12:13]
	v_cvt_u32_f64_e32 v10, v[14:15]
	s_branch .LBB79_1388
.LBB79_1384:
	s_mov_b32 s37, -1
                                        ; implicit-def: $vgpr10_vgpr11
	s_branch .LBB79_1406
.LBB79_1385:
	s_mov_b32 s37, -1
                                        ; implicit-def: $vgpr10_vgpr11
	s_branch .LBB79_1394
.LBB79_1386:
	s_mov_b32 s37, -1
                                        ; implicit-def: $vgpr10_vgpr11
	s_branch .LBB79_1391
.LBB79_1387:
	s_mov_b32 s37, -1
                                        ; implicit-def: $vgpr10_vgpr11
.LBB79_1388:
	s_delay_alu instid0(SALU_CYCLE_1)
	s_and_not1_b32 vcc_lo, exec_lo, s37
	s_cbranch_vccnz .LBB79_1390
; %bb.1389:
	global_load_b32 v1, v[6:7], off
	s_wait_loadcnt 0x0
	v_trunc_f32_e32 v1, v1
	s_delay_alu instid0(VALU_DEP_1) | instskip(SKIP_2) | instid1(VALU_DEP_2)
	v_mul_f32_e64 v3, 0x2f800000, |v1|
	s_wait_xcnt 0x1
	v_ashrrev_i32_e32 v10, 31, v1
	v_floor_f32_e32 v3, v3
	s_delay_alu instid0(VALU_DEP_1) | instskip(SKIP_1) | instid1(VALU_DEP_2)
	v_fma_f32 v11, 0xcf800000, v3, |v1|
	v_cvt_u32_f32_e32 v1, v3
	v_cvt_u32_f32_e32 v3, v11
	s_delay_alu instid0(VALU_DEP_2) | instskip(NEXT) | instid1(VALU_DEP_2)
	v_dual_mov_b32 v11, v10 :: v_dual_bitop2_b32 v13, v1, v10 bitop3:0x14
	v_xor_b32_e32 v12, v3, v10
	s_delay_alu instid0(VALU_DEP_1)
	v_sub_nc_u64_e32 v[10:11], v[12:13], v[10:11]
.LBB79_1390:
	s_mov_b32 s37, 0
.LBB79_1391:
	s_delay_alu instid0(SALU_CYCLE_1)
	s_and_not1_b32 vcc_lo, exec_lo, s37
	s_cbranch_vccnz .LBB79_1393
; %bb.1392:
	global_load_b32 v1, v[6:7], off
	s_wait_loadcnt 0x0
	v_cvt_f32_f16_e32 v1, v1
	s_wait_xcnt 0x1
	s_delay_alu instid0(VALU_DEP_1) | instskip(NEXT) | instid1(VALU_DEP_1)
	v_cvt_i32_f32_e32 v10, v1
	v_ashrrev_i32_e32 v11, 31, v10
.LBB79_1393:
	s_mov_b32 s37, 0
.LBB79_1394:
	s_delay_alu instid0(SALU_CYCLE_1)
	s_and_not1_b32 vcc_lo, exec_lo, s37
	s_cbranch_vccnz .LBB79_1405
; %bb.1395:
	s_cmp_lt_i32 s0, 6
	s_cbranch_scc1 .LBB79_1398
; %bb.1396:
	s_cmp_gt_i32 s0, 6
	s_cbranch_scc0 .LBB79_1399
; %bb.1397:
	s_wait_loadcnt 0x0
	global_load_b64 v[10:11], v[6:7], off
	s_mov_b32 s37, 0
	s_wait_loadcnt 0x0
	v_trunc_f64_e32 v[10:11], v[10:11]
	s_delay_alu instid0(VALU_DEP_1) | instskip(NEXT) | instid1(VALU_DEP_1)
	v_ldexp_f64 v[12:13], v[10:11], 0xffffffe0
	v_floor_f64_e32 v[12:13], v[12:13]
	s_delay_alu instid0(VALU_DEP_1) | instskip(SKIP_1) | instid1(VALU_DEP_2)
	v_fmamk_f64 v[14:15], v[12:13], 0xc1f00000, v[10:11]
	v_cvt_i32_f64_e32 v11, v[12:13]
	v_cvt_u32_f64_e32 v10, v[14:15]
	s_branch .LBB79_1400
.LBB79_1398:
	s_mov_b32 s37, -1
                                        ; implicit-def: $vgpr10_vgpr11
	s_branch .LBB79_1403
.LBB79_1399:
	s_mov_b32 s37, -1
                                        ; implicit-def: $vgpr10_vgpr11
.LBB79_1400:
	s_delay_alu instid0(SALU_CYCLE_1)
	s_and_not1_b32 vcc_lo, exec_lo, s37
	s_cbranch_vccnz .LBB79_1402
; %bb.1401:
	global_load_b32 v1, v[6:7], off
	s_wait_loadcnt 0x0
	v_trunc_f32_e32 v1, v1
	s_delay_alu instid0(VALU_DEP_1) | instskip(SKIP_2) | instid1(VALU_DEP_2)
	v_mul_f32_e64 v3, 0x2f800000, |v1|
	s_wait_xcnt 0x1
	v_ashrrev_i32_e32 v10, 31, v1
	v_floor_f32_e32 v3, v3
	s_delay_alu instid0(VALU_DEP_1) | instskip(SKIP_1) | instid1(VALU_DEP_2)
	v_fma_f32 v11, 0xcf800000, v3, |v1|
	v_cvt_u32_f32_e32 v1, v3
	v_cvt_u32_f32_e32 v3, v11
	s_delay_alu instid0(VALU_DEP_2) | instskip(NEXT) | instid1(VALU_DEP_2)
	v_dual_mov_b32 v11, v10 :: v_dual_bitop2_b32 v13, v1, v10 bitop3:0x14
	v_xor_b32_e32 v12, v3, v10
	s_delay_alu instid0(VALU_DEP_1)
	v_sub_nc_u64_e32 v[10:11], v[12:13], v[10:11]
.LBB79_1402:
	s_mov_b32 s37, 0
.LBB79_1403:
	s_delay_alu instid0(SALU_CYCLE_1)
	s_and_not1_b32 vcc_lo, exec_lo, s37
	s_cbranch_vccnz .LBB79_1405
; %bb.1404:
	global_load_u16 v1, v[6:7], off
	s_wait_loadcnt 0x0
	v_cvt_f32_f16_e32 v1, v1
	s_wait_xcnt 0x1
	s_delay_alu instid0(VALU_DEP_1) | instskip(NEXT) | instid1(VALU_DEP_1)
	v_cvt_i32_f32_e32 v10, v1
	v_ashrrev_i32_e32 v11, 31, v10
.LBB79_1405:
	s_mov_b32 s37, 0
.LBB79_1406:
	s_delay_alu instid0(SALU_CYCLE_1)
	s_and_not1_b32 vcc_lo, exec_lo, s37
	s_cbranch_vccnz .LBB79_1426
; %bb.1407:
	s_cmp_lt_i32 s0, 2
	s_cbranch_scc1 .LBB79_1411
; %bb.1408:
	s_cmp_lt_i32 s0, 3
	s_cbranch_scc1 .LBB79_1412
; %bb.1409:
	s_cmp_gt_i32 s0, 3
	s_cbranch_scc0 .LBB79_1413
; %bb.1410:
	s_wait_loadcnt 0x0
	global_load_b64 v[10:11], v[6:7], off
	s_mov_b32 s37, 0
	s_branch .LBB79_1414
.LBB79_1411:
	s_mov_b32 s37, -1
                                        ; implicit-def: $vgpr10_vgpr11
	s_branch .LBB79_1420
.LBB79_1412:
	s_mov_b32 s37, -1
                                        ; implicit-def: $vgpr10_vgpr11
	s_branch .LBB79_1417
.LBB79_1413:
	s_mov_b32 s37, -1
                                        ; implicit-def: $vgpr10_vgpr11
.LBB79_1414:
	s_delay_alu instid0(SALU_CYCLE_1)
	s_and_not1_b32 vcc_lo, exec_lo, s37
	s_cbranch_vccnz .LBB79_1416
; %bb.1415:
	s_wait_loadcnt 0x0
	global_load_b32 v10, v[6:7], off
	s_wait_loadcnt 0x0
	v_ashrrev_i32_e32 v11, 31, v10
.LBB79_1416:
	s_mov_b32 s37, 0
.LBB79_1417:
	s_delay_alu instid0(SALU_CYCLE_1)
	s_and_not1_b32 vcc_lo, exec_lo, s37
	s_cbranch_vccnz .LBB79_1419
; %bb.1418:
	global_load_u16 v1, v[6:7], off
	s_wait_loadcnt 0x0
	s_wait_xcnt 0x1
	v_bfe_i32 v10, v1, 0, 16
	s_delay_alu instid0(VALU_DEP_1)
	v_ashrrev_i32_e32 v11, 31, v10
.LBB79_1419:
	s_mov_b32 s37, 0
.LBB79_1420:
	s_delay_alu instid0(SALU_CYCLE_1)
	s_and_not1_b32 vcc_lo, exec_lo, s37
	s_cbranch_vccnz .LBB79_1426
; %bb.1421:
	s_cmp_gt_i32 s0, 0
	s_mov_b32 s0, 0
	s_cbranch_scc0 .LBB79_1423
; %bb.1422:
	global_load_i8 v1, v[6:7], off
	s_wait_loadcnt 0x0
	s_wait_xcnt 0x1
	v_bfe_i32 v10, v1, 0, 16
	s_delay_alu instid0(VALU_DEP_1)
	v_ashrrev_i32_e32 v11, 31, v10
	s_branch .LBB79_1424
.LBB79_1423:
	s_mov_b32 s0, -1
                                        ; implicit-def: $vgpr10_vgpr11
.LBB79_1424:
	s_delay_alu instid0(SALU_CYCLE_1)
	s_and_not1_b32 vcc_lo, exec_lo, s0
	s_cbranch_vccnz .LBB79_1426
; %bb.1425:
	global_load_u8 v1, v[6:7], off
	s_mov_b32 s0, 0
	s_wait_loadcnt 0x1
	s_wait_xcnt 0x1
	v_mov_b32_e32 v11, s0
	s_wait_loadcnt 0x0
	v_and_b32_e32 v10, 0xffff, v1
.LBB79_1426:
	s_mov_b32 s37, -1
.LBB79_1427:
	s_delay_alu instid0(SALU_CYCLE_1)
	s_and_not1_b32 vcc_lo, exec_lo, s37
	s_cbranch_vccnz .LBB79_1435
; %bb.1428:
	s_wait_loadcnt 0x0
	v_mul_u64_e32 v[4:5], s[20:21], v[4:5]
	s_wait_xcnt 0x0
	s_delay_alu instid0(VALU_DEP_4) | instskip(SKIP_2) | instid1(SALU_CYCLE_1)
	v_mul_u64_e32 v[6:7], s[22:23], v[8:9]
	v_mov_b32_e32 v3, 0
	s_and_b32 s37, s42, 0xff
	s_cmp_lt_i32 s37, 11
	s_delay_alu instid0(VALU_DEP_1) | instskip(NEXT) | instid1(VALU_DEP_3)
	v_add_nc_u64_e32 v[2:3], s[4:5], v[2:3]
	v_mad_nc_u64_u32 v[4:5], v6, v10, v[4:5]
	s_delay_alu instid0(VALU_DEP_1) | instskip(NEXT) | instid1(VALU_DEP_1)
	v_mad_u32 v1, v7, v10, v5
	v_mad_u32 v5, v6, v11, v1
	s_cbranch_scc1 .LBB79_1436
; %bb.1429:
	s_and_b32 s60, 0xffff, s37
	s_delay_alu instid0(SALU_CYCLE_1)
	s_cmp_gt_i32 s60, 25
	s_cbranch_scc0 .LBB79_1437
; %bb.1430:
	s_cmp_gt_i32 s60, 28
	s_cbranch_scc0 .LBB79_1438
; %bb.1431:
	;; [unrolled: 3-line block ×4, first 2 shown]
	s_mov_b32 s62, 0
	s_mov_b32 s0, -1
	s_cmp_eq_u32 s60, 46
	s_mov_b32 s61, 0
	s_cbranch_scc0 .LBB79_1441
; %bb.1434:
	v_xor_b32_e32 v1, v4, v5
	v_cls_i32_e32 v6, v5
	s_mov_b32 s61, -1
	s_mov_b32 s0, 0
	s_delay_alu instid0(VALU_DEP_2) | instskip(NEXT) | instid1(VALU_DEP_1)
	v_ashrrev_i32_e32 v1, 31, v1
	v_add_nc_u32_e32 v1, 32, v1
	s_delay_alu instid0(VALU_DEP_1) | instskip(NEXT) | instid1(VALU_DEP_1)
	v_add_min_u32_e64 v1, v6, -1, v1
	v_lshlrev_b64_e32 v[6:7], v1, v[4:5]
	v_sub_nc_u32_e32 v1, 32, v1
	s_delay_alu instid0(VALU_DEP_2) | instskip(NEXT) | instid1(VALU_DEP_1)
	v_min_u32_e32 v6, 1, v6
	v_or_b32_e32 v6, v7, v6
	s_delay_alu instid0(VALU_DEP_1) | instskip(NEXT) | instid1(VALU_DEP_1)
	v_cvt_f32_i32_e32 v6, v6
	v_ldexp_f32 v1, v6, v1
	s_delay_alu instid0(VALU_DEP_1) | instskip(NEXT) | instid1(VALU_DEP_1)
	v_bfe_u32 v6, v1, 16, 1
	v_add3_u32 v1, v1, v6, 0x7fff
	s_delay_alu instid0(VALU_DEP_1)
	v_lshrrev_b32_e32 v1, 16, v1
	global_store_b32 v[2:3], v1, off
	s_branch .LBB79_1441
.LBB79_1435:
	s_mov_b32 s37, 0
	s_mov_b32 s0, s55
	s_branch .LBB79_1552
.LBB79_1436:
	s_mov_b32 s60, -1
	s_mov_b32 s61, 0
	s_mov_b32 s0, s55
	s_branch .LBB79_1510
.LBB79_1437:
	s_mov_b32 s62, -1
	s_mov_b32 s61, 0
	s_mov_b32 s0, s55
	s_branch .LBB79_1468
.LBB79_1438:
	s_mov_b32 s62, -1
	s_mov_b32 s61, 0
	s_mov_b32 s0, s55
	s_branch .LBB79_1451
.LBB79_1439:
	s_mov_b32 s62, -1
	s_mov_b32 s61, 0
	s_mov_b32 s0, s55
	s_branch .LBB79_1447
.LBB79_1440:
	s_mov_b32 s62, -1
	s_mov_b32 s61, 0
	s_mov_b32 s0, s55
.LBB79_1441:
	s_and_b32 vcc_lo, exec_lo, s62
	s_cbranch_vccz .LBB79_1446
; %bb.1442:
	s_cmp_eq_u32 s60, 44
	s_mov_b32 s0, -1
	s_cbranch_scc0 .LBB79_1446
; %bb.1443:
	s_wait_xcnt 0x0
	v_xor_b32_e32 v1, v4, v5
	v_cls_i32_e32 v6, v5
	s_mov_b32 s61, -1
	s_mov_b32 s62, exec_lo
	s_delay_alu instid0(VALU_DEP_2) | instskip(NEXT) | instid1(VALU_DEP_1)
	v_ashrrev_i32_e32 v1, 31, v1
	v_add_nc_u32_e32 v1, 32, v1
	s_delay_alu instid0(VALU_DEP_1) | instskip(NEXT) | instid1(VALU_DEP_1)
	v_add_min_u32_e64 v1, v6, -1, v1
	v_lshlrev_b64_e32 v[6:7], v1, v[4:5]
	v_sub_nc_u32_e32 v1, 32, v1
	s_delay_alu instid0(VALU_DEP_2) | instskip(NEXT) | instid1(VALU_DEP_1)
	v_min_u32_e32 v6, 1, v6
	v_or_b32_e32 v6, v7, v6
	s_delay_alu instid0(VALU_DEP_1) | instskip(NEXT) | instid1(VALU_DEP_1)
	v_cvt_f32_i32_e32 v6, v6
	v_ldexp_f32 v1, v6, v1
	v_mov_b32_e32 v6, 0xff
	s_delay_alu instid0(VALU_DEP_2) | instskip(NEXT) | instid1(VALU_DEP_1)
	v_bfe_u32 v7, v1, 23, 8
	v_cmpx_ne_u32_e32 0xff, v7
	s_cbranch_execz .LBB79_1445
; %bb.1444:
	v_and_b32_e32 v6, 0x400000, v1
	v_and_or_b32 v7, 0x3fffff, v1, v7
	v_lshrrev_b32_e32 v1, 23, v1
	s_delay_alu instid0(VALU_DEP_3) | instskip(NEXT) | instid1(VALU_DEP_3)
	v_cmp_ne_u32_e32 vcc_lo, 0, v6
	v_cmp_ne_u32_e64 s0, 0, v7
	s_and_b32 s0, vcc_lo, s0
	s_delay_alu instid0(SALU_CYCLE_1) | instskip(NEXT) | instid1(VALU_DEP_1)
	v_cndmask_b32_e64 v6, 0, 1, s0
	v_add_nc_u32_e32 v6, v1, v6
.LBB79_1445:
	s_or_b32 exec_lo, exec_lo, s62
	s_mov_b32 s0, 0
	global_store_b8 v[2:3], v6, off
.LBB79_1446:
	s_mov_b32 s62, 0
.LBB79_1447:
	s_delay_alu instid0(SALU_CYCLE_1)
	s_and_b32 vcc_lo, exec_lo, s62
	s_cbranch_vccz .LBB79_1450
; %bb.1448:
	s_cmp_eq_u32 s60, 29
	s_mov_b32 s0, -1
	s_cbranch_scc0 .LBB79_1450
; %bb.1449:
	s_mov_b32 s61, -1
	s_mov_b32 s0, 0
	global_store_b64 v[2:3], v[4:5], off
.LBB79_1450:
	s_mov_b32 s62, 0
.LBB79_1451:
	s_delay_alu instid0(SALU_CYCLE_1)
	s_and_b32 vcc_lo, exec_lo, s62
	s_cbranch_vccz .LBB79_1467
; %bb.1452:
	s_cmp_lt_i32 s60, 27
	s_mov_b32 s61, -1
	s_cbranch_scc1 .LBB79_1458
; %bb.1453:
	s_cmp_gt_i32 s60, 27
	s_cbranch_scc0 .LBB79_1455
; %bb.1454:
	s_mov_b32 s61, 0
	global_store_b32 v[2:3], v4, off
.LBB79_1455:
	s_and_not1_b32 vcc_lo, exec_lo, s61
	s_cbranch_vccnz .LBB79_1457
; %bb.1456:
	global_store_b16 v[2:3], v4, off
.LBB79_1457:
	s_mov_b32 s61, 0
.LBB79_1458:
	s_delay_alu instid0(SALU_CYCLE_1)
	s_and_not1_b32 vcc_lo, exec_lo, s61
	s_cbranch_vccnz .LBB79_1466
; %bb.1459:
	s_wait_xcnt 0x0
	v_xor_b32_e32 v1, v4, v5
	v_cls_i32_e32 v6, v5
	s_mov_b32 s61, exec_lo
	s_delay_alu instid0(VALU_DEP_2) | instskip(NEXT) | instid1(VALU_DEP_1)
	v_ashrrev_i32_e32 v1, 31, v1
	v_add_nc_u32_e32 v1, 32, v1
	s_delay_alu instid0(VALU_DEP_1) | instskip(NEXT) | instid1(VALU_DEP_1)
	v_add_min_u32_e64 v1, v6, -1, v1
	v_lshlrev_b64_e32 v[6:7], v1, v[4:5]
	v_sub_nc_u32_e32 v1, 32, v1
	s_delay_alu instid0(VALU_DEP_2) | instskip(NEXT) | instid1(VALU_DEP_1)
	v_min_u32_e32 v6, 1, v6
	v_or_b32_e32 v6, v7, v6
	v_mov_b32_e32 v7, 0x80
	s_delay_alu instid0(VALU_DEP_2) | instskip(NEXT) | instid1(VALU_DEP_1)
	v_cvt_f32_i32_e32 v6, v6
	v_ldexp_f32 v1, v6, v1
	s_delay_alu instid0(VALU_DEP_1) | instskip(NEXT) | instid1(VALU_DEP_1)
	v_and_b32_e32 v6, 0x7fffffff, v1
	v_cmpx_gt_u32_e32 0x43800000, v6
	s_cbranch_execz .LBB79_1465
; %bb.1460:
	v_cmp_lt_u32_e32 vcc_lo, 0x3bffffff, v6
	s_mov_b32 s62, 0
                                        ; implicit-def: $vgpr6
	s_and_saveexec_b32 s63, vcc_lo
	s_delay_alu instid0(SALU_CYCLE_1)
	s_xor_b32 s63, exec_lo, s63
	s_cbranch_execz .LBB79_2745
; %bb.1461:
	v_bfe_u32 v6, v1, 20, 1
	s_mov_b32 s62, exec_lo
	s_delay_alu instid0(VALU_DEP_1) | instskip(NEXT) | instid1(VALU_DEP_1)
	v_add3_u32 v6, v1, v6, 0x487ffff
	v_lshrrev_b32_e32 v6, 20, v6
	s_and_not1_saveexec_b32 s63, s63
	s_cbranch_execnz .LBB79_2746
.LBB79_1462:
	s_or_b32 exec_lo, exec_lo, s63
	v_mov_b32_e32 v7, 0
	s_and_saveexec_b32 s63, s62
.LBB79_1463:
	v_lshrrev_b32_e32 v1, 24, v1
	s_delay_alu instid0(VALU_DEP_1)
	v_and_or_b32 v7, 0x80, v1, v6
.LBB79_1464:
	s_or_b32 exec_lo, exec_lo, s63
.LBB79_1465:
	s_delay_alu instid0(SALU_CYCLE_1)
	s_or_b32 exec_lo, exec_lo, s61
	global_store_b8 v[2:3], v7, off
.LBB79_1466:
	s_mov_b32 s61, -1
.LBB79_1467:
	s_mov_b32 s62, 0
.LBB79_1468:
	s_delay_alu instid0(SALU_CYCLE_1)
	s_and_b32 vcc_lo, exec_lo, s62
	s_cbranch_vccz .LBB79_1509
; %bb.1469:
	s_cmp_gt_i32 s60, 22
	s_mov_b32 s62, -1
	s_cbranch_scc0 .LBB79_1501
; %bb.1470:
	s_cmp_lt_i32 s60, 24
	s_mov_b32 s61, -1
	s_cbranch_scc1 .LBB79_1490
; %bb.1471:
	s_cmp_gt_i32 s60, 24
	s_cbranch_scc0 .LBB79_1479
; %bb.1472:
	s_wait_xcnt 0x0
	v_xor_b32_e32 v1, v4, v5
	v_cls_i32_e32 v6, v5
	s_mov_b32 s61, exec_lo
	s_delay_alu instid0(VALU_DEP_2) | instskip(NEXT) | instid1(VALU_DEP_1)
	v_ashrrev_i32_e32 v1, 31, v1
	v_add_nc_u32_e32 v1, 32, v1
	s_delay_alu instid0(VALU_DEP_1) | instskip(NEXT) | instid1(VALU_DEP_1)
	v_add_min_u32_e64 v1, v6, -1, v1
	v_lshlrev_b64_e32 v[6:7], v1, v[4:5]
	v_sub_nc_u32_e32 v1, 32, v1
	s_delay_alu instid0(VALU_DEP_2) | instskip(NEXT) | instid1(VALU_DEP_1)
	v_min_u32_e32 v6, 1, v6
	v_or_b32_e32 v6, v7, v6
	v_mov_b32_e32 v7, 0x80
	s_delay_alu instid0(VALU_DEP_2) | instskip(NEXT) | instid1(VALU_DEP_1)
	v_cvt_f32_i32_e32 v6, v6
	v_ldexp_f32 v1, v6, v1
	s_delay_alu instid0(VALU_DEP_1) | instskip(NEXT) | instid1(VALU_DEP_1)
	v_and_b32_e32 v6, 0x7fffffff, v1
	v_cmpx_gt_u32_e32 0x47800000, v6
	s_cbranch_execz .LBB79_1478
; %bb.1473:
	v_cmp_lt_u32_e32 vcc_lo, 0x37ffffff, v6
	s_mov_b32 s62, 0
                                        ; implicit-def: $vgpr6
	s_and_saveexec_b32 s63, vcc_lo
	s_delay_alu instid0(SALU_CYCLE_1)
	s_xor_b32 s63, exec_lo, s63
	s_cbranch_execz .LBB79_2874
; %bb.1474:
	v_bfe_u32 v6, v1, 21, 1
	s_mov_b32 s62, exec_lo
	s_delay_alu instid0(VALU_DEP_1) | instskip(NEXT) | instid1(VALU_DEP_1)
	v_add3_u32 v6, v1, v6, 0x88fffff
	v_lshrrev_b32_e32 v6, 21, v6
	s_and_not1_saveexec_b32 s63, s63
	s_cbranch_execnz .LBB79_2875
.LBB79_1475:
	s_or_b32 exec_lo, exec_lo, s63
	v_mov_b32_e32 v7, 0
	s_and_saveexec_b32 s63, s62
.LBB79_1476:
	v_lshrrev_b32_e32 v1, 24, v1
	s_delay_alu instid0(VALU_DEP_1)
	v_and_or_b32 v7, 0x80, v1, v6
.LBB79_1477:
	s_or_b32 exec_lo, exec_lo, s63
.LBB79_1478:
	s_delay_alu instid0(SALU_CYCLE_1)
	s_or_b32 exec_lo, exec_lo, s61
	s_mov_b32 s61, 0
	global_store_b8 v[2:3], v7, off
.LBB79_1479:
	s_and_b32 vcc_lo, exec_lo, s61
	s_cbranch_vccz .LBB79_1489
; %bb.1480:
	s_wait_xcnt 0x0
	v_xor_b32_e32 v1, v4, v5
	v_cls_i32_e32 v6, v5
	s_mov_b32 s61, exec_lo
	s_delay_alu instid0(VALU_DEP_2) | instskip(NEXT) | instid1(VALU_DEP_1)
	v_ashrrev_i32_e32 v1, 31, v1
	v_add_nc_u32_e32 v1, 32, v1
	s_delay_alu instid0(VALU_DEP_1) | instskip(NEXT) | instid1(VALU_DEP_1)
	v_add_min_u32_e64 v1, v6, -1, v1
	v_lshlrev_b64_e32 v[6:7], v1, v[4:5]
	v_sub_nc_u32_e32 v1, 32, v1
	s_delay_alu instid0(VALU_DEP_2) | instskip(NEXT) | instid1(VALU_DEP_1)
	v_min_u32_e32 v6, 1, v6
	v_or_b32_e32 v6, v7, v6
	s_delay_alu instid0(VALU_DEP_1) | instskip(NEXT) | instid1(VALU_DEP_1)
	v_cvt_f32_i32_e32 v6, v6
	v_ldexp_f32 v1, v6, v1
                                        ; implicit-def: $vgpr6
	s_delay_alu instid0(VALU_DEP_1) | instskip(NEXT) | instid1(VALU_DEP_1)
	v_and_b32_e32 v7, 0x7fffffff, v1
	v_cmpx_gt_u32_e32 0x43f00000, v7
	s_xor_b32 s61, exec_lo, s61
	s_cbranch_execz .LBB79_1486
; %bb.1481:
	s_mov_b32 s62, exec_lo
                                        ; implicit-def: $vgpr6
	v_cmpx_lt_u32_e32 0x3c7fffff, v7
	s_xor_b32 s62, exec_lo, s62
; %bb.1482:
	v_bfe_u32 v6, v1, 20, 1
	s_delay_alu instid0(VALU_DEP_1) | instskip(NEXT) | instid1(VALU_DEP_1)
	v_add3_u32 v6, v1, v6, 0x407ffff
	v_and_b32_e32 v7, 0xff00000, v6
	v_lshrrev_b32_e32 v6, 20, v6
	s_delay_alu instid0(VALU_DEP_2) | instskip(NEXT) | instid1(VALU_DEP_2)
	v_cmp_ne_u32_e32 vcc_lo, 0x7f00000, v7
	v_cndmask_b32_e32 v6, 0x7e, v6, vcc_lo
; %bb.1483:
	s_and_not1_saveexec_b32 s62, s62
; %bb.1484:
	v_add_f32_e64 v6, 0x46800000, |v1|
; %bb.1485:
	s_or_b32 exec_lo, exec_lo, s62
                                        ; implicit-def: $vgpr7
.LBB79_1486:
	s_and_not1_saveexec_b32 s61, s61
; %bb.1487:
	v_mov_b32_e32 v6, 0x7f
	v_cmp_lt_u32_e32 vcc_lo, 0x7f800000, v7
	s_delay_alu instid0(VALU_DEP_2)
	v_cndmask_b32_e32 v6, 0x7e, v6, vcc_lo
; %bb.1488:
	s_or_b32 exec_lo, exec_lo, s61
	v_lshrrev_b32_e32 v1, 24, v1
	s_delay_alu instid0(VALU_DEP_1)
	v_and_or_b32 v1, 0x80, v1, v6
	global_store_b8 v[2:3], v1, off
.LBB79_1489:
	s_mov_b32 s61, 0
.LBB79_1490:
	s_delay_alu instid0(SALU_CYCLE_1)
	s_and_not1_b32 vcc_lo, exec_lo, s61
	s_cbranch_vccnz .LBB79_1500
; %bb.1491:
	s_wait_xcnt 0x0
	v_xor_b32_e32 v1, v4, v5
	v_cls_i32_e32 v6, v5
	s_mov_b32 s61, exec_lo
	s_delay_alu instid0(VALU_DEP_2) | instskip(NEXT) | instid1(VALU_DEP_1)
	v_ashrrev_i32_e32 v1, 31, v1
	v_add_nc_u32_e32 v1, 32, v1
	s_delay_alu instid0(VALU_DEP_1) | instskip(NEXT) | instid1(VALU_DEP_1)
	v_add_min_u32_e64 v1, v6, -1, v1
	v_lshlrev_b64_e32 v[6:7], v1, v[4:5]
	v_sub_nc_u32_e32 v1, 32, v1
	s_delay_alu instid0(VALU_DEP_2) | instskip(NEXT) | instid1(VALU_DEP_1)
	v_min_u32_e32 v6, 1, v6
	v_or_b32_e32 v6, v7, v6
	s_delay_alu instid0(VALU_DEP_1) | instskip(NEXT) | instid1(VALU_DEP_1)
	v_cvt_f32_i32_e32 v6, v6
	v_ldexp_f32 v1, v6, v1
                                        ; implicit-def: $vgpr6
	s_delay_alu instid0(VALU_DEP_1) | instskip(NEXT) | instid1(VALU_DEP_1)
	v_and_b32_e32 v7, 0x7fffffff, v1
	v_cmpx_gt_u32_e32 0x47800000, v7
	s_xor_b32 s61, exec_lo, s61
	s_cbranch_execz .LBB79_1497
; %bb.1492:
	s_mov_b32 s62, exec_lo
                                        ; implicit-def: $vgpr6
	v_cmpx_lt_u32_e32 0x387fffff, v7
	s_xor_b32 s62, exec_lo, s62
; %bb.1493:
	v_bfe_u32 v6, v1, 21, 1
	s_delay_alu instid0(VALU_DEP_1) | instskip(NEXT) | instid1(VALU_DEP_1)
	v_add3_u32 v6, v1, v6, 0x80fffff
	v_lshrrev_b32_e32 v6, 21, v6
; %bb.1494:
	s_and_not1_saveexec_b32 s62, s62
; %bb.1495:
	v_add_f32_e64 v6, 0x43000000, |v1|
; %bb.1496:
	s_or_b32 exec_lo, exec_lo, s62
                                        ; implicit-def: $vgpr7
.LBB79_1497:
	s_and_not1_saveexec_b32 s61, s61
; %bb.1498:
	v_mov_b32_e32 v6, 0x7f
	v_cmp_lt_u32_e32 vcc_lo, 0x7f800000, v7
	s_delay_alu instid0(VALU_DEP_2)
	v_cndmask_b32_e32 v6, 0x7c, v6, vcc_lo
; %bb.1499:
	s_or_b32 exec_lo, exec_lo, s61
	v_lshrrev_b32_e32 v1, 24, v1
	s_delay_alu instid0(VALU_DEP_1)
	v_and_or_b32 v1, 0x80, v1, v6
	global_store_b8 v[2:3], v1, off
.LBB79_1500:
	s_mov_b32 s62, 0
	s_mov_b32 s61, -1
.LBB79_1501:
	s_and_not1_b32 vcc_lo, exec_lo, s62
	s_cbranch_vccnz .LBB79_1509
; %bb.1502:
	s_cmp_gt_i32 s60, 14
	s_mov_b32 s62, -1
	s_cbranch_scc0 .LBB79_1506
; %bb.1503:
	s_cmp_eq_u32 s60, 15
	s_mov_b32 s0, -1
	s_cbranch_scc0 .LBB79_1505
; %bb.1504:
	s_wait_xcnt 0x0
	v_xor_b32_e32 v1, v4, v5
	v_cls_i32_e32 v6, v5
	s_mov_b32 s61, -1
	s_mov_b32 s0, 0
	s_delay_alu instid0(VALU_DEP_2) | instskip(NEXT) | instid1(VALU_DEP_1)
	v_ashrrev_i32_e32 v1, 31, v1
	v_add_nc_u32_e32 v1, 32, v1
	s_delay_alu instid0(VALU_DEP_1) | instskip(NEXT) | instid1(VALU_DEP_1)
	v_add_min_u32_e64 v1, v6, -1, v1
	v_lshlrev_b64_e32 v[6:7], v1, v[4:5]
	v_sub_nc_u32_e32 v1, 32, v1
	s_delay_alu instid0(VALU_DEP_2) | instskip(NEXT) | instid1(VALU_DEP_1)
	v_min_u32_e32 v6, 1, v6
	v_or_b32_e32 v6, v7, v6
	s_delay_alu instid0(VALU_DEP_1) | instskip(NEXT) | instid1(VALU_DEP_1)
	v_cvt_f32_i32_e32 v6, v6
	v_ldexp_f32 v1, v6, v1
	s_delay_alu instid0(VALU_DEP_1) | instskip(NEXT) | instid1(VALU_DEP_1)
	v_bfe_u32 v6, v1, 16, 1
	v_add3_u32 v1, v1, v6, 0x7fff
	global_store_d16_hi_b16 v[2:3], v1, off
.LBB79_1505:
	s_mov_b32 s62, 0
.LBB79_1506:
	s_delay_alu instid0(SALU_CYCLE_1)
	s_and_b32 vcc_lo, exec_lo, s62
	s_cbranch_vccz .LBB79_1509
; %bb.1507:
	s_cmp_eq_u32 s60, 11
	s_mov_b32 s0, -1
	s_cbranch_scc0 .LBB79_1509
; %bb.1508:
	v_cmp_ne_u64_e32 vcc_lo, 0, v[4:5]
	s_mov_b32 s61, -1
	s_mov_b32 s0, 0
	s_wait_xcnt 0x0
	v_cndmask_b32_e64 v1, 0, 1, vcc_lo
	global_store_b8 v[2:3], v1, off
.LBB79_1509:
	s_mov_b32 s60, 0
.LBB79_1510:
	s_delay_alu instid0(SALU_CYCLE_1)
	s_and_b32 vcc_lo, exec_lo, s60
	s_cbranch_vccz .LBB79_1549
; %bb.1511:
	s_and_b32 s37, 0xffff, s37
	s_mov_b32 s60, -1
	s_cmp_lt_i32 s37, 5
	s_cbranch_scc1 .LBB79_1532
; %bb.1512:
	s_cmp_lt_i32 s37, 8
	s_cbranch_scc1 .LBB79_1522
; %bb.1513:
	;; [unrolled: 3-line block ×3, first 2 shown]
	s_cmp_gt_i32 s37, 9
	s_cbranch_scc0 .LBB79_1516
; %bb.1515:
	s_wait_xcnt 0x0
	v_cvt_f64_i32_e32 v[6:7], v5
	v_cvt_f64_u32_e32 v[8:9], v4
	s_mov_b32 s60, 0
	s_delay_alu instid0(VALU_DEP_2) | instskip(NEXT) | instid1(VALU_DEP_1)
	v_ldexp_f64 v[6:7], v[6:7], 32
	v_dual_add_f64 v[6:7], v[6:7], v[8:9] :: v_dual_mov_b32 v8, 0
	s_delay_alu instid0(VALU_DEP_1)
	v_mov_b32_e32 v9, v8
	global_store_b128 v[2:3], v[6:9], off
.LBB79_1516:
	s_and_not1_b32 vcc_lo, exec_lo, s60
	s_cbranch_vccnz .LBB79_1518
; %bb.1517:
	s_wait_xcnt 0x0
	v_xor_b32_e32 v1, v4, v5
	v_cls_i32_e32 v6, v5
	s_delay_alu instid0(VALU_DEP_2) | instskip(NEXT) | instid1(VALU_DEP_1)
	v_ashrrev_i32_e32 v1, 31, v1
	v_add_nc_u32_e32 v1, 32, v1
	s_delay_alu instid0(VALU_DEP_1) | instskip(NEXT) | instid1(VALU_DEP_1)
	v_add_min_u32_e64 v1, v6, -1, v1
	v_lshlrev_b64_e32 v[6:7], v1, v[4:5]
	v_sub_nc_u32_e32 v1, 32, v1
	s_delay_alu instid0(VALU_DEP_2) | instskip(NEXT) | instid1(VALU_DEP_1)
	v_min_u32_e32 v6, 1, v6
	v_dual_mov_b32 v7, 0 :: v_dual_bitop2_b32 v6, v7, v6 bitop3:0x54
	s_delay_alu instid0(VALU_DEP_1) | instskip(NEXT) | instid1(VALU_DEP_1)
	v_cvt_f32_i32_e32 v6, v6
	v_ldexp_f32 v6, v6, v1
	global_store_b64 v[2:3], v[6:7], off
.LBB79_1518:
	s_mov_b32 s60, 0
.LBB79_1519:
	s_delay_alu instid0(SALU_CYCLE_1)
	s_and_not1_b32 vcc_lo, exec_lo, s60
	s_cbranch_vccnz .LBB79_1521
; %bb.1520:
	s_wait_xcnt 0x0
	v_xor_b32_e32 v1, v4, v5
	v_cls_i32_e32 v6, v5
	s_delay_alu instid0(VALU_DEP_2) | instskip(NEXT) | instid1(VALU_DEP_1)
	v_ashrrev_i32_e32 v1, 31, v1
	v_add_nc_u32_e32 v1, 32, v1
	s_delay_alu instid0(VALU_DEP_1) | instskip(NEXT) | instid1(VALU_DEP_1)
	v_add_min_u32_e64 v1, v6, -1, v1
	v_lshlrev_b64_e32 v[6:7], v1, v[4:5]
	v_sub_nc_u32_e32 v1, 32, v1
	s_delay_alu instid0(VALU_DEP_2) | instskip(NEXT) | instid1(VALU_DEP_1)
	v_min_u32_e32 v6, 1, v6
	v_or_b32_e32 v6, v7, v6
	s_delay_alu instid0(VALU_DEP_1) | instskip(NEXT) | instid1(VALU_DEP_1)
	v_cvt_f32_i32_e32 v6, v6
	v_ldexp_f32 v1, v6, v1
	s_delay_alu instid0(VALU_DEP_1) | instskip(NEXT) | instid1(VALU_DEP_1)
	v_cvt_f16_f32_e32 v1, v1
	v_and_b32_e32 v1, 0xffff, v1
	global_store_b32 v[2:3], v1, off
.LBB79_1521:
	s_mov_b32 s60, 0
.LBB79_1522:
	s_delay_alu instid0(SALU_CYCLE_1)
	s_and_not1_b32 vcc_lo, exec_lo, s60
	s_cbranch_vccnz .LBB79_1531
; %bb.1523:
	s_cmp_lt_i32 s37, 6
	s_mov_b32 s60, -1
	s_cbranch_scc1 .LBB79_1529
; %bb.1524:
	s_cmp_gt_i32 s37, 6
	s_cbranch_scc0 .LBB79_1526
; %bb.1525:
	s_wait_xcnt 0x0
	v_cvt_f64_i32_e32 v[6:7], v5
	v_cvt_f64_u32_e32 v[8:9], v4
	s_mov_b32 s60, 0
	s_delay_alu instid0(VALU_DEP_2) | instskip(NEXT) | instid1(VALU_DEP_1)
	v_ldexp_f64 v[6:7], v[6:7], 32
	v_add_f64_e32 v[6:7], v[6:7], v[8:9]
	global_store_b64 v[2:3], v[6:7], off
.LBB79_1526:
	s_and_not1_b32 vcc_lo, exec_lo, s60
	s_cbranch_vccnz .LBB79_1528
; %bb.1527:
	s_wait_xcnt 0x0
	v_xor_b32_e32 v1, v4, v5
	v_cls_i32_e32 v6, v5
	s_delay_alu instid0(VALU_DEP_2) | instskip(NEXT) | instid1(VALU_DEP_1)
	v_ashrrev_i32_e32 v1, 31, v1
	v_add_nc_u32_e32 v1, 32, v1
	s_delay_alu instid0(VALU_DEP_1) | instskip(NEXT) | instid1(VALU_DEP_1)
	v_add_min_u32_e64 v1, v6, -1, v1
	v_lshlrev_b64_e32 v[6:7], v1, v[4:5]
	v_sub_nc_u32_e32 v1, 32, v1
	s_delay_alu instid0(VALU_DEP_2) | instskip(NEXT) | instid1(VALU_DEP_1)
	v_min_u32_e32 v6, 1, v6
	v_or_b32_e32 v6, v7, v6
	s_delay_alu instid0(VALU_DEP_1) | instskip(NEXT) | instid1(VALU_DEP_1)
	v_cvt_f32_i32_e32 v6, v6
	v_ldexp_f32 v1, v6, v1
	global_store_b32 v[2:3], v1, off
.LBB79_1528:
	s_mov_b32 s60, 0
.LBB79_1529:
	s_delay_alu instid0(SALU_CYCLE_1)
	s_and_not1_b32 vcc_lo, exec_lo, s60
	s_cbranch_vccnz .LBB79_1531
; %bb.1530:
	s_wait_xcnt 0x0
	v_xor_b32_e32 v1, v4, v5
	v_cls_i32_e32 v6, v5
	s_delay_alu instid0(VALU_DEP_2) | instskip(NEXT) | instid1(VALU_DEP_1)
	v_ashrrev_i32_e32 v1, 31, v1
	v_add_nc_u32_e32 v1, 32, v1
	s_delay_alu instid0(VALU_DEP_1) | instskip(NEXT) | instid1(VALU_DEP_1)
	v_add_min_u32_e64 v1, v6, -1, v1
	v_lshlrev_b64_e32 v[6:7], v1, v[4:5]
	v_sub_nc_u32_e32 v1, 32, v1
	s_delay_alu instid0(VALU_DEP_2) | instskip(NEXT) | instid1(VALU_DEP_1)
	v_min_u32_e32 v6, 1, v6
	v_or_b32_e32 v6, v7, v6
	s_delay_alu instid0(VALU_DEP_1) | instskip(NEXT) | instid1(VALU_DEP_1)
	v_cvt_f32_i32_e32 v6, v6
	v_ldexp_f32 v1, v6, v1
	s_delay_alu instid0(VALU_DEP_1)
	v_cvt_f16_f32_e32 v1, v1
	global_store_b16 v[2:3], v1, off
.LBB79_1531:
	s_mov_b32 s60, 0
.LBB79_1532:
	s_delay_alu instid0(SALU_CYCLE_1)
	s_and_not1_b32 vcc_lo, exec_lo, s60
	s_cbranch_vccnz .LBB79_1548
; %bb.1533:
	s_cmp_lt_i32 s37, 2
	s_mov_b32 s60, -1
	s_cbranch_scc1 .LBB79_1543
; %bb.1534:
	s_cmp_lt_i32 s37, 3
	s_cbranch_scc1 .LBB79_1540
; %bb.1535:
	s_cmp_gt_i32 s37, 3
	s_cbranch_scc0 .LBB79_1537
; %bb.1536:
	s_mov_b32 s60, 0
	global_store_b64 v[2:3], v[4:5], off
.LBB79_1537:
	s_and_not1_b32 vcc_lo, exec_lo, s60
	s_cbranch_vccnz .LBB79_1539
; %bb.1538:
	global_store_b32 v[2:3], v4, off
.LBB79_1539:
	s_mov_b32 s60, 0
.LBB79_1540:
	s_delay_alu instid0(SALU_CYCLE_1)
	s_and_not1_b32 vcc_lo, exec_lo, s60
	s_cbranch_vccnz .LBB79_1542
; %bb.1541:
	global_store_b16 v[2:3], v4, off
.LBB79_1542:
	s_mov_b32 s60, 0
.LBB79_1543:
	s_delay_alu instid0(SALU_CYCLE_1)
	s_and_not1_b32 vcc_lo, exec_lo, s60
	s_cbranch_vccnz .LBB79_1548
; %bb.1544:
	s_cmp_gt_i32 s37, 0
	s_mov_b32 s37, -1
	s_cbranch_scc0 .LBB79_1546
; %bb.1545:
	s_mov_b32 s37, 0
	global_store_b8 v[2:3], v4, off
.LBB79_1546:
	s_and_not1_b32 vcc_lo, exec_lo, s37
	s_cbranch_vccnz .LBB79_1548
; %bb.1547:
	global_store_b8 v[2:3], v4, off
.LBB79_1548:
	s_mov_b32 s61, -1
.LBB79_1549:
	s_delay_alu instid0(SALU_CYCLE_1)
	s_and_not1_b32 vcc_lo, exec_lo, s61
	s_cbranch_vccnz .LBB79_1551
; %bb.1550:
	v_add_nc_u32_e32 v0, 0x80, v0
	s_mov_b32 s37, -1
	s_branch .LBB79_1553
.LBB79_1551:
	s_mov_b32 s37, 0
.LBB79_1552:
                                        ; implicit-def: $vgpr0
.LBB79_1553:
	s_and_not1_b32 s60, s55, exec_lo
	s_and_b32 s0, s0, exec_lo
	s_and_not1_b32 s61, s56, exec_lo
	s_and_b32 s36, s36, exec_lo
	s_or_b32 s63, s60, s0
	s_or_b32 s61, s61, s36
	s_and_not1_b32 s0, s57, exec_lo
	s_and_b32 s35, s35, exec_lo
	s_and_not1_b32 s36, s54, exec_lo
	s_and_b32 s34, s34, exec_lo
	s_or_b32 s62, s0, s35
	s_or_b32 s60, s36, s34
	s_or_not1_b32 s37, s37, exec_lo
.LBB79_1554:
	s_wait_xcnt 0x0
	s_or_b32 exec_lo, exec_lo, s59
	s_mov_b32 s35, 0
	s_mov_b32 s36, 0
	;; [unrolled: 1-line block ×3, first 2 shown]
                                        ; implicit-def: $sgpr0
                                        ; implicit-def: $vgpr10_vgpr11
                                        ; implicit-def: $vgpr2
                                        ; implicit-def: $vgpr6
                                        ; implicit-def: $vgpr8
                                        ; implicit-def: $vgpr4_vgpr5
	s_and_saveexec_b32 s59, s37
	s_cbranch_execz .LBB79_1643
; %bb.1555:
	v_cmp_gt_i32_e32 vcc_lo, s47, v0
	s_mov_b32 s37, s60
                                        ; implicit-def: $sgpr0
                                        ; implicit-def: $vgpr10_vgpr11
                                        ; implicit-def: $vgpr2
                                        ; implicit-def: $vgpr6
                                        ; implicit-def: $vgpr8
                                        ; implicit-def: $vgpr4_vgpr5
	s_and_saveexec_b32 s47, vcc_lo
	s_cbranch_execz .LBB79_1642
; %bb.1556:
	s_and_not1_b32 vcc_lo, exec_lo, s40
	s_cbranch_vccnz .LBB79_1562
; %bb.1557:
	s_and_not1_b32 vcc_lo, exec_lo, s49
	s_cbranch_vccnz .LBB79_1563
; %bb.1558:
	s_wait_loadcnt 0x0
	v_dual_mov_b32 v8, 0 :: v_dual_mov_b32 v1, v0
	v_dual_mov_b32 v6, 0 :: v_dual_mov_b32 v2, 0
	v_mov_b32_e32 v4, 0
	s_add_co_i32 s0, s46, 1
	s_mov_b64 s[34:35], 0xffffffffffffffe0
	s_and_b32 s0, s0, 30
	s_add_nc_u64 s[34:35], s[2:3], s[34:35]
	s_mov_b64 s[36:37], s[2:3]
.LBB79_1559:                            ; =>This Inner Loop Header: Depth=1
	s_clause 0x1
	s_load_b128 s[72:75], s[36:37], 0x4
	s_load_b64 s[76:77], s[36:37], 0x14
	s_load_b256 s[64:71], s[34:35], 0xe4
	s_add_co_i32 s0, s0, -2
	s_wait_xcnt 0x0
	s_add_nc_u64 s[36:37], s[36:37], 24
	s_cmp_eq_u32 s0, 0
	s_add_nc_u64 s[34:35], s[34:35], 32
	s_wait_kmcnt 0x0
	v_mul_hi_u32 v3, s73, v1
	s_delay_alu instid0(VALU_DEP_1) | instskip(NEXT) | instid1(VALU_DEP_1)
	v_add_nc_u32_e32 v3, v1, v3
	v_lshrrev_b32_e32 v3, s74, v3
	s_delay_alu instid0(VALU_DEP_1) | instskip(SKIP_1) | instid1(VALU_DEP_1)
	v_mul_hi_u32 v5, s76, v3
	v_mul_lo_u32 v7, v3, s72
	v_dual_add_nc_u32 v5, v3, v5 :: v_dual_sub_nc_u32 v7, v1, v7
	s_delay_alu instid0(VALU_DEP_1) | instskip(NEXT) | instid1(VALU_DEP_2)
	v_lshrrev_b32_e32 v1, s77, v5
	v_mad_u32 v4, v7, s65, v4
	v_mad_u32 v2, v7, s64, v2
	;; [unrolled: 1-line block ×4, first 2 shown]
	v_mul_lo_u32 v5, v1, s75
	s_delay_alu instid0(VALU_DEP_1) | instskip(NEXT) | instid1(VALU_DEP_1)
	v_sub_nc_u32_e32 v3, v3, v5
	v_mad_u32 v4, v3, s69, v4
	v_mad_u32 v2, v3, s68, v2
	;; [unrolled: 1-line block ×4, first 2 shown]
	s_cbranch_scc0 .LBB79_1559
; %bb.1560:
	s_bitcmp1_b32 s46, 0
	s_cselect_b32 s0, -1, 0
	s_delay_alu instid0(SALU_CYCLE_1)
	s_and_b32 vcc_lo, exec_lo, s0
	s_cbranch_vccnz .LBB79_1564
; %bb.1561:
	s_load_b96 s[68:70], s[36:37], 0x4
	s_load_b128 s[64:67], s[34:35], 0xe4
	s_wait_kmcnt 0x0
	v_mul_hi_u32 v3, s69, v1
	s_delay_alu instid0(VALU_DEP_1) | instskip(NEXT) | instid1(VALU_DEP_1)
	v_add_nc_u32_e32 v3, v1, v3
	v_lshrrev_b32_e32 v3, s70, v3
	s_delay_alu instid0(VALU_DEP_1) | instskip(NEXT) | instid1(VALU_DEP_1)
	v_mul_lo_u32 v3, v3, s68
	v_sub_nc_u32_e32 v1, v1, v3
	s_delay_alu instid0(VALU_DEP_1)
	v_mad_u32 v2, v1, s64, v2
	v_mad_u32 v4, v1, s65, v4
	;; [unrolled: 1-line block ×4, first 2 shown]
	s_branch .LBB79_1564
.LBB79_1562:
	s_mov_b32 s0, -1
                                        ; implicit-def: $vgpr4
                                        ; implicit-def: $vgpr2
                                        ; implicit-def: $vgpr6
                                        ; implicit-def: $vgpr8
	s_branch .LBB79_1565
.LBB79_1563:
	s_wait_loadcnt 0x0
	v_dual_mov_b32 v4, 0 :: v_dual_mov_b32 v2, 0
	v_dual_mov_b32 v6, 0 :: v_dual_mov_b32 v8, 0
.LBB79_1564:
	s_mov_b32 s0, 0
.LBB79_1565:
	s_delay_alu instid0(SALU_CYCLE_1)
	s_and_not1_b32 vcc_lo, exec_lo, s0
	s_cbranch_vccnz .LBB79_1568
; %bb.1566:
	v_mov_b32_e32 v1, 0
	s_and_not1_b32 vcc_lo, exec_lo, s45
	s_delay_alu instid0(VALU_DEP_1) | instskip(NEXT) | instid1(VALU_DEP_1)
	v_mul_u64_e32 v[2:3], s[28:29], v[0:1]
	v_add_nc_u32_e32 v2, v0, v3
	s_wait_loadcnt 0x0
	s_delay_alu instid0(VALU_DEP_1) | instskip(NEXT) | instid1(VALU_DEP_1)
	v_lshrrev_b32_e32 v10, s26, v2
	v_mul_lo_u32 v2, v10, s24
	s_delay_alu instid0(VALU_DEP_1) | instskip(NEXT) | instid1(VALU_DEP_1)
	v_sub_nc_u32_e32 v0, v0, v2
	v_mul_lo_u32 v4, v0, s13
	v_mul_lo_u32 v2, v0, s12
	;; [unrolled: 1-line block ×4, first 2 shown]
	s_cbranch_vccnz .LBB79_1568
; %bb.1567:
	v_mov_b32_e32 v11, v1
	s_delay_alu instid0(VALU_DEP_1) | instskip(NEXT) | instid1(VALU_DEP_1)
	v_mul_u64_e32 v[0:1], s[30:31], v[10:11]
	v_add_nc_u32_e32 v0, v10, v1
	s_delay_alu instid0(VALU_DEP_1) | instskip(NEXT) | instid1(VALU_DEP_1)
	v_lshrrev_b32_e32 v0, s1, v0
	v_mul_lo_u32 v0, v0, s27
	s_delay_alu instid0(VALU_DEP_1) | instskip(NEXT) | instid1(VALU_DEP_1)
	v_sub_nc_u32_e32 v0, v10, v0
	v_mad_u32 v2, v0, s16, v2
	v_mad_u32 v4, v0, s17, v4
	;; [unrolled: 1-line block ×4, first 2 shown]
.LBB79_1568:
	s_wait_loadcnt 0x0
	v_mov_b32_e32 v5, 0
	s_and_b32 s0, s44, 0xff
	s_delay_alu instid0(SALU_CYCLE_1) | instskip(NEXT) | instid1(VALU_DEP_1)
	s_cmp_lt_i32 s0, 11
	v_add_nc_u64_e32 v[10:11], s[6:7], v[4:5]
	s_cbranch_scc1 .LBB79_1575
; %bb.1569:
	s_and_b32 s1, 0xffff, s0
	s_mov_b32 s7, 0
	s_cmp_gt_i32 s1, 25
	s_cbranch_scc0 .LBB79_1576
; %bb.1570:
	s_cmp_gt_i32 s1, 28
	s_cbranch_scc0 .LBB79_1577
; %bb.1571:
	;; [unrolled: 3-line block ×4, first 2 shown]
	s_cmp_eq_u32 s1, 46
	s_mov_b32 s13, 0
	s_cbranch_scc0 .LBB79_1580
; %bb.1574:
	global_load_b32 v0, v[10:11], off
	s_mov_b32 s6, 0
	s_mov_b32 s12, -1
	s_wait_loadcnt 0x0
	v_lshlrev_b32_e32 v0, 16, v0
	s_delay_alu instid0(VALU_DEP_1) | instskip(NEXT) | instid1(VALU_DEP_1)
	v_trunc_f32_e32 v0, v0
	v_mul_f32_e64 v1, 0x2f800000, |v0|
	s_delay_alu instid0(VALU_DEP_1) | instskip(NEXT) | instid1(VALU_DEP_1)
	v_floor_f32_e32 v1, v1
	v_fma_f32 v3, 0xcf800000, v1, |v0|
	v_ashrrev_i32_e32 v0, 31, v0
	v_cvt_u32_f32_e32 v4, v1
	s_delay_alu instid0(VALU_DEP_3) | instskip(NEXT) | instid1(VALU_DEP_3)
	v_cvt_u32_f32_e32 v3, v3
	v_mov_b32_e32 v1, v0
	s_delay_alu instid0(VALU_DEP_3) | instskip(NEXT) | instid1(VALU_DEP_3)
	v_xor_b32_e32 v5, v4, v0
	v_xor_b32_e32 v4, v3, v0
	s_delay_alu instid0(VALU_DEP_1)
	v_sub_nc_u64_e32 v[4:5], v[4:5], v[0:1]
	s_branch .LBB79_1582
.LBB79_1575:
	s_mov_b32 s1, -1
	s_mov_b32 s12, 0
	s_mov_b32 s7, 0
	s_mov_b32 s6, s60
                                        ; implicit-def: $vgpr4_vgpr5
	s_branch .LBB79_1641
.LBB79_1576:
	s_mov_b32 s13, -1
	s_mov_b32 s12, 0
	s_mov_b32 s6, s60
                                        ; implicit-def: $vgpr4_vgpr5
	s_branch .LBB79_1609
.LBB79_1577:
	s_mov_b32 s13, -1
	s_mov_b32 s12, 0
	s_mov_b32 s6, s60
                                        ; implicit-def: $vgpr4_vgpr5
	s_branch .LBB79_1592
.LBB79_1578:
	s_mov_b32 s13, -1
	s_mov_b32 s12, 0
	s_mov_b32 s6, s60
                                        ; implicit-def: $vgpr4_vgpr5
	s_branch .LBB79_1587
.LBB79_1579:
	s_mov_b32 s13, -1
	s_mov_b32 s12, 0
	s_mov_b32 s6, s60
	s_branch .LBB79_1581
.LBB79_1580:
	s_mov_b32 s6, -1
	s_mov_b32 s12, 0
.LBB79_1581:
                                        ; implicit-def: $vgpr4_vgpr5
.LBB79_1582:
	s_and_b32 vcc_lo, exec_lo, s13
	s_cbranch_vccz .LBB79_1586
; %bb.1583:
	s_cmp_eq_u32 s1, 44
	s_cbranch_scc0 .LBB79_1585
; %bb.1584:
	global_load_u8 v3, v[10:11], off
	s_mov_b32 s6, 0
	s_mov_b32 s12, -1
	s_wait_loadcnt 0x0
	v_cmp_ne_u32_e32 vcc_lo, 0, v3
	v_lshlrev_b32_e32 v0, 23, v3
	s_delay_alu instid0(VALU_DEP_1) | instskip(NEXT) | instid1(VALU_DEP_1)
	v_trunc_f32_e32 v0, v0
	v_mul_f32_e64 v1, 0x2f800000, |v0|
	s_delay_alu instid0(VALU_DEP_1) | instskip(NEXT) | instid1(VALU_DEP_1)
	v_floor_f32_e32 v1, v1
	v_fma_f32 v4, 0xcf800000, v1, |v0|
	v_ashrrev_i32_e32 v0, 31, v0
	v_cvt_u32_f32_e32 v5, v1
	s_delay_alu instid0(VALU_DEP_3) | instskip(NEXT) | instid1(VALU_DEP_2)
	v_cvt_u32_f32_e32 v4, v4
	v_dual_mov_b32 v1, v0 :: v_dual_bitop2_b32 v5, v5, v0 bitop3:0x14
	s_delay_alu instid0(VALU_DEP_2) | instskip(NEXT) | instid1(VALU_DEP_1)
	v_xor_b32_e32 v4, v4, v0
	v_sub_nc_u64_e32 v[0:1], v[4:5], v[0:1]
	s_delay_alu instid0(VALU_DEP_1)
	v_dual_cndmask_b32 v5, 0, v1 :: v_dual_cndmask_b32 v4, 0, v0
	s_branch .LBB79_1586
.LBB79_1585:
	s_mov_b32 s6, -1
                                        ; implicit-def: $vgpr4_vgpr5
.LBB79_1586:
	s_mov_b32 s13, 0
.LBB79_1587:
	s_delay_alu instid0(SALU_CYCLE_1)
	s_and_b32 vcc_lo, exec_lo, s13
	s_cbranch_vccz .LBB79_1591
; %bb.1588:
	s_cmp_eq_u32 s1, 29
	s_cbranch_scc0 .LBB79_1590
; %bb.1589:
	global_load_b64 v[4:5], v[10:11], off
	s_mov_b32 s6, 0
	s_mov_b32 s12, -1
	s_branch .LBB79_1591
.LBB79_1590:
	s_mov_b32 s6, -1
                                        ; implicit-def: $vgpr4_vgpr5
.LBB79_1591:
	s_mov_b32 s13, 0
.LBB79_1592:
	s_delay_alu instid0(SALU_CYCLE_1)
	s_and_b32 vcc_lo, exec_lo, s13
	s_cbranch_vccz .LBB79_1608
; %bb.1593:
	s_cmp_lt_i32 s1, 27
	s_cbranch_scc1 .LBB79_1596
; %bb.1594:
	s_cmp_gt_i32 s1, 27
	s_cbranch_scc0 .LBB79_1597
; %bb.1595:
	s_wait_loadcnt 0x0
	global_load_b32 v4, v[10:11], off
	v_mov_b32_e32 v5, 0
	s_mov_b32 s12, 0
	s_branch .LBB79_1598
.LBB79_1596:
	s_mov_b32 s12, -1
                                        ; implicit-def: $vgpr4_vgpr5
	s_branch .LBB79_1601
.LBB79_1597:
	s_mov_b32 s12, -1
                                        ; implicit-def: $vgpr4_vgpr5
.LBB79_1598:
	s_delay_alu instid0(SALU_CYCLE_1)
	s_and_not1_b32 vcc_lo, exec_lo, s12
	s_cbranch_vccnz .LBB79_1600
; %bb.1599:
	global_load_u16 v0, v[10:11], off
	s_mov_b32 s12, 0
	s_wait_loadcnt 0x1
	v_mov_b32_e32 v5, s12
	s_wait_loadcnt 0x0
	v_and_b32_e32 v4, 0xffff, v0
.LBB79_1600:
	s_mov_b32 s12, 0
.LBB79_1601:
	s_delay_alu instid0(SALU_CYCLE_1)
	s_and_not1_b32 vcc_lo, exec_lo, s12
	s_cbranch_vccnz .LBB79_1607
; %bb.1602:
	global_load_u8 v0, v[10:11], off
	s_mov_b32 s13, 0
	s_mov_b32 s12, exec_lo
	s_wait_loadcnt 0x0
	v_cmpx_lt_i16_e32 0x7f, v0
	s_xor_b32 s12, exec_lo, s12
	s_cbranch_execz .LBB79_1619
; %bb.1603:
	v_cmp_ne_u16_e32 vcc_lo, 0x80, v0
	s_and_b32 s13, vcc_lo, exec_lo
	s_and_not1_saveexec_b32 s12, s12
	s_cbranch_execnz .LBB79_1620
.LBB79_1604:
	s_or_b32 exec_lo, exec_lo, s12
	v_mov_b64_e32 v[4:5], 0
	s_and_saveexec_b32 s12, s13
	s_cbranch_execz .LBB79_1606
.LBB79_1605:
	v_and_b32_e32 v1, 0xffff, v0
	s_delay_alu instid0(VALU_DEP_1) | instskip(SKIP_1) | instid1(VALU_DEP_2)
	v_and_b32_e32 v3, 7, v1
	v_bfe_u32 v7, v1, 3, 4
	v_clz_i32_u32_e32 v4, v3
	s_delay_alu instid0(VALU_DEP_2) | instskip(NEXT) | instid1(VALU_DEP_2)
	v_cmp_eq_u32_e32 vcc_lo, 0, v7
	v_min_u32_e32 v4, 32, v4
	s_delay_alu instid0(VALU_DEP_1) | instskip(NEXT) | instid1(VALU_DEP_1)
	v_subrev_nc_u32_e32 v5, 28, v4
	v_dual_lshlrev_b32 v1, v5, v1 :: v_dual_sub_nc_u32 v4, 29, v4
	s_delay_alu instid0(VALU_DEP_1) | instskip(NEXT) | instid1(VALU_DEP_1)
	v_dual_lshlrev_b32 v0, 24, v0 :: v_dual_bitop2_b32 v1, 7, v1 bitop3:0x40
	v_cndmask_b32_e32 v1, v3, v1, vcc_lo
	s_delay_alu instid0(VALU_DEP_3) | instskip(NEXT) | instid1(VALU_DEP_3)
	v_cndmask_b32_e32 v4, v7, v4, vcc_lo
	v_and_b32_e32 v0, 0x80000000, v0
	s_delay_alu instid0(VALU_DEP_3) | instskip(NEXT) | instid1(VALU_DEP_3)
	v_lshlrev_b32_e32 v1, 20, v1
	v_lshl_add_u32 v3, v4, 23, 0x3b800000
	s_delay_alu instid0(VALU_DEP_1) | instskip(NEXT) | instid1(VALU_DEP_1)
	v_or3_b32 v0, v0, v3, v1
	v_trunc_f32_e32 v0, v0
	s_delay_alu instid0(VALU_DEP_1) | instskip(NEXT) | instid1(VALU_DEP_1)
	v_mul_f32_e64 v1, 0x2f800000, |v0|
	v_floor_f32_e32 v1, v1
	s_delay_alu instid0(VALU_DEP_1) | instskip(SKIP_2) | instid1(VALU_DEP_3)
	v_fma_f32 v3, 0xcf800000, v1, |v0|
	v_ashrrev_i32_e32 v0, 31, v0
	v_cvt_u32_f32_e32 v4, v1
	v_cvt_u32_f32_e32 v3, v3
	s_delay_alu instid0(VALU_DEP_3) | instskip(NEXT) | instid1(VALU_DEP_3)
	v_mov_b32_e32 v1, v0
	v_xor_b32_e32 v5, v4, v0
	s_delay_alu instid0(VALU_DEP_3) | instskip(NEXT) | instid1(VALU_DEP_1)
	v_xor_b32_e32 v4, v3, v0
	v_sub_nc_u64_e32 v[4:5], v[4:5], v[0:1]
.LBB79_1606:
	s_or_b32 exec_lo, exec_lo, s12
.LBB79_1607:
	s_mov_b32 s12, -1
.LBB79_1608:
	s_mov_b32 s13, 0
.LBB79_1609:
	s_delay_alu instid0(SALU_CYCLE_1)
	s_and_b32 vcc_lo, exec_lo, s13
	s_cbranch_vccz .LBB79_1640
; %bb.1610:
	s_cmp_gt_i32 s1, 22
	s_cbranch_scc0 .LBB79_1618
; %bb.1611:
	s_cmp_lt_i32 s1, 24
	s_cbranch_scc1 .LBB79_1621
; %bb.1612:
	s_cmp_gt_i32 s1, 24
	s_cbranch_scc0 .LBB79_1622
; %bb.1613:
	global_load_u8 v0, v[10:11], off
	s_mov_b32 s12, 0
	s_mov_b32 s7, exec_lo
	s_wait_loadcnt 0x0
	v_cmpx_lt_i16_e32 0x7f, v0
	s_xor_b32 s7, exec_lo, s7
	s_cbranch_execz .LBB79_1634
; %bb.1614:
	v_cmp_ne_u16_e32 vcc_lo, 0x80, v0
	s_and_b32 s12, vcc_lo, exec_lo
	s_and_not1_saveexec_b32 s7, s7
	s_cbranch_execnz .LBB79_1635
.LBB79_1615:
	s_or_b32 exec_lo, exec_lo, s7
	v_mov_b64_e32 v[4:5], 0
	s_and_saveexec_b32 s7, s12
	s_cbranch_execz .LBB79_1617
.LBB79_1616:
	v_and_b32_e32 v1, 0xffff, v0
	s_delay_alu instid0(VALU_DEP_1) | instskip(SKIP_1) | instid1(VALU_DEP_2)
	v_and_b32_e32 v3, 3, v1
	v_bfe_u32 v7, v1, 2, 5
	v_clz_i32_u32_e32 v4, v3
	s_delay_alu instid0(VALU_DEP_2) | instskip(NEXT) | instid1(VALU_DEP_2)
	v_cmp_eq_u32_e32 vcc_lo, 0, v7
	v_min_u32_e32 v4, 32, v4
	s_delay_alu instid0(VALU_DEP_1) | instskip(NEXT) | instid1(VALU_DEP_1)
	v_subrev_nc_u32_e32 v5, 29, v4
	v_dual_lshlrev_b32 v1, v5, v1 :: v_dual_sub_nc_u32 v4, 30, v4
	s_delay_alu instid0(VALU_DEP_1) | instskip(NEXT) | instid1(VALU_DEP_1)
	v_dual_lshlrev_b32 v0, 24, v0 :: v_dual_bitop2_b32 v1, 3, v1 bitop3:0x40
	v_cndmask_b32_e32 v1, v3, v1, vcc_lo
	s_delay_alu instid0(VALU_DEP_3) | instskip(NEXT) | instid1(VALU_DEP_3)
	v_cndmask_b32_e32 v4, v7, v4, vcc_lo
	v_and_b32_e32 v0, 0x80000000, v0
	s_delay_alu instid0(VALU_DEP_3) | instskip(NEXT) | instid1(VALU_DEP_3)
	v_lshlrev_b32_e32 v1, 21, v1
	v_lshl_add_u32 v3, v4, 23, 0x37800000
	s_delay_alu instid0(VALU_DEP_1) | instskip(NEXT) | instid1(VALU_DEP_1)
	v_or3_b32 v0, v0, v3, v1
	v_trunc_f32_e32 v0, v0
	s_delay_alu instid0(VALU_DEP_1) | instskip(NEXT) | instid1(VALU_DEP_1)
	v_mul_f32_e64 v1, 0x2f800000, |v0|
	v_floor_f32_e32 v1, v1
	s_delay_alu instid0(VALU_DEP_1) | instskip(SKIP_2) | instid1(VALU_DEP_3)
	v_fma_f32 v3, 0xcf800000, v1, |v0|
	v_ashrrev_i32_e32 v0, 31, v0
	v_cvt_u32_f32_e32 v4, v1
	v_cvt_u32_f32_e32 v3, v3
	s_delay_alu instid0(VALU_DEP_3) | instskip(NEXT) | instid1(VALU_DEP_3)
	v_mov_b32_e32 v1, v0
	v_xor_b32_e32 v5, v4, v0
	s_delay_alu instid0(VALU_DEP_3) | instskip(NEXT) | instid1(VALU_DEP_1)
	v_xor_b32_e32 v4, v3, v0
	v_sub_nc_u64_e32 v[4:5], v[4:5], v[0:1]
.LBB79_1617:
	s_or_b32 exec_lo, exec_lo, s7
	s_mov_b32 s7, 0
	s_branch .LBB79_1623
.LBB79_1618:
	s_mov_b32 s7, -1
                                        ; implicit-def: $vgpr4_vgpr5
	s_branch .LBB79_1629
.LBB79_1619:
	s_and_not1_saveexec_b32 s12, s12
	s_cbranch_execz .LBB79_1604
.LBB79_1620:
	v_cmp_ne_u16_e32 vcc_lo, 0, v0
	s_and_not1_b32 s13, s13, exec_lo
	s_and_b32 s14, vcc_lo, exec_lo
	s_delay_alu instid0(SALU_CYCLE_1)
	s_or_b32 s13, s13, s14
	s_or_b32 exec_lo, exec_lo, s12
	v_mov_b64_e32 v[4:5], 0
	s_and_saveexec_b32 s12, s13
	s_cbranch_execnz .LBB79_1605
	s_branch .LBB79_1606
.LBB79_1621:
	s_mov_b32 s7, -1
                                        ; implicit-def: $vgpr4_vgpr5
	s_branch .LBB79_1626
.LBB79_1622:
	s_mov_b32 s7, -1
                                        ; implicit-def: $vgpr4_vgpr5
.LBB79_1623:
	s_delay_alu instid0(SALU_CYCLE_1)
	s_and_b32 vcc_lo, exec_lo, s7
	s_cbranch_vccz .LBB79_1625
; %bb.1624:
	global_load_u8 v0, v[10:11], off
	s_wait_loadcnt 0x0
	v_lshlrev_b32_e32 v0, 24, v0
	s_delay_alu instid0(VALU_DEP_1) | instskip(NEXT) | instid1(VALU_DEP_1)
	v_and_b32_e32 v1, 0x7f000000, v0
	v_clz_i32_u32_e32 v3, v1
	v_add_nc_u32_e32 v5, 0x1000000, v1
	v_cmp_ne_u32_e32 vcc_lo, 0, v1
	s_delay_alu instid0(VALU_DEP_3) | instskip(NEXT) | instid1(VALU_DEP_1)
	v_min_u32_e32 v3, 32, v3
	v_sub_nc_u32_e64 v3, v3, 4 clamp
	s_delay_alu instid0(VALU_DEP_1) | instskip(NEXT) | instid1(VALU_DEP_1)
	v_dual_lshlrev_b32 v4, v3, v1 :: v_dual_lshlrev_b32 v3, 23, v3
	v_lshrrev_b32_e32 v4, 4, v4
	s_delay_alu instid0(VALU_DEP_1) | instskip(NEXT) | instid1(VALU_DEP_1)
	v_dual_sub_nc_u32 v3, v4, v3 :: v_dual_ashrrev_i32 v4, 8, v5
	v_add_nc_u32_e32 v3, 0x3c000000, v3
	s_delay_alu instid0(VALU_DEP_1) | instskip(NEXT) | instid1(VALU_DEP_1)
	v_and_or_b32 v3, 0x7f800000, v4, v3
	v_cndmask_b32_e32 v1, 0, v3, vcc_lo
	s_delay_alu instid0(VALU_DEP_1) | instskip(NEXT) | instid1(VALU_DEP_1)
	v_and_or_b32 v0, 0x80000000, v0, v1
	v_trunc_f32_e32 v0, v0
	s_delay_alu instid0(VALU_DEP_1) | instskip(NEXT) | instid1(VALU_DEP_1)
	v_mul_f32_e64 v1, 0x2f800000, |v0|
	v_floor_f32_e32 v1, v1
	s_delay_alu instid0(VALU_DEP_1) | instskip(SKIP_2) | instid1(VALU_DEP_3)
	v_fma_f32 v3, 0xcf800000, v1, |v0|
	v_ashrrev_i32_e32 v0, 31, v0
	v_cvt_u32_f32_e32 v4, v1
	v_cvt_u32_f32_e32 v3, v3
	s_delay_alu instid0(VALU_DEP_3) | instskip(NEXT) | instid1(VALU_DEP_3)
	v_mov_b32_e32 v1, v0
	v_xor_b32_e32 v5, v4, v0
	s_delay_alu instid0(VALU_DEP_3) | instskip(NEXT) | instid1(VALU_DEP_1)
	v_xor_b32_e32 v4, v3, v0
	v_sub_nc_u64_e32 v[4:5], v[4:5], v[0:1]
.LBB79_1625:
	s_mov_b32 s7, 0
.LBB79_1626:
	s_delay_alu instid0(SALU_CYCLE_1)
	s_and_not1_b32 vcc_lo, exec_lo, s7
	s_cbranch_vccnz .LBB79_1628
; %bb.1627:
	global_load_u8 v0, v[10:11], off
	s_wait_loadcnt 0x0
	v_lshlrev_b32_e32 v1, 25, v0
	v_lshlrev_b16 v0, 8, v0
	s_delay_alu instid0(VALU_DEP_2) | instskip(NEXT) | instid1(VALU_DEP_2)
	v_cmp_gt_u32_e32 vcc_lo, 0x8000000, v1
	v_and_or_b32 v4, 0x7f00, v0, 0.5
	v_lshrrev_b32_e32 v3, 4, v1
	v_bfe_i32 v0, v0, 0, 16
	s_delay_alu instid0(VALU_DEP_3) | instskip(NEXT) | instid1(VALU_DEP_3)
	v_add_f32_e32 v4, -0.5, v4
	v_or_b32_e32 v3, 0x70000000, v3
	s_delay_alu instid0(VALU_DEP_1) | instskip(NEXT) | instid1(VALU_DEP_1)
	v_mul_f32_e32 v3, 0x7800000, v3
	v_cndmask_b32_e32 v1, v3, v4, vcc_lo
	s_delay_alu instid0(VALU_DEP_1) | instskip(NEXT) | instid1(VALU_DEP_1)
	v_and_or_b32 v0, 0x80000000, v0, v1
	v_trunc_f32_e32 v0, v0
	s_delay_alu instid0(VALU_DEP_1) | instskip(NEXT) | instid1(VALU_DEP_1)
	v_mul_f32_e64 v1, 0x2f800000, |v0|
	v_floor_f32_e32 v1, v1
	s_delay_alu instid0(VALU_DEP_1) | instskip(SKIP_2) | instid1(VALU_DEP_3)
	v_fma_f32 v3, 0xcf800000, v1, |v0|
	v_ashrrev_i32_e32 v0, 31, v0
	v_cvt_u32_f32_e32 v4, v1
	v_cvt_u32_f32_e32 v3, v3
	s_delay_alu instid0(VALU_DEP_3) | instskip(NEXT) | instid1(VALU_DEP_3)
	v_mov_b32_e32 v1, v0
	v_xor_b32_e32 v5, v4, v0
	s_delay_alu instid0(VALU_DEP_3) | instskip(NEXT) | instid1(VALU_DEP_1)
	v_xor_b32_e32 v4, v3, v0
	v_sub_nc_u64_e32 v[4:5], v[4:5], v[0:1]
.LBB79_1628:
	s_mov_b32 s7, 0
	s_mov_b32 s12, -1
.LBB79_1629:
	s_and_not1_b32 vcc_lo, exec_lo, s7
	s_mov_b32 s7, 0
	s_cbranch_vccnz .LBB79_1640
; %bb.1630:
	s_cmp_gt_i32 s1, 14
	s_cbranch_scc0 .LBB79_1633
; %bb.1631:
	s_cmp_eq_u32 s1, 15
	s_cbranch_scc0 .LBB79_1636
; %bb.1632:
	global_load_u16 v0, v[10:11], off
	s_mov_b32 s6, 0
	s_mov_b32 s12, -1
	s_wait_loadcnt 0x0
	v_lshlrev_b32_e32 v0, 16, v0
	s_delay_alu instid0(VALU_DEP_1) | instskip(NEXT) | instid1(VALU_DEP_1)
	v_trunc_f32_e32 v0, v0
	v_mul_f32_e64 v1, 0x2f800000, |v0|
	s_delay_alu instid0(VALU_DEP_1) | instskip(NEXT) | instid1(VALU_DEP_1)
	v_floor_f32_e32 v1, v1
	v_fma_f32 v3, 0xcf800000, v1, |v0|
	v_ashrrev_i32_e32 v0, 31, v0
	v_cvt_u32_f32_e32 v4, v1
	s_delay_alu instid0(VALU_DEP_3) | instskip(NEXT) | instid1(VALU_DEP_3)
	v_cvt_u32_f32_e32 v3, v3
	v_mov_b32_e32 v1, v0
	s_delay_alu instid0(VALU_DEP_3) | instskip(NEXT) | instid1(VALU_DEP_3)
	v_xor_b32_e32 v5, v4, v0
	v_xor_b32_e32 v4, v3, v0
	s_delay_alu instid0(VALU_DEP_1)
	v_sub_nc_u64_e32 v[4:5], v[4:5], v[0:1]
	s_branch .LBB79_1638
.LBB79_1633:
	s_mov_b32 s7, -1
	s_branch .LBB79_1637
.LBB79_1634:
	s_and_not1_saveexec_b32 s7, s7
	s_cbranch_execz .LBB79_1615
.LBB79_1635:
	v_cmp_ne_u16_e32 vcc_lo, 0, v0
	s_and_not1_b32 s12, s12, exec_lo
	s_and_b32 s13, vcc_lo, exec_lo
	s_delay_alu instid0(SALU_CYCLE_1)
	s_or_b32 s12, s12, s13
	s_or_b32 exec_lo, exec_lo, s7
	v_mov_b64_e32 v[4:5], 0
	s_and_saveexec_b32 s7, s12
	s_cbranch_execnz .LBB79_1616
	s_branch .LBB79_1617
.LBB79_1636:
	s_mov_b32 s6, -1
.LBB79_1637:
                                        ; implicit-def: $vgpr4_vgpr5
.LBB79_1638:
	s_and_b32 vcc_lo, exec_lo, s7
	s_mov_b32 s7, 0
	s_cbranch_vccz .LBB79_1640
; %bb.1639:
	s_cmp_lg_u32 s1, 11
	s_mov_b32 s7, -1
	s_cselect_b32 s1, -1, 0
	s_and_not1_b32 s6, s6, exec_lo
	s_and_b32 s1, s1, exec_lo
	s_delay_alu instid0(SALU_CYCLE_1)
	s_or_b32 s6, s6, s1
.LBB79_1640:
	s_mov_b32 s1, 0
.LBB79_1641:
	s_delay_alu instid0(SALU_CYCLE_1)
	s_and_b32 s36, s1, exec_lo
	s_and_not1_b32 s1, s60, exec_lo
	s_and_b32 s6, s6, exec_lo
	s_and_b32 s34, s12, exec_lo
	s_and_b32 s35, s7, exec_lo
	s_or_b32 s37, s1, s6
.LBB79_1642:
	s_wait_xcnt 0x0
	s_or_b32 exec_lo, exec_lo, s47
	s_delay_alu instid0(SALU_CYCLE_1)
	s_and_not1_b32 s1, s60, exec_lo
	s_and_b32 s6, s37, exec_lo
	s_and_b32 s34, s34, exec_lo
	;; [unrolled: 1-line block ×4, first 2 shown]
	s_or_b32 s60, s1, s6
.LBB79_1643:
	s_or_b32 exec_lo, exec_lo, s59
	s_delay_alu instid0(SALU_CYCLE_1)
	s_and_not1_b32 s1, s55, exec_lo
	s_and_b32 s6, s63, exec_lo
	s_and_not1_b32 s7, s57, exec_lo
	s_or_b32 s55, s1, s6
	s_and_not1_b32 s1, s56, exec_lo
	s_and_b32 s6, s61, exec_lo
	s_and_b32 s12, s62, exec_lo
	s_or_b32 s56, s1, s6
	s_and_not1_b32 s1, s54, exec_lo
	s_and_b32 s6, s60, exec_lo
	s_or_b32 s57, s7, s12
	s_and_b32 s34, s34, exec_lo
	s_and_b32 s36, s36, exec_lo
	;; [unrolled: 1-line block ×3, first 2 shown]
	s_or_b32 s54, s1, s6
.LBB79_1644:
	s_or_b32 exec_lo, exec_lo, s58
	s_delay_alu instid0(SALU_CYCLE_1)
	s_and_not1_b32 s1, s48, exec_lo
	s_and_b32 s6, s55, exec_lo
	s_and_not1_b32 s7, s51, exec_lo
	s_or_b32 s48, s1, s6
	s_and_not1_b32 s1, s50, exec_lo
	s_and_b32 s6, s56, exec_lo
	s_and_b32 s12, s57, exec_lo
	s_or_b32 s50, s1, s6
	s_and_not1_b32 s1, s52, exec_lo
	s_and_b32 s6, s54, exec_lo
	s_or_b32 s51, s7, s12
	s_and_b32 s34, s34, exec_lo
	s_and_b32 s36, s36, exec_lo
	;; [unrolled: 1-line block ×3, first 2 shown]
	s_or_b32 s52, s1, s6
	s_or_b32 exec_lo, exec_lo, s53
	s_mov_b32 s1, 0
	s_and_saveexec_b32 s6, s52
	s_cbranch_execz .LBB79_520
.LBB79_1645:
	s_mov_b32 s1, exec_lo
	s_and_not1_b32 s29, s29, exec_lo
	s_trap 2
	s_or_b32 exec_lo, exec_lo, s6
	s_and_saveexec_b32 s6, s29
	s_delay_alu instid0(SALU_CYCLE_1)
	s_xor_b32 s6, exec_lo, s6
	s_cbranch_execnz .LBB79_521
.LBB79_1646:
	s_or_b32 exec_lo, exec_lo, s6
	s_and_saveexec_b32 s6, s36
	s_cbranch_execz .LBB79_1692
.LBB79_1647:
	s_sext_i32_i16 s7, s0
	s_delay_alu instid0(SALU_CYCLE_1)
	s_cmp_lt_i32 s7, 5
	s_cbranch_scc1 .LBB79_1652
; %bb.1648:
	s_cmp_lt_i32 s7, 8
	s_cbranch_scc1 .LBB79_1653
; %bb.1649:
	s_cmp_lt_i32 s7, 9
	s_cbranch_scc1 .LBB79_1654
; %bb.1650:
	s_cmp_gt_i32 s7, 9
	s_cbranch_scc0 .LBB79_1655
; %bb.1651:
	s_wait_loadcnt 0x0
	global_load_b64 v[0:1], v[10:11], off
	s_mov_b32 s7, 0
	s_wait_loadcnt 0x0
	v_trunc_f64_e32 v[0:1], v[0:1]
	s_delay_alu instid0(VALU_DEP_1) | instskip(NEXT) | instid1(VALU_DEP_1)
	v_ldexp_f64 v[4:5], v[0:1], 0xffffffe0
	v_floor_f64_e32 v[4:5], v[4:5]
	s_delay_alu instid0(VALU_DEP_1) | instskip(SKIP_1) | instid1(VALU_DEP_2)
	v_fmamk_f64 v[0:1], v[4:5], 0xc1f00000, v[0:1]
	v_cvt_i32_f64_e32 v5, v[4:5]
	v_cvt_u32_f64_e32 v4, v[0:1]
	s_branch .LBB79_1656
.LBB79_1652:
                                        ; implicit-def: $vgpr4_vgpr5
	s_branch .LBB79_1673
.LBB79_1653:
                                        ; implicit-def: $vgpr4_vgpr5
	s_branch .LBB79_1662
.LBB79_1654:
	s_mov_b32 s7, -1
                                        ; implicit-def: $vgpr4_vgpr5
	s_branch .LBB79_1659
.LBB79_1655:
	s_mov_b32 s7, -1
                                        ; implicit-def: $vgpr4_vgpr5
.LBB79_1656:
	s_delay_alu instid0(SALU_CYCLE_1)
	s_and_not1_b32 vcc_lo, exec_lo, s7
	s_cbranch_vccnz .LBB79_1658
; %bb.1657:
	s_wait_loadcnt 0x0
	global_load_b32 v0, v[10:11], off
	s_wait_loadcnt 0x0
	v_trunc_f32_e32 v0, v0
	s_delay_alu instid0(VALU_DEP_1) | instskip(NEXT) | instid1(VALU_DEP_1)
	v_mul_f32_e64 v1, 0x2f800000, |v0|
	v_floor_f32_e32 v1, v1
	s_delay_alu instid0(VALU_DEP_1) | instskip(SKIP_2) | instid1(VALU_DEP_3)
	v_fma_f32 v3, 0xcf800000, v1, |v0|
	v_ashrrev_i32_e32 v0, 31, v0
	v_cvt_u32_f32_e32 v4, v1
	v_cvt_u32_f32_e32 v3, v3
	s_delay_alu instid0(VALU_DEP_3) | instskip(NEXT) | instid1(VALU_DEP_3)
	v_mov_b32_e32 v1, v0
	v_xor_b32_e32 v5, v4, v0
	s_delay_alu instid0(VALU_DEP_3) | instskip(NEXT) | instid1(VALU_DEP_1)
	v_xor_b32_e32 v4, v3, v0
	v_sub_nc_u64_e32 v[4:5], v[4:5], v[0:1]
.LBB79_1658:
	s_mov_b32 s7, 0
.LBB79_1659:
	s_delay_alu instid0(SALU_CYCLE_1)
	s_and_not1_b32 vcc_lo, exec_lo, s7
	s_cbranch_vccnz .LBB79_1661
; %bb.1660:
	s_wait_loadcnt 0x0
	global_load_b32 v0, v[10:11], off
	s_wait_loadcnt 0x0
	v_cvt_f32_f16_e32 v0, v0
	s_delay_alu instid0(VALU_DEP_1) | instskip(NEXT) | instid1(VALU_DEP_1)
	v_cvt_i32_f32_e32 v4, v0
	v_ashrrev_i32_e32 v5, 31, v4
.LBB79_1661:
	s_cbranch_execnz .LBB79_1672
.LBB79_1662:
	s_sext_i32_i16 s7, s0
	s_delay_alu instid0(SALU_CYCLE_1)
	s_cmp_lt_i32 s7, 6
	s_cbranch_scc1 .LBB79_1665
; %bb.1663:
	s_cmp_gt_i32 s7, 6
	s_cbranch_scc0 .LBB79_1666
; %bb.1664:
	s_wait_loadcnt 0x0
	global_load_b64 v[0:1], v[10:11], off
	s_mov_b32 s7, 0
	s_wait_loadcnt 0x0
	v_trunc_f64_e32 v[0:1], v[0:1]
	s_delay_alu instid0(VALU_DEP_1) | instskip(NEXT) | instid1(VALU_DEP_1)
	v_ldexp_f64 v[4:5], v[0:1], 0xffffffe0
	v_floor_f64_e32 v[4:5], v[4:5]
	s_delay_alu instid0(VALU_DEP_1) | instskip(SKIP_1) | instid1(VALU_DEP_2)
	v_fmamk_f64 v[0:1], v[4:5], 0xc1f00000, v[0:1]
	v_cvt_i32_f64_e32 v5, v[4:5]
	v_cvt_u32_f64_e32 v4, v[0:1]
	s_branch .LBB79_1667
.LBB79_1665:
	s_mov_b32 s7, -1
                                        ; implicit-def: $vgpr4_vgpr5
	s_branch .LBB79_1670
.LBB79_1666:
	s_mov_b32 s7, -1
                                        ; implicit-def: $vgpr4_vgpr5
.LBB79_1667:
	s_delay_alu instid0(SALU_CYCLE_1)
	s_and_not1_b32 vcc_lo, exec_lo, s7
	s_cbranch_vccnz .LBB79_1669
; %bb.1668:
	s_wait_loadcnt 0x0
	global_load_b32 v0, v[10:11], off
	s_wait_loadcnt 0x0
	v_trunc_f32_e32 v0, v0
	s_delay_alu instid0(VALU_DEP_1) | instskip(NEXT) | instid1(VALU_DEP_1)
	v_mul_f32_e64 v1, 0x2f800000, |v0|
	v_floor_f32_e32 v1, v1
	s_delay_alu instid0(VALU_DEP_1) | instskip(SKIP_2) | instid1(VALU_DEP_3)
	v_fma_f32 v3, 0xcf800000, v1, |v0|
	v_ashrrev_i32_e32 v0, 31, v0
	v_cvt_u32_f32_e32 v4, v1
	v_cvt_u32_f32_e32 v3, v3
	s_delay_alu instid0(VALU_DEP_3) | instskip(NEXT) | instid1(VALU_DEP_3)
	v_mov_b32_e32 v1, v0
	v_xor_b32_e32 v5, v4, v0
	s_delay_alu instid0(VALU_DEP_3) | instskip(NEXT) | instid1(VALU_DEP_1)
	v_xor_b32_e32 v4, v3, v0
	v_sub_nc_u64_e32 v[4:5], v[4:5], v[0:1]
.LBB79_1669:
	s_mov_b32 s7, 0
.LBB79_1670:
	s_delay_alu instid0(SALU_CYCLE_1)
	s_and_not1_b32 vcc_lo, exec_lo, s7
	s_cbranch_vccnz .LBB79_1672
; %bb.1671:
	s_wait_loadcnt 0x0
	global_load_u16 v0, v[10:11], off
	s_wait_loadcnt 0x0
	v_cvt_f32_f16_e32 v0, v0
	s_delay_alu instid0(VALU_DEP_1) | instskip(NEXT) | instid1(VALU_DEP_1)
	v_cvt_i32_f32_e32 v4, v0
	v_ashrrev_i32_e32 v5, 31, v4
.LBB79_1672:
	s_cbranch_execnz .LBB79_1691
.LBB79_1673:
	s_sext_i32_i16 s7, s0
	s_delay_alu instid0(SALU_CYCLE_1)
	s_cmp_lt_i32 s7, 2
	s_cbranch_scc1 .LBB79_1677
; %bb.1674:
	s_cmp_lt_i32 s7, 3
	s_cbranch_scc1 .LBB79_1678
; %bb.1675:
	s_cmp_gt_i32 s7, 3
	s_cbranch_scc0 .LBB79_1679
; %bb.1676:
	s_wait_loadcnt 0x0
	global_load_b64 v[4:5], v[10:11], off
	s_mov_b32 s7, 0
	s_branch .LBB79_1680
.LBB79_1677:
                                        ; implicit-def: $vgpr4_vgpr5
	s_branch .LBB79_1686
.LBB79_1678:
	s_mov_b32 s7, -1
                                        ; implicit-def: $vgpr4_vgpr5
	s_branch .LBB79_1683
.LBB79_1679:
	s_mov_b32 s7, -1
                                        ; implicit-def: $vgpr4_vgpr5
.LBB79_1680:
	s_delay_alu instid0(SALU_CYCLE_1)
	s_and_not1_b32 vcc_lo, exec_lo, s7
	s_cbranch_vccnz .LBB79_1682
; %bb.1681:
	s_wait_loadcnt 0x0
	global_load_b32 v4, v[10:11], off
	s_wait_loadcnt 0x0
	v_ashrrev_i32_e32 v5, 31, v4
.LBB79_1682:
	s_mov_b32 s7, 0
.LBB79_1683:
	s_delay_alu instid0(SALU_CYCLE_1)
	s_and_not1_b32 vcc_lo, exec_lo, s7
	s_cbranch_vccnz .LBB79_1685
; %bb.1684:
	s_wait_loadcnt 0x0
	global_load_u16 v0, v[10:11], off
	s_wait_loadcnt 0x0
	v_bfe_i32 v4, v0, 0, 16
	s_delay_alu instid0(VALU_DEP_1)
	v_ashrrev_i32_e32 v5, 31, v4
.LBB79_1685:
	s_cbranch_execnz .LBB79_1691
.LBB79_1686:
	s_sext_i32_i16 s0, s0
	s_delay_alu instid0(SALU_CYCLE_1)
	s_cmp_gt_i32 s0, 0
	s_mov_b32 s0, 0
	s_cbranch_scc0 .LBB79_1688
; %bb.1687:
	s_wait_loadcnt 0x0
	global_load_i8 v0, v[10:11], off
	s_wait_loadcnt 0x0
	v_bfe_i32 v4, v0, 0, 16
	s_delay_alu instid0(VALU_DEP_1)
	v_ashrrev_i32_e32 v5, 31, v4
	s_branch .LBB79_1689
.LBB79_1688:
	s_mov_b32 s0, -1
                                        ; implicit-def: $vgpr4_vgpr5
.LBB79_1689:
	s_delay_alu instid0(SALU_CYCLE_1)
	s_and_not1_b32 vcc_lo, exec_lo, s0
	s_cbranch_vccnz .LBB79_1691
; %bb.1690:
	s_wait_loadcnt 0x0
	global_load_u8 v0, v[10:11], off
	s_mov_b32 s0, 0
	s_delay_alu instid0(SALU_CYCLE_1)
	v_mov_b32_e32 v5, s0
	s_wait_loadcnt 0x0
	v_and_b32_e32 v4, 0xffff, v0
.LBB79_1691:
	s_or_b32 s34, s34, exec_lo
.LBB79_1692:
	s_wait_xcnt 0x0
	s_or_b32 exec_lo, exec_lo, s6
	s_mov_b32 s13, 0
	s_mov_b32 s12, 0
	;; [unrolled: 1-line block ×3, first 2 shown]
                                        ; implicit-def: $sgpr0
                                        ; implicit-def: $vgpr10_vgpr11
                                        ; implicit-def: $vgpr0_vgpr1
	s_and_saveexec_b32 s6, s34
	s_cbranch_execz .LBB79_1700
; %bb.1693:
	s_wait_loadcnt 0x0
	v_mov_b32_e32 v9, 0
	s_and_b32 s0, s43, 0xff
	s_delay_alu instid0(SALU_CYCLE_1) | instskip(NEXT) | instid1(VALU_DEP_1)
	s_cmp_lt_i32 s0, 11
	v_add_nc_u64_e32 v[10:11], s[8:9], v[8:9]
	s_cbranch_scc1 .LBB79_1703
; %bb.1694:
	s_and_b32 s7, 0xffff, s0
	s_mov_b32 s9, 0
	s_cmp_gt_i32 s7, 25
	s_cbranch_scc0 .LBB79_1704
; %bb.1695:
	s_cmp_gt_i32 s7, 28
	s_cbranch_scc0 .LBB79_1705
; %bb.1696:
	s_cmp_gt_i32 s7, 43
	s_cbranch_scc0 .LBB79_1706
; %bb.1697:
	s_cmp_gt_i32 s7, 45
	s_cbranch_scc0 .LBB79_1707
; %bb.1698:
	s_cmp_eq_u32 s7, 46
	s_cbranch_scc0 .LBB79_1708
; %bb.1699:
	global_load_b32 v0, v[10:11], off
	s_mov_b32 s8, 0
	s_mov_b32 s12, -1
	s_wait_loadcnt 0x0
	v_lshlrev_b32_e32 v0, 16, v0
	s_delay_alu instid0(VALU_DEP_1) | instskip(NEXT) | instid1(VALU_DEP_1)
	v_trunc_f32_e32 v0, v0
	v_mul_f32_e64 v1, 0x2f800000, |v0|
	s_delay_alu instid0(VALU_DEP_1) | instskip(NEXT) | instid1(VALU_DEP_1)
	v_floor_f32_e32 v1, v1
	v_fma_f32 v3, 0xcf800000, v1, |v0|
	v_ashrrev_i32_e32 v0, 31, v0
	v_cvt_u32_f32_e32 v7, v1
	s_delay_alu instid0(VALU_DEP_3) | instskip(NEXT) | instid1(VALU_DEP_2)
	v_cvt_u32_f32_e32 v3, v3
	v_dual_mov_b32 v1, v0 :: v_dual_bitop2_b32 v9, v7, v0 bitop3:0x14
	s_delay_alu instid0(VALU_DEP_2) | instskip(NEXT) | instid1(VALU_DEP_1)
	v_xor_b32_e32 v8, v3, v0
	v_sub_nc_u64_e32 v[0:1], v[8:9], v[0:1]
	s_branch .LBB79_1710
.LBB79_1700:
	s_or_b32 exec_lo, exec_lo, s6
	s_and_saveexec_b32 s6, s51
	s_cbranch_execnz .LBB79_1769
.LBB79_1701:
	s_or_b32 exec_lo, exec_lo, s6
	s_and_saveexec_b32 s6, s13
	s_delay_alu instid0(SALU_CYCLE_1)
	s_xor_b32 s6, exec_lo, s6
	s_cbranch_execz .LBB79_1770
.LBB79_1702:
	s_wait_loadcnt 0x0
	global_load_u8 v0, v[10:11], off
	s_mov_b32 s8, 0
	s_or_b32 s7, s7, exec_lo
	v_mov_b32_e32 v1, s8
	s_wait_loadcnt 0x0
	v_cmp_ne_u16_e32 vcc_lo, 0, v0
	v_cndmask_b32_e64 v0, 0, 1, vcc_lo
	s_wait_xcnt 0x0
	s_or_b32 exec_lo, exec_lo, s6
	s_and_saveexec_b32 s6, s12
	s_cbranch_execz .LBB79_1816
	s_branch .LBB79_1771
.LBB79_1703:
	s_mov_b32 s13, -1
	s_mov_b32 s9, 0
	s_mov_b32 s8, s51
                                        ; implicit-def: $vgpr0_vgpr1
	s_branch .LBB79_1768
.LBB79_1704:
	s_mov_b32 s8, s51
                                        ; implicit-def: $vgpr0_vgpr1
	s_cbranch_execnz .LBB79_1737
	s_branch .LBB79_1767
.LBB79_1705:
	s_mov_b32 s13, -1
	s_mov_b32 s8, s51
                                        ; implicit-def: $vgpr0_vgpr1
	s_branch .LBB79_1720
.LBB79_1706:
	s_mov_b32 s13, -1
	s_mov_b32 s8, s51
                                        ; implicit-def: $vgpr0_vgpr1
	s_branch .LBB79_1715
.LBB79_1707:
	s_mov_b32 s13, -1
	s_mov_b32 s8, s51
	s_branch .LBB79_1709
.LBB79_1708:
	s_mov_b32 s8, -1
.LBB79_1709:
                                        ; implicit-def: $vgpr0_vgpr1
.LBB79_1710:
	s_and_b32 vcc_lo, exec_lo, s13
	s_cbranch_vccz .LBB79_1714
; %bb.1711:
	s_cmp_eq_u32 s7, 44
	s_cbranch_scc0 .LBB79_1713
; %bb.1712:
	global_load_u8 v3, v[10:11], off
	s_mov_b32 s8, 0
	s_mov_b32 s12, -1
	s_wait_loadcnt 0x0
	v_cmp_ne_u32_e32 vcc_lo, 0, v3
	v_lshlrev_b32_e32 v0, 23, v3
	s_delay_alu instid0(VALU_DEP_1) | instskip(NEXT) | instid1(VALU_DEP_1)
	v_trunc_f32_e32 v0, v0
	v_mul_f32_e64 v1, 0x2f800000, |v0|
	s_delay_alu instid0(VALU_DEP_1) | instskip(NEXT) | instid1(VALU_DEP_1)
	v_floor_f32_e32 v1, v1
	v_fma_f32 v7, 0xcf800000, v1, |v0|
	v_ashrrev_i32_e32 v0, 31, v0
	v_cvt_u32_f32_e32 v8, v1
	s_delay_alu instid0(VALU_DEP_3) | instskip(NEXT) | instid1(VALU_DEP_3)
	v_cvt_u32_f32_e32 v7, v7
	v_mov_b32_e32 v1, v0
	s_delay_alu instid0(VALU_DEP_3) | instskip(NEXT) | instid1(VALU_DEP_3)
	v_xor_b32_e32 v9, v8, v0
	v_xor_b32_e32 v8, v7, v0
	s_delay_alu instid0(VALU_DEP_1) | instskip(NEXT) | instid1(VALU_DEP_1)
	v_sub_nc_u64_e32 v[0:1], v[8:9], v[0:1]
	v_dual_cndmask_b32 v1, 0, v1 :: v_dual_cndmask_b32 v0, 0, v0
	s_branch .LBB79_1714
.LBB79_1713:
	s_mov_b32 s8, -1
                                        ; implicit-def: $vgpr0_vgpr1
.LBB79_1714:
	s_mov_b32 s13, 0
.LBB79_1715:
	s_delay_alu instid0(SALU_CYCLE_1)
	s_and_b32 vcc_lo, exec_lo, s13
	s_cbranch_vccz .LBB79_1719
; %bb.1716:
	s_cmp_eq_u32 s7, 29
	s_cbranch_scc0 .LBB79_1718
; %bb.1717:
	global_load_b64 v[0:1], v[10:11], off
	s_mov_b32 s8, 0
	s_mov_b32 s12, -1
	s_branch .LBB79_1719
.LBB79_1718:
	s_mov_b32 s8, -1
                                        ; implicit-def: $vgpr0_vgpr1
.LBB79_1719:
	s_mov_b32 s13, 0
.LBB79_1720:
	s_delay_alu instid0(SALU_CYCLE_1)
	s_and_b32 vcc_lo, exec_lo, s13
	s_cbranch_vccz .LBB79_1736
; %bb.1721:
	s_cmp_lt_i32 s7, 27
	s_cbranch_scc1 .LBB79_1724
; %bb.1722:
	s_cmp_gt_i32 s7, 27
	s_cbranch_scc0 .LBB79_1725
; %bb.1723:
	s_wait_loadcnt 0x0
	global_load_b32 v0, v[10:11], off
	v_mov_b32_e32 v1, 0
	s_mov_b32 s12, 0
	s_branch .LBB79_1726
.LBB79_1724:
	s_mov_b32 s12, -1
                                        ; implicit-def: $vgpr0_vgpr1
	s_branch .LBB79_1729
.LBB79_1725:
	s_mov_b32 s12, -1
                                        ; implicit-def: $vgpr0_vgpr1
.LBB79_1726:
	s_delay_alu instid0(SALU_CYCLE_1)
	s_and_not1_b32 vcc_lo, exec_lo, s12
	s_cbranch_vccnz .LBB79_1728
; %bb.1727:
	s_wait_loadcnt 0x0
	global_load_u16 v0, v[10:11], off
	s_mov_b32 s12, 0
	s_delay_alu instid0(SALU_CYCLE_1)
	v_mov_b32_e32 v1, s12
	s_wait_loadcnt 0x0
	v_and_b32_e32 v0, 0xffff, v0
.LBB79_1728:
	s_mov_b32 s12, 0
.LBB79_1729:
	s_delay_alu instid0(SALU_CYCLE_1)
	s_and_not1_b32 vcc_lo, exec_lo, s12
	s_cbranch_vccnz .LBB79_1735
; %bb.1730:
	global_load_u8 v3, v[10:11], off
	s_mov_b32 s13, 0
	s_mov_b32 s12, exec_lo
	s_wait_loadcnt 0x0
	v_cmpx_lt_i16_e32 0x7f, v3
	s_xor_b32 s12, exec_lo, s12
	s_cbranch_execz .LBB79_1746
; %bb.1731:
	v_cmp_ne_u16_e32 vcc_lo, 0x80, v3
	s_and_b32 s13, vcc_lo, exec_lo
	s_and_not1_saveexec_b32 s12, s12
	s_cbranch_execnz .LBB79_1747
.LBB79_1732:
	s_or_b32 exec_lo, exec_lo, s12
	v_mov_b64_e32 v[0:1], 0
	s_and_saveexec_b32 s12, s13
	s_cbranch_execz .LBB79_1734
.LBB79_1733:
	v_and_b32_e32 v0, 0xffff, v3
	s_delay_alu instid0(VALU_DEP_1) | instskip(SKIP_1) | instid1(VALU_DEP_2)
	v_and_b32_e32 v1, 7, v0
	v_bfe_u32 v9, v0, 3, 4
	v_clz_i32_u32_e32 v7, v1
	s_delay_alu instid0(VALU_DEP_2) | instskip(NEXT) | instid1(VALU_DEP_2)
	v_cmp_eq_u32_e32 vcc_lo, 0, v9
	v_min_u32_e32 v7, 32, v7
	s_delay_alu instid0(VALU_DEP_1) | instskip(NEXT) | instid1(VALU_DEP_1)
	v_subrev_nc_u32_e32 v8, 28, v7
	v_dual_lshlrev_b32 v0, v8, v0 :: v_dual_sub_nc_u32 v7, 29, v7
	s_delay_alu instid0(VALU_DEP_1) | instskip(NEXT) | instid1(VALU_DEP_1)
	v_dual_lshlrev_b32 v3, 24, v3 :: v_dual_bitop2_b32 v0, 7, v0 bitop3:0x40
	v_cndmask_b32_e32 v0, v1, v0, vcc_lo
	s_delay_alu instid0(VALU_DEP_3) | instskip(NEXT) | instid1(VALU_DEP_3)
	v_cndmask_b32_e32 v7, v9, v7, vcc_lo
	v_and_b32_e32 v1, 0x80000000, v3
	s_delay_alu instid0(VALU_DEP_3) | instskip(NEXT) | instid1(VALU_DEP_3)
	v_lshlrev_b32_e32 v0, 20, v0
	v_lshl_add_u32 v3, v7, 23, 0x3b800000
	s_delay_alu instid0(VALU_DEP_1) | instskip(NEXT) | instid1(VALU_DEP_1)
	v_or3_b32 v0, v1, v3, v0
	v_trunc_f32_e32 v0, v0
	s_delay_alu instid0(VALU_DEP_1) | instskip(NEXT) | instid1(VALU_DEP_1)
	v_mul_f32_e64 v1, 0x2f800000, |v0|
	v_floor_f32_e32 v1, v1
	s_delay_alu instid0(VALU_DEP_1) | instskip(SKIP_2) | instid1(VALU_DEP_3)
	v_fma_f32 v3, 0xcf800000, v1, |v0|
	v_ashrrev_i32_e32 v0, 31, v0
	v_cvt_u32_f32_e32 v7, v1
	v_cvt_u32_f32_e32 v3, v3
	s_delay_alu instid0(VALU_DEP_2) | instskip(NEXT) | instid1(VALU_DEP_2)
	v_dual_mov_b32 v1, v0 :: v_dual_bitop2_b32 v9, v7, v0 bitop3:0x14
	v_xor_b32_e32 v8, v3, v0
	s_delay_alu instid0(VALU_DEP_1)
	v_sub_nc_u64_e32 v[0:1], v[8:9], v[0:1]
.LBB79_1734:
	s_or_b32 exec_lo, exec_lo, s12
.LBB79_1735:
	s_mov_b32 s12, -1
.LBB79_1736:
	s_branch .LBB79_1767
.LBB79_1737:
	s_cmp_gt_i32 s7, 22
	s_cbranch_scc0 .LBB79_1745
; %bb.1738:
	s_cmp_lt_i32 s7, 24
	s_cbranch_scc1 .LBB79_1748
; %bb.1739:
	s_cmp_gt_i32 s7, 24
	s_cbranch_scc0 .LBB79_1749
; %bb.1740:
	global_load_u8 v3, v[10:11], off
	s_mov_b32 s12, 0
	s_mov_b32 s9, exec_lo
	s_wait_loadcnt 0x0
	v_cmpx_lt_i16_e32 0x7f, v3
	s_xor_b32 s9, exec_lo, s9
	s_cbranch_execz .LBB79_1761
; %bb.1741:
	v_cmp_ne_u16_e32 vcc_lo, 0x80, v3
	s_and_b32 s12, vcc_lo, exec_lo
	s_and_not1_saveexec_b32 s9, s9
	s_cbranch_execnz .LBB79_1762
.LBB79_1742:
	s_or_b32 exec_lo, exec_lo, s9
	v_mov_b64_e32 v[0:1], 0
	s_and_saveexec_b32 s9, s12
	s_cbranch_execz .LBB79_1744
.LBB79_1743:
	v_and_b32_e32 v0, 0xffff, v3
	s_delay_alu instid0(VALU_DEP_1) | instskip(SKIP_1) | instid1(VALU_DEP_2)
	v_and_b32_e32 v1, 3, v0
	v_bfe_u32 v9, v0, 2, 5
	v_clz_i32_u32_e32 v7, v1
	s_delay_alu instid0(VALU_DEP_2) | instskip(NEXT) | instid1(VALU_DEP_2)
	v_cmp_eq_u32_e32 vcc_lo, 0, v9
	v_min_u32_e32 v7, 32, v7
	s_delay_alu instid0(VALU_DEP_1) | instskip(NEXT) | instid1(VALU_DEP_1)
	v_subrev_nc_u32_e32 v8, 29, v7
	v_dual_lshlrev_b32 v0, v8, v0 :: v_dual_sub_nc_u32 v7, 30, v7
	s_delay_alu instid0(VALU_DEP_1) | instskip(NEXT) | instid1(VALU_DEP_1)
	v_dual_lshlrev_b32 v3, 24, v3 :: v_dual_bitop2_b32 v0, 3, v0 bitop3:0x40
	v_cndmask_b32_e32 v0, v1, v0, vcc_lo
	s_delay_alu instid0(VALU_DEP_3) | instskip(NEXT) | instid1(VALU_DEP_3)
	v_cndmask_b32_e32 v7, v9, v7, vcc_lo
	v_and_b32_e32 v1, 0x80000000, v3
	s_delay_alu instid0(VALU_DEP_3) | instskip(NEXT) | instid1(VALU_DEP_3)
	v_lshlrev_b32_e32 v0, 21, v0
	v_lshl_add_u32 v3, v7, 23, 0x37800000
	s_delay_alu instid0(VALU_DEP_1) | instskip(NEXT) | instid1(VALU_DEP_1)
	v_or3_b32 v0, v1, v3, v0
	v_trunc_f32_e32 v0, v0
	s_delay_alu instid0(VALU_DEP_1) | instskip(NEXT) | instid1(VALU_DEP_1)
	v_mul_f32_e64 v1, 0x2f800000, |v0|
	v_floor_f32_e32 v1, v1
	s_delay_alu instid0(VALU_DEP_1) | instskip(SKIP_2) | instid1(VALU_DEP_3)
	v_fma_f32 v3, 0xcf800000, v1, |v0|
	v_ashrrev_i32_e32 v0, 31, v0
	v_cvt_u32_f32_e32 v7, v1
	v_cvt_u32_f32_e32 v3, v3
	s_delay_alu instid0(VALU_DEP_2) | instskip(NEXT) | instid1(VALU_DEP_2)
	v_dual_mov_b32 v1, v0 :: v_dual_bitop2_b32 v9, v7, v0 bitop3:0x14
	v_xor_b32_e32 v8, v3, v0
	s_delay_alu instid0(VALU_DEP_1)
	v_sub_nc_u64_e32 v[0:1], v[8:9], v[0:1]
.LBB79_1744:
	s_or_b32 exec_lo, exec_lo, s9
	s_mov_b32 s9, 0
	s_branch .LBB79_1750
.LBB79_1745:
	s_mov_b32 s9, -1
                                        ; implicit-def: $vgpr0_vgpr1
	s_branch .LBB79_1756
.LBB79_1746:
	s_and_not1_saveexec_b32 s12, s12
	s_cbranch_execz .LBB79_1732
.LBB79_1747:
	v_cmp_ne_u16_e32 vcc_lo, 0, v3
	s_and_not1_b32 s13, s13, exec_lo
	s_and_b32 s14, vcc_lo, exec_lo
	s_delay_alu instid0(SALU_CYCLE_1)
	s_or_b32 s13, s13, s14
	s_or_b32 exec_lo, exec_lo, s12
	v_mov_b64_e32 v[0:1], 0
	s_and_saveexec_b32 s12, s13
	s_cbranch_execnz .LBB79_1733
	s_branch .LBB79_1734
.LBB79_1748:
	s_mov_b32 s9, -1
                                        ; implicit-def: $vgpr0_vgpr1
	s_branch .LBB79_1753
.LBB79_1749:
	s_mov_b32 s9, -1
                                        ; implicit-def: $vgpr0_vgpr1
.LBB79_1750:
	s_delay_alu instid0(SALU_CYCLE_1)
	s_and_b32 vcc_lo, exec_lo, s9
	s_cbranch_vccz .LBB79_1752
; %bb.1751:
	s_wait_loadcnt 0x0
	global_load_u8 v0, v[10:11], off
	s_wait_loadcnt 0x0
	v_lshlrev_b32_e32 v0, 24, v0
	s_delay_alu instid0(VALU_DEP_1) | instskip(NEXT) | instid1(VALU_DEP_1)
	v_and_b32_e32 v1, 0x7f000000, v0
	v_clz_i32_u32_e32 v3, v1
	v_cmp_ne_u32_e32 vcc_lo, 0, v1
	v_add_nc_u32_e32 v8, 0x1000000, v1
	s_delay_alu instid0(VALU_DEP_3) | instskip(NEXT) | instid1(VALU_DEP_1)
	v_min_u32_e32 v3, 32, v3
	v_sub_nc_u32_e64 v3, v3, 4 clamp
	s_delay_alu instid0(VALU_DEP_1) | instskip(NEXT) | instid1(VALU_DEP_1)
	v_dual_lshlrev_b32 v7, v3, v1 :: v_dual_lshlrev_b32 v3, 23, v3
	v_lshrrev_b32_e32 v7, 4, v7
	s_delay_alu instid0(VALU_DEP_1) | instskip(NEXT) | instid1(VALU_DEP_1)
	v_dual_sub_nc_u32 v3, v7, v3 :: v_dual_ashrrev_i32 v7, 8, v8
	v_add_nc_u32_e32 v3, 0x3c000000, v3
	s_delay_alu instid0(VALU_DEP_1) | instskip(NEXT) | instid1(VALU_DEP_1)
	v_and_or_b32 v3, 0x7f800000, v7, v3
	v_cndmask_b32_e32 v1, 0, v3, vcc_lo
	s_delay_alu instid0(VALU_DEP_1) | instskip(NEXT) | instid1(VALU_DEP_1)
	v_and_or_b32 v0, 0x80000000, v0, v1
	v_trunc_f32_e32 v0, v0
	s_delay_alu instid0(VALU_DEP_1) | instskip(NEXT) | instid1(VALU_DEP_1)
	v_mul_f32_e64 v1, 0x2f800000, |v0|
	v_floor_f32_e32 v1, v1
	s_delay_alu instid0(VALU_DEP_1) | instskip(SKIP_2) | instid1(VALU_DEP_3)
	v_fma_f32 v3, 0xcf800000, v1, |v0|
	v_ashrrev_i32_e32 v0, 31, v0
	v_cvt_u32_f32_e32 v7, v1
	v_cvt_u32_f32_e32 v3, v3
	s_delay_alu instid0(VALU_DEP_2) | instskip(NEXT) | instid1(VALU_DEP_2)
	v_dual_mov_b32 v1, v0 :: v_dual_bitop2_b32 v9, v7, v0 bitop3:0x14
	v_xor_b32_e32 v8, v3, v0
	s_delay_alu instid0(VALU_DEP_1)
	v_sub_nc_u64_e32 v[0:1], v[8:9], v[0:1]
.LBB79_1752:
	s_mov_b32 s9, 0
.LBB79_1753:
	s_delay_alu instid0(SALU_CYCLE_1)
	s_and_not1_b32 vcc_lo, exec_lo, s9
	s_cbranch_vccnz .LBB79_1755
; %bb.1754:
	s_wait_loadcnt 0x0
	global_load_u8 v0, v[10:11], off
	s_wait_loadcnt 0x0
	v_lshlrev_b32_e32 v1, 25, v0
	v_lshlrev_b16 v0, 8, v0
	s_delay_alu instid0(VALU_DEP_1) | instskip(SKIP_1) | instid1(VALU_DEP_2)
	v_and_or_b32 v7, 0x7f00, v0, 0.5
	v_bfe_i32 v0, v0, 0, 16
	v_dual_add_f32 v7, -0.5, v7 :: v_dual_lshrrev_b32 v3, 4, v1
	v_cmp_gt_u32_e32 vcc_lo, 0x8000000, v1
	s_delay_alu instid0(VALU_DEP_2) | instskip(NEXT) | instid1(VALU_DEP_1)
	v_or_b32_e32 v3, 0x70000000, v3
	v_mul_f32_e32 v3, 0x7800000, v3
	s_delay_alu instid0(VALU_DEP_1) | instskip(NEXT) | instid1(VALU_DEP_1)
	v_cndmask_b32_e32 v1, v3, v7, vcc_lo
	v_and_or_b32 v0, 0x80000000, v0, v1
	s_delay_alu instid0(VALU_DEP_1) | instskip(NEXT) | instid1(VALU_DEP_1)
	v_trunc_f32_e32 v0, v0
	v_mul_f32_e64 v1, 0x2f800000, |v0|
	s_delay_alu instid0(VALU_DEP_1) | instskip(NEXT) | instid1(VALU_DEP_1)
	v_floor_f32_e32 v1, v1
	v_fma_f32 v3, 0xcf800000, v1, |v0|
	v_ashrrev_i32_e32 v0, 31, v0
	v_cvt_u32_f32_e32 v7, v1
	s_delay_alu instid0(VALU_DEP_3) | instskip(NEXT) | instid1(VALU_DEP_2)
	v_cvt_u32_f32_e32 v3, v3
	v_dual_mov_b32 v1, v0 :: v_dual_bitop2_b32 v9, v7, v0 bitop3:0x14
	s_delay_alu instid0(VALU_DEP_2) | instskip(NEXT) | instid1(VALU_DEP_1)
	v_xor_b32_e32 v8, v3, v0
	v_sub_nc_u64_e32 v[0:1], v[8:9], v[0:1]
.LBB79_1755:
	s_mov_b32 s9, 0
	s_mov_b32 s12, -1
.LBB79_1756:
	s_and_not1_b32 vcc_lo, exec_lo, s9
	s_mov_b32 s9, 0
	s_cbranch_vccnz .LBB79_1767
; %bb.1757:
	s_cmp_gt_i32 s7, 14
	s_cbranch_scc0 .LBB79_1760
; %bb.1758:
	s_cmp_eq_u32 s7, 15
	s_cbranch_scc0 .LBB79_1763
; %bb.1759:
	s_wait_loadcnt 0x0
	global_load_u16 v0, v[10:11], off
	s_mov_b32 s8, 0
	s_mov_b32 s12, -1
	s_wait_loadcnt 0x0
	v_lshlrev_b32_e32 v0, 16, v0
	s_delay_alu instid0(VALU_DEP_1) | instskip(NEXT) | instid1(VALU_DEP_1)
	v_trunc_f32_e32 v0, v0
	v_mul_f32_e64 v1, 0x2f800000, |v0|
	s_delay_alu instid0(VALU_DEP_1) | instskip(NEXT) | instid1(VALU_DEP_1)
	v_floor_f32_e32 v1, v1
	v_fma_f32 v3, 0xcf800000, v1, |v0|
	v_ashrrev_i32_e32 v0, 31, v0
	v_cvt_u32_f32_e32 v7, v1
	s_delay_alu instid0(VALU_DEP_3) | instskip(NEXT) | instid1(VALU_DEP_2)
	v_cvt_u32_f32_e32 v3, v3
	v_dual_mov_b32 v1, v0 :: v_dual_bitop2_b32 v9, v7, v0 bitop3:0x14
	s_delay_alu instid0(VALU_DEP_2) | instskip(NEXT) | instid1(VALU_DEP_1)
	v_xor_b32_e32 v8, v3, v0
	v_sub_nc_u64_e32 v[0:1], v[8:9], v[0:1]
	s_branch .LBB79_1765
.LBB79_1760:
	s_mov_b32 s9, -1
	s_branch .LBB79_1764
.LBB79_1761:
	s_and_not1_saveexec_b32 s9, s9
	s_cbranch_execz .LBB79_1742
.LBB79_1762:
	v_cmp_ne_u16_e32 vcc_lo, 0, v3
	s_and_not1_b32 s12, s12, exec_lo
	s_and_b32 s13, vcc_lo, exec_lo
	s_delay_alu instid0(SALU_CYCLE_1)
	s_or_b32 s12, s12, s13
	s_or_b32 exec_lo, exec_lo, s9
	v_mov_b64_e32 v[0:1], 0
	s_and_saveexec_b32 s9, s12
	s_cbranch_execnz .LBB79_1743
	s_branch .LBB79_1744
.LBB79_1763:
	s_mov_b32 s8, -1
.LBB79_1764:
                                        ; implicit-def: $vgpr0_vgpr1
.LBB79_1765:
	s_and_b32 vcc_lo, exec_lo, s9
	s_mov_b32 s9, 0
	s_cbranch_vccz .LBB79_1767
; %bb.1766:
	s_cmp_lg_u32 s7, 11
	s_mov_b32 s9, -1
	s_cselect_b32 s7, -1, 0
	s_and_not1_b32 s8, s8, exec_lo
	s_and_b32 s7, s7, exec_lo
	s_delay_alu instid0(SALU_CYCLE_1)
	s_or_b32 s8, s8, s7
.LBB79_1767:
	s_mov_b32 s13, 0
.LBB79_1768:
	s_and_not1_b32 s14, s51, exec_lo
	s_and_b32 s8, s8, exec_lo
	s_and_b32 s7, s12, exec_lo
	;; [unrolled: 1-line block ×4, first 2 shown]
	s_or_b32 s51, s14, s8
	s_wait_xcnt 0x0
	s_or_b32 exec_lo, exec_lo, s6
	s_and_saveexec_b32 s6, s51
	s_cbranch_execz .LBB79_1701
.LBB79_1769:
	s_or_b32 s1, s1, exec_lo
	s_and_not1_b32 s13, s13, exec_lo
	s_trap 2
	s_or_b32 exec_lo, exec_lo, s6
	s_and_saveexec_b32 s6, s13
	s_delay_alu instid0(SALU_CYCLE_1)
	s_xor_b32 s6, exec_lo, s6
	s_cbranch_execnz .LBB79_1702
.LBB79_1770:
	s_or_b32 exec_lo, exec_lo, s6
	s_and_saveexec_b32 s6, s12
	s_cbranch_execz .LBB79_1816
.LBB79_1771:
	s_sext_i32_i16 s8, s0
	s_delay_alu instid0(SALU_CYCLE_1)
	s_cmp_lt_i32 s8, 5
	s_cbranch_scc1 .LBB79_1776
; %bb.1772:
	s_cmp_lt_i32 s8, 8
	s_cbranch_scc1 .LBB79_1777
; %bb.1773:
	;; [unrolled: 3-line block ×3, first 2 shown]
	s_cmp_gt_i32 s8, 9
	s_cbranch_scc0 .LBB79_1779
; %bb.1775:
	s_wait_loadcnt 0x0
	global_load_b64 v[0:1], v[10:11], off
	s_mov_b32 s8, 0
	s_wait_loadcnt 0x0
	v_trunc_f64_e32 v[0:1], v[0:1]
	s_delay_alu instid0(VALU_DEP_1) | instskip(NEXT) | instid1(VALU_DEP_1)
	v_ldexp_f64 v[8:9], v[0:1], 0xffffffe0
	v_floor_f64_e32 v[8:9], v[8:9]
	s_delay_alu instid0(VALU_DEP_1) | instskip(SKIP_1) | instid1(VALU_DEP_2)
	v_fmamk_f64 v[12:13], v[8:9], 0xc1f00000, v[0:1]
	v_cvt_i32_f64_e32 v1, v[8:9]
	v_cvt_u32_f64_e32 v0, v[12:13]
	s_branch .LBB79_1780
.LBB79_1776:
                                        ; implicit-def: $vgpr0_vgpr1
	s_branch .LBB79_1797
.LBB79_1777:
                                        ; implicit-def: $vgpr0_vgpr1
	s_branch .LBB79_1786
.LBB79_1778:
	s_mov_b32 s8, -1
                                        ; implicit-def: $vgpr0_vgpr1
	s_branch .LBB79_1783
.LBB79_1779:
	s_mov_b32 s8, -1
                                        ; implicit-def: $vgpr0_vgpr1
.LBB79_1780:
	s_delay_alu instid0(SALU_CYCLE_1)
	s_and_not1_b32 vcc_lo, exec_lo, s8
	s_cbranch_vccnz .LBB79_1782
; %bb.1781:
	s_wait_loadcnt 0x0
	global_load_b32 v0, v[10:11], off
	s_wait_loadcnt 0x0
	v_trunc_f32_e32 v0, v0
	s_delay_alu instid0(VALU_DEP_1) | instskip(NEXT) | instid1(VALU_DEP_1)
	v_mul_f32_e64 v1, 0x2f800000, |v0|
	v_floor_f32_e32 v1, v1
	s_delay_alu instid0(VALU_DEP_1) | instskip(SKIP_2) | instid1(VALU_DEP_3)
	v_fma_f32 v3, 0xcf800000, v1, |v0|
	v_ashrrev_i32_e32 v0, 31, v0
	v_cvt_u32_f32_e32 v7, v1
	v_cvt_u32_f32_e32 v3, v3
	s_delay_alu instid0(VALU_DEP_2) | instskip(NEXT) | instid1(VALU_DEP_2)
	v_dual_mov_b32 v1, v0 :: v_dual_bitop2_b32 v9, v7, v0 bitop3:0x14
	v_xor_b32_e32 v8, v3, v0
	s_delay_alu instid0(VALU_DEP_1)
	v_sub_nc_u64_e32 v[0:1], v[8:9], v[0:1]
.LBB79_1782:
	s_mov_b32 s8, 0
.LBB79_1783:
	s_delay_alu instid0(SALU_CYCLE_1)
	s_and_not1_b32 vcc_lo, exec_lo, s8
	s_cbranch_vccnz .LBB79_1785
; %bb.1784:
	s_wait_loadcnt 0x0
	global_load_b32 v0, v[10:11], off
	s_wait_loadcnt 0x0
	v_cvt_f32_f16_e32 v0, v0
	s_delay_alu instid0(VALU_DEP_1) | instskip(NEXT) | instid1(VALU_DEP_1)
	v_cvt_i32_f32_e32 v0, v0
	v_ashrrev_i32_e32 v1, 31, v0
.LBB79_1785:
	s_cbranch_execnz .LBB79_1796
.LBB79_1786:
	s_sext_i32_i16 s8, s0
	s_delay_alu instid0(SALU_CYCLE_1)
	s_cmp_lt_i32 s8, 6
	s_cbranch_scc1 .LBB79_1789
; %bb.1787:
	s_cmp_gt_i32 s8, 6
	s_cbranch_scc0 .LBB79_1790
; %bb.1788:
	s_wait_loadcnt 0x0
	global_load_b64 v[0:1], v[10:11], off
	s_mov_b32 s8, 0
	s_wait_loadcnt 0x0
	v_trunc_f64_e32 v[0:1], v[0:1]
	s_delay_alu instid0(VALU_DEP_1) | instskip(NEXT) | instid1(VALU_DEP_1)
	v_ldexp_f64 v[8:9], v[0:1], 0xffffffe0
	v_floor_f64_e32 v[8:9], v[8:9]
	s_delay_alu instid0(VALU_DEP_1) | instskip(SKIP_1) | instid1(VALU_DEP_2)
	v_fmamk_f64 v[12:13], v[8:9], 0xc1f00000, v[0:1]
	v_cvt_i32_f64_e32 v1, v[8:9]
	v_cvt_u32_f64_e32 v0, v[12:13]
	s_branch .LBB79_1791
.LBB79_1789:
	s_mov_b32 s8, -1
                                        ; implicit-def: $vgpr0_vgpr1
	s_branch .LBB79_1794
.LBB79_1790:
	s_mov_b32 s8, -1
                                        ; implicit-def: $vgpr0_vgpr1
.LBB79_1791:
	s_delay_alu instid0(SALU_CYCLE_1)
	s_and_not1_b32 vcc_lo, exec_lo, s8
	s_cbranch_vccnz .LBB79_1793
; %bb.1792:
	s_wait_loadcnt 0x0
	global_load_b32 v0, v[10:11], off
	s_wait_loadcnt 0x0
	v_trunc_f32_e32 v0, v0
	s_delay_alu instid0(VALU_DEP_1) | instskip(NEXT) | instid1(VALU_DEP_1)
	v_mul_f32_e64 v1, 0x2f800000, |v0|
	v_floor_f32_e32 v1, v1
	s_delay_alu instid0(VALU_DEP_1) | instskip(SKIP_2) | instid1(VALU_DEP_3)
	v_fma_f32 v3, 0xcf800000, v1, |v0|
	v_ashrrev_i32_e32 v0, 31, v0
	v_cvt_u32_f32_e32 v7, v1
	v_cvt_u32_f32_e32 v3, v3
	s_delay_alu instid0(VALU_DEP_2) | instskip(NEXT) | instid1(VALU_DEP_2)
	v_dual_mov_b32 v1, v0 :: v_dual_bitop2_b32 v9, v7, v0 bitop3:0x14
	v_xor_b32_e32 v8, v3, v0
	s_delay_alu instid0(VALU_DEP_1)
	v_sub_nc_u64_e32 v[0:1], v[8:9], v[0:1]
.LBB79_1793:
	s_mov_b32 s8, 0
.LBB79_1794:
	s_delay_alu instid0(SALU_CYCLE_1)
	s_and_not1_b32 vcc_lo, exec_lo, s8
	s_cbranch_vccnz .LBB79_1796
; %bb.1795:
	s_wait_loadcnt 0x0
	global_load_u16 v0, v[10:11], off
	s_wait_loadcnt 0x0
	v_cvt_f32_f16_e32 v0, v0
	s_delay_alu instid0(VALU_DEP_1) | instskip(NEXT) | instid1(VALU_DEP_1)
	v_cvt_i32_f32_e32 v0, v0
	v_ashrrev_i32_e32 v1, 31, v0
.LBB79_1796:
	s_cbranch_execnz .LBB79_1815
.LBB79_1797:
	s_sext_i32_i16 s8, s0
	s_delay_alu instid0(SALU_CYCLE_1)
	s_cmp_lt_i32 s8, 2
	s_cbranch_scc1 .LBB79_1801
; %bb.1798:
	s_cmp_lt_i32 s8, 3
	s_cbranch_scc1 .LBB79_1802
; %bb.1799:
	s_cmp_gt_i32 s8, 3
	s_cbranch_scc0 .LBB79_1803
; %bb.1800:
	s_wait_loadcnt 0x0
	global_load_b64 v[0:1], v[10:11], off
	s_mov_b32 s8, 0
	s_branch .LBB79_1804
.LBB79_1801:
                                        ; implicit-def: $vgpr0_vgpr1
	s_branch .LBB79_1810
.LBB79_1802:
	s_mov_b32 s8, -1
                                        ; implicit-def: $vgpr0_vgpr1
	s_branch .LBB79_1807
.LBB79_1803:
	s_mov_b32 s8, -1
                                        ; implicit-def: $vgpr0_vgpr1
.LBB79_1804:
	s_delay_alu instid0(SALU_CYCLE_1)
	s_and_not1_b32 vcc_lo, exec_lo, s8
	s_cbranch_vccnz .LBB79_1806
; %bb.1805:
	s_wait_loadcnt 0x0
	global_load_b32 v0, v[10:11], off
	s_wait_loadcnt 0x0
	v_ashrrev_i32_e32 v1, 31, v0
.LBB79_1806:
	s_mov_b32 s8, 0
.LBB79_1807:
	s_delay_alu instid0(SALU_CYCLE_1)
	s_and_not1_b32 vcc_lo, exec_lo, s8
	s_cbranch_vccnz .LBB79_1809
; %bb.1808:
	s_wait_loadcnt 0x0
	global_load_u16 v0, v[10:11], off
	s_wait_loadcnt 0x0
	v_bfe_i32 v0, v0, 0, 16
	s_delay_alu instid0(VALU_DEP_1)
	v_ashrrev_i32_e32 v1, 31, v0
.LBB79_1809:
	s_cbranch_execnz .LBB79_1815
.LBB79_1810:
	s_sext_i32_i16 s0, s0
	s_delay_alu instid0(SALU_CYCLE_1)
	s_cmp_gt_i32 s0, 0
	s_mov_b32 s0, 0
	s_cbranch_scc0 .LBB79_1812
; %bb.1811:
	s_wait_loadcnt 0x0
	global_load_i8 v0, v[10:11], off
	s_wait_loadcnt 0x0
	v_bfe_i32 v0, v0, 0, 16
	s_delay_alu instid0(VALU_DEP_1)
	v_ashrrev_i32_e32 v1, 31, v0
	s_branch .LBB79_1813
.LBB79_1812:
	s_mov_b32 s0, -1
                                        ; implicit-def: $vgpr0_vgpr1
.LBB79_1813:
	s_delay_alu instid0(SALU_CYCLE_1)
	s_and_not1_b32 vcc_lo, exec_lo, s0
	s_cbranch_vccnz .LBB79_1815
; %bb.1814:
	s_wait_loadcnt 0x0
	global_load_u8 v0, v[10:11], off
	s_mov_b32 s0, 0
	s_delay_alu instid0(SALU_CYCLE_1)
	v_mov_b32_e32 v1, s0
	s_wait_loadcnt 0x0
	v_and_b32_e32 v0, 0xffff, v0
.LBB79_1815:
	s_or_b32 s7, s7, exec_lo
.LBB79_1816:
	s_wait_xcnt 0x0
	s_or_b32 exec_lo, exec_lo, s6
	s_mov_b32 s9, 0
	s_mov_b32 s6, 0
	s_mov_b32 s8, 0
                                        ; implicit-def: $vgpr8_vgpr9
                                        ; implicit-def: $vgpr10_vgpr11
	s_and_saveexec_b32 s0, s7
	s_cbranch_execz .LBB79_1824
; %bb.1817:
	v_mov_b32_e32 v7, 0
	s_and_b32 s6, 0xffff, s25
	s_delay_alu instid0(SALU_CYCLE_1) | instskip(SKIP_1) | instid1(VALU_DEP_1)
	s_cmp_lt_i32 s6, 11
	s_wait_loadcnt 0x0
	v_add_nc_u64_e32 v[8:9], s[10:11], v[6:7]
	s_cbranch_scc1 .LBB79_1827
; %bb.1818:
	s_cmp_gt_i32 s6, 25
	s_cbranch_scc0 .LBB79_1828
; %bb.1819:
	s_cmp_gt_i32 s6, 28
	s_cbranch_scc0 .LBB79_1829
; %bb.1820:
	s_cmp_gt_i32 s6, 43
	s_cbranch_scc0 .LBB79_1830
; %bb.1821:
	s_cmp_gt_i32 s6, 45
	s_cbranch_scc0 .LBB79_1831
; %bb.1822:
	s_cmp_eq_u32 s6, 46
	s_mov_b32 s10, 0
	s_cbranch_scc0 .LBB79_1832
; %bb.1823:
	global_load_b32 v3, v[8:9], off
	s_mov_b32 s7, 0
	s_mov_b32 s8, -1
	s_wait_loadcnt 0x0
	v_lshlrev_b32_e32 v3, 16, v3
	s_delay_alu instid0(VALU_DEP_1) | instskip(NEXT) | instid1(VALU_DEP_1)
	v_trunc_f32_e32 v3, v3
	v_mul_f32_e64 v6, 0x2f800000, |v3|
	s_delay_alu instid0(VALU_DEP_1) | instskip(SKIP_1) | instid1(VALU_DEP_2)
	v_floor_f32_e32 v7, v6
	v_ashrrev_i32_e32 v6, 31, v3
	v_fma_f32 v10, 0xcf800000, v7, |v3|
	v_cvt_u32_f32_e32 v3, v7
	s_delay_alu instid0(VALU_DEP_3) | instskip(NEXT) | instid1(VALU_DEP_3)
	v_mov_b32_e32 v7, v6
	v_cvt_u32_f32_e32 v10, v10
	s_delay_alu instid0(VALU_DEP_3) | instskip(NEXT) | instid1(VALU_DEP_2)
	v_xor_b32_e32 v11, v3, v6
	v_xor_b32_e32 v10, v10, v6
	s_delay_alu instid0(VALU_DEP_1)
	v_sub_nc_u64_e32 v[10:11], v[10:11], v[6:7]
	s_branch .LBB79_1834
.LBB79_1824:
	s_or_b32 exec_lo, exec_lo, s0
	s_and_saveexec_b32 s0, s50
	s_cbranch_execnz .LBB79_1893
.LBB79_1825:
	s_or_b32 exec_lo, exec_lo, s0
	s_and_saveexec_b32 s0, s9
	s_delay_alu instid0(SALU_CYCLE_1)
	s_xor_b32 s0, exec_lo, s0
	s_cbranch_execz .LBB79_1894
.LBB79_1826:
	s_wait_loadcnt 0x0
	global_load_u8 v3, v[8:9], off
	s_mov_b32 s7, 0
	s_or_b32 s8, s8, exec_lo
	v_mov_b32_e32 v11, s7
	s_wait_loadcnt 0x0
	v_cmp_ne_u16_e32 vcc_lo, 0, v3
	v_cndmask_b32_e64 v10, 0, 1, vcc_lo
	s_wait_xcnt 0x0
	s_or_b32 exec_lo, exec_lo, s0
	s_and_saveexec_b32 s0, s6
	s_cbranch_execz .LBB79_1940
	s_branch .LBB79_1895
.LBB79_1827:
	s_mov_b32 s6, -1
	s_mov_b32 s7, s50
                                        ; implicit-def: $vgpr10_vgpr11
	s_branch .LBB79_1892
.LBB79_1828:
	s_mov_b32 s7, s50
                                        ; implicit-def: $vgpr10_vgpr11
	s_cbranch_execnz .LBB79_1861
	s_branch .LBB79_1891
.LBB79_1829:
	s_mov_b32 s10, -1
	s_mov_b32 s7, s50
                                        ; implicit-def: $vgpr10_vgpr11
	s_branch .LBB79_1844
.LBB79_1830:
	s_mov_b32 s10, -1
	s_mov_b32 s7, s50
                                        ; implicit-def: $vgpr10_vgpr11
	s_branch .LBB79_1839
.LBB79_1831:
	s_mov_b32 s10, -1
	s_mov_b32 s7, s50
	s_branch .LBB79_1833
.LBB79_1832:
	s_mov_b32 s7, -1
.LBB79_1833:
                                        ; implicit-def: $vgpr10_vgpr11
.LBB79_1834:
	s_and_b32 vcc_lo, exec_lo, s10
	s_cbranch_vccz .LBB79_1838
; %bb.1835:
	s_cmp_eq_u32 s6, 44
	s_cbranch_scc0 .LBB79_1837
; %bb.1836:
	global_load_u8 v3, v[8:9], off
	s_mov_b32 s7, 0
	s_mov_b32 s8, -1
	s_wait_loadcnt 0x0
	v_lshlrev_b32_e32 v6, 23, v3
	v_cmp_ne_u32_e32 vcc_lo, 0, v3
	s_delay_alu instid0(VALU_DEP_2) | instskip(NEXT) | instid1(VALU_DEP_1)
	v_trunc_f32_e32 v6, v6
	v_mul_f32_e64 v7, 0x2f800000, |v6|
	s_delay_alu instid0(VALU_DEP_1) | instskip(NEXT) | instid1(VALU_DEP_1)
	v_floor_f32_e32 v7, v7
	v_fma_f32 v10, 0xcf800000, v7, |v6|
	v_ashrrev_i32_e32 v6, 31, v6
	v_cvt_u32_f32_e32 v11, v7
	s_delay_alu instid0(VALU_DEP_3) | instskip(NEXT) | instid1(VALU_DEP_2)
	v_cvt_u32_f32_e32 v10, v10
	v_dual_mov_b32 v7, v6 :: v_dual_bitop2_b32 v11, v11, v6 bitop3:0x14
	s_delay_alu instid0(VALU_DEP_2) | instskip(NEXT) | instid1(VALU_DEP_1)
	v_xor_b32_e32 v10, v10, v6
	v_sub_nc_u64_e32 v[6:7], v[10:11], v[6:7]
	s_delay_alu instid0(VALU_DEP_1)
	v_dual_cndmask_b32 v11, 0, v7 :: v_dual_cndmask_b32 v10, 0, v6
	s_branch .LBB79_1838
.LBB79_1837:
	s_mov_b32 s7, -1
                                        ; implicit-def: $vgpr10_vgpr11
.LBB79_1838:
	s_mov_b32 s10, 0
.LBB79_1839:
	s_delay_alu instid0(SALU_CYCLE_1)
	s_and_b32 vcc_lo, exec_lo, s10
	s_cbranch_vccz .LBB79_1843
; %bb.1840:
	s_cmp_eq_u32 s6, 29
	s_cbranch_scc0 .LBB79_1842
; %bb.1841:
	global_load_b64 v[10:11], v[8:9], off
	s_mov_b32 s7, 0
	s_mov_b32 s8, -1
	s_branch .LBB79_1843
.LBB79_1842:
	s_mov_b32 s7, -1
                                        ; implicit-def: $vgpr10_vgpr11
.LBB79_1843:
	s_mov_b32 s10, 0
.LBB79_1844:
	s_delay_alu instid0(SALU_CYCLE_1)
	s_and_b32 vcc_lo, exec_lo, s10
	s_cbranch_vccz .LBB79_1860
; %bb.1845:
	s_cmp_lt_i32 s6, 27
	s_cbranch_scc1 .LBB79_1848
; %bb.1846:
	s_cmp_gt_i32 s6, 27
	s_cbranch_scc0 .LBB79_1849
; %bb.1847:
	s_wait_loadcnt 0x0
	global_load_b32 v10, v[8:9], off
	v_mov_b32_e32 v11, 0
	s_mov_b32 s8, 0
	s_branch .LBB79_1850
.LBB79_1848:
	s_mov_b32 s8, -1
                                        ; implicit-def: $vgpr10_vgpr11
	s_branch .LBB79_1853
.LBB79_1849:
	s_mov_b32 s8, -1
                                        ; implicit-def: $vgpr10_vgpr11
.LBB79_1850:
	s_delay_alu instid0(SALU_CYCLE_1)
	s_and_not1_b32 vcc_lo, exec_lo, s8
	s_cbranch_vccnz .LBB79_1852
; %bb.1851:
	global_load_u16 v3, v[8:9], off
	s_mov_b32 s8, 0
	s_wait_loadcnt 0x1
	v_mov_b32_e32 v11, s8
	s_wait_loadcnt 0x0
	v_and_b32_e32 v10, 0xffff, v3
.LBB79_1852:
	s_mov_b32 s8, 0
.LBB79_1853:
	s_delay_alu instid0(SALU_CYCLE_1)
	s_and_not1_b32 vcc_lo, exec_lo, s8
	s_cbranch_vccnz .LBB79_1859
; %bb.1854:
	global_load_u8 v3, v[8:9], off
	s_mov_b32 s10, 0
	s_mov_b32 s8, exec_lo
	s_wait_loadcnt 0x0
	v_cmpx_lt_i16_e32 0x7f, v3
	s_xor_b32 s8, exec_lo, s8
	s_cbranch_execz .LBB79_1870
; %bb.1855:
	v_cmp_ne_u16_e32 vcc_lo, 0x80, v3
	s_and_b32 s10, vcc_lo, exec_lo
	s_and_not1_saveexec_b32 s8, s8
	s_cbranch_execnz .LBB79_1871
.LBB79_1856:
	s_or_b32 exec_lo, exec_lo, s8
	v_mov_b64_e32 v[10:11], 0
	s_and_saveexec_b32 s8, s10
	s_cbranch_execz .LBB79_1858
.LBB79_1857:
	v_and_b32_e32 v6, 0xffff, v3
	s_delay_alu instid0(VALU_DEP_1) | instskip(SKIP_1) | instid1(VALU_DEP_2)
	v_dual_lshlrev_b32 v3, 24, v3 :: v_dual_bitop2_b32 v7, 7, v6 bitop3:0x40
	v_bfe_u32 v12, v6, 3, 4
	v_and_b32_e32 v3, 0x80000000, v3
	s_delay_alu instid0(VALU_DEP_3) | instskip(NEXT) | instid1(VALU_DEP_3)
	v_clz_i32_u32_e32 v10, v7
	v_cmp_eq_u32_e32 vcc_lo, 0, v12
	s_delay_alu instid0(VALU_DEP_2) | instskip(NEXT) | instid1(VALU_DEP_1)
	v_min_u32_e32 v10, 32, v10
	v_subrev_nc_u32_e32 v11, 28, v10
	v_sub_nc_u32_e32 v10, 29, v10
	s_delay_alu instid0(VALU_DEP_2) | instskip(NEXT) | instid1(VALU_DEP_2)
	v_lshlrev_b32_e32 v6, v11, v6
	v_cndmask_b32_e32 v10, v12, v10, vcc_lo
	s_delay_alu instid0(VALU_DEP_2) | instskip(NEXT) | instid1(VALU_DEP_1)
	v_and_b32_e32 v6, 7, v6
	v_cndmask_b32_e32 v6, v7, v6, vcc_lo
	s_delay_alu instid0(VALU_DEP_3) | instskip(NEXT) | instid1(VALU_DEP_2)
	v_lshl_add_u32 v7, v10, 23, 0x3b800000
	v_lshlrev_b32_e32 v6, 20, v6
	s_delay_alu instid0(VALU_DEP_1) | instskip(NEXT) | instid1(VALU_DEP_1)
	v_or3_b32 v3, v3, v7, v6
	v_trunc_f32_e32 v3, v3
	s_delay_alu instid0(VALU_DEP_1) | instskip(NEXT) | instid1(VALU_DEP_1)
	v_mul_f32_e64 v6, 0x2f800000, |v3|
	v_floor_f32_e32 v7, v6
	v_ashrrev_i32_e32 v6, 31, v3
	s_delay_alu instid0(VALU_DEP_2) | instskip(SKIP_1) | instid1(VALU_DEP_3)
	v_fma_f32 v10, 0xcf800000, v7, |v3|
	v_cvt_u32_f32_e32 v3, v7
	v_mov_b32_e32 v7, v6
	s_delay_alu instid0(VALU_DEP_3) | instskip(NEXT) | instid1(VALU_DEP_3)
	v_cvt_u32_f32_e32 v10, v10
	v_xor_b32_e32 v11, v3, v6
	s_delay_alu instid0(VALU_DEP_2) | instskip(NEXT) | instid1(VALU_DEP_1)
	v_xor_b32_e32 v10, v10, v6
	v_sub_nc_u64_e32 v[10:11], v[10:11], v[6:7]
.LBB79_1858:
	s_or_b32 exec_lo, exec_lo, s8
.LBB79_1859:
	s_mov_b32 s8, -1
.LBB79_1860:
	s_branch .LBB79_1891
.LBB79_1861:
	s_cmp_gt_i32 s6, 22
	s_cbranch_scc0 .LBB79_1869
; %bb.1862:
	s_cmp_lt_i32 s6, 24
	s_cbranch_scc1 .LBB79_1872
; %bb.1863:
	s_cmp_gt_i32 s6, 24
	s_cbranch_scc0 .LBB79_1873
; %bb.1864:
	global_load_u8 v3, v[8:9], off
	s_mov_b32 s8, exec_lo
	s_wait_loadcnt 0x0
	v_cmpx_lt_i16_e32 0x7f, v3
	s_xor_b32 s8, exec_lo, s8
	s_cbranch_execz .LBB79_1885
; %bb.1865:
	v_cmp_ne_u16_e32 vcc_lo, 0x80, v3
	s_and_b32 s9, vcc_lo, exec_lo
	s_and_not1_saveexec_b32 s8, s8
	s_cbranch_execnz .LBB79_1886
.LBB79_1866:
	s_or_b32 exec_lo, exec_lo, s8
	v_mov_b64_e32 v[10:11], 0
	s_and_saveexec_b32 s8, s9
	s_cbranch_execz .LBB79_1868
.LBB79_1867:
	v_and_b32_e32 v6, 0xffff, v3
	s_delay_alu instid0(VALU_DEP_1) | instskip(SKIP_1) | instid1(VALU_DEP_2)
	v_dual_lshlrev_b32 v3, 24, v3 :: v_dual_bitop2_b32 v7, 3, v6 bitop3:0x40
	v_bfe_u32 v12, v6, 2, 5
	v_and_b32_e32 v3, 0x80000000, v3
	s_delay_alu instid0(VALU_DEP_3) | instskip(NEXT) | instid1(VALU_DEP_3)
	v_clz_i32_u32_e32 v10, v7
	v_cmp_eq_u32_e32 vcc_lo, 0, v12
	s_delay_alu instid0(VALU_DEP_2) | instskip(NEXT) | instid1(VALU_DEP_1)
	v_min_u32_e32 v10, 32, v10
	v_subrev_nc_u32_e32 v11, 29, v10
	v_sub_nc_u32_e32 v10, 30, v10
	s_delay_alu instid0(VALU_DEP_2) | instskip(NEXT) | instid1(VALU_DEP_2)
	v_lshlrev_b32_e32 v6, v11, v6
	v_cndmask_b32_e32 v10, v12, v10, vcc_lo
	s_delay_alu instid0(VALU_DEP_2) | instskip(NEXT) | instid1(VALU_DEP_1)
	v_and_b32_e32 v6, 3, v6
	v_cndmask_b32_e32 v6, v7, v6, vcc_lo
	s_delay_alu instid0(VALU_DEP_3) | instskip(NEXT) | instid1(VALU_DEP_2)
	v_lshl_add_u32 v7, v10, 23, 0x37800000
	v_lshlrev_b32_e32 v6, 21, v6
	s_delay_alu instid0(VALU_DEP_1) | instskip(NEXT) | instid1(VALU_DEP_1)
	v_or3_b32 v3, v3, v7, v6
	v_trunc_f32_e32 v3, v3
	s_delay_alu instid0(VALU_DEP_1) | instskip(NEXT) | instid1(VALU_DEP_1)
	v_mul_f32_e64 v6, 0x2f800000, |v3|
	v_floor_f32_e32 v7, v6
	v_ashrrev_i32_e32 v6, 31, v3
	s_delay_alu instid0(VALU_DEP_2) | instskip(SKIP_1) | instid1(VALU_DEP_3)
	v_fma_f32 v10, 0xcf800000, v7, |v3|
	v_cvt_u32_f32_e32 v3, v7
	v_mov_b32_e32 v7, v6
	s_delay_alu instid0(VALU_DEP_3) | instskip(NEXT) | instid1(VALU_DEP_3)
	v_cvt_u32_f32_e32 v10, v10
	v_xor_b32_e32 v11, v3, v6
	s_delay_alu instid0(VALU_DEP_2) | instskip(NEXT) | instid1(VALU_DEP_1)
	v_xor_b32_e32 v10, v10, v6
	v_sub_nc_u64_e32 v[10:11], v[10:11], v[6:7]
.LBB79_1868:
	s_or_b32 exec_lo, exec_lo, s8
	s_mov_b32 s8, 0
	s_branch .LBB79_1874
.LBB79_1869:
	s_mov_b32 s9, -1
                                        ; implicit-def: $vgpr10_vgpr11
	s_branch .LBB79_1880
.LBB79_1870:
	s_and_not1_saveexec_b32 s8, s8
	s_cbranch_execz .LBB79_1856
.LBB79_1871:
	v_cmp_ne_u16_e32 vcc_lo, 0, v3
	s_and_not1_b32 s10, s10, exec_lo
	s_and_b32 s11, vcc_lo, exec_lo
	s_delay_alu instid0(SALU_CYCLE_1)
	s_or_b32 s10, s10, s11
	s_or_b32 exec_lo, exec_lo, s8
	v_mov_b64_e32 v[10:11], 0
	s_and_saveexec_b32 s8, s10
	s_cbranch_execnz .LBB79_1857
	s_branch .LBB79_1858
.LBB79_1872:
	s_mov_b32 s8, -1
                                        ; implicit-def: $vgpr10_vgpr11
	s_branch .LBB79_1877
.LBB79_1873:
	s_mov_b32 s8, -1
                                        ; implicit-def: $vgpr10_vgpr11
.LBB79_1874:
	s_delay_alu instid0(SALU_CYCLE_1)
	s_and_b32 vcc_lo, exec_lo, s8
	s_cbranch_vccz .LBB79_1876
; %bb.1875:
	global_load_u8 v3, v[8:9], off
	s_wait_loadcnt 0x0
	v_lshlrev_b32_e32 v3, 24, v3
	s_delay_alu instid0(VALU_DEP_1) | instskip(NEXT) | instid1(VALU_DEP_1)
	v_and_b32_e32 v6, 0x7f000000, v3
	v_clz_i32_u32_e32 v7, v6
	v_cmp_ne_u32_e32 vcc_lo, 0, v6
	v_add_nc_u32_e32 v11, 0x1000000, v6
	s_delay_alu instid0(VALU_DEP_3) | instskip(NEXT) | instid1(VALU_DEP_1)
	v_min_u32_e32 v7, 32, v7
	v_sub_nc_u32_e64 v7, v7, 4 clamp
	s_delay_alu instid0(VALU_DEP_1) | instskip(NEXT) | instid1(VALU_DEP_1)
	v_dual_lshlrev_b32 v10, v7, v6 :: v_dual_lshlrev_b32 v7, 23, v7
	v_lshrrev_b32_e32 v10, 4, v10
	s_delay_alu instid0(VALU_DEP_1) | instskip(SKIP_1) | instid1(VALU_DEP_2)
	v_sub_nc_u32_e32 v7, v10, v7
	v_ashrrev_i32_e32 v10, 8, v11
	v_add_nc_u32_e32 v7, 0x3c000000, v7
	s_delay_alu instid0(VALU_DEP_1) | instskip(NEXT) | instid1(VALU_DEP_1)
	v_and_or_b32 v7, 0x7f800000, v10, v7
	v_cndmask_b32_e32 v6, 0, v7, vcc_lo
	s_delay_alu instid0(VALU_DEP_1) | instskip(NEXT) | instid1(VALU_DEP_1)
	v_and_or_b32 v3, 0x80000000, v3, v6
	v_trunc_f32_e32 v3, v3
	s_delay_alu instid0(VALU_DEP_1) | instskip(NEXT) | instid1(VALU_DEP_1)
	v_mul_f32_e64 v6, 0x2f800000, |v3|
	v_floor_f32_e32 v7, v6
	v_ashrrev_i32_e32 v6, 31, v3
	s_delay_alu instid0(VALU_DEP_2) | instskip(SKIP_1) | instid1(VALU_DEP_3)
	v_fma_f32 v10, 0xcf800000, v7, |v3|
	v_cvt_u32_f32_e32 v3, v7
	v_mov_b32_e32 v7, v6
	s_delay_alu instid0(VALU_DEP_3) | instskip(NEXT) | instid1(VALU_DEP_3)
	v_cvt_u32_f32_e32 v10, v10
	v_xor_b32_e32 v11, v3, v6
	s_delay_alu instid0(VALU_DEP_2) | instskip(NEXT) | instid1(VALU_DEP_1)
	v_xor_b32_e32 v10, v10, v6
	v_sub_nc_u64_e32 v[10:11], v[10:11], v[6:7]
.LBB79_1876:
	s_mov_b32 s8, 0
.LBB79_1877:
	s_delay_alu instid0(SALU_CYCLE_1)
	s_and_not1_b32 vcc_lo, exec_lo, s8
	s_cbranch_vccnz .LBB79_1879
; %bb.1878:
	global_load_u8 v3, v[8:9], off
	s_wait_loadcnt 0x0
	v_lshlrev_b32_e32 v6, 25, v3
	v_lshlrev_b16 v3, 8, v3
	s_delay_alu instid0(VALU_DEP_1) | instskip(SKIP_1) | instid1(VALU_DEP_2)
	v_and_or_b32 v10, 0x7f00, v3, 0.5
	v_bfe_i32 v3, v3, 0, 16
	v_add_f32_e32 v10, -0.5, v10
	v_lshrrev_b32_e32 v7, 4, v6
	v_cmp_gt_u32_e32 vcc_lo, 0x8000000, v6
	s_delay_alu instid0(VALU_DEP_2) | instskip(NEXT) | instid1(VALU_DEP_1)
	v_or_b32_e32 v7, 0x70000000, v7
	v_mul_f32_e32 v7, 0x7800000, v7
	s_delay_alu instid0(VALU_DEP_1) | instskip(NEXT) | instid1(VALU_DEP_1)
	v_cndmask_b32_e32 v6, v7, v10, vcc_lo
	v_and_or_b32 v3, 0x80000000, v3, v6
	s_delay_alu instid0(VALU_DEP_1) | instskip(NEXT) | instid1(VALU_DEP_1)
	v_trunc_f32_e32 v3, v3
	v_mul_f32_e64 v6, 0x2f800000, |v3|
	s_delay_alu instid0(VALU_DEP_1) | instskip(SKIP_1) | instid1(VALU_DEP_2)
	v_floor_f32_e32 v7, v6
	v_ashrrev_i32_e32 v6, 31, v3
	v_fma_f32 v10, 0xcf800000, v7, |v3|
	v_cvt_u32_f32_e32 v3, v7
	s_delay_alu instid0(VALU_DEP_3) | instskip(NEXT) | instid1(VALU_DEP_3)
	v_mov_b32_e32 v7, v6
	v_cvt_u32_f32_e32 v10, v10
	s_delay_alu instid0(VALU_DEP_3) | instskip(NEXT) | instid1(VALU_DEP_2)
	v_xor_b32_e32 v11, v3, v6
	v_xor_b32_e32 v10, v10, v6
	s_delay_alu instid0(VALU_DEP_1)
	v_sub_nc_u64_e32 v[10:11], v[10:11], v[6:7]
.LBB79_1879:
	s_mov_b32 s9, 0
	s_mov_b32 s8, -1
.LBB79_1880:
	s_and_not1_b32 vcc_lo, exec_lo, s9
	s_mov_b32 s9, 0
	s_cbranch_vccnz .LBB79_1891
; %bb.1881:
	s_cmp_gt_i32 s6, 14
	s_cbranch_scc0 .LBB79_1884
; %bb.1882:
	s_cmp_eq_u32 s6, 15
	s_cbranch_scc0 .LBB79_1887
; %bb.1883:
	global_load_u16 v3, v[8:9], off
	s_mov_b32 s7, 0
	s_mov_b32 s8, -1
	s_wait_loadcnt 0x0
	v_lshlrev_b32_e32 v3, 16, v3
	s_delay_alu instid0(VALU_DEP_1) | instskip(NEXT) | instid1(VALU_DEP_1)
	v_trunc_f32_e32 v3, v3
	v_mul_f32_e64 v6, 0x2f800000, |v3|
	s_delay_alu instid0(VALU_DEP_1) | instskip(SKIP_1) | instid1(VALU_DEP_2)
	v_floor_f32_e32 v7, v6
	v_ashrrev_i32_e32 v6, 31, v3
	v_fma_f32 v10, 0xcf800000, v7, |v3|
	v_cvt_u32_f32_e32 v3, v7
	s_delay_alu instid0(VALU_DEP_3) | instskip(NEXT) | instid1(VALU_DEP_3)
	v_mov_b32_e32 v7, v6
	v_cvt_u32_f32_e32 v10, v10
	s_delay_alu instid0(VALU_DEP_3) | instskip(NEXT) | instid1(VALU_DEP_2)
	v_xor_b32_e32 v11, v3, v6
	v_xor_b32_e32 v10, v10, v6
	s_delay_alu instid0(VALU_DEP_1)
	v_sub_nc_u64_e32 v[10:11], v[10:11], v[6:7]
	s_branch .LBB79_1889
.LBB79_1884:
	s_mov_b32 s9, -1
	s_branch .LBB79_1888
.LBB79_1885:
	s_and_not1_saveexec_b32 s8, s8
	s_cbranch_execz .LBB79_1866
.LBB79_1886:
	v_cmp_ne_u16_e32 vcc_lo, 0, v3
	s_and_not1_b32 s9, s9, exec_lo
	s_and_b32 s10, vcc_lo, exec_lo
	s_delay_alu instid0(SALU_CYCLE_1)
	s_or_b32 s9, s9, s10
	s_or_b32 exec_lo, exec_lo, s8
	v_mov_b64_e32 v[10:11], 0
	s_and_saveexec_b32 s8, s9
	s_cbranch_execnz .LBB79_1867
	s_branch .LBB79_1868
.LBB79_1887:
	s_mov_b32 s7, -1
.LBB79_1888:
                                        ; implicit-def: $vgpr10_vgpr11
.LBB79_1889:
	s_and_b32 vcc_lo, exec_lo, s9
	s_mov_b32 s9, 0
	s_cbranch_vccz .LBB79_1891
; %bb.1890:
	s_cmp_lg_u32 s6, 11
	s_mov_b32 s9, -1
	s_cselect_b32 s6, -1, 0
	s_and_not1_b32 s7, s7, exec_lo
	s_and_b32 s6, s6, exec_lo
	s_delay_alu instid0(SALU_CYCLE_1)
	s_or_b32 s7, s7, s6
.LBB79_1891:
	s_mov_b32 s6, 0
.LBB79_1892:
	s_and_not1_b32 s10, s50, exec_lo
	s_and_b32 s7, s7, exec_lo
	s_and_b32 s8, s8, exec_lo
	;; [unrolled: 1-line block ×4, first 2 shown]
	s_or_b32 s50, s10, s7
	s_wait_xcnt 0x0
	s_or_b32 exec_lo, exec_lo, s0
	s_and_saveexec_b32 s0, s50
	s_cbranch_execz .LBB79_1825
.LBB79_1893:
	s_or_b32 s1, s1, exec_lo
	s_and_not1_b32 s9, s9, exec_lo
	s_trap 2
	s_or_b32 exec_lo, exec_lo, s0
	s_and_saveexec_b32 s0, s9
	s_delay_alu instid0(SALU_CYCLE_1)
	s_xor_b32 s0, exec_lo, s0
	s_cbranch_execnz .LBB79_1826
.LBB79_1894:
	s_or_b32 exec_lo, exec_lo, s0
	s_and_saveexec_b32 s0, s6
	s_cbranch_execz .LBB79_1940
.LBB79_1895:
	s_sext_i32_i16 s6, s25
	s_delay_alu instid0(SALU_CYCLE_1)
	s_cmp_lt_i32 s6, 5
	s_cbranch_scc1 .LBB79_1900
; %bb.1896:
	s_cmp_lt_i32 s6, 8
	s_cbranch_scc1 .LBB79_1901
; %bb.1897:
	;; [unrolled: 3-line block ×3, first 2 shown]
	s_cmp_gt_i32 s6, 9
	s_cbranch_scc0 .LBB79_1903
; %bb.1899:
	s_wait_loadcnt 0x0
	global_load_b64 v[6:7], v[8:9], off
	s_mov_b32 s6, 0
	s_wait_loadcnt 0x0
	v_trunc_f64_e32 v[6:7], v[6:7]
	s_delay_alu instid0(VALU_DEP_1) | instskip(NEXT) | instid1(VALU_DEP_1)
	v_ldexp_f64 v[10:11], v[6:7], 0xffffffe0
	v_floor_f64_e32 v[10:11], v[10:11]
	s_delay_alu instid0(VALU_DEP_1) | instskip(SKIP_1) | instid1(VALU_DEP_2)
	v_fmamk_f64 v[6:7], v[10:11], 0xc1f00000, v[6:7]
	v_cvt_i32_f64_e32 v11, v[10:11]
	v_cvt_u32_f64_e32 v10, v[6:7]
	s_branch .LBB79_1904
.LBB79_1900:
                                        ; implicit-def: $vgpr10_vgpr11
	s_branch .LBB79_1921
.LBB79_1901:
                                        ; implicit-def: $vgpr10_vgpr11
	s_branch .LBB79_1910
.LBB79_1902:
	s_mov_b32 s6, -1
                                        ; implicit-def: $vgpr10_vgpr11
	s_branch .LBB79_1907
.LBB79_1903:
	s_mov_b32 s6, -1
                                        ; implicit-def: $vgpr10_vgpr11
.LBB79_1904:
	s_delay_alu instid0(SALU_CYCLE_1)
	s_and_not1_b32 vcc_lo, exec_lo, s6
	s_cbranch_vccnz .LBB79_1906
; %bb.1905:
	s_wait_loadcnt 0x0
	global_load_b32 v3, v[8:9], off
	s_wait_loadcnt 0x0
	v_trunc_f32_e32 v3, v3
	s_delay_alu instid0(VALU_DEP_1) | instskip(NEXT) | instid1(VALU_DEP_1)
	v_mul_f32_e64 v6, 0x2f800000, |v3|
	v_floor_f32_e32 v7, v6
	v_ashrrev_i32_e32 v6, 31, v3
	s_delay_alu instid0(VALU_DEP_2) | instskip(SKIP_1) | instid1(VALU_DEP_3)
	v_fma_f32 v10, 0xcf800000, v7, |v3|
	v_cvt_u32_f32_e32 v3, v7
	v_mov_b32_e32 v7, v6
	s_delay_alu instid0(VALU_DEP_3) | instskip(NEXT) | instid1(VALU_DEP_3)
	v_cvt_u32_f32_e32 v10, v10
	v_xor_b32_e32 v11, v3, v6
	s_delay_alu instid0(VALU_DEP_2) | instskip(NEXT) | instid1(VALU_DEP_1)
	v_xor_b32_e32 v10, v10, v6
	v_sub_nc_u64_e32 v[10:11], v[10:11], v[6:7]
.LBB79_1906:
	s_mov_b32 s6, 0
.LBB79_1907:
	s_delay_alu instid0(SALU_CYCLE_1)
	s_and_not1_b32 vcc_lo, exec_lo, s6
	s_cbranch_vccnz .LBB79_1909
; %bb.1908:
	s_wait_loadcnt 0x0
	global_load_b32 v3, v[8:9], off
	s_wait_loadcnt 0x0
	v_cvt_f32_f16_e32 v3, v3
	s_delay_alu instid0(VALU_DEP_1) | instskip(NEXT) | instid1(VALU_DEP_1)
	v_cvt_i32_f32_e32 v10, v3
	v_ashrrev_i32_e32 v11, 31, v10
.LBB79_1909:
	s_cbranch_execnz .LBB79_1920
.LBB79_1910:
	s_sext_i32_i16 s6, s25
	s_delay_alu instid0(SALU_CYCLE_1)
	s_cmp_lt_i32 s6, 6
	s_cbranch_scc1 .LBB79_1913
; %bb.1911:
	s_cmp_gt_i32 s6, 6
	s_cbranch_scc0 .LBB79_1914
; %bb.1912:
	s_wait_loadcnt 0x0
	global_load_b64 v[6:7], v[8:9], off
	s_mov_b32 s6, 0
	s_wait_loadcnt 0x0
	v_trunc_f64_e32 v[6:7], v[6:7]
	s_delay_alu instid0(VALU_DEP_1) | instskip(NEXT) | instid1(VALU_DEP_1)
	v_ldexp_f64 v[10:11], v[6:7], 0xffffffe0
	v_floor_f64_e32 v[10:11], v[10:11]
	s_delay_alu instid0(VALU_DEP_1) | instskip(SKIP_1) | instid1(VALU_DEP_2)
	v_fmamk_f64 v[6:7], v[10:11], 0xc1f00000, v[6:7]
	v_cvt_i32_f64_e32 v11, v[10:11]
	v_cvt_u32_f64_e32 v10, v[6:7]
	s_branch .LBB79_1915
.LBB79_1913:
	s_mov_b32 s6, -1
                                        ; implicit-def: $vgpr10_vgpr11
	s_branch .LBB79_1918
.LBB79_1914:
	s_mov_b32 s6, -1
                                        ; implicit-def: $vgpr10_vgpr11
.LBB79_1915:
	s_delay_alu instid0(SALU_CYCLE_1)
	s_and_not1_b32 vcc_lo, exec_lo, s6
	s_cbranch_vccnz .LBB79_1917
; %bb.1916:
	s_wait_loadcnt 0x0
	global_load_b32 v3, v[8:9], off
	s_wait_loadcnt 0x0
	v_trunc_f32_e32 v3, v3
	s_delay_alu instid0(VALU_DEP_1) | instskip(NEXT) | instid1(VALU_DEP_1)
	v_mul_f32_e64 v6, 0x2f800000, |v3|
	v_floor_f32_e32 v7, v6
	v_ashrrev_i32_e32 v6, 31, v3
	s_delay_alu instid0(VALU_DEP_2) | instskip(SKIP_1) | instid1(VALU_DEP_3)
	v_fma_f32 v10, 0xcf800000, v7, |v3|
	v_cvt_u32_f32_e32 v3, v7
	v_mov_b32_e32 v7, v6
	s_delay_alu instid0(VALU_DEP_3) | instskip(NEXT) | instid1(VALU_DEP_3)
	v_cvt_u32_f32_e32 v10, v10
	v_xor_b32_e32 v11, v3, v6
	s_delay_alu instid0(VALU_DEP_2) | instskip(NEXT) | instid1(VALU_DEP_1)
	v_xor_b32_e32 v10, v10, v6
	v_sub_nc_u64_e32 v[10:11], v[10:11], v[6:7]
.LBB79_1917:
	s_mov_b32 s6, 0
.LBB79_1918:
	s_delay_alu instid0(SALU_CYCLE_1)
	s_and_not1_b32 vcc_lo, exec_lo, s6
	s_cbranch_vccnz .LBB79_1920
; %bb.1919:
	s_wait_loadcnt 0x0
	global_load_u16 v3, v[8:9], off
	s_wait_loadcnt 0x0
	v_cvt_f32_f16_e32 v3, v3
	s_delay_alu instid0(VALU_DEP_1) | instskip(NEXT) | instid1(VALU_DEP_1)
	v_cvt_i32_f32_e32 v10, v3
	v_ashrrev_i32_e32 v11, 31, v10
.LBB79_1920:
	s_cbranch_execnz .LBB79_1939
.LBB79_1921:
	s_sext_i32_i16 s6, s25
	s_delay_alu instid0(SALU_CYCLE_1)
	s_cmp_lt_i32 s6, 2
	s_cbranch_scc1 .LBB79_1925
; %bb.1922:
	s_cmp_lt_i32 s6, 3
	s_cbranch_scc1 .LBB79_1926
; %bb.1923:
	s_cmp_gt_i32 s6, 3
	s_cbranch_scc0 .LBB79_1927
; %bb.1924:
	s_wait_loadcnt 0x0
	global_load_b64 v[10:11], v[8:9], off
	s_mov_b32 s6, 0
	s_branch .LBB79_1928
.LBB79_1925:
                                        ; implicit-def: $vgpr10_vgpr11
	s_branch .LBB79_1934
.LBB79_1926:
	s_mov_b32 s6, -1
                                        ; implicit-def: $vgpr10_vgpr11
	s_branch .LBB79_1931
.LBB79_1927:
	s_mov_b32 s6, -1
                                        ; implicit-def: $vgpr10_vgpr11
.LBB79_1928:
	s_delay_alu instid0(SALU_CYCLE_1)
	s_and_not1_b32 vcc_lo, exec_lo, s6
	s_cbranch_vccnz .LBB79_1930
; %bb.1929:
	s_wait_loadcnt 0x0
	global_load_b32 v10, v[8:9], off
	s_wait_loadcnt 0x0
	v_ashrrev_i32_e32 v11, 31, v10
.LBB79_1930:
	s_mov_b32 s6, 0
.LBB79_1931:
	s_delay_alu instid0(SALU_CYCLE_1)
	s_and_not1_b32 vcc_lo, exec_lo, s6
	s_cbranch_vccnz .LBB79_1933
; %bb.1932:
	s_wait_loadcnt 0x0
	global_load_u16 v3, v[8:9], off
	s_wait_loadcnt 0x0
	v_bfe_i32 v10, v3, 0, 16
	s_delay_alu instid0(VALU_DEP_1)
	v_ashrrev_i32_e32 v11, 31, v10
.LBB79_1933:
	s_cbranch_execnz .LBB79_1939
.LBB79_1934:
	s_sext_i32_i16 s6, s25
	s_delay_alu instid0(SALU_CYCLE_1)
	s_cmp_gt_i32 s6, 0
	s_mov_b32 s6, 0
	s_cbranch_scc0 .LBB79_1936
; %bb.1935:
	s_wait_loadcnt 0x0
	global_load_i8 v3, v[8:9], off
	s_wait_loadcnt 0x0
	v_bfe_i32 v10, v3, 0, 16
	s_delay_alu instid0(VALU_DEP_1)
	v_ashrrev_i32_e32 v11, 31, v10
	s_branch .LBB79_1937
.LBB79_1936:
	s_mov_b32 s6, -1
                                        ; implicit-def: $vgpr10_vgpr11
.LBB79_1937:
	s_delay_alu instid0(SALU_CYCLE_1)
	s_and_not1_b32 vcc_lo, exec_lo, s6
	s_cbranch_vccnz .LBB79_1939
; %bb.1938:
	s_wait_loadcnt 0x0
	global_load_u8 v3, v[8:9], off
	s_mov_b32 s6, 0
	s_delay_alu instid0(SALU_CYCLE_1)
	v_mov_b32_e32 v11, s6
	s_wait_loadcnt 0x0
	v_and_b32_e32 v10, 0xffff, v3
.LBB79_1939:
	s_or_b32 s8, s8, exec_lo
.LBB79_1940:
	s_wait_xcnt 0x0
	s_or_b32 exec_lo, exec_lo, s0
	s_mov_b32 s0, 0
	s_mov_b32 s9, 0
                                        ; implicit-def: $sgpr6
                                        ; implicit-def: $vgpr8_vgpr9
                                        ; implicit-def: $vgpr6_vgpr7
	s_and_saveexec_b32 s7, s8
	s_cbranch_execz .LBB79_1948
; %bb.1941:
	s_wait_loadcnt 0x0
	v_mul_u64_e32 v[4:5], s[20:21], v[4:5]
	v_mul_u64_e32 v[0:1], s[22:23], v[0:1]
	v_mov_b32_e32 v3, 0
	s_and_b32 s6, s42, 0xff
	s_delay_alu instid0(SALU_CYCLE_1) | instskip(NEXT) | instid1(VALU_DEP_1)
	s_cmp_lt_i32 s6, 11
	v_add_nc_u64_e32 v[8:9], s[4:5], v[2:3]
	s_delay_alu instid0(VALU_DEP_3) | instskip(NEXT) | instid1(VALU_DEP_1)
	v_mad_nc_u64_u32 v[6:7], v0, v10, v[4:5]
	v_mad_u32 v1, v1, v10, v7
	s_delay_alu instid0(VALU_DEP_1)
	v_mad_u32 v7, v0, v11, v1
	s_cbranch_scc1 .LBB79_1951
; %bb.1942:
	s_and_b32 s4, 0xffff, s6
	s_mov_b32 s5, -1
	s_cmp_gt_i32 s4, 25
	s_mov_b32 s0, s48
	s_cbranch_scc0 .LBB79_1979
; %bb.1943:
	s_cmp_gt_i32 s4, 28
	s_mov_b32 s0, s48
	s_cbranch_scc0 .LBB79_1963
; %bb.1944:
	s_cmp_gt_i32 s4, 43
	s_mov_b32 s0, s48
	s_cbranch_scc0 .LBB79_1959
; %bb.1945:
	s_cmp_gt_i32 s4, 45
	s_mov_b32 s0, s48
	s_cbranch_scc0 .LBB79_1953
; %bb.1946:
	s_cmp_eq_u32 s4, 46
	s_mov_b32 s0, -1
	s_cbranch_scc0 .LBB79_1952
; %bb.1947:
	v_xor_b32_e32 v0, v6, v7
	v_cls_i32_e32 v1, v7
	s_mov_b32 s0, 0
	s_mov_b32 s5, 0
	s_delay_alu instid0(VALU_DEP_2) | instskip(NEXT) | instid1(VALU_DEP_1)
	v_ashrrev_i32_e32 v0, 31, v0
	v_add_nc_u32_e32 v0, 32, v0
	s_delay_alu instid0(VALU_DEP_1) | instskip(NEXT) | instid1(VALU_DEP_1)
	v_add_min_u32_e64 v2, v1, -1, v0
	v_lshlrev_b64_e32 v[0:1], v2, v[6:7]
	s_delay_alu instid0(VALU_DEP_1) | instskip(NEXT) | instid1(VALU_DEP_1)
	v_min_u32_e32 v0, 1, v0
	v_dual_sub_nc_u32 v1, 32, v2 :: v_dual_bitop2_b32 v0, v1, v0 bitop3:0x54
	s_delay_alu instid0(VALU_DEP_1) | instskip(NEXT) | instid1(VALU_DEP_1)
	v_cvt_f32_i32_e32 v0, v0
	v_ldexp_f32 v0, v0, v1
	s_delay_alu instid0(VALU_DEP_1) | instskip(NEXT) | instid1(VALU_DEP_1)
	v_bfe_u32 v1, v0, 16, 1
	v_add3_u32 v0, v0, v1, 0x7fff
	s_delay_alu instid0(VALU_DEP_1)
	v_lshrrev_b32_e32 v0, 16, v0
	global_store_b32 v[8:9], v0, off
	s_branch .LBB79_1953
.LBB79_1948:
	s_or_b32 exec_lo, exec_lo, s7
	s_and_saveexec_b32 s4, s48
	s_cbranch_execnz .LBB79_2021
.LBB79_1949:
	s_or_b32 exec_lo, exec_lo, s4
	s_and_saveexec_b32 s4, s0
	s_delay_alu instid0(SALU_CYCLE_1)
	s_xor_b32 s0, exec_lo, s4
	s_cbranch_execz .LBB79_2022
.LBB79_1950:
	v_cmp_ne_u64_e32 vcc_lo, 0, v[6:7]
	s_wait_loadcnt 0x0
	v_cndmask_b32_e64 v0, 0, 1, vcc_lo
	global_store_b8 v[8:9], v0, off
	s_wait_xcnt 0x0
	s_or_b32 exec_lo, exec_lo, s0
	s_and_saveexec_b32 s0, s9
	s_delay_alu instid0(SALU_CYCLE_1)
	s_xor_b32 s0, exec_lo, s0
	s_cbranch_execz .LBB79_2060
	s_branch .LBB79_2023
.LBB79_1951:
	s_mov_b32 s8, 0
	s_mov_b32 s5, -1
	s_mov_b32 s0, s48
	s_branch .LBB79_2020
.LBB79_1952:
	s_mov_b32 s5, 0
.LBB79_1953:
	s_delay_alu instid0(SALU_CYCLE_1)
	s_and_b32 vcc_lo, exec_lo, s5
	s_cbranch_vccz .LBB79_1958
; %bb.1954:
	s_cmp_eq_u32 s4, 44
	s_mov_b32 s0, -1
	s_cbranch_scc0 .LBB79_1958
; %bb.1955:
	s_wait_xcnt 0x0
	v_xor_b32_e32 v0, v6, v7
	v_cls_i32_e32 v1, v7
	s_mov_b32 s5, exec_lo
	s_delay_alu instid0(VALU_DEP_2) | instskip(NEXT) | instid1(VALU_DEP_1)
	v_ashrrev_i32_e32 v0, 31, v0
	v_add_nc_u32_e32 v0, 32, v0
	s_delay_alu instid0(VALU_DEP_1) | instskip(NEXT) | instid1(VALU_DEP_1)
	v_add_min_u32_e64 v2, v1, -1, v0
	v_lshlrev_b64_e32 v[0:1], v2, v[6:7]
	s_delay_alu instid0(VALU_DEP_1) | instskip(NEXT) | instid1(VALU_DEP_1)
	v_min_u32_e32 v0, 1, v0
	v_dual_sub_nc_u32 v1, 32, v2 :: v_dual_bitop2_b32 v0, v1, v0 bitop3:0x54
	s_delay_alu instid0(VALU_DEP_1) | instskip(NEXT) | instid1(VALU_DEP_1)
	v_cvt_f32_i32_e32 v0, v0
	v_ldexp_f32 v0, v0, v1
	v_mov_b32_e32 v1, 0xff
	s_delay_alu instid0(VALU_DEP_2) | instskip(NEXT) | instid1(VALU_DEP_1)
	v_bfe_u32 v2, v0, 23, 8
	v_cmpx_ne_u32_e32 0xff, v2
	s_cbranch_execz .LBB79_1957
; %bb.1956:
	v_and_b32_e32 v1, 0x400000, v0
	v_and_or_b32 v2, 0x3fffff, v0, v2
	v_lshrrev_b32_e32 v0, 23, v0
	s_delay_alu instid0(VALU_DEP_3) | instskip(NEXT) | instid1(VALU_DEP_3)
	v_cmp_ne_u32_e32 vcc_lo, 0, v1
	v_cmp_ne_u32_e64 s0, 0, v2
	s_and_b32 s0, vcc_lo, s0
	s_delay_alu instid0(SALU_CYCLE_1) | instskip(NEXT) | instid1(VALU_DEP_1)
	v_cndmask_b32_e64 v1, 0, 1, s0
	v_add_nc_u32_e32 v1, v0, v1
.LBB79_1957:
	s_or_b32 exec_lo, exec_lo, s5
	s_mov_b32 s0, 0
	global_store_b8 v[8:9], v1, off
.LBB79_1958:
	s_mov_b32 s5, 0
.LBB79_1959:
	s_delay_alu instid0(SALU_CYCLE_1)
	s_and_b32 vcc_lo, exec_lo, s5
	s_cbranch_vccz .LBB79_1962
; %bb.1960:
	s_cmp_eq_u32 s4, 29
	s_mov_b32 s0, -1
	s_cbranch_scc0 .LBB79_1962
; %bb.1961:
	s_mov_b32 s0, 0
	global_store_b64 v[8:9], v[6:7], off
.LBB79_1962:
	s_mov_b32 s5, 0
.LBB79_1963:
	s_delay_alu instid0(SALU_CYCLE_1)
	s_and_b32 vcc_lo, exec_lo, s5
	s_cbranch_vccz .LBB79_1978
; %bb.1964:
	s_cmp_lt_i32 s4, 27
	s_mov_b32 s5, -1
	s_cbranch_scc1 .LBB79_1970
; %bb.1965:
	s_cmp_gt_i32 s4, 27
	s_cbranch_scc0 .LBB79_1967
; %bb.1966:
	s_mov_b32 s5, 0
	global_store_b32 v[8:9], v6, off
.LBB79_1967:
	s_and_not1_b32 vcc_lo, exec_lo, s5
	s_cbranch_vccnz .LBB79_1969
; %bb.1968:
	global_store_b16 v[8:9], v6, off
.LBB79_1969:
	s_mov_b32 s5, 0
.LBB79_1970:
	s_delay_alu instid0(SALU_CYCLE_1)
	s_and_not1_b32 vcc_lo, exec_lo, s5
	s_cbranch_vccnz .LBB79_1978
; %bb.1971:
	s_wait_xcnt 0x0
	v_xor_b32_e32 v0, v6, v7
	v_cls_i32_e32 v1, v7
	s_mov_b32 s5, exec_lo
	s_delay_alu instid0(VALU_DEP_2) | instskip(NEXT) | instid1(VALU_DEP_1)
	v_ashrrev_i32_e32 v0, 31, v0
	v_add_nc_u32_e32 v0, 32, v0
	s_delay_alu instid0(VALU_DEP_1) | instskip(NEXT) | instid1(VALU_DEP_1)
	v_add_min_u32_e64 v2, v1, -1, v0
	v_lshlrev_b64_e32 v[0:1], v2, v[6:7]
	s_delay_alu instid0(VALU_DEP_1) | instskip(NEXT) | instid1(VALU_DEP_1)
	v_min_u32_e32 v0, 1, v0
	v_dual_sub_nc_u32 v1, 32, v2 :: v_dual_bitop2_b32 v0, v1, v0 bitop3:0x54
	v_mov_b32_e32 v2, 0x80
	s_delay_alu instid0(VALU_DEP_2) | instskip(NEXT) | instid1(VALU_DEP_1)
	v_cvt_f32_i32_e32 v0, v0
	v_ldexp_f32 v0, v0, v1
	s_delay_alu instid0(VALU_DEP_1) | instskip(NEXT) | instid1(VALU_DEP_1)
	v_and_b32_e32 v1, 0x7fffffff, v0
	v_cmpx_gt_u32_e32 0x43800000, v1
	s_cbranch_execz .LBB79_1977
; %bb.1972:
	v_cmp_lt_u32_e32 vcc_lo, 0x3bffffff, v1
	s_mov_b32 s8, 0
                                        ; implicit-def: $vgpr1
	s_and_saveexec_b32 s9, vcc_lo
	s_delay_alu instid0(SALU_CYCLE_1)
	s_xor_b32 s9, exec_lo, s9
	s_cbranch_execz .LBB79_2119
; %bb.1973:
	v_bfe_u32 v1, v0, 20, 1
	s_mov_b32 s8, exec_lo
	s_delay_alu instid0(VALU_DEP_1) | instskip(NEXT) | instid1(VALU_DEP_1)
	v_add3_u32 v1, v0, v1, 0x487ffff
	v_lshrrev_b32_e32 v1, 20, v1
	s_and_not1_saveexec_b32 s9, s9
	s_cbranch_execnz .LBB79_2120
.LBB79_1974:
	s_or_b32 exec_lo, exec_lo, s9
	v_mov_b32_e32 v2, 0
	s_and_saveexec_b32 s9, s8
.LBB79_1975:
	v_lshrrev_b32_e32 v0, 24, v0
	s_delay_alu instid0(VALU_DEP_1)
	v_and_or_b32 v2, 0x80, v0, v1
.LBB79_1976:
	s_or_b32 exec_lo, exec_lo, s9
.LBB79_1977:
	s_delay_alu instid0(SALU_CYCLE_1)
	s_or_b32 exec_lo, exec_lo, s5
	global_store_b8 v[8:9], v2, off
.LBB79_1978:
	s_mov_b32 s5, 0
.LBB79_1979:
	s_delay_alu instid0(SALU_CYCLE_1)
	s_and_b32 vcc_lo, exec_lo, s5
	s_mov_b32 s5, 0
	s_cbranch_vccz .LBB79_2019
; %bb.1980:
	s_cmp_gt_i32 s4, 22
	s_mov_b32 s8, -1
	s_cbranch_scc0 .LBB79_2012
; %bb.1981:
	s_cmp_lt_i32 s4, 24
	s_cbranch_scc1 .LBB79_2001
; %bb.1982:
	s_cmp_gt_i32 s4, 24
	s_cbranch_scc0 .LBB79_1990
; %bb.1983:
	s_wait_xcnt 0x0
	v_xor_b32_e32 v0, v6, v7
	v_cls_i32_e32 v1, v7
	s_mov_b32 s8, exec_lo
	s_delay_alu instid0(VALU_DEP_2) | instskip(NEXT) | instid1(VALU_DEP_1)
	v_ashrrev_i32_e32 v0, 31, v0
	v_add_nc_u32_e32 v0, 32, v0
	s_delay_alu instid0(VALU_DEP_1) | instskip(NEXT) | instid1(VALU_DEP_1)
	v_add_min_u32_e64 v2, v1, -1, v0
	v_lshlrev_b64_e32 v[0:1], v2, v[6:7]
	s_delay_alu instid0(VALU_DEP_1) | instskip(NEXT) | instid1(VALU_DEP_1)
	v_min_u32_e32 v0, 1, v0
	v_dual_sub_nc_u32 v1, 32, v2 :: v_dual_bitop2_b32 v0, v1, v0 bitop3:0x54
	v_mov_b32_e32 v2, 0x80
	s_delay_alu instid0(VALU_DEP_2) | instskip(NEXT) | instid1(VALU_DEP_1)
	v_cvt_f32_i32_e32 v0, v0
	v_ldexp_f32 v0, v0, v1
	s_delay_alu instid0(VALU_DEP_1) | instskip(NEXT) | instid1(VALU_DEP_1)
	v_and_b32_e32 v1, 0x7fffffff, v0
	v_cmpx_gt_u32_e32 0x47800000, v1
	s_cbranch_execz .LBB79_1989
; %bb.1984:
	v_cmp_lt_u32_e32 vcc_lo, 0x37ffffff, v1
	s_mov_b32 s9, 0
                                        ; implicit-def: $vgpr1
	s_and_saveexec_b32 s10, vcc_lo
	s_delay_alu instid0(SALU_CYCLE_1)
	s_xor_b32 s10, exec_lo, s10
	s_cbranch_execz .LBB79_2240
; %bb.1985:
	v_bfe_u32 v1, v0, 21, 1
	s_mov_b32 s9, exec_lo
	s_delay_alu instid0(VALU_DEP_1) | instskip(NEXT) | instid1(VALU_DEP_1)
	v_add3_u32 v1, v0, v1, 0x88fffff
	v_lshrrev_b32_e32 v1, 21, v1
	s_and_not1_saveexec_b32 s10, s10
	s_cbranch_execnz .LBB79_2241
.LBB79_1986:
	s_or_b32 exec_lo, exec_lo, s10
	v_mov_b32_e32 v2, 0
	s_and_saveexec_b32 s10, s9
.LBB79_1987:
	v_lshrrev_b32_e32 v0, 24, v0
	s_delay_alu instid0(VALU_DEP_1)
	v_and_or_b32 v2, 0x80, v0, v1
.LBB79_1988:
	s_or_b32 exec_lo, exec_lo, s10
.LBB79_1989:
	s_delay_alu instid0(SALU_CYCLE_1)
	s_or_b32 exec_lo, exec_lo, s8
	s_mov_b32 s8, 0
	global_store_b8 v[8:9], v2, off
.LBB79_1990:
	s_and_b32 vcc_lo, exec_lo, s8
	s_cbranch_vccz .LBB79_2000
; %bb.1991:
	s_wait_xcnt 0x0
	v_xor_b32_e32 v0, v6, v7
	v_cls_i32_e32 v1, v7
	s_mov_b32 s8, exec_lo
	s_delay_alu instid0(VALU_DEP_2) | instskip(NEXT) | instid1(VALU_DEP_1)
	v_ashrrev_i32_e32 v0, 31, v0
	v_add_nc_u32_e32 v0, 32, v0
	s_delay_alu instid0(VALU_DEP_1) | instskip(NEXT) | instid1(VALU_DEP_1)
	v_add_min_u32_e64 v2, v1, -1, v0
	v_lshlrev_b64_e32 v[0:1], v2, v[6:7]
	s_delay_alu instid0(VALU_DEP_1) | instskip(NEXT) | instid1(VALU_DEP_1)
	v_min_u32_e32 v0, 1, v0
	v_dual_sub_nc_u32 v1, 32, v2 :: v_dual_bitop2_b32 v0, v1, v0 bitop3:0x54
	s_delay_alu instid0(VALU_DEP_1) | instskip(NEXT) | instid1(VALU_DEP_1)
	v_cvt_f32_i32_e32 v0, v0
	v_ldexp_f32 v0, v0, v1
                                        ; implicit-def: $vgpr1
	s_delay_alu instid0(VALU_DEP_1) | instskip(NEXT) | instid1(VALU_DEP_1)
	v_and_b32_e32 v2, 0x7fffffff, v0
	v_cmpx_gt_u32_e32 0x43f00000, v2
	s_xor_b32 s8, exec_lo, s8
	s_cbranch_execz .LBB79_1997
; %bb.1992:
	s_mov_b32 s9, exec_lo
                                        ; implicit-def: $vgpr1
	v_cmpx_lt_u32_e32 0x3c7fffff, v2
	s_xor_b32 s9, exec_lo, s9
; %bb.1993:
	v_bfe_u32 v1, v0, 20, 1
	s_delay_alu instid0(VALU_DEP_1) | instskip(NEXT) | instid1(VALU_DEP_1)
	v_add3_u32 v1, v0, v1, 0x407ffff
	v_and_b32_e32 v2, 0xff00000, v1
	v_lshrrev_b32_e32 v1, 20, v1
	s_delay_alu instid0(VALU_DEP_2) | instskip(NEXT) | instid1(VALU_DEP_2)
	v_cmp_ne_u32_e32 vcc_lo, 0x7f00000, v2
	v_cndmask_b32_e32 v1, 0x7e, v1, vcc_lo
; %bb.1994:
	s_and_not1_saveexec_b32 s9, s9
; %bb.1995:
	v_add_f32_e64 v1, 0x46800000, |v0|
; %bb.1996:
	s_or_b32 exec_lo, exec_lo, s9
                                        ; implicit-def: $vgpr2
.LBB79_1997:
	s_and_not1_saveexec_b32 s8, s8
; %bb.1998:
	v_mov_b32_e32 v1, 0x7f
	v_cmp_lt_u32_e32 vcc_lo, 0x7f800000, v2
	s_delay_alu instid0(VALU_DEP_2)
	v_cndmask_b32_e32 v1, 0x7e, v1, vcc_lo
; %bb.1999:
	s_or_b32 exec_lo, exec_lo, s8
	v_lshrrev_b32_e32 v0, 24, v0
	s_delay_alu instid0(VALU_DEP_1)
	v_and_or_b32 v0, 0x80, v0, v1
	global_store_b8 v[8:9], v0, off
.LBB79_2000:
	s_mov_b32 s8, 0
.LBB79_2001:
	s_delay_alu instid0(SALU_CYCLE_1)
	s_and_not1_b32 vcc_lo, exec_lo, s8
	s_cbranch_vccnz .LBB79_2011
; %bb.2002:
	s_wait_xcnt 0x0
	v_xor_b32_e32 v0, v6, v7
	v_cls_i32_e32 v1, v7
	s_mov_b32 s8, exec_lo
	s_delay_alu instid0(VALU_DEP_2) | instskip(NEXT) | instid1(VALU_DEP_1)
	v_ashrrev_i32_e32 v0, 31, v0
	v_add_nc_u32_e32 v0, 32, v0
	s_delay_alu instid0(VALU_DEP_1) | instskip(NEXT) | instid1(VALU_DEP_1)
	v_add_min_u32_e64 v2, v1, -1, v0
	v_lshlrev_b64_e32 v[0:1], v2, v[6:7]
	s_delay_alu instid0(VALU_DEP_1) | instskip(NEXT) | instid1(VALU_DEP_1)
	v_min_u32_e32 v0, 1, v0
	v_dual_sub_nc_u32 v1, 32, v2 :: v_dual_bitop2_b32 v0, v1, v0 bitop3:0x54
	s_delay_alu instid0(VALU_DEP_1) | instskip(NEXT) | instid1(VALU_DEP_1)
	v_cvt_f32_i32_e32 v0, v0
	v_ldexp_f32 v0, v0, v1
                                        ; implicit-def: $vgpr1
	s_delay_alu instid0(VALU_DEP_1) | instskip(NEXT) | instid1(VALU_DEP_1)
	v_and_b32_e32 v2, 0x7fffffff, v0
	v_cmpx_gt_u32_e32 0x47800000, v2
	s_xor_b32 s8, exec_lo, s8
	s_cbranch_execz .LBB79_2008
; %bb.2003:
	s_mov_b32 s9, exec_lo
                                        ; implicit-def: $vgpr1
	v_cmpx_lt_u32_e32 0x387fffff, v2
	s_xor_b32 s9, exec_lo, s9
; %bb.2004:
	v_bfe_u32 v1, v0, 21, 1
	s_delay_alu instid0(VALU_DEP_1) | instskip(NEXT) | instid1(VALU_DEP_1)
	v_add3_u32 v1, v0, v1, 0x80fffff
	v_lshrrev_b32_e32 v1, 21, v1
; %bb.2005:
	s_and_not1_saveexec_b32 s9, s9
; %bb.2006:
	v_add_f32_e64 v1, 0x43000000, |v0|
; %bb.2007:
	s_or_b32 exec_lo, exec_lo, s9
                                        ; implicit-def: $vgpr2
.LBB79_2008:
	s_and_not1_saveexec_b32 s8, s8
; %bb.2009:
	v_mov_b32_e32 v1, 0x7f
	v_cmp_lt_u32_e32 vcc_lo, 0x7f800000, v2
	s_delay_alu instid0(VALU_DEP_2)
	v_cndmask_b32_e32 v1, 0x7c, v1, vcc_lo
; %bb.2010:
	s_or_b32 exec_lo, exec_lo, s8
	v_lshrrev_b32_e32 v0, 24, v0
	s_delay_alu instid0(VALU_DEP_1)
	v_and_or_b32 v0, 0x80, v0, v1
	global_store_b8 v[8:9], v0, off
.LBB79_2011:
	s_mov_b32 s8, 0
.LBB79_2012:
	s_delay_alu instid0(SALU_CYCLE_1)
	s_and_not1_b32 vcc_lo, exec_lo, s8
	s_mov_b32 s8, 0
	s_cbranch_vccnz .LBB79_2020
; %bb.2013:
	s_cmp_gt_i32 s4, 14
	s_mov_b32 s8, -1
	s_cbranch_scc0 .LBB79_2017
; %bb.2014:
	s_cmp_eq_u32 s4, 15
	s_mov_b32 s0, -1
	s_cbranch_scc0 .LBB79_2016
; %bb.2015:
	s_wait_xcnt 0x0
	v_xor_b32_e32 v0, v6, v7
	v_cls_i32_e32 v1, v7
	s_mov_b32 s0, 0
	s_delay_alu instid0(VALU_DEP_2) | instskip(NEXT) | instid1(VALU_DEP_1)
	v_ashrrev_i32_e32 v0, 31, v0
	v_add_nc_u32_e32 v0, 32, v0
	s_delay_alu instid0(VALU_DEP_1) | instskip(NEXT) | instid1(VALU_DEP_1)
	v_add_min_u32_e64 v2, v1, -1, v0
	v_lshlrev_b64_e32 v[0:1], v2, v[6:7]
	s_delay_alu instid0(VALU_DEP_1) | instskip(NEXT) | instid1(VALU_DEP_1)
	v_min_u32_e32 v0, 1, v0
	v_dual_sub_nc_u32 v1, 32, v2 :: v_dual_bitop2_b32 v0, v1, v0 bitop3:0x54
	s_delay_alu instid0(VALU_DEP_1) | instskip(NEXT) | instid1(VALU_DEP_1)
	v_cvt_f32_i32_e32 v0, v0
	v_ldexp_f32 v0, v0, v1
	s_delay_alu instid0(VALU_DEP_1) | instskip(NEXT) | instid1(VALU_DEP_1)
	v_bfe_u32 v1, v0, 16, 1
	v_add3_u32 v0, v0, v1, 0x7fff
	global_store_d16_hi_b16 v[8:9], v0, off
.LBB79_2016:
	s_mov_b32 s8, 0
.LBB79_2017:
	s_delay_alu instid0(SALU_CYCLE_1)
	s_and_b32 vcc_lo, exec_lo, s8
	s_mov_b32 s8, 0
	s_cbranch_vccz .LBB79_2020
; %bb.2018:
	s_cmp_lg_u32 s4, 11
	s_mov_b32 s8, -1
	s_cselect_b32 s4, -1, 0
	s_and_not1_b32 s0, s0, exec_lo
	s_and_b32 s4, s4, exec_lo
	s_delay_alu instid0(SALU_CYCLE_1)
	s_or_b32 s0, s0, s4
	s_branch .LBB79_2020
.LBB79_2019:
	s_mov_b32 s8, 0
.LBB79_2020:
	s_and_b32 s9, s5, exec_lo
	s_and_not1_b32 s4, s48, exec_lo
	s_and_b32 s5, s0, exec_lo
	s_and_b32 s0, s8, exec_lo
	s_or_b32 s48, s4, s5
	s_wait_xcnt 0x0
	s_or_b32 exec_lo, exec_lo, s7
	s_and_saveexec_b32 s4, s48
	s_cbranch_execz .LBB79_1949
.LBB79_2021:
	s_or_b32 s1, s1, exec_lo
	s_and_not1_b32 s0, s0, exec_lo
	s_trap 2
	s_or_b32 exec_lo, exec_lo, s4
	s_and_saveexec_b32 s4, s0
	s_delay_alu instid0(SALU_CYCLE_1)
	s_xor_b32 s0, exec_lo, s4
	s_cbranch_execnz .LBB79_1950
.LBB79_2022:
	s_or_b32 exec_lo, exec_lo, s0
	s_and_saveexec_b32 s0, s9
	s_delay_alu instid0(SALU_CYCLE_1)
	s_xor_b32 s0, exec_lo, s0
	s_cbranch_execz .LBB79_2060
.LBB79_2023:
	s_sext_i32_i16 s5, s6
	s_mov_b32 s4, -1
	s_cmp_lt_i32 s5, 5
	s_cbranch_scc1 .LBB79_2044
; %bb.2024:
	s_cmp_lt_i32 s5, 8
	s_cbranch_scc1 .LBB79_2034
; %bb.2025:
	;; [unrolled: 3-line block ×3, first 2 shown]
	s_cmp_gt_i32 s5, 9
	s_cbranch_scc0 .LBB79_2028
; %bb.2027:
	s_wait_loadcnt 0x0
	v_cvt_f64_i32_e32 v[0:1], v7
	v_cvt_f64_u32_e32 v[2:3], v6
	s_mov_b32 s4, 0
	s_delay_alu instid0(VALU_DEP_2) | instskip(NEXT) | instid1(VALU_DEP_1)
	v_ldexp_f64 v[0:1], v[0:1], 32
	v_dual_add_f64 v[0:1], v[0:1], v[2:3] :: v_dual_mov_b32 v2, 0
	s_delay_alu instid0(VALU_DEP_1)
	v_mov_b32_e32 v3, v2
	global_store_b128 v[8:9], v[0:3], off
.LBB79_2028:
	s_and_not1_b32 vcc_lo, exec_lo, s4
	s_cbranch_vccnz .LBB79_2030
; %bb.2029:
	s_wait_loadcnt 0x0
	v_xor_b32_e32 v0, v6, v7
	v_cls_i32_e32 v1, v7
	s_delay_alu instid0(VALU_DEP_2) | instskip(NEXT) | instid1(VALU_DEP_1)
	v_ashrrev_i32_e32 v0, 31, v0
	v_add_nc_u32_e32 v0, 32, v0
	s_delay_alu instid0(VALU_DEP_1) | instskip(NEXT) | instid1(VALU_DEP_1)
	v_add_min_u32_e64 v2, v1, -1, v0
	v_lshlrev_b64_e32 v[0:1], v2, v[6:7]
	s_delay_alu instid0(VALU_DEP_1) | instskip(NEXT) | instid1(VALU_DEP_1)
	v_min_u32_e32 v0, 1, v0
	v_dual_sub_nc_u32 v1, 32, v2 :: v_dual_bitop2_b32 v0, v1, v0 bitop3:0x54
	s_delay_alu instid0(VALU_DEP_1) | instskip(NEXT) | instid1(VALU_DEP_1)
	v_cvt_f32_i32_e32 v0, v0
	v_ldexp_f32 v0, v0, v1
	v_mov_b32_e32 v1, 0
	global_store_b64 v[8:9], v[0:1], off
.LBB79_2030:
	s_mov_b32 s4, 0
.LBB79_2031:
	s_delay_alu instid0(SALU_CYCLE_1)
	s_and_not1_b32 vcc_lo, exec_lo, s4
	s_cbranch_vccnz .LBB79_2033
; %bb.2032:
	s_wait_loadcnt 0x0
	v_xor_b32_e32 v0, v6, v7
	v_cls_i32_e32 v1, v7
	s_delay_alu instid0(VALU_DEP_2) | instskip(NEXT) | instid1(VALU_DEP_1)
	v_ashrrev_i32_e32 v0, 31, v0
	v_add_nc_u32_e32 v0, 32, v0
	s_delay_alu instid0(VALU_DEP_1) | instskip(NEXT) | instid1(VALU_DEP_1)
	v_add_min_u32_e64 v2, v1, -1, v0
	v_lshlrev_b64_e32 v[0:1], v2, v[6:7]
	s_delay_alu instid0(VALU_DEP_1) | instskip(NEXT) | instid1(VALU_DEP_1)
	v_min_u32_e32 v0, 1, v0
	v_dual_sub_nc_u32 v1, 32, v2 :: v_dual_bitop2_b32 v0, v1, v0 bitop3:0x54
	s_delay_alu instid0(VALU_DEP_1) | instskip(NEXT) | instid1(VALU_DEP_1)
	v_cvt_f32_i32_e32 v0, v0
	v_ldexp_f32 v0, v0, v1
	s_delay_alu instid0(VALU_DEP_1) | instskip(NEXT) | instid1(VALU_DEP_1)
	v_cvt_f16_f32_e32 v0, v0
	v_and_b32_e32 v0, 0xffff, v0
	global_store_b32 v[8:9], v0, off
.LBB79_2033:
	s_mov_b32 s4, 0
.LBB79_2034:
	s_delay_alu instid0(SALU_CYCLE_1)
	s_and_not1_b32 vcc_lo, exec_lo, s4
	s_cbranch_vccnz .LBB79_2043
; %bb.2035:
	s_sext_i32_i16 s5, s6
	s_mov_b32 s4, -1
	s_cmp_lt_i32 s5, 6
	s_cbranch_scc1 .LBB79_2041
; %bb.2036:
	s_cmp_gt_i32 s5, 6
	s_cbranch_scc0 .LBB79_2038
; %bb.2037:
	s_wait_loadcnt 0x0
	v_cvt_f64_i32_e32 v[0:1], v7
	v_cvt_f64_u32_e32 v[2:3], v6
	s_mov_b32 s4, 0
	s_delay_alu instid0(VALU_DEP_2) | instskip(NEXT) | instid1(VALU_DEP_1)
	v_ldexp_f64 v[0:1], v[0:1], 32
	v_add_f64_e32 v[0:1], v[0:1], v[2:3]
	global_store_b64 v[8:9], v[0:1], off
.LBB79_2038:
	s_and_not1_b32 vcc_lo, exec_lo, s4
	s_cbranch_vccnz .LBB79_2040
; %bb.2039:
	s_wait_loadcnt 0x0
	v_xor_b32_e32 v0, v6, v7
	v_cls_i32_e32 v1, v7
	s_delay_alu instid0(VALU_DEP_2) | instskip(NEXT) | instid1(VALU_DEP_1)
	v_ashrrev_i32_e32 v0, 31, v0
	v_add_nc_u32_e32 v0, 32, v0
	s_delay_alu instid0(VALU_DEP_1) | instskip(NEXT) | instid1(VALU_DEP_1)
	v_add_min_u32_e64 v2, v1, -1, v0
	v_lshlrev_b64_e32 v[0:1], v2, v[6:7]
	s_delay_alu instid0(VALU_DEP_1) | instskip(NEXT) | instid1(VALU_DEP_1)
	v_min_u32_e32 v0, 1, v0
	v_dual_sub_nc_u32 v1, 32, v2 :: v_dual_bitop2_b32 v0, v1, v0 bitop3:0x54
	s_delay_alu instid0(VALU_DEP_1) | instskip(NEXT) | instid1(VALU_DEP_1)
	v_cvt_f32_i32_e32 v0, v0
	v_ldexp_f32 v0, v0, v1
	global_store_b32 v[8:9], v0, off
.LBB79_2040:
	s_mov_b32 s4, 0
.LBB79_2041:
	s_delay_alu instid0(SALU_CYCLE_1)
	s_and_not1_b32 vcc_lo, exec_lo, s4
	s_cbranch_vccnz .LBB79_2043
; %bb.2042:
	s_wait_loadcnt 0x0
	v_xor_b32_e32 v0, v6, v7
	v_cls_i32_e32 v1, v7
	s_delay_alu instid0(VALU_DEP_2) | instskip(NEXT) | instid1(VALU_DEP_1)
	v_ashrrev_i32_e32 v0, 31, v0
	v_add_nc_u32_e32 v0, 32, v0
	s_delay_alu instid0(VALU_DEP_1) | instskip(NEXT) | instid1(VALU_DEP_1)
	v_add_min_u32_e64 v2, v1, -1, v0
	v_lshlrev_b64_e32 v[0:1], v2, v[6:7]
	s_delay_alu instid0(VALU_DEP_1) | instskip(NEXT) | instid1(VALU_DEP_1)
	v_min_u32_e32 v0, 1, v0
	v_dual_sub_nc_u32 v1, 32, v2 :: v_dual_bitop2_b32 v0, v1, v0 bitop3:0x54
	s_delay_alu instid0(VALU_DEP_1) | instskip(NEXT) | instid1(VALU_DEP_1)
	v_cvt_f32_i32_e32 v0, v0
	v_ldexp_f32 v0, v0, v1
	s_delay_alu instid0(VALU_DEP_1)
	v_cvt_f16_f32_e32 v0, v0
	global_store_b16 v[8:9], v0, off
.LBB79_2043:
	s_mov_b32 s4, 0
.LBB79_2044:
	s_delay_alu instid0(SALU_CYCLE_1)
	s_and_not1_b32 vcc_lo, exec_lo, s4
	s_cbranch_vccnz .LBB79_2060
; %bb.2045:
	s_sext_i32_i16 s5, s6
	s_mov_b32 s4, -1
	s_cmp_lt_i32 s5, 2
	s_cbranch_scc1 .LBB79_2055
; %bb.2046:
	s_cmp_lt_i32 s5, 3
	s_cbranch_scc1 .LBB79_2052
; %bb.2047:
	s_cmp_gt_i32 s5, 3
	s_cbranch_scc0 .LBB79_2049
; %bb.2048:
	s_mov_b32 s4, 0
	s_wait_loadcnt 0x0
	global_store_b64 v[8:9], v[6:7], off
.LBB79_2049:
	s_and_not1_b32 vcc_lo, exec_lo, s4
	s_cbranch_vccnz .LBB79_2051
; %bb.2050:
	s_wait_loadcnt 0x0
	global_store_b32 v[8:9], v6, off
.LBB79_2051:
	s_mov_b32 s4, 0
.LBB79_2052:
	s_delay_alu instid0(SALU_CYCLE_1)
	s_and_not1_b32 vcc_lo, exec_lo, s4
	s_cbranch_vccnz .LBB79_2054
; %bb.2053:
	s_wait_loadcnt 0x0
	global_store_b16 v[8:9], v6, off
.LBB79_2054:
	s_mov_b32 s4, 0
.LBB79_2055:
	s_delay_alu instid0(SALU_CYCLE_1)
	s_and_not1_b32 vcc_lo, exec_lo, s4
	s_cbranch_vccnz .LBB79_2060
; %bb.2056:
	s_sext_i32_i16 s4, s6
	s_delay_alu instid0(SALU_CYCLE_1)
	s_cmp_gt_i32 s4, 0
	s_mov_b32 s4, -1
	s_cbranch_scc0 .LBB79_2058
; %bb.2057:
	s_mov_b32 s4, 0
	s_wait_loadcnt 0x0
	global_store_b8 v[8:9], v6, off
.LBB79_2058:
	s_and_not1_b32 vcc_lo, exec_lo, s4
	s_cbranch_vccnz .LBB79_2060
; %bb.2059:
	s_wait_loadcnt 0x0
	global_store_b8 v[8:9], v6, off
.LBB79_2060:
	s_wait_xcnt 0x0
	s_or_b32 exec_lo, exec_lo, s0
	s_delay_alu instid0(SALU_CYCLE_1)
	s_and_b32 s12, s1, exec_lo
                                        ; implicit-def: $vgpr1
                                        ; implicit-def: $vgpr0
.LBB79_2061:
	s_or_saveexec_b32 s13, s41
	s_mov_b32 s0, 0
                                        ; implicit-def: $vgpr2_vgpr3
                                        ; implicit-def: $sgpr1
                                        ; implicit-def: $vgpr4_vgpr5
	s_xor_b32 exec_lo, exec_lo, s13
	s_cbranch_execz .LBB79_4060
; %bb.2062:
	v_cndmask_b32_e64 v3, 0, 1, s40
	s_and_not1_b32 vcc_lo, exec_lo, s40
	s_cbranch_vccnz .LBB79_2068
; %bb.2063:
	s_cmp_lg_u32 s33, 0
	s_mov_b32 s6, 0
	s_cbranch_scc0 .LBB79_2072
; %bb.2064:
	s_min_u32 s7, s38, 15
	s_wait_loadcnt 0x0
	v_dual_mov_b32 v12, 0 :: v_dual_mov_b32 v2, v0
	v_dual_mov_b32 v16, 0 :: v_dual_mov_b32 v6, 0
	v_mov_b32_e32 v8, 0
	s_add_co_i32 s4, s7, 1
	s_mov_b64 s[0:1], 0xffffffffffffffe0
	s_and_b32 s8, s4, 30
	s_add_nc_u64 s[0:1], s[2:3], s[0:1]
	s_mov_b64 s[4:5], s[2:3]
.LBB79_2065:                            ; =>This Inner Loop Header: Depth=1
	s_clause 0x1
	s_load_b128 s[24:27], s[4:5], 0x4
	s_load_b64 s[10:11], s[4:5], 0x14
	s_load_b256 s[16:23], s[0:1], 0xe4
	s_add_co_i32 s8, s8, -2
	s_wait_xcnt 0x0
	s_add_nc_u64 s[4:5], s[4:5], 24
	s_cmp_lg_u32 s8, 0
	s_add_nc_u64 s[0:1], s[0:1], 32
	s_wait_kmcnt 0x0
	v_mul_hi_u32 v4, s25, v2
	s_delay_alu instid0(VALU_DEP_1) | instskip(NEXT) | instid1(VALU_DEP_1)
	v_add_nc_u32_e32 v4, v2, v4
	v_lshrrev_b32_e32 v4, s26, v4
	s_delay_alu instid0(VALU_DEP_1) | instskip(SKIP_1) | instid1(VALU_DEP_1)
	v_mul_hi_u32 v5, s10, v4
	v_mul_lo_u32 v7, v4, s24
	v_dual_add_nc_u32 v5, v4, v5 :: v_dual_sub_nc_u32 v7, v2, v7
	s_delay_alu instid0(VALU_DEP_1) | instskip(NEXT) | instid1(VALU_DEP_2)
	v_lshrrev_b32_e32 v2, s11, v5
	v_mad_u32 v8, v7, s17, v8
	v_mad_u32 v6, v7, s16, v6
	;; [unrolled: 1-line block ×4, first 2 shown]
	v_mul_lo_u32 v5, v2, s27
	s_delay_alu instid0(VALU_DEP_1) | instskip(NEXT) | instid1(VALU_DEP_1)
	v_sub_nc_u32_e32 v4, v4, v5
	v_mad_u32 v8, v4, s21, v8
	v_mad_u32 v6, v4, s20, v6
	;; [unrolled: 1-line block ×4, first 2 shown]
	s_cbranch_scc1 .LBB79_2065
; %bb.2066:
	s_bitcmp1_b32 s7, 0
	s_cselect_b32 s7, -1, 0
	s_delay_alu instid0(SALU_CYCLE_1)
	s_and_b32 vcc_lo, exec_lo, s7
	s_cbranch_vccnz .LBB79_2069
; %bb.2067:
	s_load_b96 s[16:18], s[4:5], 0x4
	s_load_b128 s[8:11], s[0:1], 0xe4
	s_wait_kmcnt 0x0
	v_mul_hi_u32 v4, s17, v2
	s_delay_alu instid0(VALU_DEP_1) | instskip(NEXT) | instid1(VALU_DEP_1)
	v_add_nc_u32_e32 v4, v2, v4
	v_lshrrev_b32_e32 v4, s18, v4
	s_delay_alu instid0(VALU_DEP_1) | instskip(NEXT) | instid1(VALU_DEP_1)
	v_mul_lo_u32 v4, v4, s16
	v_sub_nc_u32_e32 v2, v2, v4
	s_delay_alu instid0(VALU_DEP_1)
	v_mad_u32 v6, v2, s8, v6
	v_mad_u32 v8, v2, s9, v8
	;; [unrolled: 1-line block ×4, first 2 shown]
	s_and_not1_b32 vcc_lo, exec_lo, s6
	s_cbranch_vccz .LBB79_2070
	s_branch .LBB79_2073
.LBB79_2068:
	s_mov_b32 s6, -1
                                        ; implicit-def: $vgpr8
                                        ; implicit-def: $vgpr6
                                        ; implicit-def: $vgpr16
                                        ; implicit-def: $vgpr12
.LBB79_2069:
	s_delay_alu instid0(SALU_CYCLE_1)
	s_and_not1_b32 vcc_lo, exec_lo, s6
	s_cbranch_vccnz .LBB79_2073
.LBB79_2070:
	s_clause 0x1
	s_load_b96 s[8:10], s[2:3], 0x4
	s_load_b128 s[4:7], s[2:3], 0xc4
	s_cmp_lt_u32 s33, 2
	s_wait_loadcnt 0x0
	s_wait_kmcnt 0x0
	v_mul_hi_u32 v2, s9, v0
	s_delay_alu instid0(VALU_DEP_1) | instskip(NEXT) | instid1(VALU_DEP_1)
	v_add_nc_u32_e32 v2, v0, v2
	v_lshrrev_b32_e32 v2, s10, v2
	s_delay_alu instid0(VALU_DEP_1) | instskip(NEXT) | instid1(VALU_DEP_1)
	v_mul_lo_u32 v4, v2, s8
	v_sub_nc_u32_e32 v4, v0, v4
	s_delay_alu instid0(VALU_DEP_1)
	v_mul_lo_u32 v8, v4, s5
	v_mul_lo_u32 v6, v4, s4
	;; [unrolled: 1-line block ×4, first 2 shown]
	s_cbranch_scc1 .LBB79_2073
; %bb.2071:
	s_clause 0x1
	s_load_b96 s[8:10], s[2:3], 0x10
	s_load_b128 s[4:7], s[2:3], 0xd4
	s_wait_kmcnt 0x0
	v_mul_hi_u32 v4, s9, v2
	s_delay_alu instid0(VALU_DEP_1) | instskip(NEXT) | instid1(VALU_DEP_1)
	v_add_nc_u32_e32 v4, v2, v4
	v_lshrrev_b32_e32 v4, s10, v4
	s_delay_alu instid0(VALU_DEP_1) | instskip(NEXT) | instid1(VALU_DEP_1)
	v_mul_lo_u32 v4, v4, s8
	v_sub_nc_u32_e32 v2, v2, v4
	s_delay_alu instid0(VALU_DEP_1)
	v_mad_u32 v6, v2, s4, v6
	v_mad_u32 v8, v2, s5, v8
	;; [unrolled: 1-line block ×4, first 2 shown]
	s_branch .LBB79_2073
.LBB79_2072:
	s_wait_loadcnt 0x0
	v_dual_mov_b32 v8, 0 :: v_dual_mov_b32 v6, 0
	v_dual_mov_b32 v16, 0 :: v_dual_mov_b32 v12, 0
	s_and_not1_b32 vcc_lo, exec_lo, s6
	s_cbranch_vccz .LBB79_2070
.LBB79_2073:
	v_cmp_ne_u32_e32 vcc_lo, 1, v3
	s_wait_loadcnt 0x0
	v_add_nc_u32_e32 v2, 0x80, v0
	s_cbranch_vccnz .LBB79_2079
; %bb.2074:
	s_cmp_lg_u32 s33, 0
	s_mov_b32 s6, 0
	s_cbranch_scc0 .LBB79_2083
; %bb.2075:
	s_min_u32 s7, s38, 15
	v_dual_mov_b32 v22, 0 :: v_dual_mov_b32 v5, v2
	v_dual_mov_b32 v26, 0 :: v_dual_mov_b32 v4, 0
	v_mov_b32_e32 v18, 0
	s_add_co_i32 s4, s7, 1
	s_mov_b64 s[0:1], 0xffffffffffffffe0
	s_and_b32 s8, s4, 30
	s_add_nc_u64 s[0:1], s[2:3], s[0:1]
	s_mov_b64 s[4:5], s[2:3]
.LBB79_2076:                            ; =>This Inner Loop Header: Depth=1
	s_clause 0x1
	s_load_b128 s[24:27], s[4:5], 0x4
	s_load_b64 s[10:11], s[4:5], 0x14
	s_load_b256 s[16:23], s[0:1], 0xe4
	s_add_co_i32 s8, s8, -2
	s_wait_xcnt 0x0
	s_add_nc_u64 s[4:5], s[4:5], 24
	s_cmp_lg_u32 s8, 0
	s_add_nc_u64 s[0:1], s[0:1], 32
	s_wait_kmcnt 0x0
	v_mul_hi_u32 v7, s25, v5
	s_delay_alu instid0(VALU_DEP_1) | instskip(NEXT) | instid1(VALU_DEP_1)
	v_add_nc_u32_e32 v7, v5, v7
	v_lshrrev_b32_e32 v7, s26, v7
	s_delay_alu instid0(VALU_DEP_1) | instskip(SKIP_1) | instid1(VALU_DEP_1)
	v_mul_hi_u32 v9, s10, v7
	v_mul_lo_u32 v10, v7, s24
	v_dual_add_nc_u32 v9, v7, v9 :: v_dual_sub_nc_u32 v10, v5, v10
	s_delay_alu instid0(VALU_DEP_1) | instskip(NEXT) | instid1(VALU_DEP_2)
	v_lshrrev_b32_e32 v5, s11, v9
	v_mad_u32 v11, v10, s17, v18
	v_mad_u32 v4, v10, s16, v4
	;; [unrolled: 1-line block ×4, first 2 shown]
	v_mul_lo_u32 v9, v5, s27
	s_delay_alu instid0(VALU_DEP_1) | instskip(NEXT) | instid1(VALU_DEP_1)
	v_sub_nc_u32_e32 v7, v7, v9
	v_mad_u32 v18, v7, s21, v11
	v_mad_u32 v4, v7, s20, v4
	;; [unrolled: 1-line block ×4, first 2 shown]
	s_cbranch_scc1 .LBB79_2076
; %bb.2077:
	s_bitcmp1_b32 s7, 0
	s_cselect_b32 s7, -1, 0
	s_delay_alu instid0(SALU_CYCLE_1)
	s_and_b32 vcc_lo, exec_lo, s7
	s_cbranch_vccnz .LBB79_2080
; %bb.2078:
	s_load_b96 s[16:18], s[4:5], 0x4
	s_load_b128 s[8:11], s[0:1], 0xe4
	s_wait_kmcnt 0x0
	v_mul_hi_u32 v7, s17, v5
	s_delay_alu instid0(VALU_DEP_1) | instskip(NEXT) | instid1(VALU_DEP_1)
	v_add_nc_u32_e32 v7, v5, v7
	v_lshrrev_b32_e32 v7, s18, v7
	s_delay_alu instid0(VALU_DEP_1) | instskip(NEXT) | instid1(VALU_DEP_1)
	v_mul_lo_u32 v7, v7, s16
	v_sub_nc_u32_e32 v5, v5, v7
	s_delay_alu instid0(VALU_DEP_1)
	v_mad_u32 v4, v5, s8, v4
	v_mad_u32 v18, v5, s9, v18
	;; [unrolled: 1-line block ×4, first 2 shown]
	s_and_not1_b32 vcc_lo, exec_lo, s6
	s_cbranch_vccz .LBB79_2081
	s_branch .LBB79_2084
.LBB79_2079:
	s_mov_b32 s6, -1
                                        ; implicit-def: $vgpr18
                                        ; implicit-def: $vgpr4
                                        ; implicit-def: $vgpr26
                                        ; implicit-def: $vgpr22
.LBB79_2080:
	s_delay_alu instid0(SALU_CYCLE_1)
	s_and_not1_b32 vcc_lo, exec_lo, s6
	s_cbranch_vccnz .LBB79_2084
.LBB79_2081:
	s_clause 0x1
	s_load_b96 s[8:10], s[2:3], 0x4
	s_load_b128 s[4:7], s[2:3], 0xc4
	s_cmp_lt_u32 s33, 2
	s_wait_kmcnt 0x0
	v_mul_hi_u32 v4, s9, v2
	s_delay_alu instid0(VALU_DEP_1) | instskip(NEXT) | instid1(VALU_DEP_1)
	v_add_nc_u32_e32 v4, v2, v4
	v_lshrrev_b32_e32 v5, s10, v4
	s_delay_alu instid0(VALU_DEP_1) | instskip(NEXT) | instid1(VALU_DEP_1)
	v_mul_lo_u32 v4, v5, s8
	v_sub_nc_u32_e32 v2, v2, v4
	s_delay_alu instid0(VALU_DEP_1)
	v_mul_lo_u32 v18, v2, s5
	v_mul_lo_u32 v4, v2, s4
	;; [unrolled: 1-line block ×4, first 2 shown]
	s_cbranch_scc1 .LBB79_2084
; %bb.2082:
	s_clause 0x1
	s_load_b96 s[8:10], s[2:3], 0x10
	s_load_b128 s[4:7], s[2:3], 0xd4
	s_wait_kmcnt 0x0
	v_mul_hi_u32 v2, s9, v5
	s_delay_alu instid0(VALU_DEP_1) | instskip(NEXT) | instid1(VALU_DEP_1)
	v_add_nc_u32_e32 v2, v5, v2
	v_lshrrev_b32_e32 v2, s10, v2
	s_delay_alu instid0(VALU_DEP_1) | instskip(NEXT) | instid1(VALU_DEP_1)
	v_mul_lo_u32 v2, v2, s8
	v_sub_nc_u32_e32 v2, v5, v2
	s_delay_alu instid0(VALU_DEP_1)
	v_mad_u32 v4, v2, s4, v4
	v_mad_u32 v18, v2, s5, v18
	;; [unrolled: 1-line block ×4, first 2 shown]
	s_branch .LBB79_2084
.LBB79_2083:
	v_dual_mov_b32 v18, 0 :: v_dual_mov_b32 v4, 0
	v_dual_mov_b32 v26, 0 :: v_dual_mov_b32 v22, 0
	s_and_not1_b32 vcc_lo, exec_lo, s6
	s_cbranch_vccz .LBB79_2081
.LBB79_2084:
	v_cmp_ne_u32_e32 vcc_lo, 1, v3
	v_add_nc_u32_e32 v0, 0x100, v0
	s_cbranch_vccnz .LBB79_2090
; %bb.2085:
	s_cmp_lg_u32 s33, 0
	s_mov_b32 s6, 0
	s_cbranch_scc0 .LBB79_2094
; %bb.2086:
	s_min_u32 s7, s38, 15
	v_dual_mov_b32 v30, 0 :: v_dual_mov_b32 v5, v0
	v_dual_mov_b32 v24, 0 :: v_dual_mov_b32 v2, 0
	v_mov_b32_e32 v28, 0
	s_add_co_i32 s4, s7, 1
	s_mov_b64 s[0:1], 0xffffffffffffffe0
	s_and_b32 s8, s4, 30
	s_add_nc_u64 s[0:1], s[2:3], s[0:1]
	s_mov_b64 s[4:5], s[2:3]
.LBB79_2087:                            ; =>This Inner Loop Header: Depth=1
	s_clause 0x1
	s_load_b128 s[24:27], s[4:5], 0x4
	s_load_b64 s[10:11], s[4:5], 0x14
	s_load_b256 s[16:23], s[0:1], 0xe4
	s_add_co_i32 s8, s8, -2
	s_wait_xcnt 0x0
	s_add_nc_u64 s[4:5], s[4:5], 24
	s_cmp_lg_u32 s8, 0
	s_add_nc_u64 s[0:1], s[0:1], 32
	s_wait_kmcnt 0x0
	v_mul_hi_u32 v7, s25, v5
	s_delay_alu instid0(VALU_DEP_1) | instskip(NEXT) | instid1(VALU_DEP_1)
	v_add_nc_u32_e32 v7, v5, v7
	v_lshrrev_b32_e32 v7, s26, v7
	s_delay_alu instid0(VALU_DEP_1) | instskip(SKIP_1) | instid1(VALU_DEP_1)
	v_mul_hi_u32 v9, s10, v7
	v_mul_lo_u32 v10, v7, s24
	v_dual_add_nc_u32 v9, v7, v9 :: v_dual_sub_nc_u32 v10, v5, v10
	s_delay_alu instid0(VALU_DEP_1) | instskip(NEXT) | instid1(VALU_DEP_2)
	v_lshrrev_b32_e32 v5, s11, v9
	v_mad_u32 v11, v10, s17, v28
	v_mad_u32 v2, v10, s16, v2
	;; [unrolled: 1-line block ×4, first 2 shown]
	v_mul_lo_u32 v9, v5, s27
	s_delay_alu instid0(VALU_DEP_1) | instskip(NEXT) | instid1(VALU_DEP_1)
	v_sub_nc_u32_e32 v7, v7, v9
	v_mad_u32 v28, v7, s21, v11
	v_mad_u32 v2, v7, s20, v2
	;; [unrolled: 1-line block ×4, first 2 shown]
	s_cbranch_scc1 .LBB79_2087
; %bb.2088:
	s_bitcmp1_b32 s7, 0
	s_cselect_b32 s7, -1, 0
	s_delay_alu instid0(SALU_CYCLE_1)
	s_and_b32 vcc_lo, exec_lo, s7
	s_cbranch_vccnz .LBB79_2091
; %bb.2089:
	s_load_b96 s[16:18], s[4:5], 0x4
	s_load_b128 s[8:11], s[0:1], 0xe4
	s_wait_kmcnt 0x0
	v_mul_hi_u32 v7, s17, v5
	s_delay_alu instid0(VALU_DEP_1) | instskip(NEXT) | instid1(VALU_DEP_1)
	v_add_nc_u32_e32 v7, v5, v7
	v_lshrrev_b32_e32 v7, s18, v7
	s_delay_alu instid0(VALU_DEP_1) | instskip(NEXT) | instid1(VALU_DEP_1)
	v_mul_lo_u32 v7, v7, s16
	v_sub_nc_u32_e32 v5, v5, v7
	s_delay_alu instid0(VALU_DEP_1)
	v_mad_u32 v2, v5, s8, v2
	v_mad_u32 v28, v5, s9, v28
	v_mad_u32 v30, v5, s10, v30
	v_mad_u32 v24, v5, s11, v24
	s_and_not1_b32 vcc_lo, exec_lo, s6
	s_cbranch_vccz .LBB79_2092
	s_branch .LBB79_2095
.LBB79_2090:
	s_mov_b32 s6, -1
                                        ; implicit-def: $vgpr28
                                        ; implicit-def: $vgpr2
                                        ; implicit-def: $vgpr24
                                        ; implicit-def: $vgpr30
.LBB79_2091:
	s_delay_alu instid0(SALU_CYCLE_1)
	s_and_not1_b32 vcc_lo, exec_lo, s6
	s_cbranch_vccnz .LBB79_2095
.LBB79_2092:
	s_clause 0x1
	s_load_b96 s[8:10], s[2:3], 0x4
	s_load_b128 s[4:7], s[2:3], 0xc4
	s_cmp_lt_u32 s33, 2
	s_wait_kmcnt 0x0
	v_mul_hi_u32 v2, s9, v0
	s_delay_alu instid0(VALU_DEP_1) | instskip(NEXT) | instid1(VALU_DEP_1)
	v_add_nc_u32_e32 v2, v0, v2
	v_lshrrev_b32_e32 v5, s10, v2
	s_delay_alu instid0(VALU_DEP_1) | instskip(NEXT) | instid1(VALU_DEP_1)
	v_mul_lo_u32 v2, v5, s8
	v_sub_nc_u32_e32 v0, v0, v2
	s_delay_alu instid0(VALU_DEP_1)
	v_mul_lo_u32 v28, v0, s5
	v_mul_lo_u32 v2, v0, s4
	;; [unrolled: 1-line block ×4, first 2 shown]
	s_cbranch_scc1 .LBB79_2095
; %bb.2093:
	s_clause 0x1
	s_load_b96 s[8:10], s[2:3], 0x10
	s_load_b128 s[4:7], s[2:3], 0xd4
	s_wait_kmcnt 0x0
	v_mul_hi_u32 v0, s9, v5
	s_delay_alu instid0(VALU_DEP_1) | instskip(NEXT) | instid1(VALU_DEP_1)
	v_add_nc_u32_e32 v0, v5, v0
	v_lshrrev_b32_e32 v0, s10, v0
	s_delay_alu instid0(VALU_DEP_1) | instskip(NEXT) | instid1(VALU_DEP_1)
	v_mul_lo_u32 v0, v0, s8
	v_sub_nc_u32_e32 v0, v5, v0
	s_delay_alu instid0(VALU_DEP_1)
	v_mad_u32 v2, v0, s4, v2
	v_mad_u32 v28, v0, s5, v28
	;; [unrolled: 1-line block ×4, first 2 shown]
	s_branch .LBB79_2095
.LBB79_2094:
	v_dual_mov_b32 v28, 0 :: v_dual_mov_b32 v2, 0
	v_dual_mov_b32 v24, 0 :: v_dual_mov_b32 v30, 0
	s_and_not1_b32 vcc_lo, exec_lo, s6
	s_cbranch_vccz .LBB79_2092
.LBB79_2095:
	v_cmp_ne_u32_e32 vcc_lo, 1, v3
	s_cbranch_vccnz .LBB79_2101
; %bb.2096:
	s_cmp_lg_u32 s33, 0
	s_mov_b32 s6, 0
	s_cbranch_scc0 .LBB79_2105
; %bb.2097:
	s_min_u32 s7, s38, 15
	v_dual_mov_b32 v14, 0 :: v_dual_mov_b32 v3, v1
	v_dual_mov_b32 v10, 0 :: v_dual_mov_b32 v0, 0
	v_mov_b32_e32 v20, 0
	s_add_co_i32 s4, s7, 1
	s_mov_b64 s[0:1], 0xffffffffffffffe0
	s_and_b32 s8, s4, 30
	s_add_nc_u64 s[0:1], s[2:3], s[0:1]
	s_mov_b64 s[4:5], s[2:3]
.LBB79_2098:                            ; =>This Inner Loop Header: Depth=1
	s_clause 0x1
	s_load_b128 s[24:27], s[4:5], 0x4
	s_load_b64 s[10:11], s[4:5], 0x14
	s_load_b256 s[16:23], s[0:1], 0xe4
	s_add_co_i32 s8, s8, -2
	s_wait_xcnt 0x0
	s_add_nc_u64 s[4:5], s[4:5], 24
	s_cmp_lg_u32 s8, 0
	s_add_nc_u64 s[0:1], s[0:1], 32
	s_wait_kmcnt 0x0
	v_mul_hi_u32 v5, s25, v3
	s_delay_alu instid0(VALU_DEP_1) | instskip(NEXT) | instid1(VALU_DEP_1)
	v_add_nc_u32_e32 v5, v3, v5
	v_lshrrev_b32_e32 v5, s26, v5
	s_delay_alu instid0(VALU_DEP_1) | instskip(SKIP_1) | instid1(VALU_DEP_1)
	v_mul_hi_u32 v7, s10, v5
	v_mul_lo_u32 v9, v5, s24
	v_dual_add_nc_u32 v7, v5, v7 :: v_dual_sub_nc_u32 v9, v3, v9
	s_delay_alu instid0(VALU_DEP_1) | instskip(NEXT) | instid1(VALU_DEP_2)
	v_lshrrev_b32_e32 v3, s11, v7
	v_mad_u32 v11, v9, s17, v20
	v_mad_u32 v0, v9, s16, v0
	;; [unrolled: 1-line block ×4, first 2 shown]
	v_mul_lo_u32 v7, v3, s27
	s_delay_alu instid0(VALU_DEP_1) | instskip(NEXT) | instid1(VALU_DEP_1)
	v_sub_nc_u32_e32 v5, v5, v7
	v_mad_u32 v20, v5, s21, v11
	v_mad_u32 v0, v5, s20, v0
	;; [unrolled: 1-line block ×4, first 2 shown]
	s_cbranch_scc1 .LBB79_2098
; %bb.2099:
	s_bitcmp1_b32 s7, 0
	s_cselect_b32 s7, -1, 0
	s_delay_alu instid0(SALU_CYCLE_1)
	s_and_b32 vcc_lo, exec_lo, s7
	s_cbranch_vccnz .LBB79_2102
; %bb.2100:
	s_load_b96 s[16:18], s[4:5], 0x4
	s_load_b128 s[8:11], s[0:1], 0xe4
	s_wait_kmcnt 0x0
	v_mul_hi_u32 v5, s17, v3
	s_delay_alu instid0(VALU_DEP_1) | instskip(NEXT) | instid1(VALU_DEP_1)
	v_add_nc_u32_e32 v5, v3, v5
	v_lshrrev_b32_e32 v5, s18, v5
	s_delay_alu instid0(VALU_DEP_1) | instskip(NEXT) | instid1(VALU_DEP_1)
	v_mul_lo_u32 v5, v5, s16
	v_sub_nc_u32_e32 v3, v3, v5
	s_delay_alu instid0(VALU_DEP_1)
	v_mad_u32 v0, v3, s8, v0
	v_mad_u32 v20, v3, s9, v20
	;; [unrolled: 1-line block ×4, first 2 shown]
	s_and_not1_b32 vcc_lo, exec_lo, s6
	s_cbranch_vccz .LBB79_2103
	s_branch .LBB79_2106
.LBB79_2101:
	s_mov_b32 s6, -1
                                        ; implicit-def: $vgpr20
                                        ; implicit-def: $vgpr0
                                        ; implicit-def: $vgpr10
                                        ; implicit-def: $vgpr14
.LBB79_2102:
	s_delay_alu instid0(SALU_CYCLE_1)
	s_and_not1_b32 vcc_lo, exec_lo, s6
	s_cbranch_vccnz .LBB79_2106
.LBB79_2103:
	s_clause 0x1
	s_load_b96 s[8:10], s[2:3], 0x4
	s_load_b128 s[4:7], s[2:3], 0xc4
	s_cmp_lt_u32 s33, 2
	s_wait_kmcnt 0x0
	v_mul_hi_u32 v0, s9, v1
	s_delay_alu instid0(VALU_DEP_1) | instskip(NEXT) | instid1(VALU_DEP_1)
	v_add_nc_u32_e32 v0, v1, v0
	v_lshrrev_b32_e32 v3, s10, v0
	s_delay_alu instid0(VALU_DEP_1) | instskip(NEXT) | instid1(VALU_DEP_1)
	v_mul_lo_u32 v0, v3, s8
	v_sub_nc_u32_e32 v1, v1, v0
	s_delay_alu instid0(VALU_DEP_1)
	v_mul_lo_u32 v20, v1, s5
	v_mul_lo_u32 v0, v1, s4
	;; [unrolled: 1-line block ×4, first 2 shown]
	s_cbranch_scc1 .LBB79_2106
; %bb.2104:
	s_clause 0x1
	s_load_b96 s[8:10], s[2:3], 0x10
	s_load_b128 s[4:7], s[2:3], 0xd4
	s_wait_kmcnt 0x0
	v_mul_hi_u32 v1, s9, v3
	s_delay_alu instid0(VALU_DEP_1) | instskip(NEXT) | instid1(VALU_DEP_1)
	v_add_nc_u32_e32 v1, v3, v1
	v_lshrrev_b32_e32 v1, s10, v1
	s_delay_alu instid0(VALU_DEP_1) | instskip(NEXT) | instid1(VALU_DEP_1)
	v_mul_lo_u32 v1, v1, s8
	v_sub_nc_u32_e32 v1, v3, v1
	s_delay_alu instid0(VALU_DEP_1)
	v_mad_u32 v0, v1, s4, v0
	v_mad_u32 v20, v1, s5, v20
	;; [unrolled: 1-line block ×4, first 2 shown]
	s_branch .LBB79_2106
.LBB79_2105:
	v_dual_mov_b32 v20, 0 :: v_dual_mov_b32 v0, 0
	v_dual_mov_b32 v10, 0 :: v_dual_mov_b32 v14, 0
	s_and_not1_b32 vcc_lo, exec_lo, s6
	s_cbranch_vccz .LBB79_2103
.LBB79_2106:
	v_mov_b32_e32 v9, 0
	s_load_b128 s[4:7], s[2:3], 0x1c8
	global_load_u8 v1, v9, s[2:3] offset:505
	s_wait_kmcnt 0x0
	v_add_nc_u64_e32 v[32:33], s[6:7], v[8:9]
	s_wait_loadcnt 0x0
	v_and_b32_e32 v3, 0xffff, v1
	v_readfirstlane_b32 s10, v1
	s_delay_alu instid0(VALU_DEP_2)
	v_cmp_gt_i32_e32 vcc_lo, 11, v3
	s_cbranch_vccnz .LBB79_2113
; %bb.2107:
	s_and_b32 s0, 0xffff, s10
	s_mov_b32 s8, 0
	s_cmp_gt_i32 s0, 25
	s_cbranch_scc0 .LBB79_2115
; %bb.2108:
	s_cmp_gt_i32 s0, 28
	s_cbranch_scc0 .LBB79_2116
; %bb.2109:
	;; [unrolled: 3-line block ×4, first 2 shown]
	s_cmp_eq_u32 s0, 46
	s_mov_b32 s11, 0
	s_cbranch_scc0 .LBB79_2121
; %bb.2112:
	global_load_b32 v1, v[32:33], off
	s_mov_b32 s1, 0
	s_mov_b32 s9, -1
	s_wait_loadcnt 0x0
	v_lshlrev_b32_e32 v1, 16, v1
	s_delay_alu instid0(VALU_DEP_1) | instskip(NEXT) | instid1(VALU_DEP_1)
	v_trunc_f32_e32 v1, v1
	v_mul_f32_e64 v3, 0x2f800000, |v1|
	v_ashrrev_i32_e32 v8, 31, v1
	s_delay_alu instid0(VALU_DEP_2) | instskip(SKIP_1) | instid1(VALU_DEP_2)
	v_floor_f32_e32 v3, v3
	s_wait_xcnt 0x1
	v_mov_b32_e32 v9, v8
	s_delay_alu instid0(VALU_DEP_2) | instskip(SKIP_1) | instid1(VALU_DEP_2)
	v_fma_f32 v5, 0xcf800000, v3, |v1|
	v_cvt_u32_f32_e32 v1, v3
	v_cvt_u32_f32_e32 v3, v5
	s_delay_alu instid0(VALU_DEP_2) | instskip(NEXT) | instid1(VALU_DEP_2)
	v_xor_b32_e32 v35, v1, v8
	v_xor_b32_e32 v34, v3, v8
	s_delay_alu instid0(VALU_DEP_1)
	v_sub_nc_u64_e32 v[8:9], v[34:35], v[8:9]
	s_branch .LBB79_2123
.LBB79_2113:
	s_mov_b32 s9, 0
	s_mov_b32 s14, s12
                                        ; implicit-def: $vgpr8_vgpr9
	s_cbranch_execnz .LBB79_2181
.LBB79_2114:
	s_and_not1_b32 vcc_lo, exec_lo, s9
	s_cbranch_vccz .LBB79_2226
	s_branch .LBB79_4058
.LBB79_2115:
	s_mov_b32 s9, 0
	s_mov_b32 s1, 0
                                        ; implicit-def: $vgpr8_vgpr9
	s_cbranch_execnz .LBB79_2148
	s_branch .LBB79_2177
.LBB79_2116:
	s_mov_b32 s9, 0
	s_mov_b32 s1, 0
                                        ; implicit-def: $vgpr8_vgpr9
	s_cbranch_execz .LBB79_2147
	s_branch .LBB79_2132
.LBB79_2117:
	s_mov_b32 s9, 0
	s_mov_b32 s1, 0
                                        ; implicit-def: $vgpr8_vgpr9
	s_cbranch_execnz .LBB79_2128
	s_branch .LBB79_2131
.LBB79_2118:
	s_mov_b32 s11, -1
	s_mov_b32 s9, 0
	s_mov_b32 s1, 0
	s_branch .LBB79_2122
.LBB79_2119:
	s_and_not1_saveexec_b32 s9, s9
	s_cbranch_execz .LBB79_1974
.LBB79_2120:
	v_add_f32_e64 v1, 0x46000000, |v0|
	s_and_not1_b32 s8, s8, exec_lo
	s_delay_alu instid0(VALU_DEP_1) | instskip(NEXT) | instid1(VALU_DEP_1)
	v_and_b32_e32 v1, 0xff, v1
	v_cmp_ne_u32_e32 vcc_lo, 0, v1
	s_and_b32 s10, vcc_lo, exec_lo
	s_delay_alu instid0(SALU_CYCLE_1)
	s_or_b32 s8, s8, s10
	s_or_b32 exec_lo, exec_lo, s9
	v_mov_b32_e32 v2, 0
	s_and_saveexec_b32 s9, s8
	s_cbranch_execnz .LBB79_1975
	s_branch .LBB79_1976
.LBB79_2121:
	s_mov_b32 s1, -1
	s_mov_b32 s9, 0
.LBB79_2122:
                                        ; implicit-def: $vgpr8_vgpr9
.LBB79_2123:
	s_and_b32 vcc_lo, exec_lo, s11
	s_cbranch_vccz .LBB79_2126
; %bb.2124:
	s_cmp_eq_u32 s0, 44
	s_cbranch_scc0 .LBB79_2127
; %bb.2125:
	global_load_u8 v1, v[32:33], off
	s_mov_b32 s1, 0
	s_mov_b32 s9, -1
	s_wait_loadcnt 0x0
	v_lshlrev_b32_e32 v3, 23, v1
	v_cmp_ne_u32_e32 vcc_lo, 0, v1
	s_delay_alu instid0(VALU_DEP_2) | instskip(NEXT) | instid1(VALU_DEP_1)
	v_trunc_f32_e32 v3, v3
	v_mul_f32_e64 v5, 0x2f800000, |v3|
	v_ashrrev_i32_e32 v8, 31, v3
	s_delay_alu instid0(VALU_DEP_2) | instskip(SKIP_1) | instid1(VALU_DEP_2)
	v_floor_f32_e32 v5, v5
	s_wait_xcnt 0x1
	v_mov_b32_e32 v9, v8
	s_delay_alu instid0(VALU_DEP_2) | instskip(SKIP_1) | instid1(VALU_DEP_2)
	v_fma_f32 v7, 0xcf800000, v5, |v3|
	v_cvt_u32_f32_e32 v3, v5
	v_cvt_u32_f32_e32 v5, v7
	s_delay_alu instid0(VALU_DEP_2) | instskip(NEXT) | instid1(VALU_DEP_2)
	v_xor_b32_e32 v35, v3, v8
	v_xor_b32_e32 v34, v5, v8
	s_delay_alu instid0(VALU_DEP_1) | instskip(NEXT) | instid1(VALU_DEP_1)
	v_sub_nc_u64_e32 v[8:9], v[34:35], v[8:9]
	v_dual_cndmask_b32 v9, 0, v9 :: v_dual_cndmask_b32 v8, 0, v8
.LBB79_2126:
	s_branch .LBB79_2131
.LBB79_2127:
	s_mov_b32 s1, -1
                                        ; implicit-def: $vgpr8_vgpr9
	s_branch .LBB79_2131
.LBB79_2128:
	s_cmp_eq_u32 s0, 29
	s_cbranch_scc0 .LBB79_2130
; %bb.2129:
	global_load_b64 v[8:9], v[32:33], off
	s_mov_b32 s1, 0
	s_mov_b32 s9, -1
	s_branch .LBB79_2131
.LBB79_2130:
	s_mov_b32 s1, -1
                                        ; implicit-def: $vgpr8_vgpr9
.LBB79_2131:
	s_branch .LBB79_2147
.LBB79_2132:
	s_cmp_lt_i32 s0, 27
	s_cbranch_scc1 .LBB79_2135
; %bb.2133:
	s_cmp_gt_i32 s0, 27
	s_cbranch_scc0 .LBB79_2136
; %bb.2134:
	s_wait_loadcnt 0x0
	global_load_b32 v8, v[32:33], off
	s_wait_xcnt 0x1
	v_mov_b32_e32 v9, 0
	s_mov_b32 s9, 0
	s_branch .LBB79_2137
.LBB79_2135:
	s_mov_b32 s9, -1
                                        ; implicit-def: $vgpr8_vgpr9
	s_branch .LBB79_2140
.LBB79_2136:
	s_mov_b32 s9, -1
                                        ; implicit-def: $vgpr8_vgpr9
.LBB79_2137:
	s_delay_alu instid0(SALU_CYCLE_1)
	s_and_not1_b32 vcc_lo, exec_lo, s9
	s_cbranch_vccnz .LBB79_2139
; %bb.2138:
	global_load_u16 v1, v[32:33], off
	s_mov_b32 s9, 0
	s_wait_loadcnt 0x1
	s_wait_xcnt 0x1
	v_mov_b32_e32 v9, s9
	s_wait_loadcnt 0x0
	v_and_b32_e32 v8, 0xffff, v1
.LBB79_2139:
	s_mov_b32 s9, 0
.LBB79_2140:
	s_delay_alu instid0(SALU_CYCLE_1)
	s_and_not1_b32 vcc_lo, exec_lo, s9
	s_cbranch_vccnz .LBB79_2146
; %bb.2141:
	global_load_u8 v1, v[32:33], off
	s_mov_b32 s11, 0
	s_mov_b32 s9, exec_lo
	s_wait_loadcnt 0x0
	v_cmpx_lt_i16_e32 0x7f, v1
	s_xor_b32 s9, exec_lo, s9
	s_cbranch_execz .LBB79_2157
; %bb.2142:
	v_cmp_ne_u16_e32 vcc_lo, 0x80, v1
	s_and_b32 s11, vcc_lo, exec_lo
	s_and_not1_saveexec_b32 s9, s9
	s_cbranch_execnz .LBB79_2158
.LBB79_2143:
	s_or_b32 exec_lo, exec_lo, s9
	v_mov_b64_e32 v[8:9], 0
	s_and_saveexec_b32 s9, s11
	s_cbranch_execz .LBB79_2145
.LBB79_2144:
	v_and_b32_e32 v3, 0xffff, v1
	s_delay_alu instid0(VALU_DEP_1) | instskip(SKIP_1) | instid1(VALU_DEP_2)
	v_dual_lshlrev_b32 v1, 24, v1 :: v_dual_bitop2_b32 v5, 7, v3 bitop3:0x40
	v_bfe_u32 v9, v3, 3, 4
	v_and_b32_e32 v1, 0x80000000, v1
	s_delay_alu instid0(VALU_DEP_3) | instskip(NEXT) | instid1(VALU_DEP_3)
	v_clz_i32_u32_e32 v7, v5
	v_cmp_eq_u32_e32 vcc_lo, 0, v9
	s_delay_alu instid0(VALU_DEP_2) | instskip(NEXT) | instid1(VALU_DEP_1)
	v_min_u32_e32 v7, 32, v7
	v_subrev_nc_u32_e32 v8, 28, v7
	v_sub_nc_u32_e32 v7, 29, v7
	s_delay_alu instid0(VALU_DEP_2) | instskip(NEXT) | instid1(VALU_DEP_2)
	v_lshlrev_b32_e32 v3, v8, v3
	v_cndmask_b32_e32 v7, v9, v7, vcc_lo
	s_delay_alu instid0(VALU_DEP_2) | instskip(NEXT) | instid1(VALU_DEP_1)
	v_and_b32_e32 v3, 7, v3
	v_cndmask_b32_e32 v3, v5, v3, vcc_lo
	s_delay_alu instid0(VALU_DEP_3) | instskip(NEXT) | instid1(VALU_DEP_2)
	v_lshl_add_u32 v5, v7, 23, 0x3b800000
	v_lshlrev_b32_e32 v3, 20, v3
	s_delay_alu instid0(VALU_DEP_1) | instskip(NEXT) | instid1(VALU_DEP_1)
	v_or3_b32 v1, v1, v5, v3
	v_trunc_f32_e32 v1, v1
	s_delay_alu instid0(VALU_DEP_1) | instskip(SKIP_1) | instid1(VALU_DEP_2)
	v_mul_f32_e64 v3, 0x2f800000, |v1|
	v_ashrrev_i32_e32 v8, 31, v1
	v_floor_f32_e32 v3, v3
	s_delay_alu instid0(VALU_DEP_2) | instskip(NEXT) | instid1(VALU_DEP_2)
	v_mov_b32_e32 v9, v8
	v_fma_f32 v5, 0xcf800000, v3, |v1|
	v_cvt_u32_f32_e32 v1, v3
	s_delay_alu instid0(VALU_DEP_2) | instskip(NEXT) | instid1(VALU_DEP_2)
	v_cvt_u32_f32_e32 v3, v5
	v_xor_b32_e32 v35, v1, v8
	s_delay_alu instid0(VALU_DEP_2) | instskip(NEXT) | instid1(VALU_DEP_1)
	v_xor_b32_e32 v34, v3, v8
	v_sub_nc_u64_e32 v[8:9], v[34:35], v[8:9]
.LBB79_2145:
	s_or_b32 exec_lo, exec_lo, s9
.LBB79_2146:
	s_mov_b32 s9, -1
.LBB79_2147:
	s_branch .LBB79_2177
.LBB79_2148:
	s_cmp_gt_i32 s0, 22
	s_cbranch_scc0 .LBB79_2156
; %bb.2149:
	s_cmp_lt_i32 s0, 24
	s_cbranch_scc1 .LBB79_2159
; %bb.2150:
	s_cmp_gt_i32 s0, 24
	s_cbranch_scc0 .LBB79_2160
; %bb.2151:
	global_load_u8 v1, v[32:33], off
	s_mov_b32 s9, 0
	s_mov_b32 s8, exec_lo
	s_wait_loadcnt 0x0
	v_cmpx_lt_i16_e32 0x7f, v1
	s_xor_b32 s8, exec_lo, s8
	s_cbranch_execz .LBB79_2171
; %bb.2152:
	v_cmp_ne_u16_e32 vcc_lo, 0x80, v1
	s_and_b32 s9, vcc_lo, exec_lo
	s_and_not1_saveexec_b32 s8, s8
	s_cbranch_execnz .LBB79_2172
.LBB79_2153:
	s_or_b32 exec_lo, exec_lo, s8
	v_mov_b64_e32 v[8:9], 0
	s_and_saveexec_b32 s8, s9
	s_cbranch_execz .LBB79_2155
.LBB79_2154:
	v_and_b32_e32 v3, 0xffff, v1
	s_delay_alu instid0(VALU_DEP_1) | instskip(SKIP_1) | instid1(VALU_DEP_2)
	v_dual_lshlrev_b32 v1, 24, v1 :: v_dual_bitop2_b32 v5, 3, v3 bitop3:0x40
	v_bfe_u32 v9, v3, 2, 5
	v_and_b32_e32 v1, 0x80000000, v1
	s_delay_alu instid0(VALU_DEP_3) | instskip(NEXT) | instid1(VALU_DEP_3)
	v_clz_i32_u32_e32 v7, v5
	v_cmp_eq_u32_e32 vcc_lo, 0, v9
	s_delay_alu instid0(VALU_DEP_2) | instskip(NEXT) | instid1(VALU_DEP_1)
	v_min_u32_e32 v7, 32, v7
	v_subrev_nc_u32_e32 v8, 29, v7
	v_sub_nc_u32_e32 v7, 30, v7
	s_delay_alu instid0(VALU_DEP_2) | instskip(NEXT) | instid1(VALU_DEP_2)
	v_lshlrev_b32_e32 v3, v8, v3
	v_cndmask_b32_e32 v7, v9, v7, vcc_lo
	s_delay_alu instid0(VALU_DEP_2) | instskip(NEXT) | instid1(VALU_DEP_1)
	v_and_b32_e32 v3, 3, v3
	v_cndmask_b32_e32 v3, v5, v3, vcc_lo
	s_delay_alu instid0(VALU_DEP_3) | instskip(NEXT) | instid1(VALU_DEP_2)
	v_lshl_add_u32 v5, v7, 23, 0x37800000
	v_lshlrev_b32_e32 v3, 21, v3
	s_delay_alu instid0(VALU_DEP_1) | instskip(NEXT) | instid1(VALU_DEP_1)
	v_or3_b32 v1, v1, v5, v3
	v_trunc_f32_e32 v1, v1
	s_delay_alu instid0(VALU_DEP_1) | instskip(SKIP_1) | instid1(VALU_DEP_2)
	v_mul_f32_e64 v3, 0x2f800000, |v1|
	v_ashrrev_i32_e32 v8, 31, v1
	v_floor_f32_e32 v3, v3
	s_delay_alu instid0(VALU_DEP_2) | instskip(NEXT) | instid1(VALU_DEP_2)
	v_mov_b32_e32 v9, v8
	v_fma_f32 v5, 0xcf800000, v3, |v1|
	v_cvt_u32_f32_e32 v1, v3
	s_delay_alu instid0(VALU_DEP_2) | instskip(NEXT) | instid1(VALU_DEP_2)
	v_cvt_u32_f32_e32 v3, v5
	v_xor_b32_e32 v35, v1, v8
	s_delay_alu instid0(VALU_DEP_2) | instskip(NEXT) | instid1(VALU_DEP_1)
	v_xor_b32_e32 v34, v3, v8
	v_sub_nc_u64_e32 v[8:9], v[34:35], v[8:9]
.LBB79_2155:
	s_or_b32 exec_lo, exec_lo, s8
	s_mov_b32 s8, 0
	s_branch .LBB79_2161
.LBB79_2156:
                                        ; implicit-def: $vgpr8_vgpr9
	s_mov_b32 s8, 0
	s_branch .LBB79_2167
.LBB79_2157:
	s_and_not1_saveexec_b32 s9, s9
	s_cbranch_execz .LBB79_2143
.LBB79_2158:
	v_cmp_ne_u16_e32 vcc_lo, 0, v1
	s_and_not1_b32 s11, s11, exec_lo
	s_and_b32 s14, vcc_lo, exec_lo
	s_delay_alu instid0(SALU_CYCLE_1)
	s_or_b32 s11, s11, s14
	s_or_b32 exec_lo, exec_lo, s9
	v_mov_b64_e32 v[8:9], 0
	s_and_saveexec_b32 s9, s11
	s_cbranch_execnz .LBB79_2144
	s_branch .LBB79_2145
.LBB79_2159:
	s_mov_b32 s8, -1
                                        ; implicit-def: $vgpr8_vgpr9
	s_branch .LBB79_2164
.LBB79_2160:
	s_mov_b32 s8, -1
                                        ; implicit-def: $vgpr8_vgpr9
.LBB79_2161:
	s_delay_alu instid0(SALU_CYCLE_1)
	s_and_b32 vcc_lo, exec_lo, s8
	s_cbranch_vccz .LBB79_2163
; %bb.2162:
	global_load_u8 v1, v[32:33], off
	s_wait_loadcnt 0x0
	v_lshlrev_b32_e32 v1, 24, v1
	s_delay_alu instid0(VALU_DEP_1) | instskip(NEXT) | instid1(VALU_DEP_1)
	v_and_b32_e32 v3, 0x7f000000, v1
	v_clz_i32_u32_e32 v5, v3
	v_cmp_ne_u32_e32 vcc_lo, 0, v3
	v_add_nc_u32_e32 v8, 0x1000000, v3
	s_delay_alu instid0(VALU_DEP_3) | instskip(NEXT) | instid1(VALU_DEP_1)
	v_min_u32_e32 v5, 32, v5
	v_sub_nc_u32_e64 v5, v5, 4 clamp
	s_delay_alu instid0(VALU_DEP_1) | instskip(NEXT) | instid1(VALU_DEP_1)
	v_dual_lshlrev_b32 v7, v5, v3 :: v_dual_lshlrev_b32 v5, 23, v5
	v_lshrrev_b32_e32 v7, 4, v7
	s_delay_alu instid0(VALU_DEP_1) | instskip(NEXT) | instid1(VALU_DEP_1)
	v_dual_sub_nc_u32 v5, v7, v5 :: v_dual_ashrrev_i32 v7, 8, v8
	v_add_nc_u32_e32 v5, 0x3c000000, v5
	s_delay_alu instid0(VALU_DEP_1) | instskip(NEXT) | instid1(VALU_DEP_1)
	v_and_or_b32 v5, 0x7f800000, v7, v5
	v_cndmask_b32_e32 v3, 0, v5, vcc_lo
	s_delay_alu instid0(VALU_DEP_1) | instskip(NEXT) | instid1(VALU_DEP_1)
	v_and_or_b32 v1, 0x80000000, v1, v3
	v_trunc_f32_e32 v1, v1
	s_delay_alu instid0(VALU_DEP_1) | instskip(SKIP_1) | instid1(VALU_DEP_2)
	v_mul_f32_e64 v3, 0x2f800000, |v1|
	v_ashrrev_i32_e32 v8, 31, v1
	v_floor_f32_e32 v3, v3
	s_delay_alu instid0(VALU_DEP_1) | instskip(SKIP_3) | instid1(VALU_DEP_3)
	v_fma_f32 v5, 0xcf800000, v3, |v1|
	v_cvt_u32_f32_e32 v1, v3
	s_wait_xcnt 0x1
	v_mov_b32_e32 v9, v8
	v_cvt_u32_f32_e32 v3, v5
	s_delay_alu instid0(VALU_DEP_3) | instskip(NEXT) | instid1(VALU_DEP_2)
	v_xor_b32_e32 v35, v1, v8
	v_xor_b32_e32 v34, v3, v8
	s_delay_alu instid0(VALU_DEP_1)
	v_sub_nc_u64_e32 v[8:9], v[34:35], v[8:9]
.LBB79_2163:
	s_mov_b32 s8, 0
.LBB79_2164:
	s_delay_alu instid0(SALU_CYCLE_1)
	s_and_not1_b32 vcc_lo, exec_lo, s8
	s_cbranch_vccnz .LBB79_2166
; %bb.2165:
	global_load_u8 v1, v[32:33], off
	s_wait_loadcnt 0x0
	v_lshlrev_b32_e32 v3, 25, v1
	v_lshlrev_b16 v1, 8, v1
	s_delay_alu instid0(VALU_DEP_1) | instskip(SKIP_1) | instid1(VALU_DEP_2)
	v_and_or_b32 v7, 0x7f00, v1, 0.5
	v_bfe_i32 v1, v1, 0, 16
	v_add_f32_e32 v7, -0.5, v7
	v_lshrrev_b32_e32 v5, 4, v3
	v_cmp_gt_u32_e32 vcc_lo, 0x8000000, v3
	s_delay_alu instid0(VALU_DEP_2) | instskip(NEXT) | instid1(VALU_DEP_1)
	v_or_b32_e32 v5, 0x70000000, v5
	v_mul_f32_e32 v5, 0x7800000, v5
	s_delay_alu instid0(VALU_DEP_1) | instskip(NEXT) | instid1(VALU_DEP_1)
	v_cndmask_b32_e32 v3, v5, v7, vcc_lo
	v_and_or_b32 v1, 0x80000000, v1, v3
	s_delay_alu instid0(VALU_DEP_1) | instskip(NEXT) | instid1(VALU_DEP_1)
	v_trunc_f32_e32 v1, v1
	v_mul_f32_e64 v3, 0x2f800000, |v1|
	v_ashrrev_i32_e32 v8, 31, v1
	s_delay_alu instid0(VALU_DEP_2) | instskip(SKIP_1) | instid1(VALU_DEP_2)
	v_floor_f32_e32 v3, v3
	s_wait_xcnt 0x1
	v_mov_b32_e32 v9, v8
	s_delay_alu instid0(VALU_DEP_2) | instskip(SKIP_1) | instid1(VALU_DEP_2)
	v_fma_f32 v5, 0xcf800000, v3, |v1|
	v_cvt_u32_f32_e32 v1, v3
	v_cvt_u32_f32_e32 v3, v5
	s_delay_alu instid0(VALU_DEP_2) | instskip(NEXT) | instid1(VALU_DEP_2)
	v_xor_b32_e32 v35, v1, v8
	v_xor_b32_e32 v34, v3, v8
	s_delay_alu instid0(VALU_DEP_1)
	v_sub_nc_u64_e32 v[8:9], v[34:35], v[8:9]
.LBB79_2166:
	s_mov_b32 s9, -1
	s_mov_b32 s8, 0
	s_cbranch_execnz .LBB79_2177
.LBB79_2167:
	s_cmp_gt_i32 s0, 14
	s_cbranch_scc0 .LBB79_2170
; %bb.2168:
	s_cmp_eq_u32 s0, 15
	s_cbranch_scc0 .LBB79_2173
; %bb.2169:
	global_load_u16 v1, v[32:33], off
	s_mov_b32 s1, 0
	s_mov_b32 s9, -1
	s_wait_loadcnt 0x0
	v_lshlrev_b32_e32 v1, 16, v1
	s_delay_alu instid0(VALU_DEP_1) | instskip(NEXT) | instid1(VALU_DEP_1)
	v_trunc_f32_e32 v1, v1
	v_mul_f32_e64 v3, 0x2f800000, |v1|
	v_ashrrev_i32_e32 v8, 31, v1
	s_delay_alu instid0(VALU_DEP_2) | instskip(SKIP_1) | instid1(VALU_DEP_2)
	v_floor_f32_e32 v3, v3
	s_wait_xcnt 0x1
	v_mov_b32_e32 v9, v8
	s_delay_alu instid0(VALU_DEP_2) | instskip(SKIP_1) | instid1(VALU_DEP_2)
	v_fma_f32 v5, 0xcf800000, v3, |v1|
	v_cvt_u32_f32_e32 v1, v3
	v_cvt_u32_f32_e32 v3, v5
	s_delay_alu instid0(VALU_DEP_2) | instskip(NEXT) | instid1(VALU_DEP_2)
	v_xor_b32_e32 v35, v1, v8
	v_xor_b32_e32 v34, v3, v8
	s_delay_alu instid0(VALU_DEP_1)
	v_sub_nc_u64_e32 v[8:9], v[34:35], v[8:9]
	s_branch .LBB79_2175
.LBB79_2170:
	s_mov_b32 s8, -1
	s_branch .LBB79_2174
.LBB79_2171:
	s_and_not1_saveexec_b32 s8, s8
	s_cbranch_execz .LBB79_2153
.LBB79_2172:
	v_cmp_ne_u16_e32 vcc_lo, 0, v1
	s_and_not1_b32 s9, s9, exec_lo
	s_and_b32 s11, vcc_lo, exec_lo
	s_delay_alu instid0(SALU_CYCLE_1)
	s_or_b32 s9, s9, s11
	s_or_b32 exec_lo, exec_lo, s8
	v_mov_b64_e32 v[8:9], 0
	s_and_saveexec_b32 s8, s9
	s_cbranch_execnz .LBB79_2154
	s_branch .LBB79_2155
.LBB79_2173:
	s_mov_b32 s1, -1
.LBB79_2174:
                                        ; implicit-def: $vgpr8_vgpr9
.LBB79_2175:
	s_and_b32 vcc_lo, exec_lo, s8
	s_mov_b32 s8, 0
	s_cbranch_vccz .LBB79_2177
; %bb.2176:
	s_cmp_lg_u32 s0, 11
	s_mov_b32 s8, -1
	s_cselect_b32 s1, -1, 0
.LBB79_2177:
	s_delay_alu instid0(SALU_CYCLE_1)
	s_and_b32 vcc_lo, exec_lo, s1
	s_mov_b32 s14, s12
	s_cbranch_vccnz .LBB79_2238
; %bb.2178:
	s_and_not1_b32 vcc_lo, exec_lo, s8
	s_cbranch_vccnz .LBB79_2180
.LBB79_2179:
	global_load_u8 v1, v[32:33], off
	s_mov_b32 s0, 0
	s_mov_b32 s9, -1
	s_wait_loadcnt 0x1
	s_wait_xcnt 0x1
	v_mov_b32_e32 v9, s0
	s_wait_loadcnt 0x0
	v_cmp_ne_u16_e32 vcc_lo, 0, v1
	v_cndmask_b32_e64 v8, 0, 1, vcc_lo
.LBB79_2180:
	s_branch .LBB79_2114
.LBB79_2181:
	s_and_b32 s0, 0xffff, s10
	s_delay_alu instid0(SALU_CYCLE_1)
	s_cmp_lt_i32 s0, 5
	s_cbranch_scc1 .LBB79_2186
; %bb.2182:
	s_cmp_lt_i32 s0, 8
	s_cbranch_scc1 .LBB79_2187
; %bb.2183:
	;; [unrolled: 3-line block ×3, first 2 shown]
	s_cmp_gt_i32 s0, 9
	s_cbranch_scc0 .LBB79_2189
; %bb.2185:
	s_wait_loadcnt 0x0
	global_load_b64 v[8:9], v[32:33], off
	s_mov_b32 s1, 0
	s_wait_loadcnt 0x0
	v_trunc_f64_e32 v[8:9], v[8:9]
	s_delay_alu instid0(VALU_DEP_1) | instskip(NEXT) | instid1(VALU_DEP_1)
	v_ldexp_f64 v[34:35], v[8:9], 0xffffffe0
	v_floor_f64_e32 v[34:35], v[34:35]
	s_delay_alu instid0(VALU_DEP_1) | instskip(SKIP_1) | instid1(VALU_DEP_2)
	v_fmamk_f64 v[36:37], v[34:35], 0xc1f00000, v[8:9]
	v_cvt_i32_f64_e32 v9, v[34:35]
	v_cvt_u32_f64_e32 v8, v[36:37]
	s_branch .LBB79_2190
.LBB79_2186:
                                        ; implicit-def: $vgpr8_vgpr9
	s_branch .LBB79_2207
.LBB79_2187:
                                        ; implicit-def: $vgpr8_vgpr9
	s_branch .LBB79_2196
.LBB79_2188:
	s_mov_b32 s1, -1
                                        ; implicit-def: $vgpr8_vgpr9
	s_branch .LBB79_2193
.LBB79_2189:
	s_mov_b32 s1, -1
                                        ; implicit-def: $vgpr8_vgpr9
.LBB79_2190:
	s_delay_alu instid0(SALU_CYCLE_1)
	s_and_not1_b32 vcc_lo, exec_lo, s1
	s_cbranch_vccnz .LBB79_2192
; %bb.2191:
	global_load_b32 v1, v[32:33], off
	s_wait_loadcnt 0x0
	v_trunc_f32_e32 v1, v1
	s_delay_alu instid0(VALU_DEP_1) | instskip(SKIP_1) | instid1(VALU_DEP_2)
	v_mul_f32_e64 v3, 0x2f800000, |v1|
	v_ashrrev_i32_e32 v8, 31, v1
	v_floor_f32_e32 v3, v3
	s_delay_alu instid0(VALU_DEP_1) | instskip(SKIP_3) | instid1(VALU_DEP_3)
	v_fma_f32 v5, 0xcf800000, v3, |v1|
	v_cvt_u32_f32_e32 v1, v3
	s_wait_xcnt 0x1
	v_mov_b32_e32 v9, v8
	v_cvt_u32_f32_e32 v3, v5
	s_delay_alu instid0(VALU_DEP_3) | instskip(NEXT) | instid1(VALU_DEP_2)
	v_xor_b32_e32 v35, v1, v8
	v_xor_b32_e32 v34, v3, v8
	s_delay_alu instid0(VALU_DEP_1)
	v_sub_nc_u64_e32 v[8:9], v[34:35], v[8:9]
.LBB79_2192:
	s_mov_b32 s1, 0
.LBB79_2193:
	s_delay_alu instid0(SALU_CYCLE_1)
	s_and_not1_b32 vcc_lo, exec_lo, s1
	s_cbranch_vccnz .LBB79_2195
; %bb.2194:
	global_load_b32 v1, v[32:33], off
	s_wait_loadcnt 0x0
	v_cvt_f32_f16_e32 v1, v1
	s_delay_alu instid0(VALU_DEP_1) | instskip(SKIP_1) | instid1(VALU_DEP_1)
	v_cvt_i32_f32_e32 v8, v1
	s_wait_xcnt 0x1
	v_ashrrev_i32_e32 v9, 31, v8
.LBB79_2195:
	s_cbranch_execnz .LBB79_2206
.LBB79_2196:
	s_cmp_lt_i32 s0, 6
	s_cbranch_scc1 .LBB79_2199
; %bb.2197:
	s_cmp_gt_i32 s0, 6
	s_cbranch_scc0 .LBB79_2200
; %bb.2198:
	s_wait_loadcnt 0x0
	global_load_b64 v[8:9], v[32:33], off
	s_mov_b32 s1, 0
	s_wait_loadcnt 0x0
	v_trunc_f64_e32 v[8:9], v[8:9]
	s_delay_alu instid0(VALU_DEP_1) | instskip(NEXT) | instid1(VALU_DEP_1)
	v_ldexp_f64 v[34:35], v[8:9], 0xffffffe0
	v_floor_f64_e32 v[34:35], v[34:35]
	s_delay_alu instid0(VALU_DEP_1) | instskip(SKIP_1) | instid1(VALU_DEP_2)
	v_fmamk_f64 v[36:37], v[34:35], 0xc1f00000, v[8:9]
	v_cvt_i32_f64_e32 v9, v[34:35]
	v_cvt_u32_f64_e32 v8, v[36:37]
	s_branch .LBB79_2201
.LBB79_2199:
	s_mov_b32 s1, -1
                                        ; implicit-def: $vgpr8_vgpr9
	s_branch .LBB79_2204
.LBB79_2200:
	s_mov_b32 s1, -1
                                        ; implicit-def: $vgpr8_vgpr9
.LBB79_2201:
	s_delay_alu instid0(SALU_CYCLE_1)
	s_and_not1_b32 vcc_lo, exec_lo, s1
	s_cbranch_vccnz .LBB79_2203
; %bb.2202:
	global_load_b32 v1, v[32:33], off
	s_wait_loadcnt 0x0
	v_trunc_f32_e32 v1, v1
	s_delay_alu instid0(VALU_DEP_1) | instskip(SKIP_1) | instid1(VALU_DEP_2)
	v_mul_f32_e64 v3, 0x2f800000, |v1|
	v_ashrrev_i32_e32 v8, 31, v1
	v_floor_f32_e32 v3, v3
	s_delay_alu instid0(VALU_DEP_1) | instskip(SKIP_3) | instid1(VALU_DEP_3)
	v_fma_f32 v5, 0xcf800000, v3, |v1|
	v_cvt_u32_f32_e32 v1, v3
	s_wait_xcnt 0x1
	v_mov_b32_e32 v9, v8
	v_cvt_u32_f32_e32 v3, v5
	s_delay_alu instid0(VALU_DEP_3) | instskip(NEXT) | instid1(VALU_DEP_2)
	v_xor_b32_e32 v35, v1, v8
	v_xor_b32_e32 v34, v3, v8
	s_delay_alu instid0(VALU_DEP_1)
	v_sub_nc_u64_e32 v[8:9], v[34:35], v[8:9]
.LBB79_2203:
	s_mov_b32 s1, 0
.LBB79_2204:
	s_delay_alu instid0(SALU_CYCLE_1)
	s_and_not1_b32 vcc_lo, exec_lo, s1
	s_cbranch_vccnz .LBB79_2206
; %bb.2205:
	global_load_u16 v1, v[32:33], off
	s_wait_loadcnt 0x0
	v_cvt_f32_f16_e32 v1, v1
	s_delay_alu instid0(VALU_DEP_1) | instskip(SKIP_1) | instid1(VALU_DEP_1)
	v_cvt_i32_f32_e32 v8, v1
	s_wait_xcnt 0x1
	v_ashrrev_i32_e32 v9, 31, v8
.LBB79_2206:
	s_cbranch_execnz .LBB79_2225
.LBB79_2207:
	s_cmp_lt_i32 s0, 2
	s_cbranch_scc1 .LBB79_2211
; %bb.2208:
	s_cmp_lt_i32 s0, 3
	s_cbranch_scc1 .LBB79_2212
; %bb.2209:
	s_cmp_gt_i32 s0, 3
	s_cbranch_scc0 .LBB79_2213
; %bb.2210:
	s_wait_loadcnt 0x0
	global_load_b64 v[8:9], v[32:33], off
	s_mov_b32 s1, 0
	s_branch .LBB79_2214
.LBB79_2211:
                                        ; implicit-def: $vgpr8_vgpr9
	s_branch .LBB79_2220
.LBB79_2212:
	s_mov_b32 s1, -1
                                        ; implicit-def: $vgpr8_vgpr9
	s_branch .LBB79_2217
.LBB79_2213:
	s_mov_b32 s1, -1
                                        ; implicit-def: $vgpr8_vgpr9
.LBB79_2214:
	s_delay_alu instid0(SALU_CYCLE_1)
	s_and_not1_b32 vcc_lo, exec_lo, s1
	s_cbranch_vccnz .LBB79_2216
; %bb.2215:
	s_wait_loadcnt 0x0
	global_load_b32 v8, v[32:33], off
	s_wait_loadcnt 0x0
	s_wait_xcnt 0x1
	v_ashrrev_i32_e32 v9, 31, v8
.LBB79_2216:
	s_mov_b32 s1, 0
.LBB79_2217:
	s_delay_alu instid0(SALU_CYCLE_1)
	s_and_not1_b32 vcc_lo, exec_lo, s1
	s_cbranch_vccnz .LBB79_2219
; %bb.2218:
	global_load_u16 v1, v[32:33], off
	s_wait_loadcnt 0x0
	v_bfe_i32 v8, v1, 0, 16
	s_wait_xcnt 0x1
	s_delay_alu instid0(VALU_DEP_1)
	v_ashrrev_i32_e32 v9, 31, v8
.LBB79_2219:
	s_cbranch_execnz .LBB79_2225
.LBB79_2220:
	s_cmp_gt_i32 s0, 0
	s_mov_b32 s0, 0
	s_cbranch_scc0 .LBB79_2222
; %bb.2221:
	global_load_i8 v1, v[32:33], off
	s_wait_loadcnt 0x0
	v_bfe_i32 v8, v1, 0, 16
	s_wait_xcnt 0x1
	s_delay_alu instid0(VALU_DEP_1)
	v_ashrrev_i32_e32 v9, 31, v8
	s_branch .LBB79_2223
.LBB79_2222:
	s_mov_b32 s0, -1
                                        ; implicit-def: $vgpr8_vgpr9
.LBB79_2223:
	s_delay_alu instid0(SALU_CYCLE_1)
	s_and_not1_b32 vcc_lo, exec_lo, s0
	s_cbranch_vccnz .LBB79_2225
; %bb.2224:
	global_load_u8 v1, v[32:33], off
	s_mov_b32 s0, 0
	s_wait_loadcnt 0x1
	s_wait_xcnt 0x1
	v_mov_b32_e32 v9, s0
	s_wait_loadcnt 0x0
	v_and_b32_e32 v8, 0xffff, v1
.LBB79_2225:
.LBB79_2226:
	v_mov_b32_e32 v13, 0
	s_load_b64 s[0:1], s[2:3], 0x1d8
	global_load_u8 v1, v13, s[2:3] offset:506
	s_wait_kmcnt 0x0
	v_add_nc_u64_e32 v[32:33], s[0:1], v[12:13]
	s_wait_loadcnt 0x0
	v_and_b32_e32 v3, 0xffff, v1
	v_readfirstlane_b32 s11, v1
	s_delay_alu instid0(VALU_DEP_2)
	v_cmp_gt_i32_e32 vcc_lo, 11, v3
	s_cbranch_vccnz .LBB79_2233
; %bb.2227:
	s_and_b32 s8, 0xffff, s11
	s_mov_b32 s15, 0
	s_cmp_gt_i32 s8, 25
	s_cbranch_scc0 .LBB79_2235
; %bb.2228:
	s_cmp_gt_i32 s8, 28
	s_cbranch_scc0 .LBB79_2236
; %bb.2229:
	;; [unrolled: 3-line block ×4, first 2 shown]
	s_cmp_eq_u32 s8, 46
	s_mov_b32 s17, 0
	s_cbranch_scc0 .LBB79_2242
; %bb.2232:
	global_load_b32 v1, v[32:33], off
	s_mov_b32 s9, 0
	s_mov_b32 s16, -1
	s_wait_loadcnt 0x0
	v_lshlrev_b32_e32 v1, 16, v1
	s_delay_alu instid0(VALU_DEP_1) | instskip(NEXT) | instid1(VALU_DEP_1)
	v_trunc_f32_e32 v1, v1
	v_mul_f32_e64 v3, 0x2f800000, |v1|
	v_ashrrev_i32_e32 v12, 31, v1
	s_delay_alu instid0(VALU_DEP_2) | instskip(SKIP_1) | instid1(VALU_DEP_2)
	v_floor_f32_e32 v3, v3
	s_wait_xcnt 0x1
	v_mov_b32_e32 v13, v12
	s_delay_alu instid0(VALU_DEP_2) | instskip(SKIP_1) | instid1(VALU_DEP_2)
	v_fma_f32 v5, 0xcf800000, v3, |v1|
	v_cvt_u32_f32_e32 v1, v3
	v_cvt_u32_f32_e32 v3, v5
	s_delay_alu instid0(VALU_DEP_2) | instskip(NEXT) | instid1(VALU_DEP_2)
	v_xor_b32_e32 v35, v1, v12
	v_xor_b32_e32 v34, v3, v12
	s_delay_alu instid0(VALU_DEP_1)
	v_sub_nc_u64_e32 v[12:13], v[34:35], v[12:13]
	s_branch .LBB79_2244
.LBB79_2233:
	s_mov_b32 s16, 0
                                        ; implicit-def: $vgpr12_vgpr13
	s_cbranch_execnz .LBB79_2305
.LBB79_2234:
	s_and_not1_b32 vcc_lo, exec_lo, s16
	s_cbranch_vccnz .LBB79_4058
	s_branch .LBB79_2352
.LBB79_2235:
	s_mov_b32 s16, 0
	s_mov_b32 s9, 0
                                        ; implicit-def: $vgpr12_vgpr13
	s_cbranch_execnz .LBB79_2271
	s_branch .LBB79_2301
.LBB79_2236:
	s_mov_b32 s17, -1
	s_mov_b32 s16, 0
	s_mov_b32 s9, 0
                                        ; implicit-def: $vgpr12_vgpr13
	s_branch .LBB79_2254
.LBB79_2237:
	s_mov_b32 s17, -1
	s_mov_b32 s16, 0
	s_mov_b32 s9, 0
                                        ; implicit-def: $vgpr12_vgpr13
	s_branch .LBB79_2249
.LBB79_2238:
	s_or_b32 s14, s12, exec_lo
	s_trap 2
	s_cbranch_execz .LBB79_2179
	s_branch .LBB79_2180
.LBB79_2239:
	s_mov_b32 s17, -1
	s_mov_b32 s16, 0
	s_mov_b32 s9, 0
	s_branch .LBB79_2243
.LBB79_2240:
	s_and_not1_saveexec_b32 s10, s10
	s_cbranch_execz .LBB79_1986
.LBB79_2241:
	v_add_f32_e64 v1, 0x42800000, |v0|
	s_and_not1_b32 s9, s9, exec_lo
	s_delay_alu instid0(VALU_DEP_1) | instskip(NEXT) | instid1(VALU_DEP_1)
	v_and_b32_e32 v1, 0xff, v1
	v_cmp_ne_u32_e32 vcc_lo, 0, v1
	s_and_b32 s11, vcc_lo, exec_lo
	s_delay_alu instid0(SALU_CYCLE_1)
	s_or_b32 s9, s9, s11
	s_or_b32 exec_lo, exec_lo, s10
	v_mov_b32_e32 v2, 0
	s_and_saveexec_b32 s10, s9
	s_cbranch_execnz .LBB79_1987
	s_branch .LBB79_1988
.LBB79_2242:
	s_mov_b32 s9, -1
	s_mov_b32 s16, 0
.LBB79_2243:
                                        ; implicit-def: $vgpr12_vgpr13
.LBB79_2244:
	s_and_b32 vcc_lo, exec_lo, s17
	s_cbranch_vccz .LBB79_2248
; %bb.2245:
	s_cmp_eq_u32 s8, 44
	s_cbranch_scc0 .LBB79_2247
; %bb.2246:
	global_load_u8 v1, v[32:33], off
	s_mov_b32 s9, 0
	s_mov_b32 s16, -1
	s_wait_loadcnt 0x0
	v_lshlrev_b32_e32 v3, 23, v1
	v_cmp_ne_u32_e32 vcc_lo, 0, v1
	s_delay_alu instid0(VALU_DEP_2) | instskip(NEXT) | instid1(VALU_DEP_1)
	v_trunc_f32_e32 v3, v3
	v_mul_f32_e64 v5, 0x2f800000, |v3|
	v_ashrrev_i32_e32 v12, 31, v3
	s_delay_alu instid0(VALU_DEP_2) | instskip(SKIP_1) | instid1(VALU_DEP_2)
	v_floor_f32_e32 v5, v5
	s_wait_xcnt 0x1
	v_mov_b32_e32 v13, v12
	s_delay_alu instid0(VALU_DEP_2) | instskip(SKIP_1) | instid1(VALU_DEP_2)
	v_fma_f32 v7, 0xcf800000, v5, |v3|
	v_cvt_u32_f32_e32 v3, v5
	v_cvt_u32_f32_e32 v5, v7
	s_delay_alu instid0(VALU_DEP_2) | instskip(NEXT) | instid1(VALU_DEP_2)
	v_xor_b32_e32 v35, v3, v12
	v_xor_b32_e32 v34, v5, v12
	s_delay_alu instid0(VALU_DEP_1) | instskip(NEXT) | instid1(VALU_DEP_1)
	v_sub_nc_u64_e32 v[12:13], v[34:35], v[12:13]
	v_dual_cndmask_b32 v13, 0, v13 :: v_dual_cndmask_b32 v12, 0, v12
	s_branch .LBB79_2248
.LBB79_2247:
	s_mov_b32 s9, -1
                                        ; implicit-def: $vgpr12_vgpr13
.LBB79_2248:
	s_mov_b32 s17, 0
.LBB79_2249:
	s_delay_alu instid0(SALU_CYCLE_1)
	s_and_b32 vcc_lo, exec_lo, s17
	s_cbranch_vccz .LBB79_2253
; %bb.2250:
	s_cmp_eq_u32 s8, 29
	s_cbranch_scc0 .LBB79_2252
; %bb.2251:
	global_load_b64 v[12:13], v[32:33], off
	s_mov_b32 s9, 0
	s_mov_b32 s16, -1
	s_branch .LBB79_2253
.LBB79_2252:
	s_mov_b32 s9, -1
                                        ; implicit-def: $vgpr12_vgpr13
.LBB79_2253:
	s_mov_b32 s17, 0
.LBB79_2254:
	s_delay_alu instid0(SALU_CYCLE_1)
	s_and_b32 vcc_lo, exec_lo, s17
	s_cbranch_vccz .LBB79_2270
; %bb.2255:
	s_cmp_lt_i32 s8, 27
	s_cbranch_scc1 .LBB79_2258
; %bb.2256:
	s_cmp_gt_i32 s8, 27
	s_cbranch_scc0 .LBB79_2259
; %bb.2257:
	s_wait_loadcnt 0x0
	global_load_b32 v12, v[32:33], off
	s_wait_xcnt 0x1
	v_mov_b32_e32 v13, 0
	s_mov_b32 s16, 0
	s_branch .LBB79_2260
.LBB79_2258:
	s_mov_b32 s16, -1
                                        ; implicit-def: $vgpr12_vgpr13
	s_branch .LBB79_2263
.LBB79_2259:
	s_mov_b32 s16, -1
                                        ; implicit-def: $vgpr12_vgpr13
.LBB79_2260:
	s_delay_alu instid0(SALU_CYCLE_1)
	s_and_not1_b32 vcc_lo, exec_lo, s16
	s_cbranch_vccnz .LBB79_2262
; %bb.2261:
	global_load_u16 v1, v[32:33], off
	s_mov_b32 s16, 0
	s_wait_loadcnt 0x1
	s_wait_xcnt 0x1
	v_mov_b32_e32 v13, s16
	s_wait_loadcnt 0x0
	v_and_b32_e32 v12, 0xffff, v1
.LBB79_2262:
	s_mov_b32 s16, 0
.LBB79_2263:
	s_delay_alu instid0(SALU_CYCLE_1)
	s_and_not1_b32 vcc_lo, exec_lo, s16
	s_cbranch_vccnz .LBB79_2269
; %bb.2264:
	global_load_u8 v1, v[32:33], off
	s_mov_b32 s17, 0
	s_mov_b32 s16, exec_lo
	s_wait_loadcnt 0x0
	v_cmpx_lt_i16_e32 0x7f, v1
	s_xor_b32 s16, exec_lo, s16
	s_cbranch_execz .LBB79_2280
; %bb.2265:
	v_cmp_ne_u16_e32 vcc_lo, 0x80, v1
	s_and_b32 s17, vcc_lo, exec_lo
	s_and_not1_saveexec_b32 s16, s16
	s_cbranch_execnz .LBB79_2281
.LBB79_2266:
	s_or_b32 exec_lo, exec_lo, s16
	v_mov_b64_e32 v[12:13], 0
	s_and_saveexec_b32 s16, s17
	s_cbranch_execz .LBB79_2268
.LBB79_2267:
	v_and_b32_e32 v3, 0xffff, v1
	s_delay_alu instid0(VALU_DEP_1) | instskip(SKIP_1) | instid1(VALU_DEP_2)
	v_dual_lshlrev_b32 v1, 24, v1 :: v_dual_bitop2_b32 v5, 7, v3 bitop3:0x40
	v_bfe_u32 v12, v3, 3, 4
	v_and_b32_e32 v1, 0x80000000, v1
	s_delay_alu instid0(VALU_DEP_3) | instskip(NEXT) | instid1(VALU_DEP_3)
	v_clz_i32_u32_e32 v7, v5
	v_cmp_eq_u32_e32 vcc_lo, 0, v12
	s_delay_alu instid0(VALU_DEP_2) | instskip(NEXT) | instid1(VALU_DEP_1)
	v_min_u32_e32 v7, 32, v7
	v_subrev_nc_u32_e32 v11, 28, v7
	v_sub_nc_u32_e32 v7, 29, v7
	s_delay_alu instid0(VALU_DEP_2) | instskip(NEXT) | instid1(VALU_DEP_2)
	v_lshlrev_b32_e32 v3, v11, v3
	v_cndmask_b32_e32 v7, v12, v7, vcc_lo
	s_delay_alu instid0(VALU_DEP_2) | instskip(NEXT) | instid1(VALU_DEP_1)
	v_and_b32_e32 v3, 7, v3
	v_cndmask_b32_e32 v3, v5, v3, vcc_lo
	s_delay_alu instid0(VALU_DEP_3) | instskip(NEXT) | instid1(VALU_DEP_2)
	v_lshl_add_u32 v5, v7, 23, 0x3b800000
	v_lshlrev_b32_e32 v3, 20, v3
	s_delay_alu instid0(VALU_DEP_1) | instskip(NEXT) | instid1(VALU_DEP_1)
	v_or3_b32 v1, v1, v5, v3
	v_trunc_f32_e32 v1, v1
	s_delay_alu instid0(VALU_DEP_1) | instskip(SKIP_1) | instid1(VALU_DEP_2)
	v_mul_f32_e64 v3, 0x2f800000, |v1|
	v_ashrrev_i32_e32 v12, 31, v1
	v_floor_f32_e32 v3, v3
	s_delay_alu instid0(VALU_DEP_2) | instskip(NEXT) | instid1(VALU_DEP_2)
	v_mov_b32_e32 v13, v12
	v_fma_f32 v5, 0xcf800000, v3, |v1|
	v_cvt_u32_f32_e32 v1, v3
	s_delay_alu instid0(VALU_DEP_2) | instskip(NEXT) | instid1(VALU_DEP_2)
	v_cvt_u32_f32_e32 v3, v5
	v_xor_b32_e32 v35, v1, v12
	s_delay_alu instid0(VALU_DEP_2) | instskip(NEXT) | instid1(VALU_DEP_1)
	v_xor_b32_e32 v34, v3, v12
	v_sub_nc_u64_e32 v[12:13], v[34:35], v[12:13]
.LBB79_2268:
	s_or_b32 exec_lo, exec_lo, s16
.LBB79_2269:
	s_mov_b32 s16, -1
.LBB79_2270:
	s_branch .LBB79_2301
.LBB79_2271:
	s_cmp_gt_i32 s8, 22
	s_cbranch_scc0 .LBB79_2279
; %bb.2272:
	s_cmp_lt_i32 s8, 24
	s_cbranch_scc1 .LBB79_2282
; %bb.2273:
	s_cmp_gt_i32 s8, 24
	s_cbranch_scc0 .LBB79_2283
; %bb.2274:
	global_load_u8 v1, v[32:33], off
	s_mov_b32 s16, 0
	s_mov_b32 s15, exec_lo
	s_wait_loadcnt 0x0
	v_cmpx_lt_i16_e32 0x7f, v1
	s_xor_b32 s15, exec_lo, s15
	s_cbranch_execz .LBB79_2295
; %bb.2275:
	v_cmp_ne_u16_e32 vcc_lo, 0x80, v1
	s_and_b32 s16, vcc_lo, exec_lo
	s_and_not1_saveexec_b32 s15, s15
	s_cbranch_execnz .LBB79_2296
.LBB79_2276:
	s_or_b32 exec_lo, exec_lo, s15
	v_mov_b64_e32 v[12:13], 0
	s_and_saveexec_b32 s15, s16
	s_cbranch_execz .LBB79_2278
.LBB79_2277:
	v_and_b32_e32 v3, 0xffff, v1
	s_delay_alu instid0(VALU_DEP_1) | instskip(SKIP_1) | instid1(VALU_DEP_2)
	v_dual_lshlrev_b32 v1, 24, v1 :: v_dual_bitop2_b32 v5, 3, v3 bitop3:0x40
	v_bfe_u32 v12, v3, 2, 5
	v_and_b32_e32 v1, 0x80000000, v1
	s_delay_alu instid0(VALU_DEP_3) | instskip(NEXT) | instid1(VALU_DEP_3)
	v_clz_i32_u32_e32 v7, v5
	v_cmp_eq_u32_e32 vcc_lo, 0, v12
	s_delay_alu instid0(VALU_DEP_2) | instskip(NEXT) | instid1(VALU_DEP_1)
	v_min_u32_e32 v7, 32, v7
	v_subrev_nc_u32_e32 v11, 29, v7
	v_sub_nc_u32_e32 v7, 30, v7
	s_delay_alu instid0(VALU_DEP_2) | instskip(NEXT) | instid1(VALU_DEP_2)
	v_lshlrev_b32_e32 v3, v11, v3
	v_cndmask_b32_e32 v7, v12, v7, vcc_lo
	s_delay_alu instid0(VALU_DEP_2) | instskip(NEXT) | instid1(VALU_DEP_1)
	v_and_b32_e32 v3, 3, v3
	v_cndmask_b32_e32 v3, v5, v3, vcc_lo
	s_delay_alu instid0(VALU_DEP_3) | instskip(NEXT) | instid1(VALU_DEP_2)
	v_lshl_add_u32 v5, v7, 23, 0x37800000
	v_lshlrev_b32_e32 v3, 21, v3
	s_delay_alu instid0(VALU_DEP_1) | instskip(NEXT) | instid1(VALU_DEP_1)
	v_or3_b32 v1, v1, v5, v3
	v_trunc_f32_e32 v1, v1
	s_delay_alu instid0(VALU_DEP_1) | instskip(SKIP_1) | instid1(VALU_DEP_2)
	v_mul_f32_e64 v3, 0x2f800000, |v1|
	v_ashrrev_i32_e32 v12, 31, v1
	v_floor_f32_e32 v3, v3
	s_delay_alu instid0(VALU_DEP_2) | instskip(NEXT) | instid1(VALU_DEP_2)
	v_mov_b32_e32 v13, v12
	v_fma_f32 v5, 0xcf800000, v3, |v1|
	v_cvt_u32_f32_e32 v1, v3
	s_delay_alu instid0(VALU_DEP_2) | instskip(NEXT) | instid1(VALU_DEP_2)
	v_cvt_u32_f32_e32 v3, v5
	v_xor_b32_e32 v35, v1, v12
	s_delay_alu instid0(VALU_DEP_2) | instskip(NEXT) | instid1(VALU_DEP_1)
	v_xor_b32_e32 v34, v3, v12
	v_sub_nc_u64_e32 v[12:13], v[34:35], v[12:13]
.LBB79_2278:
	s_or_b32 exec_lo, exec_lo, s15
	s_mov_b32 s15, 0
	s_branch .LBB79_2284
.LBB79_2279:
	s_mov_b32 s15, -1
                                        ; implicit-def: $vgpr12_vgpr13
	s_branch .LBB79_2290
.LBB79_2280:
	s_and_not1_saveexec_b32 s16, s16
	s_cbranch_execz .LBB79_2266
.LBB79_2281:
	v_cmp_ne_u16_e32 vcc_lo, 0, v1
	s_and_not1_b32 s17, s17, exec_lo
	s_and_b32 s18, vcc_lo, exec_lo
	s_delay_alu instid0(SALU_CYCLE_1)
	s_or_b32 s17, s17, s18
	s_or_b32 exec_lo, exec_lo, s16
	v_mov_b64_e32 v[12:13], 0
	s_and_saveexec_b32 s16, s17
	s_cbranch_execnz .LBB79_2267
	s_branch .LBB79_2268
.LBB79_2282:
	s_mov_b32 s15, -1
                                        ; implicit-def: $vgpr12_vgpr13
	s_branch .LBB79_2287
.LBB79_2283:
	s_mov_b32 s15, -1
                                        ; implicit-def: $vgpr12_vgpr13
.LBB79_2284:
	s_delay_alu instid0(SALU_CYCLE_1)
	s_and_b32 vcc_lo, exec_lo, s15
	s_cbranch_vccz .LBB79_2286
; %bb.2285:
	global_load_u8 v1, v[32:33], off
	s_wait_loadcnt 0x0
	v_lshlrev_b32_e32 v1, 24, v1
	s_delay_alu instid0(VALU_DEP_1) | instskip(NEXT) | instid1(VALU_DEP_1)
	v_and_b32_e32 v3, 0x7f000000, v1
	v_clz_i32_u32_e32 v5, v3
	v_add_nc_u32_e32 v11, 0x1000000, v3
	v_cmp_ne_u32_e32 vcc_lo, 0, v3
	s_delay_alu instid0(VALU_DEP_3) | instskip(NEXT) | instid1(VALU_DEP_1)
	v_min_u32_e32 v5, 32, v5
	v_sub_nc_u32_e64 v5, v5, 4 clamp
	s_delay_alu instid0(VALU_DEP_1) | instskip(NEXT) | instid1(VALU_DEP_1)
	v_dual_lshlrev_b32 v7, v5, v3 :: v_dual_lshlrev_b32 v5, 23, v5
	v_lshrrev_b32_e32 v7, 4, v7
	s_delay_alu instid0(VALU_DEP_1) | instskip(NEXT) | instid1(VALU_DEP_1)
	v_dual_sub_nc_u32 v5, v7, v5 :: v_dual_ashrrev_i32 v7, 8, v11
	v_add_nc_u32_e32 v5, 0x3c000000, v5
	s_delay_alu instid0(VALU_DEP_1) | instskip(NEXT) | instid1(VALU_DEP_1)
	v_and_or_b32 v5, 0x7f800000, v7, v5
	v_cndmask_b32_e32 v3, 0, v5, vcc_lo
	s_delay_alu instid0(VALU_DEP_1) | instskip(NEXT) | instid1(VALU_DEP_1)
	v_and_or_b32 v1, 0x80000000, v1, v3
	v_trunc_f32_e32 v1, v1
	s_delay_alu instid0(VALU_DEP_1) | instskip(SKIP_1) | instid1(VALU_DEP_2)
	v_mul_f32_e64 v3, 0x2f800000, |v1|
	v_ashrrev_i32_e32 v12, 31, v1
	v_floor_f32_e32 v3, v3
	s_wait_xcnt 0x1
	s_delay_alu instid0(VALU_DEP_2) | instskip(NEXT) | instid1(VALU_DEP_2)
	v_mov_b32_e32 v13, v12
	v_fma_f32 v5, 0xcf800000, v3, |v1|
	v_cvt_u32_f32_e32 v1, v3
	s_delay_alu instid0(VALU_DEP_2) | instskip(NEXT) | instid1(VALU_DEP_2)
	v_cvt_u32_f32_e32 v3, v5
	v_xor_b32_e32 v35, v1, v12
	s_delay_alu instid0(VALU_DEP_2) | instskip(NEXT) | instid1(VALU_DEP_1)
	v_xor_b32_e32 v34, v3, v12
	v_sub_nc_u64_e32 v[12:13], v[34:35], v[12:13]
.LBB79_2286:
	s_mov_b32 s15, 0
.LBB79_2287:
	s_delay_alu instid0(SALU_CYCLE_1)
	s_and_not1_b32 vcc_lo, exec_lo, s15
	s_cbranch_vccnz .LBB79_2289
; %bb.2288:
	global_load_u8 v1, v[32:33], off
	s_wait_loadcnt 0x0
	v_lshlrev_b32_e32 v3, 25, v1
	v_lshlrev_b16 v1, 8, v1
	s_delay_alu instid0(VALU_DEP_1) | instskip(SKIP_1) | instid1(VALU_DEP_2)
	v_and_or_b32 v7, 0x7f00, v1, 0.5
	v_bfe_i32 v1, v1, 0, 16
	v_add_f32_e32 v7, -0.5, v7
	v_lshrrev_b32_e32 v5, 4, v3
	v_cmp_gt_u32_e32 vcc_lo, 0x8000000, v3
	s_delay_alu instid0(VALU_DEP_2) | instskip(NEXT) | instid1(VALU_DEP_1)
	v_or_b32_e32 v5, 0x70000000, v5
	v_mul_f32_e32 v5, 0x7800000, v5
	s_delay_alu instid0(VALU_DEP_1) | instskip(NEXT) | instid1(VALU_DEP_1)
	v_cndmask_b32_e32 v3, v5, v7, vcc_lo
	v_and_or_b32 v1, 0x80000000, v1, v3
	s_delay_alu instid0(VALU_DEP_1) | instskip(NEXT) | instid1(VALU_DEP_1)
	v_trunc_f32_e32 v1, v1
	v_mul_f32_e64 v3, 0x2f800000, |v1|
	v_ashrrev_i32_e32 v12, 31, v1
	s_delay_alu instid0(VALU_DEP_2) | instskip(SKIP_1) | instid1(VALU_DEP_2)
	v_floor_f32_e32 v3, v3
	s_wait_xcnt 0x1
	v_mov_b32_e32 v13, v12
	s_delay_alu instid0(VALU_DEP_2) | instskip(SKIP_1) | instid1(VALU_DEP_2)
	v_fma_f32 v5, 0xcf800000, v3, |v1|
	v_cvt_u32_f32_e32 v1, v3
	v_cvt_u32_f32_e32 v3, v5
	s_delay_alu instid0(VALU_DEP_2) | instskip(NEXT) | instid1(VALU_DEP_2)
	v_xor_b32_e32 v35, v1, v12
	v_xor_b32_e32 v34, v3, v12
	s_delay_alu instid0(VALU_DEP_1)
	v_sub_nc_u64_e32 v[12:13], v[34:35], v[12:13]
.LBB79_2289:
	s_mov_b32 s15, 0
	s_mov_b32 s16, -1
.LBB79_2290:
	s_and_not1_b32 vcc_lo, exec_lo, s15
	s_mov_b32 s15, 0
	s_cbranch_vccnz .LBB79_2301
; %bb.2291:
	s_cmp_gt_i32 s8, 14
	s_cbranch_scc0 .LBB79_2294
; %bb.2292:
	s_cmp_eq_u32 s8, 15
	s_cbranch_scc0 .LBB79_2297
; %bb.2293:
	global_load_u16 v1, v[32:33], off
	s_mov_b32 s9, 0
	s_mov_b32 s16, -1
	s_wait_loadcnt 0x0
	v_lshlrev_b32_e32 v1, 16, v1
	s_delay_alu instid0(VALU_DEP_1) | instskip(NEXT) | instid1(VALU_DEP_1)
	v_trunc_f32_e32 v1, v1
	v_mul_f32_e64 v3, 0x2f800000, |v1|
	v_ashrrev_i32_e32 v12, 31, v1
	s_delay_alu instid0(VALU_DEP_2) | instskip(SKIP_1) | instid1(VALU_DEP_2)
	v_floor_f32_e32 v3, v3
	s_wait_xcnt 0x1
	v_mov_b32_e32 v13, v12
	s_delay_alu instid0(VALU_DEP_2) | instskip(SKIP_1) | instid1(VALU_DEP_2)
	v_fma_f32 v5, 0xcf800000, v3, |v1|
	v_cvt_u32_f32_e32 v1, v3
	v_cvt_u32_f32_e32 v3, v5
	s_delay_alu instid0(VALU_DEP_2) | instskip(NEXT) | instid1(VALU_DEP_2)
	v_xor_b32_e32 v35, v1, v12
	v_xor_b32_e32 v34, v3, v12
	s_delay_alu instid0(VALU_DEP_1)
	v_sub_nc_u64_e32 v[12:13], v[34:35], v[12:13]
	s_branch .LBB79_2299
.LBB79_2294:
	s_mov_b32 s15, -1
	s_branch .LBB79_2298
.LBB79_2295:
	s_and_not1_saveexec_b32 s15, s15
	s_cbranch_execz .LBB79_2276
.LBB79_2296:
	v_cmp_ne_u16_e32 vcc_lo, 0, v1
	s_and_not1_b32 s16, s16, exec_lo
	s_and_b32 s17, vcc_lo, exec_lo
	s_delay_alu instid0(SALU_CYCLE_1)
	s_or_b32 s16, s16, s17
	s_or_b32 exec_lo, exec_lo, s15
	v_mov_b64_e32 v[12:13], 0
	s_and_saveexec_b32 s15, s16
	s_cbranch_execnz .LBB79_2277
	s_branch .LBB79_2278
.LBB79_2297:
	s_mov_b32 s9, -1
.LBB79_2298:
                                        ; implicit-def: $vgpr12_vgpr13
.LBB79_2299:
	s_and_b32 vcc_lo, exec_lo, s15
	s_mov_b32 s15, 0
	s_cbranch_vccz .LBB79_2301
; %bb.2300:
	s_cmp_lg_u32 s8, 11
	s_mov_b32 s15, -1
	s_cselect_b32 s9, -1, 0
.LBB79_2301:
	s_delay_alu instid0(SALU_CYCLE_1)
	s_and_b32 vcc_lo, exec_lo, s9
	s_cbranch_vccnz .LBB79_2364
; %bb.2302:
	s_and_not1_b32 vcc_lo, exec_lo, s15
	s_cbranch_vccnz .LBB79_2304
.LBB79_2303:
	global_load_u8 v1, v[32:33], off
	s_mov_b32 s8, 0
	s_mov_b32 s16, -1
	s_wait_loadcnt 0x1
	s_wait_xcnt 0x1
	v_mov_b32_e32 v13, s8
	s_wait_loadcnt 0x0
	v_cmp_ne_u16_e32 vcc_lo, 0, v1
	v_cndmask_b32_e64 v12, 0, 1, vcc_lo
.LBB79_2304:
	s_branch .LBB79_2234
.LBB79_2305:
	s_and_b32 s8, 0xffff, s11
	s_delay_alu instid0(SALU_CYCLE_1)
	s_cmp_lt_i32 s8, 5
	s_cbranch_scc1 .LBB79_2310
; %bb.2306:
	s_cmp_lt_i32 s8, 8
	s_cbranch_scc1 .LBB79_2311
; %bb.2307:
	;; [unrolled: 3-line block ×3, first 2 shown]
	s_cmp_gt_i32 s8, 9
	s_cbranch_scc0 .LBB79_2313
; %bb.2309:
	s_wait_loadcnt 0x0
	global_load_b64 v[12:13], v[32:33], off
	s_mov_b32 s9, 0
	s_wait_loadcnt 0x0
	v_trunc_f64_e32 v[12:13], v[12:13]
	s_delay_alu instid0(VALU_DEP_1) | instskip(NEXT) | instid1(VALU_DEP_1)
	v_ldexp_f64 v[34:35], v[12:13], 0xffffffe0
	v_floor_f64_e32 v[34:35], v[34:35]
	s_delay_alu instid0(VALU_DEP_1) | instskip(SKIP_1) | instid1(VALU_DEP_2)
	v_fmamk_f64 v[36:37], v[34:35], 0xc1f00000, v[12:13]
	v_cvt_i32_f64_e32 v13, v[34:35]
	v_cvt_u32_f64_e32 v12, v[36:37]
	s_branch .LBB79_2314
.LBB79_2310:
                                        ; implicit-def: $vgpr12_vgpr13
	s_branch .LBB79_2332
.LBB79_2311:
	s_mov_b32 s9, -1
                                        ; implicit-def: $vgpr12_vgpr13
	s_branch .LBB79_2320
.LBB79_2312:
	s_mov_b32 s9, -1
                                        ; implicit-def: $vgpr12_vgpr13
	s_branch .LBB79_2317
.LBB79_2313:
	s_mov_b32 s9, -1
                                        ; implicit-def: $vgpr12_vgpr13
.LBB79_2314:
	s_delay_alu instid0(SALU_CYCLE_1)
	s_and_not1_b32 vcc_lo, exec_lo, s9
	s_cbranch_vccnz .LBB79_2316
; %bb.2315:
	global_load_b32 v1, v[32:33], off
	s_wait_loadcnt 0x0
	v_trunc_f32_e32 v1, v1
	s_delay_alu instid0(VALU_DEP_1) | instskip(SKIP_1) | instid1(VALU_DEP_2)
	v_mul_f32_e64 v3, 0x2f800000, |v1|
	v_ashrrev_i32_e32 v12, 31, v1
	v_floor_f32_e32 v3, v3
	s_delay_alu instid0(VALU_DEP_1) | instskip(SKIP_3) | instid1(VALU_DEP_3)
	v_fma_f32 v5, 0xcf800000, v3, |v1|
	v_cvt_u32_f32_e32 v1, v3
	s_wait_xcnt 0x1
	v_mov_b32_e32 v13, v12
	v_cvt_u32_f32_e32 v3, v5
	s_delay_alu instid0(VALU_DEP_3) | instskip(NEXT) | instid1(VALU_DEP_2)
	v_xor_b32_e32 v35, v1, v12
	v_xor_b32_e32 v34, v3, v12
	s_delay_alu instid0(VALU_DEP_1)
	v_sub_nc_u64_e32 v[12:13], v[34:35], v[12:13]
.LBB79_2316:
	s_mov_b32 s9, 0
.LBB79_2317:
	s_delay_alu instid0(SALU_CYCLE_1)
	s_and_not1_b32 vcc_lo, exec_lo, s9
	s_cbranch_vccnz .LBB79_2319
; %bb.2318:
	global_load_b32 v1, v[32:33], off
	s_wait_loadcnt 0x0
	v_cvt_f32_f16_e32 v1, v1
	s_delay_alu instid0(VALU_DEP_1) | instskip(SKIP_1) | instid1(VALU_DEP_1)
	v_cvt_i32_f32_e32 v12, v1
	s_wait_xcnt 0x1
	v_ashrrev_i32_e32 v13, 31, v12
.LBB79_2319:
	s_mov_b32 s9, 0
.LBB79_2320:
	s_delay_alu instid0(SALU_CYCLE_1)
	s_and_not1_b32 vcc_lo, exec_lo, s9
	s_cbranch_vccnz .LBB79_2331
; %bb.2321:
	s_cmp_lt_i32 s8, 6
	s_cbranch_scc1 .LBB79_2324
; %bb.2322:
	s_cmp_gt_i32 s8, 6
	s_cbranch_scc0 .LBB79_2325
; %bb.2323:
	s_wait_loadcnt 0x0
	global_load_b64 v[12:13], v[32:33], off
	s_mov_b32 s9, 0
	s_wait_loadcnt 0x0
	v_trunc_f64_e32 v[12:13], v[12:13]
	s_delay_alu instid0(VALU_DEP_1) | instskip(NEXT) | instid1(VALU_DEP_1)
	v_ldexp_f64 v[34:35], v[12:13], 0xffffffe0
	v_floor_f64_e32 v[34:35], v[34:35]
	s_delay_alu instid0(VALU_DEP_1) | instskip(SKIP_1) | instid1(VALU_DEP_2)
	v_fmamk_f64 v[36:37], v[34:35], 0xc1f00000, v[12:13]
	v_cvt_i32_f64_e32 v13, v[34:35]
	v_cvt_u32_f64_e32 v12, v[36:37]
	s_branch .LBB79_2326
.LBB79_2324:
	s_mov_b32 s9, -1
                                        ; implicit-def: $vgpr12_vgpr13
	s_branch .LBB79_2329
.LBB79_2325:
	s_mov_b32 s9, -1
                                        ; implicit-def: $vgpr12_vgpr13
.LBB79_2326:
	s_delay_alu instid0(SALU_CYCLE_1)
	s_and_not1_b32 vcc_lo, exec_lo, s9
	s_cbranch_vccnz .LBB79_2328
; %bb.2327:
	global_load_b32 v1, v[32:33], off
	s_wait_loadcnt 0x0
	v_trunc_f32_e32 v1, v1
	s_delay_alu instid0(VALU_DEP_1) | instskip(SKIP_1) | instid1(VALU_DEP_2)
	v_mul_f32_e64 v3, 0x2f800000, |v1|
	v_ashrrev_i32_e32 v12, 31, v1
	v_floor_f32_e32 v3, v3
	s_delay_alu instid0(VALU_DEP_1) | instskip(SKIP_3) | instid1(VALU_DEP_3)
	v_fma_f32 v5, 0xcf800000, v3, |v1|
	v_cvt_u32_f32_e32 v1, v3
	s_wait_xcnt 0x1
	v_mov_b32_e32 v13, v12
	v_cvt_u32_f32_e32 v3, v5
	s_delay_alu instid0(VALU_DEP_3) | instskip(NEXT) | instid1(VALU_DEP_2)
	v_xor_b32_e32 v35, v1, v12
	v_xor_b32_e32 v34, v3, v12
	s_delay_alu instid0(VALU_DEP_1)
	v_sub_nc_u64_e32 v[12:13], v[34:35], v[12:13]
.LBB79_2328:
	s_mov_b32 s9, 0
.LBB79_2329:
	s_delay_alu instid0(SALU_CYCLE_1)
	s_and_not1_b32 vcc_lo, exec_lo, s9
	s_cbranch_vccnz .LBB79_2331
; %bb.2330:
	global_load_u16 v1, v[32:33], off
	s_wait_loadcnt 0x0
	v_cvt_f32_f16_e32 v1, v1
	s_delay_alu instid0(VALU_DEP_1) | instskip(SKIP_1) | instid1(VALU_DEP_1)
	v_cvt_i32_f32_e32 v12, v1
	s_wait_xcnt 0x1
	v_ashrrev_i32_e32 v13, 31, v12
.LBB79_2331:
	s_cbranch_execnz .LBB79_2351
.LBB79_2332:
	s_cmp_lt_i32 s8, 2
	s_cbranch_scc1 .LBB79_2336
; %bb.2333:
	s_cmp_lt_i32 s8, 3
	s_cbranch_scc1 .LBB79_2337
; %bb.2334:
	s_cmp_gt_i32 s8, 3
	s_cbranch_scc0 .LBB79_2338
; %bb.2335:
	s_wait_loadcnt 0x0
	global_load_b64 v[12:13], v[32:33], off
	s_mov_b32 s9, 0
	s_branch .LBB79_2339
.LBB79_2336:
	s_mov_b32 s9, -1
                                        ; implicit-def: $vgpr12_vgpr13
	s_branch .LBB79_2345
.LBB79_2337:
	s_mov_b32 s9, -1
                                        ; implicit-def: $vgpr12_vgpr13
	s_branch .LBB79_2342
.LBB79_2338:
	s_mov_b32 s9, -1
                                        ; implicit-def: $vgpr12_vgpr13
.LBB79_2339:
	s_delay_alu instid0(SALU_CYCLE_1)
	s_and_not1_b32 vcc_lo, exec_lo, s9
	s_cbranch_vccnz .LBB79_2341
; %bb.2340:
	s_wait_loadcnt 0x0
	global_load_b32 v12, v[32:33], off
	s_wait_loadcnt 0x0
	s_wait_xcnt 0x1
	v_ashrrev_i32_e32 v13, 31, v12
.LBB79_2341:
	s_mov_b32 s9, 0
.LBB79_2342:
	s_delay_alu instid0(SALU_CYCLE_1)
	s_and_not1_b32 vcc_lo, exec_lo, s9
	s_cbranch_vccnz .LBB79_2344
; %bb.2343:
	global_load_u16 v1, v[32:33], off
	s_wait_loadcnt 0x0
	v_bfe_i32 v12, v1, 0, 16
	s_wait_xcnt 0x1
	s_delay_alu instid0(VALU_DEP_1)
	v_ashrrev_i32_e32 v13, 31, v12
.LBB79_2344:
	s_mov_b32 s9, 0
.LBB79_2345:
	s_delay_alu instid0(SALU_CYCLE_1)
	s_and_not1_b32 vcc_lo, exec_lo, s9
	s_cbranch_vccnz .LBB79_2351
; %bb.2346:
	s_cmp_gt_i32 s8, 0
	s_mov_b32 s8, 0
	s_cbranch_scc0 .LBB79_2348
; %bb.2347:
	global_load_i8 v1, v[32:33], off
	s_wait_loadcnt 0x0
	v_bfe_i32 v12, v1, 0, 16
	s_wait_xcnt 0x1
	s_delay_alu instid0(VALU_DEP_1)
	v_ashrrev_i32_e32 v13, 31, v12
	s_branch .LBB79_2349
.LBB79_2348:
	s_mov_b32 s8, -1
                                        ; implicit-def: $vgpr12_vgpr13
.LBB79_2349:
	s_delay_alu instid0(SALU_CYCLE_1)
	s_and_not1_b32 vcc_lo, exec_lo, s8
	s_cbranch_vccnz .LBB79_2351
; %bb.2350:
	global_load_u8 v1, v[32:33], off
	s_mov_b32 s8, 0
	s_wait_loadcnt 0x1
	s_wait_xcnt 0x1
	v_mov_b32_e32 v13, s8
	s_wait_loadcnt 0x0
	v_and_b32_e32 v12, 0xffff, v1
.LBB79_2351:
.LBB79_2352:
	v_mov_b32_e32 v17, 0
	s_load_b64 s[8:9], s[2:3], 0x1e0
	global_load_u8 v1, v17, s[2:3] offset:507
	s_wait_kmcnt 0x0
	v_add_nc_u64_e32 v[32:33], s[8:9], v[16:17]
	s_wait_loadcnt 0x0
	v_and_b32_e32 v3, 0xffff, v1
	v_readfirstlane_b32 s15, v1
	s_delay_alu instid0(VALU_DEP_2)
	v_cmp_gt_i32_e32 vcc_lo, 11, v3
	s_cbranch_vccnz .LBB79_2359
; %bb.2353:
	s_and_b32 s16, 0xffff, s15
	s_mov_b32 s18, 0
	s_cmp_gt_i32 s16, 25
	s_cbranch_scc0 .LBB79_2361
; %bb.2354:
	s_cmp_gt_i32 s16, 28
	s_cbranch_scc0 .LBB79_2362
; %bb.2355:
	;; [unrolled: 3-line block ×4, first 2 shown]
	s_cmp_eq_u32 s16, 46
	s_mov_b32 s20, 0
	s_cbranch_scc0 .LBB79_2366
; %bb.2358:
	global_load_b32 v1, v[32:33], off
	s_mov_b32 s17, 0
	s_mov_b32 s19, -1
	s_wait_loadcnt 0x0
	v_lshlrev_b32_e32 v1, 16, v1
	s_delay_alu instid0(VALU_DEP_1) | instskip(NEXT) | instid1(VALU_DEP_1)
	v_trunc_f32_e32 v1, v1
	v_mul_f32_e64 v3, 0x2f800000, |v1|
	v_ashrrev_i32_e32 v16, 31, v1
	s_delay_alu instid0(VALU_DEP_2) | instskip(SKIP_1) | instid1(VALU_DEP_2)
	v_floor_f32_e32 v3, v3
	s_wait_xcnt 0x1
	v_mov_b32_e32 v17, v16
	s_delay_alu instid0(VALU_DEP_2) | instskip(SKIP_1) | instid1(VALU_DEP_2)
	v_fma_f32 v5, 0xcf800000, v3, |v1|
	v_cvt_u32_f32_e32 v1, v3
	v_cvt_u32_f32_e32 v3, v5
	s_delay_alu instid0(VALU_DEP_2) | instskip(NEXT) | instid1(VALU_DEP_2)
	v_xor_b32_e32 v35, v1, v16
	v_xor_b32_e32 v34, v3, v16
	s_delay_alu instid0(VALU_DEP_1)
	v_sub_nc_u64_e32 v[16:17], v[34:35], v[16:17]
	s_branch .LBB79_2368
.LBB79_2359:
	s_mov_b32 s19, 0
                                        ; implicit-def: $vgpr16_vgpr17
	s_cbranch_execnz .LBB79_2430
.LBB79_2360:
	s_and_not1_b32 vcc_lo, exec_lo, s19
	s_cbranch_vccnz .LBB79_4058
	s_branch .LBB79_2478
.LBB79_2361:
	s_mov_b32 s20, -1
	s_mov_b32 s19, 0
	s_mov_b32 s17, 0
                                        ; implicit-def: $vgpr16_vgpr17
	s_branch .LBB79_2395
.LBB79_2362:
	s_mov_b32 s20, -1
	s_mov_b32 s19, 0
	s_mov_b32 s17, 0
                                        ; implicit-def: $vgpr16_vgpr17
	s_branch .LBB79_2378
.LBB79_2363:
	s_mov_b32 s20, -1
	s_mov_b32 s19, 0
	s_mov_b32 s17, 0
                                        ; implicit-def: $vgpr16_vgpr17
	s_branch .LBB79_2373
.LBB79_2364:
	s_or_b32 s14, s14, exec_lo
	s_trap 2
	s_cbranch_execz .LBB79_2303
	s_branch .LBB79_2304
.LBB79_2365:
	s_mov_b32 s20, -1
	s_mov_b32 s19, 0
	s_mov_b32 s17, 0
	s_branch .LBB79_2367
.LBB79_2366:
	s_mov_b32 s17, -1
	s_mov_b32 s19, 0
.LBB79_2367:
                                        ; implicit-def: $vgpr16_vgpr17
.LBB79_2368:
	s_and_b32 vcc_lo, exec_lo, s20
	s_cbranch_vccz .LBB79_2372
; %bb.2369:
	s_cmp_eq_u32 s16, 44
	s_cbranch_scc0 .LBB79_2371
; %bb.2370:
	global_load_u8 v1, v[32:33], off
	s_mov_b32 s17, 0
	s_mov_b32 s19, -1
	s_wait_loadcnt 0x0
	v_lshlrev_b32_e32 v3, 23, v1
	v_cmp_ne_u32_e32 vcc_lo, 0, v1
	s_delay_alu instid0(VALU_DEP_2) | instskip(NEXT) | instid1(VALU_DEP_1)
	v_trunc_f32_e32 v3, v3
	v_mul_f32_e64 v5, 0x2f800000, |v3|
	v_ashrrev_i32_e32 v16, 31, v3
	s_delay_alu instid0(VALU_DEP_2) | instskip(SKIP_1) | instid1(VALU_DEP_2)
	v_floor_f32_e32 v5, v5
	s_wait_xcnt 0x1
	v_mov_b32_e32 v17, v16
	s_delay_alu instid0(VALU_DEP_2) | instskip(SKIP_1) | instid1(VALU_DEP_2)
	v_fma_f32 v7, 0xcf800000, v5, |v3|
	v_cvt_u32_f32_e32 v3, v5
	v_cvt_u32_f32_e32 v5, v7
	s_delay_alu instid0(VALU_DEP_2) | instskip(NEXT) | instid1(VALU_DEP_2)
	v_xor_b32_e32 v35, v3, v16
	v_xor_b32_e32 v34, v5, v16
	s_delay_alu instid0(VALU_DEP_1) | instskip(NEXT) | instid1(VALU_DEP_1)
	v_sub_nc_u64_e32 v[16:17], v[34:35], v[16:17]
	v_dual_cndmask_b32 v17, 0, v17 :: v_dual_cndmask_b32 v16, 0, v16
	s_branch .LBB79_2372
.LBB79_2371:
	s_mov_b32 s17, -1
                                        ; implicit-def: $vgpr16_vgpr17
.LBB79_2372:
	s_mov_b32 s20, 0
.LBB79_2373:
	s_delay_alu instid0(SALU_CYCLE_1)
	s_and_b32 vcc_lo, exec_lo, s20
	s_cbranch_vccz .LBB79_2377
; %bb.2374:
	s_cmp_eq_u32 s16, 29
	s_cbranch_scc0 .LBB79_2376
; %bb.2375:
	global_load_b64 v[16:17], v[32:33], off
	s_mov_b32 s17, 0
	s_mov_b32 s19, -1
	s_branch .LBB79_2377
.LBB79_2376:
	s_mov_b32 s17, -1
                                        ; implicit-def: $vgpr16_vgpr17
.LBB79_2377:
	s_mov_b32 s20, 0
.LBB79_2378:
	s_delay_alu instid0(SALU_CYCLE_1)
	s_and_b32 vcc_lo, exec_lo, s20
	s_cbranch_vccz .LBB79_2394
; %bb.2379:
	s_cmp_lt_i32 s16, 27
	s_cbranch_scc1 .LBB79_2382
; %bb.2380:
	s_cmp_gt_i32 s16, 27
	s_cbranch_scc0 .LBB79_2383
; %bb.2381:
	s_wait_loadcnt 0x0
	global_load_b32 v16, v[32:33], off
	s_wait_xcnt 0x1
	v_mov_b32_e32 v17, 0
	s_mov_b32 s19, 0
	s_branch .LBB79_2384
.LBB79_2382:
	s_mov_b32 s19, -1
                                        ; implicit-def: $vgpr16_vgpr17
	s_branch .LBB79_2387
.LBB79_2383:
	s_mov_b32 s19, -1
                                        ; implicit-def: $vgpr16_vgpr17
.LBB79_2384:
	s_delay_alu instid0(SALU_CYCLE_1)
	s_and_not1_b32 vcc_lo, exec_lo, s19
	s_cbranch_vccnz .LBB79_2386
; %bb.2385:
	global_load_u16 v1, v[32:33], off
	s_mov_b32 s19, 0
	s_wait_loadcnt 0x1
	s_wait_xcnt 0x1
	v_mov_b32_e32 v17, s19
	s_wait_loadcnt 0x0
	v_and_b32_e32 v16, 0xffff, v1
.LBB79_2386:
	s_mov_b32 s19, 0
.LBB79_2387:
	s_delay_alu instid0(SALU_CYCLE_1)
	s_and_not1_b32 vcc_lo, exec_lo, s19
	s_cbranch_vccnz .LBB79_2393
; %bb.2388:
	global_load_u8 v1, v[32:33], off
	s_mov_b32 s20, 0
	s_mov_b32 s19, exec_lo
	s_wait_loadcnt 0x0
	v_cmpx_lt_i16_e32 0x7f, v1
	s_xor_b32 s19, exec_lo, s19
	s_cbranch_execz .LBB79_2405
; %bb.2389:
	v_cmp_ne_u16_e32 vcc_lo, 0x80, v1
	s_and_b32 s20, vcc_lo, exec_lo
	s_and_not1_saveexec_b32 s19, s19
	s_cbranch_execnz .LBB79_2406
.LBB79_2390:
	s_or_b32 exec_lo, exec_lo, s19
	v_mov_b64_e32 v[16:17], 0
	s_and_saveexec_b32 s19, s20
	s_cbranch_execz .LBB79_2392
.LBB79_2391:
	v_and_b32_e32 v3, 0xffff, v1
	s_delay_alu instid0(VALU_DEP_1) | instskip(SKIP_1) | instid1(VALU_DEP_2)
	v_dual_lshlrev_b32 v1, 24, v1 :: v_dual_bitop2_b32 v5, 7, v3 bitop3:0x40
	v_bfe_u32 v15, v3, 3, 4
	v_and_b32_e32 v1, 0x80000000, v1
	s_delay_alu instid0(VALU_DEP_3) | instskip(NEXT) | instid1(VALU_DEP_3)
	v_clz_i32_u32_e32 v7, v5
	v_cmp_eq_u32_e32 vcc_lo, 0, v15
	s_delay_alu instid0(VALU_DEP_2) | instskip(NEXT) | instid1(VALU_DEP_1)
	v_min_u32_e32 v7, 32, v7
	v_subrev_nc_u32_e32 v11, 28, v7
	v_sub_nc_u32_e32 v7, 29, v7
	s_delay_alu instid0(VALU_DEP_2) | instskip(NEXT) | instid1(VALU_DEP_2)
	v_lshlrev_b32_e32 v3, v11, v3
	v_cndmask_b32_e32 v7, v15, v7, vcc_lo
	s_delay_alu instid0(VALU_DEP_2) | instskip(NEXT) | instid1(VALU_DEP_1)
	v_and_b32_e32 v3, 7, v3
	v_cndmask_b32_e32 v3, v5, v3, vcc_lo
	s_delay_alu instid0(VALU_DEP_3) | instskip(NEXT) | instid1(VALU_DEP_2)
	v_lshl_add_u32 v5, v7, 23, 0x3b800000
	v_lshlrev_b32_e32 v3, 20, v3
	s_delay_alu instid0(VALU_DEP_1) | instskip(NEXT) | instid1(VALU_DEP_1)
	v_or3_b32 v1, v1, v5, v3
	v_trunc_f32_e32 v1, v1
	s_delay_alu instid0(VALU_DEP_1) | instskip(SKIP_1) | instid1(VALU_DEP_2)
	v_mul_f32_e64 v3, 0x2f800000, |v1|
	v_ashrrev_i32_e32 v16, 31, v1
	v_floor_f32_e32 v3, v3
	s_delay_alu instid0(VALU_DEP_2) | instskip(NEXT) | instid1(VALU_DEP_2)
	v_mov_b32_e32 v17, v16
	v_fma_f32 v5, 0xcf800000, v3, |v1|
	v_cvt_u32_f32_e32 v1, v3
	s_delay_alu instid0(VALU_DEP_2) | instskip(NEXT) | instid1(VALU_DEP_2)
	v_cvt_u32_f32_e32 v3, v5
	v_xor_b32_e32 v35, v1, v16
	s_delay_alu instid0(VALU_DEP_2) | instskip(NEXT) | instid1(VALU_DEP_1)
	v_xor_b32_e32 v34, v3, v16
	v_sub_nc_u64_e32 v[16:17], v[34:35], v[16:17]
.LBB79_2392:
	s_or_b32 exec_lo, exec_lo, s19
.LBB79_2393:
	s_mov_b32 s19, -1
.LBB79_2394:
	s_mov_b32 s20, 0
.LBB79_2395:
	s_delay_alu instid0(SALU_CYCLE_1)
	s_and_b32 vcc_lo, exec_lo, s20
	s_cbranch_vccz .LBB79_2426
; %bb.2396:
	s_cmp_gt_i32 s16, 22
	s_cbranch_scc0 .LBB79_2404
; %bb.2397:
	s_cmp_lt_i32 s16, 24
	s_cbranch_scc1 .LBB79_2407
; %bb.2398:
	s_cmp_gt_i32 s16, 24
	s_cbranch_scc0 .LBB79_2408
; %bb.2399:
	global_load_u8 v1, v[32:33], off
	s_mov_b32 s19, 0
	s_mov_b32 s18, exec_lo
	s_wait_loadcnt 0x0
	v_cmpx_lt_i16_e32 0x7f, v1
	s_xor_b32 s18, exec_lo, s18
	s_cbranch_execz .LBB79_2420
; %bb.2400:
	v_cmp_ne_u16_e32 vcc_lo, 0x80, v1
	s_and_b32 s19, vcc_lo, exec_lo
	s_and_not1_saveexec_b32 s18, s18
	s_cbranch_execnz .LBB79_2421
.LBB79_2401:
	s_or_b32 exec_lo, exec_lo, s18
	v_mov_b64_e32 v[16:17], 0
	s_and_saveexec_b32 s18, s19
	s_cbranch_execz .LBB79_2403
.LBB79_2402:
	v_and_b32_e32 v3, 0xffff, v1
	s_delay_alu instid0(VALU_DEP_1) | instskip(SKIP_1) | instid1(VALU_DEP_2)
	v_dual_lshlrev_b32 v1, 24, v1 :: v_dual_bitop2_b32 v5, 3, v3 bitop3:0x40
	v_bfe_u32 v15, v3, 2, 5
	v_and_b32_e32 v1, 0x80000000, v1
	s_delay_alu instid0(VALU_DEP_3) | instskip(NEXT) | instid1(VALU_DEP_3)
	v_clz_i32_u32_e32 v7, v5
	v_cmp_eq_u32_e32 vcc_lo, 0, v15
	s_delay_alu instid0(VALU_DEP_2) | instskip(NEXT) | instid1(VALU_DEP_1)
	v_min_u32_e32 v7, 32, v7
	v_subrev_nc_u32_e32 v11, 29, v7
	v_sub_nc_u32_e32 v7, 30, v7
	s_delay_alu instid0(VALU_DEP_2) | instskip(NEXT) | instid1(VALU_DEP_2)
	v_lshlrev_b32_e32 v3, v11, v3
	v_cndmask_b32_e32 v7, v15, v7, vcc_lo
	s_delay_alu instid0(VALU_DEP_2) | instskip(NEXT) | instid1(VALU_DEP_1)
	v_and_b32_e32 v3, 3, v3
	v_cndmask_b32_e32 v3, v5, v3, vcc_lo
	s_delay_alu instid0(VALU_DEP_3) | instskip(NEXT) | instid1(VALU_DEP_2)
	v_lshl_add_u32 v5, v7, 23, 0x37800000
	v_lshlrev_b32_e32 v3, 21, v3
	s_delay_alu instid0(VALU_DEP_1) | instskip(NEXT) | instid1(VALU_DEP_1)
	v_or3_b32 v1, v1, v5, v3
	v_trunc_f32_e32 v1, v1
	s_delay_alu instid0(VALU_DEP_1) | instskip(SKIP_1) | instid1(VALU_DEP_2)
	v_mul_f32_e64 v3, 0x2f800000, |v1|
	v_ashrrev_i32_e32 v16, 31, v1
	v_floor_f32_e32 v3, v3
	s_delay_alu instid0(VALU_DEP_2) | instskip(NEXT) | instid1(VALU_DEP_2)
	v_mov_b32_e32 v17, v16
	v_fma_f32 v5, 0xcf800000, v3, |v1|
	v_cvt_u32_f32_e32 v1, v3
	s_delay_alu instid0(VALU_DEP_2) | instskip(NEXT) | instid1(VALU_DEP_2)
	v_cvt_u32_f32_e32 v3, v5
	v_xor_b32_e32 v35, v1, v16
	s_delay_alu instid0(VALU_DEP_2) | instskip(NEXT) | instid1(VALU_DEP_1)
	v_xor_b32_e32 v34, v3, v16
	v_sub_nc_u64_e32 v[16:17], v[34:35], v[16:17]
.LBB79_2403:
	s_or_b32 exec_lo, exec_lo, s18
	s_mov_b32 s18, 0
	s_branch .LBB79_2409
.LBB79_2404:
	s_mov_b32 s18, -1
                                        ; implicit-def: $vgpr16_vgpr17
	s_branch .LBB79_2415
.LBB79_2405:
	s_and_not1_saveexec_b32 s19, s19
	s_cbranch_execz .LBB79_2390
.LBB79_2406:
	v_cmp_ne_u16_e32 vcc_lo, 0, v1
	s_and_not1_b32 s20, s20, exec_lo
	s_and_b32 s21, vcc_lo, exec_lo
	s_delay_alu instid0(SALU_CYCLE_1)
	s_or_b32 s20, s20, s21
	s_or_b32 exec_lo, exec_lo, s19
	v_mov_b64_e32 v[16:17], 0
	s_and_saveexec_b32 s19, s20
	s_cbranch_execnz .LBB79_2391
	s_branch .LBB79_2392
.LBB79_2407:
	s_mov_b32 s18, -1
                                        ; implicit-def: $vgpr16_vgpr17
	s_branch .LBB79_2412
.LBB79_2408:
	s_mov_b32 s18, -1
                                        ; implicit-def: $vgpr16_vgpr17
.LBB79_2409:
	s_delay_alu instid0(SALU_CYCLE_1)
	s_and_b32 vcc_lo, exec_lo, s18
	s_cbranch_vccz .LBB79_2411
; %bb.2410:
	global_load_u8 v1, v[32:33], off
	s_wait_loadcnt 0x0
	v_lshlrev_b32_e32 v1, 24, v1
	s_delay_alu instid0(VALU_DEP_1) | instskip(NEXT) | instid1(VALU_DEP_1)
	v_and_b32_e32 v3, 0x7f000000, v1
	v_clz_i32_u32_e32 v5, v3
	v_add_nc_u32_e32 v11, 0x1000000, v3
	v_cmp_ne_u32_e32 vcc_lo, 0, v3
	s_delay_alu instid0(VALU_DEP_3) | instskip(NEXT) | instid1(VALU_DEP_1)
	v_min_u32_e32 v5, 32, v5
	v_sub_nc_u32_e64 v5, v5, 4 clamp
	s_delay_alu instid0(VALU_DEP_1) | instskip(NEXT) | instid1(VALU_DEP_1)
	v_dual_lshlrev_b32 v7, v5, v3 :: v_dual_lshlrev_b32 v5, 23, v5
	v_lshrrev_b32_e32 v7, 4, v7
	s_delay_alu instid0(VALU_DEP_1) | instskip(NEXT) | instid1(VALU_DEP_1)
	v_dual_sub_nc_u32 v5, v7, v5 :: v_dual_ashrrev_i32 v7, 8, v11
	v_add_nc_u32_e32 v5, 0x3c000000, v5
	s_delay_alu instid0(VALU_DEP_1) | instskip(NEXT) | instid1(VALU_DEP_1)
	v_and_or_b32 v5, 0x7f800000, v7, v5
	v_cndmask_b32_e32 v3, 0, v5, vcc_lo
	s_delay_alu instid0(VALU_DEP_1) | instskip(NEXT) | instid1(VALU_DEP_1)
	v_and_or_b32 v1, 0x80000000, v1, v3
	v_trunc_f32_e32 v1, v1
	s_delay_alu instid0(VALU_DEP_1) | instskip(SKIP_1) | instid1(VALU_DEP_2)
	v_mul_f32_e64 v3, 0x2f800000, |v1|
	v_ashrrev_i32_e32 v16, 31, v1
	v_floor_f32_e32 v3, v3
	s_wait_xcnt 0x1
	s_delay_alu instid0(VALU_DEP_2) | instskip(NEXT) | instid1(VALU_DEP_2)
	v_mov_b32_e32 v17, v16
	v_fma_f32 v5, 0xcf800000, v3, |v1|
	v_cvt_u32_f32_e32 v1, v3
	s_delay_alu instid0(VALU_DEP_2) | instskip(NEXT) | instid1(VALU_DEP_2)
	v_cvt_u32_f32_e32 v3, v5
	v_xor_b32_e32 v35, v1, v16
	s_delay_alu instid0(VALU_DEP_2) | instskip(NEXT) | instid1(VALU_DEP_1)
	v_xor_b32_e32 v34, v3, v16
	v_sub_nc_u64_e32 v[16:17], v[34:35], v[16:17]
.LBB79_2411:
	s_mov_b32 s18, 0
.LBB79_2412:
	s_delay_alu instid0(SALU_CYCLE_1)
	s_and_not1_b32 vcc_lo, exec_lo, s18
	s_cbranch_vccnz .LBB79_2414
; %bb.2413:
	global_load_u8 v1, v[32:33], off
	s_wait_loadcnt 0x0
	v_lshlrev_b32_e32 v3, 25, v1
	v_lshlrev_b16 v1, 8, v1
	s_delay_alu instid0(VALU_DEP_1) | instskip(SKIP_1) | instid1(VALU_DEP_2)
	v_and_or_b32 v7, 0x7f00, v1, 0.5
	v_bfe_i32 v1, v1, 0, 16
	v_add_f32_e32 v7, -0.5, v7
	v_lshrrev_b32_e32 v5, 4, v3
	v_cmp_gt_u32_e32 vcc_lo, 0x8000000, v3
	s_delay_alu instid0(VALU_DEP_2) | instskip(NEXT) | instid1(VALU_DEP_1)
	v_or_b32_e32 v5, 0x70000000, v5
	v_mul_f32_e32 v5, 0x7800000, v5
	s_delay_alu instid0(VALU_DEP_1) | instskip(NEXT) | instid1(VALU_DEP_1)
	v_cndmask_b32_e32 v3, v5, v7, vcc_lo
	v_and_or_b32 v1, 0x80000000, v1, v3
	s_delay_alu instid0(VALU_DEP_1) | instskip(NEXT) | instid1(VALU_DEP_1)
	v_trunc_f32_e32 v1, v1
	v_mul_f32_e64 v3, 0x2f800000, |v1|
	v_ashrrev_i32_e32 v16, 31, v1
	s_delay_alu instid0(VALU_DEP_2) | instskip(SKIP_1) | instid1(VALU_DEP_2)
	v_floor_f32_e32 v3, v3
	s_wait_xcnt 0x1
	v_mov_b32_e32 v17, v16
	s_delay_alu instid0(VALU_DEP_2) | instskip(SKIP_1) | instid1(VALU_DEP_2)
	v_fma_f32 v5, 0xcf800000, v3, |v1|
	v_cvt_u32_f32_e32 v1, v3
	v_cvt_u32_f32_e32 v3, v5
	s_delay_alu instid0(VALU_DEP_2) | instskip(NEXT) | instid1(VALU_DEP_2)
	v_xor_b32_e32 v35, v1, v16
	v_xor_b32_e32 v34, v3, v16
	s_delay_alu instid0(VALU_DEP_1)
	v_sub_nc_u64_e32 v[16:17], v[34:35], v[16:17]
.LBB79_2414:
	s_mov_b32 s18, 0
	s_mov_b32 s19, -1
.LBB79_2415:
	s_and_not1_b32 vcc_lo, exec_lo, s18
	s_mov_b32 s18, 0
	s_cbranch_vccnz .LBB79_2426
; %bb.2416:
	s_cmp_gt_i32 s16, 14
	s_cbranch_scc0 .LBB79_2419
; %bb.2417:
	s_cmp_eq_u32 s16, 15
	s_cbranch_scc0 .LBB79_2422
; %bb.2418:
	global_load_u16 v1, v[32:33], off
	s_mov_b32 s17, 0
	s_mov_b32 s19, -1
	s_wait_loadcnt 0x0
	v_lshlrev_b32_e32 v1, 16, v1
	s_delay_alu instid0(VALU_DEP_1) | instskip(NEXT) | instid1(VALU_DEP_1)
	v_trunc_f32_e32 v1, v1
	v_mul_f32_e64 v3, 0x2f800000, |v1|
	v_ashrrev_i32_e32 v16, 31, v1
	s_delay_alu instid0(VALU_DEP_2) | instskip(SKIP_1) | instid1(VALU_DEP_2)
	v_floor_f32_e32 v3, v3
	s_wait_xcnt 0x1
	v_mov_b32_e32 v17, v16
	s_delay_alu instid0(VALU_DEP_2) | instskip(SKIP_1) | instid1(VALU_DEP_2)
	v_fma_f32 v5, 0xcf800000, v3, |v1|
	v_cvt_u32_f32_e32 v1, v3
	v_cvt_u32_f32_e32 v3, v5
	s_delay_alu instid0(VALU_DEP_2) | instskip(NEXT) | instid1(VALU_DEP_2)
	v_xor_b32_e32 v35, v1, v16
	v_xor_b32_e32 v34, v3, v16
	s_delay_alu instid0(VALU_DEP_1)
	v_sub_nc_u64_e32 v[16:17], v[34:35], v[16:17]
	s_branch .LBB79_2424
.LBB79_2419:
	s_mov_b32 s18, -1
	s_branch .LBB79_2423
.LBB79_2420:
	s_and_not1_saveexec_b32 s18, s18
	s_cbranch_execz .LBB79_2401
.LBB79_2421:
	v_cmp_ne_u16_e32 vcc_lo, 0, v1
	s_and_not1_b32 s19, s19, exec_lo
	s_and_b32 s20, vcc_lo, exec_lo
	s_delay_alu instid0(SALU_CYCLE_1)
	s_or_b32 s19, s19, s20
	s_or_b32 exec_lo, exec_lo, s18
	v_mov_b64_e32 v[16:17], 0
	s_and_saveexec_b32 s18, s19
	s_cbranch_execnz .LBB79_2402
	s_branch .LBB79_2403
.LBB79_2422:
	s_mov_b32 s17, -1
.LBB79_2423:
                                        ; implicit-def: $vgpr16_vgpr17
.LBB79_2424:
	s_and_b32 vcc_lo, exec_lo, s18
	s_mov_b32 s18, 0
	s_cbranch_vccz .LBB79_2426
; %bb.2425:
	s_cmp_lg_u32 s16, 11
	s_mov_b32 s18, -1
	s_cselect_b32 s17, -1, 0
.LBB79_2426:
	s_delay_alu instid0(SALU_CYCLE_1)
	s_and_b32 vcc_lo, exec_lo, s17
	s_cbranch_vccnz .LBB79_2489
; %bb.2427:
	s_and_not1_b32 vcc_lo, exec_lo, s18
	s_cbranch_vccnz .LBB79_2429
.LBB79_2428:
	global_load_u8 v1, v[32:33], off
	s_mov_b32 s16, 0
	s_mov_b32 s19, -1
	s_wait_loadcnt 0x1
	s_wait_xcnt 0x1
	v_mov_b32_e32 v17, s16
	s_wait_loadcnt 0x0
	v_cmp_ne_u16_e32 vcc_lo, 0, v1
	v_cndmask_b32_e64 v16, 0, 1, vcc_lo
.LBB79_2429:
	s_branch .LBB79_2360
.LBB79_2430:
	s_and_b32 s16, 0xffff, s15
	s_delay_alu instid0(SALU_CYCLE_1)
	s_cmp_lt_i32 s16, 5
	s_cbranch_scc1 .LBB79_2435
; %bb.2431:
	s_cmp_lt_i32 s16, 8
	s_cbranch_scc1 .LBB79_2436
; %bb.2432:
	;; [unrolled: 3-line block ×3, first 2 shown]
	s_cmp_gt_i32 s16, 9
	s_cbranch_scc0 .LBB79_2438
; %bb.2434:
	s_wait_loadcnt 0x0
	global_load_b64 v[16:17], v[32:33], off
	s_mov_b32 s17, 0
	s_wait_loadcnt 0x0
	v_trunc_f64_e32 v[16:17], v[16:17]
	s_delay_alu instid0(VALU_DEP_1) | instskip(NEXT) | instid1(VALU_DEP_1)
	v_ldexp_f64 v[34:35], v[16:17], 0xffffffe0
	v_floor_f64_e32 v[34:35], v[34:35]
	s_delay_alu instid0(VALU_DEP_1) | instskip(SKIP_1) | instid1(VALU_DEP_2)
	v_fmamk_f64 v[36:37], v[34:35], 0xc1f00000, v[16:17]
	v_cvt_i32_f64_e32 v17, v[34:35]
	v_cvt_u32_f64_e32 v16, v[36:37]
	s_branch .LBB79_2439
.LBB79_2435:
	s_mov_b32 s17, -1
                                        ; implicit-def: $vgpr16_vgpr17
	s_branch .LBB79_2457
.LBB79_2436:
	s_mov_b32 s17, -1
                                        ; implicit-def: $vgpr16_vgpr17
	s_branch .LBB79_2445
.LBB79_2437:
	s_mov_b32 s17, -1
                                        ; implicit-def: $vgpr16_vgpr17
	s_branch .LBB79_2442
.LBB79_2438:
	s_mov_b32 s17, -1
                                        ; implicit-def: $vgpr16_vgpr17
.LBB79_2439:
	s_delay_alu instid0(SALU_CYCLE_1)
	s_and_not1_b32 vcc_lo, exec_lo, s17
	s_cbranch_vccnz .LBB79_2441
; %bb.2440:
	global_load_b32 v1, v[32:33], off
	s_wait_loadcnt 0x0
	v_trunc_f32_e32 v1, v1
	s_delay_alu instid0(VALU_DEP_1) | instskip(SKIP_1) | instid1(VALU_DEP_2)
	v_mul_f32_e64 v3, 0x2f800000, |v1|
	v_ashrrev_i32_e32 v16, 31, v1
	v_floor_f32_e32 v3, v3
	s_delay_alu instid0(VALU_DEP_1) | instskip(SKIP_3) | instid1(VALU_DEP_3)
	v_fma_f32 v5, 0xcf800000, v3, |v1|
	v_cvt_u32_f32_e32 v1, v3
	s_wait_xcnt 0x1
	v_mov_b32_e32 v17, v16
	v_cvt_u32_f32_e32 v3, v5
	s_delay_alu instid0(VALU_DEP_3) | instskip(NEXT) | instid1(VALU_DEP_2)
	v_xor_b32_e32 v35, v1, v16
	v_xor_b32_e32 v34, v3, v16
	s_delay_alu instid0(VALU_DEP_1)
	v_sub_nc_u64_e32 v[16:17], v[34:35], v[16:17]
.LBB79_2441:
	s_mov_b32 s17, 0
.LBB79_2442:
	s_delay_alu instid0(SALU_CYCLE_1)
	s_and_not1_b32 vcc_lo, exec_lo, s17
	s_cbranch_vccnz .LBB79_2444
; %bb.2443:
	global_load_b32 v1, v[32:33], off
	s_wait_loadcnt 0x0
	v_cvt_f32_f16_e32 v1, v1
	s_delay_alu instid0(VALU_DEP_1) | instskip(SKIP_1) | instid1(VALU_DEP_1)
	v_cvt_i32_f32_e32 v16, v1
	s_wait_xcnt 0x1
	v_ashrrev_i32_e32 v17, 31, v16
.LBB79_2444:
	s_mov_b32 s17, 0
.LBB79_2445:
	s_delay_alu instid0(SALU_CYCLE_1)
	s_and_not1_b32 vcc_lo, exec_lo, s17
	s_cbranch_vccnz .LBB79_2456
; %bb.2446:
	s_cmp_lt_i32 s16, 6
	s_cbranch_scc1 .LBB79_2449
; %bb.2447:
	s_cmp_gt_i32 s16, 6
	s_cbranch_scc0 .LBB79_2450
; %bb.2448:
	s_wait_loadcnt 0x0
	global_load_b64 v[16:17], v[32:33], off
	s_mov_b32 s17, 0
	s_wait_loadcnt 0x0
	v_trunc_f64_e32 v[16:17], v[16:17]
	s_delay_alu instid0(VALU_DEP_1) | instskip(NEXT) | instid1(VALU_DEP_1)
	v_ldexp_f64 v[34:35], v[16:17], 0xffffffe0
	v_floor_f64_e32 v[34:35], v[34:35]
	s_delay_alu instid0(VALU_DEP_1) | instskip(SKIP_1) | instid1(VALU_DEP_2)
	v_fmamk_f64 v[36:37], v[34:35], 0xc1f00000, v[16:17]
	v_cvt_i32_f64_e32 v17, v[34:35]
	v_cvt_u32_f64_e32 v16, v[36:37]
	s_branch .LBB79_2451
.LBB79_2449:
	s_mov_b32 s17, -1
                                        ; implicit-def: $vgpr16_vgpr17
	s_branch .LBB79_2454
.LBB79_2450:
	s_mov_b32 s17, -1
                                        ; implicit-def: $vgpr16_vgpr17
.LBB79_2451:
	s_delay_alu instid0(SALU_CYCLE_1)
	s_and_not1_b32 vcc_lo, exec_lo, s17
	s_cbranch_vccnz .LBB79_2453
; %bb.2452:
	global_load_b32 v1, v[32:33], off
	s_wait_loadcnt 0x0
	v_trunc_f32_e32 v1, v1
	s_delay_alu instid0(VALU_DEP_1) | instskip(SKIP_1) | instid1(VALU_DEP_2)
	v_mul_f32_e64 v3, 0x2f800000, |v1|
	v_ashrrev_i32_e32 v16, 31, v1
	v_floor_f32_e32 v3, v3
	s_delay_alu instid0(VALU_DEP_1) | instskip(SKIP_3) | instid1(VALU_DEP_3)
	v_fma_f32 v5, 0xcf800000, v3, |v1|
	v_cvt_u32_f32_e32 v1, v3
	s_wait_xcnt 0x1
	v_mov_b32_e32 v17, v16
	v_cvt_u32_f32_e32 v3, v5
	s_delay_alu instid0(VALU_DEP_3) | instskip(NEXT) | instid1(VALU_DEP_2)
	v_xor_b32_e32 v35, v1, v16
	v_xor_b32_e32 v34, v3, v16
	s_delay_alu instid0(VALU_DEP_1)
	v_sub_nc_u64_e32 v[16:17], v[34:35], v[16:17]
.LBB79_2453:
	s_mov_b32 s17, 0
.LBB79_2454:
	s_delay_alu instid0(SALU_CYCLE_1)
	s_and_not1_b32 vcc_lo, exec_lo, s17
	s_cbranch_vccnz .LBB79_2456
; %bb.2455:
	global_load_u16 v1, v[32:33], off
	s_wait_loadcnt 0x0
	v_cvt_f32_f16_e32 v1, v1
	s_delay_alu instid0(VALU_DEP_1) | instskip(SKIP_1) | instid1(VALU_DEP_1)
	v_cvt_i32_f32_e32 v16, v1
	s_wait_xcnt 0x1
	v_ashrrev_i32_e32 v17, 31, v16
.LBB79_2456:
	s_mov_b32 s17, 0
.LBB79_2457:
	s_delay_alu instid0(SALU_CYCLE_1)
	s_and_not1_b32 vcc_lo, exec_lo, s17
	s_cbranch_vccnz .LBB79_2477
; %bb.2458:
	s_cmp_lt_i32 s16, 2
	s_cbranch_scc1 .LBB79_2462
; %bb.2459:
	s_cmp_lt_i32 s16, 3
	s_cbranch_scc1 .LBB79_2463
; %bb.2460:
	s_cmp_gt_i32 s16, 3
	s_cbranch_scc0 .LBB79_2464
; %bb.2461:
	s_wait_loadcnt 0x0
	global_load_b64 v[16:17], v[32:33], off
	s_mov_b32 s17, 0
	s_branch .LBB79_2465
.LBB79_2462:
	s_mov_b32 s17, -1
                                        ; implicit-def: $vgpr16_vgpr17
	s_branch .LBB79_2471
.LBB79_2463:
	s_mov_b32 s17, -1
                                        ; implicit-def: $vgpr16_vgpr17
	s_branch .LBB79_2468
.LBB79_2464:
	s_mov_b32 s17, -1
                                        ; implicit-def: $vgpr16_vgpr17
.LBB79_2465:
	s_delay_alu instid0(SALU_CYCLE_1)
	s_and_not1_b32 vcc_lo, exec_lo, s17
	s_cbranch_vccnz .LBB79_2467
; %bb.2466:
	s_wait_loadcnt 0x0
	global_load_b32 v16, v[32:33], off
	s_wait_loadcnt 0x0
	s_wait_xcnt 0x1
	v_ashrrev_i32_e32 v17, 31, v16
.LBB79_2467:
	s_mov_b32 s17, 0
.LBB79_2468:
	s_delay_alu instid0(SALU_CYCLE_1)
	s_and_not1_b32 vcc_lo, exec_lo, s17
	s_cbranch_vccnz .LBB79_2470
; %bb.2469:
	global_load_u16 v1, v[32:33], off
	s_wait_loadcnt 0x0
	v_bfe_i32 v16, v1, 0, 16
	s_wait_xcnt 0x1
	s_delay_alu instid0(VALU_DEP_1)
	v_ashrrev_i32_e32 v17, 31, v16
.LBB79_2470:
	s_mov_b32 s17, 0
.LBB79_2471:
	s_delay_alu instid0(SALU_CYCLE_1)
	s_and_not1_b32 vcc_lo, exec_lo, s17
	s_cbranch_vccnz .LBB79_2477
; %bb.2472:
	s_cmp_gt_i32 s16, 0
	s_mov_b32 s16, 0
	s_cbranch_scc0 .LBB79_2474
; %bb.2473:
	global_load_i8 v1, v[32:33], off
	s_wait_loadcnt 0x0
	v_bfe_i32 v16, v1, 0, 16
	s_wait_xcnt 0x1
	s_delay_alu instid0(VALU_DEP_1)
	v_ashrrev_i32_e32 v17, 31, v16
	s_branch .LBB79_2475
.LBB79_2474:
	s_mov_b32 s16, -1
                                        ; implicit-def: $vgpr16_vgpr17
.LBB79_2475:
	s_delay_alu instid0(SALU_CYCLE_1)
	s_and_not1_b32 vcc_lo, exec_lo, s16
	s_cbranch_vccnz .LBB79_2477
; %bb.2476:
	global_load_u8 v1, v[32:33], off
	s_mov_b32 s16, 0
	s_wait_loadcnt 0x1
	s_wait_xcnt 0x1
	v_mov_b32_e32 v17, s16
	s_wait_loadcnt 0x0
	v_and_b32_e32 v16, 0xffff, v1
.LBB79_2477:
.LBB79_2478:
	v_mov_b32_e32 v19, 0
	s_and_b32 s10, 0xffff, s10
	s_delay_alu instid0(SALU_CYCLE_1) | instskip(SKIP_1) | instid1(VALU_DEP_1)
	s_cmp_lt_i32 s10, 11
	s_wait_xcnt 0x0
	v_add_nc_u64_e32 v[32:33], s[6:7], v[18:19]
	s_cbranch_scc1 .LBB79_2485
; %bb.2479:
	s_cmp_gt_i32 s10, 25
	s_mov_b32 s17, 0
	s_cbranch_scc0 .LBB79_2486
; %bb.2480:
	s_cmp_gt_i32 s10, 28
	s_cbranch_scc0 .LBB79_2487
; %bb.2481:
	s_cmp_gt_i32 s10, 43
	;; [unrolled: 3-line block ×3, first 2 shown]
	s_cbranch_scc0 .LBB79_2490
; %bb.2483:
	s_cmp_eq_u32 s10, 46
	s_mov_b32 s19, 0
	s_cbranch_scc0 .LBB79_2491
; %bb.2484:
	global_load_b32 v1, v[32:33], off
	s_mov_b32 s16, 0
	s_mov_b32 s18, -1
	s_wait_loadcnt 0x0
	v_lshlrev_b32_e32 v1, 16, v1
	s_delay_alu instid0(VALU_DEP_1) | instskip(NEXT) | instid1(VALU_DEP_1)
	v_trunc_f32_e32 v1, v1
	v_mul_f32_e64 v3, 0x2f800000, |v1|
	v_ashrrev_i32_e32 v18, 31, v1
	s_delay_alu instid0(VALU_DEP_2) | instskip(NEXT) | instid1(VALU_DEP_2)
	v_floor_f32_e32 v3, v3
	v_mov_b32_e32 v19, v18
	s_delay_alu instid0(VALU_DEP_2) | instskip(SKIP_1) | instid1(VALU_DEP_2)
	v_fma_f32 v5, 0xcf800000, v3, |v1|
	v_cvt_u32_f32_e32 v1, v3
	v_cvt_u32_f32_e32 v3, v5
	s_delay_alu instid0(VALU_DEP_2) | instskip(NEXT) | instid1(VALU_DEP_2)
	v_xor_b32_e32 v35, v1, v18
	v_xor_b32_e32 v34, v3, v18
	s_delay_alu instid0(VALU_DEP_1)
	v_sub_nc_u64_e32 v[18:19], v[34:35], v[18:19]
	s_branch .LBB79_2493
.LBB79_2485:
	s_mov_b32 s16, -1
	s_mov_b32 s18, 0
                                        ; implicit-def: $vgpr18_vgpr19
	s_branch .LBB79_2555
.LBB79_2486:
	s_mov_b32 s19, -1
	s_mov_b32 s18, 0
	s_mov_b32 s16, 0
                                        ; implicit-def: $vgpr18_vgpr19
	s_branch .LBB79_2520
.LBB79_2487:
	s_mov_b32 s19, -1
	s_mov_b32 s18, 0
	s_mov_b32 s16, 0
                                        ; implicit-def: $vgpr18_vgpr19
	s_branch .LBB79_2503
.LBB79_2488:
	s_mov_b32 s19, -1
	s_mov_b32 s18, 0
	s_mov_b32 s16, 0
                                        ; implicit-def: $vgpr18_vgpr19
	s_branch .LBB79_2498
.LBB79_2489:
	s_or_b32 s14, s14, exec_lo
	s_trap 2
	s_cbranch_execz .LBB79_2428
	s_branch .LBB79_2429
.LBB79_2490:
	s_mov_b32 s19, -1
	s_mov_b32 s18, 0
	s_mov_b32 s16, 0
	s_branch .LBB79_2492
.LBB79_2491:
	s_mov_b32 s16, -1
	s_mov_b32 s18, 0
.LBB79_2492:
                                        ; implicit-def: $vgpr18_vgpr19
.LBB79_2493:
	s_and_b32 vcc_lo, exec_lo, s19
	s_cbranch_vccz .LBB79_2497
; %bb.2494:
	s_cmp_eq_u32 s10, 44
	s_cbranch_scc0 .LBB79_2496
; %bb.2495:
	global_load_u8 v1, v[32:33], off
	s_mov_b32 s16, 0
	s_mov_b32 s18, -1
	s_wait_loadcnt 0x0
	v_lshlrev_b32_e32 v3, 23, v1
	v_cmp_ne_u32_e32 vcc_lo, 0, v1
	s_delay_alu instid0(VALU_DEP_2) | instskip(NEXT) | instid1(VALU_DEP_1)
	v_trunc_f32_e32 v3, v3
	v_mul_f32_e64 v5, 0x2f800000, |v3|
	v_ashrrev_i32_e32 v18, 31, v3
	s_delay_alu instid0(VALU_DEP_2) | instskip(NEXT) | instid1(VALU_DEP_2)
	v_floor_f32_e32 v5, v5
	v_mov_b32_e32 v19, v18
	s_delay_alu instid0(VALU_DEP_2) | instskip(SKIP_1) | instid1(VALU_DEP_2)
	v_fma_f32 v7, 0xcf800000, v5, |v3|
	v_cvt_u32_f32_e32 v3, v5
	v_cvt_u32_f32_e32 v5, v7
	s_delay_alu instid0(VALU_DEP_2) | instskip(NEXT) | instid1(VALU_DEP_2)
	v_xor_b32_e32 v35, v3, v18
	v_xor_b32_e32 v34, v5, v18
	s_delay_alu instid0(VALU_DEP_1) | instskip(NEXT) | instid1(VALU_DEP_1)
	v_sub_nc_u64_e32 v[18:19], v[34:35], v[18:19]
	v_dual_cndmask_b32 v19, 0, v19 :: v_dual_cndmask_b32 v18, 0, v18
	s_branch .LBB79_2497
.LBB79_2496:
	s_mov_b32 s16, -1
                                        ; implicit-def: $vgpr18_vgpr19
.LBB79_2497:
	s_mov_b32 s19, 0
.LBB79_2498:
	s_delay_alu instid0(SALU_CYCLE_1)
	s_and_b32 vcc_lo, exec_lo, s19
	s_cbranch_vccz .LBB79_2502
; %bb.2499:
	s_cmp_eq_u32 s10, 29
	s_cbranch_scc0 .LBB79_2501
; %bb.2500:
	global_load_b64 v[18:19], v[32:33], off
	s_mov_b32 s16, 0
	s_mov_b32 s18, -1
	s_branch .LBB79_2502
.LBB79_2501:
	s_mov_b32 s16, -1
                                        ; implicit-def: $vgpr18_vgpr19
.LBB79_2502:
	s_mov_b32 s19, 0
.LBB79_2503:
	s_delay_alu instid0(SALU_CYCLE_1)
	s_and_b32 vcc_lo, exec_lo, s19
	s_cbranch_vccz .LBB79_2519
; %bb.2504:
	s_cmp_lt_i32 s10, 27
	s_cbranch_scc1 .LBB79_2507
; %bb.2505:
	s_cmp_gt_i32 s10, 27
	s_cbranch_scc0 .LBB79_2508
; %bb.2506:
	s_wait_loadcnt 0x0
	global_load_b32 v18, v[32:33], off
	v_mov_b32_e32 v19, 0
	s_mov_b32 s18, 0
	s_branch .LBB79_2509
.LBB79_2507:
	s_mov_b32 s18, -1
                                        ; implicit-def: $vgpr18_vgpr19
	s_branch .LBB79_2512
.LBB79_2508:
	s_mov_b32 s18, -1
                                        ; implicit-def: $vgpr18_vgpr19
.LBB79_2509:
	s_delay_alu instid0(SALU_CYCLE_1)
	s_and_not1_b32 vcc_lo, exec_lo, s18
	s_cbranch_vccnz .LBB79_2511
; %bb.2510:
	global_load_u16 v1, v[32:33], off
	s_mov_b32 s18, 0
	s_wait_loadcnt 0x1
	v_mov_b32_e32 v19, s18
	s_wait_loadcnt 0x0
	v_and_b32_e32 v18, 0xffff, v1
.LBB79_2511:
	s_mov_b32 s18, 0
.LBB79_2512:
	s_delay_alu instid0(SALU_CYCLE_1)
	s_and_not1_b32 vcc_lo, exec_lo, s18
	s_cbranch_vccnz .LBB79_2518
; %bb.2513:
	global_load_u8 v1, v[32:33], off
	s_mov_b32 s19, 0
	s_mov_b32 s18, exec_lo
	s_wait_loadcnt 0x0
	v_cmpx_lt_i16_e32 0x7f, v1
	s_xor_b32 s18, exec_lo, s18
	s_cbranch_execz .LBB79_2530
; %bb.2514:
	v_cmp_ne_u16_e32 vcc_lo, 0x80, v1
	s_and_b32 s19, vcc_lo, exec_lo
	s_and_not1_saveexec_b32 s18, s18
	s_cbranch_execnz .LBB79_2531
.LBB79_2515:
	s_or_b32 exec_lo, exec_lo, s18
	v_mov_b64_e32 v[18:19], 0
	s_and_saveexec_b32 s18, s19
	s_cbranch_execz .LBB79_2517
.LBB79_2516:
	v_and_b32_e32 v3, 0xffff, v1
	s_delay_alu instid0(VALU_DEP_1) | instskip(SKIP_1) | instid1(VALU_DEP_2)
	v_dual_lshlrev_b32 v1, 24, v1 :: v_dual_bitop2_b32 v5, 7, v3 bitop3:0x40
	v_bfe_u32 v15, v3, 3, 4
	v_and_b32_e32 v1, 0x80000000, v1
	s_delay_alu instid0(VALU_DEP_3) | instskip(NEXT) | instid1(VALU_DEP_3)
	v_clz_i32_u32_e32 v7, v5
	v_cmp_eq_u32_e32 vcc_lo, 0, v15
	s_delay_alu instid0(VALU_DEP_2) | instskip(NEXT) | instid1(VALU_DEP_1)
	v_min_u32_e32 v7, 32, v7
	v_subrev_nc_u32_e32 v11, 28, v7
	v_sub_nc_u32_e32 v7, 29, v7
	s_delay_alu instid0(VALU_DEP_2) | instskip(NEXT) | instid1(VALU_DEP_2)
	v_lshlrev_b32_e32 v3, v11, v3
	v_cndmask_b32_e32 v7, v15, v7, vcc_lo
	s_delay_alu instid0(VALU_DEP_2) | instskip(NEXT) | instid1(VALU_DEP_1)
	v_and_b32_e32 v3, 7, v3
	v_cndmask_b32_e32 v3, v5, v3, vcc_lo
	s_delay_alu instid0(VALU_DEP_3) | instskip(NEXT) | instid1(VALU_DEP_2)
	v_lshl_add_u32 v5, v7, 23, 0x3b800000
	v_lshlrev_b32_e32 v3, 20, v3
	s_delay_alu instid0(VALU_DEP_1) | instskip(NEXT) | instid1(VALU_DEP_1)
	v_or3_b32 v1, v1, v5, v3
	v_trunc_f32_e32 v1, v1
	s_delay_alu instid0(VALU_DEP_1) | instskip(SKIP_1) | instid1(VALU_DEP_2)
	v_mul_f32_e64 v3, 0x2f800000, |v1|
	v_ashrrev_i32_e32 v18, 31, v1
	v_floor_f32_e32 v3, v3
	s_delay_alu instid0(VALU_DEP_2) | instskip(NEXT) | instid1(VALU_DEP_2)
	v_mov_b32_e32 v19, v18
	v_fma_f32 v5, 0xcf800000, v3, |v1|
	v_cvt_u32_f32_e32 v1, v3
	s_delay_alu instid0(VALU_DEP_2) | instskip(NEXT) | instid1(VALU_DEP_2)
	v_cvt_u32_f32_e32 v3, v5
	v_xor_b32_e32 v35, v1, v18
	s_delay_alu instid0(VALU_DEP_2) | instskip(NEXT) | instid1(VALU_DEP_1)
	v_xor_b32_e32 v34, v3, v18
	v_sub_nc_u64_e32 v[18:19], v[34:35], v[18:19]
.LBB79_2517:
	s_or_b32 exec_lo, exec_lo, s18
.LBB79_2518:
	s_mov_b32 s18, -1
.LBB79_2519:
	s_mov_b32 s19, 0
.LBB79_2520:
	s_delay_alu instid0(SALU_CYCLE_1)
	s_and_b32 vcc_lo, exec_lo, s19
	s_cbranch_vccz .LBB79_2551
; %bb.2521:
	s_cmp_gt_i32 s10, 22
	s_cbranch_scc0 .LBB79_2529
; %bb.2522:
	s_cmp_lt_i32 s10, 24
	s_cbranch_scc1 .LBB79_2532
; %bb.2523:
	s_cmp_gt_i32 s10, 24
	s_cbranch_scc0 .LBB79_2533
; %bb.2524:
	global_load_u8 v1, v[32:33], off
	s_mov_b32 s18, 0
	s_mov_b32 s17, exec_lo
	s_wait_loadcnt 0x0
	v_cmpx_lt_i16_e32 0x7f, v1
	s_xor_b32 s17, exec_lo, s17
	s_cbranch_execz .LBB79_2545
; %bb.2525:
	v_cmp_ne_u16_e32 vcc_lo, 0x80, v1
	s_and_b32 s18, vcc_lo, exec_lo
	s_and_not1_saveexec_b32 s17, s17
	s_cbranch_execnz .LBB79_2546
.LBB79_2526:
	s_or_b32 exec_lo, exec_lo, s17
	v_mov_b64_e32 v[18:19], 0
	s_and_saveexec_b32 s17, s18
	s_cbranch_execz .LBB79_2528
.LBB79_2527:
	v_and_b32_e32 v3, 0xffff, v1
	s_delay_alu instid0(VALU_DEP_1) | instskip(SKIP_1) | instid1(VALU_DEP_2)
	v_dual_lshlrev_b32 v1, 24, v1 :: v_dual_bitop2_b32 v5, 3, v3 bitop3:0x40
	v_bfe_u32 v15, v3, 2, 5
	v_and_b32_e32 v1, 0x80000000, v1
	s_delay_alu instid0(VALU_DEP_3) | instskip(NEXT) | instid1(VALU_DEP_3)
	v_clz_i32_u32_e32 v7, v5
	v_cmp_eq_u32_e32 vcc_lo, 0, v15
	s_delay_alu instid0(VALU_DEP_2) | instskip(NEXT) | instid1(VALU_DEP_1)
	v_min_u32_e32 v7, 32, v7
	v_subrev_nc_u32_e32 v11, 29, v7
	v_sub_nc_u32_e32 v7, 30, v7
	s_delay_alu instid0(VALU_DEP_2) | instskip(NEXT) | instid1(VALU_DEP_2)
	v_lshlrev_b32_e32 v3, v11, v3
	v_cndmask_b32_e32 v7, v15, v7, vcc_lo
	s_delay_alu instid0(VALU_DEP_2) | instskip(NEXT) | instid1(VALU_DEP_1)
	v_and_b32_e32 v3, 3, v3
	v_cndmask_b32_e32 v3, v5, v3, vcc_lo
	s_delay_alu instid0(VALU_DEP_3) | instskip(NEXT) | instid1(VALU_DEP_2)
	v_lshl_add_u32 v5, v7, 23, 0x37800000
	v_lshlrev_b32_e32 v3, 21, v3
	s_delay_alu instid0(VALU_DEP_1) | instskip(NEXT) | instid1(VALU_DEP_1)
	v_or3_b32 v1, v1, v5, v3
	v_trunc_f32_e32 v1, v1
	s_delay_alu instid0(VALU_DEP_1) | instskip(SKIP_1) | instid1(VALU_DEP_2)
	v_mul_f32_e64 v3, 0x2f800000, |v1|
	v_ashrrev_i32_e32 v18, 31, v1
	v_floor_f32_e32 v3, v3
	s_delay_alu instid0(VALU_DEP_2) | instskip(NEXT) | instid1(VALU_DEP_2)
	v_mov_b32_e32 v19, v18
	v_fma_f32 v5, 0xcf800000, v3, |v1|
	v_cvt_u32_f32_e32 v1, v3
	s_delay_alu instid0(VALU_DEP_2) | instskip(NEXT) | instid1(VALU_DEP_2)
	v_cvt_u32_f32_e32 v3, v5
	v_xor_b32_e32 v35, v1, v18
	s_delay_alu instid0(VALU_DEP_2) | instskip(NEXT) | instid1(VALU_DEP_1)
	v_xor_b32_e32 v34, v3, v18
	v_sub_nc_u64_e32 v[18:19], v[34:35], v[18:19]
.LBB79_2528:
	s_or_b32 exec_lo, exec_lo, s17
	s_mov_b32 s17, 0
	s_branch .LBB79_2534
.LBB79_2529:
	s_mov_b32 s17, -1
                                        ; implicit-def: $vgpr18_vgpr19
	s_branch .LBB79_2540
.LBB79_2530:
	s_and_not1_saveexec_b32 s18, s18
	s_cbranch_execz .LBB79_2515
.LBB79_2531:
	v_cmp_ne_u16_e32 vcc_lo, 0, v1
	s_and_not1_b32 s19, s19, exec_lo
	s_and_b32 s20, vcc_lo, exec_lo
	s_delay_alu instid0(SALU_CYCLE_1)
	s_or_b32 s19, s19, s20
	s_or_b32 exec_lo, exec_lo, s18
	v_mov_b64_e32 v[18:19], 0
	s_and_saveexec_b32 s18, s19
	s_cbranch_execnz .LBB79_2516
	s_branch .LBB79_2517
.LBB79_2532:
	s_mov_b32 s17, -1
                                        ; implicit-def: $vgpr18_vgpr19
	s_branch .LBB79_2537
.LBB79_2533:
	s_mov_b32 s17, -1
                                        ; implicit-def: $vgpr18_vgpr19
.LBB79_2534:
	s_delay_alu instid0(SALU_CYCLE_1)
	s_and_b32 vcc_lo, exec_lo, s17
	s_cbranch_vccz .LBB79_2536
; %bb.2535:
	global_load_u8 v1, v[32:33], off
	s_wait_loadcnt 0x0
	v_lshlrev_b32_e32 v1, 24, v1
	s_delay_alu instid0(VALU_DEP_1) | instskip(NEXT) | instid1(VALU_DEP_1)
	v_and_b32_e32 v3, 0x7f000000, v1
	v_clz_i32_u32_e32 v5, v3
	v_add_nc_u32_e32 v11, 0x1000000, v3
	v_cmp_ne_u32_e32 vcc_lo, 0, v3
	s_delay_alu instid0(VALU_DEP_3) | instskip(NEXT) | instid1(VALU_DEP_1)
	v_min_u32_e32 v5, 32, v5
	v_sub_nc_u32_e64 v5, v5, 4 clamp
	s_delay_alu instid0(VALU_DEP_1) | instskip(NEXT) | instid1(VALU_DEP_1)
	v_dual_lshlrev_b32 v7, v5, v3 :: v_dual_lshlrev_b32 v5, 23, v5
	v_lshrrev_b32_e32 v7, 4, v7
	s_delay_alu instid0(VALU_DEP_1) | instskip(NEXT) | instid1(VALU_DEP_1)
	v_dual_sub_nc_u32 v5, v7, v5 :: v_dual_ashrrev_i32 v7, 8, v11
	v_add_nc_u32_e32 v5, 0x3c000000, v5
	s_delay_alu instid0(VALU_DEP_1) | instskip(NEXT) | instid1(VALU_DEP_1)
	v_and_or_b32 v5, 0x7f800000, v7, v5
	v_cndmask_b32_e32 v3, 0, v5, vcc_lo
	s_delay_alu instid0(VALU_DEP_1) | instskip(NEXT) | instid1(VALU_DEP_1)
	v_and_or_b32 v1, 0x80000000, v1, v3
	v_trunc_f32_e32 v1, v1
	s_delay_alu instid0(VALU_DEP_1) | instskip(SKIP_1) | instid1(VALU_DEP_2)
	v_mul_f32_e64 v3, 0x2f800000, |v1|
	v_ashrrev_i32_e32 v18, 31, v1
	v_floor_f32_e32 v3, v3
	s_delay_alu instid0(VALU_DEP_2) | instskip(NEXT) | instid1(VALU_DEP_2)
	v_mov_b32_e32 v19, v18
	v_fma_f32 v5, 0xcf800000, v3, |v1|
	v_cvt_u32_f32_e32 v1, v3
	s_delay_alu instid0(VALU_DEP_2) | instskip(NEXT) | instid1(VALU_DEP_2)
	v_cvt_u32_f32_e32 v3, v5
	v_xor_b32_e32 v35, v1, v18
	s_delay_alu instid0(VALU_DEP_2) | instskip(NEXT) | instid1(VALU_DEP_1)
	v_xor_b32_e32 v34, v3, v18
	v_sub_nc_u64_e32 v[18:19], v[34:35], v[18:19]
.LBB79_2536:
	s_mov_b32 s17, 0
.LBB79_2537:
	s_delay_alu instid0(SALU_CYCLE_1)
	s_and_not1_b32 vcc_lo, exec_lo, s17
	s_cbranch_vccnz .LBB79_2539
; %bb.2538:
	global_load_u8 v1, v[32:33], off
	s_wait_loadcnt 0x0
	v_lshlrev_b32_e32 v3, 25, v1
	v_lshlrev_b16 v1, 8, v1
	s_delay_alu instid0(VALU_DEP_1) | instskip(SKIP_1) | instid1(VALU_DEP_2)
	v_and_or_b32 v7, 0x7f00, v1, 0.5
	v_bfe_i32 v1, v1, 0, 16
	v_add_f32_e32 v7, -0.5, v7
	v_lshrrev_b32_e32 v5, 4, v3
	v_cmp_gt_u32_e32 vcc_lo, 0x8000000, v3
	s_delay_alu instid0(VALU_DEP_2) | instskip(NEXT) | instid1(VALU_DEP_1)
	v_or_b32_e32 v5, 0x70000000, v5
	v_mul_f32_e32 v5, 0x7800000, v5
	s_delay_alu instid0(VALU_DEP_1) | instskip(NEXT) | instid1(VALU_DEP_1)
	v_cndmask_b32_e32 v3, v5, v7, vcc_lo
	v_and_or_b32 v1, 0x80000000, v1, v3
	s_delay_alu instid0(VALU_DEP_1) | instskip(NEXT) | instid1(VALU_DEP_1)
	v_trunc_f32_e32 v1, v1
	v_mul_f32_e64 v3, 0x2f800000, |v1|
	v_ashrrev_i32_e32 v18, 31, v1
	s_delay_alu instid0(VALU_DEP_2) | instskip(NEXT) | instid1(VALU_DEP_2)
	v_floor_f32_e32 v3, v3
	v_mov_b32_e32 v19, v18
	s_delay_alu instid0(VALU_DEP_2) | instskip(SKIP_1) | instid1(VALU_DEP_2)
	v_fma_f32 v5, 0xcf800000, v3, |v1|
	v_cvt_u32_f32_e32 v1, v3
	v_cvt_u32_f32_e32 v3, v5
	s_delay_alu instid0(VALU_DEP_2) | instskip(NEXT) | instid1(VALU_DEP_2)
	v_xor_b32_e32 v35, v1, v18
	v_xor_b32_e32 v34, v3, v18
	s_delay_alu instid0(VALU_DEP_1)
	v_sub_nc_u64_e32 v[18:19], v[34:35], v[18:19]
.LBB79_2539:
	s_mov_b32 s17, 0
	s_mov_b32 s18, -1
.LBB79_2540:
	s_and_not1_b32 vcc_lo, exec_lo, s17
	s_mov_b32 s17, 0
	s_cbranch_vccnz .LBB79_2551
; %bb.2541:
	s_cmp_gt_i32 s10, 14
	s_cbranch_scc0 .LBB79_2544
; %bb.2542:
	s_cmp_eq_u32 s10, 15
	s_cbranch_scc0 .LBB79_2547
; %bb.2543:
	global_load_u16 v1, v[32:33], off
	s_mov_b32 s16, 0
	s_mov_b32 s18, -1
	s_wait_loadcnt 0x0
	v_lshlrev_b32_e32 v1, 16, v1
	s_delay_alu instid0(VALU_DEP_1) | instskip(NEXT) | instid1(VALU_DEP_1)
	v_trunc_f32_e32 v1, v1
	v_mul_f32_e64 v3, 0x2f800000, |v1|
	v_ashrrev_i32_e32 v18, 31, v1
	s_delay_alu instid0(VALU_DEP_2) | instskip(NEXT) | instid1(VALU_DEP_2)
	v_floor_f32_e32 v3, v3
	v_mov_b32_e32 v19, v18
	s_delay_alu instid0(VALU_DEP_2) | instskip(SKIP_1) | instid1(VALU_DEP_2)
	v_fma_f32 v5, 0xcf800000, v3, |v1|
	v_cvt_u32_f32_e32 v1, v3
	v_cvt_u32_f32_e32 v3, v5
	s_delay_alu instid0(VALU_DEP_2) | instskip(NEXT) | instid1(VALU_DEP_2)
	v_xor_b32_e32 v35, v1, v18
	v_xor_b32_e32 v34, v3, v18
	s_delay_alu instid0(VALU_DEP_1)
	v_sub_nc_u64_e32 v[18:19], v[34:35], v[18:19]
	s_branch .LBB79_2549
.LBB79_2544:
	s_mov_b32 s17, -1
	s_branch .LBB79_2548
.LBB79_2545:
	s_and_not1_saveexec_b32 s17, s17
	s_cbranch_execz .LBB79_2526
.LBB79_2546:
	v_cmp_ne_u16_e32 vcc_lo, 0, v1
	s_and_not1_b32 s18, s18, exec_lo
	s_and_b32 s19, vcc_lo, exec_lo
	s_delay_alu instid0(SALU_CYCLE_1)
	s_or_b32 s18, s18, s19
	s_or_b32 exec_lo, exec_lo, s17
	v_mov_b64_e32 v[18:19], 0
	s_and_saveexec_b32 s17, s18
	s_cbranch_execnz .LBB79_2527
	s_branch .LBB79_2528
.LBB79_2547:
	s_mov_b32 s16, -1
.LBB79_2548:
                                        ; implicit-def: $vgpr18_vgpr19
.LBB79_2549:
	s_and_b32 vcc_lo, exec_lo, s17
	s_mov_b32 s17, 0
	s_cbranch_vccz .LBB79_2551
; %bb.2550:
	s_cmp_lg_u32 s10, 11
	s_mov_b32 s17, -1
	s_cselect_b32 s16, -1, 0
.LBB79_2551:
	s_delay_alu instid0(SALU_CYCLE_1)
	s_and_b32 vcc_lo, exec_lo, s16
	s_cbranch_vccnz .LBB79_2616
; %bb.2552:
	s_and_not1_b32 vcc_lo, exec_lo, s17
	s_cbranch_vccnz .LBB79_2554
.LBB79_2553:
	global_load_u8 v1, v[32:33], off
	s_mov_b32 s16, 0
	s_mov_b32 s18, -1
	s_wait_loadcnt 0x1
	v_mov_b32_e32 v19, s16
	s_wait_loadcnt 0x0
	v_cmp_ne_u16_e32 vcc_lo, 0, v1
	v_cndmask_b32_e64 v18, 0, 1, vcc_lo
.LBB79_2554:
	s_mov_b32 s16, 0
.LBB79_2555:
	s_delay_alu instid0(SALU_CYCLE_1)
	s_and_b32 vcc_lo, exec_lo, s16
	s_cbranch_vccz .LBB79_2604
; %bb.2556:
	s_cmp_lt_i32 s10, 5
	s_cbranch_scc1 .LBB79_2561
; %bb.2557:
	s_cmp_lt_i32 s10, 8
	s_cbranch_scc1 .LBB79_2562
; %bb.2558:
	s_cmp_lt_i32 s10, 9
	s_cbranch_scc1 .LBB79_2563
; %bb.2559:
	s_cmp_gt_i32 s10, 9
	s_cbranch_scc0 .LBB79_2564
; %bb.2560:
	s_wait_loadcnt 0x0
	global_load_b64 v[18:19], v[32:33], off
	s_mov_b32 s16, 0
	s_wait_loadcnt 0x0
	v_trunc_f64_e32 v[18:19], v[18:19]
	s_delay_alu instid0(VALU_DEP_1) | instskip(NEXT) | instid1(VALU_DEP_1)
	v_ldexp_f64 v[34:35], v[18:19], 0xffffffe0
	v_floor_f64_e32 v[34:35], v[34:35]
	s_delay_alu instid0(VALU_DEP_1) | instskip(SKIP_1) | instid1(VALU_DEP_2)
	v_fmamk_f64 v[36:37], v[34:35], 0xc1f00000, v[18:19]
	v_cvt_i32_f64_e32 v19, v[34:35]
	v_cvt_u32_f64_e32 v18, v[36:37]
	s_branch .LBB79_2565
.LBB79_2561:
	s_mov_b32 s16, -1
                                        ; implicit-def: $vgpr18_vgpr19
	s_branch .LBB79_2583
.LBB79_2562:
	s_mov_b32 s16, -1
                                        ; implicit-def: $vgpr18_vgpr19
	s_branch .LBB79_2571
.LBB79_2563:
	s_mov_b32 s16, -1
                                        ; implicit-def: $vgpr18_vgpr19
	s_branch .LBB79_2568
.LBB79_2564:
	s_mov_b32 s16, -1
                                        ; implicit-def: $vgpr18_vgpr19
.LBB79_2565:
	s_delay_alu instid0(SALU_CYCLE_1)
	s_and_not1_b32 vcc_lo, exec_lo, s16
	s_cbranch_vccnz .LBB79_2567
; %bb.2566:
	global_load_b32 v1, v[32:33], off
	s_wait_loadcnt 0x0
	v_trunc_f32_e32 v1, v1
	s_delay_alu instid0(VALU_DEP_1) | instskip(SKIP_1) | instid1(VALU_DEP_2)
	v_mul_f32_e64 v3, 0x2f800000, |v1|
	v_ashrrev_i32_e32 v18, 31, v1
	v_floor_f32_e32 v3, v3
	s_delay_alu instid0(VALU_DEP_1) | instskip(SKIP_1) | instid1(VALU_DEP_4)
	v_fma_f32 v5, 0xcf800000, v3, |v1|
	v_cvt_u32_f32_e32 v1, v3
	v_mov_b32_e32 v19, v18
	s_delay_alu instid0(VALU_DEP_3) | instskip(NEXT) | instid1(VALU_DEP_3)
	v_cvt_u32_f32_e32 v3, v5
	v_xor_b32_e32 v35, v1, v18
	s_delay_alu instid0(VALU_DEP_2) | instskip(NEXT) | instid1(VALU_DEP_1)
	v_xor_b32_e32 v34, v3, v18
	v_sub_nc_u64_e32 v[18:19], v[34:35], v[18:19]
.LBB79_2567:
	s_mov_b32 s16, 0
.LBB79_2568:
	s_delay_alu instid0(SALU_CYCLE_1)
	s_and_not1_b32 vcc_lo, exec_lo, s16
	s_cbranch_vccnz .LBB79_2570
; %bb.2569:
	global_load_b32 v1, v[32:33], off
	s_wait_loadcnt 0x0
	v_cvt_f32_f16_e32 v1, v1
	s_delay_alu instid0(VALU_DEP_1) | instskip(NEXT) | instid1(VALU_DEP_1)
	v_cvt_i32_f32_e32 v18, v1
	v_ashrrev_i32_e32 v19, 31, v18
.LBB79_2570:
	s_mov_b32 s16, 0
.LBB79_2571:
	s_delay_alu instid0(SALU_CYCLE_1)
	s_and_not1_b32 vcc_lo, exec_lo, s16
	s_cbranch_vccnz .LBB79_2582
; %bb.2572:
	s_cmp_lt_i32 s10, 6
	s_cbranch_scc1 .LBB79_2575
; %bb.2573:
	s_cmp_gt_i32 s10, 6
	s_cbranch_scc0 .LBB79_2576
; %bb.2574:
	s_wait_loadcnt 0x0
	global_load_b64 v[18:19], v[32:33], off
	s_mov_b32 s16, 0
	s_wait_loadcnt 0x0
	v_trunc_f64_e32 v[18:19], v[18:19]
	s_delay_alu instid0(VALU_DEP_1) | instskip(NEXT) | instid1(VALU_DEP_1)
	v_ldexp_f64 v[34:35], v[18:19], 0xffffffe0
	v_floor_f64_e32 v[34:35], v[34:35]
	s_delay_alu instid0(VALU_DEP_1) | instskip(SKIP_1) | instid1(VALU_DEP_2)
	v_fmamk_f64 v[36:37], v[34:35], 0xc1f00000, v[18:19]
	v_cvt_i32_f64_e32 v19, v[34:35]
	v_cvt_u32_f64_e32 v18, v[36:37]
	s_branch .LBB79_2577
.LBB79_2575:
	s_mov_b32 s16, -1
                                        ; implicit-def: $vgpr18_vgpr19
	s_branch .LBB79_2580
.LBB79_2576:
	s_mov_b32 s16, -1
                                        ; implicit-def: $vgpr18_vgpr19
.LBB79_2577:
	s_delay_alu instid0(SALU_CYCLE_1)
	s_and_not1_b32 vcc_lo, exec_lo, s16
	s_cbranch_vccnz .LBB79_2579
; %bb.2578:
	global_load_b32 v1, v[32:33], off
	s_wait_loadcnt 0x0
	v_trunc_f32_e32 v1, v1
	s_delay_alu instid0(VALU_DEP_1) | instskip(SKIP_1) | instid1(VALU_DEP_2)
	v_mul_f32_e64 v3, 0x2f800000, |v1|
	v_ashrrev_i32_e32 v18, 31, v1
	v_floor_f32_e32 v3, v3
	s_delay_alu instid0(VALU_DEP_1) | instskip(SKIP_1) | instid1(VALU_DEP_4)
	v_fma_f32 v5, 0xcf800000, v3, |v1|
	v_cvt_u32_f32_e32 v1, v3
	v_mov_b32_e32 v19, v18
	s_delay_alu instid0(VALU_DEP_3) | instskip(NEXT) | instid1(VALU_DEP_3)
	v_cvt_u32_f32_e32 v3, v5
	v_xor_b32_e32 v35, v1, v18
	s_delay_alu instid0(VALU_DEP_2) | instskip(NEXT) | instid1(VALU_DEP_1)
	v_xor_b32_e32 v34, v3, v18
	v_sub_nc_u64_e32 v[18:19], v[34:35], v[18:19]
.LBB79_2579:
	s_mov_b32 s16, 0
.LBB79_2580:
	s_delay_alu instid0(SALU_CYCLE_1)
	s_and_not1_b32 vcc_lo, exec_lo, s16
	s_cbranch_vccnz .LBB79_2582
; %bb.2581:
	global_load_u16 v1, v[32:33], off
	s_wait_loadcnt 0x0
	v_cvt_f32_f16_e32 v1, v1
	s_delay_alu instid0(VALU_DEP_1) | instskip(NEXT) | instid1(VALU_DEP_1)
	v_cvt_i32_f32_e32 v18, v1
	v_ashrrev_i32_e32 v19, 31, v18
.LBB79_2582:
	s_mov_b32 s16, 0
.LBB79_2583:
	s_delay_alu instid0(SALU_CYCLE_1)
	s_and_not1_b32 vcc_lo, exec_lo, s16
	s_cbranch_vccnz .LBB79_2603
; %bb.2584:
	s_cmp_lt_i32 s10, 2
	s_cbranch_scc1 .LBB79_2588
; %bb.2585:
	s_cmp_lt_i32 s10, 3
	s_cbranch_scc1 .LBB79_2589
; %bb.2586:
	s_cmp_gt_i32 s10, 3
	s_cbranch_scc0 .LBB79_2590
; %bb.2587:
	s_wait_loadcnt 0x0
	global_load_b64 v[18:19], v[32:33], off
	s_mov_b32 s16, 0
	s_branch .LBB79_2591
.LBB79_2588:
	s_mov_b32 s16, -1
                                        ; implicit-def: $vgpr18_vgpr19
	s_branch .LBB79_2597
.LBB79_2589:
	s_mov_b32 s16, -1
                                        ; implicit-def: $vgpr18_vgpr19
	s_branch .LBB79_2594
.LBB79_2590:
	s_mov_b32 s16, -1
                                        ; implicit-def: $vgpr18_vgpr19
.LBB79_2591:
	s_delay_alu instid0(SALU_CYCLE_1)
	s_and_not1_b32 vcc_lo, exec_lo, s16
	s_cbranch_vccnz .LBB79_2593
; %bb.2592:
	s_wait_loadcnt 0x0
	global_load_b32 v18, v[32:33], off
	s_wait_loadcnt 0x0
	v_ashrrev_i32_e32 v19, 31, v18
.LBB79_2593:
	s_mov_b32 s16, 0
.LBB79_2594:
	s_delay_alu instid0(SALU_CYCLE_1)
	s_and_not1_b32 vcc_lo, exec_lo, s16
	s_cbranch_vccnz .LBB79_2596
; %bb.2595:
	global_load_u16 v1, v[32:33], off
	s_wait_loadcnt 0x0
	v_bfe_i32 v18, v1, 0, 16
	s_delay_alu instid0(VALU_DEP_1)
	v_ashrrev_i32_e32 v19, 31, v18
.LBB79_2596:
	s_mov_b32 s16, 0
.LBB79_2597:
	s_delay_alu instid0(SALU_CYCLE_1)
	s_and_not1_b32 vcc_lo, exec_lo, s16
	s_cbranch_vccnz .LBB79_2603
; %bb.2598:
	s_cmp_gt_i32 s10, 0
	s_mov_b32 s16, 0
	s_cbranch_scc0 .LBB79_2600
; %bb.2599:
	global_load_i8 v1, v[32:33], off
	s_wait_loadcnt 0x0
	v_bfe_i32 v18, v1, 0, 16
	s_delay_alu instid0(VALU_DEP_1)
	v_ashrrev_i32_e32 v19, 31, v18
	s_branch .LBB79_2601
.LBB79_2600:
	s_mov_b32 s16, -1
                                        ; implicit-def: $vgpr18_vgpr19
.LBB79_2601:
	s_delay_alu instid0(SALU_CYCLE_1)
	s_and_not1_b32 vcc_lo, exec_lo, s16
	s_cbranch_vccnz .LBB79_2603
; %bb.2602:
	global_load_u8 v1, v[32:33], off
	s_mov_b32 s16, 0
	s_wait_loadcnt 0x1
	v_mov_b32_e32 v19, s16
	s_wait_loadcnt 0x0
	v_and_b32_e32 v18, 0xffff, v1
.LBB79_2603:
	s_mov_b32 s18, -1
.LBB79_2604:
	s_delay_alu instid0(SALU_CYCLE_1)
	s_and_not1_b32 vcc_lo, exec_lo, s18
	s_cbranch_vccnz .LBB79_4058
; %bb.2605:
	v_mov_b32_e32 v23, 0
	s_and_b32 s11, 0xffff, s11
	s_delay_alu instid0(SALU_CYCLE_1) | instskip(SKIP_1) | instid1(VALU_DEP_1)
	s_cmp_lt_i32 s11, 11
	s_wait_xcnt 0x0
	v_add_nc_u64_e32 v[32:33], s[0:1], v[22:23]
	s_cbranch_scc1 .LBB79_2612
; %bb.2606:
	s_cmp_gt_i32 s11, 25
	s_mov_b32 s17, 0
	s_cbranch_scc0 .LBB79_2613
; %bb.2607:
	s_cmp_gt_i32 s11, 28
	s_cbranch_scc0 .LBB79_2614
; %bb.2608:
	s_cmp_gt_i32 s11, 43
	s_cbranch_scc0 .LBB79_2615
; %bb.2609:
	s_cmp_gt_i32 s11, 45
	s_cbranch_scc0 .LBB79_2617
; %bb.2610:
	s_cmp_eq_u32 s11, 46
	s_mov_b32 s19, 0
	s_cbranch_scc0 .LBB79_2618
; %bb.2611:
	global_load_b32 v1, v[32:33], off
	s_mov_b32 s16, 0
	s_mov_b32 s18, -1
	s_wait_loadcnt 0x0
	v_lshlrev_b32_e32 v1, 16, v1
	s_delay_alu instid0(VALU_DEP_1) | instskip(NEXT) | instid1(VALU_DEP_1)
	v_trunc_f32_e32 v1, v1
	v_mul_f32_e64 v3, 0x2f800000, |v1|
	v_ashrrev_i32_e32 v22, 31, v1
	s_delay_alu instid0(VALU_DEP_2) | instskip(NEXT) | instid1(VALU_DEP_2)
	v_floor_f32_e32 v3, v3
	v_mov_b32_e32 v23, v22
	s_delay_alu instid0(VALU_DEP_2) | instskip(SKIP_1) | instid1(VALU_DEP_2)
	v_fma_f32 v5, 0xcf800000, v3, |v1|
	v_cvt_u32_f32_e32 v1, v3
	v_cvt_u32_f32_e32 v3, v5
	s_delay_alu instid0(VALU_DEP_2) | instskip(NEXT) | instid1(VALU_DEP_2)
	v_xor_b32_e32 v35, v1, v22
	v_xor_b32_e32 v34, v3, v22
	s_delay_alu instid0(VALU_DEP_1)
	v_sub_nc_u64_e32 v[22:23], v[34:35], v[22:23]
	s_branch .LBB79_2620
.LBB79_2612:
	s_mov_b32 s16, -1
	s_mov_b32 s18, 0
                                        ; implicit-def: $vgpr22_vgpr23
	s_branch .LBB79_2682
.LBB79_2613:
	s_mov_b32 s19, -1
	s_mov_b32 s18, 0
	s_mov_b32 s16, 0
                                        ; implicit-def: $vgpr22_vgpr23
	s_branch .LBB79_2647
.LBB79_2614:
	s_mov_b32 s19, -1
	s_mov_b32 s18, 0
	s_mov_b32 s16, 0
                                        ; implicit-def: $vgpr22_vgpr23
	s_branch .LBB79_2630
.LBB79_2615:
	s_mov_b32 s19, -1
	s_mov_b32 s18, 0
	s_mov_b32 s16, 0
                                        ; implicit-def: $vgpr22_vgpr23
	s_branch .LBB79_2625
.LBB79_2616:
	s_or_b32 s14, s14, exec_lo
	s_trap 2
	s_cbranch_execz .LBB79_2553
	s_branch .LBB79_2554
.LBB79_2617:
	s_mov_b32 s19, -1
	s_mov_b32 s18, 0
	s_mov_b32 s16, 0
	s_branch .LBB79_2619
.LBB79_2618:
	s_mov_b32 s16, -1
	s_mov_b32 s18, 0
.LBB79_2619:
                                        ; implicit-def: $vgpr22_vgpr23
.LBB79_2620:
	s_and_b32 vcc_lo, exec_lo, s19
	s_cbranch_vccz .LBB79_2624
; %bb.2621:
	s_cmp_eq_u32 s11, 44
	s_cbranch_scc0 .LBB79_2623
; %bb.2622:
	global_load_u8 v1, v[32:33], off
	s_mov_b32 s16, 0
	s_mov_b32 s18, -1
	s_wait_loadcnt 0x0
	v_lshlrev_b32_e32 v3, 23, v1
	v_cmp_ne_u32_e32 vcc_lo, 0, v1
	s_delay_alu instid0(VALU_DEP_2) | instskip(NEXT) | instid1(VALU_DEP_1)
	v_trunc_f32_e32 v3, v3
	v_mul_f32_e64 v5, 0x2f800000, |v3|
	v_ashrrev_i32_e32 v22, 31, v3
	s_delay_alu instid0(VALU_DEP_2) | instskip(NEXT) | instid1(VALU_DEP_2)
	v_floor_f32_e32 v5, v5
	v_mov_b32_e32 v23, v22
	s_delay_alu instid0(VALU_DEP_2) | instskip(SKIP_1) | instid1(VALU_DEP_2)
	v_fma_f32 v7, 0xcf800000, v5, |v3|
	v_cvt_u32_f32_e32 v3, v5
	v_cvt_u32_f32_e32 v5, v7
	s_delay_alu instid0(VALU_DEP_2) | instskip(NEXT) | instid1(VALU_DEP_2)
	v_xor_b32_e32 v35, v3, v22
	v_xor_b32_e32 v34, v5, v22
	s_delay_alu instid0(VALU_DEP_1) | instskip(NEXT) | instid1(VALU_DEP_1)
	v_sub_nc_u64_e32 v[22:23], v[34:35], v[22:23]
	v_dual_cndmask_b32 v23, 0, v23 :: v_dual_cndmask_b32 v22, 0, v22
	s_branch .LBB79_2624
.LBB79_2623:
	s_mov_b32 s16, -1
                                        ; implicit-def: $vgpr22_vgpr23
.LBB79_2624:
	s_mov_b32 s19, 0
.LBB79_2625:
	s_delay_alu instid0(SALU_CYCLE_1)
	s_and_b32 vcc_lo, exec_lo, s19
	s_cbranch_vccz .LBB79_2629
; %bb.2626:
	s_cmp_eq_u32 s11, 29
	s_cbranch_scc0 .LBB79_2628
; %bb.2627:
	global_load_b64 v[22:23], v[32:33], off
	s_mov_b32 s16, 0
	s_mov_b32 s18, -1
	s_branch .LBB79_2629
.LBB79_2628:
	s_mov_b32 s16, -1
                                        ; implicit-def: $vgpr22_vgpr23
.LBB79_2629:
	s_mov_b32 s19, 0
.LBB79_2630:
	s_delay_alu instid0(SALU_CYCLE_1)
	s_and_b32 vcc_lo, exec_lo, s19
	s_cbranch_vccz .LBB79_2646
; %bb.2631:
	s_cmp_lt_i32 s11, 27
	s_cbranch_scc1 .LBB79_2634
; %bb.2632:
	s_cmp_gt_i32 s11, 27
	s_cbranch_scc0 .LBB79_2635
; %bb.2633:
	s_wait_loadcnt 0x0
	global_load_b32 v22, v[32:33], off
	v_mov_b32_e32 v23, 0
	s_mov_b32 s18, 0
	s_branch .LBB79_2636
.LBB79_2634:
	s_mov_b32 s18, -1
                                        ; implicit-def: $vgpr22_vgpr23
	s_branch .LBB79_2639
.LBB79_2635:
	s_mov_b32 s18, -1
                                        ; implicit-def: $vgpr22_vgpr23
.LBB79_2636:
	s_delay_alu instid0(SALU_CYCLE_1)
	s_and_not1_b32 vcc_lo, exec_lo, s18
	s_cbranch_vccnz .LBB79_2638
; %bb.2637:
	global_load_u16 v1, v[32:33], off
	s_mov_b32 s18, 0
	s_wait_loadcnt 0x1
	v_mov_b32_e32 v23, s18
	s_wait_loadcnt 0x0
	v_and_b32_e32 v22, 0xffff, v1
.LBB79_2638:
	s_mov_b32 s18, 0
.LBB79_2639:
	s_delay_alu instid0(SALU_CYCLE_1)
	s_and_not1_b32 vcc_lo, exec_lo, s18
	s_cbranch_vccnz .LBB79_2645
; %bb.2640:
	global_load_u8 v1, v[32:33], off
	s_mov_b32 s19, 0
	s_mov_b32 s18, exec_lo
	s_wait_loadcnt 0x0
	v_cmpx_lt_i16_e32 0x7f, v1
	s_xor_b32 s18, exec_lo, s18
	s_cbranch_execz .LBB79_2657
; %bb.2641:
	v_cmp_ne_u16_e32 vcc_lo, 0x80, v1
	s_and_b32 s19, vcc_lo, exec_lo
	s_and_not1_saveexec_b32 s18, s18
	s_cbranch_execnz .LBB79_2658
.LBB79_2642:
	s_or_b32 exec_lo, exec_lo, s18
	v_mov_b64_e32 v[22:23], 0
	s_and_saveexec_b32 s18, s19
	s_cbranch_execz .LBB79_2644
.LBB79_2643:
	v_and_b32_e32 v3, 0xffff, v1
	s_delay_alu instid0(VALU_DEP_1) | instskip(SKIP_1) | instid1(VALU_DEP_2)
	v_dual_lshlrev_b32 v1, 24, v1 :: v_dual_bitop2_b32 v5, 7, v3 bitop3:0x40
	v_bfe_u32 v15, v3, 3, 4
	v_and_b32_e32 v1, 0x80000000, v1
	s_delay_alu instid0(VALU_DEP_3) | instskip(NEXT) | instid1(VALU_DEP_3)
	v_clz_i32_u32_e32 v7, v5
	v_cmp_eq_u32_e32 vcc_lo, 0, v15
	s_delay_alu instid0(VALU_DEP_2) | instskip(NEXT) | instid1(VALU_DEP_1)
	v_min_u32_e32 v7, 32, v7
	v_subrev_nc_u32_e32 v11, 28, v7
	v_sub_nc_u32_e32 v7, 29, v7
	s_delay_alu instid0(VALU_DEP_2) | instskip(NEXT) | instid1(VALU_DEP_2)
	v_lshlrev_b32_e32 v3, v11, v3
	v_cndmask_b32_e32 v7, v15, v7, vcc_lo
	s_delay_alu instid0(VALU_DEP_2) | instskip(NEXT) | instid1(VALU_DEP_1)
	v_and_b32_e32 v3, 7, v3
	v_cndmask_b32_e32 v3, v5, v3, vcc_lo
	s_delay_alu instid0(VALU_DEP_3) | instskip(NEXT) | instid1(VALU_DEP_2)
	v_lshl_add_u32 v5, v7, 23, 0x3b800000
	v_lshlrev_b32_e32 v3, 20, v3
	s_delay_alu instid0(VALU_DEP_1) | instskip(NEXT) | instid1(VALU_DEP_1)
	v_or3_b32 v1, v1, v5, v3
	v_trunc_f32_e32 v1, v1
	s_delay_alu instid0(VALU_DEP_1) | instskip(SKIP_1) | instid1(VALU_DEP_2)
	v_mul_f32_e64 v3, 0x2f800000, |v1|
	v_ashrrev_i32_e32 v22, 31, v1
	v_floor_f32_e32 v3, v3
	s_delay_alu instid0(VALU_DEP_2) | instskip(NEXT) | instid1(VALU_DEP_2)
	v_mov_b32_e32 v23, v22
	v_fma_f32 v5, 0xcf800000, v3, |v1|
	v_cvt_u32_f32_e32 v1, v3
	s_delay_alu instid0(VALU_DEP_2) | instskip(NEXT) | instid1(VALU_DEP_2)
	v_cvt_u32_f32_e32 v3, v5
	v_xor_b32_e32 v35, v1, v22
	s_delay_alu instid0(VALU_DEP_2) | instskip(NEXT) | instid1(VALU_DEP_1)
	v_xor_b32_e32 v34, v3, v22
	v_sub_nc_u64_e32 v[22:23], v[34:35], v[22:23]
.LBB79_2644:
	s_or_b32 exec_lo, exec_lo, s18
.LBB79_2645:
	s_mov_b32 s18, -1
.LBB79_2646:
	s_mov_b32 s19, 0
.LBB79_2647:
	s_delay_alu instid0(SALU_CYCLE_1)
	s_and_b32 vcc_lo, exec_lo, s19
	s_cbranch_vccz .LBB79_2678
; %bb.2648:
	s_cmp_gt_i32 s11, 22
	s_cbranch_scc0 .LBB79_2656
; %bb.2649:
	s_cmp_lt_i32 s11, 24
	s_cbranch_scc1 .LBB79_2659
; %bb.2650:
	s_cmp_gt_i32 s11, 24
	s_cbranch_scc0 .LBB79_2660
; %bb.2651:
	global_load_u8 v1, v[32:33], off
	s_mov_b32 s18, 0
	s_mov_b32 s17, exec_lo
	s_wait_loadcnt 0x0
	v_cmpx_lt_i16_e32 0x7f, v1
	s_xor_b32 s17, exec_lo, s17
	s_cbranch_execz .LBB79_2672
; %bb.2652:
	v_cmp_ne_u16_e32 vcc_lo, 0x80, v1
	s_and_b32 s18, vcc_lo, exec_lo
	s_and_not1_saveexec_b32 s17, s17
	s_cbranch_execnz .LBB79_2673
.LBB79_2653:
	s_or_b32 exec_lo, exec_lo, s17
	v_mov_b64_e32 v[22:23], 0
	s_and_saveexec_b32 s17, s18
	s_cbranch_execz .LBB79_2655
.LBB79_2654:
	v_and_b32_e32 v3, 0xffff, v1
	s_delay_alu instid0(VALU_DEP_1) | instskip(SKIP_1) | instid1(VALU_DEP_2)
	v_dual_lshlrev_b32 v1, 24, v1 :: v_dual_bitop2_b32 v5, 3, v3 bitop3:0x40
	v_bfe_u32 v15, v3, 2, 5
	v_and_b32_e32 v1, 0x80000000, v1
	s_delay_alu instid0(VALU_DEP_3) | instskip(NEXT) | instid1(VALU_DEP_3)
	v_clz_i32_u32_e32 v7, v5
	v_cmp_eq_u32_e32 vcc_lo, 0, v15
	s_delay_alu instid0(VALU_DEP_2) | instskip(NEXT) | instid1(VALU_DEP_1)
	v_min_u32_e32 v7, 32, v7
	v_subrev_nc_u32_e32 v11, 29, v7
	v_sub_nc_u32_e32 v7, 30, v7
	s_delay_alu instid0(VALU_DEP_2) | instskip(NEXT) | instid1(VALU_DEP_2)
	v_lshlrev_b32_e32 v3, v11, v3
	v_cndmask_b32_e32 v7, v15, v7, vcc_lo
	s_delay_alu instid0(VALU_DEP_2) | instskip(NEXT) | instid1(VALU_DEP_1)
	v_and_b32_e32 v3, 3, v3
	v_cndmask_b32_e32 v3, v5, v3, vcc_lo
	s_delay_alu instid0(VALU_DEP_3) | instskip(NEXT) | instid1(VALU_DEP_2)
	v_lshl_add_u32 v5, v7, 23, 0x37800000
	v_lshlrev_b32_e32 v3, 21, v3
	s_delay_alu instid0(VALU_DEP_1) | instskip(NEXT) | instid1(VALU_DEP_1)
	v_or3_b32 v1, v1, v5, v3
	v_trunc_f32_e32 v1, v1
	s_delay_alu instid0(VALU_DEP_1) | instskip(SKIP_1) | instid1(VALU_DEP_2)
	v_mul_f32_e64 v3, 0x2f800000, |v1|
	v_ashrrev_i32_e32 v22, 31, v1
	v_floor_f32_e32 v3, v3
	s_delay_alu instid0(VALU_DEP_2) | instskip(NEXT) | instid1(VALU_DEP_2)
	v_mov_b32_e32 v23, v22
	v_fma_f32 v5, 0xcf800000, v3, |v1|
	v_cvt_u32_f32_e32 v1, v3
	s_delay_alu instid0(VALU_DEP_2) | instskip(NEXT) | instid1(VALU_DEP_2)
	v_cvt_u32_f32_e32 v3, v5
	v_xor_b32_e32 v35, v1, v22
	s_delay_alu instid0(VALU_DEP_2) | instskip(NEXT) | instid1(VALU_DEP_1)
	v_xor_b32_e32 v34, v3, v22
	v_sub_nc_u64_e32 v[22:23], v[34:35], v[22:23]
.LBB79_2655:
	s_or_b32 exec_lo, exec_lo, s17
	s_mov_b32 s17, 0
	s_branch .LBB79_2661
.LBB79_2656:
	s_mov_b32 s17, -1
                                        ; implicit-def: $vgpr22_vgpr23
	s_branch .LBB79_2667
.LBB79_2657:
	s_and_not1_saveexec_b32 s18, s18
	s_cbranch_execz .LBB79_2642
.LBB79_2658:
	v_cmp_ne_u16_e32 vcc_lo, 0, v1
	s_and_not1_b32 s19, s19, exec_lo
	s_and_b32 s20, vcc_lo, exec_lo
	s_delay_alu instid0(SALU_CYCLE_1)
	s_or_b32 s19, s19, s20
	s_or_b32 exec_lo, exec_lo, s18
	v_mov_b64_e32 v[22:23], 0
	s_and_saveexec_b32 s18, s19
	s_cbranch_execnz .LBB79_2643
	s_branch .LBB79_2644
.LBB79_2659:
	s_mov_b32 s17, -1
                                        ; implicit-def: $vgpr22_vgpr23
	s_branch .LBB79_2664
.LBB79_2660:
	s_mov_b32 s17, -1
                                        ; implicit-def: $vgpr22_vgpr23
.LBB79_2661:
	s_delay_alu instid0(SALU_CYCLE_1)
	s_and_b32 vcc_lo, exec_lo, s17
	s_cbranch_vccz .LBB79_2663
; %bb.2662:
	global_load_u8 v1, v[32:33], off
	s_wait_loadcnt 0x0
	v_lshlrev_b32_e32 v1, 24, v1
	s_delay_alu instid0(VALU_DEP_1) | instskip(NEXT) | instid1(VALU_DEP_1)
	v_and_b32_e32 v3, 0x7f000000, v1
	v_clz_i32_u32_e32 v5, v3
	v_add_nc_u32_e32 v11, 0x1000000, v3
	v_cmp_ne_u32_e32 vcc_lo, 0, v3
	s_delay_alu instid0(VALU_DEP_3) | instskip(NEXT) | instid1(VALU_DEP_1)
	v_min_u32_e32 v5, 32, v5
	v_sub_nc_u32_e64 v5, v5, 4 clamp
	s_delay_alu instid0(VALU_DEP_1) | instskip(NEXT) | instid1(VALU_DEP_1)
	v_dual_lshlrev_b32 v7, v5, v3 :: v_dual_lshlrev_b32 v5, 23, v5
	v_lshrrev_b32_e32 v7, 4, v7
	s_delay_alu instid0(VALU_DEP_1) | instskip(NEXT) | instid1(VALU_DEP_1)
	v_dual_sub_nc_u32 v5, v7, v5 :: v_dual_ashrrev_i32 v7, 8, v11
	v_add_nc_u32_e32 v5, 0x3c000000, v5
	s_delay_alu instid0(VALU_DEP_1) | instskip(NEXT) | instid1(VALU_DEP_1)
	v_and_or_b32 v5, 0x7f800000, v7, v5
	v_cndmask_b32_e32 v3, 0, v5, vcc_lo
	s_delay_alu instid0(VALU_DEP_1) | instskip(NEXT) | instid1(VALU_DEP_1)
	v_and_or_b32 v1, 0x80000000, v1, v3
	v_trunc_f32_e32 v1, v1
	s_delay_alu instid0(VALU_DEP_1) | instskip(SKIP_1) | instid1(VALU_DEP_2)
	v_mul_f32_e64 v3, 0x2f800000, |v1|
	v_ashrrev_i32_e32 v22, 31, v1
	v_floor_f32_e32 v3, v3
	s_delay_alu instid0(VALU_DEP_2) | instskip(NEXT) | instid1(VALU_DEP_2)
	v_mov_b32_e32 v23, v22
	v_fma_f32 v5, 0xcf800000, v3, |v1|
	v_cvt_u32_f32_e32 v1, v3
	s_delay_alu instid0(VALU_DEP_2) | instskip(NEXT) | instid1(VALU_DEP_2)
	v_cvt_u32_f32_e32 v3, v5
	v_xor_b32_e32 v35, v1, v22
	s_delay_alu instid0(VALU_DEP_2) | instskip(NEXT) | instid1(VALU_DEP_1)
	v_xor_b32_e32 v34, v3, v22
	v_sub_nc_u64_e32 v[22:23], v[34:35], v[22:23]
.LBB79_2663:
	s_mov_b32 s17, 0
.LBB79_2664:
	s_delay_alu instid0(SALU_CYCLE_1)
	s_and_not1_b32 vcc_lo, exec_lo, s17
	s_cbranch_vccnz .LBB79_2666
; %bb.2665:
	global_load_u8 v1, v[32:33], off
	s_wait_loadcnt 0x0
	v_lshlrev_b32_e32 v3, 25, v1
	v_lshlrev_b16 v1, 8, v1
	s_delay_alu instid0(VALU_DEP_1) | instskip(SKIP_1) | instid1(VALU_DEP_2)
	v_and_or_b32 v7, 0x7f00, v1, 0.5
	v_bfe_i32 v1, v1, 0, 16
	v_add_f32_e32 v7, -0.5, v7
	v_lshrrev_b32_e32 v5, 4, v3
	v_cmp_gt_u32_e32 vcc_lo, 0x8000000, v3
	s_delay_alu instid0(VALU_DEP_2) | instskip(NEXT) | instid1(VALU_DEP_1)
	v_or_b32_e32 v5, 0x70000000, v5
	v_mul_f32_e32 v5, 0x7800000, v5
	s_delay_alu instid0(VALU_DEP_1) | instskip(NEXT) | instid1(VALU_DEP_1)
	v_cndmask_b32_e32 v3, v5, v7, vcc_lo
	v_and_or_b32 v1, 0x80000000, v1, v3
	s_delay_alu instid0(VALU_DEP_1) | instskip(NEXT) | instid1(VALU_DEP_1)
	v_trunc_f32_e32 v1, v1
	v_mul_f32_e64 v3, 0x2f800000, |v1|
	v_ashrrev_i32_e32 v22, 31, v1
	s_delay_alu instid0(VALU_DEP_2) | instskip(NEXT) | instid1(VALU_DEP_2)
	v_floor_f32_e32 v3, v3
	v_mov_b32_e32 v23, v22
	s_delay_alu instid0(VALU_DEP_2) | instskip(SKIP_1) | instid1(VALU_DEP_2)
	v_fma_f32 v5, 0xcf800000, v3, |v1|
	v_cvt_u32_f32_e32 v1, v3
	v_cvt_u32_f32_e32 v3, v5
	s_delay_alu instid0(VALU_DEP_2) | instskip(NEXT) | instid1(VALU_DEP_2)
	v_xor_b32_e32 v35, v1, v22
	v_xor_b32_e32 v34, v3, v22
	s_delay_alu instid0(VALU_DEP_1)
	v_sub_nc_u64_e32 v[22:23], v[34:35], v[22:23]
.LBB79_2666:
	s_mov_b32 s17, 0
	s_mov_b32 s18, -1
.LBB79_2667:
	s_and_not1_b32 vcc_lo, exec_lo, s17
	s_mov_b32 s17, 0
	s_cbranch_vccnz .LBB79_2678
; %bb.2668:
	s_cmp_gt_i32 s11, 14
	s_cbranch_scc0 .LBB79_2671
; %bb.2669:
	s_cmp_eq_u32 s11, 15
	s_cbranch_scc0 .LBB79_2674
; %bb.2670:
	global_load_u16 v1, v[32:33], off
	s_mov_b32 s16, 0
	s_mov_b32 s18, -1
	s_wait_loadcnt 0x0
	v_lshlrev_b32_e32 v1, 16, v1
	s_delay_alu instid0(VALU_DEP_1) | instskip(NEXT) | instid1(VALU_DEP_1)
	v_trunc_f32_e32 v1, v1
	v_mul_f32_e64 v3, 0x2f800000, |v1|
	v_ashrrev_i32_e32 v22, 31, v1
	s_delay_alu instid0(VALU_DEP_2) | instskip(NEXT) | instid1(VALU_DEP_2)
	v_floor_f32_e32 v3, v3
	v_mov_b32_e32 v23, v22
	s_delay_alu instid0(VALU_DEP_2) | instskip(SKIP_1) | instid1(VALU_DEP_2)
	v_fma_f32 v5, 0xcf800000, v3, |v1|
	v_cvt_u32_f32_e32 v1, v3
	v_cvt_u32_f32_e32 v3, v5
	s_delay_alu instid0(VALU_DEP_2) | instskip(NEXT) | instid1(VALU_DEP_2)
	v_xor_b32_e32 v35, v1, v22
	v_xor_b32_e32 v34, v3, v22
	s_delay_alu instid0(VALU_DEP_1)
	v_sub_nc_u64_e32 v[22:23], v[34:35], v[22:23]
	s_branch .LBB79_2676
.LBB79_2671:
	s_mov_b32 s17, -1
	s_branch .LBB79_2675
.LBB79_2672:
	s_and_not1_saveexec_b32 s17, s17
	s_cbranch_execz .LBB79_2653
.LBB79_2673:
	v_cmp_ne_u16_e32 vcc_lo, 0, v1
	s_and_not1_b32 s18, s18, exec_lo
	s_and_b32 s19, vcc_lo, exec_lo
	s_delay_alu instid0(SALU_CYCLE_1)
	s_or_b32 s18, s18, s19
	s_or_b32 exec_lo, exec_lo, s17
	v_mov_b64_e32 v[22:23], 0
	s_and_saveexec_b32 s17, s18
	s_cbranch_execnz .LBB79_2654
	s_branch .LBB79_2655
.LBB79_2674:
	s_mov_b32 s16, -1
.LBB79_2675:
                                        ; implicit-def: $vgpr22_vgpr23
.LBB79_2676:
	s_and_b32 vcc_lo, exec_lo, s17
	s_mov_b32 s17, 0
	s_cbranch_vccz .LBB79_2678
; %bb.2677:
	s_cmp_lg_u32 s11, 11
	s_mov_b32 s17, -1
	s_cselect_b32 s16, -1, 0
.LBB79_2678:
	s_delay_alu instid0(SALU_CYCLE_1)
	s_and_b32 vcc_lo, exec_lo, s16
	s_cbranch_vccnz .LBB79_2743
; %bb.2679:
	s_and_not1_b32 vcc_lo, exec_lo, s17
	s_cbranch_vccnz .LBB79_2681
.LBB79_2680:
	global_load_u8 v1, v[32:33], off
	s_mov_b32 s16, 0
	s_mov_b32 s18, -1
	s_wait_loadcnt 0x1
	v_mov_b32_e32 v23, s16
	s_wait_loadcnt 0x0
	v_cmp_ne_u16_e32 vcc_lo, 0, v1
	v_cndmask_b32_e64 v22, 0, 1, vcc_lo
.LBB79_2681:
	s_mov_b32 s16, 0
.LBB79_2682:
	s_delay_alu instid0(SALU_CYCLE_1)
	s_and_b32 vcc_lo, exec_lo, s16
	s_cbranch_vccz .LBB79_2731
; %bb.2683:
	s_cmp_lt_i32 s11, 5
	s_cbranch_scc1 .LBB79_2688
; %bb.2684:
	s_cmp_lt_i32 s11, 8
	s_cbranch_scc1 .LBB79_2689
	;; [unrolled: 3-line block ×3, first 2 shown]
; %bb.2686:
	s_cmp_gt_i32 s11, 9
	s_cbranch_scc0 .LBB79_2691
; %bb.2687:
	s_wait_loadcnt 0x0
	global_load_b64 v[22:23], v[32:33], off
	s_mov_b32 s16, 0
	s_wait_loadcnt 0x0
	v_trunc_f64_e32 v[22:23], v[22:23]
	s_delay_alu instid0(VALU_DEP_1) | instskip(NEXT) | instid1(VALU_DEP_1)
	v_ldexp_f64 v[34:35], v[22:23], 0xffffffe0
	v_floor_f64_e32 v[34:35], v[34:35]
	s_delay_alu instid0(VALU_DEP_1) | instskip(SKIP_1) | instid1(VALU_DEP_2)
	v_fmamk_f64 v[36:37], v[34:35], 0xc1f00000, v[22:23]
	v_cvt_i32_f64_e32 v23, v[34:35]
	v_cvt_u32_f64_e32 v22, v[36:37]
	s_branch .LBB79_2692
.LBB79_2688:
	s_mov_b32 s16, -1
                                        ; implicit-def: $vgpr22_vgpr23
	s_branch .LBB79_2710
.LBB79_2689:
	s_mov_b32 s16, -1
                                        ; implicit-def: $vgpr22_vgpr23
	s_branch .LBB79_2698
.LBB79_2690:
	s_mov_b32 s16, -1
                                        ; implicit-def: $vgpr22_vgpr23
	s_branch .LBB79_2695
.LBB79_2691:
	s_mov_b32 s16, -1
                                        ; implicit-def: $vgpr22_vgpr23
.LBB79_2692:
	s_delay_alu instid0(SALU_CYCLE_1)
	s_and_not1_b32 vcc_lo, exec_lo, s16
	s_cbranch_vccnz .LBB79_2694
; %bb.2693:
	global_load_b32 v1, v[32:33], off
	s_wait_loadcnt 0x0
	v_trunc_f32_e32 v1, v1
	s_delay_alu instid0(VALU_DEP_1) | instskip(SKIP_1) | instid1(VALU_DEP_2)
	v_mul_f32_e64 v3, 0x2f800000, |v1|
	v_ashrrev_i32_e32 v22, 31, v1
	v_floor_f32_e32 v3, v3
	s_delay_alu instid0(VALU_DEP_1) | instskip(SKIP_1) | instid1(VALU_DEP_4)
	v_fma_f32 v5, 0xcf800000, v3, |v1|
	v_cvt_u32_f32_e32 v1, v3
	v_mov_b32_e32 v23, v22
	s_delay_alu instid0(VALU_DEP_3) | instskip(NEXT) | instid1(VALU_DEP_3)
	v_cvt_u32_f32_e32 v3, v5
	v_xor_b32_e32 v35, v1, v22
	s_delay_alu instid0(VALU_DEP_2) | instskip(NEXT) | instid1(VALU_DEP_1)
	v_xor_b32_e32 v34, v3, v22
	v_sub_nc_u64_e32 v[22:23], v[34:35], v[22:23]
.LBB79_2694:
	s_mov_b32 s16, 0
.LBB79_2695:
	s_delay_alu instid0(SALU_CYCLE_1)
	s_and_not1_b32 vcc_lo, exec_lo, s16
	s_cbranch_vccnz .LBB79_2697
; %bb.2696:
	global_load_b32 v1, v[32:33], off
	s_wait_loadcnt 0x0
	v_cvt_f32_f16_e32 v1, v1
	s_delay_alu instid0(VALU_DEP_1) | instskip(NEXT) | instid1(VALU_DEP_1)
	v_cvt_i32_f32_e32 v22, v1
	v_ashrrev_i32_e32 v23, 31, v22
.LBB79_2697:
	s_mov_b32 s16, 0
.LBB79_2698:
	s_delay_alu instid0(SALU_CYCLE_1)
	s_and_not1_b32 vcc_lo, exec_lo, s16
	s_cbranch_vccnz .LBB79_2709
; %bb.2699:
	s_cmp_lt_i32 s11, 6
	s_cbranch_scc1 .LBB79_2702
; %bb.2700:
	s_cmp_gt_i32 s11, 6
	s_cbranch_scc0 .LBB79_2703
; %bb.2701:
	s_wait_loadcnt 0x0
	global_load_b64 v[22:23], v[32:33], off
	s_mov_b32 s16, 0
	s_wait_loadcnt 0x0
	v_trunc_f64_e32 v[22:23], v[22:23]
	s_delay_alu instid0(VALU_DEP_1) | instskip(NEXT) | instid1(VALU_DEP_1)
	v_ldexp_f64 v[34:35], v[22:23], 0xffffffe0
	v_floor_f64_e32 v[34:35], v[34:35]
	s_delay_alu instid0(VALU_DEP_1) | instskip(SKIP_1) | instid1(VALU_DEP_2)
	v_fmamk_f64 v[36:37], v[34:35], 0xc1f00000, v[22:23]
	v_cvt_i32_f64_e32 v23, v[34:35]
	v_cvt_u32_f64_e32 v22, v[36:37]
	s_branch .LBB79_2704
.LBB79_2702:
	s_mov_b32 s16, -1
                                        ; implicit-def: $vgpr22_vgpr23
	s_branch .LBB79_2707
.LBB79_2703:
	s_mov_b32 s16, -1
                                        ; implicit-def: $vgpr22_vgpr23
.LBB79_2704:
	s_delay_alu instid0(SALU_CYCLE_1)
	s_and_not1_b32 vcc_lo, exec_lo, s16
	s_cbranch_vccnz .LBB79_2706
; %bb.2705:
	global_load_b32 v1, v[32:33], off
	s_wait_loadcnt 0x0
	v_trunc_f32_e32 v1, v1
	s_delay_alu instid0(VALU_DEP_1) | instskip(SKIP_1) | instid1(VALU_DEP_2)
	v_mul_f32_e64 v3, 0x2f800000, |v1|
	v_ashrrev_i32_e32 v22, 31, v1
	v_floor_f32_e32 v3, v3
	s_delay_alu instid0(VALU_DEP_1) | instskip(SKIP_1) | instid1(VALU_DEP_4)
	v_fma_f32 v5, 0xcf800000, v3, |v1|
	v_cvt_u32_f32_e32 v1, v3
	v_mov_b32_e32 v23, v22
	s_delay_alu instid0(VALU_DEP_3) | instskip(NEXT) | instid1(VALU_DEP_3)
	v_cvt_u32_f32_e32 v3, v5
	v_xor_b32_e32 v35, v1, v22
	s_delay_alu instid0(VALU_DEP_2) | instskip(NEXT) | instid1(VALU_DEP_1)
	v_xor_b32_e32 v34, v3, v22
	v_sub_nc_u64_e32 v[22:23], v[34:35], v[22:23]
.LBB79_2706:
	s_mov_b32 s16, 0
.LBB79_2707:
	s_delay_alu instid0(SALU_CYCLE_1)
	s_and_not1_b32 vcc_lo, exec_lo, s16
	s_cbranch_vccnz .LBB79_2709
; %bb.2708:
	global_load_u16 v1, v[32:33], off
	s_wait_loadcnt 0x0
	v_cvt_f32_f16_e32 v1, v1
	s_delay_alu instid0(VALU_DEP_1) | instskip(NEXT) | instid1(VALU_DEP_1)
	v_cvt_i32_f32_e32 v22, v1
	v_ashrrev_i32_e32 v23, 31, v22
.LBB79_2709:
	s_mov_b32 s16, 0
.LBB79_2710:
	s_delay_alu instid0(SALU_CYCLE_1)
	s_and_not1_b32 vcc_lo, exec_lo, s16
	s_cbranch_vccnz .LBB79_2730
; %bb.2711:
	s_cmp_lt_i32 s11, 2
	s_cbranch_scc1 .LBB79_2715
; %bb.2712:
	s_cmp_lt_i32 s11, 3
	s_cbranch_scc1 .LBB79_2716
; %bb.2713:
	s_cmp_gt_i32 s11, 3
	s_cbranch_scc0 .LBB79_2717
; %bb.2714:
	s_wait_loadcnt 0x0
	global_load_b64 v[22:23], v[32:33], off
	s_mov_b32 s16, 0
	s_branch .LBB79_2718
.LBB79_2715:
	s_mov_b32 s16, -1
                                        ; implicit-def: $vgpr22_vgpr23
	s_branch .LBB79_2724
.LBB79_2716:
	s_mov_b32 s16, -1
                                        ; implicit-def: $vgpr22_vgpr23
	s_branch .LBB79_2721
.LBB79_2717:
	s_mov_b32 s16, -1
                                        ; implicit-def: $vgpr22_vgpr23
.LBB79_2718:
	s_delay_alu instid0(SALU_CYCLE_1)
	s_and_not1_b32 vcc_lo, exec_lo, s16
	s_cbranch_vccnz .LBB79_2720
; %bb.2719:
	s_wait_loadcnt 0x0
	global_load_b32 v22, v[32:33], off
	s_wait_loadcnt 0x0
	v_ashrrev_i32_e32 v23, 31, v22
.LBB79_2720:
	s_mov_b32 s16, 0
.LBB79_2721:
	s_delay_alu instid0(SALU_CYCLE_1)
	s_and_not1_b32 vcc_lo, exec_lo, s16
	s_cbranch_vccnz .LBB79_2723
; %bb.2722:
	global_load_u16 v1, v[32:33], off
	s_wait_loadcnt 0x0
	v_bfe_i32 v22, v1, 0, 16
	s_delay_alu instid0(VALU_DEP_1)
	v_ashrrev_i32_e32 v23, 31, v22
.LBB79_2723:
	s_mov_b32 s16, 0
.LBB79_2724:
	s_delay_alu instid0(SALU_CYCLE_1)
	s_and_not1_b32 vcc_lo, exec_lo, s16
	s_cbranch_vccnz .LBB79_2730
; %bb.2725:
	s_cmp_gt_i32 s11, 0
	s_mov_b32 s16, 0
	s_cbranch_scc0 .LBB79_2727
; %bb.2726:
	global_load_i8 v1, v[32:33], off
	s_wait_loadcnt 0x0
	v_bfe_i32 v22, v1, 0, 16
	s_delay_alu instid0(VALU_DEP_1)
	v_ashrrev_i32_e32 v23, 31, v22
	s_branch .LBB79_2728
.LBB79_2727:
	s_mov_b32 s16, -1
                                        ; implicit-def: $vgpr22_vgpr23
.LBB79_2728:
	s_delay_alu instid0(SALU_CYCLE_1)
	s_and_not1_b32 vcc_lo, exec_lo, s16
	s_cbranch_vccnz .LBB79_2730
; %bb.2729:
	global_load_u8 v1, v[32:33], off
	s_mov_b32 s16, 0
	s_wait_loadcnt 0x1
	v_mov_b32_e32 v23, s16
	s_wait_loadcnt 0x0
	v_and_b32_e32 v22, 0xffff, v1
.LBB79_2730:
	s_mov_b32 s18, -1
.LBB79_2731:
	s_delay_alu instid0(SALU_CYCLE_1)
	s_and_not1_b32 vcc_lo, exec_lo, s18
	s_cbranch_vccnz .LBB79_4058
; %bb.2732:
	v_mov_b32_e32 v27, 0
	s_and_b32 s15, 0xffff, s15
	s_delay_alu instid0(SALU_CYCLE_1) | instskip(SKIP_1) | instid1(VALU_DEP_1)
	s_cmp_lt_i32 s15, 11
	s_wait_xcnt 0x0
	v_add_nc_u64_e32 v[32:33], s[8:9], v[26:27]
	s_cbranch_scc1 .LBB79_2739
; %bb.2733:
	s_cmp_gt_i32 s15, 25
	s_mov_b32 s17, 0
	s_cbranch_scc0 .LBB79_2740
; %bb.2734:
	s_cmp_gt_i32 s15, 28
	s_cbranch_scc0 .LBB79_2741
; %bb.2735:
	s_cmp_gt_i32 s15, 43
	;; [unrolled: 3-line block ×3, first 2 shown]
	s_cbranch_scc0 .LBB79_2744
; %bb.2737:
	s_cmp_eq_u32 s15, 46
	s_mov_b32 s19, 0
	s_cbranch_scc0 .LBB79_2747
; %bb.2738:
	global_load_b32 v1, v[32:33], off
	s_mov_b32 s16, 0
	s_mov_b32 s18, -1
	s_wait_loadcnt 0x0
	v_lshlrev_b32_e32 v1, 16, v1
	s_delay_alu instid0(VALU_DEP_1) | instskip(NEXT) | instid1(VALU_DEP_1)
	v_trunc_f32_e32 v1, v1
	v_mul_f32_e64 v3, 0x2f800000, |v1|
	v_ashrrev_i32_e32 v26, 31, v1
	s_delay_alu instid0(VALU_DEP_2) | instskip(NEXT) | instid1(VALU_DEP_2)
	v_floor_f32_e32 v3, v3
	v_mov_b32_e32 v27, v26
	s_delay_alu instid0(VALU_DEP_2) | instskip(SKIP_1) | instid1(VALU_DEP_2)
	v_fma_f32 v5, 0xcf800000, v3, |v1|
	v_cvt_u32_f32_e32 v1, v3
	v_cvt_u32_f32_e32 v3, v5
	s_delay_alu instid0(VALU_DEP_2) | instskip(NEXT) | instid1(VALU_DEP_2)
	v_xor_b32_e32 v35, v1, v26
	v_xor_b32_e32 v34, v3, v26
	s_delay_alu instid0(VALU_DEP_1)
	v_sub_nc_u64_e32 v[26:27], v[34:35], v[26:27]
	s_branch .LBB79_2749
.LBB79_2739:
	s_mov_b32 s16, -1
	s_mov_b32 s18, 0
                                        ; implicit-def: $vgpr26_vgpr27
	s_branch .LBB79_2811
.LBB79_2740:
	s_mov_b32 s19, -1
	s_mov_b32 s18, 0
	s_mov_b32 s16, 0
                                        ; implicit-def: $vgpr26_vgpr27
	s_branch .LBB79_2776
.LBB79_2741:
	s_mov_b32 s19, -1
	s_mov_b32 s18, 0
	s_mov_b32 s16, 0
                                        ; implicit-def: $vgpr26_vgpr27
	s_branch .LBB79_2759
.LBB79_2742:
	s_mov_b32 s19, -1
	s_mov_b32 s18, 0
	s_mov_b32 s16, 0
                                        ; implicit-def: $vgpr26_vgpr27
	s_branch .LBB79_2754
.LBB79_2743:
	s_or_b32 s14, s14, exec_lo
	s_trap 2
	s_cbranch_execz .LBB79_2680
	s_branch .LBB79_2681
.LBB79_2744:
	s_mov_b32 s19, -1
	s_mov_b32 s18, 0
	s_mov_b32 s16, 0
	s_branch .LBB79_2748
.LBB79_2745:
	s_and_not1_saveexec_b32 s63, s63
	s_cbranch_execz .LBB79_1462
.LBB79_2746:
	v_add_f32_e64 v6, 0x46000000, |v1|
	s_and_not1_b32 s62, s62, exec_lo
	s_delay_alu instid0(VALU_DEP_1) | instskip(NEXT) | instid1(VALU_DEP_1)
	v_and_b32_e32 v6, 0xff, v6
	v_cmp_ne_u32_e32 vcc_lo, 0, v6
	s_and_b32 s64, vcc_lo, exec_lo
	s_delay_alu instid0(SALU_CYCLE_1)
	s_or_b32 s62, s62, s64
	s_or_b32 exec_lo, exec_lo, s63
	v_mov_b32_e32 v7, 0
	s_and_saveexec_b32 s63, s62
	s_cbranch_execnz .LBB79_1463
	s_branch .LBB79_1464
.LBB79_2747:
	s_mov_b32 s16, -1
	s_mov_b32 s18, 0
.LBB79_2748:
                                        ; implicit-def: $vgpr26_vgpr27
.LBB79_2749:
	s_and_b32 vcc_lo, exec_lo, s19
	s_cbranch_vccz .LBB79_2753
; %bb.2750:
	s_cmp_eq_u32 s15, 44
	s_cbranch_scc0 .LBB79_2752
; %bb.2751:
	global_load_u8 v1, v[32:33], off
	s_mov_b32 s16, 0
	s_mov_b32 s18, -1
	s_wait_loadcnt 0x0
	v_lshlrev_b32_e32 v3, 23, v1
	v_cmp_ne_u32_e32 vcc_lo, 0, v1
	s_delay_alu instid0(VALU_DEP_2) | instskip(NEXT) | instid1(VALU_DEP_1)
	v_trunc_f32_e32 v3, v3
	v_mul_f32_e64 v5, 0x2f800000, |v3|
	v_ashrrev_i32_e32 v26, 31, v3
	s_delay_alu instid0(VALU_DEP_2) | instskip(NEXT) | instid1(VALU_DEP_2)
	v_floor_f32_e32 v5, v5
	v_mov_b32_e32 v27, v26
	s_delay_alu instid0(VALU_DEP_2) | instskip(SKIP_1) | instid1(VALU_DEP_2)
	v_fma_f32 v7, 0xcf800000, v5, |v3|
	v_cvt_u32_f32_e32 v3, v5
	v_cvt_u32_f32_e32 v5, v7
	s_delay_alu instid0(VALU_DEP_2) | instskip(NEXT) | instid1(VALU_DEP_2)
	v_xor_b32_e32 v35, v3, v26
	v_xor_b32_e32 v34, v5, v26
	s_delay_alu instid0(VALU_DEP_1) | instskip(NEXT) | instid1(VALU_DEP_1)
	v_sub_nc_u64_e32 v[26:27], v[34:35], v[26:27]
	v_dual_cndmask_b32 v27, 0, v27 :: v_dual_cndmask_b32 v26, 0, v26
	s_branch .LBB79_2753
.LBB79_2752:
	s_mov_b32 s16, -1
                                        ; implicit-def: $vgpr26_vgpr27
.LBB79_2753:
	s_mov_b32 s19, 0
.LBB79_2754:
	s_delay_alu instid0(SALU_CYCLE_1)
	s_and_b32 vcc_lo, exec_lo, s19
	s_cbranch_vccz .LBB79_2758
; %bb.2755:
	s_cmp_eq_u32 s15, 29
	s_cbranch_scc0 .LBB79_2757
; %bb.2756:
	global_load_b64 v[26:27], v[32:33], off
	s_mov_b32 s16, 0
	s_mov_b32 s18, -1
	s_branch .LBB79_2758
.LBB79_2757:
	s_mov_b32 s16, -1
                                        ; implicit-def: $vgpr26_vgpr27
.LBB79_2758:
	s_mov_b32 s19, 0
.LBB79_2759:
	s_delay_alu instid0(SALU_CYCLE_1)
	s_and_b32 vcc_lo, exec_lo, s19
	s_cbranch_vccz .LBB79_2775
; %bb.2760:
	s_cmp_lt_i32 s15, 27
	s_cbranch_scc1 .LBB79_2763
; %bb.2761:
	s_cmp_gt_i32 s15, 27
	s_cbranch_scc0 .LBB79_2764
; %bb.2762:
	s_wait_loadcnt 0x0
	global_load_b32 v26, v[32:33], off
	v_mov_b32_e32 v27, 0
	s_mov_b32 s18, 0
	s_branch .LBB79_2765
.LBB79_2763:
	s_mov_b32 s18, -1
                                        ; implicit-def: $vgpr26_vgpr27
	s_branch .LBB79_2768
.LBB79_2764:
	s_mov_b32 s18, -1
                                        ; implicit-def: $vgpr26_vgpr27
.LBB79_2765:
	s_delay_alu instid0(SALU_CYCLE_1)
	s_and_not1_b32 vcc_lo, exec_lo, s18
	s_cbranch_vccnz .LBB79_2767
; %bb.2766:
	global_load_u16 v1, v[32:33], off
	s_mov_b32 s18, 0
	s_wait_loadcnt 0x1
	v_mov_b32_e32 v27, s18
	s_wait_loadcnt 0x0
	v_and_b32_e32 v26, 0xffff, v1
.LBB79_2767:
	s_mov_b32 s18, 0
.LBB79_2768:
	s_delay_alu instid0(SALU_CYCLE_1)
	s_and_not1_b32 vcc_lo, exec_lo, s18
	s_cbranch_vccnz .LBB79_2774
; %bb.2769:
	global_load_u8 v1, v[32:33], off
	s_mov_b32 s19, 0
	s_mov_b32 s18, exec_lo
	s_wait_loadcnt 0x0
	v_cmpx_lt_i16_e32 0x7f, v1
	s_xor_b32 s18, exec_lo, s18
	s_cbranch_execz .LBB79_2786
; %bb.2770:
	v_cmp_ne_u16_e32 vcc_lo, 0x80, v1
	s_and_b32 s19, vcc_lo, exec_lo
	s_and_not1_saveexec_b32 s18, s18
	s_cbranch_execnz .LBB79_2787
.LBB79_2771:
	s_or_b32 exec_lo, exec_lo, s18
	v_mov_b64_e32 v[26:27], 0
	s_and_saveexec_b32 s18, s19
	s_cbranch_execz .LBB79_2773
.LBB79_2772:
	v_and_b32_e32 v3, 0xffff, v1
	s_delay_alu instid0(VALU_DEP_1) | instskip(SKIP_1) | instid1(VALU_DEP_2)
	v_dual_lshlrev_b32 v1, 24, v1 :: v_dual_bitop2_b32 v5, 7, v3 bitop3:0x40
	v_bfe_u32 v15, v3, 3, 4
	v_and_b32_e32 v1, 0x80000000, v1
	s_delay_alu instid0(VALU_DEP_3) | instskip(NEXT) | instid1(VALU_DEP_3)
	v_clz_i32_u32_e32 v7, v5
	v_cmp_eq_u32_e32 vcc_lo, 0, v15
	s_delay_alu instid0(VALU_DEP_2) | instskip(NEXT) | instid1(VALU_DEP_1)
	v_min_u32_e32 v7, 32, v7
	v_subrev_nc_u32_e32 v11, 28, v7
	v_sub_nc_u32_e32 v7, 29, v7
	s_delay_alu instid0(VALU_DEP_2) | instskip(NEXT) | instid1(VALU_DEP_2)
	v_lshlrev_b32_e32 v3, v11, v3
	v_cndmask_b32_e32 v7, v15, v7, vcc_lo
	s_delay_alu instid0(VALU_DEP_2) | instskip(NEXT) | instid1(VALU_DEP_1)
	v_and_b32_e32 v3, 7, v3
	v_cndmask_b32_e32 v3, v5, v3, vcc_lo
	s_delay_alu instid0(VALU_DEP_3) | instskip(NEXT) | instid1(VALU_DEP_2)
	v_lshl_add_u32 v5, v7, 23, 0x3b800000
	v_lshlrev_b32_e32 v3, 20, v3
	s_delay_alu instid0(VALU_DEP_1) | instskip(NEXT) | instid1(VALU_DEP_1)
	v_or3_b32 v1, v1, v5, v3
	v_trunc_f32_e32 v1, v1
	s_delay_alu instid0(VALU_DEP_1) | instskip(SKIP_1) | instid1(VALU_DEP_2)
	v_mul_f32_e64 v3, 0x2f800000, |v1|
	v_ashrrev_i32_e32 v26, 31, v1
	v_floor_f32_e32 v3, v3
	s_delay_alu instid0(VALU_DEP_2) | instskip(NEXT) | instid1(VALU_DEP_2)
	v_mov_b32_e32 v27, v26
	v_fma_f32 v5, 0xcf800000, v3, |v1|
	v_cvt_u32_f32_e32 v1, v3
	s_delay_alu instid0(VALU_DEP_2) | instskip(NEXT) | instid1(VALU_DEP_2)
	v_cvt_u32_f32_e32 v3, v5
	v_xor_b32_e32 v35, v1, v26
	s_delay_alu instid0(VALU_DEP_2) | instskip(NEXT) | instid1(VALU_DEP_1)
	v_xor_b32_e32 v34, v3, v26
	v_sub_nc_u64_e32 v[26:27], v[34:35], v[26:27]
.LBB79_2773:
	s_or_b32 exec_lo, exec_lo, s18
.LBB79_2774:
	s_mov_b32 s18, -1
.LBB79_2775:
	s_mov_b32 s19, 0
.LBB79_2776:
	s_delay_alu instid0(SALU_CYCLE_1)
	s_and_b32 vcc_lo, exec_lo, s19
	s_cbranch_vccz .LBB79_2807
; %bb.2777:
	s_cmp_gt_i32 s15, 22
	s_cbranch_scc0 .LBB79_2785
; %bb.2778:
	s_cmp_lt_i32 s15, 24
	s_cbranch_scc1 .LBB79_2788
; %bb.2779:
	s_cmp_gt_i32 s15, 24
	s_cbranch_scc0 .LBB79_2789
; %bb.2780:
	global_load_u8 v1, v[32:33], off
	s_mov_b32 s18, 0
	s_mov_b32 s17, exec_lo
	s_wait_loadcnt 0x0
	v_cmpx_lt_i16_e32 0x7f, v1
	s_xor_b32 s17, exec_lo, s17
	s_cbranch_execz .LBB79_2801
; %bb.2781:
	v_cmp_ne_u16_e32 vcc_lo, 0x80, v1
	s_and_b32 s18, vcc_lo, exec_lo
	s_and_not1_saveexec_b32 s17, s17
	s_cbranch_execnz .LBB79_2802
.LBB79_2782:
	s_or_b32 exec_lo, exec_lo, s17
	v_mov_b64_e32 v[26:27], 0
	s_and_saveexec_b32 s17, s18
	s_cbranch_execz .LBB79_2784
.LBB79_2783:
	v_and_b32_e32 v3, 0xffff, v1
	s_delay_alu instid0(VALU_DEP_1) | instskip(SKIP_1) | instid1(VALU_DEP_2)
	v_dual_lshlrev_b32 v1, 24, v1 :: v_dual_bitop2_b32 v5, 3, v3 bitop3:0x40
	v_bfe_u32 v15, v3, 2, 5
	v_and_b32_e32 v1, 0x80000000, v1
	s_delay_alu instid0(VALU_DEP_3) | instskip(NEXT) | instid1(VALU_DEP_3)
	v_clz_i32_u32_e32 v7, v5
	v_cmp_eq_u32_e32 vcc_lo, 0, v15
	s_delay_alu instid0(VALU_DEP_2) | instskip(NEXT) | instid1(VALU_DEP_1)
	v_min_u32_e32 v7, 32, v7
	v_subrev_nc_u32_e32 v11, 29, v7
	v_sub_nc_u32_e32 v7, 30, v7
	s_delay_alu instid0(VALU_DEP_2) | instskip(NEXT) | instid1(VALU_DEP_2)
	v_lshlrev_b32_e32 v3, v11, v3
	v_cndmask_b32_e32 v7, v15, v7, vcc_lo
	s_delay_alu instid0(VALU_DEP_2) | instskip(NEXT) | instid1(VALU_DEP_1)
	v_and_b32_e32 v3, 3, v3
	v_cndmask_b32_e32 v3, v5, v3, vcc_lo
	s_delay_alu instid0(VALU_DEP_3) | instskip(NEXT) | instid1(VALU_DEP_2)
	v_lshl_add_u32 v5, v7, 23, 0x37800000
	v_lshlrev_b32_e32 v3, 21, v3
	s_delay_alu instid0(VALU_DEP_1) | instskip(NEXT) | instid1(VALU_DEP_1)
	v_or3_b32 v1, v1, v5, v3
	v_trunc_f32_e32 v1, v1
	s_delay_alu instid0(VALU_DEP_1) | instskip(SKIP_1) | instid1(VALU_DEP_2)
	v_mul_f32_e64 v3, 0x2f800000, |v1|
	v_ashrrev_i32_e32 v26, 31, v1
	v_floor_f32_e32 v3, v3
	s_delay_alu instid0(VALU_DEP_2) | instskip(NEXT) | instid1(VALU_DEP_2)
	v_mov_b32_e32 v27, v26
	v_fma_f32 v5, 0xcf800000, v3, |v1|
	v_cvt_u32_f32_e32 v1, v3
	s_delay_alu instid0(VALU_DEP_2) | instskip(NEXT) | instid1(VALU_DEP_2)
	v_cvt_u32_f32_e32 v3, v5
	v_xor_b32_e32 v35, v1, v26
	s_delay_alu instid0(VALU_DEP_2) | instskip(NEXT) | instid1(VALU_DEP_1)
	v_xor_b32_e32 v34, v3, v26
	v_sub_nc_u64_e32 v[26:27], v[34:35], v[26:27]
.LBB79_2784:
	s_or_b32 exec_lo, exec_lo, s17
	s_mov_b32 s17, 0
	s_branch .LBB79_2790
.LBB79_2785:
	s_mov_b32 s17, -1
                                        ; implicit-def: $vgpr26_vgpr27
	s_branch .LBB79_2796
.LBB79_2786:
	s_and_not1_saveexec_b32 s18, s18
	s_cbranch_execz .LBB79_2771
.LBB79_2787:
	v_cmp_ne_u16_e32 vcc_lo, 0, v1
	s_and_not1_b32 s19, s19, exec_lo
	s_and_b32 s20, vcc_lo, exec_lo
	s_delay_alu instid0(SALU_CYCLE_1)
	s_or_b32 s19, s19, s20
	s_or_b32 exec_lo, exec_lo, s18
	v_mov_b64_e32 v[26:27], 0
	s_and_saveexec_b32 s18, s19
	s_cbranch_execnz .LBB79_2772
	s_branch .LBB79_2773
.LBB79_2788:
	s_mov_b32 s17, -1
                                        ; implicit-def: $vgpr26_vgpr27
	s_branch .LBB79_2793
.LBB79_2789:
	s_mov_b32 s17, -1
                                        ; implicit-def: $vgpr26_vgpr27
.LBB79_2790:
	s_delay_alu instid0(SALU_CYCLE_1)
	s_and_b32 vcc_lo, exec_lo, s17
	s_cbranch_vccz .LBB79_2792
; %bb.2791:
	global_load_u8 v1, v[32:33], off
	s_wait_loadcnt 0x0
	v_lshlrev_b32_e32 v1, 24, v1
	s_delay_alu instid0(VALU_DEP_1) | instskip(NEXT) | instid1(VALU_DEP_1)
	v_and_b32_e32 v3, 0x7f000000, v1
	v_clz_i32_u32_e32 v5, v3
	v_add_nc_u32_e32 v11, 0x1000000, v3
	v_cmp_ne_u32_e32 vcc_lo, 0, v3
	s_delay_alu instid0(VALU_DEP_3) | instskip(NEXT) | instid1(VALU_DEP_1)
	v_min_u32_e32 v5, 32, v5
	v_sub_nc_u32_e64 v5, v5, 4 clamp
	s_delay_alu instid0(VALU_DEP_1) | instskip(NEXT) | instid1(VALU_DEP_1)
	v_dual_lshlrev_b32 v7, v5, v3 :: v_dual_lshlrev_b32 v5, 23, v5
	v_lshrrev_b32_e32 v7, 4, v7
	s_delay_alu instid0(VALU_DEP_1) | instskip(NEXT) | instid1(VALU_DEP_1)
	v_dual_sub_nc_u32 v5, v7, v5 :: v_dual_ashrrev_i32 v7, 8, v11
	v_add_nc_u32_e32 v5, 0x3c000000, v5
	s_delay_alu instid0(VALU_DEP_1) | instskip(NEXT) | instid1(VALU_DEP_1)
	v_and_or_b32 v5, 0x7f800000, v7, v5
	v_cndmask_b32_e32 v3, 0, v5, vcc_lo
	s_delay_alu instid0(VALU_DEP_1) | instskip(NEXT) | instid1(VALU_DEP_1)
	v_and_or_b32 v1, 0x80000000, v1, v3
	v_trunc_f32_e32 v1, v1
	s_delay_alu instid0(VALU_DEP_1) | instskip(SKIP_1) | instid1(VALU_DEP_2)
	v_mul_f32_e64 v3, 0x2f800000, |v1|
	v_ashrrev_i32_e32 v26, 31, v1
	v_floor_f32_e32 v3, v3
	s_delay_alu instid0(VALU_DEP_2) | instskip(NEXT) | instid1(VALU_DEP_2)
	v_mov_b32_e32 v27, v26
	v_fma_f32 v5, 0xcf800000, v3, |v1|
	v_cvt_u32_f32_e32 v1, v3
	s_delay_alu instid0(VALU_DEP_2) | instskip(NEXT) | instid1(VALU_DEP_2)
	v_cvt_u32_f32_e32 v3, v5
	v_xor_b32_e32 v35, v1, v26
	s_delay_alu instid0(VALU_DEP_2) | instskip(NEXT) | instid1(VALU_DEP_1)
	v_xor_b32_e32 v34, v3, v26
	v_sub_nc_u64_e32 v[26:27], v[34:35], v[26:27]
.LBB79_2792:
	s_mov_b32 s17, 0
.LBB79_2793:
	s_delay_alu instid0(SALU_CYCLE_1)
	s_and_not1_b32 vcc_lo, exec_lo, s17
	s_cbranch_vccnz .LBB79_2795
; %bb.2794:
	global_load_u8 v1, v[32:33], off
	s_wait_loadcnt 0x0
	v_lshlrev_b32_e32 v3, 25, v1
	v_lshlrev_b16 v1, 8, v1
	s_delay_alu instid0(VALU_DEP_1) | instskip(SKIP_1) | instid1(VALU_DEP_2)
	v_and_or_b32 v7, 0x7f00, v1, 0.5
	v_bfe_i32 v1, v1, 0, 16
	v_add_f32_e32 v7, -0.5, v7
	v_lshrrev_b32_e32 v5, 4, v3
	v_cmp_gt_u32_e32 vcc_lo, 0x8000000, v3
	s_delay_alu instid0(VALU_DEP_2) | instskip(NEXT) | instid1(VALU_DEP_1)
	v_or_b32_e32 v5, 0x70000000, v5
	v_mul_f32_e32 v5, 0x7800000, v5
	s_delay_alu instid0(VALU_DEP_1) | instskip(NEXT) | instid1(VALU_DEP_1)
	v_cndmask_b32_e32 v3, v5, v7, vcc_lo
	v_and_or_b32 v1, 0x80000000, v1, v3
	s_delay_alu instid0(VALU_DEP_1) | instskip(NEXT) | instid1(VALU_DEP_1)
	v_trunc_f32_e32 v1, v1
	v_mul_f32_e64 v3, 0x2f800000, |v1|
	v_ashrrev_i32_e32 v26, 31, v1
	s_delay_alu instid0(VALU_DEP_2) | instskip(NEXT) | instid1(VALU_DEP_2)
	v_floor_f32_e32 v3, v3
	v_mov_b32_e32 v27, v26
	s_delay_alu instid0(VALU_DEP_2) | instskip(SKIP_1) | instid1(VALU_DEP_2)
	v_fma_f32 v5, 0xcf800000, v3, |v1|
	v_cvt_u32_f32_e32 v1, v3
	v_cvt_u32_f32_e32 v3, v5
	s_delay_alu instid0(VALU_DEP_2) | instskip(NEXT) | instid1(VALU_DEP_2)
	v_xor_b32_e32 v35, v1, v26
	v_xor_b32_e32 v34, v3, v26
	s_delay_alu instid0(VALU_DEP_1)
	v_sub_nc_u64_e32 v[26:27], v[34:35], v[26:27]
.LBB79_2795:
	s_mov_b32 s17, 0
	s_mov_b32 s18, -1
.LBB79_2796:
	s_and_not1_b32 vcc_lo, exec_lo, s17
	s_mov_b32 s17, 0
	s_cbranch_vccnz .LBB79_2807
; %bb.2797:
	s_cmp_gt_i32 s15, 14
	s_cbranch_scc0 .LBB79_2800
; %bb.2798:
	s_cmp_eq_u32 s15, 15
	s_cbranch_scc0 .LBB79_2803
; %bb.2799:
	global_load_u16 v1, v[32:33], off
	s_mov_b32 s16, 0
	s_mov_b32 s18, -1
	s_wait_loadcnt 0x0
	v_lshlrev_b32_e32 v1, 16, v1
	s_delay_alu instid0(VALU_DEP_1) | instskip(NEXT) | instid1(VALU_DEP_1)
	v_trunc_f32_e32 v1, v1
	v_mul_f32_e64 v3, 0x2f800000, |v1|
	v_ashrrev_i32_e32 v26, 31, v1
	s_delay_alu instid0(VALU_DEP_2) | instskip(NEXT) | instid1(VALU_DEP_2)
	v_floor_f32_e32 v3, v3
	v_mov_b32_e32 v27, v26
	s_delay_alu instid0(VALU_DEP_2) | instskip(SKIP_1) | instid1(VALU_DEP_2)
	v_fma_f32 v5, 0xcf800000, v3, |v1|
	v_cvt_u32_f32_e32 v1, v3
	v_cvt_u32_f32_e32 v3, v5
	s_delay_alu instid0(VALU_DEP_2) | instskip(NEXT) | instid1(VALU_DEP_2)
	v_xor_b32_e32 v35, v1, v26
	v_xor_b32_e32 v34, v3, v26
	s_delay_alu instid0(VALU_DEP_1)
	v_sub_nc_u64_e32 v[26:27], v[34:35], v[26:27]
	s_branch .LBB79_2805
.LBB79_2800:
	s_mov_b32 s17, -1
	s_branch .LBB79_2804
.LBB79_2801:
	s_and_not1_saveexec_b32 s17, s17
	s_cbranch_execz .LBB79_2782
.LBB79_2802:
	v_cmp_ne_u16_e32 vcc_lo, 0, v1
	s_and_not1_b32 s18, s18, exec_lo
	s_and_b32 s19, vcc_lo, exec_lo
	s_delay_alu instid0(SALU_CYCLE_1)
	s_or_b32 s18, s18, s19
	s_or_b32 exec_lo, exec_lo, s17
	v_mov_b64_e32 v[26:27], 0
	s_and_saveexec_b32 s17, s18
	s_cbranch_execnz .LBB79_2783
	s_branch .LBB79_2784
.LBB79_2803:
	s_mov_b32 s16, -1
.LBB79_2804:
                                        ; implicit-def: $vgpr26_vgpr27
.LBB79_2805:
	s_and_b32 vcc_lo, exec_lo, s17
	s_mov_b32 s17, 0
	s_cbranch_vccz .LBB79_2807
; %bb.2806:
	s_cmp_lg_u32 s15, 11
	s_mov_b32 s17, -1
	s_cselect_b32 s16, -1, 0
.LBB79_2807:
	s_delay_alu instid0(SALU_CYCLE_1)
	s_and_b32 vcc_lo, exec_lo, s16
	s_cbranch_vccnz .LBB79_2872
; %bb.2808:
	s_and_not1_b32 vcc_lo, exec_lo, s17
	s_cbranch_vccnz .LBB79_2810
.LBB79_2809:
	global_load_u8 v1, v[32:33], off
	s_mov_b32 s16, 0
	s_mov_b32 s18, -1
	s_wait_loadcnt 0x1
	v_mov_b32_e32 v27, s16
	s_wait_loadcnt 0x0
	v_cmp_ne_u16_e32 vcc_lo, 0, v1
	v_cndmask_b32_e64 v26, 0, 1, vcc_lo
.LBB79_2810:
	s_mov_b32 s16, 0
.LBB79_2811:
	s_delay_alu instid0(SALU_CYCLE_1)
	s_and_b32 vcc_lo, exec_lo, s16
	s_cbranch_vccz .LBB79_2860
; %bb.2812:
	s_cmp_lt_i32 s15, 5
	s_cbranch_scc1 .LBB79_2817
; %bb.2813:
	s_cmp_lt_i32 s15, 8
	s_cbranch_scc1 .LBB79_2818
	;; [unrolled: 3-line block ×3, first 2 shown]
; %bb.2815:
	s_cmp_gt_i32 s15, 9
	s_cbranch_scc0 .LBB79_2820
; %bb.2816:
	s_wait_loadcnt 0x0
	global_load_b64 v[26:27], v[32:33], off
	s_mov_b32 s16, 0
	s_wait_loadcnt 0x0
	v_trunc_f64_e32 v[26:27], v[26:27]
	s_delay_alu instid0(VALU_DEP_1) | instskip(NEXT) | instid1(VALU_DEP_1)
	v_ldexp_f64 v[34:35], v[26:27], 0xffffffe0
	v_floor_f64_e32 v[34:35], v[34:35]
	s_delay_alu instid0(VALU_DEP_1) | instskip(SKIP_1) | instid1(VALU_DEP_2)
	v_fmamk_f64 v[36:37], v[34:35], 0xc1f00000, v[26:27]
	v_cvt_i32_f64_e32 v27, v[34:35]
	v_cvt_u32_f64_e32 v26, v[36:37]
	s_branch .LBB79_2821
.LBB79_2817:
	s_mov_b32 s16, -1
                                        ; implicit-def: $vgpr26_vgpr27
	s_branch .LBB79_2839
.LBB79_2818:
	s_mov_b32 s16, -1
                                        ; implicit-def: $vgpr26_vgpr27
	s_branch .LBB79_2827
.LBB79_2819:
	s_mov_b32 s16, -1
                                        ; implicit-def: $vgpr26_vgpr27
	s_branch .LBB79_2824
.LBB79_2820:
	s_mov_b32 s16, -1
                                        ; implicit-def: $vgpr26_vgpr27
.LBB79_2821:
	s_delay_alu instid0(SALU_CYCLE_1)
	s_and_not1_b32 vcc_lo, exec_lo, s16
	s_cbranch_vccnz .LBB79_2823
; %bb.2822:
	global_load_b32 v1, v[32:33], off
	s_wait_loadcnt 0x0
	v_trunc_f32_e32 v1, v1
	s_delay_alu instid0(VALU_DEP_1) | instskip(SKIP_1) | instid1(VALU_DEP_2)
	v_mul_f32_e64 v3, 0x2f800000, |v1|
	v_ashrrev_i32_e32 v26, 31, v1
	v_floor_f32_e32 v3, v3
	s_delay_alu instid0(VALU_DEP_1) | instskip(SKIP_1) | instid1(VALU_DEP_4)
	v_fma_f32 v5, 0xcf800000, v3, |v1|
	v_cvt_u32_f32_e32 v1, v3
	v_mov_b32_e32 v27, v26
	s_delay_alu instid0(VALU_DEP_3) | instskip(NEXT) | instid1(VALU_DEP_3)
	v_cvt_u32_f32_e32 v3, v5
	v_xor_b32_e32 v35, v1, v26
	s_delay_alu instid0(VALU_DEP_2) | instskip(NEXT) | instid1(VALU_DEP_1)
	v_xor_b32_e32 v34, v3, v26
	v_sub_nc_u64_e32 v[26:27], v[34:35], v[26:27]
.LBB79_2823:
	s_mov_b32 s16, 0
.LBB79_2824:
	s_delay_alu instid0(SALU_CYCLE_1)
	s_and_not1_b32 vcc_lo, exec_lo, s16
	s_cbranch_vccnz .LBB79_2826
; %bb.2825:
	global_load_b32 v1, v[32:33], off
	s_wait_loadcnt 0x0
	v_cvt_f32_f16_e32 v1, v1
	s_delay_alu instid0(VALU_DEP_1) | instskip(NEXT) | instid1(VALU_DEP_1)
	v_cvt_i32_f32_e32 v26, v1
	v_ashrrev_i32_e32 v27, 31, v26
.LBB79_2826:
	s_mov_b32 s16, 0
.LBB79_2827:
	s_delay_alu instid0(SALU_CYCLE_1)
	s_and_not1_b32 vcc_lo, exec_lo, s16
	s_cbranch_vccnz .LBB79_2838
; %bb.2828:
	s_cmp_lt_i32 s15, 6
	s_cbranch_scc1 .LBB79_2831
; %bb.2829:
	s_cmp_gt_i32 s15, 6
	s_cbranch_scc0 .LBB79_2832
; %bb.2830:
	s_wait_loadcnt 0x0
	global_load_b64 v[26:27], v[32:33], off
	s_mov_b32 s16, 0
	s_wait_loadcnt 0x0
	v_trunc_f64_e32 v[26:27], v[26:27]
	s_delay_alu instid0(VALU_DEP_1) | instskip(NEXT) | instid1(VALU_DEP_1)
	v_ldexp_f64 v[34:35], v[26:27], 0xffffffe0
	v_floor_f64_e32 v[34:35], v[34:35]
	s_delay_alu instid0(VALU_DEP_1) | instskip(SKIP_1) | instid1(VALU_DEP_2)
	v_fmamk_f64 v[36:37], v[34:35], 0xc1f00000, v[26:27]
	v_cvt_i32_f64_e32 v27, v[34:35]
	v_cvt_u32_f64_e32 v26, v[36:37]
	s_branch .LBB79_2833
.LBB79_2831:
	s_mov_b32 s16, -1
                                        ; implicit-def: $vgpr26_vgpr27
	s_branch .LBB79_2836
.LBB79_2832:
	s_mov_b32 s16, -1
                                        ; implicit-def: $vgpr26_vgpr27
.LBB79_2833:
	s_delay_alu instid0(SALU_CYCLE_1)
	s_and_not1_b32 vcc_lo, exec_lo, s16
	s_cbranch_vccnz .LBB79_2835
; %bb.2834:
	global_load_b32 v1, v[32:33], off
	s_wait_loadcnt 0x0
	v_trunc_f32_e32 v1, v1
	s_delay_alu instid0(VALU_DEP_1) | instskip(SKIP_1) | instid1(VALU_DEP_2)
	v_mul_f32_e64 v3, 0x2f800000, |v1|
	v_ashrrev_i32_e32 v26, 31, v1
	v_floor_f32_e32 v3, v3
	s_delay_alu instid0(VALU_DEP_1) | instskip(SKIP_1) | instid1(VALU_DEP_4)
	v_fma_f32 v5, 0xcf800000, v3, |v1|
	v_cvt_u32_f32_e32 v1, v3
	v_mov_b32_e32 v27, v26
	s_delay_alu instid0(VALU_DEP_3) | instskip(NEXT) | instid1(VALU_DEP_3)
	v_cvt_u32_f32_e32 v3, v5
	v_xor_b32_e32 v35, v1, v26
	s_delay_alu instid0(VALU_DEP_2) | instskip(NEXT) | instid1(VALU_DEP_1)
	v_xor_b32_e32 v34, v3, v26
	v_sub_nc_u64_e32 v[26:27], v[34:35], v[26:27]
.LBB79_2835:
	s_mov_b32 s16, 0
.LBB79_2836:
	s_delay_alu instid0(SALU_CYCLE_1)
	s_and_not1_b32 vcc_lo, exec_lo, s16
	s_cbranch_vccnz .LBB79_2838
; %bb.2837:
	global_load_u16 v1, v[32:33], off
	s_wait_loadcnt 0x0
	v_cvt_f32_f16_e32 v1, v1
	s_delay_alu instid0(VALU_DEP_1) | instskip(NEXT) | instid1(VALU_DEP_1)
	v_cvt_i32_f32_e32 v26, v1
	v_ashrrev_i32_e32 v27, 31, v26
.LBB79_2838:
	s_mov_b32 s16, 0
.LBB79_2839:
	s_delay_alu instid0(SALU_CYCLE_1)
	s_and_not1_b32 vcc_lo, exec_lo, s16
	s_cbranch_vccnz .LBB79_2859
; %bb.2840:
	s_cmp_lt_i32 s15, 2
	s_cbranch_scc1 .LBB79_2844
; %bb.2841:
	s_cmp_lt_i32 s15, 3
	s_cbranch_scc1 .LBB79_2845
; %bb.2842:
	s_cmp_gt_i32 s15, 3
	s_cbranch_scc0 .LBB79_2846
; %bb.2843:
	s_wait_loadcnt 0x0
	global_load_b64 v[26:27], v[32:33], off
	s_mov_b32 s16, 0
	s_branch .LBB79_2847
.LBB79_2844:
	s_mov_b32 s16, -1
                                        ; implicit-def: $vgpr26_vgpr27
	s_branch .LBB79_2853
.LBB79_2845:
	s_mov_b32 s16, -1
                                        ; implicit-def: $vgpr26_vgpr27
	s_branch .LBB79_2850
.LBB79_2846:
	s_mov_b32 s16, -1
                                        ; implicit-def: $vgpr26_vgpr27
.LBB79_2847:
	s_delay_alu instid0(SALU_CYCLE_1)
	s_and_not1_b32 vcc_lo, exec_lo, s16
	s_cbranch_vccnz .LBB79_2849
; %bb.2848:
	s_wait_loadcnt 0x0
	global_load_b32 v26, v[32:33], off
	s_wait_loadcnt 0x0
	v_ashrrev_i32_e32 v27, 31, v26
.LBB79_2849:
	s_mov_b32 s16, 0
.LBB79_2850:
	s_delay_alu instid0(SALU_CYCLE_1)
	s_and_not1_b32 vcc_lo, exec_lo, s16
	s_cbranch_vccnz .LBB79_2852
; %bb.2851:
	global_load_u16 v1, v[32:33], off
	s_wait_loadcnt 0x0
	v_bfe_i32 v26, v1, 0, 16
	s_delay_alu instid0(VALU_DEP_1)
	v_ashrrev_i32_e32 v27, 31, v26
.LBB79_2852:
	s_mov_b32 s16, 0
.LBB79_2853:
	s_delay_alu instid0(SALU_CYCLE_1)
	s_and_not1_b32 vcc_lo, exec_lo, s16
	s_cbranch_vccnz .LBB79_2859
; %bb.2854:
	s_cmp_gt_i32 s15, 0
	s_mov_b32 s16, 0
	s_cbranch_scc0 .LBB79_2856
; %bb.2855:
	global_load_i8 v1, v[32:33], off
	s_wait_loadcnt 0x0
	v_bfe_i32 v26, v1, 0, 16
	s_delay_alu instid0(VALU_DEP_1)
	v_ashrrev_i32_e32 v27, 31, v26
	s_branch .LBB79_2857
.LBB79_2856:
	s_mov_b32 s16, -1
                                        ; implicit-def: $vgpr26_vgpr27
.LBB79_2857:
	s_delay_alu instid0(SALU_CYCLE_1)
	s_and_not1_b32 vcc_lo, exec_lo, s16
	s_cbranch_vccnz .LBB79_2859
; %bb.2858:
	global_load_u8 v1, v[32:33], off
	s_mov_b32 s16, 0
	s_wait_loadcnt 0x1
	v_mov_b32_e32 v27, s16
	s_wait_loadcnt 0x0
	v_and_b32_e32 v26, 0xffff, v1
.LBB79_2859:
	s_mov_b32 s18, -1
.LBB79_2860:
	s_delay_alu instid0(SALU_CYCLE_1)
	s_and_not1_b32 vcc_lo, exec_lo, s18
	s_cbranch_vccnz .LBB79_4058
; %bb.2861:
	v_mov_b32_e32 v29, 0
	s_cmp_lt_i32 s10, 11
	s_wait_xcnt 0x0
	s_delay_alu instid0(VALU_DEP_1)
	v_add_nc_u64_e32 v[32:33], s[6:7], v[28:29]
	s_cbranch_scc1 .LBB79_2868
; %bb.2862:
	s_cmp_gt_i32 s10, 25
	s_mov_b32 s17, 0
	s_cbranch_scc0 .LBB79_2869
; %bb.2863:
	s_cmp_gt_i32 s10, 28
	s_cbranch_scc0 .LBB79_2870
; %bb.2864:
	s_cmp_gt_i32 s10, 43
	;; [unrolled: 3-line block ×3, first 2 shown]
	s_cbranch_scc0 .LBB79_2873
; %bb.2866:
	s_cmp_eq_u32 s10, 46
	s_mov_b32 s19, 0
	s_cbranch_scc0 .LBB79_2876
; %bb.2867:
	global_load_b32 v1, v[32:33], off
	s_mov_b32 s16, 0
	s_mov_b32 s18, -1
	s_wait_loadcnt 0x0
	v_lshlrev_b32_e32 v1, 16, v1
	s_delay_alu instid0(VALU_DEP_1) | instskip(NEXT) | instid1(VALU_DEP_1)
	v_trunc_f32_e32 v1, v1
	v_mul_f32_e64 v3, 0x2f800000, |v1|
	v_ashrrev_i32_e32 v28, 31, v1
	s_delay_alu instid0(VALU_DEP_2) | instskip(NEXT) | instid1(VALU_DEP_2)
	v_floor_f32_e32 v3, v3
	v_mov_b32_e32 v29, v28
	s_delay_alu instid0(VALU_DEP_2) | instskip(SKIP_1) | instid1(VALU_DEP_2)
	v_fma_f32 v5, 0xcf800000, v3, |v1|
	v_cvt_u32_f32_e32 v1, v3
	v_cvt_u32_f32_e32 v3, v5
	s_delay_alu instid0(VALU_DEP_2) | instskip(NEXT) | instid1(VALU_DEP_2)
	v_xor_b32_e32 v35, v1, v28
	v_xor_b32_e32 v34, v3, v28
	s_delay_alu instid0(VALU_DEP_1)
	v_sub_nc_u64_e32 v[28:29], v[34:35], v[28:29]
	s_branch .LBB79_2878
.LBB79_2868:
	s_mov_b32 s16, -1
	s_mov_b32 s18, 0
                                        ; implicit-def: $vgpr28_vgpr29
	s_branch .LBB79_2940
.LBB79_2869:
	s_mov_b32 s19, -1
	s_mov_b32 s18, 0
	s_mov_b32 s16, 0
                                        ; implicit-def: $vgpr28_vgpr29
	s_branch .LBB79_2905
.LBB79_2870:
	s_mov_b32 s19, -1
	s_mov_b32 s18, 0
	s_mov_b32 s16, 0
                                        ; implicit-def: $vgpr28_vgpr29
	s_branch .LBB79_2888
.LBB79_2871:
	s_mov_b32 s19, -1
	s_mov_b32 s18, 0
	s_mov_b32 s16, 0
                                        ; implicit-def: $vgpr28_vgpr29
	s_branch .LBB79_2883
.LBB79_2872:
	s_or_b32 s14, s14, exec_lo
	s_trap 2
	s_cbranch_execz .LBB79_2809
	s_branch .LBB79_2810
.LBB79_2873:
	s_mov_b32 s19, -1
	s_mov_b32 s18, 0
	s_mov_b32 s16, 0
	s_branch .LBB79_2877
.LBB79_2874:
	s_and_not1_saveexec_b32 s63, s63
	s_cbranch_execz .LBB79_1475
.LBB79_2875:
	v_add_f32_e64 v6, 0x42800000, |v1|
	s_and_not1_b32 s62, s62, exec_lo
	s_delay_alu instid0(VALU_DEP_1) | instskip(NEXT) | instid1(VALU_DEP_1)
	v_and_b32_e32 v6, 0xff, v6
	v_cmp_ne_u32_e32 vcc_lo, 0, v6
	s_and_b32 s64, vcc_lo, exec_lo
	s_delay_alu instid0(SALU_CYCLE_1)
	s_or_b32 s62, s62, s64
	s_or_b32 exec_lo, exec_lo, s63
	v_mov_b32_e32 v7, 0
	s_and_saveexec_b32 s63, s62
	s_cbranch_execnz .LBB79_1476
	s_branch .LBB79_1477
.LBB79_2876:
	s_mov_b32 s16, -1
	s_mov_b32 s18, 0
.LBB79_2877:
                                        ; implicit-def: $vgpr28_vgpr29
.LBB79_2878:
	s_and_b32 vcc_lo, exec_lo, s19
	s_cbranch_vccz .LBB79_2882
; %bb.2879:
	s_cmp_eq_u32 s10, 44
	s_cbranch_scc0 .LBB79_2881
; %bb.2880:
	global_load_u8 v1, v[32:33], off
	s_mov_b32 s16, 0
	s_mov_b32 s18, -1
	s_wait_loadcnt 0x0
	v_lshlrev_b32_e32 v3, 23, v1
	v_cmp_ne_u32_e32 vcc_lo, 0, v1
	s_delay_alu instid0(VALU_DEP_2) | instskip(NEXT) | instid1(VALU_DEP_1)
	v_trunc_f32_e32 v3, v3
	v_mul_f32_e64 v5, 0x2f800000, |v3|
	v_ashrrev_i32_e32 v28, 31, v3
	s_delay_alu instid0(VALU_DEP_2) | instskip(NEXT) | instid1(VALU_DEP_2)
	v_floor_f32_e32 v5, v5
	v_mov_b32_e32 v29, v28
	s_delay_alu instid0(VALU_DEP_2) | instskip(SKIP_1) | instid1(VALU_DEP_2)
	v_fma_f32 v7, 0xcf800000, v5, |v3|
	v_cvt_u32_f32_e32 v3, v5
	v_cvt_u32_f32_e32 v5, v7
	s_delay_alu instid0(VALU_DEP_2) | instskip(NEXT) | instid1(VALU_DEP_2)
	v_xor_b32_e32 v35, v3, v28
	v_xor_b32_e32 v34, v5, v28
	s_delay_alu instid0(VALU_DEP_1) | instskip(NEXT) | instid1(VALU_DEP_1)
	v_sub_nc_u64_e32 v[28:29], v[34:35], v[28:29]
	v_dual_cndmask_b32 v29, 0, v29 :: v_dual_cndmask_b32 v28, 0, v28
	s_branch .LBB79_2882
.LBB79_2881:
	s_mov_b32 s16, -1
                                        ; implicit-def: $vgpr28_vgpr29
.LBB79_2882:
	s_mov_b32 s19, 0
.LBB79_2883:
	s_delay_alu instid0(SALU_CYCLE_1)
	s_and_b32 vcc_lo, exec_lo, s19
	s_cbranch_vccz .LBB79_2887
; %bb.2884:
	s_cmp_eq_u32 s10, 29
	s_cbranch_scc0 .LBB79_2886
; %bb.2885:
	global_load_b64 v[28:29], v[32:33], off
	s_mov_b32 s16, 0
	s_mov_b32 s18, -1
	s_branch .LBB79_2887
.LBB79_2886:
	s_mov_b32 s16, -1
                                        ; implicit-def: $vgpr28_vgpr29
.LBB79_2887:
	s_mov_b32 s19, 0
.LBB79_2888:
	s_delay_alu instid0(SALU_CYCLE_1)
	s_and_b32 vcc_lo, exec_lo, s19
	s_cbranch_vccz .LBB79_2904
; %bb.2889:
	s_cmp_lt_i32 s10, 27
	s_cbranch_scc1 .LBB79_2892
; %bb.2890:
	s_cmp_gt_i32 s10, 27
	s_cbranch_scc0 .LBB79_2893
; %bb.2891:
	s_wait_loadcnt 0x0
	global_load_b32 v28, v[32:33], off
	v_mov_b32_e32 v29, 0
	s_mov_b32 s18, 0
	s_branch .LBB79_2894
.LBB79_2892:
	s_mov_b32 s18, -1
                                        ; implicit-def: $vgpr28_vgpr29
	s_branch .LBB79_2897
.LBB79_2893:
	s_mov_b32 s18, -1
                                        ; implicit-def: $vgpr28_vgpr29
.LBB79_2894:
	s_delay_alu instid0(SALU_CYCLE_1)
	s_and_not1_b32 vcc_lo, exec_lo, s18
	s_cbranch_vccnz .LBB79_2896
; %bb.2895:
	global_load_u16 v1, v[32:33], off
	s_mov_b32 s18, 0
	s_wait_loadcnt 0x1
	v_mov_b32_e32 v29, s18
	s_wait_loadcnt 0x0
	v_and_b32_e32 v28, 0xffff, v1
.LBB79_2896:
	s_mov_b32 s18, 0
.LBB79_2897:
	s_delay_alu instid0(SALU_CYCLE_1)
	s_and_not1_b32 vcc_lo, exec_lo, s18
	s_cbranch_vccnz .LBB79_2903
; %bb.2898:
	global_load_u8 v1, v[32:33], off
	s_mov_b32 s19, 0
	s_mov_b32 s18, exec_lo
	s_wait_loadcnt 0x0
	v_cmpx_lt_i16_e32 0x7f, v1
	s_xor_b32 s18, exec_lo, s18
	s_cbranch_execz .LBB79_2915
; %bb.2899:
	v_cmp_ne_u16_e32 vcc_lo, 0x80, v1
	s_and_b32 s19, vcc_lo, exec_lo
	s_and_not1_saveexec_b32 s18, s18
	s_cbranch_execnz .LBB79_2916
.LBB79_2900:
	s_or_b32 exec_lo, exec_lo, s18
	v_mov_b64_e32 v[28:29], 0
	s_and_saveexec_b32 s18, s19
	s_cbranch_execz .LBB79_2902
.LBB79_2901:
	v_and_b32_e32 v3, 0xffff, v1
	s_delay_alu instid0(VALU_DEP_1) | instskip(SKIP_1) | instid1(VALU_DEP_2)
	v_dual_lshlrev_b32 v1, 24, v1 :: v_dual_bitop2_b32 v5, 7, v3 bitop3:0x40
	v_bfe_u32 v15, v3, 3, 4
	v_and_b32_e32 v1, 0x80000000, v1
	s_delay_alu instid0(VALU_DEP_3) | instskip(NEXT) | instid1(VALU_DEP_3)
	v_clz_i32_u32_e32 v7, v5
	v_cmp_eq_u32_e32 vcc_lo, 0, v15
	s_delay_alu instid0(VALU_DEP_2) | instskip(NEXT) | instid1(VALU_DEP_1)
	v_min_u32_e32 v7, 32, v7
	v_subrev_nc_u32_e32 v11, 28, v7
	v_sub_nc_u32_e32 v7, 29, v7
	s_delay_alu instid0(VALU_DEP_2) | instskip(NEXT) | instid1(VALU_DEP_2)
	v_lshlrev_b32_e32 v3, v11, v3
	v_cndmask_b32_e32 v7, v15, v7, vcc_lo
	s_delay_alu instid0(VALU_DEP_2) | instskip(NEXT) | instid1(VALU_DEP_1)
	v_and_b32_e32 v3, 7, v3
	v_cndmask_b32_e32 v3, v5, v3, vcc_lo
	s_delay_alu instid0(VALU_DEP_3) | instskip(NEXT) | instid1(VALU_DEP_2)
	v_lshl_add_u32 v5, v7, 23, 0x3b800000
	v_lshlrev_b32_e32 v3, 20, v3
	s_delay_alu instid0(VALU_DEP_1) | instskip(NEXT) | instid1(VALU_DEP_1)
	v_or3_b32 v1, v1, v5, v3
	v_trunc_f32_e32 v1, v1
	s_delay_alu instid0(VALU_DEP_1) | instskip(SKIP_1) | instid1(VALU_DEP_2)
	v_mul_f32_e64 v3, 0x2f800000, |v1|
	v_ashrrev_i32_e32 v28, 31, v1
	v_floor_f32_e32 v3, v3
	s_delay_alu instid0(VALU_DEP_2) | instskip(NEXT) | instid1(VALU_DEP_2)
	v_mov_b32_e32 v29, v28
	v_fma_f32 v5, 0xcf800000, v3, |v1|
	v_cvt_u32_f32_e32 v1, v3
	s_delay_alu instid0(VALU_DEP_2) | instskip(NEXT) | instid1(VALU_DEP_2)
	v_cvt_u32_f32_e32 v3, v5
	v_xor_b32_e32 v35, v1, v28
	s_delay_alu instid0(VALU_DEP_2) | instskip(NEXT) | instid1(VALU_DEP_1)
	v_xor_b32_e32 v34, v3, v28
	v_sub_nc_u64_e32 v[28:29], v[34:35], v[28:29]
.LBB79_2902:
	s_or_b32 exec_lo, exec_lo, s18
.LBB79_2903:
	s_mov_b32 s18, -1
.LBB79_2904:
	s_mov_b32 s19, 0
.LBB79_2905:
	s_delay_alu instid0(SALU_CYCLE_1)
	s_and_b32 vcc_lo, exec_lo, s19
	s_cbranch_vccz .LBB79_2936
; %bb.2906:
	s_cmp_gt_i32 s10, 22
	s_cbranch_scc0 .LBB79_2914
; %bb.2907:
	s_cmp_lt_i32 s10, 24
	s_cbranch_scc1 .LBB79_2917
; %bb.2908:
	s_cmp_gt_i32 s10, 24
	s_cbranch_scc0 .LBB79_2918
; %bb.2909:
	global_load_u8 v1, v[32:33], off
	s_mov_b32 s18, 0
	s_mov_b32 s17, exec_lo
	s_wait_loadcnt 0x0
	v_cmpx_lt_i16_e32 0x7f, v1
	s_xor_b32 s17, exec_lo, s17
	s_cbranch_execz .LBB79_2930
; %bb.2910:
	v_cmp_ne_u16_e32 vcc_lo, 0x80, v1
	s_and_b32 s18, vcc_lo, exec_lo
	s_and_not1_saveexec_b32 s17, s17
	s_cbranch_execnz .LBB79_2931
.LBB79_2911:
	s_or_b32 exec_lo, exec_lo, s17
	v_mov_b64_e32 v[28:29], 0
	s_and_saveexec_b32 s17, s18
	s_cbranch_execz .LBB79_2913
.LBB79_2912:
	v_and_b32_e32 v3, 0xffff, v1
	s_delay_alu instid0(VALU_DEP_1) | instskip(SKIP_1) | instid1(VALU_DEP_2)
	v_dual_lshlrev_b32 v1, 24, v1 :: v_dual_bitop2_b32 v5, 3, v3 bitop3:0x40
	v_bfe_u32 v15, v3, 2, 5
	v_and_b32_e32 v1, 0x80000000, v1
	s_delay_alu instid0(VALU_DEP_3) | instskip(NEXT) | instid1(VALU_DEP_3)
	v_clz_i32_u32_e32 v7, v5
	v_cmp_eq_u32_e32 vcc_lo, 0, v15
	s_delay_alu instid0(VALU_DEP_2) | instskip(NEXT) | instid1(VALU_DEP_1)
	v_min_u32_e32 v7, 32, v7
	v_subrev_nc_u32_e32 v11, 29, v7
	v_sub_nc_u32_e32 v7, 30, v7
	s_delay_alu instid0(VALU_DEP_2) | instskip(NEXT) | instid1(VALU_DEP_2)
	v_lshlrev_b32_e32 v3, v11, v3
	v_cndmask_b32_e32 v7, v15, v7, vcc_lo
	s_delay_alu instid0(VALU_DEP_2) | instskip(NEXT) | instid1(VALU_DEP_1)
	v_and_b32_e32 v3, 3, v3
	v_cndmask_b32_e32 v3, v5, v3, vcc_lo
	s_delay_alu instid0(VALU_DEP_3) | instskip(NEXT) | instid1(VALU_DEP_2)
	v_lshl_add_u32 v5, v7, 23, 0x37800000
	v_lshlrev_b32_e32 v3, 21, v3
	s_delay_alu instid0(VALU_DEP_1) | instskip(NEXT) | instid1(VALU_DEP_1)
	v_or3_b32 v1, v1, v5, v3
	v_trunc_f32_e32 v1, v1
	s_delay_alu instid0(VALU_DEP_1) | instskip(SKIP_1) | instid1(VALU_DEP_2)
	v_mul_f32_e64 v3, 0x2f800000, |v1|
	v_ashrrev_i32_e32 v28, 31, v1
	v_floor_f32_e32 v3, v3
	s_delay_alu instid0(VALU_DEP_2) | instskip(NEXT) | instid1(VALU_DEP_2)
	v_mov_b32_e32 v29, v28
	v_fma_f32 v5, 0xcf800000, v3, |v1|
	v_cvt_u32_f32_e32 v1, v3
	s_delay_alu instid0(VALU_DEP_2) | instskip(NEXT) | instid1(VALU_DEP_2)
	v_cvt_u32_f32_e32 v3, v5
	v_xor_b32_e32 v35, v1, v28
	s_delay_alu instid0(VALU_DEP_2) | instskip(NEXT) | instid1(VALU_DEP_1)
	v_xor_b32_e32 v34, v3, v28
	v_sub_nc_u64_e32 v[28:29], v[34:35], v[28:29]
.LBB79_2913:
	s_or_b32 exec_lo, exec_lo, s17
	s_mov_b32 s17, 0
	s_branch .LBB79_2919
.LBB79_2914:
	s_mov_b32 s17, -1
                                        ; implicit-def: $vgpr28_vgpr29
	s_branch .LBB79_2925
.LBB79_2915:
	s_and_not1_saveexec_b32 s18, s18
	s_cbranch_execz .LBB79_2900
.LBB79_2916:
	v_cmp_ne_u16_e32 vcc_lo, 0, v1
	s_and_not1_b32 s19, s19, exec_lo
	s_and_b32 s20, vcc_lo, exec_lo
	s_delay_alu instid0(SALU_CYCLE_1)
	s_or_b32 s19, s19, s20
	s_or_b32 exec_lo, exec_lo, s18
	v_mov_b64_e32 v[28:29], 0
	s_and_saveexec_b32 s18, s19
	s_cbranch_execnz .LBB79_2901
	s_branch .LBB79_2902
.LBB79_2917:
	s_mov_b32 s17, -1
                                        ; implicit-def: $vgpr28_vgpr29
	s_branch .LBB79_2922
.LBB79_2918:
	s_mov_b32 s17, -1
                                        ; implicit-def: $vgpr28_vgpr29
.LBB79_2919:
	s_delay_alu instid0(SALU_CYCLE_1)
	s_and_b32 vcc_lo, exec_lo, s17
	s_cbranch_vccz .LBB79_2921
; %bb.2920:
	global_load_u8 v1, v[32:33], off
	s_wait_loadcnt 0x0
	v_lshlrev_b32_e32 v1, 24, v1
	s_delay_alu instid0(VALU_DEP_1) | instskip(NEXT) | instid1(VALU_DEP_1)
	v_and_b32_e32 v3, 0x7f000000, v1
	v_clz_i32_u32_e32 v5, v3
	v_add_nc_u32_e32 v11, 0x1000000, v3
	v_cmp_ne_u32_e32 vcc_lo, 0, v3
	s_delay_alu instid0(VALU_DEP_3) | instskip(NEXT) | instid1(VALU_DEP_1)
	v_min_u32_e32 v5, 32, v5
	v_sub_nc_u32_e64 v5, v5, 4 clamp
	s_delay_alu instid0(VALU_DEP_1) | instskip(NEXT) | instid1(VALU_DEP_1)
	v_dual_lshlrev_b32 v7, v5, v3 :: v_dual_lshlrev_b32 v5, 23, v5
	v_lshrrev_b32_e32 v7, 4, v7
	s_delay_alu instid0(VALU_DEP_1) | instskip(NEXT) | instid1(VALU_DEP_1)
	v_dual_sub_nc_u32 v5, v7, v5 :: v_dual_ashrrev_i32 v7, 8, v11
	v_add_nc_u32_e32 v5, 0x3c000000, v5
	s_delay_alu instid0(VALU_DEP_1) | instskip(NEXT) | instid1(VALU_DEP_1)
	v_and_or_b32 v5, 0x7f800000, v7, v5
	v_cndmask_b32_e32 v3, 0, v5, vcc_lo
	s_delay_alu instid0(VALU_DEP_1) | instskip(NEXT) | instid1(VALU_DEP_1)
	v_and_or_b32 v1, 0x80000000, v1, v3
	v_trunc_f32_e32 v1, v1
	s_delay_alu instid0(VALU_DEP_1) | instskip(SKIP_1) | instid1(VALU_DEP_2)
	v_mul_f32_e64 v3, 0x2f800000, |v1|
	v_ashrrev_i32_e32 v28, 31, v1
	v_floor_f32_e32 v3, v3
	s_delay_alu instid0(VALU_DEP_2) | instskip(NEXT) | instid1(VALU_DEP_2)
	v_mov_b32_e32 v29, v28
	v_fma_f32 v5, 0xcf800000, v3, |v1|
	v_cvt_u32_f32_e32 v1, v3
	s_delay_alu instid0(VALU_DEP_2) | instskip(NEXT) | instid1(VALU_DEP_2)
	v_cvt_u32_f32_e32 v3, v5
	v_xor_b32_e32 v35, v1, v28
	s_delay_alu instid0(VALU_DEP_2) | instskip(NEXT) | instid1(VALU_DEP_1)
	v_xor_b32_e32 v34, v3, v28
	v_sub_nc_u64_e32 v[28:29], v[34:35], v[28:29]
.LBB79_2921:
	s_mov_b32 s17, 0
.LBB79_2922:
	s_delay_alu instid0(SALU_CYCLE_1)
	s_and_not1_b32 vcc_lo, exec_lo, s17
	s_cbranch_vccnz .LBB79_2924
; %bb.2923:
	global_load_u8 v1, v[32:33], off
	s_wait_loadcnt 0x0
	v_lshlrev_b32_e32 v3, 25, v1
	v_lshlrev_b16 v1, 8, v1
	s_delay_alu instid0(VALU_DEP_1) | instskip(SKIP_1) | instid1(VALU_DEP_2)
	v_and_or_b32 v7, 0x7f00, v1, 0.5
	v_bfe_i32 v1, v1, 0, 16
	v_add_f32_e32 v7, -0.5, v7
	v_lshrrev_b32_e32 v5, 4, v3
	v_cmp_gt_u32_e32 vcc_lo, 0x8000000, v3
	s_delay_alu instid0(VALU_DEP_2) | instskip(NEXT) | instid1(VALU_DEP_1)
	v_or_b32_e32 v5, 0x70000000, v5
	v_mul_f32_e32 v5, 0x7800000, v5
	s_delay_alu instid0(VALU_DEP_1) | instskip(NEXT) | instid1(VALU_DEP_1)
	v_cndmask_b32_e32 v3, v5, v7, vcc_lo
	v_and_or_b32 v1, 0x80000000, v1, v3
	s_delay_alu instid0(VALU_DEP_1) | instskip(NEXT) | instid1(VALU_DEP_1)
	v_trunc_f32_e32 v1, v1
	v_mul_f32_e64 v3, 0x2f800000, |v1|
	v_ashrrev_i32_e32 v28, 31, v1
	s_delay_alu instid0(VALU_DEP_2) | instskip(NEXT) | instid1(VALU_DEP_2)
	v_floor_f32_e32 v3, v3
	v_mov_b32_e32 v29, v28
	s_delay_alu instid0(VALU_DEP_2) | instskip(SKIP_1) | instid1(VALU_DEP_2)
	v_fma_f32 v5, 0xcf800000, v3, |v1|
	v_cvt_u32_f32_e32 v1, v3
	v_cvt_u32_f32_e32 v3, v5
	s_delay_alu instid0(VALU_DEP_2) | instskip(NEXT) | instid1(VALU_DEP_2)
	v_xor_b32_e32 v35, v1, v28
	v_xor_b32_e32 v34, v3, v28
	s_delay_alu instid0(VALU_DEP_1)
	v_sub_nc_u64_e32 v[28:29], v[34:35], v[28:29]
.LBB79_2924:
	s_mov_b32 s17, 0
	s_mov_b32 s18, -1
.LBB79_2925:
	s_and_not1_b32 vcc_lo, exec_lo, s17
	s_mov_b32 s17, 0
	s_cbranch_vccnz .LBB79_2936
; %bb.2926:
	s_cmp_gt_i32 s10, 14
	s_cbranch_scc0 .LBB79_2929
; %bb.2927:
	s_cmp_eq_u32 s10, 15
	s_cbranch_scc0 .LBB79_2932
; %bb.2928:
	global_load_u16 v1, v[32:33], off
	s_mov_b32 s16, 0
	s_mov_b32 s18, -1
	s_wait_loadcnt 0x0
	v_lshlrev_b32_e32 v1, 16, v1
	s_delay_alu instid0(VALU_DEP_1) | instskip(NEXT) | instid1(VALU_DEP_1)
	v_trunc_f32_e32 v1, v1
	v_mul_f32_e64 v3, 0x2f800000, |v1|
	v_ashrrev_i32_e32 v28, 31, v1
	s_delay_alu instid0(VALU_DEP_2) | instskip(NEXT) | instid1(VALU_DEP_2)
	v_floor_f32_e32 v3, v3
	v_mov_b32_e32 v29, v28
	s_delay_alu instid0(VALU_DEP_2) | instskip(SKIP_1) | instid1(VALU_DEP_2)
	v_fma_f32 v5, 0xcf800000, v3, |v1|
	v_cvt_u32_f32_e32 v1, v3
	v_cvt_u32_f32_e32 v3, v5
	s_delay_alu instid0(VALU_DEP_2) | instskip(NEXT) | instid1(VALU_DEP_2)
	v_xor_b32_e32 v35, v1, v28
	v_xor_b32_e32 v34, v3, v28
	s_delay_alu instid0(VALU_DEP_1)
	v_sub_nc_u64_e32 v[28:29], v[34:35], v[28:29]
	s_branch .LBB79_2934
.LBB79_2929:
	s_mov_b32 s17, -1
	s_branch .LBB79_2933
.LBB79_2930:
	s_and_not1_saveexec_b32 s17, s17
	s_cbranch_execz .LBB79_2911
.LBB79_2931:
	v_cmp_ne_u16_e32 vcc_lo, 0, v1
	s_and_not1_b32 s18, s18, exec_lo
	s_and_b32 s19, vcc_lo, exec_lo
	s_delay_alu instid0(SALU_CYCLE_1)
	s_or_b32 s18, s18, s19
	s_or_b32 exec_lo, exec_lo, s17
	v_mov_b64_e32 v[28:29], 0
	s_and_saveexec_b32 s17, s18
	s_cbranch_execnz .LBB79_2912
	s_branch .LBB79_2913
.LBB79_2932:
	s_mov_b32 s16, -1
.LBB79_2933:
                                        ; implicit-def: $vgpr28_vgpr29
.LBB79_2934:
	s_and_b32 vcc_lo, exec_lo, s17
	s_mov_b32 s17, 0
	s_cbranch_vccz .LBB79_2936
; %bb.2935:
	s_cmp_lg_u32 s10, 11
	s_mov_b32 s17, -1
	s_cselect_b32 s16, -1, 0
.LBB79_2936:
	s_delay_alu instid0(SALU_CYCLE_1)
	s_and_b32 vcc_lo, exec_lo, s16
	s_cbranch_vccnz .LBB79_3001
; %bb.2937:
	s_and_not1_b32 vcc_lo, exec_lo, s17
	s_cbranch_vccnz .LBB79_2939
.LBB79_2938:
	global_load_u8 v1, v[32:33], off
	s_mov_b32 s16, 0
	s_mov_b32 s18, -1
	s_wait_loadcnt 0x1
	v_mov_b32_e32 v29, s16
	s_wait_loadcnt 0x0
	v_cmp_ne_u16_e32 vcc_lo, 0, v1
	v_cndmask_b32_e64 v28, 0, 1, vcc_lo
.LBB79_2939:
	s_mov_b32 s16, 0
.LBB79_2940:
	s_delay_alu instid0(SALU_CYCLE_1)
	s_and_b32 vcc_lo, exec_lo, s16
	s_cbranch_vccz .LBB79_2989
; %bb.2941:
	s_cmp_lt_i32 s10, 5
	s_cbranch_scc1 .LBB79_2946
; %bb.2942:
	s_cmp_lt_i32 s10, 8
	s_cbranch_scc1 .LBB79_2947
	;; [unrolled: 3-line block ×3, first 2 shown]
; %bb.2944:
	s_cmp_gt_i32 s10, 9
	s_cbranch_scc0 .LBB79_2949
; %bb.2945:
	s_wait_loadcnt 0x0
	global_load_b64 v[28:29], v[32:33], off
	s_mov_b32 s16, 0
	s_wait_loadcnt 0x0
	v_trunc_f64_e32 v[28:29], v[28:29]
	s_delay_alu instid0(VALU_DEP_1) | instskip(NEXT) | instid1(VALU_DEP_1)
	v_ldexp_f64 v[34:35], v[28:29], 0xffffffe0
	v_floor_f64_e32 v[34:35], v[34:35]
	s_delay_alu instid0(VALU_DEP_1) | instskip(SKIP_1) | instid1(VALU_DEP_2)
	v_fmamk_f64 v[36:37], v[34:35], 0xc1f00000, v[28:29]
	v_cvt_i32_f64_e32 v29, v[34:35]
	v_cvt_u32_f64_e32 v28, v[36:37]
	s_branch .LBB79_2950
.LBB79_2946:
	s_mov_b32 s16, -1
                                        ; implicit-def: $vgpr28_vgpr29
	s_branch .LBB79_2968
.LBB79_2947:
	s_mov_b32 s16, -1
                                        ; implicit-def: $vgpr28_vgpr29
	s_branch .LBB79_2956
.LBB79_2948:
	s_mov_b32 s16, -1
                                        ; implicit-def: $vgpr28_vgpr29
	s_branch .LBB79_2953
.LBB79_2949:
	s_mov_b32 s16, -1
                                        ; implicit-def: $vgpr28_vgpr29
.LBB79_2950:
	s_delay_alu instid0(SALU_CYCLE_1)
	s_and_not1_b32 vcc_lo, exec_lo, s16
	s_cbranch_vccnz .LBB79_2952
; %bb.2951:
	global_load_b32 v1, v[32:33], off
	s_wait_loadcnt 0x0
	v_trunc_f32_e32 v1, v1
	s_delay_alu instid0(VALU_DEP_1) | instskip(SKIP_1) | instid1(VALU_DEP_2)
	v_mul_f32_e64 v3, 0x2f800000, |v1|
	v_ashrrev_i32_e32 v28, 31, v1
	v_floor_f32_e32 v3, v3
	s_delay_alu instid0(VALU_DEP_1) | instskip(SKIP_1) | instid1(VALU_DEP_4)
	v_fma_f32 v5, 0xcf800000, v3, |v1|
	v_cvt_u32_f32_e32 v1, v3
	v_mov_b32_e32 v29, v28
	s_delay_alu instid0(VALU_DEP_3) | instskip(NEXT) | instid1(VALU_DEP_3)
	v_cvt_u32_f32_e32 v3, v5
	v_xor_b32_e32 v35, v1, v28
	s_delay_alu instid0(VALU_DEP_2) | instskip(NEXT) | instid1(VALU_DEP_1)
	v_xor_b32_e32 v34, v3, v28
	v_sub_nc_u64_e32 v[28:29], v[34:35], v[28:29]
.LBB79_2952:
	s_mov_b32 s16, 0
.LBB79_2953:
	s_delay_alu instid0(SALU_CYCLE_1)
	s_and_not1_b32 vcc_lo, exec_lo, s16
	s_cbranch_vccnz .LBB79_2955
; %bb.2954:
	global_load_b32 v1, v[32:33], off
	s_wait_loadcnt 0x0
	v_cvt_f32_f16_e32 v1, v1
	s_delay_alu instid0(VALU_DEP_1) | instskip(NEXT) | instid1(VALU_DEP_1)
	v_cvt_i32_f32_e32 v28, v1
	v_ashrrev_i32_e32 v29, 31, v28
.LBB79_2955:
	s_mov_b32 s16, 0
.LBB79_2956:
	s_delay_alu instid0(SALU_CYCLE_1)
	s_and_not1_b32 vcc_lo, exec_lo, s16
	s_cbranch_vccnz .LBB79_2967
; %bb.2957:
	s_cmp_lt_i32 s10, 6
	s_cbranch_scc1 .LBB79_2960
; %bb.2958:
	s_cmp_gt_i32 s10, 6
	s_cbranch_scc0 .LBB79_2961
; %bb.2959:
	s_wait_loadcnt 0x0
	global_load_b64 v[28:29], v[32:33], off
	s_mov_b32 s16, 0
	s_wait_loadcnt 0x0
	v_trunc_f64_e32 v[28:29], v[28:29]
	s_delay_alu instid0(VALU_DEP_1) | instskip(NEXT) | instid1(VALU_DEP_1)
	v_ldexp_f64 v[34:35], v[28:29], 0xffffffe0
	v_floor_f64_e32 v[34:35], v[34:35]
	s_delay_alu instid0(VALU_DEP_1) | instskip(SKIP_1) | instid1(VALU_DEP_2)
	v_fmamk_f64 v[36:37], v[34:35], 0xc1f00000, v[28:29]
	v_cvt_i32_f64_e32 v29, v[34:35]
	v_cvt_u32_f64_e32 v28, v[36:37]
	s_branch .LBB79_2962
.LBB79_2960:
	s_mov_b32 s16, -1
                                        ; implicit-def: $vgpr28_vgpr29
	s_branch .LBB79_2965
.LBB79_2961:
	s_mov_b32 s16, -1
                                        ; implicit-def: $vgpr28_vgpr29
.LBB79_2962:
	s_delay_alu instid0(SALU_CYCLE_1)
	s_and_not1_b32 vcc_lo, exec_lo, s16
	s_cbranch_vccnz .LBB79_2964
; %bb.2963:
	global_load_b32 v1, v[32:33], off
	s_wait_loadcnt 0x0
	v_trunc_f32_e32 v1, v1
	s_delay_alu instid0(VALU_DEP_1) | instskip(SKIP_1) | instid1(VALU_DEP_2)
	v_mul_f32_e64 v3, 0x2f800000, |v1|
	v_ashrrev_i32_e32 v28, 31, v1
	v_floor_f32_e32 v3, v3
	s_delay_alu instid0(VALU_DEP_1) | instskip(SKIP_1) | instid1(VALU_DEP_4)
	v_fma_f32 v5, 0xcf800000, v3, |v1|
	v_cvt_u32_f32_e32 v1, v3
	v_mov_b32_e32 v29, v28
	s_delay_alu instid0(VALU_DEP_3) | instskip(NEXT) | instid1(VALU_DEP_3)
	v_cvt_u32_f32_e32 v3, v5
	v_xor_b32_e32 v35, v1, v28
	s_delay_alu instid0(VALU_DEP_2) | instskip(NEXT) | instid1(VALU_DEP_1)
	v_xor_b32_e32 v34, v3, v28
	v_sub_nc_u64_e32 v[28:29], v[34:35], v[28:29]
.LBB79_2964:
	s_mov_b32 s16, 0
.LBB79_2965:
	s_delay_alu instid0(SALU_CYCLE_1)
	s_and_not1_b32 vcc_lo, exec_lo, s16
	s_cbranch_vccnz .LBB79_2967
; %bb.2966:
	global_load_u16 v1, v[32:33], off
	s_wait_loadcnt 0x0
	v_cvt_f32_f16_e32 v1, v1
	s_delay_alu instid0(VALU_DEP_1) | instskip(NEXT) | instid1(VALU_DEP_1)
	v_cvt_i32_f32_e32 v28, v1
	v_ashrrev_i32_e32 v29, 31, v28
.LBB79_2967:
	s_mov_b32 s16, 0
.LBB79_2968:
	s_delay_alu instid0(SALU_CYCLE_1)
	s_and_not1_b32 vcc_lo, exec_lo, s16
	s_cbranch_vccnz .LBB79_2988
; %bb.2969:
	s_cmp_lt_i32 s10, 2
	s_cbranch_scc1 .LBB79_2973
; %bb.2970:
	s_cmp_lt_i32 s10, 3
	s_cbranch_scc1 .LBB79_2974
; %bb.2971:
	s_cmp_gt_i32 s10, 3
	s_cbranch_scc0 .LBB79_2975
; %bb.2972:
	s_wait_loadcnt 0x0
	global_load_b64 v[28:29], v[32:33], off
	s_mov_b32 s16, 0
	s_branch .LBB79_2976
.LBB79_2973:
	s_mov_b32 s16, -1
                                        ; implicit-def: $vgpr28_vgpr29
	s_branch .LBB79_2982
.LBB79_2974:
	s_mov_b32 s16, -1
                                        ; implicit-def: $vgpr28_vgpr29
	s_branch .LBB79_2979
.LBB79_2975:
	s_mov_b32 s16, -1
                                        ; implicit-def: $vgpr28_vgpr29
.LBB79_2976:
	s_delay_alu instid0(SALU_CYCLE_1)
	s_and_not1_b32 vcc_lo, exec_lo, s16
	s_cbranch_vccnz .LBB79_2978
; %bb.2977:
	s_wait_loadcnt 0x0
	global_load_b32 v28, v[32:33], off
	s_wait_loadcnt 0x0
	v_ashrrev_i32_e32 v29, 31, v28
.LBB79_2978:
	s_mov_b32 s16, 0
.LBB79_2979:
	s_delay_alu instid0(SALU_CYCLE_1)
	s_and_not1_b32 vcc_lo, exec_lo, s16
	s_cbranch_vccnz .LBB79_2981
; %bb.2980:
	global_load_u16 v1, v[32:33], off
	s_wait_loadcnt 0x0
	v_bfe_i32 v28, v1, 0, 16
	s_delay_alu instid0(VALU_DEP_1)
	v_ashrrev_i32_e32 v29, 31, v28
.LBB79_2981:
	s_mov_b32 s16, 0
.LBB79_2982:
	s_delay_alu instid0(SALU_CYCLE_1)
	s_and_not1_b32 vcc_lo, exec_lo, s16
	s_cbranch_vccnz .LBB79_2988
; %bb.2983:
	s_cmp_gt_i32 s10, 0
	s_mov_b32 s16, 0
	s_cbranch_scc0 .LBB79_2985
; %bb.2984:
	global_load_i8 v1, v[32:33], off
	s_wait_loadcnt 0x0
	v_bfe_i32 v28, v1, 0, 16
	s_delay_alu instid0(VALU_DEP_1)
	v_ashrrev_i32_e32 v29, 31, v28
	s_branch .LBB79_2986
.LBB79_2985:
	s_mov_b32 s16, -1
                                        ; implicit-def: $vgpr28_vgpr29
.LBB79_2986:
	s_delay_alu instid0(SALU_CYCLE_1)
	s_and_not1_b32 vcc_lo, exec_lo, s16
	s_cbranch_vccnz .LBB79_2988
; %bb.2987:
	global_load_u8 v1, v[32:33], off
	s_mov_b32 s16, 0
	s_wait_loadcnt 0x1
	v_mov_b32_e32 v29, s16
	s_wait_loadcnt 0x0
	v_and_b32_e32 v28, 0xffff, v1
.LBB79_2988:
	s_mov_b32 s18, -1
.LBB79_2989:
	s_delay_alu instid0(SALU_CYCLE_1)
	s_and_not1_b32 vcc_lo, exec_lo, s18
	s_cbranch_vccnz .LBB79_4058
; %bb.2990:
	v_mov_b32_e32 v31, 0
	s_cmp_lt_i32 s11, 11
	s_wait_xcnt 0x0
	s_delay_alu instid0(VALU_DEP_1)
	v_add_nc_u64_e32 v[32:33], s[0:1], v[30:31]
	s_cbranch_scc1 .LBB79_2997
; %bb.2991:
	s_cmp_gt_i32 s11, 25
	s_mov_b32 s17, 0
	s_cbranch_scc0 .LBB79_2998
; %bb.2992:
	s_cmp_gt_i32 s11, 28
	s_cbranch_scc0 .LBB79_2999
; %bb.2993:
	s_cmp_gt_i32 s11, 43
	;; [unrolled: 3-line block ×3, first 2 shown]
	s_cbranch_scc0 .LBB79_3002
; %bb.2995:
	s_cmp_eq_u32 s11, 46
	s_mov_b32 s19, 0
	s_cbranch_scc0 .LBB79_3003
; %bb.2996:
	global_load_b32 v1, v[32:33], off
	s_mov_b32 s16, 0
	s_mov_b32 s18, -1
	s_wait_loadcnt 0x0
	v_lshlrev_b32_e32 v1, 16, v1
	s_delay_alu instid0(VALU_DEP_1) | instskip(NEXT) | instid1(VALU_DEP_1)
	v_trunc_f32_e32 v1, v1
	v_mul_f32_e64 v3, 0x2f800000, |v1|
	v_ashrrev_i32_e32 v30, 31, v1
	s_delay_alu instid0(VALU_DEP_2) | instskip(NEXT) | instid1(VALU_DEP_2)
	v_floor_f32_e32 v3, v3
	v_mov_b32_e32 v31, v30
	s_delay_alu instid0(VALU_DEP_2) | instskip(SKIP_1) | instid1(VALU_DEP_2)
	v_fma_f32 v5, 0xcf800000, v3, |v1|
	v_cvt_u32_f32_e32 v1, v3
	v_cvt_u32_f32_e32 v3, v5
	s_delay_alu instid0(VALU_DEP_2) | instskip(NEXT) | instid1(VALU_DEP_2)
	v_xor_b32_e32 v35, v1, v30
	v_xor_b32_e32 v34, v3, v30
	s_delay_alu instid0(VALU_DEP_1)
	v_sub_nc_u64_e32 v[30:31], v[34:35], v[30:31]
	s_branch .LBB79_3005
.LBB79_2997:
	s_mov_b32 s16, -1
	s_mov_b32 s18, 0
                                        ; implicit-def: $vgpr30_vgpr31
	s_branch .LBB79_3067
.LBB79_2998:
	s_mov_b32 s19, -1
	s_mov_b32 s18, 0
	s_mov_b32 s16, 0
                                        ; implicit-def: $vgpr30_vgpr31
	s_branch .LBB79_3032
.LBB79_2999:
	s_mov_b32 s19, -1
	s_mov_b32 s18, 0
	s_mov_b32 s16, 0
                                        ; implicit-def: $vgpr30_vgpr31
	s_branch .LBB79_3015
.LBB79_3000:
	s_mov_b32 s19, -1
	s_mov_b32 s18, 0
	s_mov_b32 s16, 0
                                        ; implicit-def: $vgpr30_vgpr31
	s_branch .LBB79_3010
.LBB79_3001:
	s_or_b32 s14, s14, exec_lo
	s_trap 2
	s_cbranch_execz .LBB79_2938
	s_branch .LBB79_2939
.LBB79_3002:
	s_mov_b32 s19, -1
	s_mov_b32 s18, 0
	s_mov_b32 s16, 0
	s_branch .LBB79_3004
.LBB79_3003:
	s_mov_b32 s16, -1
	s_mov_b32 s18, 0
.LBB79_3004:
                                        ; implicit-def: $vgpr30_vgpr31
.LBB79_3005:
	s_and_b32 vcc_lo, exec_lo, s19
	s_cbranch_vccz .LBB79_3009
; %bb.3006:
	s_cmp_eq_u32 s11, 44
	s_cbranch_scc0 .LBB79_3008
; %bb.3007:
	global_load_u8 v1, v[32:33], off
	s_mov_b32 s16, 0
	s_mov_b32 s18, -1
	s_wait_loadcnt 0x0
	v_lshlrev_b32_e32 v3, 23, v1
	v_cmp_ne_u32_e32 vcc_lo, 0, v1
	s_delay_alu instid0(VALU_DEP_2) | instskip(NEXT) | instid1(VALU_DEP_1)
	v_trunc_f32_e32 v3, v3
	v_mul_f32_e64 v5, 0x2f800000, |v3|
	v_ashrrev_i32_e32 v30, 31, v3
	s_delay_alu instid0(VALU_DEP_2) | instskip(NEXT) | instid1(VALU_DEP_2)
	v_floor_f32_e32 v5, v5
	v_mov_b32_e32 v31, v30
	s_delay_alu instid0(VALU_DEP_2) | instskip(SKIP_1) | instid1(VALU_DEP_2)
	v_fma_f32 v7, 0xcf800000, v5, |v3|
	v_cvt_u32_f32_e32 v3, v5
	v_cvt_u32_f32_e32 v5, v7
	s_delay_alu instid0(VALU_DEP_2) | instskip(NEXT) | instid1(VALU_DEP_2)
	v_xor_b32_e32 v35, v3, v30
	v_xor_b32_e32 v34, v5, v30
	s_delay_alu instid0(VALU_DEP_1) | instskip(NEXT) | instid1(VALU_DEP_1)
	v_sub_nc_u64_e32 v[30:31], v[34:35], v[30:31]
	v_dual_cndmask_b32 v31, 0, v31 :: v_dual_cndmask_b32 v30, 0, v30
	s_branch .LBB79_3009
.LBB79_3008:
	s_mov_b32 s16, -1
                                        ; implicit-def: $vgpr30_vgpr31
.LBB79_3009:
	s_mov_b32 s19, 0
.LBB79_3010:
	s_delay_alu instid0(SALU_CYCLE_1)
	s_and_b32 vcc_lo, exec_lo, s19
	s_cbranch_vccz .LBB79_3014
; %bb.3011:
	s_cmp_eq_u32 s11, 29
	s_cbranch_scc0 .LBB79_3013
; %bb.3012:
	global_load_b64 v[30:31], v[32:33], off
	s_mov_b32 s16, 0
	s_mov_b32 s18, -1
	s_branch .LBB79_3014
.LBB79_3013:
	s_mov_b32 s16, -1
                                        ; implicit-def: $vgpr30_vgpr31
.LBB79_3014:
	s_mov_b32 s19, 0
.LBB79_3015:
	s_delay_alu instid0(SALU_CYCLE_1)
	s_and_b32 vcc_lo, exec_lo, s19
	s_cbranch_vccz .LBB79_3031
; %bb.3016:
	s_cmp_lt_i32 s11, 27
	s_cbranch_scc1 .LBB79_3019
; %bb.3017:
	s_cmp_gt_i32 s11, 27
	s_cbranch_scc0 .LBB79_3020
; %bb.3018:
	s_wait_loadcnt 0x0
	global_load_b32 v30, v[32:33], off
	v_mov_b32_e32 v31, 0
	s_mov_b32 s18, 0
	s_branch .LBB79_3021
.LBB79_3019:
	s_mov_b32 s18, -1
                                        ; implicit-def: $vgpr30_vgpr31
	s_branch .LBB79_3024
.LBB79_3020:
	s_mov_b32 s18, -1
                                        ; implicit-def: $vgpr30_vgpr31
.LBB79_3021:
	s_delay_alu instid0(SALU_CYCLE_1)
	s_and_not1_b32 vcc_lo, exec_lo, s18
	s_cbranch_vccnz .LBB79_3023
; %bb.3022:
	global_load_u16 v1, v[32:33], off
	s_mov_b32 s18, 0
	s_wait_loadcnt 0x1
	v_mov_b32_e32 v31, s18
	s_wait_loadcnt 0x0
	v_and_b32_e32 v30, 0xffff, v1
.LBB79_3023:
	s_mov_b32 s18, 0
.LBB79_3024:
	s_delay_alu instid0(SALU_CYCLE_1)
	s_and_not1_b32 vcc_lo, exec_lo, s18
	s_cbranch_vccnz .LBB79_3030
; %bb.3025:
	global_load_u8 v1, v[32:33], off
	s_mov_b32 s19, 0
	s_mov_b32 s18, exec_lo
	s_wait_loadcnt 0x0
	v_cmpx_lt_i16_e32 0x7f, v1
	s_xor_b32 s18, exec_lo, s18
	s_cbranch_execz .LBB79_3042
; %bb.3026:
	v_cmp_ne_u16_e32 vcc_lo, 0x80, v1
	s_and_b32 s19, vcc_lo, exec_lo
	s_and_not1_saveexec_b32 s18, s18
	s_cbranch_execnz .LBB79_3043
.LBB79_3027:
	s_or_b32 exec_lo, exec_lo, s18
	v_mov_b64_e32 v[30:31], 0
	s_and_saveexec_b32 s18, s19
	s_cbranch_execz .LBB79_3029
.LBB79_3028:
	v_and_b32_e32 v3, 0xffff, v1
	s_delay_alu instid0(VALU_DEP_1) | instskip(SKIP_1) | instid1(VALU_DEP_2)
	v_dual_lshlrev_b32 v1, 24, v1 :: v_dual_bitop2_b32 v5, 7, v3 bitop3:0x40
	v_bfe_u32 v15, v3, 3, 4
	v_and_b32_e32 v1, 0x80000000, v1
	s_delay_alu instid0(VALU_DEP_3) | instskip(NEXT) | instid1(VALU_DEP_3)
	v_clz_i32_u32_e32 v7, v5
	v_cmp_eq_u32_e32 vcc_lo, 0, v15
	s_delay_alu instid0(VALU_DEP_2) | instskip(NEXT) | instid1(VALU_DEP_1)
	v_min_u32_e32 v7, 32, v7
	v_subrev_nc_u32_e32 v11, 28, v7
	v_sub_nc_u32_e32 v7, 29, v7
	s_delay_alu instid0(VALU_DEP_2) | instskip(NEXT) | instid1(VALU_DEP_2)
	v_lshlrev_b32_e32 v3, v11, v3
	v_cndmask_b32_e32 v7, v15, v7, vcc_lo
	s_delay_alu instid0(VALU_DEP_2) | instskip(NEXT) | instid1(VALU_DEP_1)
	v_and_b32_e32 v3, 7, v3
	v_cndmask_b32_e32 v3, v5, v3, vcc_lo
	s_delay_alu instid0(VALU_DEP_3) | instskip(NEXT) | instid1(VALU_DEP_2)
	v_lshl_add_u32 v5, v7, 23, 0x3b800000
	v_lshlrev_b32_e32 v3, 20, v3
	s_delay_alu instid0(VALU_DEP_1) | instskip(NEXT) | instid1(VALU_DEP_1)
	v_or3_b32 v1, v1, v5, v3
	v_trunc_f32_e32 v1, v1
	s_delay_alu instid0(VALU_DEP_1) | instskip(SKIP_1) | instid1(VALU_DEP_2)
	v_mul_f32_e64 v3, 0x2f800000, |v1|
	v_ashrrev_i32_e32 v30, 31, v1
	v_floor_f32_e32 v3, v3
	s_delay_alu instid0(VALU_DEP_2) | instskip(NEXT) | instid1(VALU_DEP_2)
	v_mov_b32_e32 v31, v30
	v_fma_f32 v5, 0xcf800000, v3, |v1|
	v_cvt_u32_f32_e32 v1, v3
	s_delay_alu instid0(VALU_DEP_2) | instskip(NEXT) | instid1(VALU_DEP_2)
	v_cvt_u32_f32_e32 v3, v5
	v_xor_b32_e32 v35, v1, v30
	s_delay_alu instid0(VALU_DEP_2) | instskip(NEXT) | instid1(VALU_DEP_1)
	v_xor_b32_e32 v34, v3, v30
	v_sub_nc_u64_e32 v[30:31], v[34:35], v[30:31]
.LBB79_3029:
	s_or_b32 exec_lo, exec_lo, s18
.LBB79_3030:
	s_mov_b32 s18, -1
.LBB79_3031:
	s_mov_b32 s19, 0
.LBB79_3032:
	s_delay_alu instid0(SALU_CYCLE_1)
	s_and_b32 vcc_lo, exec_lo, s19
	s_cbranch_vccz .LBB79_3063
; %bb.3033:
	s_cmp_gt_i32 s11, 22
	s_cbranch_scc0 .LBB79_3041
; %bb.3034:
	s_cmp_lt_i32 s11, 24
	s_cbranch_scc1 .LBB79_3044
; %bb.3035:
	s_cmp_gt_i32 s11, 24
	s_cbranch_scc0 .LBB79_3045
; %bb.3036:
	global_load_u8 v1, v[32:33], off
	s_mov_b32 s18, 0
	s_mov_b32 s17, exec_lo
	s_wait_loadcnt 0x0
	v_cmpx_lt_i16_e32 0x7f, v1
	s_xor_b32 s17, exec_lo, s17
	s_cbranch_execz .LBB79_3057
; %bb.3037:
	v_cmp_ne_u16_e32 vcc_lo, 0x80, v1
	s_and_b32 s18, vcc_lo, exec_lo
	s_and_not1_saveexec_b32 s17, s17
	s_cbranch_execnz .LBB79_3058
.LBB79_3038:
	s_or_b32 exec_lo, exec_lo, s17
	v_mov_b64_e32 v[30:31], 0
	s_and_saveexec_b32 s17, s18
	s_cbranch_execz .LBB79_3040
.LBB79_3039:
	v_and_b32_e32 v3, 0xffff, v1
	s_delay_alu instid0(VALU_DEP_1) | instskip(SKIP_1) | instid1(VALU_DEP_2)
	v_dual_lshlrev_b32 v1, 24, v1 :: v_dual_bitop2_b32 v5, 3, v3 bitop3:0x40
	v_bfe_u32 v15, v3, 2, 5
	v_and_b32_e32 v1, 0x80000000, v1
	s_delay_alu instid0(VALU_DEP_3) | instskip(NEXT) | instid1(VALU_DEP_3)
	v_clz_i32_u32_e32 v7, v5
	v_cmp_eq_u32_e32 vcc_lo, 0, v15
	s_delay_alu instid0(VALU_DEP_2) | instskip(NEXT) | instid1(VALU_DEP_1)
	v_min_u32_e32 v7, 32, v7
	v_subrev_nc_u32_e32 v11, 29, v7
	v_sub_nc_u32_e32 v7, 30, v7
	s_delay_alu instid0(VALU_DEP_2) | instskip(NEXT) | instid1(VALU_DEP_2)
	v_lshlrev_b32_e32 v3, v11, v3
	v_cndmask_b32_e32 v7, v15, v7, vcc_lo
	s_delay_alu instid0(VALU_DEP_2) | instskip(NEXT) | instid1(VALU_DEP_1)
	v_and_b32_e32 v3, 3, v3
	v_cndmask_b32_e32 v3, v5, v3, vcc_lo
	s_delay_alu instid0(VALU_DEP_3) | instskip(NEXT) | instid1(VALU_DEP_2)
	v_lshl_add_u32 v5, v7, 23, 0x37800000
	v_lshlrev_b32_e32 v3, 21, v3
	s_delay_alu instid0(VALU_DEP_1) | instskip(NEXT) | instid1(VALU_DEP_1)
	v_or3_b32 v1, v1, v5, v3
	v_trunc_f32_e32 v1, v1
	s_delay_alu instid0(VALU_DEP_1) | instskip(SKIP_1) | instid1(VALU_DEP_2)
	v_mul_f32_e64 v3, 0x2f800000, |v1|
	v_ashrrev_i32_e32 v30, 31, v1
	v_floor_f32_e32 v3, v3
	s_delay_alu instid0(VALU_DEP_2) | instskip(NEXT) | instid1(VALU_DEP_2)
	v_mov_b32_e32 v31, v30
	v_fma_f32 v5, 0xcf800000, v3, |v1|
	v_cvt_u32_f32_e32 v1, v3
	s_delay_alu instid0(VALU_DEP_2) | instskip(NEXT) | instid1(VALU_DEP_2)
	v_cvt_u32_f32_e32 v3, v5
	v_xor_b32_e32 v35, v1, v30
	s_delay_alu instid0(VALU_DEP_2) | instskip(NEXT) | instid1(VALU_DEP_1)
	v_xor_b32_e32 v34, v3, v30
	v_sub_nc_u64_e32 v[30:31], v[34:35], v[30:31]
.LBB79_3040:
	s_or_b32 exec_lo, exec_lo, s17
	s_mov_b32 s17, 0
	s_branch .LBB79_3046
.LBB79_3041:
	s_mov_b32 s17, -1
                                        ; implicit-def: $vgpr30_vgpr31
	s_branch .LBB79_3052
.LBB79_3042:
	s_and_not1_saveexec_b32 s18, s18
	s_cbranch_execz .LBB79_3027
.LBB79_3043:
	v_cmp_ne_u16_e32 vcc_lo, 0, v1
	s_and_not1_b32 s19, s19, exec_lo
	s_and_b32 s20, vcc_lo, exec_lo
	s_delay_alu instid0(SALU_CYCLE_1)
	s_or_b32 s19, s19, s20
	s_or_b32 exec_lo, exec_lo, s18
	v_mov_b64_e32 v[30:31], 0
	s_and_saveexec_b32 s18, s19
	s_cbranch_execnz .LBB79_3028
	s_branch .LBB79_3029
.LBB79_3044:
	s_mov_b32 s17, -1
                                        ; implicit-def: $vgpr30_vgpr31
	s_branch .LBB79_3049
.LBB79_3045:
	s_mov_b32 s17, -1
                                        ; implicit-def: $vgpr30_vgpr31
.LBB79_3046:
	s_delay_alu instid0(SALU_CYCLE_1)
	s_and_b32 vcc_lo, exec_lo, s17
	s_cbranch_vccz .LBB79_3048
; %bb.3047:
	global_load_u8 v1, v[32:33], off
	s_wait_loadcnt 0x0
	v_lshlrev_b32_e32 v1, 24, v1
	s_delay_alu instid0(VALU_DEP_1) | instskip(NEXT) | instid1(VALU_DEP_1)
	v_and_b32_e32 v3, 0x7f000000, v1
	v_clz_i32_u32_e32 v5, v3
	v_add_nc_u32_e32 v11, 0x1000000, v3
	v_cmp_ne_u32_e32 vcc_lo, 0, v3
	s_delay_alu instid0(VALU_DEP_3) | instskip(NEXT) | instid1(VALU_DEP_1)
	v_min_u32_e32 v5, 32, v5
	v_sub_nc_u32_e64 v5, v5, 4 clamp
	s_delay_alu instid0(VALU_DEP_1) | instskip(NEXT) | instid1(VALU_DEP_1)
	v_dual_lshlrev_b32 v7, v5, v3 :: v_dual_lshlrev_b32 v5, 23, v5
	v_lshrrev_b32_e32 v7, 4, v7
	s_delay_alu instid0(VALU_DEP_1) | instskip(NEXT) | instid1(VALU_DEP_1)
	v_dual_sub_nc_u32 v5, v7, v5 :: v_dual_ashrrev_i32 v7, 8, v11
	v_add_nc_u32_e32 v5, 0x3c000000, v5
	s_delay_alu instid0(VALU_DEP_1) | instskip(NEXT) | instid1(VALU_DEP_1)
	v_and_or_b32 v5, 0x7f800000, v7, v5
	v_cndmask_b32_e32 v3, 0, v5, vcc_lo
	s_delay_alu instid0(VALU_DEP_1) | instskip(NEXT) | instid1(VALU_DEP_1)
	v_and_or_b32 v1, 0x80000000, v1, v3
	v_trunc_f32_e32 v1, v1
	s_delay_alu instid0(VALU_DEP_1) | instskip(SKIP_1) | instid1(VALU_DEP_2)
	v_mul_f32_e64 v3, 0x2f800000, |v1|
	v_ashrrev_i32_e32 v30, 31, v1
	v_floor_f32_e32 v3, v3
	s_delay_alu instid0(VALU_DEP_2) | instskip(NEXT) | instid1(VALU_DEP_2)
	v_mov_b32_e32 v31, v30
	v_fma_f32 v5, 0xcf800000, v3, |v1|
	v_cvt_u32_f32_e32 v1, v3
	s_delay_alu instid0(VALU_DEP_2) | instskip(NEXT) | instid1(VALU_DEP_2)
	v_cvt_u32_f32_e32 v3, v5
	v_xor_b32_e32 v35, v1, v30
	s_delay_alu instid0(VALU_DEP_2) | instskip(NEXT) | instid1(VALU_DEP_1)
	v_xor_b32_e32 v34, v3, v30
	v_sub_nc_u64_e32 v[30:31], v[34:35], v[30:31]
.LBB79_3048:
	s_mov_b32 s17, 0
.LBB79_3049:
	s_delay_alu instid0(SALU_CYCLE_1)
	s_and_not1_b32 vcc_lo, exec_lo, s17
	s_cbranch_vccnz .LBB79_3051
; %bb.3050:
	global_load_u8 v1, v[32:33], off
	s_wait_loadcnt 0x0
	v_lshlrev_b32_e32 v3, 25, v1
	v_lshlrev_b16 v1, 8, v1
	s_delay_alu instid0(VALU_DEP_1) | instskip(SKIP_1) | instid1(VALU_DEP_2)
	v_and_or_b32 v7, 0x7f00, v1, 0.5
	v_bfe_i32 v1, v1, 0, 16
	v_add_f32_e32 v7, -0.5, v7
	v_lshrrev_b32_e32 v5, 4, v3
	v_cmp_gt_u32_e32 vcc_lo, 0x8000000, v3
	s_delay_alu instid0(VALU_DEP_2) | instskip(NEXT) | instid1(VALU_DEP_1)
	v_or_b32_e32 v5, 0x70000000, v5
	v_mul_f32_e32 v5, 0x7800000, v5
	s_delay_alu instid0(VALU_DEP_1) | instskip(NEXT) | instid1(VALU_DEP_1)
	v_cndmask_b32_e32 v3, v5, v7, vcc_lo
	v_and_or_b32 v1, 0x80000000, v1, v3
	s_delay_alu instid0(VALU_DEP_1) | instskip(NEXT) | instid1(VALU_DEP_1)
	v_trunc_f32_e32 v1, v1
	v_mul_f32_e64 v3, 0x2f800000, |v1|
	v_ashrrev_i32_e32 v30, 31, v1
	s_delay_alu instid0(VALU_DEP_2) | instskip(NEXT) | instid1(VALU_DEP_2)
	v_floor_f32_e32 v3, v3
	v_mov_b32_e32 v31, v30
	s_delay_alu instid0(VALU_DEP_2) | instskip(SKIP_1) | instid1(VALU_DEP_2)
	v_fma_f32 v5, 0xcf800000, v3, |v1|
	v_cvt_u32_f32_e32 v1, v3
	v_cvt_u32_f32_e32 v3, v5
	s_delay_alu instid0(VALU_DEP_2) | instskip(NEXT) | instid1(VALU_DEP_2)
	v_xor_b32_e32 v35, v1, v30
	v_xor_b32_e32 v34, v3, v30
	s_delay_alu instid0(VALU_DEP_1)
	v_sub_nc_u64_e32 v[30:31], v[34:35], v[30:31]
.LBB79_3051:
	s_mov_b32 s17, 0
	s_mov_b32 s18, -1
.LBB79_3052:
	s_and_not1_b32 vcc_lo, exec_lo, s17
	s_mov_b32 s17, 0
	s_cbranch_vccnz .LBB79_3063
; %bb.3053:
	s_cmp_gt_i32 s11, 14
	s_cbranch_scc0 .LBB79_3056
; %bb.3054:
	s_cmp_eq_u32 s11, 15
	s_cbranch_scc0 .LBB79_3059
; %bb.3055:
	global_load_u16 v1, v[32:33], off
	s_mov_b32 s16, 0
	s_mov_b32 s18, -1
	s_wait_loadcnt 0x0
	v_lshlrev_b32_e32 v1, 16, v1
	s_delay_alu instid0(VALU_DEP_1) | instskip(NEXT) | instid1(VALU_DEP_1)
	v_trunc_f32_e32 v1, v1
	v_mul_f32_e64 v3, 0x2f800000, |v1|
	v_ashrrev_i32_e32 v30, 31, v1
	s_delay_alu instid0(VALU_DEP_2) | instskip(NEXT) | instid1(VALU_DEP_2)
	v_floor_f32_e32 v3, v3
	v_mov_b32_e32 v31, v30
	s_delay_alu instid0(VALU_DEP_2) | instskip(SKIP_1) | instid1(VALU_DEP_2)
	v_fma_f32 v5, 0xcf800000, v3, |v1|
	v_cvt_u32_f32_e32 v1, v3
	v_cvt_u32_f32_e32 v3, v5
	s_delay_alu instid0(VALU_DEP_2) | instskip(NEXT) | instid1(VALU_DEP_2)
	v_xor_b32_e32 v35, v1, v30
	v_xor_b32_e32 v34, v3, v30
	s_delay_alu instid0(VALU_DEP_1)
	v_sub_nc_u64_e32 v[30:31], v[34:35], v[30:31]
	s_branch .LBB79_3061
.LBB79_3056:
	s_mov_b32 s17, -1
	s_branch .LBB79_3060
.LBB79_3057:
	s_and_not1_saveexec_b32 s17, s17
	s_cbranch_execz .LBB79_3038
.LBB79_3058:
	v_cmp_ne_u16_e32 vcc_lo, 0, v1
	s_and_not1_b32 s18, s18, exec_lo
	s_and_b32 s19, vcc_lo, exec_lo
	s_delay_alu instid0(SALU_CYCLE_1)
	s_or_b32 s18, s18, s19
	s_or_b32 exec_lo, exec_lo, s17
	v_mov_b64_e32 v[30:31], 0
	s_and_saveexec_b32 s17, s18
	s_cbranch_execnz .LBB79_3039
	s_branch .LBB79_3040
.LBB79_3059:
	s_mov_b32 s16, -1
.LBB79_3060:
                                        ; implicit-def: $vgpr30_vgpr31
.LBB79_3061:
	s_and_b32 vcc_lo, exec_lo, s17
	s_mov_b32 s17, 0
	s_cbranch_vccz .LBB79_3063
; %bb.3062:
	s_cmp_lg_u32 s11, 11
	s_mov_b32 s17, -1
	s_cselect_b32 s16, -1, 0
.LBB79_3063:
	s_delay_alu instid0(SALU_CYCLE_1)
	s_and_b32 vcc_lo, exec_lo, s16
	s_cbranch_vccnz .LBB79_3128
; %bb.3064:
	s_and_not1_b32 vcc_lo, exec_lo, s17
	s_cbranch_vccnz .LBB79_3066
.LBB79_3065:
	global_load_u8 v1, v[32:33], off
	s_mov_b32 s16, 0
	s_mov_b32 s18, -1
	s_wait_loadcnt 0x1
	v_mov_b32_e32 v31, s16
	s_wait_loadcnt 0x0
	v_cmp_ne_u16_e32 vcc_lo, 0, v1
	v_cndmask_b32_e64 v30, 0, 1, vcc_lo
.LBB79_3066:
	s_mov_b32 s16, 0
.LBB79_3067:
	s_delay_alu instid0(SALU_CYCLE_1)
	s_and_b32 vcc_lo, exec_lo, s16
	s_cbranch_vccz .LBB79_3116
; %bb.3068:
	s_cmp_lt_i32 s11, 5
	s_cbranch_scc1 .LBB79_3073
; %bb.3069:
	s_cmp_lt_i32 s11, 8
	s_cbranch_scc1 .LBB79_3074
	;; [unrolled: 3-line block ×3, first 2 shown]
; %bb.3071:
	s_cmp_gt_i32 s11, 9
	s_cbranch_scc0 .LBB79_3076
; %bb.3072:
	s_wait_loadcnt 0x0
	global_load_b64 v[30:31], v[32:33], off
	s_mov_b32 s16, 0
	s_wait_loadcnt 0x0
	v_trunc_f64_e32 v[30:31], v[30:31]
	s_delay_alu instid0(VALU_DEP_1) | instskip(NEXT) | instid1(VALU_DEP_1)
	v_ldexp_f64 v[34:35], v[30:31], 0xffffffe0
	v_floor_f64_e32 v[34:35], v[34:35]
	s_delay_alu instid0(VALU_DEP_1) | instskip(SKIP_1) | instid1(VALU_DEP_2)
	v_fmamk_f64 v[36:37], v[34:35], 0xc1f00000, v[30:31]
	v_cvt_i32_f64_e32 v31, v[34:35]
	v_cvt_u32_f64_e32 v30, v[36:37]
	s_branch .LBB79_3077
.LBB79_3073:
	s_mov_b32 s16, -1
                                        ; implicit-def: $vgpr30_vgpr31
	s_branch .LBB79_3095
.LBB79_3074:
	s_mov_b32 s16, -1
                                        ; implicit-def: $vgpr30_vgpr31
	s_branch .LBB79_3083
.LBB79_3075:
	s_mov_b32 s16, -1
                                        ; implicit-def: $vgpr30_vgpr31
	s_branch .LBB79_3080
.LBB79_3076:
	s_mov_b32 s16, -1
                                        ; implicit-def: $vgpr30_vgpr31
.LBB79_3077:
	s_delay_alu instid0(SALU_CYCLE_1)
	s_and_not1_b32 vcc_lo, exec_lo, s16
	s_cbranch_vccnz .LBB79_3079
; %bb.3078:
	global_load_b32 v1, v[32:33], off
	s_wait_loadcnt 0x0
	v_trunc_f32_e32 v1, v1
	s_delay_alu instid0(VALU_DEP_1) | instskip(SKIP_1) | instid1(VALU_DEP_2)
	v_mul_f32_e64 v3, 0x2f800000, |v1|
	v_ashrrev_i32_e32 v30, 31, v1
	v_floor_f32_e32 v3, v3
	s_delay_alu instid0(VALU_DEP_1) | instskip(SKIP_1) | instid1(VALU_DEP_4)
	v_fma_f32 v5, 0xcf800000, v3, |v1|
	v_cvt_u32_f32_e32 v1, v3
	v_mov_b32_e32 v31, v30
	s_delay_alu instid0(VALU_DEP_3) | instskip(NEXT) | instid1(VALU_DEP_3)
	v_cvt_u32_f32_e32 v3, v5
	v_xor_b32_e32 v35, v1, v30
	s_delay_alu instid0(VALU_DEP_2) | instskip(NEXT) | instid1(VALU_DEP_1)
	v_xor_b32_e32 v34, v3, v30
	v_sub_nc_u64_e32 v[30:31], v[34:35], v[30:31]
.LBB79_3079:
	s_mov_b32 s16, 0
.LBB79_3080:
	s_delay_alu instid0(SALU_CYCLE_1)
	s_and_not1_b32 vcc_lo, exec_lo, s16
	s_cbranch_vccnz .LBB79_3082
; %bb.3081:
	global_load_b32 v1, v[32:33], off
	s_wait_loadcnt 0x0
	v_cvt_f32_f16_e32 v1, v1
	s_delay_alu instid0(VALU_DEP_1) | instskip(NEXT) | instid1(VALU_DEP_1)
	v_cvt_i32_f32_e32 v30, v1
	v_ashrrev_i32_e32 v31, 31, v30
.LBB79_3082:
	s_mov_b32 s16, 0
.LBB79_3083:
	s_delay_alu instid0(SALU_CYCLE_1)
	s_and_not1_b32 vcc_lo, exec_lo, s16
	s_cbranch_vccnz .LBB79_3094
; %bb.3084:
	s_cmp_lt_i32 s11, 6
	s_cbranch_scc1 .LBB79_3087
; %bb.3085:
	s_cmp_gt_i32 s11, 6
	s_cbranch_scc0 .LBB79_3088
; %bb.3086:
	s_wait_loadcnt 0x0
	global_load_b64 v[30:31], v[32:33], off
	s_mov_b32 s16, 0
	s_wait_loadcnt 0x0
	v_trunc_f64_e32 v[30:31], v[30:31]
	s_delay_alu instid0(VALU_DEP_1) | instskip(NEXT) | instid1(VALU_DEP_1)
	v_ldexp_f64 v[34:35], v[30:31], 0xffffffe0
	v_floor_f64_e32 v[34:35], v[34:35]
	s_delay_alu instid0(VALU_DEP_1) | instskip(SKIP_1) | instid1(VALU_DEP_2)
	v_fmamk_f64 v[36:37], v[34:35], 0xc1f00000, v[30:31]
	v_cvt_i32_f64_e32 v31, v[34:35]
	v_cvt_u32_f64_e32 v30, v[36:37]
	s_branch .LBB79_3089
.LBB79_3087:
	s_mov_b32 s16, -1
                                        ; implicit-def: $vgpr30_vgpr31
	s_branch .LBB79_3092
.LBB79_3088:
	s_mov_b32 s16, -1
                                        ; implicit-def: $vgpr30_vgpr31
.LBB79_3089:
	s_delay_alu instid0(SALU_CYCLE_1)
	s_and_not1_b32 vcc_lo, exec_lo, s16
	s_cbranch_vccnz .LBB79_3091
; %bb.3090:
	global_load_b32 v1, v[32:33], off
	s_wait_loadcnt 0x0
	v_trunc_f32_e32 v1, v1
	s_delay_alu instid0(VALU_DEP_1) | instskip(SKIP_1) | instid1(VALU_DEP_2)
	v_mul_f32_e64 v3, 0x2f800000, |v1|
	v_ashrrev_i32_e32 v30, 31, v1
	v_floor_f32_e32 v3, v3
	s_delay_alu instid0(VALU_DEP_1) | instskip(SKIP_1) | instid1(VALU_DEP_4)
	v_fma_f32 v5, 0xcf800000, v3, |v1|
	v_cvt_u32_f32_e32 v1, v3
	v_mov_b32_e32 v31, v30
	s_delay_alu instid0(VALU_DEP_3) | instskip(NEXT) | instid1(VALU_DEP_3)
	v_cvt_u32_f32_e32 v3, v5
	v_xor_b32_e32 v35, v1, v30
	s_delay_alu instid0(VALU_DEP_2) | instskip(NEXT) | instid1(VALU_DEP_1)
	v_xor_b32_e32 v34, v3, v30
	v_sub_nc_u64_e32 v[30:31], v[34:35], v[30:31]
.LBB79_3091:
	s_mov_b32 s16, 0
.LBB79_3092:
	s_delay_alu instid0(SALU_CYCLE_1)
	s_and_not1_b32 vcc_lo, exec_lo, s16
	s_cbranch_vccnz .LBB79_3094
; %bb.3093:
	global_load_u16 v1, v[32:33], off
	s_wait_loadcnt 0x0
	v_cvt_f32_f16_e32 v1, v1
	s_delay_alu instid0(VALU_DEP_1) | instskip(NEXT) | instid1(VALU_DEP_1)
	v_cvt_i32_f32_e32 v30, v1
	v_ashrrev_i32_e32 v31, 31, v30
.LBB79_3094:
	s_mov_b32 s16, 0
.LBB79_3095:
	s_delay_alu instid0(SALU_CYCLE_1)
	s_and_not1_b32 vcc_lo, exec_lo, s16
	s_cbranch_vccnz .LBB79_3115
; %bb.3096:
	s_cmp_lt_i32 s11, 2
	s_cbranch_scc1 .LBB79_3100
; %bb.3097:
	s_cmp_lt_i32 s11, 3
	s_cbranch_scc1 .LBB79_3101
; %bb.3098:
	s_cmp_gt_i32 s11, 3
	s_cbranch_scc0 .LBB79_3102
; %bb.3099:
	s_wait_loadcnt 0x0
	global_load_b64 v[30:31], v[32:33], off
	s_mov_b32 s16, 0
	s_branch .LBB79_3103
.LBB79_3100:
	s_mov_b32 s16, -1
                                        ; implicit-def: $vgpr30_vgpr31
	s_branch .LBB79_3109
.LBB79_3101:
	s_mov_b32 s16, -1
                                        ; implicit-def: $vgpr30_vgpr31
	s_branch .LBB79_3106
.LBB79_3102:
	s_mov_b32 s16, -1
                                        ; implicit-def: $vgpr30_vgpr31
.LBB79_3103:
	s_delay_alu instid0(SALU_CYCLE_1)
	s_and_not1_b32 vcc_lo, exec_lo, s16
	s_cbranch_vccnz .LBB79_3105
; %bb.3104:
	s_wait_loadcnt 0x0
	global_load_b32 v30, v[32:33], off
	s_wait_loadcnt 0x0
	v_ashrrev_i32_e32 v31, 31, v30
.LBB79_3105:
	s_mov_b32 s16, 0
.LBB79_3106:
	s_delay_alu instid0(SALU_CYCLE_1)
	s_and_not1_b32 vcc_lo, exec_lo, s16
	s_cbranch_vccnz .LBB79_3108
; %bb.3107:
	global_load_u16 v1, v[32:33], off
	s_wait_loadcnt 0x0
	v_bfe_i32 v30, v1, 0, 16
	s_delay_alu instid0(VALU_DEP_1)
	v_ashrrev_i32_e32 v31, 31, v30
.LBB79_3108:
	s_mov_b32 s16, 0
.LBB79_3109:
	s_delay_alu instid0(SALU_CYCLE_1)
	s_and_not1_b32 vcc_lo, exec_lo, s16
	s_cbranch_vccnz .LBB79_3115
; %bb.3110:
	s_cmp_gt_i32 s11, 0
	s_mov_b32 s16, 0
	s_cbranch_scc0 .LBB79_3112
; %bb.3111:
	global_load_i8 v1, v[32:33], off
	s_wait_loadcnt 0x0
	v_bfe_i32 v30, v1, 0, 16
	s_delay_alu instid0(VALU_DEP_1)
	v_ashrrev_i32_e32 v31, 31, v30
	s_branch .LBB79_3113
.LBB79_3112:
	s_mov_b32 s16, -1
                                        ; implicit-def: $vgpr30_vgpr31
.LBB79_3113:
	s_delay_alu instid0(SALU_CYCLE_1)
	s_and_not1_b32 vcc_lo, exec_lo, s16
	s_cbranch_vccnz .LBB79_3115
; %bb.3114:
	global_load_u8 v1, v[32:33], off
	s_mov_b32 s16, 0
	s_wait_loadcnt 0x1
	v_mov_b32_e32 v31, s16
	s_wait_loadcnt 0x0
	v_and_b32_e32 v30, 0xffff, v1
.LBB79_3115:
	s_mov_b32 s18, -1
.LBB79_3116:
	s_delay_alu instid0(SALU_CYCLE_1)
	s_and_not1_b32 vcc_lo, exec_lo, s18
	s_cbranch_vccnz .LBB79_4058
; %bb.3117:
	v_mov_b32_e32 v25, 0
	s_cmp_lt_i32 s15, 11
	s_wait_xcnt 0x0
	s_delay_alu instid0(VALU_DEP_1)
	v_add_nc_u64_e32 v[32:33], s[8:9], v[24:25]
	s_cbranch_scc1 .LBB79_3124
; %bb.3118:
	s_cmp_gt_i32 s15, 25
	s_mov_b32 s17, 0
	s_cbranch_scc0 .LBB79_3125
; %bb.3119:
	s_cmp_gt_i32 s15, 28
	s_cbranch_scc0 .LBB79_3126
; %bb.3120:
	s_cmp_gt_i32 s15, 43
	;; [unrolled: 3-line block ×3, first 2 shown]
	s_cbranch_scc0 .LBB79_3129
; %bb.3122:
	s_cmp_eq_u32 s15, 46
	s_mov_b32 s19, 0
	s_cbranch_scc0 .LBB79_3130
; %bb.3123:
	global_load_b32 v1, v[32:33], off
	s_mov_b32 s16, 0
	s_mov_b32 s18, -1
	s_wait_loadcnt 0x0
	v_lshlrev_b32_e32 v1, 16, v1
	s_delay_alu instid0(VALU_DEP_1) | instskip(NEXT) | instid1(VALU_DEP_1)
	v_trunc_f32_e32 v1, v1
	v_mul_f32_e64 v3, 0x2f800000, |v1|
	v_ashrrev_i32_e32 v24, 31, v1
	s_delay_alu instid0(VALU_DEP_2) | instskip(NEXT) | instid1(VALU_DEP_2)
	v_floor_f32_e32 v3, v3
	v_mov_b32_e32 v25, v24
	s_delay_alu instid0(VALU_DEP_2) | instskip(SKIP_1) | instid1(VALU_DEP_2)
	v_fma_f32 v5, 0xcf800000, v3, |v1|
	v_cvt_u32_f32_e32 v1, v3
	v_cvt_u32_f32_e32 v3, v5
	s_delay_alu instid0(VALU_DEP_2) | instskip(NEXT) | instid1(VALU_DEP_2)
	v_xor_b32_e32 v35, v1, v24
	v_xor_b32_e32 v34, v3, v24
	s_delay_alu instid0(VALU_DEP_1)
	v_sub_nc_u64_e32 v[24:25], v[34:35], v[24:25]
	s_branch .LBB79_3132
.LBB79_3124:
	s_mov_b32 s16, -1
	s_mov_b32 s18, 0
                                        ; implicit-def: $vgpr24_vgpr25
	s_branch .LBB79_3194
.LBB79_3125:
	s_mov_b32 s19, -1
	s_mov_b32 s18, 0
	s_mov_b32 s16, 0
                                        ; implicit-def: $vgpr24_vgpr25
	s_branch .LBB79_3159
.LBB79_3126:
	s_mov_b32 s19, -1
	s_mov_b32 s18, 0
	s_mov_b32 s16, 0
                                        ; implicit-def: $vgpr24_vgpr25
	s_branch .LBB79_3142
.LBB79_3127:
	s_mov_b32 s19, -1
	s_mov_b32 s18, 0
	s_mov_b32 s16, 0
                                        ; implicit-def: $vgpr24_vgpr25
	s_branch .LBB79_3137
.LBB79_3128:
	s_or_b32 s14, s14, exec_lo
	s_trap 2
	s_cbranch_execz .LBB79_3065
	s_branch .LBB79_3066
.LBB79_3129:
	s_mov_b32 s19, -1
	s_mov_b32 s18, 0
	s_mov_b32 s16, 0
	s_branch .LBB79_3131
.LBB79_3130:
	s_mov_b32 s16, -1
	s_mov_b32 s18, 0
.LBB79_3131:
                                        ; implicit-def: $vgpr24_vgpr25
.LBB79_3132:
	s_and_b32 vcc_lo, exec_lo, s19
	s_cbranch_vccz .LBB79_3136
; %bb.3133:
	s_cmp_eq_u32 s15, 44
	s_cbranch_scc0 .LBB79_3135
; %bb.3134:
	global_load_u8 v1, v[32:33], off
	s_mov_b32 s16, 0
	s_mov_b32 s18, -1
	s_wait_loadcnt 0x0
	v_lshlrev_b32_e32 v3, 23, v1
	v_cmp_ne_u32_e32 vcc_lo, 0, v1
	s_delay_alu instid0(VALU_DEP_2) | instskip(NEXT) | instid1(VALU_DEP_1)
	v_trunc_f32_e32 v3, v3
	v_mul_f32_e64 v5, 0x2f800000, |v3|
	v_ashrrev_i32_e32 v24, 31, v3
	s_delay_alu instid0(VALU_DEP_2) | instskip(NEXT) | instid1(VALU_DEP_2)
	v_floor_f32_e32 v5, v5
	v_mov_b32_e32 v25, v24
	s_delay_alu instid0(VALU_DEP_2) | instskip(SKIP_1) | instid1(VALU_DEP_2)
	v_fma_f32 v7, 0xcf800000, v5, |v3|
	v_cvt_u32_f32_e32 v3, v5
	v_cvt_u32_f32_e32 v5, v7
	s_delay_alu instid0(VALU_DEP_2) | instskip(NEXT) | instid1(VALU_DEP_2)
	v_xor_b32_e32 v35, v3, v24
	v_xor_b32_e32 v34, v5, v24
	s_delay_alu instid0(VALU_DEP_1) | instskip(NEXT) | instid1(VALU_DEP_1)
	v_sub_nc_u64_e32 v[24:25], v[34:35], v[24:25]
	v_dual_cndmask_b32 v25, 0, v25 :: v_dual_cndmask_b32 v24, 0, v24
	s_branch .LBB79_3136
.LBB79_3135:
	s_mov_b32 s16, -1
                                        ; implicit-def: $vgpr24_vgpr25
.LBB79_3136:
	s_mov_b32 s19, 0
.LBB79_3137:
	s_delay_alu instid0(SALU_CYCLE_1)
	s_and_b32 vcc_lo, exec_lo, s19
	s_cbranch_vccz .LBB79_3141
; %bb.3138:
	s_cmp_eq_u32 s15, 29
	s_cbranch_scc0 .LBB79_3140
; %bb.3139:
	global_load_b64 v[24:25], v[32:33], off
	s_mov_b32 s16, 0
	s_mov_b32 s18, -1
	s_branch .LBB79_3141
.LBB79_3140:
	s_mov_b32 s16, -1
                                        ; implicit-def: $vgpr24_vgpr25
.LBB79_3141:
	s_mov_b32 s19, 0
.LBB79_3142:
	s_delay_alu instid0(SALU_CYCLE_1)
	s_and_b32 vcc_lo, exec_lo, s19
	s_cbranch_vccz .LBB79_3158
; %bb.3143:
	s_cmp_lt_i32 s15, 27
	s_cbranch_scc1 .LBB79_3146
; %bb.3144:
	s_cmp_gt_i32 s15, 27
	s_cbranch_scc0 .LBB79_3147
; %bb.3145:
	s_wait_loadcnt 0x0
	global_load_b32 v24, v[32:33], off
	v_mov_b32_e32 v25, 0
	s_mov_b32 s18, 0
	s_branch .LBB79_3148
.LBB79_3146:
	s_mov_b32 s18, -1
                                        ; implicit-def: $vgpr24_vgpr25
	s_branch .LBB79_3151
.LBB79_3147:
	s_mov_b32 s18, -1
                                        ; implicit-def: $vgpr24_vgpr25
.LBB79_3148:
	s_delay_alu instid0(SALU_CYCLE_1)
	s_and_not1_b32 vcc_lo, exec_lo, s18
	s_cbranch_vccnz .LBB79_3150
; %bb.3149:
	global_load_u16 v1, v[32:33], off
	s_mov_b32 s18, 0
	s_wait_loadcnt 0x1
	v_mov_b32_e32 v25, s18
	s_wait_loadcnt 0x0
	v_and_b32_e32 v24, 0xffff, v1
.LBB79_3150:
	s_mov_b32 s18, 0
.LBB79_3151:
	s_delay_alu instid0(SALU_CYCLE_1)
	s_and_not1_b32 vcc_lo, exec_lo, s18
	s_cbranch_vccnz .LBB79_3157
; %bb.3152:
	global_load_u8 v1, v[32:33], off
	s_mov_b32 s19, 0
	s_mov_b32 s18, exec_lo
	s_wait_loadcnt 0x0
	v_cmpx_lt_i16_e32 0x7f, v1
	s_xor_b32 s18, exec_lo, s18
	s_cbranch_execz .LBB79_3169
; %bb.3153:
	v_cmp_ne_u16_e32 vcc_lo, 0x80, v1
	s_and_b32 s19, vcc_lo, exec_lo
	s_and_not1_saveexec_b32 s18, s18
	s_cbranch_execnz .LBB79_3170
.LBB79_3154:
	s_or_b32 exec_lo, exec_lo, s18
	v_mov_b64_e32 v[24:25], 0
	s_and_saveexec_b32 s18, s19
	s_cbranch_execz .LBB79_3156
.LBB79_3155:
	v_and_b32_e32 v3, 0xffff, v1
	s_delay_alu instid0(VALU_DEP_1) | instskip(SKIP_1) | instid1(VALU_DEP_2)
	v_dual_lshlrev_b32 v1, 24, v1 :: v_dual_bitop2_b32 v5, 7, v3 bitop3:0x40
	v_bfe_u32 v15, v3, 3, 4
	v_and_b32_e32 v1, 0x80000000, v1
	s_delay_alu instid0(VALU_DEP_3) | instskip(NEXT) | instid1(VALU_DEP_3)
	v_clz_i32_u32_e32 v7, v5
	v_cmp_eq_u32_e32 vcc_lo, 0, v15
	s_delay_alu instid0(VALU_DEP_2) | instskip(NEXT) | instid1(VALU_DEP_1)
	v_min_u32_e32 v7, 32, v7
	v_subrev_nc_u32_e32 v11, 28, v7
	v_sub_nc_u32_e32 v7, 29, v7
	s_delay_alu instid0(VALU_DEP_2) | instskip(NEXT) | instid1(VALU_DEP_2)
	v_lshlrev_b32_e32 v3, v11, v3
	v_cndmask_b32_e32 v7, v15, v7, vcc_lo
	s_delay_alu instid0(VALU_DEP_2) | instskip(NEXT) | instid1(VALU_DEP_1)
	v_and_b32_e32 v3, 7, v3
	v_cndmask_b32_e32 v3, v5, v3, vcc_lo
	s_delay_alu instid0(VALU_DEP_3) | instskip(NEXT) | instid1(VALU_DEP_2)
	v_lshl_add_u32 v5, v7, 23, 0x3b800000
	v_lshlrev_b32_e32 v3, 20, v3
	s_delay_alu instid0(VALU_DEP_1) | instskip(NEXT) | instid1(VALU_DEP_1)
	v_or3_b32 v1, v1, v5, v3
	v_trunc_f32_e32 v1, v1
	s_delay_alu instid0(VALU_DEP_1) | instskip(SKIP_1) | instid1(VALU_DEP_2)
	v_mul_f32_e64 v3, 0x2f800000, |v1|
	v_ashrrev_i32_e32 v24, 31, v1
	v_floor_f32_e32 v3, v3
	s_delay_alu instid0(VALU_DEP_2) | instskip(NEXT) | instid1(VALU_DEP_2)
	v_mov_b32_e32 v25, v24
	v_fma_f32 v5, 0xcf800000, v3, |v1|
	v_cvt_u32_f32_e32 v1, v3
	s_delay_alu instid0(VALU_DEP_2) | instskip(NEXT) | instid1(VALU_DEP_2)
	v_cvt_u32_f32_e32 v3, v5
	v_xor_b32_e32 v35, v1, v24
	s_delay_alu instid0(VALU_DEP_2) | instskip(NEXT) | instid1(VALU_DEP_1)
	v_xor_b32_e32 v34, v3, v24
	v_sub_nc_u64_e32 v[24:25], v[34:35], v[24:25]
.LBB79_3156:
	s_or_b32 exec_lo, exec_lo, s18
.LBB79_3157:
	s_mov_b32 s18, -1
.LBB79_3158:
	s_mov_b32 s19, 0
.LBB79_3159:
	s_delay_alu instid0(SALU_CYCLE_1)
	s_and_b32 vcc_lo, exec_lo, s19
	s_cbranch_vccz .LBB79_3190
; %bb.3160:
	s_cmp_gt_i32 s15, 22
	s_cbranch_scc0 .LBB79_3168
; %bb.3161:
	s_cmp_lt_i32 s15, 24
	s_cbranch_scc1 .LBB79_3171
; %bb.3162:
	s_cmp_gt_i32 s15, 24
	s_cbranch_scc0 .LBB79_3172
; %bb.3163:
	global_load_u8 v1, v[32:33], off
	s_mov_b32 s18, 0
	s_mov_b32 s17, exec_lo
	s_wait_loadcnt 0x0
	v_cmpx_lt_i16_e32 0x7f, v1
	s_xor_b32 s17, exec_lo, s17
	s_cbranch_execz .LBB79_3184
; %bb.3164:
	v_cmp_ne_u16_e32 vcc_lo, 0x80, v1
	s_and_b32 s18, vcc_lo, exec_lo
	s_and_not1_saveexec_b32 s17, s17
	s_cbranch_execnz .LBB79_3185
.LBB79_3165:
	s_or_b32 exec_lo, exec_lo, s17
	v_mov_b64_e32 v[24:25], 0
	s_and_saveexec_b32 s17, s18
	s_cbranch_execz .LBB79_3167
.LBB79_3166:
	v_and_b32_e32 v3, 0xffff, v1
	s_delay_alu instid0(VALU_DEP_1) | instskip(SKIP_1) | instid1(VALU_DEP_2)
	v_dual_lshlrev_b32 v1, 24, v1 :: v_dual_bitop2_b32 v5, 3, v3 bitop3:0x40
	v_bfe_u32 v15, v3, 2, 5
	v_and_b32_e32 v1, 0x80000000, v1
	s_delay_alu instid0(VALU_DEP_3) | instskip(NEXT) | instid1(VALU_DEP_3)
	v_clz_i32_u32_e32 v7, v5
	v_cmp_eq_u32_e32 vcc_lo, 0, v15
	s_delay_alu instid0(VALU_DEP_2) | instskip(NEXT) | instid1(VALU_DEP_1)
	v_min_u32_e32 v7, 32, v7
	v_subrev_nc_u32_e32 v11, 29, v7
	v_sub_nc_u32_e32 v7, 30, v7
	s_delay_alu instid0(VALU_DEP_2) | instskip(NEXT) | instid1(VALU_DEP_2)
	v_lshlrev_b32_e32 v3, v11, v3
	v_cndmask_b32_e32 v7, v15, v7, vcc_lo
	s_delay_alu instid0(VALU_DEP_2) | instskip(NEXT) | instid1(VALU_DEP_1)
	v_and_b32_e32 v3, 3, v3
	v_cndmask_b32_e32 v3, v5, v3, vcc_lo
	s_delay_alu instid0(VALU_DEP_3) | instskip(NEXT) | instid1(VALU_DEP_2)
	v_lshl_add_u32 v5, v7, 23, 0x37800000
	v_lshlrev_b32_e32 v3, 21, v3
	s_delay_alu instid0(VALU_DEP_1) | instskip(NEXT) | instid1(VALU_DEP_1)
	v_or3_b32 v1, v1, v5, v3
	v_trunc_f32_e32 v1, v1
	s_delay_alu instid0(VALU_DEP_1) | instskip(SKIP_1) | instid1(VALU_DEP_2)
	v_mul_f32_e64 v3, 0x2f800000, |v1|
	v_ashrrev_i32_e32 v24, 31, v1
	v_floor_f32_e32 v3, v3
	s_delay_alu instid0(VALU_DEP_2) | instskip(NEXT) | instid1(VALU_DEP_2)
	v_mov_b32_e32 v25, v24
	v_fma_f32 v5, 0xcf800000, v3, |v1|
	v_cvt_u32_f32_e32 v1, v3
	s_delay_alu instid0(VALU_DEP_2) | instskip(NEXT) | instid1(VALU_DEP_2)
	v_cvt_u32_f32_e32 v3, v5
	v_xor_b32_e32 v35, v1, v24
	s_delay_alu instid0(VALU_DEP_2) | instskip(NEXT) | instid1(VALU_DEP_1)
	v_xor_b32_e32 v34, v3, v24
	v_sub_nc_u64_e32 v[24:25], v[34:35], v[24:25]
.LBB79_3167:
	s_or_b32 exec_lo, exec_lo, s17
	s_mov_b32 s17, 0
	s_branch .LBB79_3173
.LBB79_3168:
	s_mov_b32 s17, -1
                                        ; implicit-def: $vgpr24_vgpr25
	s_branch .LBB79_3179
.LBB79_3169:
	s_and_not1_saveexec_b32 s18, s18
	s_cbranch_execz .LBB79_3154
.LBB79_3170:
	v_cmp_ne_u16_e32 vcc_lo, 0, v1
	s_and_not1_b32 s19, s19, exec_lo
	s_and_b32 s20, vcc_lo, exec_lo
	s_delay_alu instid0(SALU_CYCLE_1)
	s_or_b32 s19, s19, s20
	s_or_b32 exec_lo, exec_lo, s18
	v_mov_b64_e32 v[24:25], 0
	s_and_saveexec_b32 s18, s19
	s_cbranch_execnz .LBB79_3155
	s_branch .LBB79_3156
.LBB79_3171:
	s_mov_b32 s17, -1
                                        ; implicit-def: $vgpr24_vgpr25
	s_branch .LBB79_3176
.LBB79_3172:
	s_mov_b32 s17, -1
                                        ; implicit-def: $vgpr24_vgpr25
.LBB79_3173:
	s_delay_alu instid0(SALU_CYCLE_1)
	s_and_b32 vcc_lo, exec_lo, s17
	s_cbranch_vccz .LBB79_3175
; %bb.3174:
	global_load_u8 v1, v[32:33], off
	s_wait_loadcnt 0x0
	v_lshlrev_b32_e32 v1, 24, v1
	s_delay_alu instid0(VALU_DEP_1) | instskip(NEXT) | instid1(VALU_DEP_1)
	v_and_b32_e32 v3, 0x7f000000, v1
	v_clz_i32_u32_e32 v5, v3
	v_add_nc_u32_e32 v11, 0x1000000, v3
	v_cmp_ne_u32_e32 vcc_lo, 0, v3
	s_delay_alu instid0(VALU_DEP_3) | instskip(NEXT) | instid1(VALU_DEP_1)
	v_min_u32_e32 v5, 32, v5
	v_sub_nc_u32_e64 v5, v5, 4 clamp
	s_delay_alu instid0(VALU_DEP_1) | instskip(NEXT) | instid1(VALU_DEP_1)
	v_dual_lshlrev_b32 v7, v5, v3 :: v_dual_lshlrev_b32 v5, 23, v5
	v_lshrrev_b32_e32 v7, 4, v7
	s_delay_alu instid0(VALU_DEP_1) | instskip(NEXT) | instid1(VALU_DEP_1)
	v_dual_sub_nc_u32 v5, v7, v5 :: v_dual_ashrrev_i32 v7, 8, v11
	v_add_nc_u32_e32 v5, 0x3c000000, v5
	s_delay_alu instid0(VALU_DEP_1) | instskip(NEXT) | instid1(VALU_DEP_1)
	v_and_or_b32 v5, 0x7f800000, v7, v5
	v_cndmask_b32_e32 v3, 0, v5, vcc_lo
	s_delay_alu instid0(VALU_DEP_1) | instskip(NEXT) | instid1(VALU_DEP_1)
	v_and_or_b32 v1, 0x80000000, v1, v3
	v_trunc_f32_e32 v1, v1
	s_delay_alu instid0(VALU_DEP_1) | instskip(SKIP_1) | instid1(VALU_DEP_2)
	v_mul_f32_e64 v3, 0x2f800000, |v1|
	v_ashrrev_i32_e32 v24, 31, v1
	v_floor_f32_e32 v3, v3
	s_delay_alu instid0(VALU_DEP_2) | instskip(NEXT) | instid1(VALU_DEP_2)
	v_mov_b32_e32 v25, v24
	v_fma_f32 v5, 0xcf800000, v3, |v1|
	v_cvt_u32_f32_e32 v1, v3
	s_delay_alu instid0(VALU_DEP_2) | instskip(NEXT) | instid1(VALU_DEP_2)
	v_cvt_u32_f32_e32 v3, v5
	v_xor_b32_e32 v35, v1, v24
	s_delay_alu instid0(VALU_DEP_2) | instskip(NEXT) | instid1(VALU_DEP_1)
	v_xor_b32_e32 v34, v3, v24
	v_sub_nc_u64_e32 v[24:25], v[34:35], v[24:25]
.LBB79_3175:
	s_mov_b32 s17, 0
.LBB79_3176:
	s_delay_alu instid0(SALU_CYCLE_1)
	s_and_not1_b32 vcc_lo, exec_lo, s17
	s_cbranch_vccnz .LBB79_3178
; %bb.3177:
	global_load_u8 v1, v[32:33], off
	s_wait_loadcnt 0x0
	v_lshlrev_b32_e32 v3, 25, v1
	v_lshlrev_b16 v1, 8, v1
	s_delay_alu instid0(VALU_DEP_1) | instskip(SKIP_1) | instid1(VALU_DEP_2)
	v_and_or_b32 v7, 0x7f00, v1, 0.5
	v_bfe_i32 v1, v1, 0, 16
	v_add_f32_e32 v7, -0.5, v7
	v_lshrrev_b32_e32 v5, 4, v3
	v_cmp_gt_u32_e32 vcc_lo, 0x8000000, v3
	s_delay_alu instid0(VALU_DEP_2) | instskip(NEXT) | instid1(VALU_DEP_1)
	v_or_b32_e32 v5, 0x70000000, v5
	v_mul_f32_e32 v5, 0x7800000, v5
	s_delay_alu instid0(VALU_DEP_1) | instskip(NEXT) | instid1(VALU_DEP_1)
	v_cndmask_b32_e32 v3, v5, v7, vcc_lo
	v_and_or_b32 v1, 0x80000000, v1, v3
	s_delay_alu instid0(VALU_DEP_1) | instskip(NEXT) | instid1(VALU_DEP_1)
	v_trunc_f32_e32 v1, v1
	v_mul_f32_e64 v3, 0x2f800000, |v1|
	v_ashrrev_i32_e32 v24, 31, v1
	s_delay_alu instid0(VALU_DEP_2) | instskip(NEXT) | instid1(VALU_DEP_2)
	v_floor_f32_e32 v3, v3
	v_mov_b32_e32 v25, v24
	s_delay_alu instid0(VALU_DEP_2) | instskip(SKIP_1) | instid1(VALU_DEP_2)
	v_fma_f32 v5, 0xcf800000, v3, |v1|
	v_cvt_u32_f32_e32 v1, v3
	v_cvt_u32_f32_e32 v3, v5
	s_delay_alu instid0(VALU_DEP_2) | instskip(NEXT) | instid1(VALU_DEP_2)
	v_xor_b32_e32 v35, v1, v24
	v_xor_b32_e32 v34, v3, v24
	s_delay_alu instid0(VALU_DEP_1)
	v_sub_nc_u64_e32 v[24:25], v[34:35], v[24:25]
.LBB79_3178:
	s_mov_b32 s17, 0
	s_mov_b32 s18, -1
.LBB79_3179:
	s_and_not1_b32 vcc_lo, exec_lo, s17
	s_mov_b32 s17, 0
	s_cbranch_vccnz .LBB79_3190
; %bb.3180:
	s_cmp_gt_i32 s15, 14
	s_cbranch_scc0 .LBB79_3183
; %bb.3181:
	s_cmp_eq_u32 s15, 15
	s_cbranch_scc0 .LBB79_3186
; %bb.3182:
	global_load_u16 v1, v[32:33], off
	s_mov_b32 s16, 0
	s_mov_b32 s18, -1
	s_wait_loadcnt 0x0
	v_lshlrev_b32_e32 v1, 16, v1
	s_delay_alu instid0(VALU_DEP_1) | instskip(NEXT) | instid1(VALU_DEP_1)
	v_trunc_f32_e32 v1, v1
	v_mul_f32_e64 v3, 0x2f800000, |v1|
	v_ashrrev_i32_e32 v24, 31, v1
	s_delay_alu instid0(VALU_DEP_2) | instskip(NEXT) | instid1(VALU_DEP_2)
	v_floor_f32_e32 v3, v3
	v_mov_b32_e32 v25, v24
	s_delay_alu instid0(VALU_DEP_2) | instskip(SKIP_1) | instid1(VALU_DEP_2)
	v_fma_f32 v5, 0xcf800000, v3, |v1|
	v_cvt_u32_f32_e32 v1, v3
	v_cvt_u32_f32_e32 v3, v5
	s_delay_alu instid0(VALU_DEP_2) | instskip(NEXT) | instid1(VALU_DEP_2)
	v_xor_b32_e32 v35, v1, v24
	v_xor_b32_e32 v34, v3, v24
	s_delay_alu instid0(VALU_DEP_1)
	v_sub_nc_u64_e32 v[24:25], v[34:35], v[24:25]
	s_branch .LBB79_3188
.LBB79_3183:
	s_mov_b32 s17, -1
	s_branch .LBB79_3187
.LBB79_3184:
	s_and_not1_saveexec_b32 s17, s17
	s_cbranch_execz .LBB79_3165
.LBB79_3185:
	v_cmp_ne_u16_e32 vcc_lo, 0, v1
	s_and_not1_b32 s18, s18, exec_lo
	s_and_b32 s19, vcc_lo, exec_lo
	s_delay_alu instid0(SALU_CYCLE_1)
	s_or_b32 s18, s18, s19
	s_or_b32 exec_lo, exec_lo, s17
	v_mov_b64_e32 v[24:25], 0
	s_and_saveexec_b32 s17, s18
	s_cbranch_execnz .LBB79_3166
	s_branch .LBB79_3167
.LBB79_3186:
	s_mov_b32 s16, -1
.LBB79_3187:
                                        ; implicit-def: $vgpr24_vgpr25
.LBB79_3188:
	s_and_b32 vcc_lo, exec_lo, s17
	s_mov_b32 s17, 0
	s_cbranch_vccz .LBB79_3190
; %bb.3189:
	s_cmp_lg_u32 s15, 11
	s_mov_b32 s17, -1
	s_cselect_b32 s16, -1, 0
.LBB79_3190:
	s_delay_alu instid0(SALU_CYCLE_1)
	s_and_b32 vcc_lo, exec_lo, s16
	s_cbranch_vccnz .LBB79_3255
; %bb.3191:
	s_and_not1_b32 vcc_lo, exec_lo, s17
	s_cbranch_vccnz .LBB79_3193
.LBB79_3192:
	global_load_u8 v1, v[32:33], off
	s_mov_b32 s16, 0
	s_mov_b32 s18, -1
	s_wait_loadcnt 0x1
	v_mov_b32_e32 v25, s16
	s_wait_loadcnt 0x0
	v_cmp_ne_u16_e32 vcc_lo, 0, v1
	v_cndmask_b32_e64 v24, 0, 1, vcc_lo
.LBB79_3193:
	s_mov_b32 s16, 0
.LBB79_3194:
	s_delay_alu instid0(SALU_CYCLE_1)
	s_and_b32 vcc_lo, exec_lo, s16
	s_cbranch_vccz .LBB79_3243
; %bb.3195:
	s_cmp_lt_i32 s15, 5
	s_cbranch_scc1 .LBB79_3200
; %bb.3196:
	s_cmp_lt_i32 s15, 8
	s_cbranch_scc1 .LBB79_3201
	;; [unrolled: 3-line block ×3, first 2 shown]
; %bb.3198:
	s_cmp_gt_i32 s15, 9
	s_cbranch_scc0 .LBB79_3203
; %bb.3199:
	s_wait_loadcnt 0x0
	global_load_b64 v[24:25], v[32:33], off
	s_mov_b32 s16, 0
	s_wait_loadcnt 0x0
	v_trunc_f64_e32 v[24:25], v[24:25]
	s_delay_alu instid0(VALU_DEP_1) | instskip(NEXT) | instid1(VALU_DEP_1)
	v_ldexp_f64 v[34:35], v[24:25], 0xffffffe0
	v_floor_f64_e32 v[34:35], v[34:35]
	s_delay_alu instid0(VALU_DEP_1) | instskip(SKIP_1) | instid1(VALU_DEP_2)
	v_fmamk_f64 v[36:37], v[34:35], 0xc1f00000, v[24:25]
	v_cvt_i32_f64_e32 v25, v[34:35]
	v_cvt_u32_f64_e32 v24, v[36:37]
	s_branch .LBB79_3204
.LBB79_3200:
	s_mov_b32 s16, -1
                                        ; implicit-def: $vgpr24_vgpr25
	s_branch .LBB79_3222
.LBB79_3201:
	s_mov_b32 s16, -1
                                        ; implicit-def: $vgpr24_vgpr25
	s_branch .LBB79_3210
.LBB79_3202:
	s_mov_b32 s16, -1
                                        ; implicit-def: $vgpr24_vgpr25
	s_branch .LBB79_3207
.LBB79_3203:
	s_mov_b32 s16, -1
                                        ; implicit-def: $vgpr24_vgpr25
.LBB79_3204:
	s_delay_alu instid0(SALU_CYCLE_1)
	s_and_not1_b32 vcc_lo, exec_lo, s16
	s_cbranch_vccnz .LBB79_3206
; %bb.3205:
	global_load_b32 v1, v[32:33], off
	s_wait_loadcnt 0x0
	v_trunc_f32_e32 v1, v1
	s_delay_alu instid0(VALU_DEP_1) | instskip(SKIP_1) | instid1(VALU_DEP_2)
	v_mul_f32_e64 v3, 0x2f800000, |v1|
	v_ashrrev_i32_e32 v24, 31, v1
	v_floor_f32_e32 v3, v3
	s_delay_alu instid0(VALU_DEP_1) | instskip(SKIP_1) | instid1(VALU_DEP_4)
	v_fma_f32 v5, 0xcf800000, v3, |v1|
	v_cvt_u32_f32_e32 v1, v3
	v_mov_b32_e32 v25, v24
	s_delay_alu instid0(VALU_DEP_3) | instskip(NEXT) | instid1(VALU_DEP_3)
	v_cvt_u32_f32_e32 v3, v5
	v_xor_b32_e32 v35, v1, v24
	s_delay_alu instid0(VALU_DEP_2) | instskip(NEXT) | instid1(VALU_DEP_1)
	v_xor_b32_e32 v34, v3, v24
	v_sub_nc_u64_e32 v[24:25], v[34:35], v[24:25]
.LBB79_3206:
	s_mov_b32 s16, 0
.LBB79_3207:
	s_delay_alu instid0(SALU_CYCLE_1)
	s_and_not1_b32 vcc_lo, exec_lo, s16
	s_cbranch_vccnz .LBB79_3209
; %bb.3208:
	global_load_b32 v1, v[32:33], off
	s_wait_loadcnt 0x0
	v_cvt_f32_f16_e32 v1, v1
	s_delay_alu instid0(VALU_DEP_1) | instskip(NEXT) | instid1(VALU_DEP_1)
	v_cvt_i32_f32_e32 v24, v1
	v_ashrrev_i32_e32 v25, 31, v24
.LBB79_3209:
	s_mov_b32 s16, 0
.LBB79_3210:
	s_delay_alu instid0(SALU_CYCLE_1)
	s_and_not1_b32 vcc_lo, exec_lo, s16
	s_cbranch_vccnz .LBB79_3221
; %bb.3211:
	s_cmp_lt_i32 s15, 6
	s_cbranch_scc1 .LBB79_3214
; %bb.3212:
	s_cmp_gt_i32 s15, 6
	s_cbranch_scc0 .LBB79_3215
; %bb.3213:
	s_wait_loadcnt 0x0
	global_load_b64 v[24:25], v[32:33], off
	s_mov_b32 s16, 0
	s_wait_loadcnt 0x0
	v_trunc_f64_e32 v[24:25], v[24:25]
	s_delay_alu instid0(VALU_DEP_1) | instskip(NEXT) | instid1(VALU_DEP_1)
	v_ldexp_f64 v[34:35], v[24:25], 0xffffffe0
	v_floor_f64_e32 v[34:35], v[34:35]
	s_delay_alu instid0(VALU_DEP_1) | instskip(SKIP_1) | instid1(VALU_DEP_2)
	v_fmamk_f64 v[36:37], v[34:35], 0xc1f00000, v[24:25]
	v_cvt_i32_f64_e32 v25, v[34:35]
	v_cvt_u32_f64_e32 v24, v[36:37]
	s_branch .LBB79_3216
.LBB79_3214:
	s_mov_b32 s16, -1
                                        ; implicit-def: $vgpr24_vgpr25
	s_branch .LBB79_3219
.LBB79_3215:
	s_mov_b32 s16, -1
                                        ; implicit-def: $vgpr24_vgpr25
.LBB79_3216:
	s_delay_alu instid0(SALU_CYCLE_1)
	s_and_not1_b32 vcc_lo, exec_lo, s16
	s_cbranch_vccnz .LBB79_3218
; %bb.3217:
	global_load_b32 v1, v[32:33], off
	s_wait_loadcnt 0x0
	v_trunc_f32_e32 v1, v1
	s_delay_alu instid0(VALU_DEP_1) | instskip(SKIP_1) | instid1(VALU_DEP_2)
	v_mul_f32_e64 v3, 0x2f800000, |v1|
	v_ashrrev_i32_e32 v24, 31, v1
	v_floor_f32_e32 v3, v3
	s_delay_alu instid0(VALU_DEP_1) | instskip(SKIP_1) | instid1(VALU_DEP_4)
	v_fma_f32 v5, 0xcf800000, v3, |v1|
	v_cvt_u32_f32_e32 v1, v3
	v_mov_b32_e32 v25, v24
	s_delay_alu instid0(VALU_DEP_3) | instskip(NEXT) | instid1(VALU_DEP_3)
	v_cvt_u32_f32_e32 v3, v5
	v_xor_b32_e32 v35, v1, v24
	s_delay_alu instid0(VALU_DEP_2) | instskip(NEXT) | instid1(VALU_DEP_1)
	v_xor_b32_e32 v34, v3, v24
	v_sub_nc_u64_e32 v[24:25], v[34:35], v[24:25]
.LBB79_3218:
	s_mov_b32 s16, 0
.LBB79_3219:
	s_delay_alu instid0(SALU_CYCLE_1)
	s_and_not1_b32 vcc_lo, exec_lo, s16
	s_cbranch_vccnz .LBB79_3221
; %bb.3220:
	global_load_u16 v1, v[32:33], off
	s_wait_loadcnt 0x0
	v_cvt_f32_f16_e32 v1, v1
	s_delay_alu instid0(VALU_DEP_1) | instskip(NEXT) | instid1(VALU_DEP_1)
	v_cvt_i32_f32_e32 v24, v1
	v_ashrrev_i32_e32 v25, 31, v24
.LBB79_3221:
	s_mov_b32 s16, 0
.LBB79_3222:
	s_delay_alu instid0(SALU_CYCLE_1)
	s_and_not1_b32 vcc_lo, exec_lo, s16
	s_cbranch_vccnz .LBB79_3242
; %bb.3223:
	s_cmp_lt_i32 s15, 2
	s_cbranch_scc1 .LBB79_3227
; %bb.3224:
	s_cmp_lt_i32 s15, 3
	s_cbranch_scc1 .LBB79_3228
; %bb.3225:
	s_cmp_gt_i32 s15, 3
	s_cbranch_scc0 .LBB79_3229
; %bb.3226:
	s_wait_loadcnt 0x0
	global_load_b64 v[24:25], v[32:33], off
	s_mov_b32 s16, 0
	s_branch .LBB79_3230
.LBB79_3227:
	s_mov_b32 s16, -1
                                        ; implicit-def: $vgpr24_vgpr25
	s_branch .LBB79_3236
.LBB79_3228:
	s_mov_b32 s16, -1
                                        ; implicit-def: $vgpr24_vgpr25
	s_branch .LBB79_3233
.LBB79_3229:
	s_mov_b32 s16, -1
                                        ; implicit-def: $vgpr24_vgpr25
.LBB79_3230:
	s_delay_alu instid0(SALU_CYCLE_1)
	s_and_not1_b32 vcc_lo, exec_lo, s16
	s_cbranch_vccnz .LBB79_3232
; %bb.3231:
	s_wait_loadcnt 0x0
	global_load_b32 v24, v[32:33], off
	s_wait_loadcnt 0x0
	v_ashrrev_i32_e32 v25, 31, v24
.LBB79_3232:
	s_mov_b32 s16, 0
.LBB79_3233:
	s_delay_alu instid0(SALU_CYCLE_1)
	s_and_not1_b32 vcc_lo, exec_lo, s16
	s_cbranch_vccnz .LBB79_3235
; %bb.3234:
	global_load_u16 v1, v[32:33], off
	s_wait_loadcnt 0x0
	v_bfe_i32 v24, v1, 0, 16
	s_delay_alu instid0(VALU_DEP_1)
	v_ashrrev_i32_e32 v25, 31, v24
.LBB79_3235:
	s_mov_b32 s16, 0
.LBB79_3236:
	s_delay_alu instid0(SALU_CYCLE_1)
	s_and_not1_b32 vcc_lo, exec_lo, s16
	s_cbranch_vccnz .LBB79_3242
; %bb.3237:
	s_cmp_gt_i32 s15, 0
	s_mov_b32 s16, 0
	s_cbranch_scc0 .LBB79_3239
; %bb.3238:
	global_load_i8 v1, v[32:33], off
	s_wait_loadcnt 0x0
	v_bfe_i32 v24, v1, 0, 16
	s_delay_alu instid0(VALU_DEP_1)
	v_ashrrev_i32_e32 v25, 31, v24
	s_branch .LBB79_3240
.LBB79_3239:
	s_mov_b32 s16, -1
                                        ; implicit-def: $vgpr24_vgpr25
.LBB79_3240:
	s_delay_alu instid0(SALU_CYCLE_1)
	s_and_not1_b32 vcc_lo, exec_lo, s16
	s_cbranch_vccnz .LBB79_3242
; %bb.3241:
	global_load_u8 v1, v[32:33], off
	s_mov_b32 s16, 0
	s_wait_loadcnt 0x1
	v_mov_b32_e32 v25, s16
	s_wait_loadcnt 0x0
	v_and_b32_e32 v24, 0xffff, v1
.LBB79_3242:
	s_mov_b32 s18, -1
.LBB79_3243:
	s_delay_alu instid0(SALU_CYCLE_1)
	s_and_not1_b32 vcc_lo, exec_lo, s18
	s_cbranch_vccnz .LBB79_4058
; %bb.3244:
	v_mov_b32_e32 v21, 0
	s_cmp_lt_i32 s10, 11
	s_wait_xcnt 0x0
	s_delay_alu instid0(VALU_DEP_1)
	v_add_nc_u64_e32 v[32:33], s[6:7], v[20:21]
	s_cbranch_scc1 .LBB79_3251
; %bb.3245:
	s_cmp_gt_i32 s10, 25
	s_mov_b32 s7, 0
	s_cbranch_scc0 .LBB79_3252
; %bb.3246:
	s_cmp_gt_i32 s10, 28
	s_cbranch_scc0 .LBB79_3253
; %bb.3247:
	s_cmp_gt_i32 s10, 43
	;; [unrolled: 3-line block ×3, first 2 shown]
	s_cbranch_scc0 .LBB79_3256
; %bb.3249:
	s_cmp_eq_u32 s10, 46
	s_mov_b32 s17, 0
	s_cbranch_scc0 .LBB79_3257
; %bb.3250:
	global_load_b32 v1, v[32:33], off
	s_mov_b32 s6, 0
	s_mov_b32 s16, -1
	s_wait_loadcnt 0x0
	v_lshlrev_b32_e32 v1, 16, v1
	s_delay_alu instid0(VALU_DEP_1) | instskip(NEXT) | instid1(VALU_DEP_1)
	v_trunc_f32_e32 v1, v1
	v_mul_f32_e64 v3, 0x2f800000, |v1|
	v_ashrrev_i32_e32 v20, 31, v1
	s_delay_alu instid0(VALU_DEP_2) | instskip(NEXT) | instid1(VALU_DEP_2)
	v_floor_f32_e32 v3, v3
	v_mov_b32_e32 v21, v20
	s_delay_alu instid0(VALU_DEP_2) | instskip(SKIP_1) | instid1(VALU_DEP_2)
	v_fma_f32 v5, 0xcf800000, v3, |v1|
	v_cvt_u32_f32_e32 v1, v3
	v_cvt_u32_f32_e32 v3, v5
	s_delay_alu instid0(VALU_DEP_2) | instskip(NEXT) | instid1(VALU_DEP_2)
	v_xor_b32_e32 v35, v1, v20
	v_xor_b32_e32 v34, v3, v20
	s_delay_alu instid0(VALU_DEP_1)
	v_sub_nc_u64_e32 v[20:21], v[34:35], v[20:21]
	s_branch .LBB79_3259
.LBB79_3251:
	s_mov_b32 s6, -1
	s_mov_b32 s16, 0
                                        ; implicit-def: $vgpr20_vgpr21
	s_branch .LBB79_3321
.LBB79_3252:
	s_mov_b32 s17, -1
	s_mov_b32 s16, 0
	s_mov_b32 s6, 0
                                        ; implicit-def: $vgpr20_vgpr21
	s_branch .LBB79_3286
.LBB79_3253:
	s_mov_b32 s17, -1
	s_mov_b32 s16, 0
	s_mov_b32 s6, 0
                                        ; implicit-def: $vgpr20_vgpr21
	s_branch .LBB79_3269
.LBB79_3254:
	s_mov_b32 s17, -1
	s_mov_b32 s16, 0
	s_mov_b32 s6, 0
                                        ; implicit-def: $vgpr20_vgpr21
	s_branch .LBB79_3264
.LBB79_3255:
	s_or_b32 s14, s14, exec_lo
	s_trap 2
	s_cbranch_execz .LBB79_3192
	s_branch .LBB79_3193
.LBB79_3256:
	s_mov_b32 s17, -1
	s_mov_b32 s16, 0
	s_mov_b32 s6, 0
	s_branch .LBB79_3258
.LBB79_3257:
	s_mov_b32 s6, -1
	s_mov_b32 s16, 0
.LBB79_3258:
                                        ; implicit-def: $vgpr20_vgpr21
.LBB79_3259:
	s_and_b32 vcc_lo, exec_lo, s17
	s_cbranch_vccz .LBB79_3263
; %bb.3260:
	s_cmp_eq_u32 s10, 44
	s_cbranch_scc0 .LBB79_3262
; %bb.3261:
	global_load_u8 v1, v[32:33], off
	s_mov_b32 s6, 0
	s_mov_b32 s16, -1
	s_wait_loadcnt 0x0
	v_lshlrev_b32_e32 v3, 23, v1
	v_cmp_ne_u32_e32 vcc_lo, 0, v1
	s_delay_alu instid0(VALU_DEP_2) | instskip(NEXT) | instid1(VALU_DEP_1)
	v_trunc_f32_e32 v3, v3
	v_mul_f32_e64 v5, 0x2f800000, |v3|
	v_ashrrev_i32_e32 v20, 31, v3
	s_delay_alu instid0(VALU_DEP_2) | instskip(NEXT) | instid1(VALU_DEP_2)
	v_floor_f32_e32 v5, v5
	v_mov_b32_e32 v21, v20
	s_delay_alu instid0(VALU_DEP_2) | instskip(SKIP_1) | instid1(VALU_DEP_2)
	v_fma_f32 v7, 0xcf800000, v5, |v3|
	v_cvt_u32_f32_e32 v3, v5
	v_cvt_u32_f32_e32 v5, v7
	s_delay_alu instid0(VALU_DEP_2) | instskip(NEXT) | instid1(VALU_DEP_2)
	v_xor_b32_e32 v35, v3, v20
	v_xor_b32_e32 v34, v5, v20
	s_delay_alu instid0(VALU_DEP_1) | instskip(NEXT) | instid1(VALU_DEP_1)
	v_sub_nc_u64_e32 v[20:21], v[34:35], v[20:21]
	v_dual_cndmask_b32 v21, 0, v21 :: v_dual_cndmask_b32 v20, 0, v20
	s_branch .LBB79_3263
.LBB79_3262:
	s_mov_b32 s6, -1
                                        ; implicit-def: $vgpr20_vgpr21
.LBB79_3263:
	s_mov_b32 s17, 0
.LBB79_3264:
	s_delay_alu instid0(SALU_CYCLE_1)
	s_and_b32 vcc_lo, exec_lo, s17
	s_cbranch_vccz .LBB79_3268
; %bb.3265:
	s_cmp_eq_u32 s10, 29
	s_cbranch_scc0 .LBB79_3267
; %bb.3266:
	global_load_b64 v[20:21], v[32:33], off
	s_mov_b32 s6, 0
	s_mov_b32 s16, -1
	s_branch .LBB79_3268
.LBB79_3267:
	s_mov_b32 s6, -1
                                        ; implicit-def: $vgpr20_vgpr21
.LBB79_3268:
	s_mov_b32 s17, 0
.LBB79_3269:
	s_delay_alu instid0(SALU_CYCLE_1)
	s_and_b32 vcc_lo, exec_lo, s17
	s_cbranch_vccz .LBB79_3285
; %bb.3270:
	s_cmp_lt_i32 s10, 27
	s_cbranch_scc1 .LBB79_3273
; %bb.3271:
	s_cmp_gt_i32 s10, 27
	s_cbranch_scc0 .LBB79_3274
; %bb.3272:
	s_wait_loadcnt 0x0
	global_load_b32 v20, v[32:33], off
	v_mov_b32_e32 v21, 0
	s_mov_b32 s16, 0
	s_branch .LBB79_3275
.LBB79_3273:
	s_mov_b32 s16, -1
                                        ; implicit-def: $vgpr20_vgpr21
	s_branch .LBB79_3278
.LBB79_3274:
	s_mov_b32 s16, -1
                                        ; implicit-def: $vgpr20_vgpr21
.LBB79_3275:
	s_delay_alu instid0(SALU_CYCLE_1)
	s_and_not1_b32 vcc_lo, exec_lo, s16
	s_cbranch_vccnz .LBB79_3277
; %bb.3276:
	global_load_u16 v1, v[32:33], off
	s_mov_b32 s16, 0
	s_wait_loadcnt 0x1
	v_mov_b32_e32 v21, s16
	s_wait_loadcnt 0x0
	v_and_b32_e32 v20, 0xffff, v1
.LBB79_3277:
	s_mov_b32 s16, 0
.LBB79_3278:
	s_delay_alu instid0(SALU_CYCLE_1)
	s_and_not1_b32 vcc_lo, exec_lo, s16
	s_cbranch_vccnz .LBB79_3284
; %bb.3279:
	global_load_u8 v1, v[32:33], off
	s_mov_b32 s17, 0
	s_mov_b32 s16, exec_lo
	s_wait_loadcnt 0x0
	v_cmpx_lt_i16_e32 0x7f, v1
	s_xor_b32 s16, exec_lo, s16
	s_cbranch_execz .LBB79_3296
; %bb.3280:
	v_cmp_ne_u16_e32 vcc_lo, 0x80, v1
	s_and_b32 s17, vcc_lo, exec_lo
	s_and_not1_saveexec_b32 s16, s16
	s_cbranch_execnz .LBB79_3297
.LBB79_3281:
	s_or_b32 exec_lo, exec_lo, s16
	v_mov_b64_e32 v[20:21], 0
	s_and_saveexec_b32 s16, s17
	s_cbranch_execz .LBB79_3283
.LBB79_3282:
	v_and_b32_e32 v3, 0xffff, v1
	s_delay_alu instid0(VALU_DEP_1) | instskip(SKIP_1) | instid1(VALU_DEP_2)
	v_dual_lshlrev_b32 v1, 24, v1 :: v_dual_bitop2_b32 v5, 7, v3 bitop3:0x40
	v_bfe_u32 v15, v3, 3, 4
	v_and_b32_e32 v1, 0x80000000, v1
	s_delay_alu instid0(VALU_DEP_3) | instskip(NEXT) | instid1(VALU_DEP_3)
	v_clz_i32_u32_e32 v7, v5
	v_cmp_eq_u32_e32 vcc_lo, 0, v15
	s_delay_alu instid0(VALU_DEP_2) | instskip(NEXT) | instid1(VALU_DEP_1)
	v_min_u32_e32 v7, 32, v7
	v_subrev_nc_u32_e32 v11, 28, v7
	v_sub_nc_u32_e32 v7, 29, v7
	s_delay_alu instid0(VALU_DEP_2) | instskip(NEXT) | instid1(VALU_DEP_2)
	v_lshlrev_b32_e32 v3, v11, v3
	v_cndmask_b32_e32 v7, v15, v7, vcc_lo
	s_delay_alu instid0(VALU_DEP_2) | instskip(NEXT) | instid1(VALU_DEP_1)
	v_and_b32_e32 v3, 7, v3
	v_cndmask_b32_e32 v3, v5, v3, vcc_lo
	s_delay_alu instid0(VALU_DEP_3) | instskip(NEXT) | instid1(VALU_DEP_2)
	v_lshl_add_u32 v5, v7, 23, 0x3b800000
	v_lshlrev_b32_e32 v3, 20, v3
	s_delay_alu instid0(VALU_DEP_1) | instskip(NEXT) | instid1(VALU_DEP_1)
	v_or3_b32 v1, v1, v5, v3
	v_trunc_f32_e32 v1, v1
	s_delay_alu instid0(VALU_DEP_1) | instskip(SKIP_1) | instid1(VALU_DEP_2)
	v_mul_f32_e64 v3, 0x2f800000, |v1|
	v_ashrrev_i32_e32 v20, 31, v1
	v_floor_f32_e32 v3, v3
	s_delay_alu instid0(VALU_DEP_2) | instskip(NEXT) | instid1(VALU_DEP_2)
	v_mov_b32_e32 v21, v20
	v_fma_f32 v5, 0xcf800000, v3, |v1|
	v_cvt_u32_f32_e32 v1, v3
	s_delay_alu instid0(VALU_DEP_2) | instskip(NEXT) | instid1(VALU_DEP_2)
	v_cvt_u32_f32_e32 v3, v5
	v_xor_b32_e32 v35, v1, v20
	s_delay_alu instid0(VALU_DEP_2) | instskip(NEXT) | instid1(VALU_DEP_1)
	v_xor_b32_e32 v34, v3, v20
	v_sub_nc_u64_e32 v[20:21], v[34:35], v[20:21]
.LBB79_3283:
	s_or_b32 exec_lo, exec_lo, s16
.LBB79_3284:
	s_mov_b32 s16, -1
.LBB79_3285:
	s_mov_b32 s17, 0
.LBB79_3286:
	s_delay_alu instid0(SALU_CYCLE_1)
	s_and_b32 vcc_lo, exec_lo, s17
	s_cbranch_vccz .LBB79_3317
; %bb.3287:
	s_cmp_gt_i32 s10, 22
	s_cbranch_scc0 .LBB79_3295
; %bb.3288:
	s_cmp_lt_i32 s10, 24
	s_cbranch_scc1 .LBB79_3298
; %bb.3289:
	s_cmp_gt_i32 s10, 24
	s_cbranch_scc0 .LBB79_3299
; %bb.3290:
	global_load_u8 v1, v[32:33], off
	s_mov_b32 s16, 0
	s_mov_b32 s7, exec_lo
	s_wait_loadcnt 0x0
	v_cmpx_lt_i16_e32 0x7f, v1
	s_xor_b32 s7, exec_lo, s7
	s_cbranch_execz .LBB79_3311
; %bb.3291:
	v_cmp_ne_u16_e32 vcc_lo, 0x80, v1
	s_and_b32 s16, vcc_lo, exec_lo
	s_and_not1_saveexec_b32 s7, s7
	s_cbranch_execnz .LBB79_3312
.LBB79_3292:
	s_or_b32 exec_lo, exec_lo, s7
	v_mov_b64_e32 v[20:21], 0
	s_and_saveexec_b32 s7, s16
	s_cbranch_execz .LBB79_3294
.LBB79_3293:
	v_and_b32_e32 v3, 0xffff, v1
	s_delay_alu instid0(VALU_DEP_1) | instskip(SKIP_1) | instid1(VALU_DEP_2)
	v_dual_lshlrev_b32 v1, 24, v1 :: v_dual_bitop2_b32 v5, 3, v3 bitop3:0x40
	v_bfe_u32 v15, v3, 2, 5
	v_and_b32_e32 v1, 0x80000000, v1
	s_delay_alu instid0(VALU_DEP_3) | instskip(NEXT) | instid1(VALU_DEP_3)
	v_clz_i32_u32_e32 v7, v5
	v_cmp_eq_u32_e32 vcc_lo, 0, v15
	s_delay_alu instid0(VALU_DEP_2) | instskip(NEXT) | instid1(VALU_DEP_1)
	v_min_u32_e32 v7, 32, v7
	v_subrev_nc_u32_e32 v11, 29, v7
	v_sub_nc_u32_e32 v7, 30, v7
	s_delay_alu instid0(VALU_DEP_2) | instskip(NEXT) | instid1(VALU_DEP_2)
	v_lshlrev_b32_e32 v3, v11, v3
	v_cndmask_b32_e32 v7, v15, v7, vcc_lo
	s_delay_alu instid0(VALU_DEP_2) | instskip(NEXT) | instid1(VALU_DEP_1)
	v_and_b32_e32 v3, 3, v3
	v_cndmask_b32_e32 v3, v5, v3, vcc_lo
	s_delay_alu instid0(VALU_DEP_3) | instskip(NEXT) | instid1(VALU_DEP_2)
	v_lshl_add_u32 v5, v7, 23, 0x37800000
	v_lshlrev_b32_e32 v3, 21, v3
	s_delay_alu instid0(VALU_DEP_1) | instskip(NEXT) | instid1(VALU_DEP_1)
	v_or3_b32 v1, v1, v5, v3
	v_trunc_f32_e32 v1, v1
	s_delay_alu instid0(VALU_DEP_1) | instskip(SKIP_1) | instid1(VALU_DEP_2)
	v_mul_f32_e64 v3, 0x2f800000, |v1|
	v_ashrrev_i32_e32 v20, 31, v1
	v_floor_f32_e32 v3, v3
	s_delay_alu instid0(VALU_DEP_2) | instskip(NEXT) | instid1(VALU_DEP_2)
	v_mov_b32_e32 v21, v20
	v_fma_f32 v5, 0xcf800000, v3, |v1|
	v_cvt_u32_f32_e32 v1, v3
	s_delay_alu instid0(VALU_DEP_2) | instskip(NEXT) | instid1(VALU_DEP_2)
	v_cvt_u32_f32_e32 v3, v5
	v_xor_b32_e32 v35, v1, v20
	s_delay_alu instid0(VALU_DEP_2) | instskip(NEXT) | instid1(VALU_DEP_1)
	v_xor_b32_e32 v34, v3, v20
	v_sub_nc_u64_e32 v[20:21], v[34:35], v[20:21]
.LBB79_3294:
	s_or_b32 exec_lo, exec_lo, s7
	s_mov_b32 s7, 0
	s_branch .LBB79_3300
.LBB79_3295:
	s_mov_b32 s7, -1
                                        ; implicit-def: $vgpr20_vgpr21
	s_branch .LBB79_3306
.LBB79_3296:
	s_and_not1_saveexec_b32 s16, s16
	s_cbranch_execz .LBB79_3281
.LBB79_3297:
	v_cmp_ne_u16_e32 vcc_lo, 0, v1
	s_and_not1_b32 s17, s17, exec_lo
	s_and_b32 s18, vcc_lo, exec_lo
	s_delay_alu instid0(SALU_CYCLE_1)
	s_or_b32 s17, s17, s18
	s_or_b32 exec_lo, exec_lo, s16
	v_mov_b64_e32 v[20:21], 0
	s_and_saveexec_b32 s16, s17
	s_cbranch_execnz .LBB79_3282
	s_branch .LBB79_3283
.LBB79_3298:
	s_mov_b32 s7, -1
                                        ; implicit-def: $vgpr20_vgpr21
	s_branch .LBB79_3303
.LBB79_3299:
	s_mov_b32 s7, -1
                                        ; implicit-def: $vgpr20_vgpr21
.LBB79_3300:
	s_delay_alu instid0(SALU_CYCLE_1)
	s_and_b32 vcc_lo, exec_lo, s7
	s_cbranch_vccz .LBB79_3302
; %bb.3301:
	global_load_u8 v1, v[32:33], off
	s_wait_loadcnt 0x0
	v_lshlrev_b32_e32 v1, 24, v1
	s_delay_alu instid0(VALU_DEP_1) | instskip(NEXT) | instid1(VALU_DEP_1)
	v_and_b32_e32 v3, 0x7f000000, v1
	v_clz_i32_u32_e32 v5, v3
	v_add_nc_u32_e32 v11, 0x1000000, v3
	v_cmp_ne_u32_e32 vcc_lo, 0, v3
	s_delay_alu instid0(VALU_DEP_3) | instskip(NEXT) | instid1(VALU_DEP_1)
	v_min_u32_e32 v5, 32, v5
	v_sub_nc_u32_e64 v5, v5, 4 clamp
	s_delay_alu instid0(VALU_DEP_1) | instskip(NEXT) | instid1(VALU_DEP_1)
	v_dual_lshlrev_b32 v7, v5, v3 :: v_dual_lshlrev_b32 v5, 23, v5
	v_lshrrev_b32_e32 v7, 4, v7
	s_delay_alu instid0(VALU_DEP_1) | instskip(NEXT) | instid1(VALU_DEP_1)
	v_dual_sub_nc_u32 v5, v7, v5 :: v_dual_ashrrev_i32 v7, 8, v11
	v_add_nc_u32_e32 v5, 0x3c000000, v5
	s_delay_alu instid0(VALU_DEP_1) | instskip(NEXT) | instid1(VALU_DEP_1)
	v_and_or_b32 v5, 0x7f800000, v7, v5
	v_cndmask_b32_e32 v3, 0, v5, vcc_lo
	s_delay_alu instid0(VALU_DEP_1) | instskip(NEXT) | instid1(VALU_DEP_1)
	v_and_or_b32 v1, 0x80000000, v1, v3
	v_trunc_f32_e32 v1, v1
	s_delay_alu instid0(VALU_DEP_1) | instskip(SKIP_1) | instid1(VALU_DEP_2)
	v_mul_f32_e64 v3, 0x2f800000, |v1|
	v_ashrrev_i32_e32 v20, 31, v1
	v_floor_f32_e32 v3, v3
	s_delay_alu instid0(VALU_DEP_2) | instskip(NEXT) | instid1(VALU_DEP_2)
	v_mov_b32_e32 v21, v20
	v_fma_f32 v5, 0xcf800000, v3, |v1|
	v_cvt_u32_f32_e32 v1, v3
	s_delay_alu instid0(VALU_DEP_2) | instskip(NEXT) | instid1(VALU_DEP_2)
	v_cvt_u32_f32_e32 v3, v5
	v_xor_b32_e32 v35, v1, v20
	s_delay_alu instid0(VALU_DEP_2) | instskip(NEXT) | instid1(VALU_DEP_1)
	v_xor_b32_e32 v34, v3, v20
	v_sub_nc_u64_e32 v[20:21], v[34:35], v[20:21]
.LBB79_3302:
	s_mov_b32 s7, 0
.LBB79_3303:
	s_delay_alu instid0(SALU_CYCLE_1)
	s_and_not1_b32 vcc_lo, exec_lo, s7
	s_cbranch_vccnz .LBB79_3305
; %bb.3304:
	global_load_u8 v1, v[32:33], off
	s_wait_loadcnt 0x0
	v_lshlrev_b32_e32 v3, 25, v1
	v_lshlrev_b16 v1, 8, v1
	s_delay_alu instid0(VALU_DEP_1) | instskip(SKIP_1) | instid1(VALU_DEP_2)
	v_and_or_b32 v7, 0x7f00, v1, 0.5
	v_bfe_i32 v1, v1, 0, 16
	v_add_f32_e32 v7, -0.5, v7
	v_lshrrev_b32_e32 v5, 4, v3
	v_cmp_gt_u32_e32 vcc_lo, 0x8000000, v3
	s_delay_alu instid0(VALU_DEP_2) | instskip(NEXT) | instid1(VALU_DEP_1)
	v_or_b32_e32 v5, 0x70000000, v5
	v_mul_f32_e32 v5, 0x7800000, v5
	s_delay_alu instid0(VALU_DEP_1) | instskip(NEXT) | instid1(VALU_DEP_1)
	v_cndmask_b32_e32 v3, v5, v7, vcc_lo
	v_and_or_b32 v1, 0x80000000, v1, v3
	s_delay_alu instid0(VALU_DEP_1) | instskip(NEXT) | instid1(VALU_DEP_1)
	v_trunc_f32_e32 v1, v1
	v_mul_f32_e64 v3, 0x2f800000, |v1|
	v_ashrrev_i32_e32 v20, 31, v1
	s_delay_alu instid0(VALU_DEP_2) | instskip(NEXT) | instid1(VALU_DEP_2)
	v_floor_f32_e32 v3, v3
	v_mov_b32_e32 v21, v20
	s_delay_alu instid0(VALU_DEP_2) | instskip(SKIP_1) | instid1(VALU_DEP_2)
	v_fma_f32 v5, 0xcf800000, v3, |v1|
	v_cvt_u32_f32_e32 v1, v3
	v_cvt_u32_f32_e32 v3, v5
	s_delay_alu instid0(VALU_DEP_2) | instskip(NEXT) | instid1(VALU_DEP_2)
	v_xor_b32_e32 v35, v1, v20
	v_xor_b32_e32 v34, v3, v20
	s_delay_alu instid0(VALU_DEP_1)
	v_sub_nc_u64_e32 v[20:21], v[34:35], v[20:21]
.LBB79_3305:
	s_mov_b32 s7, 0
	s_mov_b32 s16, -1
.LBB79_3306:
	s_and_not1_b32 vcc_lo, exec_lo, s7
	s_mov_b32 s7, 0
	s_cbranch_vccnz .LBB79_3317
; %bb.3307:
	s_cmp_gt_i32 s10, 14
	s_cbranch_scc0 .LBB79_3310
; %bb.3308:
	s_cmp_eq_u32 s10, 15
	s_cbranch_scc0 .LBB79_3313
; %bb.3309:
	global_load_u16 v1, v[32:33], off
	s_mov_b32 s6, 0
	s_mov_b32 s16, -1
	s_wait_loadcnt 0x0
	v_lshlrev_b32_e32 v1, 16, v1
	s_delay_alu instid0(VALU_DEP_1) | instskip(NEXT) | instid1(VALU_DEP_1)
	v_trunc_f32_e32 v1, v1
	v_mul_f32_e64 v3, 0x2f800000, |v1|
	v_ashrrev_i32_e32 v20, 31, v1
	s_delay_alu instid0(VALU_DEP_2) | instskip(NEXT) | instid1(VALU_DEP_2)
	v_floor_f32_e32 v3, v3
	v_mov_b32_e32 v21, v20
	s_delay_alu instid0(VALU_DEP_2) | instskip(SKIP_1) | instid1(VALU_DEP_2)
	v_fma_f32 v5, 0xcf800000, v3, |v1|
	v_cvt_u32_f32_e32 v1, v3
	v_cvt_u32_f32_e32 v3, v5
	s_delay_alu instid0(VALU_DEP_2) | instskip(NEXT) | instid1(VALU_DEP_2)
	v_xor_b32_e32 v35, v1, v20
	v_xor_b32_e32 v34, v3, v20
	s_delay_alu instid0(VALU_DEP_1)
	v_sub_nc_u64_e32 v[20:21], v[34:35], v[20:21]
	s_branch .LBB79_3315
.LBB79_3310:
	s_mov_b32 s7, -1
	s_branch .LBB79_3314
.LBB79_3311:
	s_and_not1_saveexec_b32 s7, s7
	s_cbranch_execz .LBB79_3292
.LBB79_3312:
	v_cmp_ne_u16_e32 vcc_lo, 0, v1
	s_and_not1_b32 s16, s16, exec_lo
	s_and_b32 s17, vcc_lo, exec_lo
	s_delay_alu instid0(SALU_CYCLE_1)
	s_or_b32 s16, s16, s17
	s_or_b32 exec_lo, exec_lo, s7
	v_mov_b64_e32 v[20:21], 0
	s_and_saveexec_b32 s7, s16
	s_cbranch_execnz .LBB79_3293
	s_branch .LBB79_3294
.LBB79_3313:
	s_mov_b32 s6, -1
.LBB79_3314:
                                        ; implicit-def: $vgpr20_vgpr21
.LBB79_3315:
	s_and_b32 vcc_lo, exec_lo, s7
	s_mov_b32 s7, 0
	s_cbranch_vccz .LBB79_3317
; %bb.3316:
	s_cmp_lg_u32 s10, 11
	s_mov_b32 s7, -1
	s_cselect_b32 s6, -1, 0
.LBB79_3317:
	s_delay_alu instid0(SALU_CYCLE_1)
	s_and_b32 vcc_lo, exec_lo, s6
	s_cbranch_vccnz .LBB79_3382
; %bb.3318:
	s_and_not1_b32 vcc_lo, exec_lo, s7
	s_cbranch_vccnz .LBB79_3320
.LBB79_3319:
	global_load_u8 v1, v[32:33], off
	s_mov_b32 s6, 0
	s_mov_b32 s16, -1
	s_wait_loadcnt 0x1
	v_mov_b32_e32 v21, s6
	s_wait_loadcnt 0x0
	v_cmp_ne_u16_e32 vcc_lo, 0, v1
	v_cndmask_b32_e64 v20, 0, 1, vcc_lo
.LBB79_3320:
	s_mov_b32 s6, 0
.LBB79_3321:
	s_delay_alu instid0(SALU_CYCLE_1)
	s_and_b32 vcc_lo, exec_lo, s6
	s_cbranch_vccz .LBB79_3370
; %bb.3322:
	s_cmp_lt_i32 s10, 5
	s_cbranch_scc1 .LBB79_3327
; %bb.3323:
	s_cmp_lt_i32 s10, 8
	s_cbranch_scc1 .LBB79_3328
	;; [unrolled: 3-line block ×3, first 2 shown]
; %bb.3325:
	s_cmp_gt_i32 s10, 9
	s_cbranch_scc0 .LBB79_3330
; %bb.3326:
	s_wait_loadcnt 0x0
	global_load_b64 v[20:21], v[32:33], off
	s_mov_b32 s6, 0
	s_wait_loadcnt 0x0
	v_trunc_f64_e32 v[20:21], v[20:21]
	s_delay_alu instid0(VALU_DEP_1) | instskip(NEXT) | instid1(VALU_DEP_1)
	v_ldexp_f64 v[34:35], v[20:21], 0xffffffe0
	v_floor_f64_e32 v[34:35], v[34:35]
	s_delay_alu instid0(VALU_DEP_1) | instskip(SKIP_1) | instid1(VALU_DEP_2)
	v_fmamk_f64 v[36:37], v[34:35], 0xc1f00000, v[20:21]
	v_cvt_i32_f64_e32 v21, v[34:35]
	v_cvt_u32_f64_e32 v20, v[36:37]
	s_branch .LBB79_3331
.LBB79_3327:
	s_mov_b32 s6, -1
                                        ; implicit-def: $vgpr20_vgpr21
	s_branch .LBB79_3349
.LBB79_3328:
	s_mov_b32 s6, -1
                                        ; implicit-def: $vgpr20_vgpr21
	s_branch .LBB79_3337
.LBB79_3329:
	s_mov_b32 s6, -1
                                        ; implicit-def: $vgpr20_vgpr21
	s_branch .LBB79_3334
.LBB79_3330:
	s_mov_b32 s6, -1
                                        ; implicit-def: $vgpr20_vgpr21
.LBB79_3331:
	s_delay_alu instid0(SALU_CYCLE_1)
	s_and_not1_b32 vcc_lo, exec_lo, s6
	s_cbranch_vccnz .LBB79_3333
; %bb.3332:
	global_load_b32 v1, v[32:33], off
	s_wait_loadcnt 0x0
	v_trunc_f32_e32 v1, v1
	s_delay_alu instid0(VALU_DEP_1) | instskip(SKIP_1) | instid1(VALU_DEP_2)
	v_mul_f32_e64 v3, 0x2f800000, |v1|
	v_ashrrev_i32_e32 v20, 31, v1
	v_floor_f32_e32 v3, v3
	s_delay_alu instid0(VALU_DEP_1) | instskip(SKIP_1) | instid1(VALU_DEP_4)
	v_fma_f32 v5, 0xcf800000, v3, |v1|
	v_cvt_u32_f32_e32 v1, v3
	v_mov_b32_e32 v21, v20
	s_delay_alu instid0(VALU_DEP_3) | instskip(NEXT) | instid1(VALU_DEP_3)
	v_cvt_u32_f32_e32 v3, v5
	v_xor_b32_e32 v35, v1, v20
	s_delay_alu instid0(VALU_DEP_2) | instskip(NEXT) | instid1(VALU_DEP_1)
	v_xor_b32_e32 v34, v3, v20
	v_sub_nc_u64_e32 v[20:21], v[34:35], v[20:21]
.LBB79_3333:
	s_mov_b32 s6, 0
.LBB79_3334:
	s_delay_alu instid0(SALU_CYCLE_1)
	s_and_not1_b32 vcc_lo, exec_lo, s6
	s_cbranch_vccnz .LBB79_3336
; %bb.3335:
	global_load_b32 v1, v[32:33], off
	s_wait_loadcnt 0x0
	v_cvt_f32_f16_e32 v1, v1
	s_delay_alu instid0(VALU_DEP_1) | instskip(NEXT) | instid1(VALU_DEP_1)
	v_cvt_i32_f32_e32 v20, v1
	v_ashrrev_i32_e32 v21, 31, v20
.LBB79_3336:
	s_mov_b32 s6, 0
.LBB79_3337:
	s_delay_alu instid0(SALU_CYCLE_1)
	s_and_not1_b32 vcc_lo, exec_lo, s6
	s_cbranch_vccnz .LBB79_3348
; %bb.3338:
	s_cmp_lt_i32 s10, 6
	s_cbranch_scc1 .LBB79_3341
; %bb.3339:
	s_cmp_gt_i32 s10, 6
	s_cbranch_scc0 .LBB79_3342
; %bb.3340:
	s_wait_loadcnt 0x0
	global_load_b64 v[20:21], v[32:33], off
	s_mov_b32 s6, 0
	s_wait_loadcnt 0x0
	v_trunc_f64_e32 v[20:21], v[20:21]
	s_delay_alu instid0(VALU_DEP_1) | instskip(NEXT) | instid1(VALU_DEP_1)
	v_ldexp_f64 v[34:35], v[20:21], 0xffffffe0
	v_floor_f64_e32 v[34:35], v[34:35]
	s_delay_alu instid0(VALU_DEP_1) | instskip(SKIP_1) | instid1(VALU_DEP_2)
	v_fmamk_f64 v[36:37], v[34:35], 0xc1f00000, v[20:21]
	v_cvt_i32_f64_e32 v21, v[34:35]
	v_cvt_u32_f64_e32 v20, v[36:37]
	s_branch .LBB79_3343
.LBB79_3341:
	s_mov_b32 s6, -1
                                        ; implicit-def: $vgpr20_vgpr21
	s_branch .LBB79_3346
.LBB79_3342:
	s_mov_b32 s6, -1
                                        ; implicit-def: $vgpr20_vgpr21
.LBB79_3343:
	s_delay_alu instid0(SALU_CYCLE_1)
	s_and_not1_b32 vcc_lo, exec_lo, s6
	s_cbranch_vccnz .LBB79_3345
; %bb.3344:
	global_load_b32 v1, v[32:33], off
	s_wait_loadcnt 0x0
	v_trunc_f32_e32 v1, v1
	s_delay_alu instid0(VALU_DEP_1) | instskip(SKIP_1) | instid1(VALU_DEP_2)
	v_mul_f32_e64 v3, 0x2f800000, |v1|
	v_ashrrev_i32_e32 v20, 31, v1
	v_floor_f32_e32 v3, v3
	s_delay_alu instid0(VALU_DEP_1) | instskip(SKIP_1) | instid1(VALU_DEP_4)
	v_fma_f32 v5, 0xcf800000, v3, |v1|
	v_cvt_u32_f32_e32 v1, v3
	v_mov_b32_e32 v21, v20
	s_delay_alu instid0(VALU_DEP_3) | instskip(NEXT) | instid1(VALU_DEP_3)
	v_cvt_u32_f32_e32 v3, v5
	v_xor_b32_e32 v35, v1, v20
	s_delay_alu instid0(VALU_DEP_2) | instskip(NEXT) | instid1(VALU_DEP_1)
	v_xor_b32_e32 v34, v3, v20
	v_sub_nc_u64_e32 v[20:21], v[34:35], v[20:21]
.LBB79_3345:
	s_mov_b32 s6, 0
.LBB79_3346:
	s_delay_alu instid0(SALU_CYCLE_1)
	s_and_not1_b32 vcc_lo, exec_lo, s6
	s_cbranch_vccnz .LBB79_3348
; %bb.3347:
	global_load_u16 v1, v[32:33], off
	s_wait_loadcnt 0x0
	v_cvt_f32_f16_e32 v1, v1
	s_delay_alu instid0(VALU_DEP_1) | instskip(NEXT) | instid1(VALU_DEP_1)
	v_cvt_i32_f32_e32 v20, v1
	v_ashrrev_i32_e32 v21, 31, v20
.LBB79_3348:
	s_mov_b32 s6, 0
.LBB79_3349:
	s_delay_alu instid0(SALU_CYCLE_1)
	s_and_not1_b32 vcc_lo, exec_lo, s6
	s_cbranch_vccnz .LBB79_3369
; %bb.3350:
	s_cmp_lt_i32 s10, 2
	s_cbranch_scc1 .LBB79_3354
; %bb.3351:
	s_cmp_lt_i32 s10, 3
	s_cbranch_scc1 .LBB79_3355
; %bb.3352:
	s_cmp_gt_i32 s10, 3
	s_cbranch_scc0 .LBB79_3356
; %bb.3353:
	s_wait_loadcnt 0x0
	global_load_b64 v[20:21], v[32:33], off
	s_mov_b32 s6, 0
	s_branch .LBB79_3357
.LBB79_3354:
	s_mov_b32 s6, -1
                                        ; implicit-def: $vgpr20_vgpr21
	s_branch .LBB79_3363
.LBB79_3355:
	s_mov_b32 s6, -1
                                        ; implicit-def: $vgpr20_vgpr21
	s_branch .LBB79_3360
.LBB79_3356:
	s_mov_b32 s6, -1
                                        ; implicit-def: $vgpr20_vgpr21
.LBB79_3357:
	s_delay_alu instid0(SALU_CYCLE_1)
	s_and_not1_b32 vcc_lo, exec_lo, s6
	s_cbranch_vccnz .LBB79_3359
; %bb.3358:
	s_wait_loadcnt 0x0
	global_load_b32 v20, v[32:33], off
	s_wait_loadcnt 0x0
	v_ashrrev_i32_e32 v21, 31, v20
.LBB79_3359:
	s_mov_b32 s6, 0
.LBB79_3360:
	s_delay_alu instid0(SALU_CYCLE_1)
	s_and_not1_b32 vcc_lo, exec_lo, s6
	s_cbranch_vccnz .LBB79_3362
; %bb.3361:
	global_load_u16 v1, v[32:33], off
	s_wait_loadcnt 0x0
	v_bfe_i32 v20, v1, 0, 16
	s_delay_alu instid0(VALU_DEP_1)
	v_ashrrev_i32_e32 v21, 31, v20
.LBB79_3362:
	s_mov_b32 s6, 0
.LBB79_3363:
	s_delay_alu instid0(SALU_CYCLE_1)
	s_and_not1_b32 vcc_lo, exec_lo, s6
	s_cbranch_vccnz .LBB79_3369
; %bb.3364:
	s_cmp_gt_i32 s10, 0
	s_mov_b32 s6, 0
	s_cbranch_scc0 .LBB79_3366
; %bb.3365:
	global_load_i8 v1, v[32:33], off
	s_wait_loadcnt 0x0
	v_bfe_i32 v20, v1, 0, 16
	s_delay_alu instid0(VALU_DEP_1)
	v_ashrrev_i32_e32 v21, 31, v20
	s_branch .LBB79_3367
.LBB79_3366:
	s_mov_b32 s6, -1
                                        ; implicit-def: $vgpr20_vgpr21
.LBB79_3367:
	s_delay_alu instid0(SALU_CYCLE_1)
	s_and_not1_b32 vcc_lo, exec_lo, s6
	s_cbranch_vccnz .LBB79_3369
; %bb.3368:
	global_load_u8 v1, v[32:33], off
	s_mov_b32 s6, 0
	s_wait_loadcnt 0x1
	v_mov_b32_e32 v21, s6
	s_wait_loadcnt 0x0
	v_and_b32_e32 v20, 0xffff, v1
.LBB79_3369:
	s_mov_b32 s16, -1
.LBB79_3370:
	s_delay_alu instid0(SALU_CYCLE_1)
	s_and_not1_b32 vcc_lo, exec_lo, s16
	s_cbranch_vccnz .LBB79_4058
; %bb.3371:
	v_mov_b32_e32 v15, 0
	s_cmp_lt_i32 s11, 11
	s_wait_xcnt 0x0
	s_delay_alu instid0(VALU_DEP_1)
	v_add_nc_u64_e32 v[32:33], s[0:1], v[14:15]
	s_cbranch_scc1 .LBB79_3378
; %bb.3372:
	s_cmp_gt_i32 s11, 25
	s_mov_b32 s1, 0
	s_cbranch_scc0 .LBB79_3379
; %bb.3373:
	s_cmp_gt_i32 s11, 28
	s_cbranch_scc0 .LBB79_3380
; %bb.3374:
	s_cmp_gt_i32 s11, 43
	;; [unrolled: 3-line block ×3, first 2 shown]
	s_cbranch_scc0 .LBB79_3383
; %bb.3376:
	s_cmp_eq_u32 s11, 46
	s_mov_b32 s7, 0
	s_cbranch_scc0 .LBB79_3384
; %bb.3377:
	global_load_b32 v1, v[32:33], off
	s_mov_b32 s0, 0
	s_mov_b32 s6, -1
	s_wait_loadcnt 0x0
	v_lshlrev_b32_e32 v1, 16, v1
	s_delay_alu instid0(VALU_DEP_1) | instskip(NEXT) | instid1(VALU_DEP_1)
	v_trunc_f32_e32 v1, v1
	v_mul_f32_e64 v3, 0x2f800000, |v1|
	v_ashrrev_i32_e32 v14, 31, v1
	s_delay_alu instid0(VALU_DEP_2) | instskip(NEXT) | instid1(VALU_DEP_2)
	v_floor_f32_e32 v3, v3
	v_mov_b32_e32 v15, v14
	s_delay_alu instid0(VALU_DEP_2) | instskip(SKIP_1) | instid1(VALU_DEP_2)
	v_fma_f32 v5, 0xcf800000, v3, |v1|
	v_cvt_u32_f32_e32 v1, v3
	v_cvt_u32_f32_e32 v3, v5
	s_delay_alu instid0(VALU_DEP_2) | instskip(NEXT) | instid1(VALU_DEP_2)
	v_xor_b32_e32 v35, v1, v14
	v_xor_b32_e32 v34, v3, v14
	s_delay_alu instid0(VALU_DEP_1)
	v_sub_nc_u64_e32 v[14:15], v[34:35], v[14:15]
	s_branch .LBB79_3386
.LBB79_3378:
	s_mov_b32 s0, -1
	s_mov_b32 s6, 0
                                        ; implicit-def: $vgpr14_vgpr15
	s_branch .LBB79_3448
.LBB79_3379:
	s_mov_b32 s7, -1
	s_mov_b32 s6, 0
	s_mov_b32 s0, 0
                                        ; implicit-def: $vgpr14_vgpr15
	s_branch .LBB79_3413
.LBB79_3380:
	s_mov_b32 s7, -1
	s_mov_b32 s6, 0
	s_mov_b32 s0, 0
                                        ; implicit-def: $vgpr14_vgpr15
	s_branch .LBB79_3396
.LBB79_3381:
	s_mov_b32 s7, -1
	s_mov_b32 s6, 0
	s_mov_b32 s0, 0
                                        ; implicit-def: $vgpr14_vgpr15
	s_branch .LBB79_3391
.LBB79_3382:
	s_or_b32 s14, s14, exec_lo
	s_trap 2
	s_cbranch_execz .LBB79_3319
	s_branch .LBB79_3320
.LBB79_3383:
	s_mov_b32 s7, -1
	s_mov_b32 s6, 0
	s_mov_b32 s0, 0
	s_branch .LBB79_3385
.LBB79_3384:
	s_mov_b32 s0, -1
	s_mov_b32 s6, 0
.LBB79_3385:
                                        ; implicit-def: $vgpr14_vgpr15
.LBB79_3386:
	s_and_b32 vcc_lo, exec_lo, s7
	s_cbranch_vccz .LBB79_3390
; %bb.3387:
	s_cmp_eq_u32 s11, 44
	s_cbranch_scc0 .LBB79_3389
; %bb.3388:
	global_load_u8 v1, v[32:33], off
	s_mov_b32 s0, 0
	s_mov_b32 s6, -1
	s_wait_loadcnt 0x0
	v_lshlrev_b32_e32 v3, 23, v1
	v_cmp_ne_u32_e32 vcc_lo, 0, v1
	s_delay_alu instid0(VALU_DEP_2) | instskip(NEXT) | instid1(VALU_DEP_1)
	v_trunc_f32_e32 v3, v3
	v_mul_f32_e64 v5, 0x2f800000, |v3|
	v_ashrrev_i32_e32 v14, 31, v3
	s_delay_alu instid0(VALU_DEP_2) | instskip(NEXT) | instid1(VALU_DEP_2)
	v_floor_f32_e32 v5, v5
	v_mov_b32_e32 v15, v14
	s_delay_alu instid0(VALU_DEP_2) | instskip(SKIP_1) | instid1(VALU_DEP_2)
	v_fma_f32 v7, 0xcf800000, v5, |v3|
	v_cvt_u32_f32_e32 v3, v5
	v_cvt_u32_f32_e32 v5, v7
	s_delay_alu instid0(VALU_DEP_2) | instskip(NEXT) | instid1(VALU_DEP_2)
	v_xor_b32_e32 v35, v3, v14
	v_xor_b32_e32 v34, v5, v14
	s_delay_alu instid0(VALU_DEP_1) | instskip(NEXT) | instid1(VALU_DEP_1)
	v_sub_nc_u64_e32 v[14:15], v[34:35], v[14:15]
	v_dual_cndmask_b32 v15, 0, v15 :: v_dual_cndmask_b32 v14, 0, v14
	s_branch .LBB79_3390
.LBB79_3389:
	s_mov_b32 s0, -1
                                        ; implicit-def: $vgpr14_vgpr15
.LBB79_3390:
	s_mov_b32 s7, 0
.LBB79_3391:
	s_delay_alu instid0(SALU_CYCLE_1)
	s_and_b32 vcc_lo, exec_lo, s7
	s_cbranch_vccz .LBB79_3395
; %bb.3392:
	s_cmp_eq_u32 s11, 29
	s_cbranch_scc0 .LBB79_3394
; %bb.3393:
	global_load_b64 v[14:15], v[32:33], off
	s_mov_b32 s0, 0
	s_mov_b32 s6, -1
	s_branch .LBB79_3395
.LBB79_3394:
	s_mov_b32 s0, -1
                                        ; implicit-def: $vgpr14_vgpr15
.LBB79_3395:
	s_mov_b32 s7, 0
.LBB79_3396:
	s_delay_alu instid0(SALU_CYCLE_1)
	s_and_b32 vcc_lo, exec_lo, s7
	s_cbranch_vccz .LBB79_3412
; %bb.3397:
	s_cmp_lt_i32 s11, 27
	s_cbranch_scc1 .LBB79_3400
; %bb.3398:
	s_cmp_gt_i32 s11, 27
	s_cbranch_scc0 .LBB79_3401
; %bb.3399:
	s_wait_loadcnt 0x0
	global_load_b32 v14, v[32:33], off
	v_mov_b32_e32 v15, 0
	s_mov_b32 s6, 0
	s_branch .LBB79_3402
.LBB79_3400:
	s_mov_b32 s6, -1
                                        ; implicit-def: $vgpr14_vgpr15
	s_branch .LBB79_3405
.LBB79_3401:
	s_mov_b32 s6, -1
                                        ; implicit-def: $vgpr14_vgpr15
.LBB79_3402:
	s_delay_alu instid0(SALU_CYCLE_1)
	s_and_not1_b32 vcc_lo, exec_lo, s6
	s_cbranch_vccnz .LBB79_3404
; %bb.3403:
	global_load_u16 v1, v[32:33], off
	s_mov_b32 s6, 0
	s_wait_loadcnt 0x1
	v_mov_b32_e32 v15, s6
	s_wait_loadcnt 0x0
	v_and_b32_e32 v14, 0xffff, v1
.LBB79_3404:
	s_mov_b32 s6, 0
.LBB79_3405:
	s_delay_alu instid0(SALU_CYCLE_1)
	s_and_not1_b32 vcc_lo, exec_lo, s6
	s_cbranch_vccnz .LBB79_3411
; %bb.3406:
	global_load_u8 v1, v[32:33], off
	s_mov_b32 s7, 0
	s_mov_b32 s6, exec_lo
	s_wait_loadcnt 0x0
	v_cmpx_lt_i16_e32 0x7f, v1
	s_xor_b32 s6, exec_lo, s6
	s_cbranch_execz .LBB79_3423
; %bb.3407:
	v_cmp_ne_u16_e32 vcc_lo, 0x80, v1
	s_and_b32 s7, vcc_lo, exec_lo
	s_and_not1_saveexec_b32 s6, s6
	s_cbranch_execnz .LBB79_3424
.LBB79_3408:
	s_or_b32 exec_lo, exec_lo, s6
	v_mov_b64_e32 v[14:15], 0
	s_and_saveexec_b32 s6, s7
	s_cbranch_execz .LBB79_3410
.LBB79_3409:
	v_and_b32_e32 v3, 0xffff, v1
	s_delay_alu instid0(VALU_DEP_1) | instskip(SKIP_1) | instid1(VALU_DEP_2)
	v_dual_lshlrev_b32 v1, 24, v1 :: v_dual_bitop2_b32 v5, 7, v3 bitop3:0x40
	v_bfe_u32 v14, v3, 3, 4
	v_and_b32_e32 v1, 0x80000000, v1
	s_delay_alu instid0(VALU_DEP_3) | instskip(NEXT) | instid1(VALU_DEP_3)
	v_clz_i32_u32_e32 v7, v5
	v_cmp_eq_u32_e32 vcc_lo, 0, v14
	s_delay_alu instid0(VALU_DEP_2) | instskip(NEXT) | instid1(VALU_DEP_1)
	v_min_u32_e32 v7, 32, v7
	v_subrev_nc_u32_e32 v11, 28, v7
	v_sub_nc_u32_e32 v7, 29, v7
	s_delay_alu instid0(VALU_DEP_2) | instskip(NEXT) | instid1(VALU_DEP_2)
	v_lshlrev_b32_e32 v3, v11, v3
	v_cndmask_b32_e32 v7, v14, v7, vcc_lo
	s_delay_alu instid0(VALU_DEP_2) | instskip(NEXT) | instid1(VALU_DEP_1)
	v_and_b32_e32 v3, 7, v3
	v_cndmask_b32_e32 v3, v5, v3, vcc_lo
	s_delay_alu instid0(VALU_DEP_3) | instskip(NEXT) | instid1(VALU_DEP_2)
	v_lshl_add_u32 v5, v7, 23, 0x3b800000
	v_lshlrev_b32_e32 v3, 20, v3
	s_delay_alu instid0(VALU_DEP_1) | instskip(NEXT) | instid1(VALU_DEP_1)
	v_or3_b32 v1, v1, v5, v3
	v_trunc_f32_e32 v1, v1
	s_delay_alu instid0(VALU_DEP_1) | instskip(SKIP_1) | instid1(VALU_DEP_2)
	v_mul_f32_e64 v3, 0x2f800000, |v1|
	v_ashrrev_i32_e32 v14, 31, v1
	v_floor_f32_e32 v3, v3
	s_delay_alu instid0(VALU_DEP_2) | instskip(NEXT) | instid1(VALU_DEP_2)
	v_mov_b32_e32 v15, v14
	v_fma_f32 v5, 0xcf800000, v3, |v1|
	v_cvt_u32_f32_e32 v1, v3
	s_delay_alu instid0(VALU_DEP_2) | instskip(NEXT) | instid1(VALU_DEP_2)
	v_cvt_u32_f32_e32 v3, v5
	v_xor_b32_e32 v35, v1, v14
	s_delay_alu instid0(VALU_DEP_2) | instskip(NEXT) | instid1(VALU_DEP_1)
	v_xor_b32_e32 v34, v3, v14
	v_sub_nc_u64_e32 v[14:15], v[34:35], v[14:15]
.LBB79_3410:
	s_or_b32 exec_lo, exec_lo, s6
.LBB79_3411:
	s_mov_b32 s6, -1
.LBB79_3412:
	s_mov_b32 s7, 0
.LBB79_3413:
	s_delay_alu instid0(SALU_CYCLE_1)
	s_and_b32 vcc_lo, exec_lo, s7
	s_cbranch_vccz .LBB79_3444
; %bb.3414:
	s_cmp_gt_i32 s11, 22
	s_cbranch_scc0 .LBB79_3422
; %bb.3415:
	s_cmp_lt_i32 s11, 24
	s_cbranch_scc1 .LBB79_3425
; %bb.3416:
	s_cmp_gt_i32 s11, 24
	s_cbranch_scc0 .LBB79_3426
; %bb.3417:
	global_load_u8 v1, v[32:33], off
	s_mov_b32 s6, 0
	s_mov_b32 s1, exec_lo
	s_wait_loadcnt 0x0
	v_cmpx_lt_i16_e32 0x7f, v1
	s_xor_b32 s1, exec_lo, s1
	s_cbranch_execz .LBB79_3438
; %bb.3418:
	v_cmp_ne_u16_e32 vcc_lo, 0x80, v1
	s_and_b32 s6, vcc_lo, exec_lo
	s_and_not1_saveexec_b32 s1, s1
	s_cbranch_execnz .LBB79_3439
.LBB79_3419:
	s_or_b32 exec_lo, exec_lo, s1
	v_mov_b64_e32 v[14:15], 0
	s_and_saveexec_b32 s1, s6
	s_cbranch_execz .LBB79_3421
.LBB79_3420:
	v_and_b32_e32 v3, 0xffff, v1
	s_delay_alu instid0(VALU_DEP_1) | instskip(SKIP_1) | instid1(VALU_DEP_2)
	v_dual_lshlrev_b32 v1, 24, v1 :: v_dual_bitop2_b32 v5, 3, v3 bitop3:0x40
	v_bfe_u32 v14, v3, 2, 5
	v_and_b32_e32 v1, 0x80000000, v1
	s_delay_alu instid0(VALU_DEP_3) | instskip(NEXT) | instid1(VALU_DEP_3)
	v_clz_i32_u32_e32 v7, v5
	v_cmp_eq_u32_e32 vcc_lo, 0, v14
	s_delay_alu instid0(VALU_DEP_2) | instskip(NEXT) | instid1(VALU_DEP_1)
	v_min_u32_e32 v7, 32, v7
	v_subrev_nc_u32_e32 v11, 29, v7
	v_sub_nc_u32_e32 v7, 30, v7
	s_delay_alu instid0(VALU_DEP_2) | instskip(NEXT) | instid1(VALU_DEP_2)
	v_lshlrev_b32_e32 v3, v11, v3
	v_cndmask_b32_e32 v7, v14, v7, vcc_lo
	s_delay_alu instid0(VALU_DEP_2) | instskip(NEXT) | instid1(VALU_DEP_1)
	v_and_b32_e32 v3, 3, v3
	v_cndmask_b32_e32 v3, v5, v3, vcc_lo
	s_delay_alu instid0(VALU_DEP_3) | instskip(NEXT) | instid1(VALU_DEP_2)
	v_lshl_add_u32 v5, v7, 23, 0x37800000
	v_lshlrev_b32_e32 v3, 21, v3
	s_delay_alu instid0(VALU_DEP_1) | instskip(NEXT) | instid1(VALU_DEP_1)
	v_or3_b32 v1, v1, v5, v3
	v_trunc_f32_e32 v1, v1
	s_delay_alu instid0(VALU_DEP_1) | instskip(SKIP_1) | instid1(VALU_DEP_2)
	v_mul_f32_e64 v3, 0x2f800000, |v1|
	v_ashrrev_i32_e32 v14, 31, v1
	v_floor_f32_e32 v3, v3
	s_delay_alu instid0(VALU_DEP_2) | instskip(NEXT) | instid1(VALU_DEP_2)
	v_mov_b32_e32 v15, v14
	v_fma_f32 v5, 0xcf800000, v3, |v1|
	v_cvt_u32_f32_e32 v1, v3
	s_delay_alu instid0(VALU_DEP_2) | instskip(NEXT) | instid1(VALU_DEP_2)
	v_cvt_u32_f32_e32 v3, v5
	v_xor_b32_e32 v35, v1, v14
	s_delay_alu instid0(VALU_DEP_2) | instskip(NEXT) | instid1(VALU_DEP_1)
	v_xor_b32_e32 v34, v3, v14
	v_sub_nc_u64_e32 v[14:15], v[34:35], v[14:15]
.LBB79_3421:
	s_or_b32 exec_lo, exec_lo, s1
	s_mov_b32 s1, 0
	s_branch .LBB79_3427
.LBB79_3422:
	s_mov_b32 s1, -1
                                        ; implicit-def: $vgpr14_vgpr15
	s_branch .LBB79_3433
.LBB79_3423:
	s_and_not1_saveexec_b32 s6, s6
	s_cbranch_execz .LBB79_3408
.LBB79_3424:
	v_cmp_ne_u16_e32 vcc_lo, 0, v1
	s_and_not1_b32 s7, s7, exec_lo
	s_and_b32 s10, vcc_lo, exec_lo
	s_delay_alu instid0(SALU_CYCLE_1)
	s_or_b32 s7, s7, s10
	s_or_b32 exec_lo, exec_lo, s6
	v_mov_b64_e32 v[14:15], 0
	s_and_saveexec_b32 s6, s7
	s_cbranch_execnz .LBB79_3409
	s_branch .LBB79_3410
.LBB79_3425:
	s_mov_b32 s1, -1
                                        ; implicit-def: $vgpr14_vgpr15
	s_branch .LBB79_3430
.LBB79_3426:
	s_mov_b32 s1, -1
                                        ; implicit-def: $vgpr14_vgpr15
.LBB79_3427:
	s_delay_alu instid0(SALU_CYCLE_1)
	s_and_b32 vcc_lo, exec_lo, s1
	s_cbranch_vccz .LBB79_3429
; %bb.3428:
	global_load_u8 v1, v[32:33], off
	s_wait_loadcnt 0x0
	v_lshlrev_b32_e32 v1, 24, v1
	s_delay_alu instid0(VALU_DEP_1) | instskip(NEXT) | instid1(VALU_DEP_1)
	v_and_b32_e32 v3, 0x7f000000, v1
	v_clz_i32_u32_e32 v5, v3
	v_add_nc_u32_e32 v11, 0x1000000, v3
	v_cmp_ne_u32_e32 vcc_lo, 0, v3
	s_delay_alu instid0(VALU_DEP_3) | instskip(NEXT) | instid1(VALU_DEP_1)
	v_min_u32_e32 v5, 32, v5
	v_sub_nc_u32_e64 v5, v5, 4 clamp
	s_delay_alu instid0(VALU_DEP_1) | instskip(NEXT) | instid1(VALU_DEP_1)
	v_dual_lshlrev_b32 v7, v5, v3 :: v_dual_lshlrev_b32 v5, 23, v5
	v_lshrrev_b32_e32 v7, 4, v7
	s_delay_alu instid0(VALU_DEP_1) | instskip(NEXT) | instid1(VALU_DEP_1)
	v_dual_sub_nc_u32 v5, v7, v5 :: v_dual_ashrrev_i32 v7, 8, v11
	v_add_nc_u32_e32 v5, 0x3c000000, v5
	s_delay_alu instid0(VALU_DEP_1) | instskip(NEXT) | instid1(VALU_DEP_1)
	v_and_or_b32 v5, 0x7f800000, v7, v5
	v_cndmask_b32_e32 v3, 0, v5, vcc_lo
	s_delay_alu instid0(VALU_DEP_1) | instskip(NEXT) | instid1(VALU_DEP_1)
	v_and_or_b32 v1, 0x80000000, v1, v3
	v_trunc_f32_e32 v1, v1
	s_delay_alu instid0(VALU_DEP_1) | instskip(SKIP_1) | instid1(VALU_DEP_2)
	v_mul_f32_e64 v3, 0x2f800000, |v1|
	v_ashrrev_i32_e32 v14, 31, v1
	v_floor_f32_e32 v3, v3
	s_delay_alu instid0(VALU_DEP_2) | instskip(NEXT) | instid1(VALU_DEP_2)
	v_mov_b32_e32 v15, v14
	v_fma_f32 v5, 0xcf800000, v3, |v1|
	v_cvt_u32_f32_e32 v1, v3
	s_delay_alu instid0(VALU_DEP_2) | instskip(NEXT) | instid1(VALU_DEP_2)
	v_cvt_u32_f32_e32 v3, v5
	v_xor_b32_e32 v35, v1, v14
	s_delay_alu instid0(VALU_DEP_2) | instskip(NEXT) | instid1(VALU_DEP_1)
	v_xor_b32_e32 v34, v3, v14
	v_sub_nc_u64_e32 v[14:15], v[34:35], v[14:15]
.LBB79_3429:
	s_mov_b32 s1, 0
.LBB79_3430:
	s_delay_alu instid0(SALU_CYCLE_1)
	s_and_not1_b32 vcc_lo, exec_lo, s1
	s_cbranch_vccnz .LBB79_3432
; %bb.3431:
	global_load_u8 v1, v[32:33], off
	s_wait_loadcnt 0x0
	v_lshlrev_b32_e32 v3, 25, v1
	v_lshlrev_b16 v1, 8, v1
	s_delay_alu instid0(VALU_DEP_1) | instskip(SKIP_1) | instid1(VALU_DEP_2)
	v_and_or_b32 v7, 0x7f00, v1, 0.5
	v_bfe_i32 v1, v1, 0, 16
	v_add_f32_e32 v7, -0.5, v7
	v_lshrrev_b32_e32 v5, 4, v3
	v_cmp_gt_u32_e32 vcc_lo, 0x8000000, v3
	s_delay_alu instid0(VALU_DEP_2) | instskip(NEXT) | instid1(VALU_DEP_1)
	v_or_b32_e32 v5, 0x70000000, v5
	v_mul_f32_e32 v5, 0x7800000, v5
	s_delay_alu instid0(VALU_DEP_1) | instskip(NEXT) | instid1(VALU_DEP_1)
	v_cndmask_b32_e32 v3, v5, v7, vcc_lo
	v_and_or_b32 v1, 0x80000000, v1, v3
	s_delay_alu instid0(VALU_DEP_1) | instskip(NEXT) | instid1(VALU_DEP_1)
	v_trunc_f32_e32 v1, v1
	v_mul_f32_e64 v3, 0x2f800000, |v1|
	v_ashrrev_i32_e32 v14, 31, v1
	s_delay_alu instid0(VALU_DEP_2) | instskip(NEXT) | instid1(VALU_DEP_2)
	v_floor_f32_e32 v3, v3
	v_mov_b32_e32 v15, v14
	s_delay_alu instid0(VALU_DEP_2) | instskip(SKIP_1) | instid1(VALU_DEP_2)
	v_fma_f32 v5, 0xcf800000, v3, |v1|
	v_cvt_u32_f32_e32 v1, v3
	v_cvt_u32_f32_e32 v3, v5
	s_delay_alu instid0(VALU_DEP_2) | instskip(NEXT) | instid1(VALU_DEP_2)
	v_xor_b32_e32 v35, v1, v14
	v_xor_b32_e32 v34, v3, v14
	s_delay_alu instid0(VALU_DEP_1)
	v_sub_nc_u64_e32 v[14:15], v[34:35], v[14:15]
.LBB79_3432:
	s_mov_b32 s1, 0
	s_mov_b32 s6, -1
.LBB79_3433:
	s_and_not1_b32 vcc_lo, exec_lo, s1
	s_mov_b32 s1, 0
	s_cbranch_vccnz .LBB79_3444
; %bb.3434:
	s_cmp_gt_i32 s11, 14
	s_cbranch_scc0 .LBB79_3437
; %bb.3435:
	s_cmp_eq_u32 s11, 15
	s_cbranch_scc0 .LBB79_3440
; %bb.3436:
	global_load_u16 v1, v[32:33], off
	s_mov_b32 s0, 0
	s_mov_b32 s6, -1
	s_wait_loadcnt 0x0
	v_lshlrev_b32_e32 v1, 16, v1
	s_delay_alu instid0(VALU_DEP_1) | instskip(NEXT) | instid1(VALU_DEP_1)
	v_trunc_f32_e32 v1, v1
	v_mul_f32_e64 v3, 0x2f800000, |v1|
	v_ashrrev_i32_e32 v14, 31, v1
	s_delay_alu instid0(VALU_DEP_2) | instskip(NEXT) | instid1(VALU_DEP_2)
	v_floor_f32_e32 v3, v3
	v_mov_b32_e32 v15, v14
	s_delay_alu instid0(VALU_DEP_2) | instskip(SKIP_1) | instid1(VALU_DEP_2)
	v_fma_f32 v5, 0xcf800000, v3, |v1|
	v_cvt_u32_f32_e32 v1, v3
	v_cvt_u32_f32_e32 v3, v5
	s_delay_alu instid0(VALU_DEP_2) | instskip(NEXT) | instid1(VALU_DEP_2)
	v_xor_b32_e32 v35, v1, v14
	v_xor_b32_e32 v34, v3, v14
	s_delay_alu instid0(VALU_DEP_1)
	v_sub_nc_u64_e32 v[14:15], v[34:35], v[14:15]
	s_branch .LBB79_3442
.LBB79_3437:
	s_mov_b32 s1, -1
	s_branch .LBB79_3441
.LBB79_3438:
	s_and_not1_saveexec_b32 s1, s1
	s_cbranch_execz .LBB79_3419
.LBB79_3439:
	v_cmp_ne_u16_e32 vcc_lo, 0, v1
	s_and_not1_b32 s6, s6, exec_lo
	s_and_b32 s7, vcc_lo, exec_lo
	s_delay_alu instid0(SALU_CYCLE_1)
	s_or_b32 s6, s6, s7
	s_or_b32 exec_lo, exec_lo, s1
	v_mov_b64_e32 v[14:15], 0
	s_and_saveexec_b32 s1, s6
	s_cbranch_execnz .LBB79_3420
	s_branch .LBB79_3421
.LBB79_3440:
	s_mov_b32 s0, -1
.LBB79_3441:
                                        ; implicit-def: $vgpr14_vgpr15
.LBB79_3442:
	s_and_b32 vcc_lo, exec_lo, s1
	s_mov_b32 s1, 0
	s_cbranch_vccz .LBB79_3444
; %bb.3443:
	s_cmp_lg_u32 s11, 11
	s_mov_b32 s1, -1
	s_cselect_b32 s0, -1, 0
.LBB79_3444:
	s_delay_alu instid0(SALU_CYCLE_1)
	s_and_b32 vcc_lo, exec_lo, s0
	s_cbranch_vccnz .LBB79_3509
; %bb.3445:
	s_and_not1_b32 vcc_lo, exec_lo, s1
	s_cbranch_vccnz .LBB79_3447
.LBB79_3446:
	global_load_u8 v1, v[32:33], off
	s_mov_b32 s0, 0
	s_mov_b32 s6, -1
	s_wait_loadcnt 0x1
	v_mov_b32_e32 v15, s0
	s_wait_loadcnt 0x0
	v_cmp_ne_u16_e32 vcc_lo, 0, v1
	v_cndmask_b32_e64 v14, 0, 1, vcc_lo
.LBB79_3447:
	s_mov_b32 s0, 0
.LBB79_3448:
	s_delay_alu instid0(SALU_CYCLE_1)
	s_and_b32 vcc_lo, exec_lo, s0
	s_cbranch_vccz .LBB79_3497
; %bb.3449:
	s_cmp_lt_i32 s11, 5
	s_cbranch_scc1 .LBB79_3454
; %bb.3450:
	s_cmp_lt_i32 s11, 8
	s_cbranch_scc1 .LBB79_3455
	;; [unrolled: 3-line block ×3, first 2 shown]
; %bb.3452:
	s_cmp_gt_i32 s11, 9
	s_cbranch_scc0 .LBB79_3457
; %bb.3453:
	s_wait_loadcnt 0x0
	global_load_b64 v[14:15], v[32:33], off
	s_mov_b32 s0, 0
	s_wait_loadcnt 0x0
	v_trunc_f64_e32 v[14:15], v[14:15]
	s_delay_alu instid0(VALU_DEP_1) | instskip(NEXT) | instid1(VALU_DEP_1)
	v_ldexp_f64 v[34:35], v[14:15], 0xffffffe0
	v_floor_f64_e32 v[34:35], v[34:35]
	s_delay_alu instid0(VALU_DEP_1) | instskip(SKIP_1) | instid1(VALU_DEP_2)
	v_fmamk_f64 v[36:37], v[34:35], 0xc1f00000, v[14:15]
	v_cvt_i32_f64_e32 v15, v[34:35]
	v_cvt_u32_f64_e32 v14, v[36:37]
	s_branch .LBB79_3458
.LBB79_3454:
	s_mov_b32 s0, -1
                                        ; implicit-def: $vgpr14_vgpr15
	s_branch .LBB79_3476
.LBB79_3455:
	s_mov_b32 s0, -1
                                        ; implicit-def: $vgpr14_vgpr15
	s_branch .LBB79_3464
.LBB79_3456:
	s_mov_b32 s0, -1
                                        ; implicit-def: $vgpr14_vgpr15
	s_branch .LBB79_3461
.LBB79_3457:
	s_mov_b32 s0, -1
                                        ; implicit-def: $vgpr14_vgpr15
.LBB79_3458:
	s_delay_alu instid0(SALU_CYCLE_1)
	s_and_not1_b32 vcc_lo, exec_lo, s0
	s_cbranch_vccnz .LBB79_3460
; %bb.3459:
	global_load_b32 v1, v[32:33], off
	s_wait_loadcnt 0x0
	v_trunc_f32_e32 v1, v1
	s_delay_alu instid0(VALU_DEP_1) | instskip(SKIP_1) | instid1(VALU_DEP_2)
	v_mul_f32_e64 v3, 0x2f800000, |v1|
	v_ashrrev_i32_e32 v14, 31, v1
	v_floor_f32_e32 v3, v3
	s_delay_alu instid0(VALU_DEP_1) | instskip(SKIP_1) | instid1(VALU_DEP_4)
	v_fma_f32 v5, 0xcf800000, v3, |v1|
	v_cvt_u32_f32_e32 v1, v3
	v_mov_b32_e32 v15, v14
	s_delay_alu instid0(VALU_DEP_3) | instskip(NEXT) | instid1(VALU_DEP_3)
	v_cvt_u32_f32_e32 v3, v5
	v_xor_b32_e32 v35, v1, v14
	s_delay_alu instid0(VALU_DEP_2) | instskip(NEXT) | instid1(VALU_DEP_1)
	v_xor_b32_e32 v34, v3, v14
	v_sub_nc_u64_e32 v[14:15], v[34:35], v[14:15]
.LBB79_3460:
	s_mov_b32 s0, 0
.LBB79_3461:
	s_delay_alu instid0(SALU_CYCLE_1)
	s_and_not1_b32 vcc_lo, exec_lo, s0
	s_cbranch_vccnz .LBB79_3463
; %bb.3462:
	global_load_b32 v1, v[32:33], off
	s_wait_loadcnt 0x0
	v_cvt_f32_f16_e32 v1, v1
	s_delay_alu instid0(VALU_DEP_1) | instskip(NEXT) | instid1(VALU_DEP_1)
	v_cvt_i32_f32_e32 v14, v1
	v_ashrrev_i32_e32 v15, 31, v14
.LBB79_3463:
	s_mov_b32 s0, 0
.LBB79_3464:
	s_delay_alu instid0(SALU_CYCLE_1)
	s_and_not1_b32 vcc_lo, exec_lo, s0
	s_cbranch_vccnz .LBB79_3475
; %bb.3465:
	s_cmp_lt_i32 s11, 6
	s_cbranch_scc1 .LBB79_3468
; %bb.3466:
	s_cmp_gt_i32 s11, 6
	s_cbranch_scc0 .LBB79_3469
; %bb.3467:
	s_wait_loadcnt 0x0
	global_load_b64 v[14:15], v[32:33], off
	s_mov_b32 s0, 0
	s_wait_loadcnt 0x0
	v_trunc_f64_e32 v[14:15], v[14:15]
	s_delay_alu instid0(VALU_DEP_1) | instskip(NEXT) | instid1(VALU_DEP_1)
	v_ldexp_f64 v[34:35], v[14:15], 0xffffffe0
	v_floor_f64_e32 v[34:35], v[34:35]
	s_delay_alu instid0(VALU_DEP_1) | instskip(SKIP_1) | instid1(VALU_DEP_2)
	v_fmamk_f64 v[36:37], v[34:35], 0xc1f00000, v[14:15]
	v_cvt_i32_f64_e32 v15, v[34:35]
	v_cvt_u32_f64_e32 v14, v[36:37]
	s_branch .LBB79_3470
.LBB79_3468:
	s_mov_b32 s0, -1
                                        ; implicit-def: $vgpr14_vgpr15
	s_branch .LBB79_3473
.LBB79_3469:
	s_mov_b32 s0, -1
                                        ; implicit-def: $vgpr14_vgpr15
.LBB79_3470:
	s_delay_alu instid0(SALU_CYCLE_1)
	s_and_not1_b32 vcc_lo, exec_lo, s0
	s_cbranch_vccnz .LBB79_3472
; %bb.3471:
	global_load_b32 v1, v[32:33], off
	s_wait_loadcnt 0x0
	v_trunc_f32_e32 v1, v1
	s_delay_alu instid0(VALU_DEP_1) | instskip(SKIP_1) | instid1(VALU_DEP_2)
	v_mul_f32_e64 v3, 0x2f800000, |v1|
	v_ashrrev_i32_e32 v14, 31, v1
	v_floor_f32_e32 v3, v3
	s_delay_alu instid0(VALU_DEP_1) | instskip(SKIP_1) | instid1(VALU_DEP_4)
	v_fma_f32 v5, 0xcf800000, v3, |v1|
	v_cvt_u32_f32_e32 v1, v3
	v_mov_b32_e32 v15, v14
	s_delay_alu instid0(VALU_DEP_3) | instskip(NEXT) | instid1(VALU_DEP_3)
	v_cvt_u32_f32_e32 v3, v5
	v_xor_b32_e32 v35, v1, v14
	s_delay_alu instid0(VALU_DEP_2) | instskip(NEXT) | instid1(VALU_DEP_1)
	v_xor_b32_e32 v34, v3, v14
	v_sub_nc_u64_e32 v[14:15], v[34:35], v[14:15]
.LBB79_3472:
	s_mov_b32 s0, 0
.LBB79_3473:
	s_delay_alu instid0(SALU_CYCLE_1)
	s_and_not1_b32 vcc_lo, exec_lo, s0
	s_cbranch_vccnz .LBB79_3475
; %bb.3474:
	global_load_u16 v1, v[32:33], off
	s_wait_loadcnt 0x0
	v_cvt_f32_f16_e32 v1, v1
	s_delay_alu instid0(VALU_DEP_1) | instskip(NEXT) | instid1(VALU_DEP_1)
	v_cvt_i32_f32_e32 v14, v1
	v_ashrrev_i32_e32 v15, 31, v14
.LBB79_3475:
	s_mov_b32 s0, 0
.LBB79_3476:
	s_delay_alu instid0(SALU_CYCLE_1)
	s_and_not1_b32 vcc_lo, exec_lo, s0
	s_cbranch_vccnz .LBB79_3496
; %bb.3477:
	s_cmp_lt_i32 s11, 2
	s_cbranch_scc1 .LBB79_3481
; %bb.3478:
	s_cmp_lt_i32 s11, 3
	s_cbranch_scc1 .LBB79_3482
; %bb.3479:
	s_cmp_gt_i32 s11, 3
	s_cbranch_scc0 .LBB79_3483
; %bb.3480:
	s_wait_loadcnt 0x0
	global_load_b64 v[14:15], v[32:33], off
	s_mov_b32 s0, 0
	s_branch .LBB79_3484
.LBB79_3481:
	s_mov_b32 s0, -1
                                        ; implicit-def: $vgpr14_vgpr15
	s_branch .LBB79_3490
.LBB79_3482:
	s_mov_b32 s0, -1
                                        ; implicit-def: $vgpr14_vgpr15
	s_branch .LBB79_3487
.LBB79_3483:
	s_mov_b32 s0, -1
                                        ; implicit-def: $vgpr14_vgpr15
.LBB79_3484:
	s_delay_alu instid0(SALU_CYCLE_1)
	s_and_not1_b32 vcc_lo, exec_lo, s0
	s_cbranch_vccnz .LBB79_3486
; %bb.3485:
	s_wait_loadcnt 0x0
	global_load_b32 v14, v[32:33], off
	s_wait_loadcnt 0x0
	v_ashrrev_i32_e32 v15, 31, v14
.LBB79_3486:
	s_mov_b32 s0, 0
.LBB79_3487:
	s_delay_alu instid0(SALU_CYCLE_1)
	s_and_not1_b32 vcc_lo, exec_lo, s0
	s_cbranch_vccnz .LBB79_3489
; %bb.3488:
	global_load_u16 v1, v[32:33], off
	s_wait_loadcnt 0x0
	v_bfe_i32 v14, v1, 0, 16
	s_delay_alu instid0(VALU_DEP_1)
	v_ashrrev_i32_e32 v15, 31, v14
.LBB79_3489:
	s_mov_b32 s0, 0
.LBB79_3490:
	s_delay_alu instid0(SALU_CYCLE_1)
	s_and_not1_b32 vcc_lo, exec_lo, s0
	s_cbranch_vccnz .LBB79_3496
; %bb.3491:
	s_cmp_gt_i32 s11, 0
	s_mov_b32 s0, 0
	s_cbranch_scc0 .LBB79_3493
; %bb.3492:
	global_load_i8 v1, v[32:33], off
	s_wait_loadcnt 0x0
	v_bfe_i32 v14, v1, 0, 16
	s_delay_alu instid0(VALU_DEP_1)
	v_ashrrev_i32_e32 v15, 31, v14
	s_branch .LBB79_3494
.LBB79_3493:
	s_mov_b32 s0, -1
                                        ; implicit-def: $vgpr14_vgpr15
.LBB79_3494:
	s_delay_alu instid0(SALU_CYCLE_1)
	s_and_not1_b32 vcc_lo, exec_lo, s0
	s_cbranch_vccnz .LBB79_3496
; %bb.3495:
	global_load_u8 v1, v[32:33], off
	s_mov_b32 s0, 0
	s_wait_loadcnt 0x1
	v_mov_b32_e32 v15, s0
	s_wait_loadcnt 0x0
	v_and_b32_e32 v14, 0xffff, v1
.LBB79_3496:
	s_mov_b32 s6, -1
.LBB79_3497:
	s_delay_alu instid0(SALU_CYCLE_1)
	s_and_not1_b32 vcc_lo, exec_lo, s6
	s_cbranch_vccnz .LBB79_4058
; %bb.3498:
	v_mov_b32_e32 v11, 0
	s_cmp_lt_i32 s15, 11
	s_wait_xcnt 0x0
	s_delay_alu instid0(VALU_DEP_1)
	v_add_nc_u64_e32 v[32:33], s[8:9], v[10:11]
	s_cbranch_scc1 .LBB79_3505
; %bb.3499:
	s_cmp_gt_i32 s15, 25
	s_mov_b32 s1, 0
	s_cbranch_scc0 .LBB79_3506
; %bb.3500:
	s_cmp_gt_i32 s15, 28
	s_cbranch_scc0 .LBB79_3507
; %bb.3501:
	s_cmp_gt_i32 s15, 43
	s_cbranch_scc0 .LBB79_3508
; %bb.3502:
	s_cmp_gt_i32 s15, 45
	s_cbranch_scc0 .LBB79_3510
; %bb.3503:
	s_cmp_eq_u32 s15, 46
	s_mov_b32 s7, 0
	s_cbranch_scc0 .LBB79_3511
; %bb.3504:
	global_load_b32 v1, v[32:33], off
	s_mov_b32 s0, 0
	s_mov_b32 s6, -1
	s_wait_loadcnt 0x0
	v_lshlrev_b32_e32 v1, 16, v1
	s_delay_alu instid0(VALU_DEP_1) | instskip(NEXT) | instid1(VALU_DEP_1)
	v_trunc_f32_e32 v1, v1
	v_mul_f32_e64 v3, 0x2f800000, |v1|
	v_ashrrev_i32_e32 v10, 31, v1
	s_delay_alu instid0(VALU_DEP_2) | instskip(NEXT) | instid1(VALU_DEP_2)
	v_floor_f32_e32 v3, v3
	v_mov_b32_e32 v11, v10
	s_delay_alu instid0(VALU_DEP_2) | instskip(SKIP_1) | instid1(VALU_DEP_2)
	v_fma_f32 v5, 0xcf800000, v3, |v1|
	v_cvt_u32_f32_e32 v1, v3
	v_cvt_u32_f32_e32 v3, v5
	s_delay_alu instid0(VALU_DEP_2) | instskip(NEXT) | instid1(VALU_DEP_2)
	v_xor_b32_e32 v35, v1, v10
	v_xor_b32_e32 v34, v3, v10
	s_delay_alu instid0(VALU_DEP_1)
	v_sub_nc_u64_e32 v[10:11], v[34:35], v[10:11]
	s_branch .LBB79_3513
.LBB79_3505:
	s_mov_b32 s0, -1
	s_mov_b32 s6, 0
                                        ; implicit-def: $vgpr10_vgpr11
	s_branch .LBB79_3575
.LBB79_3506:
	s_mov_b32 s7, -1
	s_mov_b32 s6, 0
	s_mov_b32 s0, 0
                                        ; implicit-def: $vgpr10_vgpr11
	s_branch .LBB79_3540
.LBB79_3507:
	s_mov_b32 s7, -1
	s_mov_b32 s6, 0
	s_mov_b32 s0, 0
                                        ; implicit-def: $vgpr10_vgpr11
	s_branch .LBB79_3523
.LBB79_3508:
	s_mov_b32 s7, -1
	s_mov_b32 s6, 0
	s_mov_b32 s0, 0
                                        ; implicit-def: $vgpr10_vgpr11
	s_branch .LBB79_3518
.LBB79_3509:
	s_or_b32 s14, s14, exec_lo
	s_trap 2
	s_cbranch_execz .LBB79_3446
	s_branch .LBB79_3447
.LBB79_3510:
	s_mov_b32 s7, -1
	s_mov_b32 s6, 0
	s_mov_b32 s0, 0
	s_branch .LBB79_3512
.LBB79_3511:
	s_mov_b32 s0, -1
	s_mov_b32 s6, 0
.LBB79_3512:
                                        ; implicit-def: $vgpr10_vgpr11
.LBB79_3513:
	s_and_b32 vcc_lo, exec_lo, s7
	s_cbranch_vccz .LBB79_3517
; %bb.3514:
	s_cmp_eq_u32 s15, 44
	s_cbranch_scc0 .LBB79_3516
; %bb.3515:
	global_load_u8 v1, v[32:33], off
	s_mov_b32 s0, 0
	s_mov_b32 s6, -1
	s_wait_loadcnt 0x0
	v_lshlrev_b32_e32 v3, 23, v1
	v_cmp_ne_u32_e32 vcc_lo, 0, v1
	s_delay_alu instid0(VALU_DEP_2) | instskip(NEXT) | instid1(VALU_DEP_1)
	v_trunc_f32_e32 v3, v3
	v_mul_f32_e64 v5, 0x2f800000, |v3|
	v_ashrrev_i32_e32 v10, 31, v3
	s_delay_alu instid0(VALU_DEP_2) | instskip(NEXT) | instid1(VALU_DEP_2)
	v_floor_f32_e32 v5, v5
	v_mov_b32_e32 v11, v10
	s_delay_alu instid0(VALU_DEP_2) | instskip(SKIP_1) | instid1(VALU_DEP_2)
	v_fma_f32 v7, 0xcf800000, v5, |v3|
	v_cvt_u32_f32_e32 v3, v5
	v_cvt_u32_f32_e32 v5, v7
	s_delay_alu instid0(VALU_DEP_2) | instskip(NEXT) | instid1(VALU_DEP_2)
	v_xor_b32_e32 v35, v3, v10
	v_xor_b32_e32 v34, v5, v10
	s_delay_alu instid0(VALU_DEP_1) | instskip(NEXT) | instid1(VALU_DEP_1)
	v_sub_nc_u64_e32 v[10:11], v[34:35], v[10:11]
	v_dual_cndmask_b32 v11, 0, v11 :: v_dual_cndmask_b32 v10, 0, v10
	s_branch .LBB79_3517
.LBB79_3516:
	s_mov_b32 s0, -1
                                        ; implicit-def: $vgpr10_vgpr11
.LBB79_3517:
	s_mov_b32 s7, 0
.LBB79_3518:
	s_delay_alu instid0(SALU_CYCLE_1)
	s_and_b32 vcc_lo, exec_lo, s7
	s_cbranch_vccz .LBB79_3522
; %bb.3519:
	s_cmp_eq_u32 s15, 29
	s_cbranch_scc0 .LBB79_3521
; %bb.3520:
	global_load_b64 v[10:11], v[32:33], off
	s_mov_b32 s0, 0
	s_mov_b32 s6, -1
	s_branch .LBB79_3522
.LBB79_3521:
	s_mov_b32 s0, -1
                                        ; implicit-def: $vgpr10_vgpr11
.LBB79_3522:
	s_mov_b32 s7, 0
.LBB79_3523:
	s_delay_alu instid0(SALU_CYCLE_1)
	s_and_b32 vcc_lo, exec_lo, s7
	s_cbranch_vccz .LBB79_3539
; %bb.3524:
	s_cmp_lt_i32 s15, 27
	s_cbranch_scc1 .LBB79_3527
; %bb.3525:
	s_cmp_gt_i32 s15, 27
	s_cbranch_scc0 .LBB79_3528
; %bb.3526:
	s_wait_loadcnt 0x0
	global_load_b32 v10, v[32:33], off
	v_mov_b32_e32 v11, 0
	s_mov_b32 s6, 0
	s_branch .LBB79_3529
.LBB79_3527:
	s_mov_b32 s6, -1
                                        ; implicit-def: $vgpr10_vgpr11
	s_branch .LBB79_3532
.LBB79_3528:
	s_mov_b32 s6, -1
                                        ; implicit-def: $vgpr10_vgpr11
.LBB79_3529:
	s_delay_alu instid0(SALU_CYCLE_1)
	s_and_not1_b32 vcc_lo, exec_lo, s6
	s_cbranch_vccnz .LBB79_3531
; %bb.3530:
	global_load_u16 v1, v[32:33], off
	s_mov_b32 s6, 0
	s_wait_loadcnt 0x1
	v_mov_b32_e32 v11, s6
	s_wait_loadcnt 0x0
	v_and_b32_e32 v10, 0xffff, v1
.LBB79_3531:
	s_mov_b32 s6, 0
.LBB79_3532:
	s_delay_alu instid0(SALU_CYCLE_1)
	s_and_not1_b32 vcc_lo, exec_lo, s6
	s_cbranch_vccnz .LBB79_3538
; %bb.3533:
	global_load_u8 v1, v[32:33], off
	s_mov_b32 s7, 0
	s_mov_b32 s6, exec_lo
	s_wait_loadcnt 0x0
	v_cmpx_lt_i16_e32 0x7f, v1
	s_xor_b32 s6, exec_lo, s6
	s_cbranch_execz .LBB79_3550
; %bb.3534:
	v_cmp_ne_u16_e32 vcc_lo, 0x80, v1
	s_and_b32 s7, vcc_lo, exec_lo
	s_and_not1_saveexec_b32 s6, s6
	s_cbranch_execnz .LBB79_3551
.LBB79_3535:
	s_or_b32 exec_lo, exec_lo, s6
	v_mov_b64_e32 v[10:11], 0
	s_and_saveexec_b32 s6, s7
	s_cbranch_execz .LBB79_3537
.LBB79_3536:
	v_and_b32_e32 v3, 0xffff, v1
	s_delay_alu instid0(VALU_DEP_1) | instskip(SKIP_1) | instid1(VALU_DEP_2)
	v_dual_lshlrev_b32 v1, 24, v1 :: v_dual_bitop2_b32 v5, 7, v3 bitop3:0x40
	v_bfe_u32 v11, v3, 3, 4
	v_and_b32_e32 v1, 0x80000000, v1
	s_delay_alu instid0(VALU_DEP_3) | instskip(NEXT) | instid1(VALU_DEP_3)
	v_clz_i32_u32_e32 v7, v5
	v_cmp_eq_u32_e32 vcc_lo, 0, v11
	s_delay_alu instid0(VALU_DEP_2) | instskip(NEXT) | instid1(VALU_DEP_1)
	v_min_u32_e32 v7, 32, v7
	v_subrev_nc_u32_e32 v10, 28, v7
	v_sub_nc_u32_e32 v7, 29, v7
	s_delay_alu instid0(VALU_DEP_2) | instskip(NEXT) | instid1(VALU_DEP_2)
	v_lshlrev_b32_e32 v3, v10, v3
	v_cndmask_b32_e32 v7, v11, v7, vcc_lo
	s_delay_alu instid0(VALU_DEP_2) | instskip(NEXT) | instid1(VALU_DEP_1)
	v_and_b32_e32 v3, 7, v3
	v_cndmask_b32_e32 v3, v5, v3, vcc_lo
	s_delay_alu instid0(VALU_DEP_3) | instskip(NEXT) | instid1(VALU_DEP_2)
	v_lshl_add_u32 v5, v7, 23, 0x3b800000
	v_lshlrev_b32_e32 v3, 20, v3
	s_delay_alu instid0(VALU_DEP_1) | instskip(NEXT) | instid1(VALU_DEP_1)
	v_or3_b32 v1, v1, v5, v3
	v_trunc_f32_e32 v1, v1
	s_delay_alu instid0(VALU_DEP_1) | instskip(SKIP_1) | instid1(VALU_DEP_2)
	v_mul_f32_e64 v3, 0x2f800000, |v1|
	v_ashrrev_i32_e32 v10, 31, v1
	v_floor_f32_e32 v3, v3
	s_delay_alu instid0(VALU_DEP_2) | instskip(NEXT) | instid1(VALU_DEP_2)
	v_mov_b32_e32 v11, v10
	v_fma_f32 v5, 0xcf800000, v3, |v1|
	v_cvt_u32_f32_e32 v1, v3
	s_delay_alu instid0(VALU_DEP_2) | instskip(NEXT) | instid1(VALU_DEP_2)
	v_cvt_u32_f32_e32 v3, v5
	v_xor_b32_e32 v35, v1, v10
	s_delay_alu instid0(VALU_DEP_2) | instskip(NEXT) | instid1(VALU_DEP_1)
	v_xor_b32_e32 v34, v3, v10
	v_sub_nc_u64_e32 v[10:11], v[34:35], v[10:11]
.LBB79_3537:
	s_or_b32 exec_lo, exec_lo, s6
.LBB79_3538:
	s_mov_b32 s6, -1
.LBB79_3539:
	s_mov_b32 s7, 0
.LBB79_3540:
	s_delay_alu instid0(SALU_CYCLE_1)
	s_and_b32 vcc_lo, exec_lo, s7
	s_cbranch_vccz .LBB79_3571
; %bb.3541:
	s_cmp_gt_i32 s15, 22
	s_cbranch_scc0 .LBB79_3549
; %bb.3542:
	s_cmp_lt_i32 s15, 24
	s_cbranch_scc1 .LBB79_3552
; %bb.3543:
	s_cmp_gt_i32 s15, 24
	s_cbranch_scc0 .LBB79_3553
; %bb.3544:
	global_load_u8 v1, v[32:33], off
	s_mov_b32 s6, 0
	s_mov_b32 s1, exec_lo
	s_wait_loadcnt 0x0
	v_cmpx_lt_i16_e32 0x7f, v1
	s_xor_b32 s1, exec_lo, s1
	s_cbranch_execz .LBB79_3565
; %bb.3545:
	v_cmp_ne_u16_e32 vcc_lo, 0x80, v1
	s_and_b32 s6, vcc_lo, exec_lo
	s_and_not1_saveexec_b32 s1, s1
	s_cbranch_execnz .LBB79_3566
.LBB79_3546:
	s_or_b32 exec_lo, exec_lo, s1
	v_mov_b64_e32 v[10:11], 0
	s_and_saveexec_b32 s1, s6
	s_cbranch_execz .LBB79_3548
.LBB79_3547:
	v_and_b32_e32 v3, 0xffff, v1
	s_delay_alu instid0(VALU_DEP_1) | instskip(SKIP_1) | instid1(VALU_DEP_2)
	v_dual_lshlrev_b32 v1, 24, v1 :: v_dual_bitop2_b32 v5, 3, v3 bitop3:0x40
	v_bfe_u32 v11, v3, 2, 5
	v_and_b32_e32 v1, 0x80000000, v1
	s_delay_alu instid0(VALU_DEP_3) | instskip(NEXT) | instid1(VALU_DEP_3)
	v_clz_i32_u32_e32 v7, v5
	v_cmp_eq_u32_e32 vcc_lo, 0, v11
	s_delay_alu instid0(VALU_DEP_2) | instskip(NEXT) | instid1(VALU_DEP_1)
	v_min_u32_e32 v7, 32, v7
	v_subrev_nc_u32_e32 v10, 29, v7
	v_sub_nc_u32_e32 v7, 30, v7
	s_delay_alu instid0(VALU_DEP_2) | instskip(NEXT) | instid1(VALU_DEP_2)
	v_lshlrev_b32_e32 v3, v10, v3
	v_cndmask_b32_e32 v7, v11, v7, vcc_lo
	s_delay_alu instid0(VALU_DEP_2) | instskip(NEXT) | instid1(VALU_DEP_1)
	v_and_b32_e32 v3, 3, v3
	v_cndmask_b32_e32 v3, v5, v3, vcc_lo
	s_delay_alu instid0(VALU_DEP_3) | instskip(NEXT) | instid1(VALU_DEP_2)
	v_lshl_add_u32 v5, v7, 23, 0x37800000
	v_lshlrev_b32_e32 v3, 21, v3
	s_delay_alu instid0(VALU_DEP_1) | instskip(NEXT) | instid1(VALU_DEP_1)
	v_or3_b32 v1, v1, v5, v3
	v_trunc_f32_e32 v1, v1
	s_delay_alu instid0(VALU_DEP_1) | instskip(SKIP_1) | instid1(VALU_DEP_2)
	v_mul_f32_e64 v3, 0x2f800000, |v1|
	v_ashrrev_i32_e32 v10, 31, v1
	v_floor_f32_e32 v3, v3
	s_delay_alu instid0(VALU_DEP_2) | instskip(NEXT) | instid1(VALU_DEP_2)
	v_mov_b32_e32 v11, v10
	v_fma_f32 v5, 0xcf800000, v3, |v1|
	v_cvt_u32_f32_e32 v1, v3
	s_delay_alu instid0(VALU_DEP_2) | instskip(NEXT) | instid1(VALU_DEP_2)
	v_cvt_u32_f32_e32 v3, v5
	v_xor_b32_e32 v35, v1, v10
	s_delay_alu instid0(VALU_DEP_2) | instskip(NEXT) | instid1(VALU_DEP_1)
	v_xor_b32_e32 v34, v3, v10
	v_sub_nc_u64_e32 v[10:11], v[34:35], v[10:11]
.LBB79_3548:
	s_or_b32 exec_lo, exec_lo, s1
	s_mov_b32 s1, 0
	s_branch .LBB79_3554
.LBB79_3549:
	s_mov_b32 s1, -1
                                        ; implicit-def: $vgpr10_vgpr11
	s_branch .LBB79_3560
.LBB79_3550:
	s_and_not1_saveexec_b32 s6, s6
	s_cbranch_execz .LBB79_3535
.LBB79_3551:
	v_cmp_ne_u16_e32 vcc_lo, 0, v1
	s_and_not1_b32 s7, s7, exec_lo
	s_and_b32 s8, vcc_lo, exec_lo
	s_delay_alu instid0(SALU_CYCLE_1)
	s_or_b32 s7, s7, s8
	s_or_b32 exec_lo, exec_lo, s6
	v_mov_b64_e32 v[10:11], 0
	s_and_saveexec_b32 s6, s7
	s_cbranch_execnz .LBB79_3536
	s_branch .LBB79_3537
.LBB79_3552:
	s_mov_b32 s1, -1
                                        ; implicit-def: $vgpr10_vgpr11
	s_branch .LBB79_3557
.LBB79_3553:
	s_mov_b32 s1, -1
                                        ; implicit-def: $vgpr10_vgpr11
.LBB79_3554:
	s_delay_alu instid0(SALU_CYCLE_1)
	s_and_b32 vcc_lo, exec_lo, s1
	s_cbranch_vccz .LBB79_3556
; %bb.3555:
	global_load_u8 v1, v[32:33], off
	s_wait_loadcnt 0x0
	v_lshlrev_b32_e32 v1, 24, v1
	s_delay_alu instid0(VALU_DEP_1) | instskip(NEXT) | instid1(VALU_DEP_1)
	v_and_b32_e32 v3, 0x7f000000, v1
	v_clz_i32_u32_e32 v5, v3
	v_cmp_ne_u32_e32 vcc_lo, 0, v3
	v_add_nc_u32_e32 v10, 0x1000000, v3
	s_delay_alu instid0(VALU_DEP_3) | instskip(NEXT) | instid1(VALU_DEP_1)
	v_min_u32_e32 v5, 32, v5
	v_sub_nc_u32_e64 v5, v5, 4 clamp
	s_delay_alu instid0(VALU_DEP_1) | instskip(NEXT) | instid1(VALU_DEP_1)
	v_dual_lshlrev_b32 v7, v5, v3 :: v_dual_lshlrev_b32 v5, 23, v5
	v_lshrrev_b32_e32 v7, 4, v7
	s_delay_alu instid0(VALU_DEP_1) | instskip(NEXT) | instid1(VALU_DEP_1)
	v_dual_sub_nc_u32 v5, v7, v5 :: v_dual_ashrrev_i32 v7, 8, v10
	v_add_nc_u32_e32 v5, 0x3c000000, v5
	s_delay_alu instid0(VALU_DEP_1) | instskip(NEXT) | instid1(VALU_DEP_1)
	v_and_or_b32 v5, 0x7f800000, v7, v5
	v_cndmask_b32_e32 v3, 0, v5, vcc_lo
	s_delay_alu instid0(VALU_DEP_1) | instskip(NEXT) | instid1(VALU_DEP_1)
	v_and_or_b32 v1, 0x80000000, v1, v3
	v_trunc_f32_e32 v1, v1
	s_delay_alu instid0(VALU_DEP_1) | instskip(SKIP_1) | instid1(VALU_DEP_2)
	v_mul_f32_e64 v3, 0x2f800000, |v1|
	v_ashrrev_i32_e32 v10, 31, v1
	v_floor_f32_e32 v3, v3
	s_delay_alu instid0(VALU_DEP_1) | instskip(SKIP_1) | instid1(VALU_DEP_4)
	v_fma_f32 v5, 0xcf800000, v3, |v1|
	v_cvt_u32_f32_e32 v1, v3
	v_mov_b32_e32 v11, v10
	s_delay_alu instid0(VALU_DEP_3) | instskip(NEXT) | instid1(VALU_DEP_3)
	v_cvt_u32_f32_e32 v3, v5
	v_xor_b32_e32 v35, v1, v10
	s_delay_alu instid0(VALU_DEP_2) | instskip(NEXT) | instid1(VALU_DEP_1)
	v_xor_b32_e32 v34, v3, v10
	v_sub_nc_u64_e32 v[10:11], v[34:35], v[10:11]
.LBB79_3556:
	s_mov_b32 s1, 0
.LBB79_3557:
	s_delay_alu instid0(SALU_CYCLE_1)
	s_and_not1_b32 vcc_lo, exec_lo, s1
	s_cbranch_vccnz .LBB79_3559
; %bb.3558:
	global_load_u8 v1, v[32:33], off
	s_wait_loadcnt 0x0
	v_lshlrev_b32_e32 v3, 25, v1
	v_lshlrev_b16 v1, 8, v1
	s_delay_alu instid0(VALU_DEP_1) | instskip(SKIP_1) | instid1(VALU_DEP_2)
	v_and_or_b32 v7, 0x7f00, v1, 0.5
	v_bfe_i32 v1, v1, 0, 16
	v_add_f32_e32 v7, -0.5, v7
	v_lshrrev_b32_e32 v5, 4, v3
	v_cmp_gt_u32_e32 vcc_lo, 0x8000000, v3
	s_delay_alu instid0(VALU_DEP_2) | instskip(NEXT) | instid1(VALU_DEP_1)
	v_or_b32_e32 v5, 0x70000000, v5
	v_mul_f32_e32 v5, 0x7800000, v5
	s_delay_alu instid0(VALU_DEP_1) | instskip(NEXT) | instid1(VALU_DEP_1)
	v_cndmask_b32_e32 v3, v5, v7, vcc_lo
	v_and_or_b32 v1, 0x80000000, v1, v3
	s_delay_alu instid0(VALU_DEP_1) | instskip(NEXT) | instid1(VALU_DEP_1)
	v_trunc_f32_e32 v1, v1
	v_mul_f32_e64 v3, 0x2f800000, |v1|
	v_ashrrev_i32_e32 v10, 31, v1
	s_delay_alu instid0(VALU_DEP_2) | instskip(NEXT) | instid1(VALU_DEP_2)
	v_floor_f32_e32 v3, v3
	v_mov_b32_e32 v11, v10
	s_delay_alu instid0(VALU_DEP_2) | instskip(SKIP_1) | instid1(VALU_DEP_2)
	v_fma_f32 v5, 0xcf800000, v3, |v1|
	v_cvt_u32_f32_e32 v1, v3
	v_cvt_u32_f32_e32 v3, v5
	s_delay_alu instid0(VALU_DEP_2) | instskip(NEXT) | instid1(VALU_DEP_2)
	v_xor_b32_e32 v35, v1, v10
	v_xor_b32_e32 v34, v3, v10
	s_delay_alu instid0(VALU_DEP_1)
	v_sub_nc_u64_e32 v[10:11], v[34:35], v[10:11]
.LBB79_3559:
	s_mov_b32 s1, 0
	s_mov_b32 s6, -1
.LBB79_3560:
	s_and_not1_b32 vcc_lo, exec_lo, s1
	s_mov_b32 s1, 0
	s_cbranch_vccnz .LBB79_3571
; %bb.3561:
	s_cmp_gt_i32 s15, 14
	s_cbranch_scc0 .LBB79_3564
; %bb.3562:
	s_cmp_eq_u32 s15, 15
	s_cbranch_scc0 .LBB79_3567
; %bb.3563:
	global_load_u16 v1, v[32:33], off
	s_mov_b32 s0, 0
	s_mov_b32 s6, -1
	s_wait_loadcnt 0x0
	v_lshlrev_b32_e32 v1, 16, v1
	s_delay_alu instid0(VALU_DEP_1) | instskip(NEXT) | instid1(VALU_DEP_1)
	v_trunc_f32_e32 v1, v1
	v_mul_f32_e64 v3, 0x2f800000, |v1|
	v_ashrrev_i32_e32 v10, 31, v1
	s_delay_alu instid0(VALU_DEP_2) | instskip(NEXT) | instid1(VALU_DEP_2)
	v_floor_f32_e32 v3, v3
	v_mov_b32_e32 v11, v10
	s_delay_alu instid0(VALU_DEP_2) | instskip(SKIP_1) | instid1(VALU_DEP_2)
	v_fma_f32 v5, 0xcf800000, v3, |v1|
	v_cvt_u32_f32_e32 v1, v3
	v_cvt_u32_f32_e32 v3, v5
	s_delay_alu instid0(VALU_DEP_2) | instskip(NEXT) | instid1(VALU_DEP_2)
	v_xor_b32_e32 v35, v1, v10
	v_xor_b32_e32 v34, v3, v10
	s_delay_alu instid0(VALU_DEP_1)
	v_sub_nc_u64_e32 v[10:11], v[34:35], v[10:11]
	s_branch .LBB79_3569
.LBB79_3564:
	s_mov_b32 s1, -1
	s_branch .LBB79_3568
.LBB79_3565:
	s_and_not1_saveexec_b32 s1, s1
	s_cbranch_execz .LBB79_3546
.LBB79_3566:
	v_cmp_ne_u16_e32 vcc_lo, 0, v1
	s_and_not1_b32 s6, s6, exec_lo
	s_and_b32 s7, vcc_lo, exec_lo
	s_delay_alu instid0(SALU_CYCLE_1)
	s_or_b32 s6, s6, s7
	s_or_b32 exec_lo, exec_lo, s1
	v_mov_b64_e32 v[10:11], 0
	s_and_saveexec_b32 s1, s6
	s_cbranch_execnz .LBB79_3547
	s_branch .LBB79_3548
.LBB79_3567:
	s_mov_b32 s0, -1
.LBB79_3568:
                                        ; implicit-def: $vgpr10_vgpr11
.LBB79_3569:
	s_and_b32 vcc_lo, exec_lo, s1
	s_mov_b32 s1, 0
	s_cbranch_vccz .LBB79_3571
; %bb.3570:
	s_cmp_lg_u32 s15, 11
	s_mov_b32 s1, -1
	s_cselect_b32 s0, -1, 0
.LBB79_3571:
	s_delay_alu instid0(SALU_CYCLE_1)
	s_and_b32 vcc_lo, exec_lo, s0
	s_cbranch_vccnz .LBB79_4104
; %bb.3572:
	s_and_not1_b32 vcc_lo, exec_lo, s1
	s_cbranch_vccnz .LBB79_3574
.LBB79_3573:
	global_load_u8 v1, v[32:33], off
	s_mov_b32 s0, 0
	s_mov_b32 s6, -1
	s_wait_loadcnt 0x1
	v_mov_b32_e32 v11, s0
	s_wait_loadcnt 0x0
	v_cmp_ne_u16_e32 vcc_lo, 0, v1
	v_cndmask_b32_e64 v10, 0, 1, vcc_lo
.LBB79_3574:
	s_mov_b32 s0, 0
.LBB79_3575:
	s_delay_alu instid0(SALU_CYCLE_1)
	s_and_b32 vcc_lo, exec_lo, s0
	s_cbranch_vccz .LBB79_3624
; %bb.3576:
	s_cmp_lt_i32 s15, 5
	s_cbranch_scc1 .LBB79_3581
; %bb.3577:
	s_cmp_lt_i32 s15, 8
	s_cbranch_scc1 .LBB79_3582
	;; [unrolled: 3-line block ×3, first 2 shown]
; %bb.3579:
	s_cmp_gt_i32 s15, 9
	s_cbranch_scc0 .LBB79_3584
; %bb.3580:
	s_wait_loadcnt 0x0
	global_load_b64 v[10:11], v[32:33], off
	s_mov_b32 s0, 0
	s_wait_loadcnt 0x0
	v_trunc_f64_e32 v[10:11], v[10:11]
	s_delay_alu instid0(VALU_DEP_1) | instskip(NEXT) | instid1(VALU_DEP_1)
	v_ldexp_f64 v[34:35], v[10:11], 0xffffffe0
	v_floor_f64_e32 v[34:35], v[34:35]
	s_delay_alu instid0(VALU_DEP_1) | instskip(SKIP_1) | instid1(VALU_DEP_2)
	v_fmamk_f64 v[36:37], v[34:35], 0xc1f00000, v[10:11]
	v_cvt_i32_f64_e32 v11, v[34:35]
	v_cvt_u32_f64_e32 v10, v[36:37]
	s_branch .LBB79_3585
.LBB79_3581:
	s_mov_b32 s0, -1
                                        ; implicit-def: $vgpr10_vgpr11
	s_branch .LBB79_3603
.LBB79_3582:
	s_mov_b32 s0, -1
                                        ; implicit-def: $vgpr10_vgpr11
	s_branch .LBB79_3591
.LBB79_3583:
	s_mov_b32 s0, -1
                                        ; implicit-def: $vgpr10_vgpr11
	s_branch .LBB79_3588
.LBB79_3584:
	s_mov_b32 s0, -1
                                        ; implicit-def: $vgpr10_vgpr11
.LBB79_3585:
	s_delay_alu instid0(SALU_CYCLE_1)
	s_and_not1_b32 vcc_lo, exec_lo, s0
	s_cbranch_vccnz .LBB79_3587
; %bb.3586:
	global_load_b32 v1, v[32:33], off
	s_wait_loadcnt 0x0
	v_trunc_f32_e32 v1, v1
	s_delay_alu instid0(VALU_DEP_1) | instskip(SKIP_1) | instid1(VALU_DEP_2)
	v_mul_f32_e64 v3, 0x2f800000, |v1|
	v_ashrrev_i32_e32 v10, 31, v1
	v_floor_f32_e32 v3, v3
	s_delay_alu instid0(VALU_DEP_1) | instskip(SKIP_1) | instid1(VALU_DEP_4)
	v_fma_f32 v5, 0xcf800000, v3, |v1|
	v_cvt_u32_f32_e32 v1, v3
	v_mov_b32_e32 v11, v10
	s_delay_alu instid0(VALU_DEP_3) | instskip(NEXT) | instid1(VALU_DEP_3)
	v_cvt_u32_f32_e32 v3, v5
	v_xor_b32_e32 v35, v1, v10
	s_delay_alu instid0(VALU_DEP_2) | instskip(NEXT) | instid1(VALU_DEP_1)
	v_xor_b32_e32 v34, v3, v10
	v_sub_nc_u64_e32 v[10:11], v[34:35], v[10:11]
.LBB79_3587:
	s_mov_b32 s0, 0
.LBB79_3588:
	s_delay_alu instid0(SALU_CYCLE_1)
	s_and_not1_b32 vcc_lo, exec_lo, s0
	s_cbranch_vccnz .LBB79_3590
; %bb.3589:
	global_load_b32 v1, v[32:33], off
	s_wait_loadcnt 0x0
	v_cvt_f32_f16_e32 v1, v1
	s_delay_alu instid0(VALU_DEP_1) | instskip(NEXT) | instid1(VALU_DEP_1)
	v_cvt_i32_f32_e32 v10, v1
	v_ashrrev_i32_e32 v11, 31, v10
.LBB79_3590:
	s_mov_b32 s0, 0
.LBB79_3591:
	s_delay_alu instid0(SALU_CYCLE_1)
	s_and_not1_b32 vcc_lo, exec_lo, s0
	s_cbranch_vccnz .LBB79_3602
; %bb.3592:
	s_cmp_lt_i32 s15, 6
	s_cbranch_scc1 .LBB79_3595
; %bb.3593:
	s_cmp_gt_i32 s15, 6
	s_cbranch_scc0 .LBB79_3596
; %bb.3594:
	s_wait_loadcnt 0x0
	global_load_b64 v[10:11], v[32:33], off
	s_mov_b32 s0, 0
	s_wait_loadcnt 0x0
	v_trunc_f64_e32 v[10:11], v[10:11]
	s_delay_alu instid0(VALU_DEP_1) | instskip(NEXT) | instid1(VALU_DEP_1)
	v_ldexp_f64 v[34:35], v[10:11], 0xffffffe0
	v_floor_f64_e32 v[34:35], v[34:35]
	s_delay_alu instid0(VALU_DEP_1) | instskip(SKIP_1) | instid1(VALU_DEP_2)
	v_fmamk_f64 v[36:37], v[34:35], 0xc1f00000, v[10:11]
	v_cvt_i32_f64_e32 v11, v[34:35]
	v_cvt_u32_f64_e32 v10, v[36:37]
	s_branch .LBB79_3597
.LBB79_3595:
	s_mov_b32 s0, -1
                                        ; implicit-def: $vgpr10_vgpr11
	s_branch .LBB79_3600
.LBB79_3596:
	s_mov_b32 s0, -1
                                        ; implicit-def: $vgpr10_vgpr11
.LBB79_3597:
	s_delay_alu instid0(SALU_CYCLE_1)
	s_and_not1_b32 vcc_lo, exec_lo, s0
	s_cbranch_vccnz .LBB79_3599
; %bb.3598:
	global_load_b32 v1, v[32:33], off
	s_wait_loadcnt 0x0
	v_trunc_f32_e32 v1, v1
	s_delay_alu instid0(VALU_DEP_1) | instskip(SKIP_1) | instid1(VALU_DEP_2)
	v_mul_f32_e64 v3, 0x2f800000, |v1|
	v_ashrrev_i32_e32 v10, 31, v1
	v_floor_f32_e32 v3, v3
	s_delay_alu instid0(VALU_DEP_1) | instskip(SKIP_1) | instid1(VALU_DEP_4)
	v_fma_f32 v5, 0xcf800000, v3, |v1|
	v_cvt_u32_f32_e32 v1, v3
	v_mov_b32_e32 v11, v10
	s_delay_alu instid0(VALU_DEP_3) | instskip(NEXT) | instid1(VALU_DEP_3)
	v_cvt_u32_f32_e32 v3, v5
	v_xor_b32_e32 v35, v1, v10
	s_delay_alu instid0(VALU_DEP_2) | instskip(NEXT) | instid1(VALU_DEP_1)
	v_xor_b32_e32 v34, v3, v10
	v_sub_nc_u64_e32 v[10:11], v[34:35], v[10:11]
.LBB79_3599:
	s_mov_b32 s0, 0
.LBB79_3600:
	s_delay_alu instid0(SALU_CYCLE_1)
	s_and_not1_b32 vcc_lo, exec_lo, s0
	s_cbranch_vccnz .LBB79_3602
; %bb.3601:
	global_load_u16 v1, v[32:33], off
	s_wait_loadcnt 0x0
	v_cvt_f32_f16_e32 v1, v1
	s_delay_alu instid0(VALU_DEP_1) | instskip(NEXT) | instid1(VALU_DEP_1)
	v_cvt_i32_f32_e32 v10, v1
	v_ashrrev_i32_e32 v11, 31, v10
.LBB79_3602:
	s_mov_b32 s0, 0
.LBB79_3603:
	s_delay_alu instid0(SALU_CYCLE_1)
	s_and_not1_b32 vcc_lo, exec_lo, s0
	s_cbranch_vccnz .LBB79_3623
; %bb.3604:
	s_cmp_lt_i32 s15, 2
	s_cbranch_scc1 .LBB79_3608
; %bb.3605:
	s_cmp_lt_i32 s15, 3
	s_cbranch_scc1 .LBB79_3609
; %bb.3606:
	s_cmp_gt_i32 s15, 3
	s_cbranch_scc0 .LBB79_3610
; %bb.3607:
	s_wait_loadcnt 0x0
	global_load_b64 v[10:11], v[32:33], off
	s_mov_b32 s0, 0
	s_branch .LBB79_3611
.LBB79_3608:
	s_mov_b32 s0, -1
                                        ; implicit-def: $vgpr10_vgpr11
	s_branch .LBB79_3617
.LBB79_3609:
	s_mov_b32 s0, -1
                                        ; implicit-def: $vgpr10_vgpr11
	s_branch .LBB79_3614
.LBB79_3610:
	s_mov_b32 s0, -1
                                        ; implicit-def: $vgpr10_vgpr11
.LBB79_3611:
	s_delay_alu instid0(SALU_CYCLE_1)
	s_and_not1_b32 vcc_lo, exec_lo, s0
	s_cbranch_vccnz .LBB79_3613
; %bb.3612:
	s_wait_loadcnt 0x0
	global_load_b32 v10, v[32:33], off
	s_wait_loadcnt 0x0
	v_ashrrev_i32_e32 v11, 31, v10
.LBB79_3613:
	s_mov_b32 s0, 0
.LBB79_3614:
	s_delay_alu instid0(SALU_CYCLE_1)
	s_and_not1_b32 vcc_lo, exec_lo, s0
	s_cbranch_vccnz .LBB79_3616
; %bb.3615:
	global_load_u16 v1, v[32:33], off
	s_wait_loadcnt 0x0
	v_bfe_i32 v10, v1, 0, 16
	s_delay_alu instid0(VALU_DEP_1)
	v_ashrrev_i32_e32 v11, 31, v10
.LBB79_3616:
	s_mov_b32 s0, 0
.LBB79_3617:
	s_delay_alu instid0(SALU_CYCLE_1)
	s_and_not1_b32 vcc_lo, exec_lo, s0
	s_cbranch_vccnz .LBB79_3623
; %bb.3618:
	s_cmp_gt_i32 s15, 0
	s_mov_b32 s0, 0
	s_cbranch_scc0 .LBB79_3620
; %bb.3619:
	global_load_i8 v1, v[32:33], off
	s_wait_loadcnt 0x0
	v_bfe_i32 v10, v1, 0, 16
	s_delay_alu instid0(VALU_DEP_1)
	v_ashrrev_i32_e32 v11, 31, v10
	s_branch .LBB79_3621
.LBB79_3620:
	s_mov_b32 s0, -1
                                        ; implicit-def: $vgpr10_vgpr11
.LBB79_3621:
	s_delay_alu instid0(SALU_CYCLE_1)
	s_and_not1_b32 vcc_lo, exec_lo, s0
	s_cbranch_vccnz .LBB79_3623
; %bb.3622:
	global_load_u8 v1, v[32:33], off
	s_mov_b32 s0, 0
	s_wait_loadcnt 0x1
	v_mov_b32_e32 v11, s0
	s_wait_loadcnt 0x0
	v_and_b32_e32 v10, 0xffff, v1
.LBB79_3623:
	s_mov_b32 s6, -1
.LBB79_3624:
	s_delay_alu instid0(SALU_CYCLE_1)
	s_and_not1_b32 vcc_lo, exec_lo, s6
	s_cbranch_vccnz .LBB79_4058
; %bb.3625:
	s_clause 0x1
	s_load_b128 s[8:11], s[2:3], 0x1e8
	s_load_b32 s0, s[2:3], 0x1f8
	v_mov_b32_e32 v7, 0
	s_delay_alu instid0(VALU_DEP_1) | instskip(SKIP_4) | instid1(SALU_CYCLE_1)
	v_add_nc_u64_e32 v[6:7], s[4:5], v[6:7]
	s_wait_kmcnt 0x0
	v_mul_u64_e32 v[8:9], s[8:9], v[8:9]
	v_mul_u64_e32 v[12:13], s[10:11], v[12:13]
	s_and_b32 s1, s0, 0xff
	s_cmp_lt_i32 s1, 11
	s_wait_loadcnt 0x0
	s_delay_alu instid0(VALU_DEP_1) | instskip(NEXT) | instid1(VALU_DEP_1)
	v_mad_nc_u64_u32 v[8:9], v12, v16, v[8:9]
	v_mad_u32 v1, v13, v16, v9
	s_delay_alu instid0(VALU_DEP_1)
	v_mad_u32 v9, v12, v17, v1
	s_cbranch_scc1 .LBB79_3703
; %bb.3626:
	s_and_b32 s2, 0xffff, s1
	s_mov_b32 s7, -1
	s_mov_b32 s3, 0
	s_cmp_gt_i32 s2, 25
	s_mov_b32 s6, 0
	s_mov_b32 s0, 0
	s_cbranch_scc0 .LBB79_3659
; %bb.3627:
	s_cmp_gt_i32 s2, 28
	s_cbranch_scc0 .LBB79_3642
; %bb.3628:
	s_cmp_gt_i32 s2, 43
	;; [unrolled: 3-line block ×3, first 2 shown]
	s_cbranch_scc0 .LBB79_3632
; %bb.3630:
	s_mov_b32 s0, -1
	s_mov_b32 s7, 0
	s_cmp_eq_u32 s2, 46
	s_cbranch_scc0 .LBB79_3632
; %bb.3631:
	v_xor_b32_e32 v1, v8, v9
	v_cls_i32_e32 v3, v9
	s_mov_b32 s6, -1
	s_mov_b32 s0, 0
	s_delay_alu instid0(VALU_DEP_2) | instskip(NEXT) | instid1(VALU_DEP_1)
	v_ashrrev_i32_e32 v1, 31, v1
	v_add_nc_u32_e32 v1, 32, v1
	s_delay_alu instid0(VALU_DEP_1) | instskip(NEXT) | instid1(VALU_DEP_1)
	v_add_min_u32_e64 v1, v3, -1, v1
	v_lshlrev_b64_e32 v[12:13], v1, v[8:9]
	v_sub_nc_u32_e32 v1, 32, v1
	s_delay_alu instid0(VALU_DEP_2) | instskip(NEXT) | instid1(VALU_DEP_1)
	v_min_u32_e32 v3, 1, v12
	v_or_b32_e32 v3, v13, v3
	s_delay_alu instid0(VALU_DEP_1) | instskip(NEXT) | instid1(VALU_DEP_1)
	v_cvt_f32_i32_e32 v3, v3
	v_ldexp_f32 v1, v3, v1
	s_delay_alu instid0(VALU_DEP_1) | instskip(NEXT) | instid1(VALU_DEP_1)
	v_bfe_u32 v3, v1, 16, 1
	v_add3_u32 v1, v1, v3, 0x7fff
	s_delay_alu instid0(VALU_DEP_1)
	v_lshrrev_b32_e32 v1, 16, v1
	global_store_b32 v[6:7], v1, off
.LBB79_3632:
	s_and_b32 vcc_lo, exec_lo, s7
	s_cbranch_vccz .LBB79_3637
; %bb.3633:
	s_cmp_eq_u32 s2, 44
	s_mov_b32 s0, -1
	s_cbranch_scc0 .LBB79_3637
; %bb.3634:
	s_wait_xcnt 0x0
	v_xor_b32_e32 v1, v8, v9
	v_cls_i32_e32 v3, v9
	s_mov_b32 s6, -1
	s_mov_b32 s7, exec_lo
	s_delay_alu instid0(VALU_DEP_2) | instskip(NEXT) | instid1(VALU_DEP_1)
	v_ashrrev_i32_e32 v1, 31, v1
	v_add_nc_u32_e32 v1, 32, v1
	s_delay_alu instid0(VALU_DEP_1) | instskip(NEXT) | instid1(VALU_DEP_1)
	v_add_min_u32_e64 v1, v3, -1, v1
	v_lshlrev_b64_e32 v[12:13], v1, v[8:9]
	v_sub_nc_u32_e32 v1, 32, v1
	s_delay_alu instid0(VALU_DEP_2) | instskip(NEXT) | instid1(VALU_DEP_1)
	v_min_u32_e32 v3, 1, v12
	v_or_b32_e32 v3, v13, v3
	s_delay_alu instid0(VALU_DEP_1) | instskip(NEXT) | instid1(VALU_DEP_1)
	v_cvt_f32_i32_e32 v3, v3
	v_ldexp_f32 v1, v3, v1
	v_mov_b32_e32 v3, 0xff
	s_delay_alu instid0(VALU_DEP_2) | instskip(NEXT) | instid1(VALU_DEP_1)
	v_bfe_u32 v5, v1, 23, 8
	v_cmpx_ne_u32_e32 0xff, v5
	s_cbranch_execz .LBB79_3636
; %bb.3635:
	v_and_b32_e32 v3, 0x400000, v1
	v_and_or_b32 v5, 0x3fffff, v1, v5
	v_lshrrev_b32_e32 v1, 23, v1
	s_delay_alu instid0(VALU_DEP_3) | instskip(NEXT) | instid1(VALU_DEP_3)
	v_cmp_ne_u32_e32 vcc_lo, 0, v3
	v_cmp_ne_u32_e64 s0, 0, v5
	s_and_b32 s0, vcc_lo, s0
	s_delay_alu instid0(SALU_CYCLE_1) | instskip(NEXT) | instid1(VALU_DEP_1)
	v_cndmask_b32_e64 v3, 0, 1, s0
	v_add_nc_u32_e32 v3, v1, v3
.LBB79_3636:
	s_or_b32 exec_lo, exec_lo, s7
	s_mov_b32 s0, 0
	global_store_b8 v[6:7], v3, off
.LBB79_3637:
	s_mov_b32 s7, 0
.LBB79_3638:
	s_delay_alu instid0(SALU_CYCLE_1)
	s_and_b32 vcc_lo, exec_lo, s7
	s_cbranch_vccz .LBB79_3641
; %bb.3639:
	s_cmp_eq_u32 s2, 29
	s_mov_b32 s0, -1
	s_cbranch_scc0 .LBB79_3641
; %bb.3640:
	s_mov_b32 s0, 0
	s_mov_b32 s6, -1
	global_store_b64 v[6:7], v[8:9], off
.LBB79_3641:
	s_mov_b32 s7, 0
.LBB79_3642:
	s_delay_alu instid0(SALU_CYCLE_1)
	s_and_b32 vcc_lo, exec_lo, s7
	s_cbranch_vccz .LBB79_3658
; %bb.3643:
	s_cmp_lt_i32 s2, 27
	s_mov_b32 s6, -1
	s_cbranch_scc1 .LBB79_3649
; %bb.3644:
	s_cmp_gt_i32 s2, 27
	s_cbranch_scc0 .LBB79_3646
; %bb.3645:
	s_mov_b32 s6, 0
	global_store_b32 v[6:7], v8, off
.LBB79_3646:
	s_and_not1_b32 vcc_lo, exec_lo, s6
	s_cbranch_vccnz .LBB79_3648
; %bb.3647:
	global_store_b16 v[6:7], v8, off
.LBB79_3648:
	s_mov_b32 s6, 0
.LBB79_3649:
	s_delay_alu instid0(SALU_CYCLE_1)
	s_and_not1_b32 vcc_lo, exec_lo, s6
	s_cbranch_vccnz .LBB79_3657
; %bb.3650:
	s_wait_xcnt 0x0
	v_xor_b32_e32 v1, v8, v9
	v_cls_i32_e32 v3, v9
	v_mov_b32_e32 v5, 0x80
	s_mov_b32 s6, exec_lo
	s_delay_alu instid0(VALU_DEP_3) | instskip(NEXT) | instid1(VALU_DEP_1)
	v_ashrrev_i32_e32 v1, 31, v1
	v_add_nc_u32_e32 v1, 32, v1
	s_delay_alu instid0(VALU_DEP_1) | instskip(NEXT) | instid1(VALU_DEP_1)
	v_add_min_u32_e64 v1, v3, -1, v1
	v_lshlrev_b64_e32 v[12:13], v1, v[8:9]
	v_sub_nc_u32_e32 v1, 32, v1
	s_delay_alu instid0(VALU_DEP_2) | instskip(NEXT) | instid1(VALU_DEP_1)
	v_min_u32_e32 v3, 1, v12
	v_or_b32_e32 v3, v13, v3
	s_delay_alu instid0(VALU_DEP_1) | instskip(NEXT) | instid1(VALU_DEP_1)
	v_cvt_f32_i32_e32 v3, v3
	v_ldexp_f32 v1, v3, v1
	s_delay_alu instid0(VALU_DEP_1) | instskip(NEXT) | instid1(VALU_DEP_1)
	v_and_b32_e32 v3, 0x7fffffff, v1
	v_cmpx_gt_u32_e32 0x43800000, v3
	s_cbranch_execz .LBB79_3656
; %bb.3651:
	v_cmp_lt_u32_e32 vcc_lo, 0x3bffffff, v3
	s_mov_b32 s7, 0
                                        ; implicit-def: $vgpr3
	s_and_saveexec_b32 s15, vcc_lo
	s_delay_alu instid0(SALU_CYCLE_1)
	s_xor_b32 s15, exec_lo, s15
	s_cbranch_execz .LBB79_4105
; %bb.3652:
	v_bfe_u32 v3, v1, 20, 1
	s_mov_b32 s7, exec_lo
	s_delay_alu instid0(VALU_DEP_1) | instskip(NEXT) | instid1(VALU_DEP_1)
	v_add3_u32 v3, v1, v3, 0x487ffff
	v_lshrrev_b32_e32 v3, 20, v3
	s_and_not1_saveexec_b32 s15, s15
	s_cbranch_execnz .LBB79_4106
.LBB79_3653:
	s_or_b32 exec_lo, exec_lo, s15
	v_mov_b32_e32 v5, 0
	s_and_saveexec_b32 s15, s7
.LBB79_3654:
	v_lshrrev_b32_e32 v1, 24, v1
	s_delay_alu instid0(VALU_DEP_1)
	v_and_or_b32 v5, 0x80, v1, v3
.LBB79_3655:
	s_or_b32 exec_lo, exec_lo, s15
.LBB79_3656:
	s_delay_alu instid0(SALU_CYCLE_1)
	s_or_b32 exec_lo, exec_lo, s6
	global_store_b8 v[6:7], v5, off
.LBB79_3657:
	s_mov_b32 s6, -1
.LBB79_3658:
	s_mov_b32 s7, 0
.LBB79_3659:
	s_delay_alu instid0(SALU_CYCLE_1)
	s_and_b32 vcc_lo, exec_lo, s7
	s_cbranch_vccz .LBB79_3699
; %bb.3660:
	s_cmp_gt_i32 s2, 22
	s_mov_b32 s3, -1
	s_cbranch_scc0 .LBB79_3692
; %bb.3661:
	s_cmp_lt_i32 s2, 24
	s_cbranch_scc1 .LBB79_3681
; %bb.3662:
	s_cmp_gt_i32 s2, 24
	s_cbranch_scc0 .LBB79_3670
; %bb.3663:
	s_wait_xcnt 0x0
	v_xor_b32_e32 v1, v8, v9
	v_cls_i32_e32 v3, v9
	v_mov_b32_e32 v5, 0x80
	s_mov_b32 s3, exec_lo
	s_delay_alu instid0(VALU_DEP_3) | instskip(NEXT) | instid1(VALU_DEP_1)
	v_ashrrev_i32_e32 v1, 31, v1
	v_add_nc_u32_e32 v1, 32, v1
	s_delay_alu instid0(VALU_DEP_1) | instskip(NEXT) | instid1(VALU_DEP_1)
	v_add_min_u32_e64 v1, v3, -1, v1
	v_lshlrev_b64_e32 v[12:13], v1, v[8:9]
	v_sub_nc_u32_e32 v1, 32, v1
	s_delay_alu instid0(VALU_DEP_2) | instskip(NEXT) | instid1(VALU_DEP_1)
	v_min_u32_e32 v3, 1, v12
	v_or_b32_e32 v3, v13, v3
	s_delay_alu instid0(VALU_DEP_1) | instskip(NEXT) | instid1(VALU_DEP_1)
	v_cvt_f32_i32_e32 v3, v3
	v_ldexp_f32 v1, v3, v1
	s_delay_alu instid0(VALU_DEP_1) | instskip(NEXT) | instid1(VALU_DEP_1)
	v_and_b32_e32 v3, 0x7fffffff, v1
	v_cmpx_gt_u32_e32 0x47800000, v3
	s_cbranch_execz .LBB79_3669
; %bb.3664:
	v_cmp_lt_u32_e32 vcc_lo, 0x37ffffff, v3
	s_mov_b32 s6, 0
                                        ; implicit-def: $vgpr3
	s_and_saveexec_b32 s7, vcc_lo
	s_delay_alu instid0(SALU_CYCLE_1)
	s_xor_b32 s7, exec_lo, s7
	s_cbranch_execz .LBB79_4108
; %bb.3665:
	v_bfe_u32 v3, v1, 21, 1
	s_mov_b32 s6, exec_lo
	s_delay_alu instid0(VALU_DEP_1) | instskip(NEXT) | instid1(VALU_DEP_1)
	v_add3_u32 v3, v1, v3, 0x88fffff
	v_lshrrev_b32_e32 v3, 21, v3
	s_and_not1_saveexec_b32 s7, s7
	s_cbranch_execnz .LBB79_4109
.LBB79_3666:
	s_or_b32 exec_lo, exec_lo, s7
	v_mov_b32_e32 v5, 0
	s_and_saveexec_b32 s7, s6
.LBB79_3667:
	v_lshrrev_b32_e32 v1, 24, v1
	s_delay_alu instid0(VALU_DEP_1)
	v_and_or_b32 v5, 0x80, v1, v3
.LBB79_3668:
	s_or_b32 exec_lo, exec_lo, s7
.LBB79_3669:
	s_delay_alu instid0(SALU_CYCLE_1)
	s_or_b32 exec_lo, exec_lo, s3
	s_mov_b32 s3, 0
	global_store_b8 v[6:7], v5, off
.LBB79_3670:
	s_and_b32 vcc_lo, exec_lo, s3
	s_cbranch_vccz .LBB79_3680
; %bb.3671:
	s_wait_xcnt 0x0
	v_xor_b32_e32 v1, v8, v9
	v_cls_i32_e32 v3, v9
	s_mov_b32 s3, exec_lo
	s_delay_alu instid0(VALU_DEP_2) | instskip(NEXT) | instid1(VALU_DEP_1)
	v_ashrrev_i32_e32 v1, 31, v1
	v_add_nc_u32_e32 v1, 32, v1
	s_delay_alu instid0(VALU_DEP_1) | instskip(NEXT) | instid1(VALU_DEP_1)
	v_add_min_u32_e64 v1, v3, -1, v1
	v_lshlrev_b64_e32 v[12:13], v1, v[8:9]
	v_sub_nc_u32_e32 v1, 32, v1
	s_delay_alu instid0(VALU_DEP_2) | instskip(NEXT) | instid1(VALU_DEP_1)
	v_min_u32_e32 v3, 1, v12
	v_or_b32_e32 v3, v13, v3
	s_delay_alu instid0(VALU_DEP_1) | instskip(NEXT) | instid1(VALU_DEP_1)
	v_cvt_f32_i32_e32 v3, v3
	v_ldexp_f32 v1, v3, v1
                                        ; implicit-def: $vgpr3
	s_delay_alu instid0(VALU_DEP_1) | instskip(NEXT) | instid1(VALU_DEP_1)
	v_and_b32_e32 v5, 0x7fffffff, v1
	v_cmpx_gt_u32_e32 0x43f00000, v5
	s_xor_b32 s3, exec_lo, s3
	s_cbranch_execz .LBB79_3677
; %bb.3672:
	s_mov_b32 s6, exec_lo
                                        ; implicit-def: $vgpr3
	v_cmpx_lt_u32_e32 0x3c7fffff, v5
	s_xor_b32 s6, exec_lo, s6
; %bb.3673:
	v_bfe_u32 v3, v1, 20, 1
	s_delay_alu instid0(VALU_DEP_1) | instskip(NEXT) | instid1(VALU_DEP_1)
	v_add3_u32 v3, v1, v3, 0x407ffff
	v_and_b32_e32 v5, 0xff00000, v3
	v_lshrrev_b32_e32 v3, 20, v3
	s_delay_alu instid0(VALU_DEP_2) | instskip(NEXT) | instid1(VALU_DEP_2)
	v_cmp_ne_u32_e32 vcc_lo, 0x7f00000, v5
	v_cndmask_b32_e32 v3, 0x7e, v3, vcc_lo
; %bb.3674:
	s_and_not1_saveexec_b32 s6, s6
; %bb.3675:
	v_add_f32_e64 v3, 0x46800000, |v1|
; %bb.3676:
	s_or_b32 exec_lo, exec_lo, s6
                                        ; implicit-def: $vgpr5
.LBB79_3677:
	s_and_not1_saveexec_b32 s3, s3
; %bb.3678:
	v_mov_b32_e32 v3, 0x7f
	v_cmp_lt_u32_e32 vcc_lo, 0x7f800000, v5
	s_delay_alu instid0(VALU_DEP_2)
	v_cndmask_b32_e32 v3, 0x7e, v3, vcc_lo
; %bb.3679:
	s_or_b32 exec_lo, exec_lo, s3
	v_lshrrev_b32_e32 v1, 24, v1
	s_delay_alu instid0(VALU_DEP_1)
	v_and_or_b32 v1, 0x80, v1, v3
	global_store_b8 v[6:7], v1, off
.LBB79_3680:
	s_mov_b32 s3, 0
.LBB79_3681:
	s_delay_alu instid0(SALU_CYCLE_1)
	s_and_not1_b32 vcc_lo, exec_lo, s3
	s_cbranch_vccnz .LBB79_3691
; %bb.3682:
	s_wait_xcnt 0x0
	v_xor_b32_e32 v1, v8, v9
	v_cls_i32_e32 v3, v9
	s_mov_b32 s3, exec_lo
	s_delay_alu instid0(VALU_DEP_2) | instskip(NEXT) | instid1(VALU_DEP_1)
	v_ashrrev_i32_e32 v1, 31, v1
	v_add_nc_u32_e32 v1, 32, v1
	s_delay_alu instid0(VALU_DEP_1) | instskip(NEXT) | instid1(VALU_DEP_1)
	v_add_min_u32_e64 v1, v3, -1, v1
	v_lshlrev_b64_e32 v[12:13], v1, v[8:9]
	v_sub_nc_u32_e32 v1, 32, v1
	s_delay_alu instid0(VALU_DEP_2) | instskip(NEXT) | instid1(VALU_DEP_1)
	v_min_u32_e32 v3, 1, v12
	v_or_b32_e32 v3, v13, v3
	s_delay_alu instid0(VALU_DEP_1) | instskip(NEXT) | instid1(VALU_DEP_1)
	v_cvt_f32_i32_e32 v3, v3
	v_ldexp_f32 v1, v3, v1
                                        ; implicit-def: $vgpr3
	s_delay_alu instid0(VALU_DEP_1) | instskip(NEXT) | instid1(VALU_DEP_1)
	v_and_b32_e32 v5, 0x7fffffff, v1
	v_cmpx_gt_u32_e32 0x47800000, v5
	s_xor_b32 s3, exec_lo, s3
	s_cbranch_execz .LBB79_3688
; %bb.3683:
	s_mov_b32 s6, exec_lo
                                        ; implicit-def: $vgpr3
	v_cmpx_lt_u32_e32 0x387fffff, v5
	s_xor_b32 s6, exec_lo, s6
; %bb.3684:
	v_bfe_u32 v3, v1, 21, 1
	s_delay_alu instid0(VALU_DEP_1) | instskip(NEXT) | instid1(VALU_DEP_1)
	v_add3_u32 v3, v1, v3, 0x80fffff
	v_lshrrev_b32_e32 v3, 21, v3
; %bb.3685:
	s_and_not1_saveexec_b32 s6, s6
; %bb.3686:
	v_add_f32_e64 v3, 0x43000000, |v1|
; %bb.3687:
	s_or_b32 exec_lo, exec_lo, s6
                                        ; implicit-def: $vgpr5
.LBB79_3688:
	s_and_not1_saveexec_b32 s3, s3
; %bb.3689:
	v_mov_b32_e32 v3, 0x7f
	v_cmp_lt_u32_e32 vcc_lo, 0x7f800000, v5
	s_delay_alu instid0(VALU_DEP_2)
	v_cndmask_b32_e32 v3, 0x7c, v3, vcc_lo
; %bb.3690:
	s_or_b32 exec_lo, exec_lo, s3
	v_lshrrev_b32_e32 v1, 24, v1
	s_delay_alu instid0(VALU_DEP_1)
	v_and_or_b32 v1, 0x80, v1, v3
	global_store_b8 v[6:7], v1, off
.LBB79_3691:
	s_mov_b32 s3, 0
	s_mov_b32 s6, -1
.LBB79_3692:
	s_and_not1_b32 vcc_lo, exec_lo, s3
	s_mov_b32 s3, 0
	s_cbranch_vccnz .LBB79_3699
; %bb.3693:
	s_cmp_gt_i32 s2, 14
	s_mov_b32 s3, -1
	s_cbranch_scc0 .LBB79_3697
; %bb.3694:
	s_cmp_eq_u32 s2, 15
	s_mov_b32 s0, -1
	s_cbranch_scc0 .LBB79_3696
; %bb.3695:
	s_wait_xcnt 0x0
	v_xor_b32_e32 v1, v8, v9
	v_cls_i32_e32 v3, v9
	s_mov_b32 s6, -1
	s_mov_b32 s0, 0
	s_delay_alu instid0(VALU_DEP_2) | instskip(NEXT) | instid1(VALU_DEP_1)
	v_ashrrev_i32_e32 v1, 31, v1
	v_add_nc_u32_e32 v1, 32, v1
	s_delay_alu instid0(VALU_DEP_1) | instskip(NEXT) | instid1(VALU_DEP_1)
	v_add_min_u32_e64 v1, v3, -1, v1
	v_lshlrev_b64_e32 v[12:13], v1, v[8:9]
	v_sub_nc_u32_e32 v1, 32, v1
	s_delay_alu instid0(VALU_DEP_2) | instskip(NEXT) | instid1(VALU_DEP_1)
	v_min_u32_e32 v3, 1, v12
	v_or_b32_e32 v3, v13, v3
	s_delay_alu instid0(VALU_DEP_1) | instskip(NEXT) | instid1(VALU_DEP_1)
	v_cvt_f32_i32_e32 v3, v3
	v_ldexp_f32 v1, v3, v1
	s_delay_alu instid0(VALU_DEP_1) | instskip(NEXT) | instid1(VALU_DEP_1)
	v_bfe_u32 v3, v1, 16, 1
	v_add3_u32 v1, v1, v3, 0x7fff
	global_store_d16_hi_b16 v[6:7], v1, off
.LBB79_3696:
	s_mov_b32 s3, 0
.LBB79_3697:
	s_delay_alu instid0(SALU_CYCLE_1)
	s_and_b32 vcc_lo, exec_lo, s3
	s_mov_b32 s3, 0
	s_cbranch_vccz .LBB79_3699
; %bb.3698:
	s_cmp_lg_u32 s2, 11
	s_mov_b32 s3, -1
	s_cselect_b32 s0, -1, 0
.LBB79_3699:
	s_delay_alu instid0(SALU_CYCLE_1)
	s_and_b32 vcc_lo, exec_lo, s0
	s_cbranch_vccnz .LBB79_4107
; %bb.3700:
	s_and_not1_b32 vcc_lo, exec_lo, s3
	s_cbranch_vccnz .LBB79_3702
.LBB79_3701:
	v_cmp_ne_u64_e32 vcc_lo, 0, v[8:9]
	s_mov_b32 s6, -1
	s_wait_xcnt 0x0
	v_cndmask_b32_e64 v1, 0, 1, vcc_lo
	global_store_b8 v[6:7], v1, off
.LBB79_3702:
	s_mov_b32 s0, 0
	s_branch .LBB79_3704
.LBB79_3703:
	s_mov_b32 s0, -1
	s_mov_b32 s6, 0
.LBB79_3704:
	s_and_b32 vcc_lo, exec_lo, s0
	s_cbranch_vccz .LBB79_3743
; %bb.3705:
	s_and_b32 s0, 0xffff, s1
	s_mov_b32 s2, -1
	s_cmp_lt_i32 s0, 5
	s_cbranch_scc1 .LBB79_3726
; %bb.3706:
	s_cmp_lt_i32 s0, 8
	s_cbranch_scc1 .LBB79_3716
; %bb.3707:
	;; [unrolled: 3-line block ×3, first 2 shown]
	s_cmp_gt_i32 s0, 9
	s_cbranch_scc0 .LBB79_3710
; %bb.3709:
	v_cvt_f64_i32_e32 v[12:13], v9
	v_cvt_f64_u32_e32 v[16:17], v8
	s_mov_b32 s2, 0
	v_mov_b32_e32 v34, 0
	s_delay_alu instid0(VALU_DEP_1) | instskip(NEXT) | instid1(VALU_DEP_4)
	v_mov_b32_e32 v35, v34
	v_ldexp_f64 v[12:13], v[12:13], 32
	s_delay_alu instid0(VALU_DEP_1)
	v_add_f64_e32 v[32:33], v[12:13], v[16:17]
	global_store_b128 v[6:7], v[32:35], off
.LBB79_3710:
	s_and_not1_b32 vcc_lo, exec_lo, s2
	s_cbranch_vccnz .LBB79_3712
; %bb.3711:
	s_wait_xcnt 0x0
	v_xor_b32_e32 v1, v8, v9
	v_cls_i32_e32 v3, v9
	s_delay_alu instid0(VALU_DEP_2) | instskip(NEXT) | instid1(VALU_DEP_1)
	v_ashrrev_i32_e32 v1, 31, v1
	v_add_nc_u32_e32 v1, 32, v1
	s_delay_alu instid0(VALU_DEP_1) | instskip(NEXT) | instid1(VALU_DEP_1)
	v_add_min_u32_e64 v1, v3, -1, v1
	v_lshlrev_b64_e32 v[12:13], v1, v[8:9]
	v_sub_nc_u32_e32 v1, 32, v1
	s_delay_alu instid0(VALU_DEP_2) | instskip(NEXT) | instid1(VALU_DEP_1)
	v_min_u32_e32 v3, 1, v12
	v_dual_mov_b32 v13, 0 :: v_dual_bitop2_b32 v3, v13, v3 bitop3:0x54
	s_delay_alu instid0(VALU_DEP_1) | instskip(NEXT) | instid1(VALU_DEP_1)
	v_cvt_f32_i32_e32 v3, v3
	v_ldexp_f32 v12, v3, v1
	global_store_b64 v[6:7], v[12:13], off
.LBB79_3712:
	s_mov_b32 s2, 0
.LBB79_3713:
	s_delay_alu instid0(SALU_CYCLE_1)
	s_and_not1_b32 vcc_lo, exec_lo, s2
	s_cbranch_vccnz .LBB79_3715
; %bb.3714:
	s_wait_xcnt 0x0
	v_xor_b32_e32 v1, v8, v9
	v_cls_i32_e32 v3, v9
	s_delay_alu instid0(VALU_DEP_2) | instskip(NEXT) | instid1(VALU_DEP_1)
	v_ashrrev_i32_e32 v1, 31, v1
	v_add_nc_u32_e32 v1, 32, v1
	s_delay_alu instid0(VALU_DEP_1) | instskip(NEXT) | instid1(VALU_DEP_1)
	v_add_min_u32_e64 v1, v3, -1, v1
	v_lshlrev_b64_e32 v[12:13], v1, v[8:9]
	v_sub_nc_u32_e32 v1, 32, v1
	s_delay_alu instid0(VALU_DEP_2) | instskip(NEXT) | instid1(VALU_DEP_1)
	v_min_u32_e32 v3, 1, v12
	v_or_b32_e32 v3, v13, v3
	s_delay_alu instid0(VALU_DEP_1) | instskip(NEXT) | instid1(VALU_DEP_1)
	v_cvt_f32_i32_e32 v3, v3
	v_ldexp_f32 v1, v3, v1
	s_delay_alu instid0(VALU_DEP_1) | instskip(NEXT) | instid1(VALU_DEP_1)
	v_cvt_f16_f32_e32 v1, v1
	v_and_b32_e32 v1, 0xffff, v1
	global_store_b32 v[6:7], v1, off
.LBB79_3715:
	s_mov_b32 s2, 0
.LBB79_3716:
	s_delay_alu instid0(SALU_CYCLE_1)
	s_and_not1_b32 vcc_lo, exec_lo, s2
	s_cbranch_vccnz .LBB79_3725
; %bb.3717:
	s_cmp_lt_i32 s0, 6
	s_mov_b32 s2, -1
	s_cbranch_scc1 .LBB79_3723
; %bb.3718:
	s_cmp_gt_i32 s0, 6
	s_cbranch_scc0 .LBB79_3720
; %bb.3719:
	s_wait_xcnt 0x0
	v_cvt_f64_i32_e32 v[12:13], v9
	v_cvt_f64_u32_e32 v[16:17], v8
	s_mov_b32 s2, 0
	s_delay_alu instid0(VALU_DEP_2) | instskip(NEXT) | instid1(VALU_DEP_1)
	v_ldexp_f64 v[12:13], v[12:13], 32
	v_add_f64_e32 v[12:13], v[12:13], v[16:17]
	global_store_b64 v[6:7], v[12:13], off
.LBB79_3720:
	s_and_not1_b32 vcc_lo, exec_lo, s2
	s_cbranch_vccnz .LBB79_3722
; %bb.3721:
	s_wait_xcnt 0x0
	v_xor_b32_e32 v1, v8, v9
	v_cls_i32_e32 v3, v9
	s_delay_alu instid0(VALU_DEP_2) | instskip(NEXT) | instid1(VALU_DEP_1)
	v_ashrrev_i32_e32 v1, 31, v1
	v_add_nc_u32_e32 v1, 32, v1
	s_delay_alu instid0(VALU_DEP_1) | instskip(NEXT) | instid1(VALU_DEP_1)
	v_add_min_u32_e64 v1, v3, -1, v1
	v_lshlrev_b64_e32 v[12:13], v1, v[8:9]
	v_sub_nc_u32_e32 v1, 32, v1
	s_delay_alu instid0(VALU_DEP_2) | instskip(NEXT) | instid1(VALU_DEP_1)
	v_min_u32_e32 v3, 1, v12
	v_or_b32_e32 v3, v13, v3
	s_delay_alu instid0(VALU_DEP_1) | instskip(NEXT) | instid1(VALU_DEP_1)
	v_cvt_f32_i32_e32 v3, v3
	v_ldexp_f32 v1, v3, v1
	global_store_b32 v[6:7], v1, off
.LBB79_3722:
	s_mov_b32 s2, 0
.LBB79_3723:
	s_delay_alu instid0(SALU_CYCLE_1)
	s_and_not1_b32 vcc_lo, exec_lo, s2
	s_cbranch_vccnz .LBB79_3725
; %bb.3724:
	s_wait_xcnt 0x0
	v_xor_b32_e32 v1, v8, v9
	v_cls_i32_e32 v3, v9
	s_delay_alu instid0(VALU_DEP_2) | instskip(NEXT) | instid1(VALU_DEP_1)
	v_ashrrev_i32_e32 v1, 31, v1
	v_add_nc_u32_e32 v1, 32, v1
	s_delay_alu instid0(VALU_DEP_1) | instskip(NEXT) | instid1(VALU_DEP_1)
	v_add_min_u32_e64 v1, v3, -1, v1
	v_lshlrev_b64_e32 v[12:13], v1, v[8:9]
	v_sub_nc_u32_e32 v1, 32, v1
	s_delay_alu instid0(VALU_DEP_2) | instskip(NEXT) | instid1(VALU_DEP_1)
	v_min_u32_e32 v3, 1, v12
	v_or_b32_e32 v3, v13, v3
	s_delay_alu instid0(VALU_DEP_1) | instskip(NEXT) | instid1(VALU_DEP_1)
	v_cvt_f32_i32_e32 v3, v3
	v_ldexp_f32 v1, v3, v1
	s_delay_alu instid0(VALU_DEP_1)
	v_cvt_f16_f32_e32 v1, v1
	global_store_b16 v[6:7], v1, off
.LBB79_3725:
	s_mov_b32 s2, 0
.LBB79_3726:
	s_delay_alu instid0(SALU_CYCLE_1)
	s_and_not1_b32 vcc_lo, exec_lo, s2
	s_cbranch_vccnz .LBB79_3742
; %bb.3727:
	s_cmp_lt_i32 s0, 2
	s_mov_b32 s2, -1
	s_cbranch_scc1 .LBB79_3737
; %bb.3728:
	s_cmp_lt_i32 s0, 3
	s_cbranch_scc1 .LBB79_3734
; %bb.3729:
	s_cmp_gt_i32 s0, 3
	s_cbranch_scc0 .LBB79_3731
; %bb.3730:
	s_mov_b32 s2, 0
	global_store_b64 v[6:7], v[8:9], off
.LBB79_3731:
	s_and_not1_b32 vcc_lo, exec_lo, s2
	s_cbranch_vccnz .LBB79_3733
; %bb.3732:
	global_store_b32 v[6:7], v8, off
.LBB79_3733:
	s_mov_b32 s2, 0
.LBB79_3734:
	s_delay_alu instid0(SALU_CYCLE_1)
	s_and_not1_b32 vcc_lo, exec_lo, s2
	s_cbranch_vccnz .LBB79_3736
; %bb.3735:
	global_store_b16 v[6:7], v8, off
.LBB79_3736:
	s_mov_b32 s2, 0
.LBB79_3737:
	s_delay_alu instid0(SALU_CYCLE_1)
	s_and_not1_b32 vcc_lo, exec_lo, s2
	s_cbranch_vccnz .LBB79_3742
; %bb.3738:
	s_cmp_gt_i32 s0, 0
	s_mov_b32 s0, -1
	s_cbranch_scc0 .LBB79_3740
; %bb.3739:
	s_mov_b32 s0, 0
	global_store_b8 v[6:7], v8, off
.LBB79_3740:
	s_and_not1_b32 vcc_lo, exec_lo, s0
	s_cbranch_vccnz .LBB79_3742
; %bb.3741:
	global_store_b8 v[6:7], v8, off
.LBB79_3742:
	s_mov_b32 s6, -1
.LBB79_3743:
	s_delay_alu instid0(SALU_CYCLE_1)
	s_and_not1_b32 vcc_lo, exec_lo, s6
	s_cbranch_vccnz .LBB79_4058
; %bb.3744:
	s_wait_xcnt 0x0
	v_mul_u64_e32 v[6:7], s[8:9], v[18:19]
	v_mul_u64_e32 v[8:9], s[10:11], v[22:23]
	v_mov_b32_e32 v5, 0
	s_and_b32 s2, 0xffff, s1
	s_delay_alu instid0(SALU_CYCLE_1) | instskip(NEXT) | instid1(VALU_DEP_1)
	s_cmp_lt_i32 s2, 11
	v_add_nc_u64_e32 v[4:5], s[4:5], v[4:5]
	s_delay_alu instid0(VALU_DEP_3) | instskip(NEXT) | instid1(VALU_DEP_1)
	v_mad_nc_u64_u32 v[6:7], v8, v26, v[6:7]
	v_mad_u32 v1, v9, v26, v7
	s_delay_alu instid0(VALU_DEP_1)
	v_mad_u32 v7, v8, v27, v1
	s_cbranch_scc1 .LBB79_3822
; %bb.3745:
	s_mov_b32 s7, -1
	s_mov_b32 s3, 0
	s_cmp_gt_i32 s2, 25
	s_mov_b32 s6, 0
	s_mov_b32 s0, 0
	s_cbranch_scc0 .LBB79_3778
; %bb.3746:
	s_cmp_gt_i32 s2, 28
	s_cbranch_scc0 .LBB79_3761
; %bb.3747:
	s_cmp_gt_i32 s2, 43
	;; [unrolled: 3-line block ×3, first 2 shown]
	s_cbranch_scc0 .LBB79_3751
; %bb.3749:
	s_mov_b32 s0, -1
	s_mov_b32 s7, 0
	s_cmp_eq_u32 s2, 46
	s_cbranch_scc0 .LBB79_3751
; %bb.3750:
	v_xor_b32_e32 v1, v6, v7
	v_cls_i32_e32 v3, v7
	s_mov_b32 s6, -1
	s_mov_b32 s0, 0
	s_delay_alu instid0(VALU_DEP_2) | instskip(NEXT) | instid1(VALU_DEP_1)
	v_ashrrev_i32_e32 v1, 31, v1
	v_add_nc_u32_e32 v1, 32, v1
	s_delay_alu instid0(VALU_DEP_1) | instskip(NEXT) | instid1(VALU_DEP_1)
	v_add_min_u32_e64 v1, v3, -1, v1
	v_lshlrev_b64_e32 v[8:9], v1, v[6:7]
	v_sub_nc_u32_e32 v1, 32, v1
	s_delay_alu instid0(VALU_DEP_2) | instskip(NEXT) | instid1(VALU_DEP_1)
	v_min_u32_e32 v3, 1, v8
	v_or_b32_e32 v3, v9, v3
	s_delay_alu instid0(VALU_DEP_1) | instskip(NEXT) | instid1(VALU_DEP_1)
	v_cvt_f32_i32_e32 v3, v3
	v_ldexp_f32 v1, v3, v1
	s_delay_alu instid0(VALU_DEP_1) | instskip(NEXT) | instid1(VALU_DEP_1)
	v_bfe_u32 v3, v1, 16, 1
	v_add3_u32 v1, v1, v3, 0x7fff
	s_delay_alu instid0(VALU_DEP_1)
	v_lshrrev_b32_e32 v1, 16, v1
	global_store_b32 v[4:5], v1, off
.LBB79_3751:
	s_and_b32 vcc_lo, exec_lo, s7
	s_cbranch_vccz .LBB79_3756
; %bb.3752:
	s_cmp_eq_u32 s2, 44
	s_mov_b32 s0, -1
	s_cbranch_scc0 .LBB79_3756
; %bb.3753:
	s_wait_xcnt 0x0
	v_xor_b32_e32 v1, v6, v7
	v_cls_i32_e32 v3, v7
	s_mov_b32 s6, -1
	s_mov_b32 s7, exec_lo
	s_delay_alu instid0(VALU_DEP_2) | instskip(NEXT) | instid1(VALU_DEP_1)
	v_ashrrev_i32_e32 v1, 31, v1
	v_add_nc_u32_e32 v1, 32, v1
	s_delay_alu instid0(VALU_DEP_1) | instskip(NEXT) | instid1(VALU_DEP_1)
	v_add_min_u32_e64 v1, v3, -1, v1
	v_lshlrev_b64_e32 v[8:9], v1, v[6:7]
	v_sub_nc_u32_e32 v1, 32, v1
	s_delay_alu instid0(VALU_DEP_2) | instskip(NEXT) | instid1(VALU_DEP_1)
	v_min_u32_e32 v3, 1, v8
	v_or_b32_e32 v3, v9, v3
	s_delay_alu instid0(VALU_DEP_1) | instskip(NEXT) | instid1(VALU_DEP_1)
	v_cvt_f32_i32_e32 v3, v3
	v_ldexp_f32 v1, v3, v1
	v_mov_b32_e32 v3, 0xff
	s_delay_alu instid0(VALU_DEP_2) | instskip(NEXT) | instid1(VALU_DEP_1)
	v_bfe_u32 v8, v1, 23, 8
	v_cmpx_ne_u32_e32 0xff, v8
	s_cbranch_execz .LBB79_3755
; %bb.3754:
	v_and_b32_e32 v3, 0x400000, v1
	v_and_or_b32 v8, 0x3fffff, v1, v8
	v_lshrrev_b32_e32 v1, 23, v1
	s_delay_alu instid0(VALU_DEP_3) | instskip(NEXT) | instid1(VALU_DEP_3)
	v_cmp_ne_u32_e32 vcc_lo, 0, v3
	v_cmp_ne_u32_e64 s0, 0, v8
	s_and_b32 s0, vcc_lo, s0
	s_delay_alu instid0(SALU_CYCLE_1) | instskip(NEXT) | instid1(VALU_DEP_1)
	v_cndmask_b32_e64 v3, 0, 1, s0
	v_add_nc_u32_e32 v3, v1, v3
.LBB79_3755:
	s_or_b32 exec_lo, exec_lo, s7
	s_mov_b32 s0, 0
	global_store_b8 v[4:5], v3, off
.LBB79_3756:
	s_mov_b32 s7, 0
.LBB79_3757:
	s_delay_alu instid0(SALU_CYCLE_1)
	s_and_b32 vcc_lo, exec_lo, s7
	s_cbranch_vccz .LBB79_3760
; %bb.3758:
	s_cmp_eq_u32 s2, 29
	s_mov_b32 s0, -1
	s_cbranch_scc0 .LBB79_3760
; %bb.3759:
	s_mov_b32 s0, 0
	s_mov_b32 s6, -1
	global_store_b64 v[4:5], v[6:7], off
.LBB79_3760:
	s_mov_b32 s7, 0
.LBB79_3761:
	s_delay_alu instid0(SALU_CYCLE_1)
	s_and_b32 vcc_lo, exec_lo, s7
	s_cbranch_vccz .LBB79_3777
; %bb.3762:
	s_cmp_lt_i32 s2, 27
	s_mov_b32 s6, -1
	s_cbranch_scc1 .LBB79_3768
; %bb.3763:
	s_cmp_gt_i32 s2, 27
	s_cbranch_scc0 .LBB79_3765
; %bb.3764:
	s_mov_b32 s6, 0
	global_store_b32 v[4:5], v6, off
.LBB79_3765:
	s_and_not1_b32 vcc_lo, exec_lo, s6
	s_cbranch_vccnz .LBB79_3767
; %bb.3766:
	global_store_b16 v[4:5], v6, off
.LBB79_3767:
	s_mov_b32 s6, 0
.LBB79_3768:
	s_delay_alu instid0(SALU_CYCLE_1)
	s_and_not1_b32 vcc_lo, exec_lo, s6
	s_cbranch_vccnz .LBB79_3776
; %bb.3769:
	s_wait_xcnt 0x0
	v_xor_b32_e32 v1, v6, v7
	v_cls_i32_e32 v3, v7
	s_mov_b32 s6, exec_lo
	s_delay_alu instid0(VALU_DEP_2) | instskip(NEXT) | instid1(VALU_DEP_1)
	v_ashrrev_i32_e32 v1, 31, v1
	v_add_nc_u32_e32 v1, 32, v1
	s_delay_alu instid0(VALU_DEP_1) | instskip(NEXT) | instid1(VALU_DEP_1)
	v_add_min_u32_e64 v1, v3, -1, v1
	v_lshlrev_b64_e32 v[8:9], v1, v[6:7]
	v_sub_nc_u32_e32 v1, 32, v1
	s_delay_alu instid0(VALU_DEP_2) | instskip(SKIP_1) | instid1(VALU_DEP_2)
	v_min_u32_e32 v3, 1, v8
	v_mov_b32_e32 v8, 0x80
	v_or_b32_e32 v3, v9, v3
	s_delay_alu instid0(VALU_DEP_1) | instskip(NEXT) | instid1(VALU_DEP_1)
	v_cvt_f32_i32_e32 v3, v3
	v_ldexp_f32 v1, v3, v1
	s_delay_alu instid0(VALU_DEP_1) | instskip(NEXT) | instid1(VALU_DEP_1)
	v_and_b32_e32 v3, 0x7fffffff, v1
	v_cmpx_gt_u32_e32 0x43800000, v3
	s_cbranch_execz .LBB79_3775
; %bb.3770:
	v_cmp_lt_u32_e32 vcc_lo, 0x3bffffff, v3
	s_mov_b32 s7, 0
                                        ; implicit-def: $vgpr3
	s_and_saveexec_b32 s15, vcc_lo
	s_delay_alu instid0(SALU_CYCLE_1)
	s_xor_b32 s15, exec_lo, s15
	s_cbranch_execz .LBB79_4110
; %bb.3771:
	v_bfe_u32 v3, v1, 20, 1
	s_mov_b32 s7, exec_lo
	s_delay_alu instid0(VALU_DEP_1) | instskip(NEXT) | instid1(VALU_DEP_1)
	v_add3_u32 v3, v1, v3, 0x487ffff
	v_lshrrev_b32_e32 v3, 20, v3
	s_and_not1_saveexec_b32 s15, s15
	s_cbranch_execnz .LBB79_4111
.LBB79_3772:
	s_or_b32 exec_lo, exec_lo, s15
	v_mov_b32_e32 v8, 0
	s_and_saveexec_b32 s15, s7
.LBB79_3773:
	v_lshrrev_b32_e32 v1, 24, v1
	s_delay_alu instid0(VALU_DEP_1)
	v_and_or_b32 v8, 0x80, v1, v3
.LBB79_3774:
	s_or_b32 exec_lo, exec_lo, s15
.LBB79_3775:
	s_delay_alu instid0(SALU_CYCLE_1)
	s_or_b32 exec_lo, exec_lo, s6
	global_store_b8 v[4:5], v8, off
.LBB79_3776:
	s_mov_b32 s6, -1
.LBB79_3777:
	s_mov_b32 s7, 0
.LBB79_3778:
	s_delay_alu instid0(SALU_CYCLE_1)
	s_and_b32 vcc_lo, exec_lo, s7
	s_cbranch_vccz .LBB79_3818
; %bb.3779:
	s_cmp_gt_i32 s2, 22
	s_mov_b32 s3, -1
	s_cbranch_scc0 .LBB79_3811
; %bb.3780:
	s_cmp_lt_i32 s2, 24
	s_cbranch_scc1 .LBB79_3800
; %bb.3781:
	s_cmp_gt_i32 s2, 24
	s_cbranch_scc0 .LBB79_3789
; %bb.3782:
	s_wait_xcnt 0x0
	v_xor_b32_e32 v1, v6, v7
	v_cls_i32_e32 v3, v7
	s_mov_b32 s3, exec_lo
	s_delay_alu instid0(VALU_DEP_2) | instskip(NEXT) | instid1(VALU_DEP_1)
	v_ashrrev_i32_e32 v1, 31, v1
	v_add_nc_u32_e32 v1, 32, v1
	s_delay_alu instid0(VALU_DEP_1) | instskip(NEXT) | instid1(VALU_DEP_1)
	v_add_min_u32_e64 v1, v3, -1, v1
	v_lshlrev_b64_e32 v[8:9], v1, v[6:7]
	v_sub_nc_u32_e32 v1, 32, v1
	s_delay_alu instid0(VALU_DEP_2) | instskip(SKIP_1) | instid1(VALU_DEP_2)
	v_min_u32_e32 v3, 1, v8
	v_mov_b32_e32 v8, 0x80
	v_or_b32_e32 v3, v9, v3
	s_delay_alu instid0(VALU_DEP_1) | instskip(NEXT) | instid1(VALU_DEP_1)
	v_cvt_f32_i32_e32 v3, v3
	v_ldexp_f32 v1, v3, v1
	s_delay_alu instid0(VALU_DEP_1) | instskip(NEXT) | instid1(VALU_DEP_1)
	v_and_b32_e32 v3, 0x7fffffff, v1
	v_cmpx_gt_u32_e32 0x47800000, v3
	s_cbranch_execz .LBB79_3788
; %bb.3783:
	v_cmp_lt_u32_e32 vcc_lo, 0x37ffffff, v3
	s_mov_b32 s6, 0
                                        ; implicit-def: $vgpr3
	s_and_saveexec_b32 s7, vcc_lo
	s_delay_alu instid0(SALU_CYCLE_1)
	s_xor_b32 s7, exec_lo, s7
	s_cbranch_execz .LBB79_4113
; %bb.3784:
	v_bfe_u32 v3, v1, 21, 1
	s_mov_b32 s6, exec_lo
	s_delay_alu instid0(VALU_DEP_1) | instskip(NEXT) | instid1(VALU_DEP_1)
	v_add3_u32 v3, v1, v3, 0x88fffff
	v_lshrrev_b32_e32 v3, 21, v3
	s_and_not1_saveexec_b32 s7, s7
	s_cbranch_execnz .LBB79_4114
.LBB79_3785:
	s_or_b32 exec_lo, exec_lo, s7
	v_mov_b32_e32 v8, 0
	s_and_saveexec_b32 s7, s6
.LBB79_3786:
	v_lshrrev_b32_e32 v1, 24, v1
	s_delay_alu instid0(VALU_DEP_1)
	v_and_or_b32 v8, 0x80, v1, v3
.LBB79_3787:
	s_or_b32 exec_lo, exec_lo, s7
.LBB79_3788:
	s_delay_alu instid0(SALU_CYCLE_1)
	s_or_b32 exec_lo, exec_lo, s3
	s_mov_b32 s3, 0
	global_store_b8 v[4:5], v8, off
.LBB79_3789:
	s_and_b32 vcc_lo, exec_lo, s3
	s_cbranch_vccz .LBB79_3799
; %bb.3790:
	s_wait_xcnt 0x0
	v_xor_b32_e32 v1, v6, v7
	v_cls_i32_e32 v3, v7
	s_mov_b32 s3, exec_lo
	s_delay_alu instid0(VALU_DEP_2) | instskip(NEXT) | instid1(VALU_DEP_1)
	v_ashrrev_i32_e32 v1, 31, v1
	v_add_nc_u32_e32 v1, 32, v1
	s_delay_alu instid0(VALU_DEP_1) | instskip(NEXT) | instid1(VALU_DEP_1)
	v_add_min_u32_e64 v1, v3, -1, v1
	v_lshlrev_b64_e32 v[8:9], v1, v[6:7]
	v_sub_nc_u32_e32 v1, 32, v1
	s_delay_alu instid0(VALU_DEP_2) | instskip(NEXT) | instid1(VALU_DEP_1)
	v_min_u32_e32 v3, 1, v8
	v_or_b32_e32 v3, v9, v3
	s_delay_alu instid0(VALU_DEP_1) | instskip(NEXT) | instid1(VALU_DEP_1)
	v_cvt_f32_i32_e32 v3, v3
	v_ldexp_f32 v1, v3, v1
                                        ; implicit-def: $vgpr3
	s_delay_alu instid0(VALU_DEP_1) | instskip(NEXT) | instid1(VALU_DEP_1)
	v_and_b32_e32 v8, 0x7fffffff, v1
	v_cmpx_gt_u32_e32 0x43f00000, v8
	s_xor_b32 s3, exec_lo, s3
	s_cbranch_execz .LBB79_3796
; %bb.3791:
	s_mov_b32 s6, exec_lo
                                        ; implicit-def: $vgpr3
	v_cmpx_lt_u32_e32 0x3c7fffff, v8
	s_xor_b32 s6, exec_lo, s6
; %bb.3792:
	v_bfe_u32 v3, v1, 20, 1
	s_delay_alu instid0(VALU_DEP_1) | instskip(NEXT) | instid1(VALU_DEP_1)
	v_add3_u32 v3, v1, v3, 0x407ffff
	v_and_b32_e32 v8, 0xff00000, v3
	v_lshrrev_b32_e32 v3, 20, v3
	s_delay_alu instid0(VALU_DEP_2) | instskip(NEXT) | instid1(VALU_DEP_2)
	v_cmp_ne_u32_e32 vcc_lo, 0x7f00000, v8
	v_cndmask_b32_e32 v3, 0x7e, v3, vcc_lo
; %bb.3793:
	s_and_not1_saveexec_b32 s6, s6
; %bb.3794:
	v_add_f32_e64 v3, 0x46800000, |v1|
; %bb.3795:
	s_or_b32 exec_lo, exec_lo, s6
                                        ; implicit-def: $vgpr8
.LBB79_3796:
	s_and_not1_saveexec_b32 s3, s3
; %bb.3797:
	v_mov_b32_e32 v3, 0x7f
	v_cmp_lt_u32_e32 vcc_lo, 0x7f800000, v8
	s_delay_alu instid0(VALU_DEP_2)
	v_cndmask_b32_e32 v3, 0x7e, v3, vcc_lo
; %bb.3798:
	s_or_b32 exec_lo, exec_lo, s3
	v_lshrrev_b32_e32 v1, 24, v1
	s_delay_alu instid0(VALU_DEP_1)
	v_and_or_b32 v1, 0x80, v1, v3
	global_store_b8 v[4:5], v1, off
.LBB79_3799:
	s_mov_b32 s3, 0
.LBB79_3800:
	s_delay_alu instid0(SALU_CYCLE_1)
	s_and_not1_b32 vcc_lo, exec_lo, s3
	s_cbranch_vccnz .LBB79_3810
; %bb.3801:
	s_wait_xcnt 0x0
	v_xor_b32_e32 v1, v6, v7
	v_cls_i32_e32 v3, v7
	s_mov_b32 s3, exec_lo
	s_delay_alu instid0(VALU_DEP_2) | instskip(NEXT) | instid1(VALU_DEP_1)
	v_ashrrev_i32_e32 v1, 31, v1
	v_add_nc_u32_e32 v1, 32, v1
	s_delay_alu instid0(VALU_DEP_1) | instskip(NEXT) | instid1(VALU_DEP_1)
	v_add_min_u32_e64 v1, v3, -1, v1
	v_lshlrev_b64_e32 v[8:9], v1, v[6:7]
	v_sub_nc_u32_e32 v1, 32, v1
	s_delay_alu instid0(VALU_DEP_2) | instskip(NEXT) | instid1(VALU_DEP_1)
	v_min_u32_e32 v3, 1, v8
	v_or_b32_e32 v3, v9, v3
	s_delay_alu instid0(VALU_DEP_1) | instskip(NEXT) | instid1(VALU_DEP_1)
	v_cvt_f32_i32_e32 v3, v3
	v_ldexp_f32 v1, v3, v1
                                        ; implicit-def: $vgpr3
	s_delay_alu instid0(VALU_DEP_1) | instskip(NEXT) | instid1(VALU_DEP_1)
	v_and_b32_e32 v8, 0x7fffffff, v1
	v_cmpx_gt_u32_e32 0x47800000, v8
	s_xor_b32 s3, exec_lo, s3
	s_cbranch_execz .LBB79_3807
; %bb.3802:
	s_mov_b32 s6, exec_lo
                                        ; implicit-def: $vgpr3
	v_cmpx_lt_u32_e32 0x387fffff, v8
	s_xor_b32 s6, exec_lo, s6
; %bb.3803:
	v_bfe_u32 v3, v1, 21, 1
	s_delay_alu instid0(VALU_DEP_1) | instskip(NEXT) | instid1(VALU_DEP_1)
	v_add3_u32 v3, v1, v3, 0x80fffff
	v_lshrrev_b32_e32 v3, 21, v3
; %bb.3804:
	s_and_not1_saveexec_b32 s6, s6
; %bb.3805:
	v_add_f32_e64 v3, 0x43000000, |v1|
; %bb.3806:
	s_or_b32 exec_lo, exec_lo, s6
                                        ; implicit-def: $vgpr8
.LBB79_3807:
	s_and_not1_saveexec_b32 s3, s3
; %bb.3808:
	v_mov_b32_e32 v3, 0x7f
	v_cmp_lt_u32_e32 vcc_lo, 0x7f800000, v8
	s_delay_alu instid0(VALU_DEP_2)
	v_cndmask_b32_e32 v3, 0x7c, v3, vcc_lo
; %bb.3809:
	s_or_b32 exec_lo, exec_lo, s3
	v_lshrrev_b32_e32 v1, 24, v1
	s_delay_alu instid0(VALU_DEP_1)
	v_and_or_b32 v1, 0x80, v1, v3
	global_store_b8 v[4:5], v1, off
.LBB79_3810:
	s_mov_b32 s3, 0
	s_mov_b32 s6, -1
.LBB79_3811:
	s_and_not1_b32 vcc_lo, exec_lo, s3
	s_mov_b32 s3, 0
	s_cbranch_vccnz .LBB79_3818
; %bb.3812:
	s_cmp_gt_i32 s2, 14
	s_mov_b32 s3, -1
	s_cbranch_scc0 .LBB79_3816
; %bb.3813:
	s_cmp_eq_u32 s2, 15
	s_mov_b32 s0, -1
	s_cbranch_scc0 .LBB79_3815
; %bb.3814:
	s_wait_xcnt 0x0
	v_xor_b32_e32 v1, v6, v7
	v_cls_i32_e32 v3, v7
	s_mov_b32 s6, -1
	s_mov_b32 s0, 0
	s_delay_alu instid0(VALU_DEP_2) | instskip(NEXT) | instid1(VALU_DEP_1)
	v_ashrrev_i32_e32 v1, 31, v1
	v_add_nc_u32_e32 v1, 32, v1
	s_delay_alu instid0(VALU_DEP_1) | instskip(NEXT) | instid1(VALU_DEP_1)
	v_add_min_u32_e64 v1, v3, -1, v1
	v_lshlrev_b64_e32 v[8:9], v1, v[6:7]
	v_sub_nc_u32_e32 v1, 32, v1
	s_delay_alu instid0(VALU_DEP_2) | instskip(NEXT) | instid1(VALU_DEP_1)
	v_min_u32_e32 v3, 1, v8
	v_or_b32_e32 v3, v9, v3
	s_delay_alu instid0(VALU_DEP_1) | instskip(NEXT) | instid1(VALU_DEP_1)
	v_cvt_f32_i32_e32 v3, v3
	v_ldexp_f32 v1, v3, v1
	s_delay_alu instid0(VALU_DEP_1) | instskip(NEXT) | instid1(VALU_DEP_1)
	v_bfe_u32 v3, v1, 16, 1
	v_add3_u32 v1, v1, v3, 0x7fff
	global_store_d16_hi_b16 v[4:5], v1, off
.LBB79_3815:
	s_mov_b32 s3, 0
.LBB79_3816:
	s_delay_alu instid0(SALU_CYCLE_1)
	s_and_b32 vcc_lo, exec_lo, s3
	s_mov_b32 s3, 0
	s_cbranch_vccz .LBB79_3818
; %bb.3817:
	s_cmp_lg_u32 s2, 11
	s_mov_b32 s3, -1
	s_cselect_b32 s0, -1, 0
.LBB79_3818:
	s_delay_alu instid0(SALU_CYCLE_1)
	s_and_b32 vcc_lo, exec_lo, s0
	s_cbranch_vccnz .LBB79_4112
; %bb.3819:
	s_and_not1_b32 vcc_lo, exec_lo, s3
	s_cbranch_vccnz .LBB79_3821
.LBB79_3820:
	v_cmp_ne_u64_e32 vcc_lo, 0, v[6:7]
	s_mov_b32 s6, -1
	s_wait_xcnt 0x0
	v_cndmask_b32_e64 v1, 0, 1, vcc_lo
	global_store_b8 v[4:5], v1, off
.LBB79_3821:
	s_mov_b32 s0, 0
	s_branch .LBB79_3823
.LBB79_3822:
	s_mov_b32 s0, -1
	s_mov_b32 s6, 0
.LBB79_3823:
	s_and_b32 vcc_lo, exec_lo, s0
	s_cbranch_vccz .LBB79_3862
; %bb.3824:
	s_cmp_lt_i32 s2, 5
	s_mov_b32 s0, -1
	s_cbranch_scc1 .LBB79_3845
; %bb.3825:
	s_cmp_lt_i32 s2, 8
	s_cbranch_scc1 .LBB79_3835
; %bb.3826:
	s_cmp_lt_i32 s2, 9
	s_cbranch_scc1 .LBB79_3832
; %bb.3827:
	s_cmp_gt_i32 s2, 9
	s_cbranch_scc0 .LBB79_3829
; %bb.3828:
	s_wait_xcnt 0x0
	v_cvt_f64_i32_e32 v[8:9], v7
	v_cvt_f64_u32_e32 v[12:13], v6
	s_mov_b32 s0, 0
	v_mov_b32_e32 v18, 0
	s_delay_alu instid0(VALU_DEP_1) | instskip(NEXT) | instid1(VALU_DEP_4)
	v_mov_b32_e32 v19, v18
	v_ldexp_f64 v[8:9], v[8:9], 32
	s_delay_alu instid0(VALU_DEP_1)
	v_add_f64_e32 v[16:17], v[8:9], v[12:13]
	global_store_b128 v[4:5], v[16:19], off
.LBB79_3829:
	s_and_not1_b32 vcc_lo, exec_lo, s0
	s_cbranch_vccnz .LBB79_3831
; %bb.3830:
	s_wait_xcnt 0x0
	v_xor_b32_e32 v1, v6, v7
	v_cls_i32_e32 v3, v7
	s_delay_alu instid0(VALU_DEP_2) | instskip(NEXT) | instid1(VALU_DEP_1)
	v_ashrrev_i32_e32 v1, 31, v1
	v_add_nc_u32_e32 v1, 32, v1
	s_delay_alu instid0(VALU_DEP_1) | instskip(NEXT) | instid1(VALU_DEP_1)
	v_add_min_u32_e64 v1, v3, -1, v1
	v_lshlrev_b64_e32 v[8:9], v1, v[6:7]
	v_sub_nc_u32_e32 v1, 32, v1
	s_delay_alu instid0(VALU_DEP_2) | instskip(NEXT) | instid1(VALU_DEP_1)
	v_min_u32_e32 v3, 1, v8
	v_dual_mov_b32 v9, 0 :: v_dual_bitop2_b32 v3, v9, v3 bitop3:0x54
	s_delay_alu instid0(VALU_DEP_1) | instskip(NEXT) | instid1(VALU_DEP_1)
	v_cvt_f32_i32_e32 v3, v3
	v_ldexp_f32 v8, v3, v1
	global_store_b64 v[4:5], v[8:9], off
.LBB79_3831:
	s_mov_b32 s0, 0
.LBB79_3832:
	s_delay_alu instid0(SALU_CYCLE_1)
	s_and_not1_b32 vcc_lo, exec_lo, s0
	s_cbranch_vccnz .LBB79_3834
; %bb.3833:
	s_wait_xcnt 0x0
	v_xor_b32_e32 v1, v6, v7
	v_cls_i32_e32 v3, v7
	s_delay_alu instid0(VALU_DEP_2) | instskip(NEXT) | instid1(VALU_DEP_1)
	v_ashrrev_i32_e32 v1, 31, v1
	v_add_nc_u32_e32 v1, 32, v1
	s_delay_alu instid0(VALU_DEP_1) | instskip(NEXT) | instid1(VALU_DEP_1)
	v_add_min_u32_e64 v1, v3, -1, v1
	v_lshlrev_b64_e32 v[8:9], v1, v[6:7]
	v_sub_nc_u32_e32 v1, 32, v1
	s_delay_alu instid0(VALU_DEP_2) | instskip(NEXT) | instid1(VALU_DEP_1)
	v_min_u32_e32 v3, 1, v8
	v_or_b32_e32 v3, v9, v3
	s_delay_alu instid0(VALU_DEP_1) | instskip(NEXT) | instid1(VALU_DEP_1)
	v_cvt_f32_i32_e32 v3, v3
	v_ldexp_f32 v1, v3, v1
	s_delay_alu instid0(VALU_DEP_1) | instskip(NEXT) | instid1(VALU_DEP_1)
	v_cvt_f16_f32_e32 v1, v1
	v_and_b32_e32 v1, 0xffff, v1
	global_store_b32 v[4:5], v1, off
.LBB79_3834:
	s_mov_b32 s0, 0
.LBB79_3835:
	s_delay_alu instid0(SALU_CYCLE_1)
	s_and_not1_b32 vcc_lo, exec_lo, s0
	s_cbranch_vccnz .LBB79_3844
; %bb.3836:
	s_cmp_lt_i32 s2, 6
	s_mov_b32 s0, -1
	s_cbranch_scc1 .LBB79_3842
; %bb.3837:
	s_cmp_gt_i32 s2, 6
	s_cbranch_scc0 .LBB79_3839
; %bb.3838:
	s_wait_xcnt 0x0
	v_cvt_f64_i32_e32 v[8:9], v7
	v_cvt_f64_u32_e32 v[12:13], v6
	s_mov_b32 s0, 0
	s_delay_alu instid0(VALU_DEP_2) | instskip(NEXT) | instid1(VALU_DEP_1)
	v_ldexp_f64 v[8:9], v[8:9], 32
	v_add_f64_e32 v[8:9], v[8:9], v[12:13]
	global_store_b64 v[4:5], v[8:9], off
.LBB79_3839:
	s_and_not1_b32 vcc_lo, exec_lo, s0
	s_cbranch_vccnz .LBB79_3841
; %bb.3840:
	s_wait_xcnt 0x0
	v_xor_b32_e32 v1, v6, v7
	v_cls_i32_e32 v3, v7
	s_delay_alu instid0(VALU_DEP_2) | instskip(NEXT) | instid1(VALU_DEP_1)
	v_ashrrev_i32_e32 v1, 31, v1
	v_add_nc_u32_e32 v1, 32, v1
	s_delay_alu instid0(VALU_DEP_1) | instskip(NEXT) | instid1(VALU_DEP_1)
	v_add_min_u32_e64 v1, v3, -1, v1
	v_lshlrev_b64_e32 v[8:9], v1, v[6:7]
	v_sub_nc_u32_e32 v1, 32, v1
	s_delay_alu instid0(VALU_DEP_2) | instskip(NEXT) | instid1(VALU_DEP_1)
	v_min_u32_e32 v3, 1, v8
	v_or_b32_e32 v3, v9, v3
	s_delay_alu instid0(VALU_DEP_1) | instskip(NEXT) | instid1(VALU_DEP_1)
	v_cvt_f32_i32_e32 v3, v3
	v_ldexp_f32 v1, v3, v1
	global_store_b32 v[4:5], v1, off
.LBB79_3841:
	s_mov_b32 s0, 0
.LBB79_3842:
	s_delay_alu instid0(SALU_CYCLE_1)
	s_and_not1_b32 vcc_lo, exec_lo, s0
	s_cbranch_vccnz .LBB79_3844
; %bb.3843:
	s_wait_xcnt 0x0
	v_xor_b32_e32 v1, v6, v7
	v_cls_i32_e32 v3, v7
	s_delay_alu instid0(VALU_DEP_2) | instskip(NEXT) | instid1(VALU_DEP_1)
	v_ashrrev_i32_e32 v1, 31, v1
	v_add_nc_u32_e32 v1, 32, v1
	s_delay_alu instid0(VALU_DEP_1) | instskip(NEXT) | instid1(VALU_DEP_1)
	v_add_min_u32_e64 v1, v3, -1, v1
	v_lshlrev_b64_e32 v[8:9], v1, v[6:7]
	v_sub_nc_u32_e32 v1, 32, v1
	s_delay_alu instid0(VALU_DEP_2) | instskip(NEXT) | instid1(VALU_DEP_1)
	v_min_u32_e32 v3, 1, v8
	v_or_b32_e32 v3, v9, v3
	s_delay_alu instid0(VALU_DEP_1) | instskip(NEXT) | instid1(VALU_DEP_1)
	v_cvt_f32_i32_e32 v3, v3
	v_ldexp_f32 v1, v3, v1
	s_delay_alu instid0(VALU_DEP_1)
	v_cvt_f16_f32_e32 v1, v1
	global_store_b16 v[4:5], v1, off
.LBB79_3844:
	s_mov_b32 s0, 0
.LBB79_3845:
	s_delay_alu instid0(SALU_CYCLE_1)
	s_and_not1_b32 vcc_lo, exec_lo, s0
	s_cbranch_vccnz .LBB79_3861
; %bb.3846:
	s_cmp_lt_i32 s2, 2
	s_mov_b32 s0, -1
	s_cbranch_scc1 .LBB79_3856
; %bb.3847:
	s_cmp_lt_i32 s2, 3
	s_cbranch_scc1 .LBB79_3853
; %bb.3848:
	s_cmp_gt_i32 s2, 3
	s_cbranch_scc0 .LBB79_3850
; %bb.3849:
	s_mov_b32 s0, 0
	global_store_b64 v[4:5], v[6:7], off
.LBB79_3850:
	s_and_not1_b32 vcc_lo, exec_lo, s0
	s_cbranch_vccnz .LBB79_3852
; %bb.3851:
	global_store_b32 v[4:5], v6, off
.LBB79_3852:
	s_mov_b32 s0, 0
.LBB79_3853:
	s_delay_alu instid0(SALU_CYCLE_1)
	s_and_not1_b32 vcc_lo, exec_lo, s0
	s_cbranch_vccnz .LBB79_3855
; %bb.3854:
	global_store_b16 v[4:5], v6, off
.LBB79_3855:
	s_mov_b32 s0, 0
.LBB79_3856:
	s_delay_alu instid0(SALU_CYCLE_1)
	s_and_not1_b32 vcc_lo, exec_lo, s0
	s_cbranch_vccnz .LBB79_3861
; %bb.3857:
	s_cmp_gt_i32 s2, 0
	s_mov_b32 s0, -1
	s_cbranch_scc0 .LBB79_3859
; %bb.3858:
	s_mov_b32 s0, 0
	global_store_b8 v[4:5], v6, off
.LBB79_3859:
	s_and_not1_b32 vcc_lo, exec_lo, s0
	s_cbranch_vccnz .LBB79_3861
; %bb.3860:
	global_store_b8 v[4:5], v6, off
.LBB79_3861:
	s_mov_b32 s6, -1
.LBB79_3862:
	s_delay_alu instid0(SALU_CYCLE_1)
	s_and_not1_b32 vcc_lo, exec_lo, s6
	s_cbranch_vccnz .LBB79_4058
; %bb.3863:
	s_wait_xcnt 0x0
	v_mul_u64_e32 v[4:5], s[8:9], v[28:29]
	v_mul_u64_e32 v[6:7], s[10:11], v[30:31]
	v_mov_b32_e32 v3, 0
	s_cmp_lt_i32 s2, 11
	s_delay_alu instid0(VALU_DEP_1) | instskip(NEXT) | instid1(VALU_DEP_3)
	v_add_nc_u64_e32 v[2:3], s[4:5], v[2:3]
	v_mad_nc_u64_u32 v[4:5], v6, v24, v[4:5]
	s_delay_alu instid0(VALU_DEP_1) | instskip(NEXT) | instid1(VALU_DEP_1)
	v_mad_u32 v1, v7, v24, v5
	v_mad_u32 v5, v6, v25, v1
	s_cbranch_scc1 .LBB79_3941
; %bb.3864:
	s_mov_b32 s7, -1
	s_mov_b32 s3, 0
	s_cmp_gt_i32 s2, 25
	s_mov_b32 s6, 0
	s_mov_b32 s0, 0
	s_cbranch_scc0 .LBB79_3897
; %bb.3865:
	s_cmp_gt_i32 s2, 28
	s_cbranch_scc0 .LBB79_3880
; %bb.3866:
	s_cmp_gt_i32 s2, 43
	;; [unrolled: 3-line block ×3, first 2 shown]
	s_cbranch_scc0 .LBB79_3870
; %bb.3868:
	s_mov_b32 s0, -1
	s_mov_b32 s7, 0
	s_cmp_eq_u32 s2, 46
	s_cbranch_scc0 .LBB79_3870
; %bb.3869:
	v_xor_b32_e32 v1, v4, v5
	v_cls_i32_e32 v6, v5
	s_mov_b32 s6, -1
	s_mov_b32 s0, 0
	s_delay_alu instid0(VALU_DEP_2) | instskip(NEXT) | instid1(VALU_DEP_1)
	v_ashrrev_i32_e32 v1, 31, v1
	v_add_nc_u32_e32 v1, 32, v1
	s_delay_alu instid0(VALU_DEP_1) | instskip(NEXT) | instid1(VALU_DEP_1)
	v_add_min_u32_e64 v1, v6, -1, v1
	v_lshlrev_b64_e32 v[6:7], v1, v[4:5]
	v_sub_nc_u32_e32 v1, 32, v1
	s_delay_alu instid0(VALU_DEP_2) | instskip(NEXT) | instid1(VALU_DEP_1)
	v_min_u32_e32 v6, 1, v6
	v_or_b32_e32 v6, v7, v6
	s_delay_alu instid0(VALU_DEP_1) | instskip(NEXT) | instid1(VALU_DEP_1)
	v_cvt_f32_i32_e32 v6, v6
	v_ldexp_f32 v1, v6, v1
	s_delay_alu instid0(VALU_DEP_1) | instskip(NEXT) | instid1(VALU_DEP_1)
	v_bfe_u32 v6, v1, 16, 1
	v_add3_u32 v1, v1, v6, 0x7fff
	s_delay_alu instid0(VALU_DEP_1)
	v_lshrrev_b32_e32 v1, 16, v1
	global_store_b32 v[2:3], v1, off
.LBB79_3870:
	s_and_b32 vcc_lo, exec_lo, s7
	s_cbranch_vccz .LBB79_3875
; %bb.3871:
	s_cmp_eq_u32 s2, 44
	s_mov_b32 s0, -1
	s_cbranch_scc0 .LBB79_3875
; %bb.3872:
	s_wait_xcnt 0x0
	v_xor_b32_e32 v1, v4, v5
	v_cls_i32_e32 v6, v5
	s_mov_b32 s6, -1
	s_mov_b32 s7, exec_lo
	s_delay_alu instid0(VALU_DEP_2) | instskip(NEXT) | instid1(VALU_DEP_1)
	v_ashrrev_i32_e32 v1, 31, v1
	v_add_nc_u32_e32 v1, 32, v1
	s_delay_alu instid0(VALU_DEP_1) | instskip(NEXT) | instid1(VALU_DEP_1)
	v_add_min_u32_e64 v1, v6, -1, v1
	v_lshlrev_b64_e32 v[6:7], v1, v[4:5]
	v_sub_nc_u32_e32 v1, 32, v1
	s_delay_alu instid0(VALU_DEP_2) | instskip(NEXT) | instid1(VALU_DEP_1)
	v_min_u32_e32 v6, 1, v6
	v_or_b32_e32 v6, v7, v6
	s_delay_alu instid0(VALU_DEP_1) | instskip(NEXT) | instid1(VALU_DEP_1)
	v_cvt_f32_i32_e32 v6, v6
	v_ldexp_f32 v1, v6, v1
	v_mov_b32_e32 v6, 0xff
	s_delay_alu instid0(VALU_DEP_2) | instskip(NEXT) | instid1(VALU_DEP_1)
	v_bfe_u32 v7, v1, 23, 8
	v_cmpx_ne_u32_e32 0xff, v7
	s_cbranch_execz .LBB79_3874
; %bb.3873:
	v_and_b32_e32 v6, 0x400000, v1
	v_and_or_b32 v7, 0x3fffff, v1, v7
	v_lshrrev_b32_e32 v1, 23, v1
	s_delay_alu instid0(VALU_DEP_3) | instskip(NEXT) | instid1(VALU_DEP_3)
	v_cmp_ne_u32_e32 vcc_lo, 0, v6
	v_cmp_ne_u32_e64 s0, 0, v7
	s_and_b32 s0, vcc_lo, s0
	s_delay_alu instid0(SALU_CYCLE_1) | instskip(NEXT) | instid1(VALU_DEP_1)
	v_cndmask_b32_e64 v6, 0, 1, s0
	v_add_nc_u32_e32 v6, v1, v6
.LBB79_3874:
	s_or_b32 exec_lo, exec_lo, s7
	s_mov_b32 s0, 0
	global_store_b8 v[2:3], v6, off
.LBB79_3875:
	s_mov_b32 s7, 0
.LBB79_3876:
	s_delay_alu instid0(SALU_CYCLE_1)
	s_and_b32 vcc_lo, exec_lo, s7
	s_cbranch_vccz .LBB79_3879
; %bb.3877:
	s_cmp_eq_u32 s2, 29
	s_mov_b32 s0, -1
	s_cbranch_scc0 .LBB79_3879
; %bb.3878:
	s_mov_b32 s0, 0
	s_mov_b32 s6, -1
	global_store_b64 v[2:3], v[4:5], off
.LBB79_3879:
	s_mov_b32 s7, 0
.LBB79_3880:
	s_delay_alu instid0(SALU_CYCLE_1)
	s_and_b32 vcc_lo, exec_lo, s7
	s_cbranch_vccz .LBB79_3896
; %bb.3881:
	s_cmp_lt_i32 s2, 27
	s_mov_b32 s6, -1
	s_cbranch_scc1 .LBB79_3887
; %bb.3882:
	s_cmp_gt_i32 s2, 27
	s_cbranch_scc0 .LBB79_3884
; %bb.3883:
	s_mov_b32 s6, 0
	global_store_b32 v[2:3], v4, off
.LBB79_3884:
	s_and_not1_b32 vcc_lo, exec_lo, s6
	s_cbranch_vccnz .LBB79_3886
; %bb.3885:
	global_store_b16 v[2:3], v4, off
.LBB79_3886:
	s_mov_b32 s6, 0
.LBB79_3887:
	s_delay_alu instid0(SALU_CYCLE_1)
	s_and_not1_b32 vcc_lo, exec_lo, s6
	s_cbranch_vccnz .LBB79_3895
; %bb.3888:
	s_wait_xcnt 0x0
	v_xor_b32_e32 v1, v4, v5
	v_cls_i32_e32 v6, v5
	s_mov_b32 s6, exec_lo
	s_delay_alu instid0(VALU_DEP_2) | instskip(NEXT) | instid1(VALU_DEP_1)
	v_ashrrev_i32_e32 v1, 31, v1
	v_add_nc_u32_e32 v1, 32, v1
	s_delay_alu instid0(VALU_DEP_1) | instskip(NEXT) | instid1(VALU_DEP_1)
	v_add_min_u32_e64 v1, v6, -1, v1
	v_lshlrev_b64_e32 v[6:7], v1, v[4:5]
	v_sub_nc_u32_e32 v1, 32, v1
	s_delay_alu instid0(VALU_DEP_2) | instskip(NEXT) | instid1(VALU_DEP_1)
	v_min_u32_e32 v6, 1, v6
	v_or_b32_e32 v6, v7, v6
	v_mov_b32_e32 v7, 0x80
	s_delay_alu instid0(VALU_DEP_2) | instskip(NEXT) | instid1(VALU_DEP_1)
	v_cvt_f32_i32_e32 v6, v6
	v_ldexp_f32 v1, v6, v1
	s_delay_alu instid0(VALU_DEP_1) | instskip(NEXT) | instid1(VALU_DEP_1)
	v_and_b32_e32 v6, 0x7fffffff, v1
	v_cmpx_gt_u32_e32 0x43800000, v6
	s_cbranch_execz .LBB79_3894
; %bb.3889:
	v_cmp_lt_u32_e32 vcc_lo, 0x3bffffff, v6
	s_mov_b32 s7, 0
                                        ; implicit-def: $vgpr6
	s_and_saveexec_b32 s15, vcc_lo
	s_delay_alu instid0(SALU_CYCLE_1)
	s_xor_b32 s15, exec_lo, s15
	s_cbranch_execz .LBB79_4115
; %bb.3890:
	v_bfe_u32 v6, v1, 20, 1
	s_mov_b32 s7, exec_lo
	s_delay_alu instid0(VALU_DEP_1) | instskip(NEXT) | instid1(VALU_DEP_1)
	v_add3_u32 v6, v1, v6, 0x487ffff
	v_lshrrev_b32_e32 v6, 20, v6
	s_and_not1_saveexec_b32 s15, s15
	s_cbranch_execnz .LBB79_4116
.LBB79_3891:
	s_or_b32 exec_lo, exec_lo, s15
	v_mov_b32_e32 v7, 0
	s_and_saveexec_b32 s15, s7
.LBB79_3892:
	v_lshrrev_b32_e32 v1, 24, v1
	s_delay_alu instid0(VALU_DEP_1)
	v_and_or_b32 v7, 0x80, v1, v6
.LBB79_3893:
	s_or_b32 exec_lo, exec_lo, s15
.LBB79_3894:
	s_delay_alu instid0(SALU_CYCLE_1)
	s_or_b32 exec_lo, exec_lo, s6
	global_store_b8 v[2:3], v7, off
.LBB79_3895:
	s_mov_b32 s6, -1
.LBB79_3896:
	s_mov_b32 s7, 0
.LBB79_3897:
	s_delay_alu instid0(SALU_CYCLE_1)
	s_and_b32 vcc_lo, exec_lo, s7
	s_cbranch_vccz .LBB79_3937
; %bb.3898:
	s_cmp_gt_i32 s2, 22
	s_mov_b32 s3, -1
	s_cbranch_scc0 .LBB79_3930
; %bb.3899:
	s_cmp_lt_i32 s2, 24
	s_cbranch_scc1 .LBB79_3919
; %bb.3900:
	s_cmp_gt_i32 s2, 24
	s_cbranch_scc0 .LBB79_3908
; %bb.3901:
	s_wait_xcnt 0x0
	v_xor_b32_e32 v1, v4, v5
	v_cls_i32_e32 v6, v5
	s_mov_b32 s3, exec_lo
	s_delay_alu instid0(VALU_DEP_2) | instskip(NEXT) | instid1(VALU_DEP_1)
	v_ashrrev_i32_e32 v1, 31, v1
	v_add_nc_u32_e32 v1, 32, v1
	s_delay_alu instid0(VALU_DEP_1) | instskip(NEXT) | instid1(VALU_DEP_1)
	v_add_min_u32_e64 v1, v6, -1, v1
	v_lshlrev_b64_e32 v[6:7], v1, v[4:5]
	v_sub_nc_u32_e32 v1, 32, v1
	s_delay_alu instid0(VALU_DEP_2) | instskip(NEXT) | instid1(VALU_DEP_1)
	v_min_u32_e32 v6, 1, v6
	v_or_b32_e32 v6, v7, v6
	v_mov_b32_e32 v7, 0x80
	s_delay_alu instid0(VALU_DEP_2) | instskip(NEXT) | instid1(VALU_DEP_1)
	v_cvt_f32_i32_e32 v6, v6
	v_ldexp_f32 v1, v6, v1
	s_delay_alu instid0(VALU_DEP_1) | instskip(NEXT) | instid1(VALU_DEP_1)
	v_and_b32_e32 v6, 0x7fffffff, v1
	v_cmpx_gt_u32_e32 0x47800000, v6
	s_cbranch_execz .LBB79_3907
; %bb.3902:
	v_cmp_lt_u32_e32 vcc_lo, 0x37ffffff, v6
	s_mov_b32 s6, 0
                                        ; implicit-def: $vgpr6
	s_and_saveexec_b32 s7, vcc_lo
	s_delay_alu instid0(SALU_CYCLE_1)
	s_xor_b32 s7, exec_lo, s7
	s_cbranch_execz .LBB79_4118
; %bb.3903:
	v_bfe_u32 v6, v1, 21, 1
	s_mov_b32 s6, exec_lo
	s_delay_alu instid0(VALU_DEP_1) | instskip(NEXT) | instid1(VALU_DEP_1)
	v_add3_u32 v6, v1, v6, 0x88fffff
	v_lshrrev_b32_e32 v6, 21, v6
	s_and_not1_saveexec_b32 s7, s7
	s_cbranch_execnz .LBB79_4119
.LBB79_3904:
	s_or_b32 exec_lo, exec_lo, s7
	v_mov_b32_e32 v7, 0
	s_and_saveexec_b32 s7, s6
.LBB79_3905:
	v_lshrrev_b32_e32 v1, 24, v1
	s_delay_alu instid0(VALU_DEP_1)
	v_and_or_b32 v7, 0x80, v1, v6
.LBB79_3906:
	s_or_b32 exec_lo, exec_lo, s7
.LBB79_3907:
	s_delay_alu instid0(SALU_CYCLE_1)
	s_or_b32 exec_lo, exec_lo, s3
	s_mov_b32 s3, 0
	global_store_b8 v[2:3], v7, off
.LBB79_3908:
	s_and_b32 vcc_lo, exec_lo, s3
	s_cbranch_vccz .LBB79_3918
; %bb.3909:
	s_wait_xcnt 0x0
	v_xor_b32_e32 v1, v4, v5
	v_cls_i32_e32 v6, v5
	s_mov_b32 s3, exec_lo
	s_delay_alu instid0(VALU_DEP_2) | instskip(NEXT) | instid1(VALU_DEP_1)
	v_ashrrev_i32_e32 v1, 31, v1
	v_add_nc_u32_e32 v1, 32, v1
	s_delay_alu instid0(VALU_DEP_1) | instskip(NEXT) | instid1(VALU_DEP_1)
	v_add_min_u32_e64 v1, v6, -1, v1
	v_lshlrev_b64_e32 v[6:7], v1, v[4:5]
	v_sub_nc_u32_e32 v1, 32, v1
	s_delay_alu instid0(VALU_DEP_2) | instskip(NEXT) | instid1(VALU_DEP_1)
	v_min_u32_e32 v6, 1, v6
	v_or_b32_e32 v6, v7, v6
	s_delay_alu instid0(VALU_DEP_1) | instskip(NEXT) | instid1(VALU_DEP_1)
	v_cvt_f32_i32_e32 v6, v6
	v_ldexp_f32 v1, v6, v1
                                        ; implicit-def: $vgpr6
	s_delay_alu instid0(VALU_DEP_1) | instskip(NEXT) | instid1(VALU_DEP_1)
	v_and_b32_e32 v7, 0x7fffffff, v1
	v_cmpx_gt_u32_e32 0x43f00000, v7
	s_xor_b32 s3, exec_lo, s3
	s_cbranch_execz .LBB79_3915
; %bb.3910:
	s_mov_b32 s6, exec_lo
                                        ; implicit-def: $vgpr6
	v_cmpx_lt_u32_e32 0x3c7fffff, v7
	s_xor_b32 s6, exec_lo, s6
; %bb.3911:
	v_bfe_u32 v6, v1, 20, 1
	s_delay_alu instid0(VALU_DEP_1) | instskip(NEXT) | instid1(VALU_DEP_1)
	v_add3_u32 v6, v1, v6, 0x407ffff
	v_and_b32_e32 v7, 0xff00000, v6
	v_lshrrev_b32_e32 v6, 20, v6
	s_delay_alu instid0(VALU_DEP_2) | instskip(NEXT) | instid1(VALU_DEP_2)
	v_cmp_ne_u32_e32 vcc_lo, 0x7f00000, v7
	v_cndmask_b32_e32 v6, 0x7e, v6, vcc_lo
; %bb.3912:
	s_and_not1_saveexec_b32 s6, s6
; %bb.3913:
	v_add_f32_e64 v6, 0x46800000, |v1|
; %bb.3914:
	s_or_b32 exec_lo, exec_lo, s6
                                        ; implicit-def: $vgpr7
.LBB79_3915:
	s_and_not1_saveexec_b32 s3, s3
; %bb.3916:
	v_mov_b32_e32 v6, 0x7f
	v_cmp_lt_u32_e32 vcc_lo, 0x7f800000, v7
	s_delay_alu instid0(VALU_DEP_2)
	v_cndmask_b32_e32 v6, 0x7e, v6, vcc_lo
; %bb.3917:
	s_or_b32 exec_lo, exec_lo, s3
	v_lshrrev_b32_e32 v1, 24, v1
	s_delay_alu instid0(VALU_DEP_1)
	v_and_or_b32 v1, 0x80, v1, v6
	global_store_b8 v[2:3], v1, off
.LBB79_3918:
	s_mov_b32 s3, 0
.LBB79_3919:
	s_delay_alu instid0(SALU_CYCLE_1)
	s_and_not1_b32 vcc_lo, exec_lo, s3
	s_cbranch_vccnz .LBB79_3929
; %bb.3920:
	s_wait_xcnt 0x0
	v_xor_b32_e32 v1, v4, v5
	v_cls_i32_e32 v6, v5
	s_mov_b32 s3, exec_lo
	s_delay_alu instid0(VALU_DEP_2) | instskip(NEXT) | instid1(VALU_DEP_1)
	v_ashrrev_i32_e32 v1, 31, v1
	v_add_nc_u32_e32 v1, 32, v1
	s_delay_alu instid0(VALU_DEP_1) | instskip(NEXT) | instid1(VALU_DEP_1)
	v_add_min_u32_e64 v1, v6, -1, v1
	v_lshlrev_b64_e32 v[6:7], v1, v[4:5]
	v_sub_nc_u32_e32 v1, 32, v1
	s_delay_alu instid0(VALU_DEP_2) | instskip(NEXT) | instid1(VALU_DEP_1)
	v_min_u32_e32 v6, 1, v6
	v_or_b32_e32 v6, v7, v6
	s_delay_alu instid0(VALU_DEP_1) | instskip(NEXT) | instid1(VALU_DEP_1)
	v_cvt_f32_i32_e32 v6, v6
	v_ldexp_f32 v1, v6, v1
                                        ; implicit-def: $vgpr6
	s_delay_alu instid0(VALU_DEP_1) | instskip(NEXT) | instid1(VALU_DEP_1)
	v_and_b32_e32 v7, 0x7fffffff, v1
	v_cmpx_gt_u32_e32 0x47800000, v7
	s_xor_b32 s3, exec_lo, s3
	s_cbranch_execz .LBB79_3926
; %bb.3921:
	s_mov_b32 s6, exec_lo
                                        ; implicit-def: $vgpr6
	v_cmpx_lt_u32_e32 0x387fffff, v7
	s_xor_b32 s6, exec_lo, s6
; %bb.3922:
	v_bfe_u32 v6, v1, 21, 1
	s_delay_alu instid0(VALU_DEP_1) | instskip(NEXT) | instid1(VALU_DEP_1)
	v_add3_u32 v6, v1, v6, 0x80fffff
	v_lshrrev_b32_e32 v6, 21, v6
; %bb.3923:
	s_and_not1_saveexec_b32 s6, s6
; %bb.3924:
	v_add_f32_e64 v6, 0x43000000, |v1|
; %bb.3925:
	s_or_b32 exec_lo, exec_lo, s6
                                        ; implicit-def: $vgpr7
.LBB79_3926:
	s_and_not1_saveexec_b32 s3, s3
; %bb.3927:
	v_mov_b32_e32 v6, 0x7f
	v_cmp_lt_u32_e32 vcc_lo, 0x7f800000, v7
	s_delay_alu instid0(VALU_DEP_2)
	v_cndmask_b32_e32 v6, 0x7c, v6, vcc_lo
; %bb.3928:
	s_or_b32 exec_lo, exec_lo, s3
	v_lshrrev_b32_e32 v1, 24, v1
	s_delay_alu instid0(VALU_DEP_1)
	v_and_or_b32 v1, 0x80, v1, v6
	global_store_b8 v[2:3], v1, off
.LBB79_3929:
	s_mov_b32 s3, 0
	s_mov_b32 s6, -1
.LBB79_3930:
	s_and_not1_b32 vcc_lo, exec_lo, s3
	s_mov_b32 s3, 0
	s_cbranch_vccnz .LBB79_3937
; %bb.3931:
	s_cmp_gt_i32 s2, 14
	s_mov_b32 s3, -1
	s_cbranch_scc0 .LBB79_3935
; %bb.3932:
	s_cmp_eq_u32 s2, 15
	s_mov_b32 s0, -1
	s_cbranch_scc0 .LBB79_3934
; %bb.3933:
	s_wait_xcnt 0x0
	v_xor_b32_e32 v1, v4, v5
	v_cls_i32_e32 v6, v5
	s_mov_b32 s6, -1
	s_mov_b32 s0, 0
	s_delay_alu instid0(VALU_DEP_2) | instskip(NEXT) | instid1(VALU_DEP_1)
	v_ashrrev_i32_e32 v1, 31, v1
	v_add_nc_u32_e32 v1, 32, v1
	s_delay_alu instid0(VALU_DEP_1) | instskip(NEXT) | instid1(VALU_DEP_1)
	v_add_min_u32_e64 v1, v6, -1, v1
	v_lshlrev_b64_e32 v[6:7], v1, v[4:5]
	v_sub_nc_u32_e32 v1, 32, v1
	s_delay_alu instid0(VALU_DEP_2) | instskip(NEXT) | instid1(VALU_DEP_1)
	v_min_u32_e32 v6, 1, v6
	v_or_b32_e32 v6, v7, v6
	s_delay_alu instid0(VALU_DEP_1) | instskip(NEXT) | instid1(VALU_DEP_1)
	v_cvt_f32_i32_e32 v6, v6
	v_ldexp_f32 v1, v6, v1
	s_delay_alu instid0(VALU_DEP_1) | instskip(NEXT) | instid1(VALU_DEP_1)
	v_bfe_u32 v6, v1, 16, 1
	v_add3_u32 v1, v1, v6, 0x7fff
	global_store_d16_hi_b16 v[2:3], v1, off
.LBB79_3934:
	s_mov_b32 s3, 0
.LBB79_3935:
	s_delay_alu instid0(SALU_CYCLE_1)
	s_and_b32 vcc_lo, exec_lo, s3
	s_mov_b32 s3, 0
	s_cbranch_vccz .LBB79_3937
; %bb.3936:
	s_cmp_lg_u32 s2, 11
	s_mov_b32 s3, -1
	s_cselect_b32 s0, -1, 0
.LBB79_3937:
	s_delay_alu instid0(SALU_CYCLE_1)
	s_and_b32 vcc_lo, exec_lo, s0
	s_cbranch_vccnz .LBB79_4117
; %bb.3938:
	s_and_not1_b32 vcc_lo, exec_lo, s3
	s_cbranch_vccnz .LBB79_3940
.LBB79_3939:
	v_cmp_ne_u64_e32 vcc_lo, 0, v[4:5]
	s_mov_b32 s6, -1
	s_wait_xcnt 0x0
	v_cndmask_b32_e64 v1, 0, 1, vcc_lo
	global_store_b8 v[2:3], v1, off
.LBB79_3940:
	s_mov_b32 s0, 0
	s_branch .LBB79_3942
.LBB79_3941:
	s_mov_b32 s0, -1
	s_mov_b32 s6, 0
.LBB79_3942:
	s_and_b32 vcc_lo, exec_lo, s0
	s_cbranch_vccz .LBB79_3981
; %bb.3943:
	s_cmp_lt_i32 s2, 5
	s_mov_b32 s0, -1
	s_cbranch_scc1 .LBB79_3964
; %bb.3944:
	s_cmp_lt_i32 s2, 8
	s_cbranch_scc1 .LBB79_3954
; %bb.3945:
	s_cmp_lt_i32 s2, 9
	s_cbranch_scc1 .LBB79_3951
; %bb.3946:
	s_cmp_gt_i32 s2, 9
	s_cbranch_scc0 .LBB79_3948
; %bb.3947:
	s_wait_xcnt 0x0
	v_cvt_f64_i32_e32 v[6:7], v5
	v_cvt_f64_u32_e32 v[8:9], v4
	s_mov_b32 s0, 0
	s_delay_alu instid0(VALU_DEP_2) | instskip(NEXT) | instid1(VALU_DEP_1)
	v_ldexp_f64 v[6:7], v[6:7], 32
	v_dual_add_f64 v[6:7], v[6:7], v[8:9] :: v_dual_mov_b32 v8, 0
	s_delay_alu instid0(VALU_DEP_1)
	v_mov_b32_e32 v9, v8
	global_store_b128 v[2:3], v[6:9], off
.LBB79_3948:
	s_and_not1_b32 vcc_lo, exec_lo, s0
	s_cbranch_vccnz .LBB79_3950
; %bb.3949:
	s_wait_xcnt 0x0
	v_xor_b32_e32 v1, v4, v5
	v_cls_i32_e32 v6, v5
	s_delay_alu instid0(VALU_DEP_2) | instskip(NEXT) | instid1(VALU_DEP_1)
	v_ashrrev_i32_e32 v1, 31, v1
	v_add_nc_u32_e32 v1, 32, v1
	s_delay_alu instid0(VALU_DEP_1) | instskip(NEXT) | instid1(VALU_DEP_1)
	v_add_min_u32_e64 v1, v6, -1, v1
	v_lshlrev_b64_e32 v[6:7], v1, v[4:5]
	v_sub_nc_u32_e32 v1, 32, v1
	s_delay_alu instid0(VALU_DEP_2) | instskip(NEXT) | instid1(VALU_DEP_1)
	v_min_u32_e32 v6, 1, v6
	v_dual_mov_b32 v7, 0 :: v_dual_bitop2_b32 v6, v7, v6 bitop3:0x54
	s_delay_alu instid0(VALU_DEP_1) | instskip(NEXT) | instid1(VALU_DEP_1)
	v_cvt_f32_i32_e32 v6, v6
	v_ldexp_f32 v6, v6, v1
	global_store_b64 v[2:3], v[6:7], off
.LBB79_3950:
	s_mov_b32 s0, 0
.LBB79_3951:
	s_delay_alu instid0(SALU_CYCLE_1)
	s_and_not1_b32 vcc_lo, exec_lo, s0
	s_cbranch_vccnz .LBB79_3953
; %bb.3952:
	s_wait_xcnt 0x0
	v_xor_b32_e32 v1, v4, v5
	v_cls_i32_e32 v6, v5
	s_delay_alu instid0(VALU_DEP_2) | instskip(NEXT) | instid1(VALU_DEP_1)
	v_ashrrev_i32_e32 v1, 31, v1
	v_add_nc_u32_e32 v1, 32, v1
	s_delay_alu instid0(VALU_DEP_1) | instskip(NEXT) | instid1(VALU_DEP_1)
	v_add_min_u32_e64 v1, v6, -1, v1
	v_lshlrev_b64_e32 v[6:7], v1, v[4:5]
	v_sub_nc_u32_e32 v1, 32, v1
	s_delay_alu instid0(VALU_DEP_2) | instskip(NEXT) | instid1(VALU_DEP_1)
	v_min_u32_e32 v6, 1, v6
	v_or_b32_e32 v6, v7, v6
	s_delay_alu instid0(VALU_DEP_1) | instskip(NEXT) | instid1(VALU_DEP_1)
	v_cvt_f32_i32_e32 v6, v6
	v_ldexp_f32 v1, v6, v1
	s_delay_alu instid0(VALU_DEP_1) | instskip(NEXT) | instid1(VALU_DEP_1)
	v_cvt_f16_f32_e32 v1, v1
	v_and_b32_e32 v1, 0xffff, v1
	global_store_b32 v[2:3], v1, off
.LBB79_3953:
	s_mov_b32 s0, 0
.LBB79_3954:
	s_delay_alu instid0(SALU_CYCLE_1)
	s_and_not1_b32 vcc_lo, exec_lo, s0
	s_cbranch_vccnz .LBB79_3963
; %bb.3955:
	s_cmp_lt_i32 s2, 6
	s_mov_b32 s0, -1
	s_cbranch_scc1 .LBB79_3961
; %bb.3956:
	s_cmp_gt_i32 s2, 6
	s_cbranch_scc0 .LBB79_3958
; %bb.3957:
	s_wait_xcnt 0x0
	v_cvt_f64_i32_e32 v[6:7], v5
	v_cvt_f64_u32_e32 v[8:9], v4
	s_mov_b32 s0, 0
	s_delay_alu instid0(VALU_DEP_2) | instskip(NEXT) | instid1(VALU_DEP_1)
	v_ldexp_f64 v[6:7], v[6:7], 32
	v_add_f64_e32 v[6:7], v[6:7], v[8:9]
	global_store_b64 v[2:3], v[6:7], off
.LBB79_3958:
	s_and_not1_b32 vcc_lo, exec_lo, s0
	s_cbranch_vccnz .LBB79_3960
; %bb.3959:
	s_wait_xcnt 0x0
	v_xor_b32_e32 v1, v4, v5
	v_cls_i32_e32 v6, v5
	s_delay_alu instid0(VALU_DEP_2) | instskip(NEXT) | instid1(VALU_DEP_1)
	v_ashrrev_i32_e32 v1, 31, v1
	v_add_nc_u32_e32 v1, 32, v1
	s_delay_alu instid0(VALU_DEP_1) | instskip(NEXT) | instid1(VALU_DEP_1)
	v_add_min_u32_e64 v1, v6, -1, v1
	v_lshlrev_b64_e32 v[6:7], v1, v[4:5]
	v_sub_nc_u32_e32 v1, 32, v1
	s_delay_alu instid0(VALU_DEP_2) | instskip(NEXT) | instid1(VALU_DEP_1)
	v_min_u32_e32 v6, 1, v6
	v_or_b32_e32 v6, v7, v6
	s_delay_alu instid0(VALU_DEP_1) | instskip(NEXT) | instid1(VALU_DEP_1)
	v_cvt_f32_i32_e32 v6, v6
	v_ldexp_f32 v1, v6, v1
	global_store_b32 v[2:3], v1, off
.LBB79_3960:
	s_mov_b32 s0, 0
.LBB79_3961:
	s_delay_alu instid0(SALU_CYCLE_1)
	s_and_not1_b32 vcc_lo, exec_lo, s0
	s_cbranch_vccnz .LBB79_3963
; %bb.3962:
	s_wait_xcnt 0x0
	v_xor_b32_e32 v1, v4, v5
	v_cls_i32_e32 v6, v5
	s_delay_alu instid0(VALU_DEP_2) | instskip(NEXT) | instid1(VALU_DEP_1)
	v_ashrrev_i32_e32 v1, 31, v1
	v_add_nc_u32_e32 v1, 32, v1
	s_delay_alu instid0(VALU_DEP_1) | instskip(NEXT) | instid1(VALU_DEP_1)
	v_add_min_u32_e64 v1, v6, -1, v1
	v_lshlrev_b64_e32 v[6:7], v1, v[4:5]
	v_sub_nc_u32_e32 v1, 32, v1
	s_delay_alu instid0(VALU_DEP_2) | instskip(NEXT) | instid1(VALU_DEP_1)
	v_min_u32_e32 v6, 1, v6
	v_or_b32_e32 v6, v7, v6
	s_delay_alu instid0(VALU_DEP_1) | instskip(NEXT) | instid1(VALU_DEP_1)
	v_cvt_f32_i32_e32 v6, v6
	v_ldexp_f32 v1, v6, v1
	s_delay_alu instid0(VALU_DEP_1)
	v_cvt_f16_f32_e32 v1, v1
	global_store_b16 v[2:3], v1, off
.LBB79_3963:
	s_mov_b32 s0, 0
.LBB79_3964:
	s_delay_alu instid0(SALU_CYCLE_1)
	s_and_not1_b32 vcc_lo, exec_lo, s0
	s_cbranch_vccnz .LBB79_3980
; %bb.3965:
	s_cmp_lt_i32 s2, 2
	s_mov_b32 s0, -1
	s_cbranch_scc1 .LBB79_3975
; %bb.3966:
	s_cmp_lt_i32 s2, 3
	s_cbranch_scc1 .LBB79_3972
; %bb.3967:
	s_cmp_gt_i32 s2, 3
	s_cbranch_scc0 .LBB79_3969
; %bb.3968:
	s_mov_b32 s0, 0
	global_store_b64 v[2:3], v[4:5], off
.LBB79_3969:
	s_and_not1_b32 vcc_lo, exec_lo, s0
	s_cbranch_vccnz .LBB79_3971
; %bb.3970:
	global_store_b32 v[2:3], v4, off
.LBB79_3971:
	s_mov_b32 s0, 0
.LBB79_3972:
	s_delay_alu instid0(SALU_CYCLE_1)
	s_and_not1_b32 vcc_lo, exec_lo, s0
	s_cbranch_vccnz .LBB79_3974
; %bb.3973:
	global_store_b16 v[2:3], v4, off
.LBB79_3974:
	s_mov_b32 s0, 0
.LBB79_3975:
	s_delay_alu instid0(SALU_CYCLE_1)
	s_and_not1_b32 vcc_lo, exec_lo, s0
	s_cbranch_vccnz .LBB79_3980
; %bb.3976:
	s_cmp_gt_i32 s2, 0
	s_mov_b32 s0, -1
	s_cbranch_scc0 .LBB79_3978
; %bb.3977:
	s_mov_b32 s0, 0
	global_store_b8 v[2:3], v4, off
.LBB79_3978:
	s_and_not1_b32 vcc_lo, exec_lo, s0
	s_cbranch_vccnz .LBB79_3980
; %bb.3979:
	global_store_b8 v[2:3], v4, off
.LBB79_3980:
	s_mov_b32 s6, -1
.LBB79_3981:
	s_delay_alu instid0(SALU_CYCLE_1)
	s_and_not1_b32 vcc_lo, exec_lo, s6
	s_cbranch_vccnz .LBB79_4058
; %bb.3982:
	s_wait_xcnt 0x0
	v_mul_u64_e32 v[2:3], s[8:9], v[20:21]
	v_mul_u64_e32 v[6:7], s[10:11], v[14:15]
	v_mov_b32_e32 v1, 0
	s_cmp_lt_i32 s2, 11
	s_delay_alu instid0(VALU_DEP_2) | instskip(NEXT) | instid1(VALU_DEP_1)
	v_mad_nc_u64_u32 v[4:5], v6, v10, v[2:3]
	v_mad_u32 v2, v7, v10, v5
	s_delay_alu instid0(VALU_DEP_1)
	v_mad_u32 v5, v6, v11, v2
	v_add_nc_u64_e32 v[2:3], s[4:5], v[0:1]
	s_cbranch_scc1 .LBB79_4103
; %bb.3983:
	s_mov_b32 s4, -1
	s_mov_b32 s3, 0
	s_cmp_gt_i32 s2, 25
	s_mov_b32 s0, 0
	s_cbranch_scc0 .LBB79_4016
; %bb.3984:
	s_cmp_gt_i32 s2, 28
	s_cbranch_scc0 .LBB79_4000
; %bb.3985:
	s_cmp_gt_i32 s2, 43
	;; [unrolled: 3-line block ×3, first 2 shown]
	s_cbranch_scc0 .LBB79_3990
; %bb.3987:
	s_cmp_eq_u32 s2, 46
	s_mov_b32 s0, -1
	s_cbranch_scc0 .LBB79_3989
; %bb.3988:
	v_xor_b32_e32 v0, v4, v5
	v_cls_i32_e32 v1, v5
	s_mov_b32 s0, 0
	s_delay_alu instid0(VALU_DEP_2) | instskip(NEXT) | instid1(VALU_DEP_1)
	v_ashrrev_i32_e32 v0, 31, v0
	v_add_nc_u32_e32 v0, 32, v0
	s_delay_alu instid0(VALU_DEP_1) | instskip(NEXT) | instid1(VALU_DEP_1)
	v_add_min_u32_e64 v6, v1, -1, v0
	v_lshlrev_b64_e32 v[0:1], v6, v[4:5]
	s_delay_alu instid0(VALU_DEP_1) | instskip(NEXT) | instid1(VALU_DEP_1)
	v_min_u32_e32 v0, 1, v0
	v_dual_sub_nc_u32 v1, 32, v6 :: v_dual_bitop2_b32 v0, v1, v0 bitop3:0x54
	s_delay_alu instid0(VALU_DEP_1) | instskip(NEXT) | instid1(VALU_DEP_1)
	v_cvt_f32_i32_e32 v0, v0
	v_ldexp_f32 v0, v0, v1
	s_delay_alu instid0(VALU_DEP_1) | instskip(NEXT) | instid1(VALU_DEP_1)
	v_bfe_u32 v1, v0, 16, 1
	v_add3_u32 v0, v0, v1, 0x7fff
	s_delay_alu instid0(VALU_DEP_1)
	v_lshrrev_b32_e32 v0, 16, v0
	global_store_b32 v[2:3], v0, off
.LBB79_3989:
	s_mov_b32 s4, 0
.LBB79_3990:
	s_delay_alu instid0(SALU_CYCLE_1)
	s_and_b32 vcc_lo, exec_lo, s4
	s_cbranch_vccz .LBB79_3995
; %bb.3991:
	s_cmp_eq_u32 s2, 44
	s_mov_b32 s0, -1
	s_cbranch_scc0 .LBB79_3995
; %bb.3992:
	s_wait_xcnt 0x0
	v_xor_b32_e32 v0, v4, v5
	v_cls_i32_e32 v1, v5
	s_mov_b32 s4, exec_lo
	s_delay_alu instid0(VALU_DEP_2) | instskip(NEXT) | instid1(VALU_DEP_1)
	v_ashrrev_i32_e32 v0, 31, v0
	v_add_nc_u32_e32 v0, 32, v0
	s_delay_alu instid0(VALU_DEP_1) | instskip(NEXT) | instid1(VALU_DEP_1)
	v_add_min_u32_e64 v6, v1, -1, v0
	v_lshlrev_b64_e32 v[0:1], v6, v[4:5]
	s_delay_alu instid0(VALU_DEP_1) | instskip(NEXT) | instid1(VALU_DEP_1)
	v_min_u32_e32 v0, 1, v0
	v_dual_sub_nc_u32 v1, 32, v6 :: v_dual_bitop2_b32 v0, v1, v0 bitop3:0x54
	s_delay_alu instid0(VALU_DEP_1) | instskip(NEXT) | instid1(VALU_DEP_1)
	v_cvt_f32_i32_e32 v0, v0
	v_ldexp_f32 v0, v0, v1
	v_mov_b32_e32 v1, 0xff
	s_delay_alu instid0(VALU_DEP_2) | instskip(NEXT) | instid1(VALU_DEP_1)
	v_bfe_u32 v6, v0, 23, 8
	v_cmpx_ne_u32_e32 0xff, v6
	s_cbranch_execz .LBB79_3994
; %bb.3993:
	v_and_b32_e32 v1, 0x400000, v0
	v_and_or_b32 v6, 0x3fffff, v0, v6
	v_lshrrev_b32_e32 v0, 23, v0
	s_delay_alu instid0(VALU_DEP_3) | instskip(NEXT) | instid1(VALU_DEP_3)
	v_cmp_ne_u32_e32 vcc_lo, 0, v1
	v_cmp_ne_u32_e64 s0, 0, v6
	s_and_b32 s0, vcc_lo, s0
	s_delay_alu instid0(SALU_CYCLE_1) | instskip(NEXT) | instid1(VALU_DEP_1)
	v_cndmask_b32_e64 v1, 0, 1, s0
	v_add_nc_u32_e32 v1, v0, v1
.LBB79_3994:
	s_or_b32 exec_lo, exec_lo, s4
	s_mov_b32 s0, 0
	global_store_b8 v[2:3], v1, off
.LBB79_3995:
	s_mov_b32 s4, 0
.LBB79_3996:
	s_delay_alu instid0(SALU_CYCLE_1)
	s_and_b32 vcc_lo, exec_lo, s4
	s_cbranch_vccz .LBB79_3999
; %bb.3997:
	s_cmp_eq_u32 s2, 29
	s_mov_b32 s0, -1
	s_cbranch_scc0 .LBB79_3999
; %bb.3998:
	s_mov_b32 s0, 0
	global_store_b64 v[2:3], v[4:5], off
.LBB79_3999:
	s_mov_b32 s4, 0
.LBB79_4000:
	s_delay_alu instid0(SALU_CYCLE_1)
	s_and_b32 vcc_lo, exec_lo, s4
	s_cbranch_vccz .LBB79_4015
; %bb.4001:
	s_cmp_lt_i32 s2, 27
	s_mov_b32 s4, -1
	s_cbranch_scc1 .LBB79_4007
; %bb.4002:
	s_cmp_gt_i32 s2, 27
	s_cbranch_scc0 .LBB79_4004
; %bb.4003:
	s_mov_b32 s4, 0
	global_store_b32 v[2:3], v4, off
.LBB79_4004:
	s_and_not1_b32 vcc_lo, exec_lo, s4
	s_cbranch_vccnz .LBB79_4006
; %bb.4005:
	global_store_b16 v[2:3], v4, off
.LBB79_4006:
	s_mov_b32 s4, 0
.LBB79_4007:
	s_delay_alu instid0(SALU_CYCLE_1)
	s_and_not1_b32 vcc_lo, exec_lo, s4
	s_cbranch_vccnz .LBB79_4015
; %bb.4008:
	s_wait_xcnt 0x0
	v_xor_b32_e32 v0, v4, v5
	v_cls_i32_e32 v1, v5
	s_mov_b32 s4, exec_lo
	s_delay_alu instid0(VALU_DEP_2) | instskip(NEXT) | instid1(VALU_DEP_1)
	v_ashrrev_i32_e32 v0, 31, v0
	v_add_nc_u32_e32 v0, 32, v0
	s_delay_alu instid0(VALU_DEP_1) | instskip(NEXT) | instid1(VALU_DEP_1)
	v_add_min_u32_e64 v6, v1, -1, v0
	v_lshlrev_b64_e32 v[0:1], v6, v[4:5]
	s_delay_alu instid0(VALU_DEP_1) | instskip(NEXT) | instid1(VALU_DEP_1)
	v_min_u32_e32 v0, 1, v0
	v_dual_sub_nc_u32 v1, 32, v6 :: v_dual_bitop2_b32 v0, v1, v0 bitop3:0x54
	v_mov_b32_e32 v6, 0x80
	s_delay_alu instid0(VALU_DEP_2) | instskip(NEXT) | instid1(VALU_DEP_1)
	v_cvt_f32_i32_e32 v0, v0
	v_ldexp_f32 v0, v0, v1
	s_delay_alu instid0(VALU_DEP_1) | instskip(NEXT) | instid1(VALU_DEP_1)
	v_and_b32_e32 v1, 0x7fffffff, v0
	v_cmpx_gt_u32_e32 0x43800000, v1
	s_cbranch_execz .LBB79_4014
; %bb.4009:
	v_cmp_lt_u32_e32 vcc_lo, 0x3bffffff, v1
	s_mov_b32 s5, 0
                                        ; implicit-def: $vgpr1
	s_and_saveexec_b32 s6, vcc_lo
	s_delay_alu instid0(SALU_CYCLE_1)
	s_xor_b32 s6, exec_lo, s6
	s_cbranch_execz .LBB79_4120
; %bb.4010:
	v_bfe_u32 v1, v0, 20, 1
	s_mov_b32 s5, exec_lo
	s_delay_alu instid0(VALU_DEP_1) | instskip(NEXT) | instid1(VALU_DEP_1)
	v_add3_u32 v1, v0, v1, 0x487ffff
	v_lshrrev_b32_e32 v1, 20, v1
	s_and_not1_saveexec_b32 s6, s6
	s_cbranch_execnz .LBB79_4121
.LBB79_4011:
	s_or_b32 exec_lo, exec_lo, s6
	v_mov_b32_e32 v6, 0
	s_and_saveexec_b32 s6, s5
.LBB79_4012:
	v_lshrrev_b32_e32 v0, 24, v0
	s_delay_alu instid0(VALU_DEP_1)
	v_and_or_b32 v6, 0x80, v0, v1
.LBB79_4013:
	s_or_b32 exec_lo, exec_lo, s6
.LBB79_4014:
	s_delay_alu instid0(SALU_CYCLE_1)
	s_or_b32 exec_lo, exec_lo, s4
	global_store_b8 v[2:3], v6, off
.LBB79_4015:
	s_mov_b32 s4, 0
.LBB79_4016:
	s_delay_alu instid0(SALU_CYCLE_1)
	s_and_b32 vcc_lo, exec_lo, s4
	s_cbranch_vccz .LBB79_4056
; %bb.4017:
	s_cmp_gt_i32 s2, 22
	s_mov_b32 s3, -1
	s_cbranch_scc0 .LBB79_4049
; %bb.4018:
	s_cmp_lt_i32 s2, 24
	s_cbranch_scc1 .LBB79_4038
; %bb.4019:
	s_cmp_gt_i32 s2, 24
	s_cbranch_scc0 .LBB79_4027
; %bb.4020:
	s_wait_xcnt 0x0
	v_xor_b32_e32 v0, v4, v5
	v_cls_i32_e32 v1, v5
	s_mov_b32 s3, exec_lo
	s_delay_alu instid0(VALU_DEP_2) | instskip(NEXT) | instid1(VALU_DEP_1)
	v_ashrrev_i32_e32 v0, 31, v0
	v_add_nc_u32_e32 v0, 32, v0
	s_delay_alu instid0(VALU_DEP_1) | instskip(NEXT) | instid1(VALU_DEP_1)
	v_add_min_u32_e64 v6, v1, -1, v0
	v_lshlrev_b64_e32 v[0:1], v6, v[4:5]
	s_delay_alu instid0(VALU_DEP_1) | instskip(NEXT) | instid1(VALU_DEP_1)
	v_min_u32_e32 v0, 1, v0
	v_dual_sub_nc_u32 v1, 32, v6 :: v_dual_bitop2_b32 v0, v1, v0 bitop3:0x54
	v_mov_b32_e32 v6, 0x80
	s_delay_alu instid0(VALU_DEP_2) | instskip(NEXT) | instid1(VALU_DEP_1)
	v_cvt_f32_i32_e32 v0, v0
	v_ldexp_f32 v0, v0, v1
	s_delay_alu instid0(VALU_DEP_1) | instskip(NEXT) | instid1(VALU_DEP_1)
	v_and_b32_e32 v1, 0x7fffffff, v0
	v_cmpx_gt_u32_e32 0x47800000, v1
	s_cbranch_execz .LBB79_4026
; %bb.4021:
	v_cmp_lt_u32_e32 vcc_lo, 0x37ffffff, v1
	s_mov_b32 s4, 0
                                        ; implicit-def: $vgpr1
	s_and_saveexec_b32 s5, vcc_lo
	s_delay_alu instid0(SALU_CYCLE_1)
	s_xor_b32 s5, exec_lo, s5
	s_cbranch_execz .LBB79_4123
; %bb.4022:
	v_bfe_u32 v1, v0, 21, 1
	s_mov_b32 s4, exec_lo
	s_delay_alu instid0(VALU_DEP_1) | instskip(NEXT) | instid1(VALU_DEP_1)
	v_add3_u32 v1, v0, v1, 0x88fffff
	v_lshrrev_b32_e32 v1, 21, v1
	s_and_not1_saveexec_b32 s5, s5
	s_cbranch_execnz .LBB79_4124
.LBB79_4023:
	s_or_b32 exec_lo, exec_lo, s5
	v_mov_b32_e32 v6, 0
	s_and_saveexec_b32 s5, s4
.LBB79_4024:
	v_lshrrev_b32_e32 v0, 24, v0
	s_delay_alu instid0(VALU_DEP_1)
	v_and_or_b32 v6, 0x80, v0, v1
.LBB79_4025:
	s_or_b32 exec_lo, exec_lo, s5
.LBB79_4026:
	s_delay_alu instid0(SALU_CYCLE_1)
	s_or_b32 exec_lo, exec_lo, s3
	s_mov_b32 s3, 0
	global_store_b8 v[2:3], v6, off
.LBB79_4027:
	s_and_b32 vcc_lo, exec_lo, s3
	s_cbranch_vccz .LBB79_4037
; %bb.4028:
	s_wait_xcnt 0x0
	v_xor_b32_e32 v0, v4, v5
	v_cls_i32_e32 v1, v5
	s_mov_b32 s3, exec_lo
	s_delay_alu instid0(VALU_DEP_2) | instskip(NEXT) | instid1(VALU_DEP_1)
	v_ashrrev_i32_e32 v0, 31, v0
	v_add_nc_u32_e32 v0, 32, v0
	s_delay_alu instid0(VALU_DEP_1) | instskip(NEXT) | instid1(VALU_DEP_1)
	v_add_min_u32_e64 v6, v1, -1, v0
	v_lshlrev_b64_e32 v[0:1], v6, v[4:5]
	s_delay_alu instid0(VALU_DEP_1) | instskip(NEXT) | instid1(VALU_DEP_1)
	v_min_u32_e32 v0, 1, v0
	v_dual_sub_nc_u32 v1, 32, v6 :: v_dual_bitop2_b32 v0, v1, v0 bitop3:0x54
	s_delay_alu instid0(VALU_DEP_1) | instskip(NEXT) | instid1(VALU_DEP_1)
	v_cvt_f32_i32_e32 v0, v0
	v_ldexp_f32 v0, v0, v1
                                        ; implicit-def: $vgpr1
	s_delay_alu instid0(VALU_DEP_1) | instskip(NEXT) | instid1(VALU_DEP_1)
	v_and_b32_e32 v6, 0x7fffffff, v0
	v_cmpx_gt_u32_e32 0x43f00000, v6
	s_xor_b32 s3, exec_lo, s3
	s_cbranch_execz .LBB79_4034
; %bb.4029:
	s_mov_b32 s4, exec_lo
                                        ; implicit-def: $vgpr1
	v_cmpx_lt_u32_e32 0x3c7fffff, v6
	s_xor_b32 s4, exec_lo, s4
; %bb.4030:
	v_bfe_u32 v1, v0, 20, 1
	s_delay_alu instid0(VALU_DEP_1) | instskip(NEXT) | instid1(VALU_DEP_1)
	v_add3_u32 v1, v0, v1, 0x407ffff
	v_and_b32_e32 v6, 0xff00000, v1
	v_lshrrev_b32_e32 v1, 20, v1
	s_delay_alu instid0(VALU_DEP_2) | instskip(NEXT) | instid1(VALU_DEP_2)
	v_cmp_ne_u32_e32 vcc_lo, 0x7f00000, v6
	v_cndmask_b32_e32 v1, 0x7e, v1, vcc_lo
; %bb.4031:
	s_and_not1_saveexec_b32 s4, s4
; %bb.4032:
	v_add_f32_e64 v1, 0x46800000, |v0|
; %bb.4033:
	s_or_b32 exec_lo, exec_lo, s4
                                        ; implicit-def: $vgpr6
.LBB79_4034:
	s_and_not1_saveexec_b32 s3, s3
; %bb.4035:
	v_mov_b32_e32 v1, 0x7f
	v_cmp_lt_u32_e32 vcc_lo, 0x7f800000, v6
	s_delay_alu instid0(VALU_DEP_2)
	v_cndmask_b32_e32 v1, 0x7e, v1, vcc_lo
; %bb.4036:
	s_or_b32 exec_lo, exec_lo, s3
	v_lshrrev_b32_e32 v0, 24, v0
	s_delay_alu instid0(VALU_DEP_1)
	v_and_or_b32 v0, 0x80, v0, v1
	global_store_b8 v[2:3], v0, off
.LBB79_4037:
	s_mov_b32 s3, 0
.LBB79_4038:
	s_delay_alu instid0(SALU_CYCLE_1)
	s_and_not1_b32 vcc_lo, exec_lo, s3
	s_cbranch_vccnz .LBB79_4048
; %bb.4039:
	s_wait_xcnt 0x0
	v_xor_b32_e32 v0, v4, v5
	v_cls_i32_e32 v1, v5
	s_mov_b32 s3, exec_lo
	s_delay_alu instid0(VALU_DEP_2) | instskip(NEXT) | instid1(VALU_DEP_1)
	v_ashrrev_i32_e32 v0, 31, v0
	v_add_nc_u32_e32 v0, 32, v0
	s_delay_alu instid0(VALU_DEP_1) | instskip(NEXT) | instid1(VALU_DEP_1)
	v_add_min_u32_e64 v6, v1, -1, v0
	v_lshlrev_b64_e32 v[0:1], v6, v[4:5]
	s_delay_alu instid0(VALU_DEP_1) | instskip(NEXT) | instid1(VALU_DEP_1)
	v_min_u32_e32 v0, 1, v0
	v_dual_sub_nc_u32 v1, 32, v6 :: v_dual_bitop2_b32 v0, v1, v0 bitop3:0x54
	s_delay_alu instid0(VALU_DEP_1) | instskip(NEXT) | instid1(VALU_DEP_1)
	v_cvt_f32_i32_e32 v0, v0
	v_ldexp_f32 v0, v0, v1
                                        ; implicit-def: $vgpr1
	s_delay_alu instid0(VALU_DEP_1) | instskip(NEXT) | instid1(VALU_DEP_1)
	v_and_b32_e32 v6, 0x7fffffff, v0
	v_cmpx_gt_u32_e32 0x47800000, v6
	s_xor_b32 s3, exec_lo, s3
	s_cbranch_execz .LBB79_4045
; %bb.4040:
	s_mov_b32 s4, exec_lo
                                        ; implicit-def: $vgpr1
	v_cmpx_lt_u32_e32 0x387fffff, v6
	s_xor_b32 s4, exec_lo, s4
; %bb.4041:
	v_bfe_u32 v1, v0, 21, 1
	s_delay_alu instid0(VALU_DEP_1) | instskip(NEXT) | instid1(VALU_DEP_1)
	v_add3_u32 v1, v0, v1, 0x80fffff
	v_lshrrev_b32_e32 v1, 21, v1
; %bb.4042:
	s_and_not1_saveexec_b32 s4, s4
; %bb.4043:
	v_add_f32_e64 v1, 0x43000000, |v0|
; %bb.4044:
	s_or_b32 exec_lo, exec_lo, s4
                                        ; implicit-def: $vgpr6
.LBB79_4045:
	s_and_not1_saveexec_b32 s3, s3
; %bb.4046:
	v_mov_b32_e32 v1, 0x7f
	v_cmp_lt_u32_e32 vcc_lo, 0x7f800000, v6
	s_delay_alu instid0(VALU_DEP_2)
	v_cndmask_b32_e32 v1, 0x7c, v1, vcc_lo
; %bb.4047:
	s_or_b32 exec_lo, exec_lo, s3
	v_lshrrev_b32_e32 v0, 24, v0
	s_delay_alu instid0(VALU_DEP_1)
	v_and_or_b32 v0, 0x80, v0, v1
	global_store_b8 v[2:3], v0, off
.LBB79_4048:
	s_mov_b32 s3, 0
.LBB79_4049:
	s_delay_alu instid0(SALU_CYCLE_1)
	s_and_not1_b32 vcc_lo, exec_lo, s3
	s_mov_b32 s3, 0
	s_cbranch_vccnz .LBB79_4056
; %bb.4050:
	s_cmp_gt_i32 s2, 14
	s_mov_b32 s3, -1
	s_cbranch_scc0 .LBB79_4054
; %bb.4051:
	s_cmp_eq_u32 s2, 15
	s_mov_b32 s0, -1
	s_cbranch_scc0 .LBB79_4053
; %bb.4052:
	s_wait_xcnt 0x0
	v_xor_b32_e32 v0, v4, v5
	v_cls_i32_e32 v1, v5
	s_mov_b32 s0, 0
	s_delay_alu instid0(VALU_DEP_2) | instskip(NEXT) | instid1(VALU_DEP_1)
	v_ashrrev_i32_e32 v0, 31, v0
	v_add_nc_u32_e32 v0, 32, v0
	s_delay_alu instid0(VALU_DEP_1) | instskip(NEXT) | instid1(VALU_DEP_1)
	v_add_min_u32_e64 v6, v1, -1, v0
	v_lshlrev_b64_e32 v[0:1], v6, v[4:5]
	s_delay_alu instid0(VALU_DEP_1) | instskip(NEXT) | instid1(VALU_DEP_1)
	v_min_u32_e32 v0, 1, v0
	v_dual_sub_nc_u32 v1, 32, v6 :: v_dual_bitop2_b32 v0, v1, v0 bitop3:0x54
	s_delay_alu instid0(VALU_DEP_1) | instskip(NEXT) | instid1(VALU_DEP_1)
	v_cvt_f32_i32_e32 v0, v0
	v_ldexp_f32 v0, v0, v1
	s_delay_alu instid0(VALU_DEP_1) | instskip(NEXT) | instid1(VALU_DEP_1)
	v_bfe_u32 v1, v0, 16, 1
	v_add3_u32 v0, v0, v1, 0x7fff
	global_store_d16_hi_b16 v[2:3], v0, off
.LBB79_4053:
	s_mov_b32 s3, 0
.LBB79_4054:
	s_delay_alu instid0(SALU_CYCLE_1)
	s_and_b32 vcc_lo, exec_lo, s3
	s_mov_b32 s3, 0
	s_cbranch_vccz .LBB79_4056
; %bb.4055:
	s_cmp_lg_u32 s2, 11
	s_mov_b32 s3, -1
	s_cselect_b32 s0, -1, 0
.LBB79_4056:
	s_delay_alu instid0(SALU_CYCLE_1)
	s_and_b32 vcc_lo, exec_lo, s0
	s_cbranch_vccnz .LBB79_4122
.LBB79_4057:
	s_mov_b32 s0, 0
	s_branch .LBB79_4059
.LBB79_4058:
	s_mov_b32 s0, 0
	s_wait_xcnt 0x0
	s_mov_b32 s3, 0
                                        ; implicit-def: $vgpr2_vgpr3
                                        ; implicit-def: $sgpr1
                                        ; implicit-def: $vgpr4_vgpr5
.LBB79_4059:
	s_and_not1_b32 s2, s12, exec_lo
	s_and_b32 s4, s14, exec_lo
	s_and_b32 s0, s0, exec_lo
	;; [unrolled: 1-line block ×3, first 2 shown]
	s_or_b32 s12, s2, s4
.LBB79_4060:
	s_wait_xcnt 0x0
	s_or_b32 exec_lo, exec_lo, s13
	s_and_saveexec_b32 s2, s12
	s_cbranch_execz .LBB79_4063
; %bb.4061:
	; divergent unreachable
	s_or_b32 exec_lo, exec_lo, s2
	s_and_saveexec_b32 s2, s39
	s_delay_alu instid0(SALU_CYCLE_1)
	s_xor_b32 s2, exec_lo, s2
	s_cbranch_execnz .LBB79_4064
.LBB79_4062:
	s_or_b32 exec_lo, exec_lo, s2
	s_and_saveexec_b32 s2, s0
	s_cbranch_execnz .LBB79_4065
	s_branch .LBB79_4102
.LBB79_4063:
	s_or_b32 exec_lo, exec_lo, s2
	s_and_saveexec_b32 s2, s39
	s_delay_alu instid0(SALU_CYCLE_1)
	s_xor_b32 s2, exec_lo, s2
	s_cbranch_execz .LBB79_4062
.LBB79_4064:
	s_wait_loadcnt 0x0
	v_cmp_ne_u64_e32 vcc_lo, 0, v[4:5]
	v_cndmask_b32_e64 v0, 0, 1, vcc_lo
	global_store_b8 v[2:3], v0, off
	s_wait_xcnt 0x0
	s_or_b32 exec_lo, exec_lo, s2
	s_and_saveexec_b32 s2, s0
	s_cbranch_execz .LBB79_4102
.LBB79_4065:
	s_sext_i32_i16 s2, s1
	s_mov_b32 s0, -1
	s_cmp_lt_i32 s2, 5
	s_cbranch_scc1 .LBB79_4086
; %bb.4066:
	s_cmp_lt_i32 s2, 8
	s_cbranch_scc1 .LBB79_4076
; %bb.4067:
	;; [unrolled: 3-line block ×3, first 2 shown]
	s_cmp_gt_i32 s2, 9
	s_cbranch_scc0 .LBB79_4070
; %bb.4069:
	s_wait_loadcnt 0x0
	v_cvt_f64_i32_e32 v[0:1], v5
	v_cvt_f64_u32_e32 v[6:7], v4
	s_mov_b32 s0, 0
	v_mov_b32_e32 v8, 0
	s_delay_alu instid0(VALU_DEP_1) | instskip(NEXT) | instid1(VALU_DEP_4)
	v_mov_b32_e32 v9, v8
	v_ldexp_f64 v[0:1], v[0:1], 32
	s_delay_alu instid0(VALU_DEP_1)
	v_add_f64_e32 v[6:7], v[0:1], v[6:7]
	global_store_b128 v[2:3], v[6:9], off
.LBB79_4070:
	s_and_not1_b32 vcc_lo, exec_lo, s0
	s_cbranch_vccnz .LBB79_4072
; %bb.4071:
	s_wait_loadcnt 0x0
	v_xor_b32_e32 v0, v4, v5
	v_cls_i32_e32 v1, v5
	s_delay_alu instid0(VALU_DEP_2) | instskip(NEXT) | instid1(VALU_DEP_1)
	v_ashrrev_i32_e32 v0, 31, v0
	v_add_nc_u32_e32 v0, 32, v0
	s_wait_xcnt 0x0
	s_delay_alu instid0(VALU_DEP_1) | instskip(NEXT) | instid1(VALU_DEP_1)
	v_add_min_u32_e64 v6, v1, -1, v0
	v_lshlrev_b64_e32 v[0:1], v6, v[4:5]
	s_delay_alu instid0(VALU_DEP_1) | instskip(NEXT) | instid1(VALU_DEP_1)
	v_min_u32_e32 v0, 1, v0
	v_dual_sub_nc_u32 v1, 32, v6 :: v_dual_bitop2_b32 v0, v1, v0 bitop3:0x54
	s_delay_alu instid0(VALU_DEP_1) | instskip(NEXT) | instid1(VALU_DEP_1)
	v_cvt_f32_i32_e32 v0, v0
	v_ldexp_f32 v0, v0, v1
	v_mov_b32_e32 v1, 0
	global_store_b64 v[2:3], v[0:1], off
.LBB79_4072:
	s_mov_b32 s0, 0
.LBB79_4073:
	s_delay_alu instid0(SALU_CYCLE_1)
	s_and_not1_b32 vcc_lo, exec_lo, s0
	s_cbranch_vccnz .LBB79_4075
; %bb.4074:
	s_wait_loadcnt 0x0
	v_xor_b32_e32 v0, v4, v5
	v_cls_i32_e32 v1, v5
	s_delay_alu instid0(VALU_DEP_2) | instskip(NEXT) | instid1(VALU_DEP_1)
	v_ashrrev_i32_e32 v0, 31, v0
	v_add_nc_u32_e32 v0, 32, v0
	s_delay_alu instid0(VALU_DEP_1) | instskip(NEXT) | instid1(VALU_DEP_1)
	v_add_min_u32_e64 v6, v1, -1, v0
	v_lshlrev_b64_e32 v[0:1], v6, v[4:5]
	s_delay_alu instid0(VALU_DEP_1) | instskip(NEXT) | instid1(VALU_DEP_1)
	v_min_u32_e32 v0, 1, v0
	v_dual_sub_nc_u32 v1, 32, v6 :: v_dual_bitop2_b32 v0, v1, v0 bitop3:0x54
	s_delay_alu instid0(VALU_DEP_1) | instskip(NEXT) | instid1(VALU_DEP_1)
	v_cvt_f32_i32_e32 v0, v0
	v_ldexp_f32 v0, v0, v1
	s_delay_alu instid0(VALU_DEP_1) | instskip(NEXT) | instid1(VALU_DEP_1)
	v_cvt_f16_f32_e32 v0, v0
	v_and_b32_e32 v0, 0xffff, v0
	global_store_b32 v[2:3], v0, off
.LBB79_4075:
	s_mov_b32 s0, 0
.LBB79_4076:
	s_delay_alu instid0(SALU_CYCLE_1)
	s_and_not1_b32 vcc_lo, exec_lo, s0
	s_cbranch_vccnz .LBB79_4085
; %bb.4077:
	s_sext_i32_i16 s2, s1
	s_mov_b32 s0, -1
	s_cmp_lt_i32 s2, 6
	s_cbranch_scc1 .LBB79_4083
; %bb.4078:
	s_cmp_gt_i32 s2, 6
	s_cbranch_scc0 .LBB79_4080
; %bb.4079:
	s_wait_loadcnt 0x0
	v_cvt_f64_i32_e32 v[0:1], v5
	v_cvt_f64_u32_e32 v[6:7], v4
	s_mov_b32 s0, 0
	s_delay_alu instid0(VALU_DEP_2) | instskip(NEXT) | instid1(VALU_DEP_1)
	v_ldexp_f64 v[0:1], v[0:1], 32
	v_add_f64_e32 v[0:1], v[0:1], v[6:7]
	global_store_b64 v[2:3], v[0:1], off
.LBB79_4080:
	s_and_not1_b32 vcc_lo, exec_lo, s0
	s_cbranch_vccnz .LBB79_4082
; %bb.4081:
	s_wait_loadcnt 0x0
	v_xor_b32_e32 v0, v4, v5
	v_cls_i32_e32 v1, v5
	s_delay_alu instid0(VALU_DEP_2) | instskip(NEXT) | instid1(VALU_DEP_1)
	v_ashrrev_i32_e32 v0, 31, v0
	v_add_nc_u32_e32 v0, 32, v0
	s_delay_alu instid0(VALU_DEP_1) | instskip(NEXT) | instid1(VALU_DEP_1)
	v_add_min_u32_e64 v6, v1, -1, v0
	v_lshlrev_b64_e32 v[0:1], v6, v[4:5]
	s_delay_alu instid0(VALU_DEP_1) | instskip(NEXT) | instid1(VALU_DEP_1)
	v_min_u32_e32 v0, 1, v0
	v_dual_sub_nc_u32 v1, 32, v6 :: v_dual_bitop2_b32 v0, v1, v0 bitop3:0x54
	s_delay_alu instid0(VALU_DEP_1) | instskip(NEXT) | instid1(VALU_DEP_1)
	v_cvt_f32_i32_e32 v0, v0
	v_ldexp_f32 v0, v0, v1
	global_store_b32 v[2:3], v0, off
.LBB79_4082:
	s_mov_b32 s0, 0
.LBB79_4083:
	s_delay_alu instid0(SALU_CYCLE_1)
	s_and_not1_b32 vcc_lo, exec_lo, s0
	s_cbranch_vccnz .LBB79_4085
; %bb.4084:
	s_wait_loadcnt 0x0
	v_xor_b32_e32 v0, v4, v5
	v_cls_i32_e32 v1, v5
	s_delay_alu instid0(VALU_DEP_2) | instskip(NEXT) | instid1(VALU_DEP_1)
	v_ashrrev_i32_e32 v0, 31, v0
	v_add_nc_u32_e32 v0, 32, v0
	s_delay_alu instid0(VALU_DEP_1) | instskip(NEXT) | instid1(VALU_DEP_1)
	v_add_min_u32_e64 v6, v1, -1, v0
	v_lshlrev_b64_e32 v[0:1], v6, v[4:5]
	s_delay_alu instid0(VALU_DEP_1) | instskip(NEXT) | instid1(VALU_DEP_1)
	v_min_u32_e32 v0, 1, v0
	v_dual_sub_nc_u32 v1, 32, v6 :: v_dual_bitop2_b32 v0, v1, v0 bitop3:0x54
	s_delay_alu instid0(VALU_DEP_1) | instskip(NEXT) | instid1(VALU_DEP_1)
	v_cvt_f32_i32_e32 v0, v0
	v_ldexp_f32 v0, v0, v1
	s_delay_alu instid0(VALU_DEP_1)
	v_cvt_f16_f32_e32 v0, v0
	global_store_b16 v[2:3], v0, off
.LBB79_4085:
	s_mov_b32 s0, 0
.LBB79_4086:
	s_delay_alu instid0(SALU_CYCLE_1)
	s_and_not1_b32 vcc_lo, exec_lo, s0
	s_cbranch_vccnz .LBB79_4102
; %bb.4087:
	s_sext_i32_i16 s2, s1
	s_mov_b32 s0, -1
	s_cmp_lt_i32 s2, 2
	s_cbranch_scc1 .LBB79_4097
; %bb.4088:
	s_cmp_lt_i32 s2, 3
	s_cbranch_scc1 .LBB79_4094
; %bb.4089:
	s_cmp_gt_i32 s2, 3
	s_cbranch_scc0 .LBB79_4091
; %bb.4090:
	s_mov_b32 s0, 0
	s_wait_loadcnt 0x0
	global_store_b64 v[2:3], v[4:5], off
.LBB79_4091:
	s_and_not1_b32 vcc_lo, exec_lo, s0
	s_cbranch_vccnz .LBB79_4093
; %bb.4092:
	s_wait_loadcnt 0x0
	global_store_b32 v[2:3], v4, off
.LBB79_4093:
	s_mov_b32 s0, 0
.LBB79_4094:
	s_delay_alu instid0(SALU_CYCLE_1)
	s_and_not1_b32 vcc_lo, exec_lo, s0
	s_cbranch_vccnz .LBB79_4096
; %bb.4095:
	s_wait_loadcnt 0x0
	global_store_b16 v[2:3], v4, off
.LBB79_4096:
	s_mov_b32 s0, 0
.LBB79_4097:
	s_delay_alu instid0(SALU_CYCLE_1)
	s_and_not1_b32 vcc_lo, exec_lo, s0
	s_cbranch_vccnz .LBB79_4102
; %bb.4098:
	s_sext_i32_i16 s0, s1
	s_delay_alu instid0(SALU_CYCLE_1)
	s_cmp_gt_i32 s0, 0
	s_mov_b32 s0, -1
	s_cbranch_scc0 .LBB79_4100
; %bb.4099:
	s_mov_b32 s0, 0
	s_wait_loadcnt 0x0
	global_store_b8 v[2:3], v4, off
.LBB79_4100:
	s_and_not1_b32 vcc_lo, exec_lo, s0
	s_cbranch_vccnz .LBB79_4102
; %bb.4101:
	s_wait_loadcnt 0x0
	global_store_b8 v[2:3], v4, off
	s_endpgm
.LBB79_4102:
	s_endpgm
.LBB79_4103:
	s_mov_b32 s3, 0
	s_mov_b32 s0, -1
	s_branch .LBB79_4059
.LBB79_4104:
	s_or_b32 s14, s14, exec_lo
	s_trap 2
	s_cbranch_execz .LBB79_3573
	s_branch .LBB79_3574
.LBB79_4105:
	s_and_not1_saveexec_b32 s15, s15
	s_cbranch_execz .LBB79_3653
.LBB79_4106:
	v_add_f32_e64 v3, 0x46000000, |v1|
	s_and_not1_b32 s7, s7, exec_lo
	s_delay_alu instid0(VALU_DEP_1) | instskip(NEXT) | instid1(VALU_DEP_1)
	v_and_b32_e32 v3, 0xff, v3
	v_cmp_ne_u32_e32 vcc_lo, 0, v3
	s_and_b32 s16, vcc_lo, exec_lo
	s_delay_alu instid0(SALU_CYCLE_1)
	s_or_b32 s7, s7, s16
	s_or_b32 exec_lo, exec_lo, s15
	v_mov_b32_e32 v5, 0
	s_and_saveexec_b32 s15, s7
	s_cbranch_execnz .LBB79_3654
	s_branch .LBB79_3655
.LBB79_4107:
	s_or_b32 s14, s14, exec_lo
	s_trap 2
	s_cbranch_execz .LBB79_3701
	s_branch .LBB79_3702
.LBB79_4108:
	s_and_not1_saveexec_b32 s7, s7
	s_cbranch_execz .LBB79_3666
.LBB79_4109:
	v_add_f32_e64 v3, 0x42800000, |v1|
	s_and_not1_b32 s6, s6, exec_lo
	s_delay_alu instid0(VALU_DEP_1) | instskip(NEXT) | instid1(VALU_DEP_1)
	v_and_b32_e32 v3, 0xff, v3
	v_cmp_ne_u32_e32 vcc_lo, 0, v3
	s_and_b32 s15, vcc_lo, exec_lo
	s_delay_alu instid0(SALU_CYCLE_1)
	s_or_b32 s6, s6, s15
	s_or_b32 exec_lo, exec_lo, s7
	v_mov_b32_e32 v5, 0
	s_and_saveexec_b32 s7, s6
	s_cbranch_execnz .LBB79_3667
	s_branch .LBB79_3668
.LBB79_4110:
	s_and_not1_saveexec_b32 s15, s15
	s_cbranch_execz .LBB79_3772
.LBB79_4111:
	v_add_f32_e64 v3, 0x46000000, |v1|
	s_and_not1_b32 s7, s7, exec_lo
	s_delay_alu instid0(VALU_DEP_1) | instskip(NEXT) | instid1(VALU_DEP_1)
	v_and_b32_e32 v3, 0xff, v3
	v_cmp_ne_u32_e32 vcc_lo, 0, v3
	s_and_b32 s16, vcc_lo, exec_lo
	s_delay_alu instid0(SALU_CYCLE_1)
	s_or_b32 s7, s7, s16
	s_or_b32 exec_lo, exec_lo, s15
	v_mov_b32_e32 v8, 0
	s_and_saveexec_b32 s15, s7
	s_cbranch_execnz .LBB79_3773
	s_branch .LBB79_3774
.LBB79_4112:
	s_or_b32 s14, s14, exec_lo
	s_trap 2
	s_cbranch_execz .LBB79_3820
	s_branch .LBB79_3821
.LBB79_4113:
	s_and_not1_saveexec_b32 s7, s7
	s_cbranch_execz .LBB79_3785
.LBB79_4114:
	v_add_f32_e64 v3, 0x42800000, |v1|
	s_and_not1_b32 s6, s6, exec_lo
	s_delay_alu instid0(VALU_DEP_1) | instskip(NEXT) | instid1(VALU_DEP_1)
	v_and_b32_e32 v3, 0xff, v3
	v_cmp_ne_u32_e32 vcc_lo, 0, v3
	s_and_b32 s15, vcc_lo, exec_lo
	s_delay_alu instid0(SALU_CYCLE_1)
	s_or_b32 s6, s6, s15
	s_or_b32 exec_lo, exec_lo, s7
	v_mov_b32_e32 v8, 0
	s_and_saveexec_b32 s7, s6
	s_cbranch_execnz .LBB79_3786
	s_branch .LBB79_3787
.LBB79_4115:
	s_and_not1_saveexec_b32 s15, s15
	s_cbranch_execz .LBB79_3891
.LBB79_4116:
	v_add_f32_e64 v6, 0x46000000, |v1|
	s_and_not1_b32 s7, s7, exec_lo
	s_delay_alu instid0(VALU_DEP_1) | instskip(NEXT) | instid1(VALU_DEP_1)
	v_and_b32_e32 v6, 0xff, v6
	v_cmp_ne_u32_e32 vcc_lo, 0, v6
	s_and_b32 s16, vcc_lo, exec_lo
	s_delay_alu instid0(SALU_CYCLE_1)
	s_or_b32 s7, s7, s16
	s_or_b32 exec_lo, exec_lo, s15
	v_mov_b32_e32 v7, 0
	s_and_saveexec_b32 s15, s7
	s_cbranch_execnz .LBB79_3892
	s_branch .LBB79_3893
.LBB79_4117:
	s_or_b32 s14, s14, exec_lo
	s_trap 2
	s_cbranch_execz .LBB79_3939
	s_branch .LBB79_3940
.LBB79_4118:
	s_and_not1_saveexec_b32 s7, s7
	s_cbranch_execz .LBB79_3904
.LBB79_4119:
	v_add_f32_e64 v6, 0x42800000, |v1|
	s_and_not1_b32 s6, s6, exec_lo
	s_delay_alu instid0(VALU_DEP_1) | instskip(NEXT) | instid1(VALU_DEP_1)
	v_and_b32_e32 v6, 0xff, v6
	v_cmp_ne_u32_e32 vcc_lo, 0, v6
	s_and_b32 s15, vcc_lo, exec_lo
	s_delay_alu instid0(SALU_CYCLE_1)
	s_or_b32 s6, s6, s15
	s_or_b32 exec_lo, exec_lo, s7
	v_mov_b32_e32 v7, 0
	s_and_saveexec_b32 s7, s6
	s_cbranch_execnz .LBB79_3905
	s_branch .LBB79_3906
.LBB79_4120:
	s_and_not1_saveexec_b32 s6, s6
	s_cbranch_execz .LBB79_4011
.LBB79_4121:
	v_add_f32_e64 v1, 0x46000000, |v0|
	s_and_not1_b32 s5, s5, exec_lo
	s_delay_alu instid0(VALU_DEP_1) | instskip(NEXT) | instid1(VALU_DEP_1)
	v_and_b32_e32 v1, 0xff, v1
	v_cmp_ne_u32_e32 vcc_lo, 0, v1
	s_and_b32 s7, vcc_lo, exec_lo
	s_delay_alu instid0(SALU_CYCLE_1)
	s_or_b32 s5, s5, s7
	s_or_b32 exec_lo, exec_lo, s6
	v_mov_b32_e32 v6, 0
	s_and_saveexec_b32 s6, s5
	s_cbranch_execnz .LBB79_4012
	s_branch .LBB79_4013
.LBB79_4122:
	s_mov_b32 s3, 0
	s_or_b32 s14, s14, exec_lo
	s_trap 2
	s_branch .LBB79_4057
.LBB79_4123:
	s_and_not1_saveexec_b32 s5, s5
	s_cbranch_execz .LBB79_4023
.LBB79_4124:
	v_add_f32_e64 v1, 0x42800000, |v0|
	s_and_not1_b32 s4, s4, exec_lo
	s_delay_alu instid0(VALU_DEP_1) | instskip(NEXT) | instid1(VALU_DEP_1)
	v_and_b32_e32 v1, 0xff, v1
	v_cmp_ne_u32_e32 vcc_lo, 0, v1
	s_and_b32 s6, vcc_lo, exec_lo
	s_delay_alu instid0(SALU_CYCLE_1)
	s_or_b32 s4, s4, s6
	s_or_b32 exec_lo, exec_lo, s5
	v_mov_b32_e32 v6, 0
	s_and_saveexec_b32 s5, s4
	s_cbranch_execnz .LBB79_4024
	s_branch .LBB79_4025
	.section	.rodata,"a",@progbits
	.p2align	6, 0x0
	.amdhsa_kernel _ZN2at6native32elementwise_kernel_manual_unrollILi128ELi4EZNS0_15gpu_kernel_implIZZZNS0_12_GLOBAL__N_116addr_kernel_cudaERNS_14TensorIteratorERKN3c106ScalarES9_ENKUlvE_clEvENKUlvE2_clEvEUllllE0_EEvRNS_18TensorIteratorBaseERKT_EUlibE0_EEviT1_
		.amdhsa_group_segment_fixed_size 0
		.amdhsa_private_segment_fixed_size 0
		.amdhsa_kernarg_size 520
		.amdhsa_user_sgpr_count 2
		.amdhsa_user_sgpr_dispatch_ptr 0
		.amdhsa_user_sgpr_queue_ptr 0
		.amdhsa_user_sgpr_kernarg_segment_ptr 1
		.amdhsa_user_sgpr_dispatch_id 0
		.amdhsa_user_sgpr_kernarg_preload_length 0
		.amdhsa_user_sgpr_kernarg_preload_offset 0
		.amdhsa_user_sgpr_private_segment_size 0
		.amdhsa_wavefront_size32 1
		.amdhsa_uses_dynamic_stack 0
		.amdhsa_enable_private_segment 0
		.amdhsa_system_sgpr_workgroup_id_x 1
		.amdhsa_system_sgpr_workgroup_id_y 0
		.amdhsa_system_sgpr_workgroup_id_z 0
		.amdhsa_system_sgpr_workgroup_info 0
		.amdhsa_system_vgpr_workitem_id 0
		.amdhsa_next_free_vgpr 38
		.amdhsa_next_free_sgpr 78
		.amdhsa_named_barrier_count 0
		.amdhsa_reserve_vcc 1
		.amdhsa_float_round_mode_32 0
		.amdhsa_float_round_mode_16_64 0
		.amdhsa_float_denorm_mode_32 3
		.amdhsa_float_denorm_mode_16_64 3
		.amdhsa_fp16_overflow 0
		.amdhsa_memory_ordered 1
		.amdhsa_forward_progress 1
		.amdhsa_inst_pref_size 255
		.amdhsa_round_robin_scheduling 0
		.amdhsa_exception_fp_ieee_invalid_op 0
		.amdhsa_exception_fp_denorm_src 0
		.amdhsa_exception_fp_ieee_div_zero 0
		.amdhsa_exception_fp_ieee_overflow 0
		.amdhsa_exception_fp_ieee_underflow 0
		.amdhsa_exception_fp_ieee_inexact 0
		.amdhsa_exception_int_div_zero 0
	.end_amdhsa_kernel
	.section	.text._ZN2at6native32elementwise_kernel_manual_unrollILi128ELi4EZNS0_15gpu_kernel_implIZZZNS0_12_GLOBAL__N_116addr_kernel_cudaERNS_14TensorIteratorERKN3c106ScalarES9_ENKUlvE_clEvENKUlvE2_clEvEUllllE0_EEvRNS_18TensorIteratorBaseERKT_EUlibE0_EEviT1_,"axG",@progbits,_ZN2at6native32elementwise_kernel_manual_unrollILi128ELi4EZNS0_15gpu_kernel_implIZZZNS0_12_GLOBAL__N_116addr_kernel_cudaERNS_14TensorIteratorERKN3c106ScalarES9_ENKUlvE_clEvENKUlvE2_clEvEUllllE0_EEvRNS_18TensorIteratorBaseERKT_EUlibE0_EEviT1_,comdat
.Lfunc_end79:
	.size	_ZN2at6native32elementwise_kernel_manual_unrollILi128ELi4EZNS0_15gpu_kernel_implIZZZNS0_12_GLOBAL__N_116addr_kernel_cudaERNS_14TensorIteratorERKN3c106ScalarES9_ENKUlvE_clEvENKUlvE2_clEvEUllllE0_EEvRNS_18TensorIteratorBaseERKT_EUlibE0_EEviT1_, .Lfunc_end79-_ZN2at6native32elementwise_kernel_manual_unrollILi128ELi4EZNS0_15gpu_kernel_implIZZZNS0_12_GLOBAL__N_116addr_kernel_cudaERNS_14TensorIteratorERKN3c106ScalarES9_ENKUlvE_clEvENKUlvE2_clEvEUllllE0_EEvRNS_18TensorIteratorBaseERKT_EUlibE0_EEviT1_
                                        ; -- End function
	.set _ZN2at6native32elementwise_kernel_manual_unrollILi128ELi4EZNS0_15gpu_kernel_implIZZZNS0_12_GLOBAL__N_116addr_kernel_cudaERNS_14TensorIteratorERKN3c106ScalarES9_ENKUlvE_clEvENKUlvE2_clEvEUllllE0_EEvRNS_18TensorIteratorBaseERKT_EUlibE0_EEviT1_.num_vgpr, 38
	.set _ZN2at6native32elementwise_kernel_manual_unrollILi128ELi4EZNS0_15gpu_kernel_implIZZZNS0_12_GLOBAL__N_116addr_kernel_cudaERNS_14TensorIteratorERKN3c106ScalarES9_ENKUlvE_clEvENKUlvE2_clEvEUllllE0_EEvRNS_18TensorIteratorBaseERKT_EUlibE0_EEviT1_.num_agpr, 0
	.set _ZN2at6native32elementwise_kernel_manual_unrollILi128ELi4EZNS0_15gpu_kernel_implIZZZNS0_12_GLOBAL__N_116addr_kernel_cudaERNS_14TensorIteratorERKN3c106ScalarES9_ENKUlvE_clEvENKUlvE2_clEvEUllllE0_EEvRNS_18TensorIteratorBaseERKT_EUlibE0_EEviT1_.numbered_sgpr, 78
	.set _ZN2at6native32elementwise_kernel_manual_unrollILi128ELi4EZNS0_15gpu_kernel_implIZZZNS0_12_GLOBAL__N_116addr_kernel_cudaERNS_14TensorIteratorERKN3c106ScalarES9_ENKUlvE_clEvENKUlvE2_clEvEUllllE0_EEvRNS_18TensorIteratorBaseERKT_EUlibE0_EEviT1_.num_named_barrier, 0
	.set _ZN2at6native32elementwise_kernel_manual_unrollILi128ELi4EZNS0_15gpu_kernel_implIZZZNS0_12_GLOBAL__N_116addr_kernel_cudaERNS_14TensorIteratorERKN3c106ScalarES9_ENKUlvE_clEvENKUlvE2_clEvEUllllE0_EEvRNS_18TensorIteratorBaseERKT_EUlibE0_EEviT1_.private_seg_size, 0
	.set _ZN2at6native32elementwise_kernel_manual_unrollILi128ELi4EZNS0_15gpu_kernel_implIZZZNS0_12_GLOBAL__N_116addr_kernel_cudaERNS_14TensorIteratorERKN3c106ScalarES9_ENKUlvE_clEvENKUlvE2_clEvEUllllE0_EEvRNS_18TensorIteratorBaseERKT_EUlibE0_EEviT1_.uses_vcc, 1
	.set _ZN2at6native32elementwise_kernel_manual_unrollILi128ELi4EZNS0_15gpu_kernel_implIZZZNS0_12_GLOBAL__N_116addr_kernel_cudaERNS_14TensorIteratorERKN3c106ScalarES9_ENKUlvE_clEvENKUlvE2_clEvEUllllE0_EEvRNS_18TensorIteratorBaseERKT_EUlibE0_EEviT1_.uses_flat_scratch, 0
	.set _ZN2at6native32elementwise_kernel_manual_unrollILi128ELi4EZNS0_15gpu_kernel_implIZZZNS0_12_GLOBAL__N_116addr_kernel_cudaERNS_14TensorIteratorERKN3c106ScalarES9_ENKUlvE_clEvENKUlvE2_clEvEUllllE0_EEvRNS_18TensorIteratorBaseERKT_EUlibE0_EEviT1_.has_dyn_sized_stack, 0
	.set _ZN2at6native32elementwise_kernel_manual_unrollILi128ELi4EZNS0_15gpu_kernel_implIZZZNS0_12_GLOBAL__N_116addr_kernel_cudaERNS_14TensorIteratorERKN3c106ScalarES9_ENKUlvE_clEvENKUlvE2_clEvEUllllE0_EEvRNS_18TensorIteratorBaseERKT_EUlibE0_EEviT1_.has_recursion, 0
	.set _ZN2at6native32elementwise_kernel_manual_unrollILi128ELi4EZNS0_15gpu_kernel_implIZZZNS0_12_GLOBAL__N_116addr_kernel_cudaERNS_14TensorIteratorERKN3c106ScalarES9_ENKUlvE_clEvENKUlvE2_clEvEUllllE0_EEvRNS_18TensorIteratorBaseERKT_EUlibE0_EEviT1_.has_indirect_call, 0
	.section	.AMDGPU.csdata,"",@progbits
; Kernel info:
; codeLenInByte = 99672
; TotalNumSgprs: 80
; NumVgprs: 38
; ScratchSize: 0
; MemoryBound: 1
; FloatMode: 240
; IeeeMode: 1
; LDSByteSize: 0 bytes/workgroup (compile time only)
; SGPRBlocks: 0
; VGPRBlocks: 2
; NumSGPRsForWavesPerEU: 80
; NumVGPRsForWavesPerEU: 38
; NamedBarCnt: 0
; Occupancy: 16
; WaveLimiterHint : 1
; COMPUTE_PGM_RSRC2:SCRATCH_EN: 0
; COMPUTE_PGM_RSRC2:USER_SGPR: 2
; COMPUTE_PGM_RSRC2:TRAP_HANDLER: 0
; COMPUTE_PGM_RSRC2:TGID_X_EN: 1
; COMPUTE_PGM_RSRC2:TGID_Y_EN: 0
; COMPUTE_PGM_RSRC2:TGID_Z_EN: 0
; COMPUTE_PGM_RSRC2:TIDIG_COMP_CNT: 0
	.section	.text._ZN2at6native29vectorized_elementwise_kernelILi16EZZZNS0_12_GLOBAL__N_116addr_kernel_cudaERNS_14TensorIteratorERKN3c106ScalarES8_ENKUlvE_clEvENKUlvE3_clEvEUlsssE_St5arrayIPcLm4EEEEviT0_T1_,"axG",@progbits,_ZN2at6native29vectorized_elementwise_kernelILi16EZZZNS0_12_GLOBAL__N_116addr_kernel_cudaERNS_14TensorIteratorERKN3c106ScalarES8_ENKUlvE_clEvENKUlvE3_clEvEUlsssE_St5arrayIPcLm4EEEEviT0_T1_,comdat
	.globl	_ZN2at6native29vectorized_elementwise_kernelILi16EZZZNS0_12_GLOBAL__N_116addr_kernel_cudaERNS_14TensorIteratorERKN3c106ScalarES8_ENKUlvE_clEvENKUlvE3_clEvEUlsssE_St5arrayIPcLm4EEEEviT0_T1_ ; -- Begin function _ZN2at6native29vectorized_elementwise_kernelILi16EZZZNS0_12_GLOBAL__N_116addr_kernel_cudaERNS_14TensorIteratorERKN3c106ScalarES8_ENKUlvE_clEvENKUlvE3_clEvEUlsssE_St5arrayIPcLm4EEEEviT0_T1_
	.p2align	8
	.type	_ZN2at6native29vectorized_elementwise_kernelILi16EZZZNS0_12_GLOBAL__N_116addr_kernel_cudaERNS_14TensorIteratorERKN3c106ScalarES8_ENKUlvE_clEvENKUlvE3_clEvEUlsssE_St5arrayIPcLm4EEEEviT0_T1_,@function
_ZN2at6native29vectorized_elementwise_kernelILi16EZZZNS0_12_GLOBAL__N_116addr_kernel_cudaERNS_14TensorIteratorERKN3c106ScalarES8_ENKUlvE_clEvENKUlvE3_clEvEUlsssE_St5arrayIPcLm4EEEEviT0_T1_: ; @_ZN2at6native29vectorized_elementwise_kernelILi16EZZZNS0_12_GLOBAL__N_116addr_kernel_cudaERNS_14TensorIteratorERKN3c106ScalarES8_ENKUlvE_clEvENKUlvE3_clEvEUlsssE_St5arrayIPcLm4EEEEviT0_T1_
; %bb.0:
	s_clause 0x1
	s_load_b128 s[4:7], s[0:1], 0x0
	s_load_b128 s[8:11], s[0:1], 0x18
	s_wait_xcnt 0x0
	s_bfe_u32 s0, ttmp6, 0x4000c
	s_and_b32 s1, ttmp6, 15
	s_add_co_i32 s0, s0, 1
	s_getreg_b32 s2, hwreg(HW_REG_IB_STS2, 6, 4)
	s_mul_i32 s0, ttmp9, s0
	s_delay_alu instid0(SALU_CYCLE_1) | instskip(SKIP_2) | instid1(SALU_CYCLE_1)
	s_add_co_i32 s1, s1, s0
	s_cmp_eq_u32 s2, 0
	s_cselect_b32 s0, ttmp9, s1
	s_lshl_b32 s2, s0, 11
	s_mov_b32 s0, -1
	s_wait_kmcnt 0x0
	s_sub_co_i32 s1, s4, s2
	s_delay_alu instid0(SALU_CYCLE_1)
	s_cmp_gt_i32 s1, 0x7ff
	s_cbranch_scc0 .LBB80_2
; %bb.1:
	s_ashr_i32 s3, s2, 31
	s_mov_b32 s0, 0
	s_lshl_b64 s[12:13], s[2:3], 1
	s_delay_alu instid0(SALU_CYCLE_1)
	s_add_nc_u64 s[14:15], s[8:9], s[12:13]
	global_load_b128 v[2:5], v0, s[14:15] scale_offset
	s_wait_xcnt 0x0
	s_add_nc_u64 s[14:15], s[10:11], s[12:13]
	s_add_nc_u64 s[12:13], s[6:7], s[12:13]
	global_load_b128 v[6:9], v0, s[14:15] scale_offset
	s_wait_loadcnt 0x1
	v_pk_mul_lo_u16 v1, v3, s5 op_sel_hi:[1,0]
	v_pk_mul_lo_u16 v2, v2, s5 op_sel_hi:[1,0]
	;; [unrolled: 1-line block ×4, first 2 shown]
	s_wait_loadcnt 0x0
	v_pk_mul_lo_u16 v3, v1, v7
	v_pk_mul_lo_u16 v2, v2, v6
	;; [unrolled: 1-line block ×4, first 2 shown]
	global_store_b128 v0, v[2:5], s[12:13] scale_offset
.LBB80_2:
	s_and_not1_b32 vcc_lo, exec_lo, s0
	s_cbranch_vccnz .LBB80_43
; %bb.3:
	v_cmp_gt_i32_e32 vcc_lo, s1, v0
	s_wait_xcnt 0x0
	v_dual_mov_b32 v3, 0 :: v_dual_bitop2_b32 v1, s2, v0 bitop3:0x54
	v_or_b32_e32 v2, 0x100, v0
	v_dual_mov_b32 v4, 0 :: v_dual_mov_b32 v5, 0
	v_mov_b32_e32 v10, v0
	s_and_saveexec_b32 s0, vcc_lo
	s_cbranch_execz .LBB80_5
; %bb.4:
	s_clause 0x1
	global_load_u16 v4, v1, s[8:9] scale_offset
	global_load_u16 v5, v1, s[10:11] scale_offset
	v_or_b32_e32 v10, 0x100, v0
.LBB80_5:
	s_wait_xcnt 0x0
	s_or_b32 exec_lo, exec_lo, s0
	v_mov_b32_e32 v7, 0
	s_mov_b32 s3, exec_lo
	v_cmpx_gt_i32_e64 s1, v10
	s_cbranch_execz .LBB80_7
; %bb.6:
	v_add_nc_u32_e32 v6, s2, v10
	v_add_nc_u32_e32 v10, 0x100, v10
	s_clause 0x1
	global_load_u16 v3, v6, s[8:9] scale_offset
	global_load_u16 v7, v6, s[10:11] scale_offset
.LBB80_7:
	s_wait_xcnt 0x0
	s_or_b32 exec_lo, exec_lo, s3
	v_dual_mov_b32 v6, 0 :: v_dual_mov_b32 v8, 0
	v_mov_b32_e32 v9, 0
	s_mov_b32 s3, exec_lo
	v_cmpx_gt_i32_e64 s1, v10
	s_cbranch_execz .LBB80_9
; %bb.8:
	v_add_nc_u32_e32 v11, s2, v10
	v_add_nc_u32_e32 v10, 0x100, v10
	s_clause 0x1
	global_load_u16 v8, v11, s[8:9] scale_offset
	global_load_u16 v9, v11, s[10:11] scale_offset
.LBB80_9:
	s_wait_xcnt 0x0
	s_or_b32 exec_lo, exec_lo, s3
	v_mov_b32_e32 v12, 0
	s_mov_b32 s3, exec_lo
	v_cmpx_gt_i32_e64 s1, v10
	s_cbranch_execz .LBB80_11
; %bb.10:
	v_add_nc_u32_e32 v11, s2, v10
	v_add_nc_u32_e32 v10, 0x100, v10
	s_clause 0x1
	global_load_u16 v6, v11, s[8:9] scale_offset
	global_load_u16 v12, v11, s[10:11] scale_offset
.LBB80_11:
	s_wait_xcnt 0x0
	s_or_b32 exec_lo, exec_lo, s3
	v_dual_mov_b32 v11, 0 :: v_dual_mov_b32 v13, 0
	v_mov_b32_e32 v14, 0
	s_mov_b32 s3, exec_lo
	v_cmpx_gt_i32_e64 s1, v10
	s_cbranch_execz .LBB80_13
; %bb.12:
	v_add_nc_u32_e32 v15, s2, v10
	v_add_nc_u32_e32 v10, 0x100, v10
	s_clause 0x1
	global_load_u16 v13, v15, s[8:9] scale_offset
	global_load_u16 v14, v15, s[10:11] scale_offset
.LBB80_13:
	;; [unrolled: 27-line block ×3, first 2 shown]
	s_wait_xcnt 0x0
	s_or_b32 exec_lo, exec_lo, s3
	v_mov_b32_e32 v19, 0
	s_mov_b32 s3, exec_lo
	v_cmpx_gt_i32_e64 s1, v10
	s_cbranch_execz .LBB80_19
; %bb.18:
	v_add_nc_u32_e32 v10, s2, v10
	s_clause 0x1
	global_load_u16 v15, v10, s[8:9] scale_offset
	global_load_u16 v19, v10, s[10:11] scale_offset
	s_wait_xcnt 0x0
	s_or_b32 exec_lo, exec_lo, s3
                                        ; implicit-def: $vgpr10
	s_and_saveexec_b32 s0, vcc_lo
	s_cbranch_execz .LBB80_21
	s_branch .LBB80_20
.LBB80_19:
	s_or_b32 exec_lo, exec_lo, s3
                                        ; implicit-def: $vgpr10
	s_and_saveexec_b32 s0, vcc_lo
	s_cbranch_execz .LBB80_21
.LBB80_20:
	s_wait_loadcnt 0x1
	v_mul_lo_u16 v4, v4, s5
	s_wait_loadcnt 0x0
	s_delay_alu instid0(VALU_DEP_1)
	v_mul_lo_u16 v10, v4, v5
.LBB80_21:
	s_or_b32 exec_lo, exec_lo, s0
	s_delay_alu instid0(SALU_CYCLE_1)
	s_mov_b32 s3, exec_lo
                                        ; implicit-def: $vgpr4
	v_cmpx_gt_i32_e64 s1, v2
	s_cbranch_execz .LBB80_23
; %bb.22:
	s_wait_loadcnt 0x1
	v_mul_lo_u16 v3, v3, s5
	s_wait_loadcnt 0x0
	s_delay_alu instid0(VALU_DEP_1)
	v_mul_lo_u16 v4, v3, v7
.LBB80_23:
	s_or_b32 exec_lo, exec_lo, s3
	s_wait_loadcnt 0x1
	v_or_b32_e32 v3, 0x200, v0
	s_delay_alu instid0(VALU_DEP_1)
	v_cmp_gt_i32_e64 s0, s1, v3
                                        ; implicit-def: $vgpr3
	s_and_saveexec_b32 s3, s0
	s_cbranch_execz .LBB80_25
; %bb.24:
	v_mul_lo_u16 v3, v8, s5
	s_wait_loadcnt 0x0
	s_delay_alu instid0(VALU_DEP_1)
	v_mul_lo_u16 v3, v3, v9
.LBB80_25:
	s_or_b32 exec_lo, exec_lo, s3
	s_wait_loadcnt 0x0
	v_or_b32_e32 v5, 0x300, v0
	s_delay_alu instid0(VALU_DEP_1)
	v_cmp_gt_i32_e64 s0, s1, v5
                                        ; implicit-def: $vgpr5
	s_and_saveexec_b32 s3, s0
; %bb.26:
	v_mul_lo_u16 v5, v6, s5
	s_delay_alu instid0(VALU_DEP_1)
	v_mul_lo_u16 v5, v5, v12
; %bb.27:
	s_or_b32 exec_lo, exec_lo, s3
	v_or_b32_e32 v6, 0x400, v0
	s_delay_alu instid0(VALU_DEP_1)
	v_cmp_gt_i32_e64 s0, s1, v6
                                        ; implicit-def: $vgpr6
	s_and_saveexec_b32 s3, s0
; %bb.28:
	v_mul_lo_u16 v6, v13, s5
	s_delay_alu instid0(VALU_DEP_1)
	v_mul_lo_u16 v6, v6, v14
; %bb.29:
	s_or_b32 exec_lo, exec_lo, s3
	v_or_b32_e32 v7, 0x500, v0
	s_delay_alu instid0(VALU_DEP_1)
	v_cmp_gt_i32_e64 s0, s1, v7
                                        ; implicit-def: $vgpr7
	s_and_saveexec_b32 s3, s0
; %bb.30:
	v_mul_lo_u16 v7, v11, s5
	s_delay_alu instid0(VALU_DEP_1)
	v_mul_lo_u16 v7, v7, v16
; %bb.31:
	s_or_b32 exec_lo, exec_lo, s3
	v_or_b32_e32 v8, 0x600, v0
	s_delay_alu instid0(VALU_DEP_1)
	v_cmp_gt_i32_e64 s0, s1, v8
                                        ; implicit-def: $vgpr8
	s_and_saveexec_b32 s3, s0
; %bb.32:
	v_mul_lo_u16 v8, v17, s5
	s_delay_alu instid0(VALU_DEP_1)
	v_mul_lo_u16 v8, v8, v18
; %bb.33:
	s_or_b32 exec_lo, exec_lo, s3
	v_or_b32_e32 v9, 0x700, v0
	s_delay_alu instid0(VALU_DEP_1)
	v_cmp_gt_i32_e64 s0, s1, v9
                                        ; implicit-def: $vgpr9
	s_and_saveexec_b32 s3, s0
	s_cbranch_execz .LBB80_44
; %bb.34:
	v_mul_lo_u16 v9, v15, s5
	s_delay_alu instid0(VALU_DEP_1) | instskip(SKIP_2) | instid1(SALU_CYCLE_1)
	v_mul_lo_u16 v9, v9, v19
	s_or_b32 exec_lo, exec_lo, s3
	s_and_saveexec_b32 s0, vcc_lo
	s_xor_b32 s0, exec_lo, s0
	s_cbranch_execnz .LBB80_45
.LBB80_35:
	s_or_b32 exec_lo, exec_lo, s0
	s_delay_alu instid0(SALU_CYCLE_1)
	s_mov_b32 s0, exec_lo
	v_cmpx_gt_i32_e64 s1, v0
	s_cbranch_execz .LBB80_46
.LBB80_36:
	v_add_nc_u32_e32 v1, s2, v0
	v_add_nc_u32_e32 v0, 0x100, v0
	global_store_b16 v1, v4, s[6:7] scale_offset
	s_wait_xcnt 0x0
	s_or_b32 exec_lo, exec_lo, s0
	s_delay_alu instid0(SALU_CYCLE_1)
	s_mov_b32 s0, exec_lo
	v_cmpx_gt_i32_e64 s1, v0
	s_cbranch_execnz .LBB80_47
.LBB80_37:
	s_or_b32 exec_lo, exec_lo, s0
	s_delay_alu instid0(SALU_CYCLE_1)
	s_mov_b32 s0, exec_lo
	v_cmpx_gt_i32_e64 s1, v0
	s_cbranch_execz .LBB80_48
.LBB80_38:
	v_add_nc_u32_e32 v1, s2, v0
	v_add_nc_u32_e32 v0, 0x100, v0
	global_store_b16 v1, v5, s[6:7] scale_offset
	s_wait_xcnt 0x0
	s_or_b32 exec_lo, exec_lo, s0
	s_delay_alu instid0(SALU_CYCLE_1)
	s_mov_b32 s0, exec_lo
	v_cmpx_gt_i32_e64 s1, v0
	s_cbranch_execnz .LBB80_49
.LBB80_39:
	s_or_b32 exec_lo, exec_lo, s0
	s_delay_alu instid0(SALU_CYCLE_1)
	s_mov_b32 s0, exec_lo
	v_cmpx_gt_i32_e64 s1, v0
	s_cbranch_execz .LBB80_50
.LBB80_40:
	v_add_nc_u32_e32 v1, s2, v0
	v_add_nc_u32_e32 v0, 0x100, v0
	global_store_b16 v1, v7, s[6:7] scale_offset
	s_wait_xcnt 0x0
	s_or_b32 exec_lo, exec_lo, s0
	s_delay_alu instid0(SALU_CYCLE_1)
	s_mov_b32 s0, exec_lo
	v_cmpx_gt_i32_e64 s1, v0
	s_cbranch_execnz .LBB80_51
.LBB80_41:
	s_or_b32 exec_lo, exec_lo, s0
	s_delay_alu instid0(SALU_CYCLE_1)
	s_mov_b32 s0, exec_lo
	v_cmpx_gt_i32_e64 s1, v0
	s_cbranch_execz .LBB80_43
.LBB80_42:
	v_add_nc_u32_e32 v0, s2, v0
	global_store_b16 v0, v9, s[6:7] scale_offset
.LBB80_43:
	s_endpgm
.LBB80_44:
	s_or_b32 exec_lo, exec_lo, s3
	s_and_saveexec_b32 s0, vcc_lo
	s_delay_alu instid0(SALU_CYCLE_1)
	s_xor_b32 s0, exec_lo, s0
	s_cbranch_execz .LBB80_35
.LBB80_45:
	v_mov_b32_e32 v0, v2
	global_store_b16 v1, v10, s[6:7] scale_offset
	s_wait_xcnt 0x0
	s_or_b32 exec_lo, exec_lo, s0
	s_delay_alu instid0(SALU_CYCLE_1)
	s_mov_b32 s0, exec_lo
	v_cmpx_gt_i32_e64 s1, v0
	s_cbranch_execnz .LBB80_36
.LBB80_46:
	s_or_b32 exec_lo, exec_lo, s0
	s_delay_alu instid0(SALU_CYCLE_1)
	s_mov_b32 s0, exec_lo
	v_cmpx_gt_i32_e64 s1, v0
	s_cbranch_execz .LBB80_37
.LBB80_47:
	v_add_nc_u32_e32 v1, s2, v0
	v_add_nc_u32_e32 v0, 0x100, v0
	global_store_b16 v1, v3, s[6:7] scale_offset
	s_wait_xcnt 0x0
	s_or_b32 exec_lo, exec_lo, s0
	s_delay_alu instid0(SALU_CYCLE_1)
	s_mov_b32 s0, exec_lo
	v_cmpx_gt_i32_e64 s1, v0
	s_cbranch_execnz .LBB80_38
.LBB80_48:
	s_or_b32 exec_lo, exec_lo, s0
	s_delay_alu instid0(SALU_CYCLE_1)
	s_mov_b32 s0, exec_lo
	v_cmpx_gt_i32_e64 s1, v0
	s_cbranch_execz .LBB80_39
.LBB80_49:
	v_add_nc_u32_e32 v1, s2, v0
	v_add_nc_u32_e32 v0, 0x100, v0
	global_store_b16 v1, v6, s[6:7] scale_offset
	s_wait_xcnt 0x0
	s_or_b32 exec_lo, exec_lo, s0
	s_delay_alu instid0(SALU_CYCLE_1)
	s_mov_b32 s0, exec_lo
	v_cmpx_gt_i32_e64 s1, v0
	s_cbranch_execnz .LBB80_40
.LBB80_50:
	s_or_b32 exec_lo, exec_lo, s0
	s_delay_alu instid0(SALU_CYCLE_1)
	s_mov_b32 s0, exec_lo
	v_cmpx_gt_i32_e64 s1, v0
	s_cbranch_execz .LBB80_41
.LBB80_51:
	v_add_nc_u32_e32 v1, s2, v0
	v_add_nc_u32_e32 v0, 0x100, v0
	global_store_b16 v1, v8, s[6:7] scale_offset
	s_wait_xcnt 0x0
	s_or_b32 exec_lo, exec_lo, s0
	s_delay_alu instid0(SALU_CYCLE_1)
	s_mov_b32 s0, exec_lo
	v_cmpx_gt_i32_e64 s1, v0
	s_cbranch_execnz .LBB80_42
	s_branch .LBB80_43
	.section	.rodata,"a",@progbits
	.p2align	6, 0x0
	.amdhsa_kernel _ZN2at6native29vectorized_elementwise_kernelILi16EZZZNS0_12_GLOBAL__N_116addr_kernel_cudaERNS_14TensorIteratorERKN3c106ScalarES8_ENKUlvE_clEvENKUlvE3_clEvEUlsssE_St5arrayIPcLm4EEEEviT0_T1_
		.amdhsa_group_segment_fixed_size 0
		.amdhsa_private_segment_fixed_size 0
		.amdhsa_kernarg_size 40
		.amdhsa_user_sgpr_count 2
		.amdhsa_user_sgpr_dispatch_ptr 0
		.amdhsa_user_sgpr_queue_ptr 0
		.amdhsa_user_sgpr_kernarg_segment_ptr 1
		.amdhsa_user_sgpr_dispatch_id 0
		.amdhsa_user_sgpr_kernarg_preload_length 0
		.amdhsa_user_sgpr_kernarg_preload_offset 0
		.amdhsa_user_sgpr_private_segment_size 0
		.amdhsa_wavefront_size32 1
		.amdhsa_uses_dynamic_stack 0
		.amdhsa_enable_private_segment 0
		.amdhsa_system_sgpr_workgroup_id_x 1
		.amdhsa_system_sgpr_workgroup_id_y 0
		.amdhsa_system_sgpr_workgroup_id_z 0
		.amdhsa_system_sgpr_workgroup_info 0
		.amdhsa_system_vgpr_workitem_id 0
		.amdhsa_next_free_vgpr 20
		.amdhsa_next_free_sgpr 16
		.amdhsa_named_barrier_count 0
		.amdhsa_reserve_vcc 1
		.amdhsa_float_round_mode_32 0
		.amdhsa_float_round_mode_16_64 0
		.amdhsa_float_denorm_mode_32 3
		.amdhsa_float_denorm_mode_16_64 3
		.amdhsa_fp16_overflow 0
		.amdhsa_memory_ordered 1
		.amdhsa_forward_progress 1
		.amdhsa_inst_pref_size 15
		.amdhsa_round_robin_scheduling 0
		.amdhsa_exception_fp_ieee_invalid_op 0
		.amdhsa_exception_fp_denorm_src 0
		.amdhsa_exception_fp_ieee_div_zero 0
		.amdhsa_exception_fp_ieee_overflow 0
		.amdhsa_exception_fp_ieee_underflow 0
		.amdhsa_exception_fp_ieee_inexact 0
		.amdhsa_exception_int_div_zero 0
	.end_amdhsa_kernel
	.section	.text._ZN2at6native29vectorized_elementwise_kernelILi16EZZZNS0_12_GLOBAL__N_116addr_kernel_cudaERNS_14TensorIteratorERKN3c106ScalarES8_ENKUlvE_clEvENKUlvE3_clEvEUlsssE_St5arrayIPcLm4EEEEviT0_T1_,"axG",@progbits,_ZN2at6native29vectorized_elementwise_kernelILi16EZZZNS0_12_GLOBAL__N_116addr_kernel_cudaERNS_14TensorIteratorERKN3c106ScalarES8_ENKUlvE_clEvENKUlvE3_clEvEUlsssE_St5arrayIPcLm4EEEEviT0_T1_,comdat
.Lfunc_end80:
	.size	_ZN2at6native29vectorized_elementwise_kernelILi16EZZZNS0_12_GLOBAL__N_116addr_kernel_cudaERNS_14TensorIteratorERKN3c106ScalarES8_ENKUlvE_clEvENKUlvE3_clEvEUlsssE_St5arrayIPcLm4EEEEviT0_T1_, .Lfunc_end80-_ZN2at6native29vectorized_elementwise_kernelILi16EZZZNS0_12_GLOBAL__N_116addr_kernel_cudaERNS_14TensorIteratorERKN3c106ScalarES8_ENKUlvE_clEvENKUlvE3_clEvEUlsssE_St5arrayIPcLm4EEEEviT0_T1_
                                        ; -- End function
	.set _ZN2at6native29vectorized_elementwise_kernelILi16EZZZNS0_12_GLOBAL__N_116addr_kernel_cudaERNS_14TensorIteratorERKN3c106ScalarES8_ENKUlvE_clEvENKUlvE3_clEvEUlsssE_St5arrayIPcLm4EEEEviT0_T1_.num_vgpr, 20
	.set _ZN2at6native29vectorized_elementwise_kernelILi16EZZZNS0_12_GLOBAL__N_116addr_kernel_cudaERNS_14TensorIteratorERKN3c106ScalarES8_ENKUlvE_clEvENKUlvE3_clEvEUlsssE_St5arrayIPcLm4EEEEviT0_T1_.num_agpr, 0
	.set _ZN2at6native29vectorized_elementwise_kernelILi16EZZZNS0_12_GLOBAL__N_116addr_kernel_cudaERNS_14TensorIteratorERKN3c106ScalarES8_ENKUlvE_clEvENKUlvE3_clEvEUlsssE_St5arrayIPcLm4EEEEviT0_T1_.numbered_sgpr, 16
	.set _ZN2at6native29vectorized_elementwise_kernelILi16EZZZNS0_12_GLOBAL__N_116addr_kernel_cudaERNS_14TensorIteratorERKN3c106ScalarES8_ENKUlvE_clEvENKUlvE3_clEvEUlsssE_St5arrayIPcLm4EEEEviT0_T1_.num_named_barrier, 0
	.set _ZN2at6native29vectorized_elementwise_kernelILi16EZZZNS0_12_GLOBAL__N_116addr_kernel_cudaERNS_14TensorIteratorERKN3c106ScalarES8_ENKUlvE_clEvENKUlvE3_clEvEUlsssE_St5arrayIPcLm4EEEEviT0_T1_.private_seg_size, 0
	.set _ZN2at6native29vectorized_elementwise_kernelILi16EZZZNS0_12_GLOBAL__N_116addr_kernel_cudaERNS_14TensorIteratorERKN3c106ScalarES8_ENKUlvE_clEvENKUlvE3_clEvEUlsssE_St5arrayIPcLm4EEEEviT0_T1_.uses_vcc, 1
	.set _ZN2at6native29vectorized_elementwise_kernelILi16EZZZNS0_12_GLOBAL__N_116addr_kernel_cudaERNS_14TensorIteratorERKN3c106ScalarES8_ENKUlvE_clEvENKUlvE3_clEvEUlsssE_St5arrayIPcLm4EEEEviT0_T1_.uses_flat_scratch, 0
	.set _ZN2at6native29vectorized_elementwise_kernelILi16EZZZNS0_12_GLOBAL__N_116addr_kernel_cudaERNS_14TensorIteratorERKN3c106ScalarES8_ENKUlvE_clEvENKUlvE3_clEvEUlsssE_St5arrayIPcLm4EEEEviT0_T1_.has_dyn_sized_stack, 0
	.set _ZN2at6native29vectorized_elementwise_kernelILi16EZZZNS0_12_GLOBAL__N_116addr_kernel_cudaERNS_14TensorIteratorERKN3c106ScalarES8_ENKUlvE_clEvENKUlvE3_clEvEUlsssE_St5arrayIPcLm4EEEEviT0_T1_.has_recursion, 0
	.set _ZN2at6native29vectorized_elementwise_kernelILi16EZZZNS0_12_GLOBAL__N_116addr_kernel_cudaERNS_14TensorIteratorERKN3c106ScalarES8_ENKUlvE_clEvENKUlvE3_clEvEUlsssE_St5arrayIPcLm4EEEEviT0_T1_.has_indirect_call, 0
	.section	.AMDGPU.csdata,"",@progbits
; Kernel info:
; codeLenInByte = 1836
; TotalNumSgprs: 18
; NumVgprs: 20
; ScratchSize: 0
; MemoryBound: 0
; FloatMode: 240
; IeeeMode: 1
; LDSByteSize: 0 bytes/workgroup (compile time only)
; SGPRBlocks: 0
; VGPRBlocks: 1
; NumSGPRsForWavesPerEU: 18
; NumVGPRsForWavesPerEU: 20
; NamedBarCnt: 0
; Occupancy: 16
; WaveLimiterHint : 0
; COMPUTE_PGM_RSRC2:SCRATCH_EN: 0
; COMPUTE_PGM_RSRC2:USER_SGPR: 2
; COMPUTE_PGM_RSRC2:TRAP_HANDLER: 0
; COMPUTE_PGM_RSRC2:TGID_X_EN: 1
; COMPUTE_PGM_RSRC2:TGID_Y_EN: 0
; COMPUTE_PGM_RSRC2:TGID_Z_EN: 0
; COMPUTE_PGM_RSRC2:TIDIG_COMP_CNT: 0
	.section	.text._ZN2at6native29vectorized_elementwise_kernelILi8EZZZNS0_12_GLOBAL__N_116addr_kernel_cudaERNS_14TensorIteratorERKN3c106ScalarES8_ENKUlvE_clEvENKUlvE3_clEvEUlsssE_St5arrayIPcLm4EEEEviT0_T1_,"axG",@progbits,_ZN2at6native29vectorized_elementwise_kernelILi8EZZZNS0_12_GLOBAL__N_116addr_kernel_cudaERNS_14TensorIteratorERKN3c106ScalarES8_ENKUlvE_clEvENKUlvE3_clEvEUlsssE_St5arrayIPcLm4EEEEviT0_T1_,comdat
	.globl	_ZN2at6native29vectorized_elementwise_kernelILi8EZZZNS0_12_GLOBAL__N_116addr_kernel_cudaERNS_14TensorIteratorERKN3c106ScalarES8_ENKUlvE_clEvENKUlvE3_clEvEUlsssE_St5arrayIPcLm4EEEEviT0_T1_ ; -- Begin function _ZN2at6native29vectorized_elementwise_kernelILi8EZZZNS0_12_GLOBAL__N_116addr_kernel_cudaERNS_14TensorIteratorERKN3c106ScalarES8_ENKUlvE_clEvENKUlvE3_clEvEUlsssE_St5arrayIPcLm4EEEEviT0_T1_
	.p2align	8
	.type	_ZN2at6native29vectorized_elementwise_kernelILi8EZZZNS0_12_GLOBAL__N_116addr_kernel_cudaERNS_14TensorIteratorERKN3c106ScalarES8_ENKUlvE_clEvENKUlvE3_clEvEUlsssE_St5arrayIPcLm4EEEEviT0_T1_,@function
_ZN2at6native29vectorized_elementwise_kernelILi8EZZZNS0_12_GLOBAL__N_116addr_kernel_cudaERNS_14TensorIteratorERKN3c106ScalarES8_ENKUlvE_clEvENKUlvE3_clEvEUlsssE_St5arrayIPcLm4EEEEviT0_T1_: ; @_ZN2at6native29vectorized_elementwise_kernelILi8EZZZNS0_12_GLOBAL__N_116addr_kernel_cudaERNS_14TensorIteratorERKN3c106ScalarES8_ENKUlvE_clEvENKUlvE3_clEvEUlsssE_St5arrayIPcLm4EEEEviT0_T1_
; %bb.0:
	s_clause 0x1
	s_load_b128 s[4:7], s[0:1], 0x0
	s_load_b128 s[8:11], s[0:1], 0x18
	s_wait_xcnt 0x0
	s_bfe_u32 s0, ttmp6, 0x4000c
	s_and_b32 s1, ttmp6, 15
	s_add_co_i32 s0, s0, 1
	s_getreg_b32 s2, hwreg(HW_REG_IB_STS2, 6, 4)
	s_mul_i32 s0, ttmp9, s0
	s_delay_alu instid0(SALU_CYCLE_1) | instskip(SKIP_2) | instid1(SALU_CYCLE_1)
	s_add_co_i32 s1, s1, s0
	s_cmp_eq_u32 s2, 0
	s_cselect_b32 s0, ttmp9, s1
	s_lshl_b32 s2, s0, 11
	s_mov_b32 s0, -1
	s_wait_kmcnt 0x0
	s_sub_co_i32 s1, s4, s2
	s_delay_alu instid0(SALU_CYCLE_1)
	s_cmp_gt_i32 s1, 0x7ff
	s_cbranch_scc0 .LBB81_2
; %bb.1:
	s_ashr_i32 s3, s2, 31
	s_mov_b32 s0, 0
	s_lshl_b64 s[12:13], s[2:3], 1
	s_delay_alu instid0(SALU_CYCLE_1)
	s_add_nc_u64 s[14:15], s[8:9], s[12:13]
	global_load_b128 v[2:5], v0, s[14:15] scale_offset
	s_wait_xcnt 0x0
	s_add_nc_u64 s[14:15], s[10:11], s[12:13]
	s_add_nc_u64 s[12:13], s[6:7], s[12:13]
	global_load_b128 v[6:9], v0, s[14:15] scale_offset
	s_wait_loadcnt 0x1
	v_pk_mul_lo_u16 v1, v3, s5 op_sel_hi:[1,0]
	v_pk_mul_lo_u16 v2, v2, s5 op_sel_hi:[1,0]
	;; [unrolled: 1-line block ×4, first 2 shown]
	s_wait_loadcnt 0x0
	v_pk_mul_lo_u16 v3, v1, v7
	v_pk_mul_lo_u16 v2, v2, v6
	;; [unrolled: 1-line block ×4, first 2 shown]
	global_store_b128 v0, v[2:5], s[12:13] scale_offset
.LBB81_2:
	s_and_not1_b32 vcc_lo, exec_lo, s0
	s_cbranch_vccnz .LBB81_43
; %bb.3:
	v_cmp_gt_i32_e32 vcc_lo, s1, v0
	s_wait_xcnt 0x0
	v_dual_mov_b32 v3, 0 :: v_dual_bitop2_b32 v1, s2, v0 bitop3:0x54
	v_or_b32_e32 v2, 0x100, v0
	v_dual_mov_b32 v4, 0 :: v_dual_mov_b32 v5, 0
	v_mov_b32_e32 v10, v0
	s_and_saveexec_b32 s0, vcc_lo
	s_cbranch_execz .LBB81_5
; %bb.4:
	s_clause 0x1
	global_load_u16 v4, v1, s[8:9] scale_offset
	global_load_u16 v5, v1, s[10:11] scale_offset
	v_or_b32_e32 v10, 0x100, v0
.LBB81_5:
	s_wait_xcnt 0x0
	s_or_b32 exec_lo, exec_lo, s0
	v_mov_b32_e32 v7, 0
	s_mov_b32 s3, exec_lo
	v_cmpx_gt_i32_e64 s1, v10
	s_cbranch_execz .LBB81_7
; %bb.6:
	v_add_nc_u32_e32 v6, s2, v10
	v_add_nc_u32_e32 v10, 0x100, v10
	s_clause 0x1
	global_load_u16 v3, v6, s[8:9] scale_offset
	global_load_u16 v7, v6, s[10:11] scale_offset
.LBB81_7:
	s_wait_xcnt 0x0
	s_or_b32 exec_lo, exec_lo, s3
	v_dual_mov_b32 v6, 0 :: v_dual_mov_b32 v8, 0
	v_mov_b32_e32 v9, 0
	s_mov_b32 s3, exec_lo
	v_cmpx_gt_i32_e64 s1, v10
	s_cbranch_execz .LBB81_9
; %bb.8:
	v_add_nc_u32_e32 v11, s2, v10
	v_add_nc_u32_e32 v10, 0x100, v10
	s_clause 0x1
	global_load_u16 v8, v11, s[8:9] scale_offset
	global_load_u16 v9, v11, s[10:11] scale_offset
.LBB81_9:
	s_wait_xcnt 0x0
	s_or_b32 exec_lo, exec_lo, s3
	v_mov_b32_e32 v12, 0
	s_mov_b32 s3, exec_lo
	v_cmpx_gt_i32_e64 s1, v10
	s_cbranch_execz .LBB81_11
; %bb.10:
	v_add_nc_u32_e32 v11, s2, v10
	v_add_nc_u32_e32 v10, 0x100, v10
	s_clause 0x1
	global_load_u16 v6, v11, s[8:9] scale_offset
	global_load_u16 v12, v11, s[10:11] scale_offset
.LBB81_11:
	s_wait_xcnt 0x0
	s_or_b32 exec_lo, exec_lo, s3
	v_dual_mov_b32 v11, 0 :: v_dual_mov_b32 v13, 0
	v_mov_b32_e32 v14, 0
	s_mov_b32 s3, exec_lo
	v_cmpx_gt_i32_e64 s1, v10
	s_cbranch_execz .LBB81_13
; %bb.12:
	v_add_nc_u32_e32 v15, s2, v10
	v_add_nc_u32_e32 v10, 0x100, v10
	s_clause 0x1
	global_load_u16 v13, v15, s[8:9] scale_offset
	global_load_u16 v14, v15, s[10:11] scale_offset
.LBB81_13:
	s_wait_xcnt 0x0
	s_or_b32 exec_lo, exec_lo, s3
	v_mov_b32_e32 v16, 0
	s_mov_b32 s3, exec_lo
	v_cmpx_gt_i32_e64 s1, v10
	s_cbranch_execz .LBB81_15
; %bb.14:
	v_add_nc_u32_e32 v15, s2, v10
	v_add_nc_u32_e32 v10, 0x100, v10
	s_clause 0x1
	global_load_u16 v11, v15, s[8:9] scale_offset
	global_load_u16 v16, v15, s[10:11] scale_offset
.LBB81_15:
	s_wait_xcnt 0x0
	s_or_b32 exec_lo, exec_lo, s3
	v_dual_mov_b32 v15, 0 :: v_dual_mov_b32 v17, 0
	v_mov_b32_e32 v18, 0
	s_mov_b32 s3, exec_lo
	v_cmpx_gt_i32_e64 s1, v10
	s_cbranch_execz .LBB81_17
; %bb.16:
	v_add_nc_u32_e32 v19, s2, v10
	v_add_nc_u32_e32 v10, 0x100, v10
	s_clause 0x1
	global_load_u16 v17, v19, s[8:9] scale_offset
	global_load_u16 v18, v19, s[10:11] scale_offset
.LBB81_17:
	s_wait_xcnt 0x0
	s_or_b32 exec_lo, exec_lo, s3
	v_mov_b32_e32 v19, 0
	s_mov_b32 s3, exec_lo
	v_cmpx_gt_i32_e64 s1, v10
	s_cbranch_execz .LBB81_19
; %bb.18:
	v_add_nc_u32_e32 v10, s2, v10
	s_clause 0x1
	global_load_u16 v15, v10, s[8:9] scale_offset
	global_load_u16 v19, v10, s[10:11] scale_offset
	s_wait_xcnt 0x0
	s_or_b32 exec_lo, exec_lo, s3
                                        ; implicit-def: $vgpr10
	s_and_saveexec_b32 s0, vcc_lo
	s_cbranch_execz .LBB81_21
	s_branch .LBB81_20
.LBB81_19:
	s_or_b32 exec_lo, exec_lo, s3
                                        ; implicit-def: $vgpr10
	s_and_saveexec_b32 s0, vcc_lo
	s_cbranch_execz .LBB81_21
.LBB81_20:
	s_wait_loadcnt 0x1
	v_mul_lo_u16 v4, v4, s5
	s_wait_loadcnt 0x0
	s_delay_alu instid0(VALU_DEP_1)
	v_mul_lo_u16 v10, v4, v5
.LBB81_21:
	s_or_b32 exec_lo, exec_lo, s0
	s_delay_alu instid0(SALU_CYCLE_1)
	s_mov_b32 s3, exec_lo
                                        ; implicit-def: $vgpr4
	v_cmpx_gt_i32_e64 s1, v2
	s_cbranch_execz .LBB81_23
; %bb.22:
	s_wait_loadcnt 0x1
	v_mul_lo_u16 v3, v3, s5
	s_wait_loadcnt 0x0
	s_delay_alu instid0(VALU_DEP_1)
	v_mul_lo_u16 v4, v3, v7
.LBB81_23:
	s_or_b32 exec_lo, exec_lo, s3
	s_wait_loadcnt 0x1
	v_or_b32_e32 v3, 0x200, v0
	s_delay_alu instid0(VALU_DEP_1)
	v_cmp_gt_i32_e64 s0, s1, v3
                                        ; implicit-def: $vgpr3
	s_and_saveexec_b32 s3, s0
	s_cbranch_execz .LBB81_25
; %bb.24:
	v_mul_lo_u16 v3, v8, s5
	s_wait_loadcnt 0x0
	s_delay_alu instid0(VALU_DEP_1)
	v_mul_lo_u16 v3, v3, v9
.LBB81_25:
	s_or_b32 exec_lo, exec_lo, s3
	s_wait_loadcnt 0x0
	v_or_b32_e32 v5, 0x300, v0
	s_delay_alu instid0(VALU_DEP_1)
	v_cmp_gt_i32_e64 s0, s1, v5
                                        ; implicit-def: $vgpr5
	s_and_saveexec_b32 s3, s0
; %bb.26:
	v_mul_lo_u16 v5, v6, s5
	s_delay_alu instid0(VALU_DEP_1)
	v_mul_lo_u16 v5, v5, v12
; %bb.27:
	s_or_b32 exec_lo, exec_lo, s3
	v_or_b32_e32 v6, 0x400, v0
	s_delay_alu instid0(VALU_DEP_1)
	v_cmp_gt_i32_e64 s0, s1, v6
                                        ; implicit-def: $vgpr6
	s_and_saveexec_b32 s3, s0
; %bb.28:
	v_mul_lo_u16 v6, v13, s5
	s_delay_alu instid0(VALU_DEP_1)
	v_mul_lo_u16 v6, v6, v14
; %bb.29:
	s_or_b32 exec_lo, exec_lo, s3
	v_or_b32_e32 v7, 0x500, v0
	s_delay_alu instid0(VALU_DEP_1)
	v_cmp_gt_i32_e64 s0, s1, v7
                                        ; implicit-def: $vgpr7
	s_and_saveexec_b32 s3, s0
; %bb.30:
	v_mul_lo_u16 v7, v11, s5
	s_delay_alu instid0(VALU_DEP_1)
	v_mul_lo_u16 v7, v7, v16
; %bb.31:
	s_or_b32 exec_lo, exec_lo, s3
	v_or_b32_e32 v8, 0x600, v0
	s_delay_alu instid0(VALU_DEP_1)
	v_cmp_gt_i32_e64 s0, s1, v8
                                        ; implicit-def: $vgpr8
	s_and_saveexec_b32 s3, s0
; %bb.32:
	v_mul_lo_u16 v8, v17, s5
	s_delay_alu instid0(VALU_DEP_1)
	v_mul_lo_u16 v8, v8, v18
; %bb.33:
	s_or_b32 exec_lo, exec_lo, s3
	v_or_b32_e32 v9, 0x700, v0
	s_delay_alu instid0(VALU_DEP_1)
	v_cmp_gt_i32_e64 s0, s1, v9
                                        ; implicit-def: $vgpr9
	s_and_saveexec_b32 s3, s0
	s_cbranch_execz .LBB81_44
; %bb.34:
	v_mul_lo_u16 v9, v15, s5
	s_delay_alu instid0(VALU_DEP_1) | instskip(SKIP_2) | instid1(SALU_CYCLE_1)
	v_mul_lo_u16 v9, v9, v19
	s_or_b32 exec_lo, exec_lo, s3
	s_and_saveexec_b32 s0, vcc_lo
	s_xor_b32 s0, exec_lo, s0
	s_cbranch_execnz .LBB81_45
.LBB81_35:
	s_or_b32 exec_lo, exec_lo, s0
	s_delay_alu instid0(SALU_CYCLE_1)
	s_mov_b32 s0, exec_lo
	v_cmpx_gt_i32_e64 s1, v0
	s_cbranch_execz .LBB81_46
.LBB81_36:
	v_add_nc_u32_e32 v1, s2, v0
	v_add_nc_u32_e32 v0, 0x100, v0
	global_store_b16 v1, v4, s[6:7] scale_offset
	s_wait_xcnt 0x0
	s_or_b32 exec_lo, exec_lo, s0
	s_delay_alu instid0(SALU_CYCLE_1)
	s_mov_b32 s0, exec_lo
	v_cmpx_gt_i32_e64 s1, v0
	s_cbranch_execnz .LBB81_47
.LBB81_37:
	s_or_b32 exec_lo, exec_lo, s0
	s_delay_alu instid0(SALU_CYCLE_1)
	s_mov_b32 s0, exec_lo
	v_cmpx_gt_i32_e64 s1, v0
	s_cbranch_execz .LBB81_48
.LBB81_38:
	v_add_nc_u32_e32 v1, s2, v0
	v_add_nc_u32_e32 v0, 0x100, v0
	global_store_b16 v1, v5, s[6:7] scale_offset
	s_wait_xcnt 0x0
	s_or_b32 exec_lo, exec_lo, s0
	s_delay_alu instid0(SALU_CYCLE_1)
	s_mov_b32 s0, exec_lo
	v_cmpx_gt_i32_e64 s1, v0
	s_cbranch_execnz .LBB81_49
.LBB81_39:
	s_or_b32 exec_lo, exec_lo, s0
	s_delay_alu instid0(SALU_CYCLE_1)
	s_mov_b32 s0, exec_lo
	v_cmpx_gt_i32_e64 s1, v0
	s_cbranch_execz .LBB81_50
.LBB81_40:
	v_add_nc_u32_e32 v1, s2, v0
	v_add_nc_u32_e32 v0, 0x100, v0
	global_store_b16 v1, v7, s[6:7] scale_offset
	s_wait_xcnt 0x0
	s_or_b32 exec_lo, exec_lo, s0
	s_delay_alu instid0(SALU_CYCLE_1)
	s_mov_b32 s0, exec_lo
	v_cmpx_gt_i32_e64 s1, v0
	s_cbranch_execnz .LBB81_51
.LBB81_41:
	s_or_b32 exec_lo, exec_lo, s0
	s_delay_alu instid0(SALU_CYCLE_1)
	s_mov_b32 s0, exec_lo
	v_cmpx_gt_i32_e64 s1, v0
	s_cbranch_execz .LBB81_43
.LBB81_42:
	v_add_nc_u32_e32 v0, s2, v0
	global_store_b16 v0, v9, s[6:7] scale_offset
.LBB81_43:
	s_endpgm
.LBB81_44:
	s_or_b32 exec_lo, exec_lo, s3
	s_and_saveexec_b32 s0, vcc_lo
	s_delay_alu instid0(SALU_CYCLE_1)
	s_xor_b32 s0, exec_lo, s0
	s_cbranch_execz .LBB81_35
.LBB81_45:
	v_mov_b32_e32 v0, v2
	global_store_b16 v1, v10, s[6:7] scale_offset
	s_wait_xcnt 0x0
	s_or_b32 exec_lo, exec_lo, s0
	s_delay_alu instid0(SALU_CYCLE_1)
	s_mov_b32 s0, exec_lo
	v_cmpx_gt_i32_e64 s1, v0
	s_cbranch_execnz .LBB81_36
.LBB81_46:
	s_or_b32 exec_lo, exec_lo, s0
	s_delay_alu instid0(SALU_CYCLE_1)
	s_mov_b32 s0, exec_lo
	v_cmpx_gt_i32_e64 s1, v0
	s_cbranch_execz .LBB81_37
.LBB81_47:
	v_add_nc_u32_e32 v1, s2, v0
	v_add_nc_u32_e32 v0, 0x100, v0
	global_store_b16 v1, v3, s[6:7] scale_offset
	s_wait_xcnt 0x0
	s_or_b32 exec_lo, exec_lo, s0
	s_delay_alu instid0(SALU_CYCLE_1)
	s_mov_b32 s0, exec_lo
	v_cmpx_gt_i32_e64 s1, v0
	s_cbranch_execnz .LBB81_38
.LBB81_48:
	s_or_b32 exec_lo, exec_lo, s0
	s_delay_alu instid0(SALU_CYCLE_1)
	s_mov_b32 s0, exec_lo
	v_cmpx_gt_i32_e64 s1, v0
	s_cbranch_execz .LBB81_39
.LBB81_49:
	v_add_nc_u32_e32 v1, s2, v0
	v_add_nc_u32_e32 v0, 0x100, v0
	global_store_b16 v1, v6, s[6:7] scale_offset
	s_wait_xcnt 0x0
	s_or_b32 exec_lo, exec_lo, s0
	s_delay_alu instid0(SALU_CYCLE_1)
	s_mov_b32 s0, exec_lo
	v_cmpx_gt_i32_e64 s1, v0
	s_cbranch_execnz .LBB81_40
.LBB81_50:
	s_or_b32 exec_lo, exec_lo, s0
	s_delay_alu instid0(SALU_CYCLE_1)
	s_mov_b32 s0, exec_lo
	v_cmpx_gt_i32_e64 s1, v0
	s_cbranch_execz .LBB81_41
.LBB81_51:
	v_add_nc_u32_e32 v1, s2, v0
	v_add_nc_u32_e32 v0, 0x100, v0
	global_store_b16 v1, v8, s[6:7] scale_offset
	s_wait_xcnt 0x0
	s_or_b32 exec_lo, exec_lo, s0
	s_delay_alu instid0(SALU_CYCLE_1)
	s_mov_b32 s0, exec_lo
	v_cmpx_gt_i32_e64 s1, v0
	s_cbranch_execnz .LBB81_42
	s_branch .LBB81_43
	.section	.rodata,"a",@progbits
	.p2align	6, 0x0
	.amdhsa_kernel _ZN2at6native29vectorized_elementwise_kernelILi8EZZZNS0_12_GLOBAL__N_116addr_kernel_cudaERNS_14TensorIteratorERKN3c106ScalarES8_ENKUlvE_clEvENKUlvE3_clEvEUlsssE_St5arrayIPcLm4EEEEviT0_T1_
		.amdhsa_group_segment_fixed_size 0
		.amdhsa_private_segment_fixed_size 0
		.amdhsa_kernarg_size 40
		.amdhsa_user_sgpr_count 2
		.amdhsa_user_sgpr_dispatch_ptr 0
		.amdhsa_user_sgpr_queue_ptr 0
		.amdhsa_user_sgpr_kernarg_segment_ptr 1
		.amdhsa_user_sgpr_dispatch_id 0
		.amdhsa_user_sgpr_kernarg_preload_length 0
		.amdhsa_user_sgpr_kernarg_preload_offset 0
		.amdhsa_user_sgpr_private_segment_size 0
		.amdhsa_wavefront_size32 1
		.amdhsa_uses_dynamic_stack 0
		.amdhsa_enable_private_segment 0
		.amdhsa_system_sgpr_workgroup_id_x 1
		.amdhsa_system_sgpr_workgroup_id_y 0
		.amdhsa_system_sgpr_workgroup_id_z 0
		.amdhsa_system_sgpr_workgroup_info 0
		.amdhsa_system_vgpr_workitem_id 0
		.amdhsa_next_free_vgpr 20
		.amdhsa_next_free_sgpr 16
		.amdhsa_named_barrier_count 0
		.amdhsa_reserve_vcc 1
		.amdhsa_float_round_mode_32 0
		.amdhsa_float_round_mode_16_64 0
		.amdhsa_float_denorm_mode_32 3
		.amdhsa_float_denorm_mode_16_64 3
		.amdhsa_fp16_overflow 0
		.amdhsa_memory_ordered 1
		.amdhsa_forward_progress 1
		.amdhsa_inst_pref_size 15
		.amdhsa_round_robin_scheduling 0
		.amdhsa_exception_fp_ieee_invalid_op 0
		.amdhsa_exception_fp_denorm_src 0
		.amdhsa_exception_fp_ieee_div_zero 0
		.amdhsa_exception_fp_ieee_overflow 0
		.amdhsa_exception_fp_ieee_underflow 0
		.amdhsa_exception_fp_ieee_inexact 0
		.amdhsa_exception_int_div_zero 0
	.end_amdhsa_kernel
	.section	.text._ZN2at6native29vectorized_elementwise_kernelILi8EZZZNS0_12_GLOBAL__N_116addr_kernel_cudaERNS_14TensorIteratorERKN3c106ScalarES8_ENKUlvE_clEvENKUlvE3_clEvEUlsssE_St5arrayIPcLm4EEEEviT0_T1_,"axG",@progbits,_ZN2at6native29vectorized_elementwise_kernelILi8EZZZNS0_12_GLOBAL__N_116addr_kernel_cudaERNS_14TensorIteratorERKN3c106ScalarES8_ENKUlvE_clEvENKUlvE3_clEvEUlsssE_St5arrayIPcLm4EEEEviT0_T1_,comdat
.Lfunc_end81:
	.size	_ZN2at6native29vectorized_elementwise_kernelILi8EZZZNS0_12_GLOBAL__N_116addr_kernel_cudaERNS_14TensorIteratorERKN3c106ScalarES8_ENKUlvE_clEvENKUlvE3_clEvEUlsssE_St5arrayIPcLm4EEEEviT0_T1_, .Lfunc_end81-_ZN2at6native29vectorized_elementwise_kernelILi8EZZZNS0_12_GLOBAL__N_116addr_kernel_cudaERNS_14TensorIteratorERKN3c106ScalarES8_ENKUlvE_clEvENKUlvE3_clEvEUlsssE_St5arrayIPcLm4EEEEviT0_T1_
                                        ; -- End function
	.set _ZN2at6native29vectorized_elementwise_kernelILi8EZZZNS0_12_GLOBAL__N_116addr_kernel_cudaERNS_14TensorIteratorERKN3c106ScalarES8_ENKUlvE_clEvENKUlvE3_clEvEUlsssE_St5arrayIPcLm4EEEEviT0_T1_.num_vgpr, 20
	.set _ZN2at6native29vectorized_elementwise_kernelILi8EZZZNS0_12_GLOBAL__N_116addr_kernel_cudaERNS_14TensorIteratorERKN3c106ScalarES8_ENKUlvE_clEvENKUlvE3_clEvEUlsssE_St5arrayIPcLm4EEEEviT0_T1_.num_agpr, 0
	.set _ZN2at6native29vectorized_elementwise_kernelILi8EZZZNS0_12_GLOBAL__N_116addr_kernel_cudaERNS_14TensorIteratorERKN3c106ScalarES8_ENKUlvE_clEvENKUlvE3_clEvEUlsssE_St5arrayIPcLm4EEEEviT0_T1_.numbered_sgpr, 16
	.set _ZN2at6native29vectorized_elementwise_kernelILi8EZZZNS0_12_GLOBAL__N_116addr_kernel_cudaERNS_14TensorIteratorERKN3c106ScalarES8_ENKUlvE_clEvENKUlvE3_clEvEUlsssE_St5arrayIPcLm4EEEEviT0_T1_.num_named_barrier, 0
	.set _ZN2at6native29vectorized_elementwise_kernelILi8EZZZNS0_12_GLOBAL__N_116addr_kernel_cudaERNS_14TensorIteratorERKN3c106ScalarES8_ENKUlvE_clEvENKUlvE3_clEvEUlsssE_St5arrayIPcLm4EEEEviT0_T1_.private_seg_size, 0
	.set _ZN2at6native29vectorized_elementwise_kernelILi8EZZZNS0_12_GLOBAL__N_116addr_kernel_cudaERNS_14TensorIteratorERKN3c106ScalarES8_ENKUlvE_clEvENKUlvE3_clEvEUlsssE_St5arrayIPcLm4EEEEviT0_T1_.uses_vcc, 1
	.set _ZN2at6native29vectorized_elementwise_kernelILi8EZZZNS0_12_GLOBAL__N_116addr_kernel_cudaERNS_14TensorIteratorERKN3c106ScalarES8_ENKUlvE_clEvENKUlvE3_clEvEUlsssE_St5arrayIPcLm4EEEEviT0_T1_.uses_flat_scratch, 0
	.set _ZN2at6native29vectorized_elementwise_kernelILi8EZZZNS0_12_GLOBAL__N_116addr_kernel_cudaERNS_14TensorIteratorERKN3c106ScalarES8_ENKUlvE_clEvENKUlvE3_clEvEUlsssE_St5arrayIPcLm4EEEEviT0_T1_.has_dyn_sized_stack, 0
	.set _ZN2at6native29vectorized_elementwise_kernelILi8EZZZNS0_12_GLOBAL__N_116addr_kernel_cudaERNS_14TensorIteratorERKN3c106ScalarES8_ENKUlvE_clEvENKUlvE3_clEvEUlsssE_St5arrayIPcLm4EEEEviT0_T1_.has_recursion, 0
	.set _ZN2at6native29vectorized_elementwise_kernelILi8EZZZNS0_12_GLOBAL__N_116addr_kernel_cudaERNS_14TensorIteratorERKN3c106ScalarES8_ENKUlvE_clEvENKUlvE3_clEvEUlsssE_St5arrayIPcLm4EEEEviT0_T1_.has_indirect_call, 0
	.section	.AMDGPU.csdata,"",@progbits
; Kernel info:
; codeLenInByte = 1836
; TotalNumSgprs: 18
; NumVgprs: 20
; ScratchSize: 0
; MemoryBound: 0
; FloatMode: 240
; IeeeMode: 1
; LDSByteSize: 0 bytes/workgroup (compile time only)
; SGPRBlocks: 0
; VGPRBlocks: 1
; NumSGPRsForWavesPerEU: 18
; NumVGPRsForWavesPerEU: 20
; NamedBarCnt: 0
; Occupancy: 16
; WaveLimiterHint : 0
; COMPUTE_PGM_RSRC2:SCRATCH_EN: 0
; COMPUTE_PGM_RSRC2:USER_SGPR: 2
; COMPUTE_PGM_RSRC2:TRAP_HANDLER: 0
; COMPUTE_PGM_RSRC2:TGID_X_EN: 1
; COMPUTE_PGM_RSRC2:TGID_Y_EN: 0
; COMPUTE_PGM_RSRC2:TGID_Z_EN: 0
; COMPUTE_PGM_RSRC2:TIDIG_COMP_CNT: 0
	.section	.text._ZN2at6native29vectorized_elementwise_kernelILi4EZZZNS0_12_GLOBAL__N_116addr_kernel_cudaERNS_14TensorIteratorERKN3c106ScalarES8_ENKUlvE_clEvENKUlvE3_clEvEUlsssE_St5arrayIPcLm4EEEEviT0_T1_,"axG",@progbits,_ZN2at6native29vectorized_elementwise_kernelILi4EZZZNS0_12_GLOBAL__N_116addr_kernel_cudaERNS_14TensorIteratorERKN3c106ScalarES8_ENKUlvE_clEvENKUlvE3_clEvEUlsssE_St5arrayIPcLm4EEEEviT0_T1_,comdat
	.globl	_ZN2at6native29vectorized_elementwise_kernelILi4EZZZNS0_12_GLOBAL__N_116addr_kernel_cudaERNS_14TensorIteratorERKN3c106ScalarES8_ENKUlvE_clEvENKUlvE3_clEvEUlsssE_St5arrayIPcLm4EEEEviT0_T1_ ; -- Begin function _ZN2at6native29vectorized_elementwise_kernelILi4EZZZNS0_12_GLOBAL__N_116addr_kernel_cudaERNS_14TensorIteratorERKN3c106ScalarES8_ENKUlvE_clEvENKUlvE3_clEvEUlsssE_St5arrayIPcLm4EEEEviT0_T1_
	.p2align	8
	.type	_ZN2at6native29vectorized_elementwise_kernelILi4EZZZNS0_12_GLOBAL__N_116addr_kernel_cudaERNS_14TensorIteratorERKN3c106ScalarES8_ENKUlvE_clEvENKUlvE3_clEvEUlsssE_St5arrayIPcLm4EEEEviT0_T1_,@function
_ZN2at6native29vectorized_elementwise_kernelILi4EZZZNS0_12_GLOBAL__N_116addr_kernel_cudaERNS_14TensorIteratorERKN3c106ScalarES8_ENKUlvE_clEvENKUlvE3_clEvEUlsssE_St5arrayIPcLm4EEEEviT0_T1_: ; @_ZN2at6native29vectorized_elementwise_kernelILi4EZZZNS0_12_GLOBAL__N_116addr_kernel_cudaERNS_14TensorIteratorERKN3c106ScalarES8_ENKUlvE_clEvENKUlvE3_clEvEUlsssE_St5arrayIPcLm4EEEEviT0_T1_
; %bb.0:
	s_clause 0x1
	s_load_b128 s[4:7], s[0:1], 0x0
	s_load_b128 s[8:11], s[0:1], 0x18
	s_wait_xcnt 0x0
	s_bfe_u32 s0, ttmp6, 0x4000c
	s_and_b32 s1, ttmp6, 15
	s_add_co_i32 s0, s0, 1
	s_getreg_b32 s2, hwreg(HW_REG_IB_STS2, 6, 4)
	s_mul_i32 s0, ttmp9, s0
	s_delay_alu instid0(SALU_CYCLE_1) | instskip(SKIP_2) | instid1(SALU_CYCLE_1)
	s_add_co_i32 s1, s1, s0
	s_cmp_eq_u32 s2, 0
	s_cselect_b32 s0, ttmp9, s1
	s_lshl_b32 s2, s0, 11
	s_mov_b32 s0, -1
	s_wait_kmcnt 0x0
	s_sub_co_i32 s1, s4, s2
	s_delay_alu instid0(SALU_CYCLE_1)
	s_cmp_gt_i32 s1, 0x7ff
	s_cbranch_scc0 .LBB82_2
; %bb.1:
	s_ashr_i32 s3, s2, 31
	s_mov_b32 s0, 0
	s_lshl_b64 s[12:13], s[2:3], 1
	s_delay_alu instid0(SALU_CYCLE_1)
	s_add_nc_u64 s[14:15], s[8:9], s[12:13]
	s_add_nc_u64 s[16:17], s[10:11], s[12:13]
	s_clause 0x3
	global_load_b64 v[2:3], v0, s[14:15] scale_offset
	global_load_b64 v[4:5], v0, s[14:15] offset:2048 scale_offset
	global_load_b64 v[6:7], v0, s[16:17] scale_offset
	global_load_b64 v[8:9], v0, s[16:17] offset:2048 scale_offset
	s_add_nc_u64 s[12:13], s[6:7], s[12:13]
	s_wait_loadcnt 0x2
	v_dual_lshrrev_b32 v11, 16, v4 :: v_dual_lshrrev_b32 v12, 16, v5
	v_dual_lshrrev_b32 v1, 16, v2 :: v_dual_lshrrev_b32 v10, 16, v3
	v_mul_lo_u16 v3, s5, v3
	s_wait_loadcnt 0x1
	v_dual_lshrrev_b32 v13, 16, v6 :: v_dual_lshrrev_b32 v14, 16, v7
	v_mul_lo_u16 v2, s5, v2
	v_mul_lo_u16 v1, s5, v1
	s_wait_loadcnt 0x0
	v_dual_lshrrev_b32 v15, 16, v8 :: v_dual_lshrrev_b32 v16, 16, v9
	v_mul_lo_u16 v4, s5, v4
	v_mul_lo_u16 v3, v3, v7
	;; [unrolled: 1-line block ×10, first 2 shown]
	v_and_b32_e32 v2, 0xffff, v2
	v_mul_lo_u16 v6, v6, v14
	v_lshlrev_b32_e32 v1, 16, v1
	v_mul_lo_u16 v5, v5, v9
	v_and_b32_e32 v4, 0xffff, v4
	v_mul_lo_u16 v8, v8, v16
	v_lshlrev_b32_e32 v7, 16, v7
	v_and_b32_e32 v3, 0xffff, v3
	v_lshlrev_b32_e32 v6, 16, v6
	v_or_b32_e32 v1, v1, v2
	v_and_b32_e32 v5, 0xffff, v5
	v_lshlrev_b32_e32 v8, 16, v8
	v_or_b32_e32 v4, v7, v4
	v_or3_b32 v3, 0, v3, v6
	v_or3_b32 v2, v1, 0, 0
	s_delay_alu instid0(VALU_DEP_4) | instskip(NEXT) | instid1(VALU_DEP_4)
	v_or3_b32 v5, 0, v5, v8
	v_or3_b32 v4, v4, 0, 0
	s_clause 0x1
	global_store_b64 v0, v[2:3], s[12:13] scale_offset
	global_store_b64 v0, v[4:5], s[12:13] offset:2048 scale_offset
.LBB82_2:
	s_and_not1_b32 vcc_lo, exec_lo, s0
	s_cbranch_vccnz .LBB82_43
; %bb.3:
	v_cmp_gt_i32_e32 vcc_lo, s1, v0
	s_wait_xcnt 0x1
	v_dual_mov_b32 v3, 0 :: v_dual_bitop2_b32 v1, s2, v0 bitop3:0x54
	v_or_b32_e32 v2, 0x100, v0
	s_wait_xcnt 0x0
	v_dual_mov_b32 v4, 0 :: v_dual_mov_b32 v5, 0
	v_mov_b32_e32 v10, v0
	s_and_saveexec_b32 s0, vcc_lo
	s_cbranch_execz .LBB82_5
; %bb.4:
	s_clause 0x1
	global_load_u16 v4, v1, s[8:9] scale_offset
	global_load_u16 v5, v1, s[10:11] scale_offset
	v_or_b32_e32 v10, 0x100, v0
.LBB82_5:
	s_wait_xcnt 0x0
	s_or_b32 exec_lo, exec_lo, s0
	v_mov_b32_e32 v7, 0
	s_mov_b32 s3, exec_lo
	v_cmpx_gt_i32_e64 s1, v10
	s_cbranch_execz .LBB82_7
; %bb.6:
	v_add_nc_u32_e32 v6, s2, v10
	v_add_nc_u32_e32 v10, 0x100, v10
	s_clause 0x1
	global_load_u16 v3, v6, s[8:9] scale_offset
	global_load_u16 v7, v6, s[10:11] scale_offset
.LBB82_7:
	s_wait_xcnt 0x0
	s_or_b32 exec_lo, exec_lo, s3
	v_dual_mov_b32 v6, 0 :: v_dual_mov_b32 v8, 0
	v_mov_b32_e32 v9, 0
	s_mov_b32 s3, exec_lo
	v_cmpx_gt_i32_e64 s1, v10
	s_cbranch_execz .LBB82_9
; %bb.8:
	v_add_nc_u32_e32 v11, s2, v10
	v_add_nc_u32_e32 v10, 0x100, v10
	s_clause 0x1
	global_load_u16 v8, v11, s[8:9] scale_offset
	global_load_u16 v9, v11, s[10:11] scale_offset
.LBB82_9:
	s_wait_xcnt 0x0
	s_or_b32 exec_lo, exec_lo, s3
	v_mov_b32_e32 v12, 0
	s_mov_b32 s3, exec_lo
	v_cmpx_gt_i32_e64 s1, v10
	s_cbranch_execz .LBB82_11
; %bb.10:
	v_add_nc_u32_e32 v11, s2, v10
	v_add_nc_u32_e32 v10, 0x100, v10
	s_clause 0x1
	global_load_u16 v6, v11, s[8:9] scale_offset
	global_load_u16 v12, v11, s[10:11] scale_offset
.LBB82_11:
	s_wait_xcnt 0x0
	s_or_b32 exec_lo, exec_lo, s3
	v_dual_mov_b32 v11, 0 :: v_dual_mov_b32 v13, 0
	v_mov_b32_e32 v14, 0
	s_mov_b32 s3, exec_lo
	v_cmpx_gt_i32_e64 s1, v10
	s_cbranch_execz .LBB82_13
; %bb.12:
	v_add_nc_u32_e32 v15, s2, v10
	v_add_nc_u32_e32 v10, 0x100, v10
	s_clause 0x1
	global_load_u16 v13, v15, s[8:9] scale_offset
	global_load_u16 v14, v15, s[10:11] scale_offset
.LBB82_13:
	;; [unrolled: 27-line block ×3, first 2 shown]
	s_wait_xcnt 0x0
	s_or_b32 exec_lo, exec_lo, s3
	v_mov_b32_e32 v19, 0
	s_mov_b32 s3, exec_lo
	v_cmpx_gt_i32_e64 s1, v10
	s_cbranch_execz .LBB82_19
; %bb.18:
	v_add_nc_u32_e32 v10, s2, v10
	s_clause 0x1
	global_load_u16 v15, v10, s[8:9] scale_offset
	global_load_u16 v19, v10, s[10:11] scale_offset
	s_wait_xcnt 0x0
	s_or_b32 exec_lo, exec_lo, s3
                                        ; implicit-def: $vgpr10
	s_and_saveexec_b32 s0, vcc_lo
	s_cbranch_execz .LBB82_21
	s_branch .LBB82_20
.LBB82_19:
	s_or_b32 exec_lo, exec_lo, s3
                                        ; implicit-def: $vgpr10
	s_and_saveexec_b32 s0, vcc_lo
	s_cbranch_execz .LBB82_21
.LBB82_20:
	s_wait_loadcnt 0x1
	v_mul_lo_u16 v4, v4, s5
	s_wait_loadcnt 0x0
	s_delay_alu instid0(VALU_DEP_1)
	v_mul_lo_u16 v10, v4, v5
.LBB82_21:
	s_or_b32 exec_lo, exec_lo, s0
	s_delay_alu instid0(SALU_CYCLE_1)
	s_mov_b32 s3, exec_lo
                                        ; implicit-def: $vgpr4
	v_cmpx_gt_i32_e64 s1, v2
	s_cbranch_execz .LBB82_23
; %bb.22:
	s_wait_loadcnt 0x1
	v_mul_lo_u16 v3, v3, s5
	s_wait_loadcnt 0x0
	s_delay_alu instid0(VALU_DEP_1)
	v_mul_lo_u16 v4, v3, v7
.LBB82_23:
	s_or_b32 exec_lo, exec_lo, s3
	s_wait_loadcnt 0x1
	v_or_b32_e32 v3, 0x200, v0
	s_delay_alu instid0(VALU_DEP_1)
	v_cmp_gt_i32_e64 s0, s1, v3
                                        ; implicit-def: $vgpr3
	s_and_saveexec_b32 s3, s0
	s_cbranch_execz .LBB82_25
; %bb.24:
	v_mul_lo_u16 v3, v8, s5
	s_wait_loadcnt 0x0
	s_delay_alu instid0(VALU_DEP_1)
	v_mul_lo_u16 v3, v3, v9
.LBB82_25:
	s_or_b32 exec_lo, exec_lo, s3
	s_wait_loadcnt 0x0
	v_or_b32_e32 v5, 0x300, v0
	s_delay_alu instid0(VALU_DEP_1)
	v_cmp_gt_i32_e64 s0, s1, v5
                                        ; implicit-def: $vgpr5
	s_and_saveexec_b32 s3, s0
; %bb.26:
	v_mul_lo_u16 v5, v6, s5
	s_delay_alu instid0(VALU_DEP_1)
	v_mul_lo_u16 v5, v5, v12
; %bb.27:
	s_or_b32 exec_lo, exec_lo, s3
	v_or_b32_e32 v6, 0x400, v0
	s_delay_alu instid0(VALU_DEP_1)
	v_cmp_gt_i32_e64 s0, s1, v6
                                        ; implicit-def: $vgpr6
	s_and_saveexec_b32 s3, s0
; %bb.28:
	v_mul_lo_u16 v6, v13, s5
	s_delay_alu instid0(VALU_DEP_1)
	v_mul_lo_u16 v6, v6, v14
; %bb.29:
	s_or_b32 exec_lo, exec_lo, s3
	v_or_b32_e32 v7, 0x500, v0
	s_delay_alu instid0(VALU_DEP_1)
	v_cmp_gt_i32_e64 s0, s1, v7
                                        ; implicit-def: $vgpr7
	s_and_saveexec_b32 s3, s0
; %bb.30:
	v_mul_lo_u16 v7, v11, s5
	s_delay_alu instid0(VALU_DEP_1)
	v_mul_lo_u16 v7, v7, v16
; %bb.31:
	s_or_b32 exec_lo, exec_lo, s3
	v_or_b32_e32 v8, 0x600, v0
	s_delay_alu instid0(VALU_DEP_1)
	v_cmp_gt_i32_e64 s0, s1, v8
                                        ; implicit-def: $vgpr8
	s_and_saveexec_b32 s3, s0
; %bb.32:
	v_mul_lo_u16 v8, v17, s5
	s_delay_alu instid0(VALU_DEP_1)
	v_mul_lo_u16 v8, v8, v18
; %bb.33:
	s_or_b32 exec_lo, exec_lo, s3
	v_or_b32_e32 v9, 0x700, v0
	s_delay_alu instid0(VALU_DEP_1)
	v_cmp_gt_i32_e64 s0, s1, v9
                                        ; implicit-def: $vgpr9
	s_and_saveexec_b32 s3, s0
	s_cbranch_execz .LBB82_44
; %bb.34:
	v_mul_lo_u16 v9, v15, s5
	s_delay_alu instid0(VALU_DEP_1) | instskip(SKIP_2) | instid1(SALU_CYCLE_1)
	v_mul_lo_u16 v9, v9, v19
	s_or_b32 exec_lo, exec_lo, s3
	s_and_saveexec_b32 s0, vcc_lo
	s_xor_b32 s0, exec_lo, s0
	s_cbranch_execnz .LBB82_45
.LBB82_35:
	s_or_b32 exec_lo, exec_lo, s0
	s_delay_alu instid0(SALU_CYCLE_1)
	s_mov_b32 s0, exec_lo
	v_cmpx_gt_i32_e64 s1, v0
	s_cbranch_execz .LBB82_46
.LBB82_36:
	v_add_nc_u32_e32 v1, s2, v0
	v_add_nc_u32_e32 v0, 0x100, v0
	global_store_b16 v1, v4, s[6:7] scale_offset
	s_wait_xcnt 0x0
	s_or_b32 exec_lo, exec_lo, s0
	s_delay_alu instid0(SALU_CYCLE_1)
	s_mov_b32 s0, exec_lo
	v_cmpx_gt_i32_e64 s1, v0
	s_cbranch_execnz .LBB82_47
.LBB82_37:
	s_or_b32 exec_lo, exec_lo, s0
	s_delay_alu instid0(SALU_CYCLE_1)
	s_mov_b32 s0, exec_lo
	v_cmpx_gt_i32_e64 s1, v0
	s_cbranch_execz .LBB82_48
.LBB82_38:
	v_add_nc_u32_e32 v1, s2, v0
	v_add_nc_u32_e32 v0, 0x100, v0
	global_store_b16 v1, v5, s[6:7] scale_offset
	s_wait_xcnt 0x0
	s_or_b32 exec_lo, exec_lo, s0
	s_delay_alu instid0(SALU_CYCLE_1)
	s_mov_b32 s0, exec_lo
	v_cmpx_gt_i32_e64 s1, v0
	s_cbranch_execnz .LBB82_49
.LBB82_39:
	s_or_b32 exec_lo, exec_lo, s0
	s_delay_alu instid0(SALU_CYCLE_1)
	s_mov_b32 s0, exec_lo
	v_cmpx_gt_i32_e64 s1, v0
	s_cbranch_execz .LBB82_50
.LBB82_40:
	v_add_nc_u32_e32 v1, s2, v0
	v_add_nc_u32_e32 v0, 0x100, v0
	global_store_b16 v1, v7, s[6:7] scale_offset
	s_wait_xcnt 0x0
	s_or_b32 exec_lo, exec_lo, s0
	s_delay_alu instid0(SALU_CYCLE_1)
	s_mov_b32 s0, exec_lo
	v_cmpx_gt_i32_e64 s1, v0
	s_cbranch_execnz .LBB82_51
.LBB82_41:
	s_or_b32 exec_lo, exec_lo, s0
	s_delay_alu instid0(SALU_CYCLE_1)
	s_mov_b32 s0, exec_lo
	v_cmpx_gt_i32_e64 s1, v0
	s_cbranch_execz .LBB82_43
.LBB82_42:
	v_add_nc_u32_e32 v0, s2, v0
	global_store_b16 v0, v9, s[6:7] scale_offset
.LBB82_43:
	s_endpgm
.LBB82_44:
	s_or_b32 exec_lo, exec_lo, s3
	s_and_saveexec_b32 s0, vcc_lo
	s_delay_alu instid0(SALU_CYCLE_1)
	s_xor_b32 s0, exec_lo, s0
	s_cbranch_execz .LBB82_35
.LBB82_45:
	v_mov_b32_e32 v0, v2
	global_store_b16 v1, v10, s[6:7] scale_offset
	s_wait_xcnt 0x0
	s_or_b32 exec_lo, exec_lo, s0
	s_delay_alu instid0(SALU_CYCLE_1)
	s_mov_b32 s0, exec_lo
	v_cmpx_gt_i32_e64 s1, v0
	s_cbranch_execnz .LBB82_36
.LBB82_46:
	s_or_b32 exec_lo, exec_lo, s0
	s_delay_alu instid0(SALU_CYCLE_1)
	s_mov_b32 s0, exec_lo
	v_cmpx_gt_i32_e64 s1, v0
	s_cbranch_execz .LBB82_37
.LBB82_47:
	v_add_nc_u32_e32 v1, s2, v0
	v_add_nc_u32_e32 v0, 0x100, v0
	global_store_b16 v1, v3, s[6:7] scale_offset
	s_wait_xcnt 0x0
	s_or_b32 exec_lo, exec_lo, s0
	s_delay_alu instid0(SALU_CYCLE_1)
	s_mov_b32 s0, exec_lo
	v_cmpx_gt_i32_e64 s1, v0
	s_cbranch_execnz .LBB82_38
.LBB82_48:
	s_or_b32 exec_lo, exec_lo, s0
	s_delay_alu instid0(SALU_CYCLE_1)
	s_mov_b32 s0, exec_lo
	v_cmpx_gt_i32_e64 s1, v0
	s_cbranch_execz .LBB82_39
.LBB82_49:
	v_add_nc_u32_e32 v1, s2, v0
	v_add_nc_u32_e32 v0, 0x100, v0
	global_store_b16 v1, v6, s[6:7] scale_offset
	s_wait_xcnt 0x0
	s_or_b32 exec_lo, exec_lo, s0
	s_delay_alu instid0(SALU_CYCLE_1)
	s_mov_b32 s0, exec_lo
	v_cmpx_gt_i32_e64 s1, v0
	s_cbranch_execnz .LBB82_40
.LBB82_50:
	s_or_b32 exec_lo, exec_lo, s0
	s_delay_alu instid0(SALU_CYCLE_1)
	s_mov_b32 s0, exec_lo
	v_cmpx_gt_i32_e64 s1, v0
	s_cbranch_execz .LBB82_41
.LBB82_51:
	v_add_nc_u32_e32 v1, s2, v0
	v_add_nc_u32_e32 v0, 0x100, v0
	global_store_b16 v1, v8, s[6:7] scale_offset
	s_wait_xcnt 0x0
	s_or_b32 exec_lo, exec_lo, s0
	s_delay_alu instid0(SALU_CYCLE_1)
	s_mov_b32 s0, exec_lo
	v_cmpx_gt_i32_e64 s1, v0
	s_cbranch_execnz .LBB82_42
	s_branch .LBB82_43
	.section	.rodata,"a",@progbits
	.p2align	6, 0x0
	.amdhsa_kernel _ZN2at6native29vectorized_elementwise_kernelILi4EZZZNS0_12_GLOBAL__N_116addr_kernel_cudaERNS_14TensorIteratorERKN3c106ScalarES8_ENKUlvE_clEvENKUlvE3_clEvEUlsssE_St5arrayIPcLm4EEEEviT0_T1_
		.amdhsa_group_segment_fixed_size 0
		.amdhsa_private_segment_fixed_size 0
		.amdhsa_kernarg_size 40
		.amdhsa_user_sgpr_count 2
		.amdhsa_user_sgpr_dispatch_ptr 0
		.amdhsa_user_sgpr_queue_ptr 0
		.amdhsa_user_sgpr_kernarg_segment_ptr 1
		.amdhsa_user_sgpr_dispatch_id 0
		.amdhsa_user_sgpr_kernarg_preload_length 0
		.amdhsa_user_sgpr_kernarg_preload_offset 0
		.amdhsa_user_sgpr_private_segment_size 0
		.amdhsa_wavefront_size32 1
		.amdhsa_uses_dynamic_stack 0
		.amdhsa_enable_private_segment 0
		.amdhsa_system_sgpr_workgroup_id_x 1
		.amdhsa_system_sgpr_workgroup_id_y 0
		.amdhsa_system_sgpr_workgroup_id_z 0
		.amdhsa_system_sgpr_workgroup_info 0
		.amdhsa_system_vgpr_workitem_id 0
		.amdhsa_next_free_vgpr 20
		.amdhsa_next_free_sgpr 18
		.amdhsa_named_barrier_count 0
		.amdhsa_reserve_vcc 1
		.amdhsa_float_round_mode_32 0
		.amdhsa_float_round_mode_16_64 0
		.amdhsa_float_denorm_mode_32 3
		.amdhsa_float_denorm_mode_16_64 3
		.amdhsa_fp16_overflow 0
		.amdhsa_memory_ordered 1
		.amdhsa_forward_progress 1
		.amdhsa_inst_pref_size 17
		.amdhsa_round_robin_scheduling 0
		.amdhsa_exception_fp_ieee_invalid_op 0
		.amdhsa_exception_fp_denorm_src 0
		.amdhsa_exception_fp_ieee_div_zero 0
		.amdhsa_exception_fp_ieee_overflow 0
		.amdhsa_exception_fp_ieee_underflow 0
		.amdhsa_exception_fp_ieee_inexact 0
		.amdhsa_exception_int_div_zero 0
	.end_amdhsa_kernel
	.section	.text._ZN2at6native29vectorized_elementwise_kernelILi4EZZZNS0_12_GLOBAL__N_116addr_kernel_cudaERNS_14TensorIteratorERKN3c106ScalarES8_ENKUlvE_clEvENKUlvE3_clEvEUlsssE_St5arrayIPcLm4EEEEviT0_T1_,"axG",@progbits,_ZN2at6native29vectorized_elementwise_kernelILi4EZZZNS0_12_GLOBAL__N_116addr_kernel_cudaERNS_14TensorIteratorERKN3c106ScalarES8_ENKUlvE_clEvENKUlvE3_clEvEUlsssE_St5arrayIPcLm4EEEEviT0_T1_,comdat
.Lfunc_end82:
	.size	_ZN2at6native29vectorized_elementwise_kernelILi4EZZZNS0_12_GLOBAL__N_116addr_kernel_cudaERNS_14TensorIteratorERKN3c106ScalarES8_ENKUlvE_clEvENKUlvE3_clEvEUlsssE_St5arrayIPcLm4EEEEviT0_T1_, .Lfunc_end82-_ZN2at6native29vectorized_elementwise_kernelILi4EZZZNS0_12_GLOBAL__N_116addr_kernel_cudaERNS_14TensorIteratorERKN3c106ScalarES8_ENKUlvE_clEvENKUlvE3_clEvEUlsssE_St5arrayIPcLm4EEEEviT0_T1_
                                        ; -- End function
	.set _ZN2at6native29vectorized_elementwise_kernelILi4EZZZNS0_12_GLOBAL__N_116addr_kernel_cudaERNS_14TensorIteratorERKN3c106ScalarES8_ENKUlvE_clEvENKUlvE3_clEvEUlsssE_St5arrayIPcLm4EEEEviT0_T1_.num_vgpr, 20
	.set _ZN2at6native29vectorized_elementwise_kernelILi4EZZZNS0_12_GLOBAL__N_116addr_kernel_cudaERNS_14TensorIteratorERKN3c106ScalarES8_ENKUlvE_clEvENKUlvE3_clEvEUlsssE_St5arrayIPcLm4EEEEviT0_T1_.num_agpr, 0
	.set _ZN2at6native29vectorized_elementwise_kernelILi4EZZZNS0_12_GLOBAL__N_116addr_kernel_cudaERNS_14TensorIteratorERKN3c106ScalarES8_ENKUlvE_clEvENKUlvE3_clEvEUlsssE_St5arrayIPcLm4EEEEviT0_T1_.numbered_sgpr, 18
	.set _ZN2at6native29vectorized_elementwise_kernelILi4EZZZNS0_12_GLOBAL__N_116addr_kernel_cudaERNS_14TensorIteratorERKN3c106ScalarES8_ENKUlvE_clEvENKUlvE3_clEvEUlsssE_St5arrayIPcLm4EEEEviT0_T1_.num_named_barrier, 0
	.set _ZN2at6native29vectorized_elementwise_kernelILi4EZZZNS0_12_GLOBAL__N_116addr_kernel_cudaERNS_14TensorIteratorERKN3c106ScalarES8_ENKUlvE_clEvENKUlvE3_clEvEUlsssE_St5arrayIPcLm4EEEEviT0_T1_.private_seg_size, 0
	.set _ZN2at6native29vectorized_elementwise_kernelILi4EZZZNS0_12_GLOBAL__N_116addr_kernel_cudaERNS_14TensorIteratorERKN3c106ScalarES8_ENKUlvE_clEvENKUlvE3_clEvEUlsssE_St5arrayIPcLm4EEEEviT0_T1_.uses_vcc, 1
	.set _ZN2at6native29vectorized_elementwise_kernelILi4EZZZNS0_12_GLOBAL__N_116addr_kernel_cudaERNS_14TensorIteratorERKN3c106ScalarES8_ENKUlvE_clEvENKUlvE3_clEvEUlsssE_St5arrayIPcLm4EEEEviT0_T1_.uses_flat_scratch, 0
	.set _ZN2at6native29vectorized_elementwise_kernelILi4EZZZNS0_12_GLOBAL__N_116addr_kernel_cudaERNS_14TensorIteratorERKN3c106ScalarES8_ENKUlvE_clEvENKUlvE3_clEvEUlsssE_St5arrayIPcLm4EEEEviT0_T1_.has_dyn_sized_stack, 0
	.set _ZN2at6native29vectorized_elementwise_kernelILi4EZZZNS0_12_GLOBAL__N_116addr_kernel_cudaERNS_14TensorIteratorERKN3c106ScalarES8_ENKUlvE_clEvENKUlvE3_clEvEUlsssE_St5arrayIPcLm4EEEEviT0_T1_.has_recursion, 0
	.set _ZN2at6native29vectorized_elementwise_kernelILi4EZZZNS0_12_GLOBAL__N_116addr_kernel_cudaERNS_14TensorIteratorERKN3c106ScalarES8_ENKUlvE_clEvENKUlvE3_clEvEUlsssE_St5arrayIPcLm4EEEEviT0_T1_.has_indirect_call, 0
	.section	.AMDGPU.csdata,"",@progbits
; Kernel info:
; codeLenInByte = 2088
; TotalNumSgprs: 20
; NumVgprs: 20
; ScratchSize: 0
; MemoryBound: 0
; FloatMode: 240
; IeeeMode: 1
; LDSByteSize: 0 bytes/workgroup (compile time only)
; SGPRBlocks: 0
; VGPRBlocks: 1
; NumSGPRsForWavesPerEU: 20
; NumVGPRsForWavesPerEU: 20
; NamedBarCnt: 0
; Occupancy: 16
; WaveLimiterHint : 1
; COMPUTE_PGM_RSRC2:SCRATCH_EN: 0
; COMPUTE_PGM_RSRC2:USER_SGPR: 2
; COMPUTE_PGM_RSRC2:TRAP_HANDLER: 0
; COMPUTE_PGM_RSRC2:TGID_X_EN: 1
; COMPUTE_PGM_RSRC2:TGID_Y_EN: 0
; COMPUTE_PGM_RSRC2:TGID_Z_EN: 0
; COMPUTE_PGM_RSRC2:TIDIG_COMP_CNT: 0
	.section	.text._ZN2at6native29vectorized_elementwise_kernelILi2EZZZNS0_12_GLOBAL__N_116addr_kernel_cudaERNS_14TensorIteratorERKN3c106ScalarES8_ENKUlvE_clEvENKUlvE3_clEvEUlsssE_St5arrayIPcLm4EEEEviT0_T1_,"axG",@progbits,_ZN2at6native29vectorized_elementwise_kernelILi2EZZZNS0_12_GLOBAL__N_116addr_kernel_cudaERNS_14TensorIteratorERKN3c106ScalarES8_ENKUlvE_clEvENKUlvE3_clEvEUlsssE_St5arrayIPcLm4EEEEviT0_T1_,comdat
	.globl	_ZN2at6native29vectorized_elementwise_kernelILi2EZZZNS0_12_GLOBAL__N_116addr_kernel_cudaERNS_14TensorIteratorERKN3c106ScalarES8_ENKUlvE_clEvENKUlvE3_clEvEUlsssE_St5arrayIPcLm4EEEEviT0_T1_ ; -- Begin function _ZN2at6native29vectorized_elementwise_kernelILi2EZZZNS0_12_GLOBAL__N_116addr_kernel_cudaERNS_14TensorIteratorERKN3c106ScalarES8_ENKUlvE_clEvENKUlvE3_clEvEUlsssE_St5arrayIPcLm4EEEEviT0_T1_
	.p2align	8
	.type	_ZN2at6native29vectorized_elementwise_kernelILi2EZZZNS0_12_GLOBAL__N_116addr_kernel_cudaERNS_14TensorIteratorERKN3c106ScalarES8_ENKUlvE_clEvENKUlvE3_clEvEUlsssE_St5arrayIPcLm4EEEEviT0_T1_,@function
_ZN2at6native29vectorized_elementwise_kernelILi2EZZZNS0_12_GLOBAL__N_116addr_kernel_cudaERNS_14TensorIteratorERKN3c106ScalarES8_ENKUlvE_clEvENKUlvE3_clEvEUlsssE_St5arrayIPcLm4EEEEviT0_T1_: ; @_ZN2at6native29vectorized_elementwise_kernelILi2EZZZNS0_12_GLOBAL__N_116addr_kernel_cudaERNS_14TensorIteratorERKN3c106ScalarES8_ENKUlvE_clEvENKUlvE3_clEvEUlsssE_St5arrayIPcLm4EEEEviT0_T1_
; %bb.0:
	s_clause 0x1
	s_load_b128 s[4:7], s[0:1], 0x0
	s_load_b128 s[8:11], s[0:1], 0x18
	s_wait_xcnt 0x0
	s_bfe_u32 s0, ttmp6, 0x4000c
	s_and_b32 s1, ttmp6, 15
	s_add_co_i32 s0, s0, 1
	s_getreg_b32 s2, hwreg(HW_REG_IB_STS2, 6, 4)
	s_mul_i32 s0, ttmp9, s0
	s_delay_alu instid0(SALU_CYCLE_1) | instskip(SKIP_2) | instid1(SALU_CYCLE_1)
	s_add_co_i32 s1, s1, s0
	s_cmp_eq_u32 s2, 0
	s_cselect_b32 s0, ttmp9, s1
	s_lshl_b32 s2, s0, 11
	s_mov_b32 s0, -1
	s_wait_kmcnt 0x0
	s_sub_co_i32 s1, s4, s2
	s_delay_alu instid0(SALU_CYCLE_1)
	s_cmp_gt_i32 s1, 0x7ff
	s_cbranch_scc0 .LBB83_2
; %bb.1:
	s_ashr_i32 s3, s2, 31
	s_mov_b32 s0, 0
	s_lshl_b64 s[12:13], s[2:3], 1
	s_delay_alu instid0(SALU_CYCLE_1)
	s_add_nc_u64 s[14:15], s[8:9], s[12:13]
	s_add_nc_u64 s[16:17], s[10:11], s[12:13]
	s_clause 0x7
	global_load_b32 v1, v0, s[14:15] scale_offset
	global_load_b32 v2, v0, s[14:15] offset:1024 scale_offset
	global_load_b32 v3, v0, s[14:15] offset:2048 scale_offset
	;; [unrolled: 1-line block ×3, first 2 shown]
	global_load_b32 v5, v0, s[16:17] scale_offset
	global_load_b32 v6, v0, s[16:17] offset:1024 scale_offset
	global_load_b32 v7, v0, s[16:17] offset:2048 scale_offset
	;; [unrolled: 1-line block ×3, first 2 shown]
	s_add_nc_u64 s[12:13], s[6:7], s[12:13]
	s_wait_loadcnt 0x6
	v_dual_lshrrev_b32 v9, 16, v1 :: v_dual_lshrrev_b32 v10, 16, v2
	v_mul_lo_u16 v1, s5, v1
	v_mul_lo_u16 v2, s5, v2
	s_wait_loadcnt 0x4
	v_dual_lshrrev_b32 v11, 16, v3 :: v_dual_lshrrev_b32 v12, 16, v4
	v_mul_lo_u16 v3, s5, v3
	v_mul_lo_u16 v4, s5, v4
	;; [unrolled: 4-line block ×3, first 2 shown]
	v_mul_lo_u16 v2, v2, v6
	v_mul_lo_u16 v6, s5, v10
	s_wait_loadcnt 0x0
	v_dual_lshrrev_b32 v15, 16, v7 :: v_dual_lshrrev_b32 v16, 16, v8
	v_mul_lo_u16 v3, v3, v7
	v_mul_lo_u16 v7, s5, v11
	;; [unrolled: 1-line block ×7, first 2 shown]
	v_and_b32_e32 v1, 0xffff, v1
	v_mul_lo_u16 v8, v8, v16
	s_delay_alu instid0(VALU_DEP_4) | instskip(SKIP_2) | instid1(VALU_DEP_4)
	v_dual_lshlrev_b32 v5, 16, v5 :: v_dual_lshlrev_b32 v6, 16, v6
	v_and_b32_e32 v2, 0xffff, v2
	v_and_b32_e32 v3, 0xffff, v3
	v_dual_lshlrev_b32 v7, 16, v7 :: v_dual_lshlrev_b32 v8, 16, v8
	v_and_b32_e32 v4, 0xffff, v4
	v_or_b32_e32 v1, v5, v1
	v_or_b32_e32 v2, v6, v2
	s_delay_alu instid0(VALU_DEP_4) | instskip(NEXT) | instid1(VALU_DEP_4)
	v_or_b32_e32 v3, v7, v3
	v_or_b32_e32 v4, v8, v4
	s_clause 0x3
	global_store_b32 v0, v1, s[12:13] scale_offset
	global_store_b32 v0, v2, s[12:13] offset:1024 scale_offset
	global_store_b32 v0, v3, s[12:13] offset:2048 scale_offset
	;; [unrolled: 1-line block ×3, first 2 shown]
.LBB83_2:
	s_and_not1_b32 vcc_lo, exec_lo, s0
	s_cbranch_vccnz .LBB83_43
; %bb.3:
	v_cmp_gt_i32_e32 vcc_lo, s1, v0
	s_wait_xcnt 0x1
	v_dual_mov_b32 v3, 0 :: v_dual_bitop2_b32 v1, s2, v0 bitop3:0x54
	v_or_b32_e32 v2, 0x100, v0
	s_wait_xcnt 0x0
	v_dual_mov_b32 v4, 0 :: v_dual_mov_b32 v5, 0
	v_mov_b32_e32 v10, v0
	s_and_saveexec_b32 s0, vcc_lo
	s_cbranch_execz .LBB83_5
; %bb.4:
	s_clause 0x1
	global_load_u16 v4, v1, s[8:9] scale_offset
	global_load_u16 v5, v1, s[10:11] scale_offset
	v_or_b32_e32 v10, 0x100, v0
.LBB83_5:
	s_wait_xcnt 0x0
	s_or_b32 exec_lo, exec_lo, s0
	v_mov_b32_e32 v7, 0
	s_mov_b32 s3, exec_lo
	v_cmpx_gt_i32_e64 s1, v10
	s_cbranch_execz .LBB83_7
; %bb.6:
	v_add_nc_u32_e32 v6, s2, v10
	v_add_nc_u32_e32 v10, 0x100, v10
	s_clause 0x1
	global_load_u16 v3, v6, s[8:9] scale_offset
	global_load_u16 v7, v6, s[10:11] scale_offset
.LBB83_7:
	s_wait_xcnt 0x0
	s_or_b32 exec_lo, exec_lo, s3
	v_dual_mov_b32 v6, 0 :: v_dual_mov_b32 v8, 0
	v_mov_b32_e32 v9, 0
	s_mov_b32 s3, exec_lo
	v_cmpx_gt_i32_e64 s1, v10
	s_cbranch_execz .LBB83_9
; %bb.8:
	v_add_nc_u32_e32 v11, s2, v10
	v_add_nc_u32_e32 v10, 0x100, v10
	s_clause 0x1
	global_load_u16 v8, v11, s[8:9] scale_offset
	global_load_u16 v9, v11, s[10:11] scale_offset
.LBB83_9:
	s_wait_xcnt 0x0
	s_or_b32 exec_lo, exec_lo, s3
	v_mov_b32_e32 v12, 0
	s_mov_b32 s3, exec_lo
	v_cmpx_gt_i32_e64 s1, v10
	s_cbranch_execz .LBB83_11
; %bb.10:
	v_add_nc_u32_e32 v11, s2, v10
	v_add_nc_u32_e32 v10, 0x100, v10
	s_clause 0x1
	global_load_u16 v6, v11, s[8:9] scale_offset
	global_load_u16 v12, v11, s[10:11] scale_offset
.LBB83_11:
	s_wait_xcnt 0x0
	s_or_b32 exec_lo, exec_lo, s3
	v_dual_mov_b32 v11, 0 :: v_dual_mov_b32 v13, 0
	v_mov_b32_e32 v14, 0
	s_mov_b32 s3, exec_lo
	v_cmpx_gt_i32_e64 s1, v10
	s_cbranch_execz .LBB83_13
; %bb.12:
	v_add_nc_u32_e32 v15, s2, v10
	v_add_nc_u32_e32 v10, 0x100, v10
	s_clause 0x1
	global_load_u16 v13, v15, s[8:9] scale_offset
	global_load_u16 v14, v15, s[10:11] scale_offset
.LBB83_13:
	;; [unrolled: 27-line block ×3, first 2 shown]
	s_wait_xcnt 0x0
	s_or_b32 exec_lo, exec_lo, s3
	v_mov_b32_e32 v19, 0
	s_mov_b32 s3, exec_lo
	v_cmpx_gt_i32_e64 s1, v10
	s_cbranch_execz .LBB83_19
; %bb.18:
	v_add_nc_u32_e32 v10, s2, v10
	s_clause 0x1
	global_load_u16 v15, v10, s[8:9] scale_offset
	global_load_u16 v19, v10, s[10:11] scale_offset
	s_wait_xcnt 0x0
	s_or_b32 exec_lo, exec_lo, s3
                                        ; implicit-def: $vgpr10
	s_and_saveexec_b32 s0, vcc_lo
	s_cbranch_execz .LBB83_21
	s_branch .LBB83_20
.LBB83_19:
	s_or_b32 exec_lo, exec_lo, s3
                                        ; implicit-def: $vgpr10
	s_and_saveexec_b32 s0, vcc_lo
	s_cbranch_execz .LBB83_21
.LBB83_20:
	s_wait_loadcnt 0x1
	v_mul_lo_u16 v4, v4, s5
	s_wait_loadcnt 0x0
	s_delay_alu instid0(VALU_DEP_1)
	v_mul_lo_u16 v10, v4, v5
.LBB83_21:
	s_or_b32 exec_lo, exec_lo, s0
	s_delay_alu instid0(SALU_CYCLE_1)
	s_mov_b32 s3, exec_lo
                                        ; implicit-def: $vgpr4
	v_cmpx_gt_i32_e64 s1, v2
	s_cbranch_execz .LBB83_23
; %bb.22:
	s_wait_loadcnt 0x1
	v_mul_lo_u16 v3, v3, s5
	s_wait_loadcnt 0x0
	s_delay_alu instid0(VALU_DEP_1)
	v_mul_lo_u16 v4, v3, v7
.LBB83_23:
	s_or_b32 exec_lo, exec_lo, s3
	s_wait_loadcnt 0x1
	v_or_b32_e32 v3, 0x200, v0
	s_delay_alu instid0(VALU_DEP_1)
	v_cmp_gt_i32_e64 s0, s1, v3
                                        ; implicit-def: $vgpr3
	s_and_saveexec_b32 s3, s0
	s_cbranch_execz .LBB83_25
; %bb.24:
	v_mul_lo_u16 v3, v8, s5
	s_wait_loadcnt 0x0
	s_delay_alu instid0(VALU_DEP_1)
	v_mul_lo_u16 v3, v3, v9
.LBB83_25:
	s_or_b32 exec_lo, exec_lo, s3
	s_wait_loadcnt 0x0
	v_or_b32_e32 v5, 0x300, v0
	s_delay_alu instid0(VALU_DEP_1)
	v_cmp_gt_i32_e64 s0, s1, v5
                                        ; implicit-def: $vgpr5
	s_and_saveexec_b32 s3, s0
; %bb.26:
	v_mul_lo_u16 v5, v6, s5
	s_delay_alu instid0(VALU_DEP_1)
	v_mul_lo_u16 v5, v5, v12
; %bb.27:
	s_or_b32 exec_lo, exec_lo, s3
	v_or_b32_e32 v6, 0x400, v0
	s_delay_alu instid0(VALU_DEP_1)
	v_cmp_gt_i32_e64 s0, s1, v6
                                        ; implicit-def: $vgpr6
	s_and_saveexec_b32 s3, s0
; %bb.28:
	v_mul_lo_u16 v6, v13, s5
	s_delay_alu instid0(VALU_DEP_1)
	v_mul_lo_u16 v6, v6, v14
; %bb.29:
	s_or_b32 exec_lo, exec_lo, s3
	v_or_b32_e32 v7, 0x500, v0
	s_delay_alu instid0(VALU_DEP_1)
	v_cmp_gt_i32_e64 s0, s1, v7
                                        ; implicit-def: $vgpr7
	s_and_saveexec_b32 s3, s0
; %bb.30:
	v_mul_lo_u16 v7, v11, s5
	s_delay_alu instid0(VALU_DEP_1)
	v_mul_lo_u16 v7, v7, v16
; %bb.31:
	s_or_b32 exec_lo, exec_lo, s3
	v_or_b32_e32 v8, 0x600, v0
	s_delay_alu instid0(VALU_DEP_1)
	v_cmp_gt_i32_e64 s0, s1, v8
                                        ; implicit-def: $vgpr8
	s_and_saveexec_b32 s3, s0
; %bb.32:
	v_mul_lo_u16 v8, v17, s5
	s_delay_alu instid0(VALU_DEP_1)
	v_mul_lo_u16 v8, v8, v18
; %bb.33:
	s_or_b32 exec_lo, exec_lo, s3
	v_or_b32_e32 v9, 0x700, v0
	s_delay_alu instid0(VALU_DEP_1)
	v_cmp_gt_i32_e64 s0, s1, v9
                                        ; implicit-def: $vgpr9
	s_and_saveexec_b32 s3, s0
	s_cbranch_execz .LBB83_44
; %bb.34:
	v_mul_lo_u16 v9, v15, s5
	s_delay_alu instid0(VALU_DEP_1) | instskip(SKIP_2) | instid1(SALU_CYCLE_1)
	v_mul_lo_u16 v9, v9, v19
	s_or_b32 exec_lo, exec_lo, s3
	s_and_saveexec_b32 s0, vcc_lo
	s_xor_b32 s0, exec_lo, s0
	s_cbranch_execnz .LBB83_45
.LBB83_35:
	s_or_b32 exec_lo, exec_lo, s0
	s_delay_alu instid0(SALU_CYCLE_1)
	s_mov_b32 s0, exec_lo
	v_cmpx_gt_i32_e64 s1, v0
	s_cbranch_execz .LBB83_46
.LBB83_36:
	v_add_nc_u32_e32 v1, s2, v0
	v_add_nc_u32_e32 v0, 0x100, v0
	global_store_b16 v1, v4, s[6:7] scale_offset
	s_wait_xcnt 0x0
	s_or_b32 exec_lo, exec_lo, s0
	s_delay_alu instid0(SALU_CYCLE_1)
	s_mov_b32 s0, exec_lo
	v_cmpx_gt_i32_e64 s1, v0
	s_cbranch_execnz .LBB83_47
.LBB83_37:
	s_or_b32 exec_lo, exec_lo, s0
	s_delay_alu instid0(SALU_CYCLE_1)
	s_mov_b32 s0, exec_lo
	v_cmpx_gt_i32_e64 s1, v0
	s_cbranch_execz .LBB83_48
.LBB83_38:
	v_add_nc_u32_e32 v1, s2, v0
	v_add_nc_u32_e32 v0, 0x100, v0
	global_store_b16 v1, v5, s[6:7] scale_offset
	s_wait_xcnt 0x0
	s_or_b32 exec_lo, exec_lo, s0
	s_delay_alu instid0(SALU_CYCLE_1)
	s_mov_b32 s0, exec_lo
	v_cmpx_gt_i32_e64 s1, v0
	s_cbranch_execnz .LBB83_49
.LBB83_39:
	s_or_b32 exec_lo, exec_lo, s0
	s_delay_alu instid0(SALU_CYCLE_1)
	s_mov_b32 s0, exec_lo
	v_cmpx_gt_i32_e64 s1, v0
	s_cbranch_execz .LBB83_50
.LBB83_40:
	v_add_nc_u32_e32 v1, s2, v0
	v_add_nc_u32_e32 v0, 0x100, v0
	global_store_b16 v1, v7, s[6:7] scale_offset
	s_wait_xcnt 0x0
	s_or_b32 exec_lo, exec_lo, s0
	s_delay_alu instid0(SALU_CYCLE_1)
	s_mov_b32 s0, exec_lo
	v_cmpx_gt_i32_e64 s1, v0
	s_cbranch_execnz .LBB83_51
.LBB83_41:
	s_or_b32 exec_lo, exec_lo, s0
	s_delay_alu instid0(SALU_CYCLE_1)
	s_mov_b32 s0, exec_lo
	v_cmpx_gt_i32_e64 s1, v0
	s_cbranch_execz .LBB83_43
.LBB83_42:
	v_add_nc_u32_e32 v0, s2, v0
	global_store_b16 v0, v9, s[6:7] scale_offset
.LBB83_43:
	s_endpgm
.LBB83_44:
	s_or_b32 exec_lo, exec_lo, s3
	s_and_saveexec_b32 s0, vcc_lo
	s_delay_alu instid0(SALU_CYCLE_1)
	s_xor_b32 s0, exec_lo, s0
	s_cbranch_execz .LBB83_35
.LBB83_45:
	v_mov_b32_e32 v0, v2
	global_store_b16 v1, v10, s[6:7] scale_offset
	s_wait_xcnt 0x0
	s_or_b32 exec_lo, exec_lo, s0
	s_delay_alu instid0(SALU_CYCLE_1)
	s_mov_b32 s0, exec_lo
	v_cmpx_gt_i32_e64 s1, v0
	s_cbranch_execnz .LBB83_36
.LBB83_46:
	s_or_b32 exec_lo, exec_lo, s0
	s_delay_alu instid0(SALU_CYCLE_1)
	s_mov_b32 s0, exec_lo
	v_cmpx_gt_i32_e64 s1, v0
	s_cbranch_execz .LBB83_37
.LBB83_47:
	v_add_nc_u32_e32 v1, s2, v0
	v_add_nc_u32_e32 v0, 0x100, v0
	global_store_b16 v1, v3, s[6:7] scale_offset
	s_wait_xcnt 0x0
	s_or_b32 exec_lo, exec_lo, s0
	s_delay_alu instid0(SALU_CYCLE_1)
	s_mov_b32 s0, exec_lo
	v_cmpx_gt_i32_e64 s1, v0
	s_cbranch_execnz .LBB83_38
.LBB83_48:
	s_or_b32 exec_lo, exec_lo, s0
	s_delay_alu instid0(SALU_CYCLE_1)
	s_mov_b32 s0, exec_lo
	v_cmpx_gt_i32_e64 s1, v0
	s_cbranch_execz .LBB83_39
.LBB83_49:
	v_add_nc_u32_e32 v1, s2, v0
	v_add_nc_u32_e32 v0, 0x100, v0
	global_store_b16 v1, v6, s[6:7] scale_offset
	s_wait_xcnt 0x0
	s_or_b32 exec_lo, exec_lo, s0
	s_delay_alu instid0(SALU_CYCLE_1)
	s_mov_b32 s0, exec_lo
	v_cmpx_gt_i32_e64 s1, v0
	s_cbranch_execnz .LBB83_40
.LBB83_50:
	s_or_b32 exec_lo, exec_lo, s0
	s_delay_alu instid0(SALU_CYCLE_1)
	s_mov_b32 s0, exec_lo
	v_cmpx_gt_i32_e64 s1, v0
	s_cbranch_execz .LBB83_41
.LBB83_51:
	v_add_nc_u32_e32 v1, s2, v0
	v_add_nc_u32_e32 v0, 0x100, v0
	global_store_b16 v1, v8, s[6:7] scale_offset
	s_wait_xcnt 0x0
	s_or_b32 exec_lo, exec_lo, s0
	s_delay_alu instid0(SALU_CYCLE_1)
	s_mov_b32 s0, exec_lo
	v_cmpx_gt_i32_e64 s1, v0
	s_cbranch_execnz .LBB83_42
	s_branch .LBB83_43
	.section	.rodata,"a",@progbits
	.p2align	6, 0x0
	.amdhsa_kernel _ZN2at6native29vectorized_elementwise_kernelILi2EZZZNS0_12_GLOBAL__N_116addr_kernel_cudaERNS_14TensorIteratorERKN3c106ScalarES8_ENKUlvE_clEvENKUlvE3_clEvEUlsssE_St5arrayIPcLm4EEEEviT0_T1_
		.amdhsa_group_segment_fixed_size 0
		.amdhsa_private_segment_fixed_size 0
		.amdhsa_kernarg_size 40
		.amdhsa_user_sgpr_count 2
		.amdhsa_user_sgpr_dispatch_ptr 0
		.amdhsa_user_sgpr_queue_ptr 0
		.amdhsa_user_sgpr_kernarg_segment_ptr 1
		.amdhsa_user_sgpr_dispatch_id 0
		.amdhsa_user_sgpr_kernarg_preload_length 0
		.amdhsa_user_sgpr_kernarg_preload_offset 0
		.amdhsa_user_sgpr_private_segment_size 0
		.amdhsa_wavefront_size32 1
		.amdhsa_uses_dynamic_stack 0
		.amdhsa_enable_private_segment 0
		.amdhsa_system_sgpr_workgroup_id_x 1
		.amdhsa_system_sgpr_workgroup_id_y 0
		.amdhsa_system_sgpr_workgroup_id_z 0
		.amdhsa_system_sgpr_workgroup_info 0
		.amdhsa_system_vgpr_workitem_id 0
		.amdhsa_next_free_vgpr 20
		.amdhsa_next_free_sgpr 18
		.amdhsa_named_barrier_count 0
		.amdhsa_reserve_vcc 1
		.amdhsa_float_round_mode_32 0
		.amdhsa_float_round_mode_16_64 0
		.amdhsa_float_denorm_mode_32 3
		.amdhsa_float_denorm_mode_16_64 3
		.amdhsa_fp16_overflow 0
		.amdhsa_memory_ordered 1
		.amdhsa_forward_progress 1
		.amdhsa_inst_pref_size 17
		.amdhsa_round_robin_scheduling 0
		.amdhsa_exception_fp_ieee_invalid_op 0
		.amdhsa_exception_fp_denorm_src 0
		.amdhsa_exception_fp_ieee_div_zero 0
		.amdhsa_exception_fp_ieee_overflow 0
		.amdhsa_exception_fp_ieee_underflow 0
		.amdhsa_exception_fp_ieee_inexact 0
		.amdhsa_exception_int_div_zero 0
	.end_amdhsa_kernel
	.section	.text._ZN2at6native29vectorized_elementwise_kernelILi2EZZZNS0_12_GLOBAL__N_116addr_kernel_cudaERNS_14TensorIteratorERKN3c106ScalarES8_ENKUlvE_clEvENKUlvE3_clEvEUlsssE_St5arrayIPcLm4EEEEviT0_T1_,"axG",@progbits,_ZN2at6native29vectorized_elementwise_kernelILi2EZZZNS0_12_GLOBAL__N_116addr_kernel_cudaERNS_14TensorIteratorERKN3c106ScalarES8_ENKUlvE_clEvENKUlvE3_clEvEUlsssE_St5arrayIPcLm4EEEEviT0_T1_,comdat
.Lfunc_end83:
	.size	_ZN2at6native29vectorized_elementwise_kernelILi2EZZZNS0_12_GLOBAL__N_116addr_kernel_cudaERNS_14TensorIteratorERKN3c106ScalarES8_ENKUlvE_clEvENKUlvE3_clEvEUlsssE_St5arrayIPcLm4EEEEviT0_T1_, .Lfunc_end83-_ZN2at6native29vectorized_elementwise_kernelILi2EZZZNS0_12_GLOBAL__N_116addr_kernel_cudaERNS_14TensorIteratorERKN3c106ScalarES8_ENKUlvE_clEvENKUlvE3_clEvEUlsssE_St5arrayIPcLm4EEEEviT0_T1_
                                        ; -- End function
	.set _ZN2at6native29vectorized_elementwise_kernelILi2EZZZNS0_12_GLOBAL__N_116addr_kernel_cudaERNS_14TensorIteratorERKN3c106ScalarES8_ENKUlvE_clEvENKUlvE3_clEvEUlsssE_St5arrayIPcLm4EEEEviT0_T1_.num_vgpr, 20
	.set _ZN2at6native29vectorized_elementwise_kernelILi2EZZZNS0_12_GLOBAL__N_116addr_kernel_cudaERNS_14TensorIteratorERKN3c106ScalarES8_ENKUlvE_clEvENKUlvE3_clEvEUlsssE_St5arrayIPcLm4EEEEviT0_T1_.num_agpr, 0
	.set _ZN2at6native29vectorized_elementwise_kernelILi2EZZZNS0_12_GLOBAL__N_116addr_kernel_cudaERNS_14TensorIteratorERKN3c106ScalarES8_ENKUlvE_clEvENKUlvE3_clEvEUlsssE_St5arrayIPcLm4EEEEviT0_T1_.numbered_sgpr, 18
	.set _ZN2at6native29vectorized_elementwise_kernelILi2EZZZNS0_12_GLOBAL__N_116addr_kernel_cudaERNS_14TensorIteratorERKN3c106ScalarES8_ENKUlvE_clEvENKUlvE3_clEvEUlsssE_St5arrayIPcLm4EEEEviT0_T1_.num_named_barrier, 0
	.set _ZN2at6native29vectorized_elementwise_kernelILi2EZZZNS0_12_GLOBAL__N_116addr_kernel_cudaERNS_14TensorIteratorERKN3c106ScalarES8_ENKUlvE_clEvENKUlvE3_clEvEUlsssE_St5arrayIPcLm4EEEEviT0_T1_.private_seg_size, 0
	.set _ZN2at6native29vectorized_elementwise_kernelILi2EZZZNS0_12_GLOBAL__N_116addr_kernel_cudaERNS_14TensorIteratorERKN3c106ScalarES8_ENKUlvE_clEvENKUlvE3_clEvEUlsssE_St5arrayIPcLm4EEEEviT0_T1_.uses_vcc, 1
	.set _ZN2at6native29vectorized_elementwise_kernelILi2EZZZNS0_12_GLOBAL__N_116addr_kernel_cudaERNS_14TensorIteratorERKN3c106ScalarES8_ENKUlvE_clEvENKUlvE3_clEvEUlsssE_St5arrayIPcLm4EEEEviT0_T1_.uses_flat_scratch, 0
	.set _ZN2at6native29vectorized_elementwise_kernelILi2EZZZNS0_12_GLOBAL__N_116addr_kernel_cudaERNS_14TensorIteratorERKN3c106ScalarES8_ENKUlvE_clEvENKUlvE3_clEvEUlsssE_St5arrayIPcLm4EEEEviT0_T1_.has_dyn_sized_stack, 0
	.set _ZN2at6native29vectorized_elementwise_kernelILi2EZZZNS0_12_GLOBAL__N_116addr_kernel_cudaERNS_14TensorIteratorERKN3c106ScalarES8_ENKUlvE_clEvENKUlvE3_clEvEUlsssE_St5arrayIPcLm4EEEEviT0_T1_.has_recursion, 0
	.set _ZN2at6native29vectorized_elementwise_kernelILi2EZZZNS0_12_GLOBAL__N_116addr_kernel_cudaERNS_14TensorIteratorERKN3c106ScalarES8_ENKUlvE_clEvENKUlvE3_clEvEUlsssE_St5arrayIPcLm4EEEEviT0_T1_.has_indirect_call, 0
	.section	.AMDGPU.csdata,"",@progbits
; Kernel info:
; codeLenInByte = 2152
; TotalNumSgprs: 20
; NumVgprs: 20
; ScratchSize: 0
; MemoryBound: 0
; FloatMode: 240
; IeeeMode: 1
; LDSByteSize: 0 bytes/workgroup (compile time only)
; SGPRBlocks: 0
; VGPRBlocks: 1
; NumSGPRsForWavesPerEU: 20
; NumVGPRsForWavesPerEU: 20
; NamedBarCnt: 0
; Occupancy: 16
; WaveLimiterHint : 1
; COMPUTE_PGM_RSRC2:SCRATCH_EN: 0
; COMPUTE_PGM_RSRC2:USER_SGPR: 2
; COMPUTE_PGM_RSRC2:TRAP_HANDLER: 0
; COMPUTE_PGM_RSRC2:TGID_X_EN: 1
; COMPUTE_PGM_RSRC2:TGID_Y_EN: 0
; COMPUTE_PGM_RSRC2:TGID_Z_EN: 0
; COMPUTE_PGM_RSRC2:TIDIG_COMP_CNT: 0
	.section	.text._ZN2at6native27unrolled_elementwise_kernelIZZZNS0_12_GLOBAL__N_116addr_kernel_cudaERNS_14TensorIteratorERKN3c106ScalarES8_ENKUlvE_clEvENKUlvE3_clEvEUlsssE_St5arrayIPcLm4EELi4E23TrivialOffsetCalculatorILi3EjESF_ILi1EjENS0_6memory15LoadWithoutCastENSI_16StoreWithoutCastEEEviT_T0_T2_T3_T4_T5_,"axG",@progbits,_ZN2at6native27unrolled_elementwise_kernelIZZZNS0_12_GLOBAL__N_116addr_kernel_cudaERNS_14TensorIteratorERKN3c106ScalarES8_ENKUlvE_clEvENKUlvE3_clEvEUlsssE_St5arrayIPcLm4EELi4E23TrivialOffsetCalculatorILi3EjESF_ILi1EjENS0_6memory15LoadWithoutCastENSI_16StoreWithoutCastEEEviT_T0_T2_T3_T4_T5_,comdat
	.globl	_ZN2at6native27unrolled_elementwise_kernelIZZZNS0_12_GLOBAL__N_116addr_kernel_cudaERNS_14TensorIteratorERKN3c106ScalarES8_ENKUlvE_clEvENKUlvE3_clEvEUlsssE_St5arrayIPcLm4EELi4E23TrivialOffsetCalculatorILi3EjESF_ILi1EjENS0_6memory15LoadWithoutCastENSI_16StoreWithoutCastEEEviT_T0_T2_T3_T4_T5_ ; -- Begin function _ZN2at6native27unrolled_elementwise_kernelIZZZNS0_12_GLOBAL__N_116addr_kernel_cudaERNS_14TensorIteratorERKN3c106ScalarES8_ENKUlvE_clEvENKUlvE3_clEvEUlsssE_St5arrayIPcLm4EELi4E23TrivialOffsetCalculatorILi3EjESF_ILi1EjENS0_6memory15LoadWithoutCastENSI_16StoreWithoutCastEEEviT_T0_T2_T3_T4_T5_
	.p2align	8
	.type	_ZN2at6native27unrolled_elementwise_kernelIZZZNS0_12_GLOBAL__N_116addr_kernel_cudaERNS_14TensorIteratorERKN3c106ScalarES8_ENKUlvE_clEvENKUlvE3_clEvEUlsssE_St5arrayIPcLm4EELi4E23TrivialOffsetCalculatorILi3EjESF_ILi1EjENS0_6memory15LoadWithoutCastENSI_16StoreWithoutCastEEEviT_T0_T2_T3_T4_T5_,@function
_ZN2at6native27unrolled_elementwise_kernelIZZZNS0_12_GLOBAL__N_116addr_kernel_cudaERNS_14TensorIteratorERKN3c106ScalarES8_ENKUlvE_clEvENKUlvE3_clEvEUlsssE_St5arrayIPcLm4EELi4E23TrivialOffsetCalculatorILi3EjESF_ILi1EjENS0_6memory15LoadWithoutCastENSI_16StoreWithoutCastEEEviT_T0_T2_T3_T4_T5_: ; @_ZN2at6native27unrolled_elementwise_kernelIZZZNS0_12_GLOBAL__N_116addr_kernel_cudaERNS_14TensorIteratorERKN3c106ScalarES8_ENKUlvE_clEvENKUlvE3_clEvEUlsssE_St5arrayIPcLm4EELi4E23TrivialOffsetCalculatorILi3EjESF_ILi1EjENS0_6memory15LoadWithoutCastENSI_16StoreWithoutCastEEEviT_T0_T2_T3_T4_T5_
; %bb.0:
	s_clause 0x1
	s_load_b64 s[2:3], s[0:1], 0x0
	s_load_b128 s[4:7], s[0:1], 0x18
	s_bfe_u32 s9, ttmp6, 0x4000c
	s_and_b32 s8, ttmp6, 15
	s_add_co_i32 s9, s9, 1
	s_getreg_b32 s10, hwreg(HW_REG_IB_STS2, 6, 4)
	s_mul_i32 s9, ttmp9, s9
	v_dual_mov_b32 v3, 0 :: v_dual_mov_b32 v4, 0
	s_add_co_i32 s8, s8, s9
	s_cmp_eq_u32 s10, 0
	v_or_b32_e32 v1, 0x100, v0
	s_cselect_b32 s8, ttmp9, s8
	v_mov_b32_e32 v11, v0
	s_lshl_b32 s8, s8, 10
	s_delay_alu instid0(SALU_CYCLE_1) | instskip(SKIP_2) | instid1(SALU_CYCLE_1)
	v_dual_mov_b32 v5, 0 :: v_dual_bitop2_b32 v2, s8, v0 bitop3:0x54
	s_wait_kmcnt 0x0
	s_sub_co_i32 s9, s2, s8
	v_cmp_gt_i32_e32 vcc_lo, s9, v0
	s_and_saveexec_b32 s2, vcc_lo
	s_cbranch_execz .LBB84_2
; %bb.1:
	s_clause 0x1
	global_load_u16 v4, v2, s[4:5] scale_offset
	global_load_u16 v5, v2, s[6:7] scale_offset
	v_or_b32_e32 v11, 0x100, v0
.LBB84_2:
	s_wait_xcnt 0x0
	s_or_b32 exec_lo, exec_lo, s2
	v_mov_b32_e32 v7, 0
	s_mov_b32 s10, exec_lo
	v_cmpx_gt_i32_e64 s9, v11
	s_cbranch_execz .LBB84_4
; %bb.3:
	v_add_nc_u32_e32 v6, s8, v11
	v_add_nc_u32_e32 v11, 0x100, v11
	s_clause 0x1
	global_load_u16 v3, v6, s[4:5] scale_offset
	global_load_u16 v7, v6, s[6:7] scale_offset
.LBB84_4:
	s_wait_xcnt 0x0
	s_or_b32 exec_lo, exec_lo, s10
	v_dual_mov_b32 v6, 0 :: v_dual_mov_b32 v8, 0
	v_mov_b32_e32 v9, 0
	s_mov_b32 s10, exec_lo
	v_cmpx_gt_i32_e64 s9, v11
	s_cbranch_execz .LBB84_6
; %bb.5:
	v_add_nc_u32_e32 v10, s8, v11
	v_add_nc_u32_e32 v11, 0x100, v11
	s_clause 0x1
	global_load_u16 v8, v10, s[4:5] scale_offset
	global_load_u16 v9, v10, s[6:7] scale_offset
.LBB84_6:
	s_wait_xcnt 0x0
	s_or_b32 exec_lo, exec_lo, s10
	v_mov_b32_e32 v10, 0
	s_mov_b32 s10, exec_lo
	v_cmpx_gt_i32_e64 s9, v11
	s_cbranch_execz .LBB84_8
; %bb.7:
	v_add_nc_u32_e32 v11, s8, v11
	s_clause 0x1
	global_load_u16 v6, v11, s[4:5] scale_offset
	global_load_u16 v10, v11, s[6:7] scale_offset
	s_wait_xcnt 0x0
	s_or_b32 exec_lo, exec_lo, s10
                                        ; implicit-def: $vgpr11
	s_and_saveexec_b32 s2, vcc_lo
	s_cbranch_execz .LBB84_10
	s_branch .LBB84_9
.LBB84_8:
	s_or_b32 exec_lo, exec_lo, s10
                                        ; implicit-def: $vgpr11
	s_and_saveexec_b32 s2, vcc_lo
	s_cbranch_execz .LBB84_10
.LBB84_9:
	s_wait_loadcnt 0x1
	v_mul_lo_u16 v4, v4, s3
	s_wait_loadcnt 0x0
	s_delay_alu instid0(VALU_DEP_1)
	v_mul_lo_u16 v11, v4, v5
.LBB84_10:
	s_or_b32 exec_lo, exec_lo, s2
	s_delay_alu instid0(SALU_CYCLE_1)
	s_mov_b32 s4, exec_lo
                                        ; implicit-def: $vgpr4
	v_cmpx_gt_i32_e64 s9, v1
	s_cbranch_execz .LBB84_12
; %bb.11:
	s_wait_loadcnt 0x1
	v_mul_lo_u16 v3, v3, s3
	s_wait_loadcnt 0x0
	s_delay_alu instid0(VALU_DEP_1)
	v_mul_lo_u16 v4, v3, v7
.LBB84_12:
	s_or_b32 exec_lo, exec_lo, s4
	s_wait_loadcnt 0x1
	v_or_b32_e32 v3, 0x200, v0
	s_delay_alu instid0(VALU_DEP_1)
	v_cmp_gt_i32_e64 s2, s9, v3
                                        ; implicit-def: $vgpr3
	s_and_saveexec_b32 s4, s2
	s_cbranch_execz .LBB84_14
; %bb.13:
	v_mul_lo_u16 v3, v8, s3
	s_wait_loadcnt 0x0
	s_delay_alu instid0(VALU_DEP_1)
	v_mul_lo_u16 v3, v3, v9
.LBB84_14:
	s_or_b32 exec_lo, exec_lo, s4
	s_load_b64 s[4:5], s[0:1], 0x8
	s_wait_loadcnt 0x0
	v_or_b32_e32 v5, 0x300, v0
	s_wait_xcnt 0x0
	s_delay_alu instid0(VALU_DEP_1)
	v_cmp_gt_i32_e64 s0, s9, v5
                                        ; implicit-def: $vgpr5
	s_and_saveexec_b32 s1, s0
	s_cbranch_execz .LBB84_20
; %bb.15:
	v_mul_lo_u16 v5, v6, s3
	s_delay_alu instid0(VALU_DEP_1) | instskip(SKIP_2) | instid1(SALU_CYCLE_1)
	v_mul_lo_u16 v5, v5, v10
	s_or_b32 exec_lo, exec_lo, s1
	s_and_saveexec_b32 s0, vcc_lo
	s_xor_b32 s0, exec_lo, s0
	s_cbranch_execnz .LBB84_21
.LBB84_16:
	s_or_b32 exec_lo, exec_lo, s0
	s_delay_alu instid0(SALU_CYCLE_1)
	s_mov_b32 s0, exec_lo
	v_cmpx_gt_i32_e64 s9, v0
	s_cbranch_execz .LBB84_22
.LBB84_17:
	v_add_nc_u32_e32 v1, 0x100, v0
	s_delay_alu instid0(VALU_DEP_1) | instskip(SKIP_4) | instid1(SALU_CYCLE_1)
	v_dual_add_nc_u32 v2, s8, v0 :: v_dual_mov_b32 v0, v1
	s_wait_kmcnt 0x0
	global_store_b16 v2, v4, s[4:5] scale_offset
	s_wait_xcnt 0x0
	s_or_b32 exec_lo, exec_lo, s0
	s_mov_b32 s0, exec_lo
	v_cmpx_gt_i32_e64 s9, v0
	s_cbranch_execnz .LBB84_23
.LBB84_18:
	s_or_b32 exec_lo, exec_lo, s0
	s_delay_alu instid0(SALU_CYCLE_1)
	s_mov_b32 s0, exec_lo
	v_cmpx_gt_i32_e64 s9, v0
	s_cbranch_execz .LBB84_24
.LBB84_19:
	v_add_nc_u32_e32 v0, s8, v0
	s_wait_kmcnt 0x0
	global_store_b16 v0, v5, s[4:5] scale_offset
	s_endpgm
.LBB84_20:
	s_or_b32 exec_lo, exec_lo, s1
	s_and_saveexec_b32 s0, vcc_lo
	s_delay_alu instid0(SALU_CYCLE_1)
	s_xor_b32 s0, exec_lo, s0
	s_cbranch_execz .LBB84_16
.LBB84_21:
	v_mov_b32_e32 v0, v1
	s_wait_kmcnt 0x0
	global_store_b16 v2, v11, s[4:5] scale_offset
	s_wait_xcnt 0x0
	s_or_b32 exec_lo, exec_lo, s0
	s_delay_alu instid0(SALU_CYCLE_1)
	s_mov_b32 s0, exec_lo
	v_cmpx_gt_i32_e64 s9, v0
	s_cbranch_execnz .LBB84_17
.LBB84_22:
	s_or_b32 exec_lo, exec_lo, s0
	s_delay_alu instid0(SALU_CYCLE_1)
	s_mov_b32 s0, exec_lo
	v_cmpx_gt_i32_e64 s9, v0
	s_cbranch_execz .LBB84_18
.LBB84_23:
	v_add_nc_u32_e32 v1, 0x100, v0
	s_delay_alu instid0(VALU_DEP_1) | instskip(SKIP_4) | instid1(SALU_CYCLE_1)
	v_dual_add_nc_u32 v2, s8, v0 :: v_dual_mov_b32 v0, v1
	s_wait_kmcnt 0x0
	global_store_b16 v2, v3, s[4:5] scale_offset
	s_wait_xcnt 0x0
	s_or_b32 exec_lo, exec_lo, s0
	s_mov_b32 s0, exec_lo
	v_cmpx_gt_i32_e64 s9, v0
	s_cbranch_execnz .LBB84_19
.LBB84_24:
	s_endpgm
	.section	.rodata,"a",@progbits
	.p2align	6, 0x0
	.amdhsa_kernel _ZN2at6native27unrolled_elementwise_kernelIZZZNS0_12_GLOBAL__N_116addr_kernel_cudaERNS_14TensorIteratorERKN3c106ScalarES8_ENKUlvE_clEvENKUlvE3_clEvEUlsssE_St5arrayIPcLm4EELi4E23TrivialOffsetCalculatorILi3EjESF_ILi1EjENS0_6memory15LoadWithoutCastENSI_16StoreWithoutCastEEEviT_T0_T2_T3_T4_T5_
		.amdhsa_group_segment_fixed_size 0
		.amdhsa_private_segment_fixed_size 0
		.amdhsa_kernarg_size 44
		.amdhsa_user_sgpr_count 2
		.amdhsa_user_sgpr_dispatch_ptr 0
		.amdhsa_user_sgpr_queue_ptr 0
		.amdhsa_user_sgpr_kernarg_segment_ptr 1
		.amdhsa_user_sgpr_dispatch_id 0
		.amdhsa_user_sgpr_kernarg_preload_length 0
		.amdhsa_user_sgpr_kernarg_preload_offset 0
		.amdhsa_user_sgpr_private_segment_size 0
		.amdhsa_wavefront_size32 1
		.amdhsa_uses_dynamic_stack 0
		.amdhsa_enable_private_segment 0
		.amdhsa_system_sgpr_workgroup_id_x 1
		.amdhsa_system_sgpr_workgroup_id_y 0
		.amdhsa_system_sgpr_workgroup_id_z 0
		.amdhsa_system_sgpr_workgroup_info 0
		.amdhsa_system_vgpr_workitem_id 0
		.amdhsa_next_free_vgpr 12
		.amdhsa_next_free_sgpr 11
		.amdhsa_named_barrier_count 0
		.amdhsa_reserve_vcc 1
		.amdhsa_float_round_mode_32 0
		.amdhsa_float_round_mode_16_64 0
		.amdhsa_float_denorm_mode_32 3
		.amdhsa_float_denorm_mode_16_64 3
		.amdhsa_fp16_overflow 0
		.amdhsa_memory_ordered 1
		.amdhsa_forward_progress 1
		.amdhsa_inst_pref_size 8
		.amdhsa_round_robin_scheduling 0
		.amdhsa_exception_fp_ieee_invalid_op 0
		.amdhsa_exception_fp_denorm_src 0
		.amdhsa_exception_fp_ieee_div_zero 0
		.amdhsa_exception_fp_ieee_overflow 0
		.amdhsa_exception_fp_ieee_underflow 0
		.amdhsa_exception_fp_ieee_inexact 0
		.amdhsa_exception_int_div_zero 0
	.end_amdhsa_kernel
	.section	.text._ZN2at6native27unrolled_elementwise_kernelIZZZNS0_12_GLOBAL__N_116addr_kernel_cudaERNS_14TensorIteratorERKN3c106ScalarES8_ENKUlvE_clEvENKUlvE3_clEvEUlsssE_St5arrayIPcLm4EELi4E23TrivialOffsetCalculatorILi3EjESF_ILi1EjENS0_6memory15LoadWithoutCastENSI_16StoreWithoutCastEEEviT_T0_T2_T3_T4_T5_,"axG",@progbits,_ZN2at6native27unrolled_elementwise_kernelIZZZNS0_12_GLOBAL__N_116addr_kernel_cudaERNS_14TensorIteratorERKN3c106ScalarES8_ENKUlvE_clEvENKUlvE3_clEvEUlsssE_St5arrayIPcLm4EELi4E23TrivialOffsetCalculatorILi3EjESF_ILi1EjENS0_6memory15LoadWithoutCastENSI_16StoreWithoutCastEEEviT_T0_T2_T3_T4_T5_,comdat
.Lfunc_end84:
	.size	_ZN2at6native27unrolled_elementwise_kernelIZZZNS0_12_GLOBAL__N_116addr_kernel_cudaERNS_14TensorIteratorERKN3c106ScalarES8_ENKUlvE_clEvENKUlvE3_clEvEUlsssE_St5arrayIPcLm4EELi4E23TrivialOffsetCalculatorILi3EjESF_ILi1EjENS0_6memory15LoadWithoutCastENSI_16StoreWithoutCastEEEviT_T0_T2_T3_T4_T5_, .Lfunc_end84-_ZN2at6native27unrolled_elementwise_kernelIZZZNS0_12_GLOBAL__N_116addr_kernel_cudaERNS_14TensorIteratorERKN3c106ScalarES8_ENKUlvE_clEvENKUlvE3_clEvEUlsssE_St5arrayIPcLm4EELi4E23TrivialOffsetCalculatorILi3EjESF_ILi1EjENS0_6memory15LoadWithoutCastENSI_16StoreWithoutCastEEEviT_T0_T2_T3_T4_T5_
                                        ; -- End function
	.set _ZN2at6native27unrolled_elementwise_kernelIZZZNS0_12_GLOBAL__N_116addr_kernel_cudaERNS_14TensorIteratorERKN3c106ScalarES8_ENKUlvE_clEvENKUlvE3_clEvEUlsssE_St5arrayIPcLm4EELi4E23TrivialOffsetCalculatorILi3EjESF_ILi1EjENS0_6memory15LoadWithoutCastENSI_16StoreWithoutCastEEEviT_T0_T2_T3_T4_T5_.num_vgpr, 12
	.set _ZN2at6native27unrolled_elementwise_kernelIZZZNS0_12_GLOBAL__N_116addr_kernel_cudaERNS_14TensorIteratorERKN3c106ScalarES8_ENKUlvE_clEvENKUlvE3_clEvEUlsssE_St5arrayIPcLm4EELi4E23TrivialOffsetCalculatorILi3EjESF_ILi1EjENS0_6memory15LoadWithoutCastENSI_16StoreWithoutCastEEEviT_T0_T2_T3_T4_T5_.num_agpr, 0
	.set _ZN2at6native27unrolled_elementwise_kernelIZZZNS0_12_GLOBAL__N_116addr_kernel_cudaERNS_14TensorIteratorERKN3c106ScalarES8_ENKUlvE_clEvENKUlvE3_clEvEUlsssE_St5arrayIPcLm4EELi4E23TrivialOffsetCalculatorILi3EjESF_ILi1EjENS0_6memory15LoadWithoutCastENSI_16StoreWithoutCastEEEviT_T0_T2_T3_T4_T5_.numbered_sgpr, 11
	.set _ZN2at6native27unrolled_elementwise_kernelIZZZNS0_12_GLOBAL__N_116addr_kernel_cudaERNS_14TensorIteratorERKN3c106ScalarES8_ENKUlvE_clEvENKUlvE3_clEvEUlsssE_St5arrayIPcLm4EELi4E23TrivialOffsetCalculatorILi3EjESF_ILi1EjENS0_6memory15LoadWithoutCastENSI_16StoreWithoutCastEEEviT_T0_T2_T3_T4_T5_.num_named_barrier, 0
	.set _ZN2at6native27unrolled_elementwise_kernelIZZZNS0_12_GLOBAL__N_116addr_kernel_cudaERNS_14TensorIteratorERKN3c106ScalarES8_ENKUlvE_clEvENKUlvE3_clEvEUlsssE_St5arrayIPcLm4EELi4E23TrivialOffsetCalculatorILi3EjESF_ILi1EjENS0_6memory15LoadWithoutCastENSI_16StoreWithoutCastEEEviT_T0_T2_T3_T4_T5_.private_seg_size, 0
	.set _ZN2at6native27unrolled_elementwise_kernelIZZZNS0_12_GLOBAL__N_116addr_kernel_cudaERNS_14TensorIteratorERKN3c106ScalarES8_ENKUlvE_clEvENKUlvE3_clEvEUlsssE_St5arrayIPcLm4EELi4E23TrivialOffsetCalculatorILi3EjESF_ILi1EjENS0_6memory15LoadWithoutCastENSI_16StoreWithoutCastEEEviT_T0_T2_T3_T4_T5_.uses_vcc, 1
	.set _ZN2at6native27unrolled_elementwise_kernelIZZZNS0_12_GLOBAL__N_116addr_kernel_cudaERNS_14TensorIteratorERKN3c106ScalarES8_ENKUlvE_clEvENKUlvE3_clEvEUlsssE_St5arrayIPcLm4EELi4E23TrivialOffsetCalculatorILi3EjESF_ILi1EjENS0_6memory15LoadWithoutCastENSI_16StoreWithoutCastEEEviT_T0_T2_T3_T4_T5_.uses_flat_scratch, 0
	.set _ZN2at6native27unrolled_elementwise_kernelIZZZNS0_12_GLOBAL__N_116addr_kernel_cudaERNS_14TensorIteratorERKN3c106ScalarES8_ENKUlvE_clEvENKUlvE3_clEvEUlsssE_St5arrayIPcLm4EELi4E23TrivialOffsetCalculatorILi3EjESF_ILi1EjENS0_6memory15LoadWithoutCastENSI_16StoreWithoutCastEEEviT_T0_T2_T3_T4_T5_.has_dyn_sized_stack, 0
	.set _ZN2at6native27unrolled_elementwise_kernelIZZZNS0_12_GLOBAL__N_116addr_kernel_cudaERNS_14TensorIteratorERKN3c106ScalarES8_ENKUlvE_clEvENKUlvE3_clEvEUlsssE_St5arrayIPcLm4EELi4E23TrivialOffsetCalculatorILi3EjESF_ILi1EjENS0_6memory15LoadWithoutCastENSI_16StoreWithoutCastEEEviT_T0_T2_T3_T4_T5_.has_recursion, 0
	.set _ZN2at6native27unrolled_elementwise_kernelIZZZNS0_12_GLOBAL__N_116addr_kernel_cudaERNS_14TensorIteratorERKN3c106ScalarES8_ENKUlvE_clEvENKUlvE3_clEvEUlsssE_St5arrayIPcLm4EELi4E23TrivialOffsetCalculatorILi3EjESF_ILi1EjENS0_6memory15LoadWithoutCastENSI_16StoreWithoutCastEEEviT_T0_T2_T3_T4_T5_.has_indirect_call, 0
	.section	.AMDGPU.csdata,"",@progbits
; Kernel info:
; codeLenInByte = 912
; TotalNumSgprs: 13
; NumVgprs: 12
; ScratchSize: 0
; MemoryBound: 0
; FloatMode: 240
; IeeeMode: 1
; LDSByteSize: 0 bytes/workgroup (compile time only)
; SGPRBlocks: 0
; VGPRBlocks: 0
; NumSGPRsForWavesPerEU: 13
; NumVGPRsForWavesPerEU: 12
; NamedBarCnt: 0
; Occupancy: 16
; WaveLimiterHint : 0
; COMPUTE_PGM_RSRC2:SCRATCH_EN: 0
; COMPUTE_PGM_RSRC2:USER_SGPR: 2
; COMPUTE_PGM_RSRC2:TRAP_HANDLER: 0
; COMPUTE_PGM_RSRC2:TGID_X_EN: 1
; COMPUTE_PGM_RSRC2:TGID_Y_EN: 0
; COMPUTE_PGM_RSRC2:TGID_Z_EN: 0
; COMPUTE_PGM_RSRC2:TIDIG_COMP_CNT: 0
	.section	.text._ZN2at6native32elementwise_kernel_manual_unrollILi128ELi8EZNS0_22gpu_kernel_impl_nocastIZZZNS0_12_GLOBAL__N_116addr_kernel_cudaERNS_14TensorIteratorERKN3c106ScalarES9_ENKUlvE_clEvENKUlvE3_clEvEUlsssE_EEvRNS_18TensorIteratorBaseERKT_EUlibE_EEviT1_,"axG",@progbits,_ZN2at6native32elementwise_kernel_manual_unrollILi128ELi8EZNS0_22gpu_kernel_impl_nocastIZZZNS0_12_GLOBAL__N_116addr_kernel_cudaERNS_14TensorIteratorERKN3c106ScalarES9_ENKUlvE_clEvENKUlvE3_clEvEUlsssE_EEvRNS_18TensorIteratorBaseERKT_EUlibE_EEviT1_,comdat
	.globl	_ZN2at6native32elementwise_kernel_manual_unrollILi128ELi8EZNS0_22gpu_kernel_impl_nocastIZZZNS0_12_GLOBAL__N_116addr_kernel_cudaERNS_14TensorIteratorERKN3c106ScalarES9_ENKUlvE_clEvENKUlvE3_clEvEUlsssE_EEvRNS_18TensorIteratorBaseERKT_EUlibE_EEviT1_ ; -- Begin function _ZN2at6native32elementwise_kernel_manual_unrollILi128ELi8EZNS0_22gpu_kernel_impl_nocastIZZZNS0_12_GLOBAL__N_116addr_kernel_cudaERNS_14TensorIteratorERKN3c106ScalarES9_ENKUlvE_clEvENKUlvE3_clEvEUlsssE_EEvRNS_18TensorIteratorBaseERKT_EUlibE_EEviT1_
	.p2align	8
	.type	_ZN2at6native32elementwise_kernel_manual_unrollILi128ELi8EZNS0_22gpu_kernel_impl_nocastIZZZNS0_12_GLOBAL__N_116addr_kernel_cudaERNS_14TensorIteratorERKN3c106ScalarES9_ENKUlvE_clEvENKUlvE3_clEvEUlsssE_EEvRNS_18TensorIteratorBaseERKT_EUlibE_EEviT1_,@function
_ZN2at6native32elementwise_kernel_manual_unrollILi128ELi8EZNS0_22gpu_kernel_impl_nocastIZZZNS0_12_GLOBAL__N_116addr_kernel_cudaERNS_14TensorIteratorERKN3c106ScalarES9_ENKUlvE_clEvENKUlvE3_clEvEUlsssE_EEvRNS_18TensorIteratorBaseERKT_EUlibE_EEviT1_: ; @_ZN2at6native32elementwise_kernel_manual_unrollILi128ELi8EZNS0_22gpu_kernel_impl_nocastIZZZNS0_12_GLOBAL__N_116addr_kernel_cudaERNS_14TensorIteratorERKN3c106ScalarES9_ENKUlvE_clEvENKUlvE3_clEvEUlsssE_EEvRNS_18TensorIteratorBaseERKT_EUlibE_EEviT1_
; %bb.0:
	s_clause 0x1
	s_load_b32 s11, s[0:1], 0x8
	s_load_b32 s36, s[0:1], 0x0
	s_bfe_u32 s2, ttmp6, 0x4000c
	s_and_b32 s3, ttmp6, 15
	s_add_co_i32 s2, s2, 1
	s_getreg_b32 s4, hwreg(HW_REG_IB_STS2, 6, 4)
	s_mul_i32 s2, ttmp9, s2
	s_add_nc_u64 s[12:13], s[0:1], 8
	s_add_co_i32 s3, s3, s2
	s_cmp_eq_u32 s4, 0
	s_mov_b32 s21, 0
	s_cselect_b32 s2, ttmp9, s3
	s_wait_xcnt 0x0
	s_mov_b32 s0, exec_lo
	v_lshl_or_b32 v0, s2, 10, v0
	s_delay_alu instid0(VALU_DEP_1) | instskip(SKIP_2) | instid1(SALU_CYCLE_1)
	v_or_b32_e32 v4, 0x380, v0
	s_wait_kmcnt 0x0
	s_add_co_i32 s28, s11, -1
	s_cmp_gt_u32 s28, 1
	s_cselect_b32 s29, -1, 0
	v_cmpx_le_i32_e64 s36, v4
	s_xor_b32 s30, exec_lo, s0
	s_cbranch_execz .LBB85_106
; %bb.1:
	s_clause 0x7
	s_load_b128 s[4:7], s[12:13], 0x4
	s_load_b64 s[16:17], s[12:13], 0x14
	s_load_b32 s33, s[12:13], 0xc4
	s_load_b96 s[8:10], s[12:13], 0xcc
	s_load_b64 s[18:19], s[12:13], 0xdc
	s_load_b64 s[14:15], s[12:13], 0x1c8
	s_load_b32 s31, s[12:13], 0x1e8
	s_load_b128 s[0:3], s[12:13], 0x1d8
	s_cmp_lg_u32 s11, 0
	s_mov_b32 s23, s21
	s_cselect_b32 s37, -1, 0
	s_min_u32 s35, s28, 15
	s_cmp_gt_u32 s11, 1
	s_cselect_b32 s34, -1, 0
	s_wait_kmcnt 0x0
	s_mov_b32 s20, s5
	s_mov_b32 s22, s16
	s_mov_b32 s5, exec_lo
	v_cmpx_gt_i32_e64 s36, v0
	s_cbranch_execnz .LBB85_9
; %bb.2:
	s_or_b32 exec_lo, exec_lo, s5
	s_delay_alu instid0(SALU_CYCLE_1)
	s_mov_b32 s5, exec_lo
	v_cmpx_gt_i32_e64 s36, v0
	s_cbranch_execnz .LBB85_21
.LBB85_3:
	s_or_b32 exec_lo, exec_lo, s5
	s_delay_alu instid0(SALU_CYCLE_1)
	s_mov_b32 s5, exec_lo
	v_cmpx_gt_i32_e64 s36, v0
	s_cbranch_execnz .LBB85_33
.LBB85_4:
	s_or_b32 exec_lo, exec_lo, s5
	s_delay_alu instid0(SALU_CYCLE_1)
	s_mov_b32 s5, exec_lo
	v_cmpx_gt_i32_e64 s36, v0
	s_cbranch_execnz .LBB85_45
.LBB85_5:
	s_or_b32 exec_lo, exec_lo, s5
	s_delay_alu instid0(SALU_CYCLE_1)
	s_mov_b32 s5, exec_lo
	v_cmpx_gt_i32_e64 s36, v0
	s_cbranch_execnz .LBB85_57
.LBB85_6:
	s_or_b32 exec_lo, exec_lo, s5
	s_delay_alu instid0(SALU_CYCLE_1)
	s_mov_b32 s5, exec_lo
	v_cmpx_gt_i32_e64 s36, v0
	s_cbranch_execnz .LBB85_69
.LBB85_7:
	s_or_b32 exec_lo, exec_lo, s5
	s_delay_alu instid0(SALU_CYCLE_1)
	s_mov_b32 s5, exec_lo
	v_cmpx_gt_i32_e64 s36, v0
	s_cbranch_execnz .LBB85_81
.LBB85_8:
	s_or_b32 exec_lo, exec_lo, s5
	s_delay_alu instid0(SALU_CYCLE_1)
	s_mov_b32 s5, exec_lo
	v_cmpx_gt_i32_e64 s36, v0
	s_cbranch_execnz .LBB85_93
	s_branch .LBB85_105
.LBB85_9:
	s_and_not1_b32 vcc_lo, exec_lo, s29
	s_cbranch_vccnz .LBB85_15
; %bb.10:
	s_and_not1_b32 vcc_lo, exec_lo, s37
	s_cbranch_vccnz .LBB85_16
; %bb.11:
	v_dual_mov_b32 v4, 0 :: v_dual_mov_b32 v1, v0
	v_dual_mov_b32 v6, 0 :: v_dual_mov_b32 v5, 0
	s_add_co_i32 s16, s35, 1
	s_mov_b64 s[24:25], 0xffffffffffffffe0
	s_and_b32 s16, s16, 30
	s_add_nc_u64 s[24:25], s[12:13], s[24:25]
	s_mov_b64 s[26:27], s[12:13]
.LBB85_12:                              ; =>This Inner Loop Header: Depth=1
	s_clause 0x1
	s_load_b128 s[40:43], s[26:27], 0x4
	s_load_b64 s[38:39], s[26:27], 0x14
	s_load_b32 s44, s[24:25], 0xe4
	s_add_co_i32 s16, s16, -2
	s_wait_xcnt 0x0
	s_add_nc_u64 s[26:27], s[26:27], 24
	s_cmp_lg_u32 s16, 0
	s_wait_kmcnt 0x0
	v_mul_hi_u32 v2, s41, v1
	s_delay_alu instid0(VALU_DEP_1) | instskip(NEXT) | instid1(VALU_DEP_1)
	v_add_nc_u32_e32 v2, v1, v2
	v_lshrrev_b32_e32 v2, s42, v2
	s_delay_alu instid0(VALU_DEP_1) | instskip(SKIP_2) | instid1(VALU_DEP_2)
	v_mul_hi_u32 v3, s38, v2
	v_mul_lo_u32 v7, v2, s40
	s_load_b96 s[40:42], s[24:25], 0xec
	v_add_nc_u32_e32 v3, v2, v3
	s_delay_alu instid0(VALU_DEP_2) | instskip(NEXT) | instid1(VALU_DEP_2)
	v_sub_nc_u32_e32 v7, v1, v7
	v_lshrrev_b32_e32 v1, s39, v3
	s_load_b64 s[38:39], s[24:25], 0xfc
	s_delay_alu instid0(VALU_DEP_2)
	v_mad_u32 v4, v7, s44, v4
	s_wait_xcnt 0x0
	s_add_nc_u64 s[24:25], s[24:25], 32
	v_mul_lo_u32 v3, v1, s43
	s_wait_kmcnt 0x0
	v_mad_u32 v5, v7, s41, v5
	v_mad_u32 v6, v7, s40, v6
	s_delay_alu instid0(VALU_DEP_3) | instskip(NEXT) | instid1(VALU_DEP_1)
	v_sub_nc_u32_e32 v2, v2, v3
	v_mad_u32 v4, v2, s42, v4
	s_delay_alu instid0(VALU_DEP_4) | instskip(NEXT) | instid1(VALU_DEP_4)
	v_mad_u32 v5, v2, s39, v5
	v_mad_u32 v6, v2, s38, v6
	s_cbranch_scc1 .LBB85_12
; %bb.13:
	s_bitcmp1_b32 s35, 0
	s_cselect_b32 s16, -1, 0
	s_delay_alu instid0(SALU_CYCLE_1)
	s_and_b32 vcc_lo, exec_lo, s16
	s_cbranch_vccnz .LBB85_17
; %bb.14:
	s_load_b96 s[40:42], s[26:27], 0x4
	s_load_b32 s16, s[24:25], 0xe4
	s_wait_xcnt 0x0
	s_load_b64 s[26:27], s[24:25], 0xec
	s_wait_kmcnt 0x0
	v_mul_hi_u32 v2, s41, v1
	s_delay_alu instid0(VALU_DEP_1) | instskip(NEXT) | instid1(VALU_DEP_1)
	v_add_nc_u32_e32 v2, v1, v2
	v_lshrrev_b32_e32 v2, s42, v2
	s_delay_alu instid0(VALU_DEP_1) | instskip(NEXT) | instid1(VALU_DEP_1)
	v_mul_lo_u32 v2, v2, s40
	v_sub_nc_u32_e32 v1, v1, v2
	s_delay_alu instid0(VALU_DEP_1)
	v_mad_u32 v4, v1, s16, v4
	v_mad_u32 v6, v1, s26, v6
	;; [unrolled: 1-line block ×3, first 2 shown]
	s_cbranch_execz .LBB85_18
	s_branch .LBB85_20
.LBB85_15:
                                        ; implicit-def: $vgpr5
                                        ; implicit-def: $vgpr6
                                        ; implicit-def: $vgpr4
	s_branch .LBB85_18
.LBB85_16:
	v_dual_mov_b32 v5, 0 :: v_dual_mov_b32 v6, 0
	v_mov_b32_e32 v4, 0
.LBB85_17:
	s_cbranch_execnz .LBB85_20
.LBB85_18:
	v_mov_b32_e32 v1, 0
	s_and_not1_b32 vcc_lo, exec_lo, s34
	s_delay_alu instid0(VALU_DEP_1) | instskip(NEXT) | instid1(VALU_DEP_1)
	v_mul_u64_e32 v[2:3], s[20:21], v[0:1]
	v_add_nc_u32_e32 v2, v0, v3
	s_delay_alu instid0(VALU_DEP_1) | instskip(NEXT) | instid1(VALU_DEP_1)
	v_lshrrev_b32_e32 v2, s6, v2
	v_mul_lo_u32 v3, v2, s4
	s_delay_alu instid0(VALU_DEP_1) | instskip(NEXT) | instid1(VALU_DEP_1)
	v_sub_nc_u32_e32 v3, v0, v3
	v_mul_lo_u32 v4, v3, s33
	v_mul_lo_u32 v5, v3, s9
	;; [unrolled: 1-line block ×3, first 2 shown]
	s_cbranch_vccnz .LBB85_20
; %bb.19:
	v_mov_b32_e32 v3, v1
	s_delay_alu instid0(VALU_DEP_1) | instskip(NEXT) | instid1(VALU_DEP_1)
	v_mul_u64_e32 v[8:9], s[22:23], v[2:3]
	v_add_nc_u32_e32 v1, v2, v9
	s_delay_alu instid0(VALU_DEP_1) | instskip(NEXT) | instid1(VALU_DEP_1)
	v_lshrrev_b32_e32 v1, s17, v1
	v_mul_lo_u32 v1, v1, s7
	s_delay_alu instid0(VALU_DEP_1) | instskip(NEXT) | instid1(VALU_DEP_1)
	v_sub_nc_u32_e32 v1, v2, v1
	v_mad_u32 v4, v1, s10, v4
	v_mad_u32 v6, v1, s18, v6
	;; [unrolled: 1-line block ×3, first 2 shown]
.LBB85_20:
	global_load_u16 v1, v6, s[0:1]
	global_load_u16 v2, v5, s[2:3]
	v_add_nc_u32_e32 v0, 0x80, v0
	s_wait_loadcnt 0x1
	v_mul_lo_u16 v1, v1, s31
	s_wait_loadcnt 0x0
	s_delay_alu instid0(VALU_DEP_1) | instskip(SKIP_3) | instid1(SALU_CYCLE_1)
	v_mul_lo_u16 v1, v1, v2
	global_store_b16 v4, v1, s[14:15]
	s_wait_xcnt 0x0
	s_or_b32 exec_lo, exec_lo, s5
	s_mov_b32 s5, exec_lo
	v_cmpx_gt_i32_e64 s36, v0
	s_cbranch_execz .LBB85_3
.LBB85_21:
	s_and_not1_b32 vcc_lo, exec_lo, s29
	s_cbranch_vccnz .LBB85_27
; %bb.22:
	s_and_not1_b32 vcc_lo, exec_lo, s37
	s_cbranch_vccnz .LBB85_28
; %bb.23:
	v_dual_mov_b32 v4, 0 :: v_dual_mov_b32 v1, v0
	v_dual_mov_b32 v6, 0 :: v_dual_mov_b32 v5, 0
	s_add_co_i32 s16, s35, 1
	s_mov_b64 s[24:25], 0xffffffffffffffe0
	s_and_b32 s16, s16, 30
	s_add_nc_u64 s[24:25], s[12:13], s[24:25]
	s_mov_b64 s[26:27], s[12:13]
.LBB85_24:                              ; =>This Inner Loop Header: Depth=1
	s_clause 0x1
	s_load_b128 s[40:43], s[26:27], 0x4
	s_load_b64 s[38:39], s[26:27], 0x14
	s_load_b32 s44, s[24:25], 0xe4
	s_add_co_i32 s16, s16, -2
	s_wait_xcnt 0x0
	s_add_nc_u64 s[26:27], s[26:27], 24
	s_cmp_eq_u32 s16, 0
	s_wait_kmcnt 0x0
	v_mul_hi_u32 v2, s41, v1
	s_delay_alu instid0(VALU_DEP_1) | instskip(NEXT) | instid1(VALU_DEP_1)
	v_add_nc_u32_e32 v2, v1, v2
	v_lshrrev_b32_e32 v2, s42, v2
	s_delay_alu instid0(VALU_DEP_1) | instskip(SKIP_2) | instid1(VALU_DEP_2)
	v_mul_hi_u32 v3, s38, v2
	v_mul_lo_u32 v7, v2, s40
	s_load_b96 s[40:42], s[24:25], 0xec
	v_add_nc_u32_e32 v3, v2, v3
	s_delay_alu instid0(VALU_DEP_2) | instskip(NEXT) | instid1(VALU_DEP_2)
	v_sub_nc_u32_e32 v7, v1, v7
	v_lshrrev_b32_e32 v1, s39, v3
	s_load_b64 s[38:39], s[24:25], 0xfc
	s_delay_alu instid0(VALU_DEP_2)
	v_mad_u32 v4, v7, s44, v4
	s_wait_xcnt 0x0
	s_add_nc_u64 s[24:25], s[24:25], 32
	v_mul_lo_u32 v3, v1, s43
	s_wait_kmcnt 0x0
	v_mad_u32 v5, v7, s41, v5
	v_mad_u32 v6, v7, s40, v6
	s_delay_alu instid0(VALU_DEP_3) | instskip(NEXT) | instid1(VALU_DEP_1)
	v_sub_nc_u32_e32 v2, v2, v3
	v_mad_u32 v4, v2, s42, v4
	s_delay_alu instid0(VALU_DEP_4) | instskip(NEXT) | instid1(VALU_DEP_4)
	v_mad_u32 v5, v2, s39, v5
	v_mad_u32 v6, v2, s38, v6
	s_cbranch_scc0 .LBB85_24
; %bb.25:
	s_bitcmp1_b32 s35, 0
	s_cselect_b32 s16, -1, 0
	s_delay_alu instid0(SALU_CYCLE_1)
	s_and_b32 vcc_lo, exec_lo, s16
	s_cbranch_vccnz .LBB85_29
; %bb.26:
	s_load_b96 s[40:42], s[26:27], 0x4
	s_load_b32 s16, s[24:25], 0xe4
	s_wait_xcnt 0x0
	s_load_b64 s[26:27], s[24:25], 0xec
	s_wait_kmcnt 0x0
	v_mul_hi_u32 v2, s41, v1
	s_delay_alu instid0(VALU_DEP_1) | instskip(NEXT) | instid1(VALU_DEP_1)
	v_add_nc_u32_e32 v2, v1, v2
	v_lshrrev_b32_e32 v2, s42, v2
	s_delay_alu instid0(VALU_DEP_1) | instskip(NEXT) | instid1(VALU_DEP_1)
	v_mul_lo_u32 v2, v2, s40
	v_sub_nc_u32_e32 v1, v1, v2
	s_delay_alu instid0(VALU_DEP_1)
	v_mad_u32 v4, v1, s16, v4
	v_mad_u32 v6, v1, s26, v6
	;; [unrolled: 1-line block ×3, first 2 shown]
	s_branch .LBB85_29
.LBB85_27:
                                        ; implicit-def: $vgpr5
                                        ; implicit-def: $vgpr6
                                        ; implicit-def: $vgpr4
	s_branch .LBB85_30
.LBB85_28:
	v_dual_mov_b32 v5, 0 :: v_dual_mov_b32 v6, 0
	v_mov_b32_e32 v4, 0
.LBB85_29:
	s_cbranch_execnz .LBB85_32
.LBB85_30:
	v_mov_b32_e32 v1, 0
	s_and_not1_b32 vcc_lo, exec_lo, s34
	s_delay_alu instid0(VALU_DEP_1) | instskip(NEXT) | instid1(VALU_DEP_1)
	v_mul_u64_e32 v[2:3], s[20:21], v[0:1]
	v_add_nc_u32_e32 v2, v0, v3
	s_delay_alu instid0(VALU_DEP_1) | instskip(NEXT) | instid1(VALU_DEP_1)
	v_lshrrev_b32_e32 v2, s6, v2
	v_mul_lo_u32 v3, v2, s4
	s_delay_alu instid0(VALU_DEP_1) | instskip(NEXT) | instid1(VALU_DEP_1)
	v_sub_nc_u32_e32 v3, v0, v3
	v_mul_lo_u32 v4, v3, s33
	v_mul_lo_u32 v5, v3, s9
	;; [unrolled: 1-line block ×3, first 2 shown]
	s_cbranch_vccnz .LBB85_32
; %bb.31:
	v_mov_b32_e32 v3, v1
	s_delay_alu instid0(VALU_DEP_1) | instskip(NEXT) | instid1(VALU_DEP_1)
	v_mul_u64_e32 v[8:9], s[22:23], v[2:3]
	v_add_nc_u32_e32 v1, v2, v9
	s_delay_alu instid0(VALU_DEP_1) | instskip(NEXT) | instid1(VALU_DEP_1)
	v_lshrrev_b32_e32 v1, s17, v1
	v_mul_lo_u32 v1, v1, s7
	s_delay_alu instid0(VALU_DEP_1) | instskip(NEXT) | instid1(VALU_DEP_1)
	v_sub_nc_u32_e32 v1, v2, v1
	v_mad_u32 v4, v1, s10, v4
	v_mad_u32 v6, v1, s18, v6
	;; [unrolled: 1-line block ×3, first 2 shown]
.LBB85_32:
	global_load_u16 v1, v6, s[0:1]
	global_load_u16 v2, v5, s[2:3]
	v_add_nc_u32_e32 v0, 0x80, v0
	s_wait_loadcnt 0x1
	v_mul_lo_u16 v1, v1, s31
	s_wait_loadcnt 0x0
	s_delay_alu instid0(VALU_DEP_1) | instskip(SKIP_3) | instid1(SALU_CYCLE_1)
	v_mul_lo_u16 v1, v1, v2
	global_store_b16 v4, v1, s[14:15]
	s_wait_xcnt 0x0
	s_or_b32 exec_lo, exec_lo, s5
	s_mov_b32 s5, exec_lo
	v_cmpx_gt_i32_e64 s36, v0
	s_cbranch_execz .LBB85_4
.LBB85_33:
	s_and_not1_b32 vcc_lo, exec_lo, s29
	s_cbranch_vccnz .LBB85_39
; %bb.34:
	s_and_not1_b32 vcc_lo, exec_lo, s37
	s_cbranch_vccnz .LBB85_40
; %bb.35:
	v_dual_mov_b32 v4, 0 :: v_dual_mov_b32 v1, v0
	v_dual_mov_b32 v6, 0 :: v_dual_mov_b32 v5, 0
	s_add_co_i32 s16, s35, 1
	s_mov_b64 s[24:25], 0xffffffffffffffe0
	s_and_b32 s16, s16, 30
	s_add_nc_u64 s[24:25], s[12:13], s[24:25]
	s_mov_b64 s[26:27], s[12:13]
.LBB85_36:                              ; =>This Inner Loop Header: Depth=1
	s_clause 0x1
	s_load_b128 s[40:43], s[26:27], 0x4
	s_load_b64 s[38:39], s[26:27], 0x14
	s_load_b32 s44, s[24:25], 0xe4
	s_add_co_i32 s16, s16, -2
	s_wait_xcnt 0x0
	s_add_nc_u64 s[26:27], s[26:27], 24
	s_cmp_eq_u32 s16, 0
	s_wait_kmcnt 0x0
	v_mul_hi_u32 v2, s41, v1
	s_delay_alu instid0(VALU_DEP_1) | instskip(NEXT) | instid1(VALU_DEP_1)
	v_add_nc_u32_e32 v2, v1, v2
	v_lshrrev_b32_e32 v2, s42, v2
	s_delay_alu instid0(VALU_DEP_1) | instskip(SKIP_2) | instid1(VALU_DEP_2)
	v_mul_hi_u32 v3, s38, v2
	v_mul_lo_u32 v7, v2, s40
	s_load_b96 s[40:42], s[24:25], 0xec
	v_add_nc_u32_e32 v3, v2, v3
	s_delay_alu instid0(VALU_DEP_2) | instskip(NEXT) | instid1(VALU_DEP_2)
	v_sub_nc_u32_e32 v7, v1, v7
	v_lshrrev_b32_e32 v1, s39, v3
	s_load_b64 s[38:39], s[24:25], 0xfc
	s_delay_alu instid0(VALU_DEP_2)
	v_mad_u32 v4, v7, s44, v4
	s_wait_xcnt 0x0
	s_add_nc_u64 s[24:25], s[24:25], 32
	v_mul_lo_u32 v3, v1, s43
	s_wait_kmcnt 0x0
	v_mad_u32 v5, v7, s41, v5
	v_mad_u32 v6, v7, s40, v6
	s_delay_alu instid0(VALU_DEP_3) | instskip(NEXT) | instid1(VALU_DEP_1)
	v_sub_nc_u32_e32 v2, v2, v3
	v_mad_u32 v4, v2, s42, v4
	s_delay_alu instid0(VALU_DEP_4) | instskip(NEXT) | instid1(VALU_DEP_4)
	v_mad_u32 v5, v2, s39, v5
	v_mad_u32 v6, v2, s38, v6
	s_cbranch_scc0 .LBB85_36
; %bb.37:
	s_bitcmp1_b32 s35, 0
	s_cselect_b32 s16, -1, 0
	s_delay_alu instid0(SALU_CYCLE_1)
	s_and_b32 vcc_lo, exec_lo, s16
	s_cbranch_vccnz .LBB85_41
; %bb.38:
	s_load_b96 s[40:42], s[26:27], 0x4
	s_load_b32 s16, s[24:25], 0xe4
	s_wait_xcnt 0x0
	s_load_b64 s[26:27], s[24:25], 0xec
	s_wait_kmcnt 0x0
	v_mul_hi_u32 v2, s41, v1
	s_delay_alu instid0(VALU_DEP_1) | instskip(NEXT) | instid1(VALU_DEP_1)
	v_add_nc_u32_e32 v2, v1, v2
	v_lshrrev_b32_e32 v2, s42, v2
	s_delay_alu instid0(VALU_DEP_1) | instskip(NEXT) | instid1(VALU_DEP_1)
	v_mul_lo_u32 v2, v2, s40
	v_sub_nc_u32_e32 v1, v1, v2
	s_delay_alu instid0(VALU_DEP_1)
	v_mad_u32 v4, v1, s16, v4
	v_mad_u32 v6, v1, s26, v6
	v_mad_u32 v5, v1, s27, v5
	s_branch .LBB85_41
.LBB85_39:
                                        ; implicit-def: $vgpr5
                                        ; implicit-def: $vgpr6
                                        ; implicit-def: $vgpr4
	s_branch .LBB85_42
.LBB85_40:
	v_dual_mov_b32 v5, 0 :: v_dual_mov_b32 v6, 0
	v_mov_b32_e32 v4, 0
.LBB85_41:
	s_cbranch_execnz .LBB85_44
.LBB85_42:
	v_mov_b32_e32 v1, 0
	s_and_not1_b32 vcc_lo, exec_lo, s34
	s_delay_alu instid0(VALU_DEP_1) | instskip(NEXT) | instid1(VALU_DEP_1)
	v_mul_u64_e32 v[2:3], s[20:21], v[0:1]
	v_add_nc_u32_e32 v2, v0, v3
	s_delay_alu instid0(VALU_DEP_1) | instskip(NEXT) | instid1(VALU_DEP_1)
	v_lshrrev_b32_e32 v2, s6, v2
	v_mul_lo_u32 v3, v2, s4
	s_delay_alu instid0(VALU_DEP_1) | instskip(NEXT) | instid1(VALU_DEP_1)
	v_sub_nc_u32_e32 v3, v0, v3
	v_mul_lo_u32 v4, v3, s33
	v_mul_lo_u32 v5, v3, s9
	;; [unrolled: 1-line block ×3, first 2 shown]
	s_cbranch_vccnz .LBB85_44
; %bb.43:
	v_mov_b32_e32 v3, v1
	s_delay_alu instid0(VALU_DEP_1) | instskip(NEXT) | instid1(VALU_DEP_1)
	v_mul_u64_e32 v[8:9], s[22:23], v[2:3]
	v_add_nc_u32_e32 v1, v2, v9
	s_delay_alu instid0(VALU_DEP_1) | instskip(NEXT) | instid1(VALU_DEP_1)
	v_lshrrev_b32_e32 v1, s17, v1
	v_mul_lo_u32 v1, v1, s7
	s_delay_alu instid0(VALU_DEP_1) | instskip(NEXT) | instid1(VALU_DEP_1)
	v_sub_nc_u32_e32 v1, v2, v1
	v_mad_u32 v4, v1, s10, v4
	v_mad_u32 v6, v1, s18, v6
	v_mad_u32 v5, v1, s19, v5
.LBB85_44:
	global_load_u16 v1, v6, s[0:1]
	global_load_u16 v2, v5, s[2:3]
	v_add_nc_u32_e32 v0, 0x80, v0
	s_wait_loadcnt 0x1
	v_mul_lo_u16 v1, v1, s31
	s_wait_loadcnt 0x0
	s_delay_alu instid0(VALU_DEP_1) | instskip(SKIP_3) | instid1(SALU_CYCLE_1)
	v_mul_lo_u16 v1, v1, v2
	global_store_b16 v4, v1, s[14:15]
	s_wait_xcnt 0x0
	s_or_b32 exec_lo, exec_lo, s5
	s_mov_b32 s5, exec_lo
	v_cmpx_gt_i32_e64 s36, v0
	s_cbranch_execz .LBB85_5
.LBB85_45:
	s_and_not1_b32 vcc_lo, exec_lo, s29
	s_cbranch_vccnz .LBB85_51
; %bb.46:
	s_and_not1_b32 vcc_lo, exec_lo, s37
	s_cbranch_vccnz .LBB85_52
; %bb.47:
	v_dual_mov_b32 v4, 0 :: v_dual_mov_b32 v1, v0
	v_dual_mov_b32 v6, 0 :: v_dual_mov_b32 v5, 0
	s_add_co_i32 s16, s35, 1
	s_mov_b64 s[24:25], 0xffffffffffffffe0
	s_and_b32 s16, s16, 30
	s_add_nc_u64 s[24:25], s[12:13], s[24:25]
	s_mov_b64 s[26:27], s[12:13]
.LBB85_48:                              ; =>This Inner Loop Header: Depth=1
	s_clause 0x1
	s_load_b128 s[40:43], s[26:27], 0x4
	s_load_b64 s[38:39], s[26:27], 0x14
	s_load_b32 s44, s[24:25], 0xe4
	s_add_co_i32 s16, s16, -2
	s_wait_xcnt 0x0
	s_add_nc_u64 s[26:27], s[26:27], 24
	s_cmp_eq_u32 s16, 0
	s_wait_kmcnt 0x0
	v_mul_hi_u32 v2, s41, v1
	s_delay_alu instid0(VALU_DEP_1) | instskip(NEXT) | instid1(VALU_DEP_1)
	v_add_nc_u32_e32 v2, v1, v2
	v_lshrrev_b32_e32 v2, s42, v2
	s_delay_alu instid0(VALU_DEP_1) | instskip(SKIP_2) | instid1(VALU_DEP_2)
	v_mul_hi_u32 v3, s38, v2
	v_mul_lo_u32 v7, v2, s40
	s_load_b96 s[40:42], s[24:25], 0xec
	v_add_nc_u32_e32 v3, v2, v3
	s_delay_alu instid0(VALU_DEP_2) | instskip(NEXT) | instid1(VALU_DEP_2)
	v_sub_nc_u32_e32 v7, v1, v7
	v_lshrrev_b32_e32 v1, s39, v3
	s_load_b64 s[38:39], s[24:25], 0xfc
	s_delay_alu instid0(VALU_DEP_2)
	v_mad_u32 v4, v7, s44, v4
	s_wait_xcnt 0x0
	s_add_nc_u64 s[24:25], s[24:25], 32
	v_mul_lo_u32 v3, v1, s43
	s_wait_kmcnt 0x0
	v_mad_u32 v5, v7, s41, v5
	v_mad_u32 v6, v7, s40, v6
	s_delay_alu instid0(VALU_DEP_3) | instskip(NEXT) | instid1(VALU_DEP_1)
	v_sub_nc_u32_e32 v2, v2, v3
	v_mad_u32 v4, v2, s42, v4
	s_delay_alu instid0(VALU_DEP_4) | instskip(NEXT) | instid1(VALU_DEP_4)
	v_mad_u32 v5, v2, s39, v5
	v_mad_u32 v6, v2, s38, v6
	s_cbranch_scc0 .LBB85_48
; %bb.49:
	s_bitcmp1_b32 s35, 0
	s_cselect_b32 s16, -1, 0
	s_delay_alu instid0(SALU_CYCLE_1)
	s_and_b32 vcc_lo, exec_lo, s16
	s_cbranch_vccnz .LBB85_53
; %bb.50:
	s_load_b96 s[40:42], s[26:27], 0x4
	s_load_b32 s16, s[24:25], 0xe4
	s_wait_xcnt 0x0
	s_load_b64 s[26:27], s[24:25], 0xec
	s_wait_kmcnt 0x0
	v_mul_hi_u32 v2, s41, v1
	s_delay_alu instid0(VALU_DEP_1) | instskip(NEXT) | instid1(VALU_DEP_1)
	v_add_nc_u32_e32 v2, v1, v2
	v_lshrrev_b32_e32 v2, s42, v2
	s_delay_alu instid0(VALU_DEP_1) | instskip(NEXT) | instid1(VALU_DEP_1)
	v_mul_lo_u32 v2, v2, s40
	v_sub_nc_u32_e32 v1, v1, v2
	s_delay_alu instid0(VALU_DEP_1)
	v_mad_u32 v4, v1, s16, v4
	v_mad_u32 v6, v1, s26, v6
	;; [unrolled: 1-line block ×3, first 2 shown]
	s_branch .LBB85_53
.LBB85_51:
                                        ; implicit-def: $vgpr5
                                        ; implicit-def: $vgpr6
                                        ; implicit-def: $vgpr4
	s_branch .LBB85_54
.LBB85_52:
	v_dual_mov_b32 v5, 0 :: v_dual_mov_b32 v6, 0
	v_mov_b32_e32 v4, 0
.LBB85_53:
	s_cbranch_execnz .LBB85_56
.LBB85_54:
	v_mov_b32_e32 v1, 0
	s_and_not1_b32 vcc_lo, exec_lo, s34
	s_delay_alu instid0(VALU_DEP_1) | instskip(NEXT) | instid1(VALU_DEP_1)
	v_mul_u64_e32 v[2:3], s[20:21], v[0:1]
	v_add_nc_u32_e32 v2, v0, v3
	s_delay_alu instid0(VALU_DEP_1) | instskip(NEXT) | instid1(VALU_DEP_1)
	v_lshrrev_b32_e32 v2, s6, v2
	v_mul_lo_u32 v3, v2, s4
	s_delay_alu instid0(VALU_DEP_1) | instskip(NEXT) | instid1(VALU_DEP_1)
	v_sub_nc_u32_e32 v3, v0, v3
	v_mul_lo_u32 v4, v3, s33
	v_mul_lo_u32 v5, v3, s9
	;; [unrolled: 1-line block ×3, first 2 shown]
	s_cbranch_vccnz .LBB85_56
; %bb.55:
	v_mov_b32_e32 v3, v1
	s_delay_alu instid0(VALU_DEP_1) | instskip(NEXT) | instid1(VALU_DEP_1)
	v_mul_u64_e32 v[8:9], s[22:23], v[2:3]
	v_add_nc_u32_e32 v1, v2, v9
	s_delay_alu instid0(VALU_DEP_1) | instskip(NEXT) | instid1(VALU_DEP_1)
	v_lshrrev_b32_e32 v1, s17, v1
	v_mul_lo_u32 v1, v1, s7
	s_delay_alu instid0(VALU_DEP_1) | instskip(NEXT) | instid1(VALU_DEP_1)
	v_sub_nc_u32_e32 v1, v2, v1
	v_mad_u32 v4, v1, s10, v4
	v_mad_u32 v6, v1, s18, v6
	;; [unrolled: 1-line block ×3, first 2 shown]
.LBB85_56:
	global_load_u16 v1, v6, s[0:1]
	global_load_u16 v2, v5, s[2:3]
	v_add_nc_u32_e32 v0, 0x80, v0
	s_wait_loadcnt 0x1
	v_mul_lo_u16 v1, v1, s31
	s_wait_loadcnt 0x0
	s_delay_alu instid0(VALU_DEP_1) | instskip(SKIP_3) | instid1(SALU_CYCLE_1)
	v_mul_lo_u16 v1, v1, v2
	global_store_b16 v4, v1, s[14:15]
	s_wait_xcnt 0x0
	s_or_b32 exec_lo, exec_lo, s5
	s_mov_b32 s5, exec_lo
	v_cmpx_gt_i32_e64 s36, v0
	s_cbranch_execz .LBB85_6
.LBB85_57:
	s_and_not1_b32 vcc_lo, exec_lo, s29
	s_cbranch_vccnz .LBB85_63
; %bb.58:
	s_and_not1_b32 vcc_lo, exec_lo, s37
	s_cbranch_vccnz .LBB85_64
; %bb.59:
	v_dual_mov_b32 v4, 0 :: v_dual_mov_b32 v1, v0
	v_dual_mov_b32 v6, 0 :: v_dual_mov_b32 v5, 0
	s_add_co_i32 s16, s35, 1
	s_mov_b64 s[24:25], 0xffffffffffffffe0
	s_and_b32 s16, s16, 30
	s_add_nc_u64 s[24:25], s[12:13], s[24:25]
	s_mov_b64 s[26:27], s[12:13]
.LBB85_60:                              ; =>This Inner Loop Header: Depth=1
	s_clause 0x1
	s_load_b128 s[40:43], s[26:27], 0x4
	s_load_b64 s[38:39], s[26:27], 0x14
	s_load_b32 s44, s[24:25], 0xe4
	s_add_co_i32 s16, s16, -2
	s_wait_xcnt 0x0
	s_add_nc_u64 s[26:27], s[26:27], 24
	s_cmp_eq_u32 s16, 0
	s_wait_kmcnt 0x0
	v_mul_hi_u32 v2, s41, v1
	s_delay_alu instid0(VALU_DEP_1) | instskip(NEXT) | instid1(VALU_DEP_1)
	v_add_nc_u32_e32 v2, v1, v2
	v_lshrrev_b32_e32 v2, s42, v2
	s_delay_alu instid0(VALU_DEP_1) | instskip(SKIP_2) | instid1(VALU_DEP_2)
	v_mul_hi_u32 v3, s38, v2
	v_mul_lo_u32 v7, v2, s40
	s_load_b96 s[40:42], s[24:25], 0xec
	v_add_nc_u32_e32 v3, v2, v3
	s_delay_alu instid0(VALU_DEP_2) | instskip(NEXT) | instid1(VALU_DEP_2)
	v_sub_nc_u32_e32 v7, v1, v7
	v_lshrrev_b32_e32 v1, s39, v3
	s_load_b64 s[38:39], s[24:25], 0xfc
	s_delay_alu instid0(VALU_DEP_2)
	v_mad_u32 v4, v7, s44, v4
	s_wait_xcnt 0x0
	s_add_nc_u64 s[24:25], s[24:25], 32
	v_mul_lo_u32 v3, v1, s43
	s_wait_kmcnt 0x0
	v_mad_u32 v5, v7, s41, v5
	v_mad_u32 v6, v7, s40, v6
	s_delay_alu instid0(VALU_DEP_3) | instskip(NEXT) | instid1(VALU_DEP_1)
	v_sub_nc_u32_e32 v2, v2, v3
	v_mad_u32 v4, v2, s42, v4
	s_delay_alu instid0(VALU_DEP_4) | instskip(NEXT) | instid1(VALU_DEP_4)
	v_mad_u32 v5, v2, s39, v5
	v_mad_u32 v6, v2, s38, v6
	s_cbranch_scc0 .LBB85_60
; %bb.61:
	s_bitcmp1_b32 s35, 0
	s_cselect_b32 s16, -1, 0
	s_delay_alu instid0(SALU_CYCLE_1)
	s_and_b32 vcc_lo, exec_lo, s16
	s_cbranch_vccnz .LBB85_65
; %bb.62:
	s_load_b96 s[40:42], s[26:27], 0x4
	s_load_b32 s16, s[24:25], 0xe4
	s_wait_xcnt 0x0
	s_load_b64 s[26:27], s[24:25], 0xec
	s_wait_kmcnt 0x0
	v_mul_hi_u32 v2, s41, v1
	s_delay_alu instid0(VALU_DEP_1) | instskip(NEXT) | instid1(VALU_DEP_1)
	v_add_nc_u32_e32 v2, v1, v2
	v_lshrrev_b32_e32 v2, s42, v2
	s_delay_alu instid0(VALU_DEP_1) | instskip(NEXT) | instid1(VALU_DEP_1)
	v_mul_lo_u32 v2, v2, s40
	v_sub_nc_u32_e32 v1, v1, v2
	s_delay_alu instid0(VALU_DEP_1)
	v_mad_u32 v4, v1, s16, v4
	v_mad_u32 v6, v1, s26, v6
	;; [unrolled: 1-line block ×3, first 2 shown]
	s_branch .LBB85_65
.LBB85_63:
                                        ; implicit-def: $vgpr5
                                        ; implicit-def: $vgpr6
                                        ; implicit-def: $vgpr4
	s_branch .LBB85_66
.LBB85_64:
	v_dual_mov_b32 v5, 0 :: v_dual_mov_b32 v6, 0
	v_mov_b32_e32 v4, 0
.LBB85_65:
	s_cbranch_execnz .LBB85_68
.LBB85_66:
	v_mov_b32_e32 v1, 0
	s_and_not1_b32 vcc_lo, exec_lo, s34
	s_delay_alu instid0(VALU_DEP_1) | instskip(NEXT) | instid1(VALU_DEP_1)
	v_mul_u64_e32 v[2:3], s[20:21], v[0:1]
	v_add_nc_u32_e32 v2, v0, v3
	s_delay_alu instid0(VALU_DEP_1) | instskip(NEXT) | instid1(VALU_DEP_1)
	v_lshrrev_b32_e32 v2, s6, v2
	v_mul_lo_u32 v3, v2, s4
	s_delay_alu instid0(VALU_DEP_1) | instskip(NEXT) | instid1(VALU_DEP_1)
	v_sub_nc_u32_e32 v3, v0, v3
	v_mul_lo_u32 v4, v3, s33
	v_mul_lo_u32 v5, v3, s9
	;; [unrolled: 1-line block ×3, first 2 shown]
	s_cbranch_vccnz .LBB85_68
; %bb.67:
	v_mov_b32_e32 v3, v1
	s_delay_alu instid0(VALU_DEP_1) | instskip(NEXT) | instid1(VALU_DEP_1)
	v_mul_u64_e32 v[8:9], s[22:23], v[2:3]
	v_add_nc_u32_e32 v1, v2, v9
	s_delay_alu instid0(VALU_DEP_1) | instskip(NEXT) | instid1(VALU_DEP_1)
	v_lshrrev_b32_e32 v1, s17, v1
	v_mul_lo_u32 v1, v1, s7
	s_delay_alu instid0(VALU_DEP_1) | instskip(NEXT) | instid1(VALU_DEP_1)
	v_sub_nc_u32_e32 v1, v2, v1
	v_mad_u32 v4, v1, s10, v4
	v_mad_u32 v6, v1, s18, v6
	;; [unrolled: 1-line block ×3, first 2 shown]
.LBB85_68:
	global_load_u16 v1, v6, s[0:1]
	global_load_u16 v2, v5, s[2:3]
	v_add_nc_u32_e32 v0, 0x80, v0
	s_wait_loadcnt 0x1
	v_mul_lo_u16 v1, v1, s31
	s_wait_loadcnt 0x0
	s_delay_alu instid0(VALU_DEP_1) | instskip(SKIP_3) | instid1(SALU_CYCLE_1)
	v_mul_lo_u16 v1, v1, v2
	global_store_b16 v4, v1, s[14:15]
	s_wait_xcnt 0x0
	s_or_b32 exec_lo, exec_lo, s5
	s_mov_b32 s5, exec_lo
	v_cmpx_gt_i32_e64 s36, v0
	s_cbranch_execz .LBB85_7
.LBB85_69:
	s_and_not1_b32 vcc_lo, exec_lo, s29
	s_cbranch_vccnz .LBB85_75
; %bb.70:
	s_and_not1_b32 vcc_lo, exec_lo, s37
	s_cbranch_vccnz .LBB85_76
; %bb.71:
	v_dual_mov_b32 v4, 0 :: v_dual_mov_b32 v1, v0
	v_dual_mov_b32 v6, 0 :: v_dual_mov_b32 v5, 0
	s_add_co_i32 s16, s35, 1
	s_mov_b64 s[24:25], 0xffffffffffffffe0
	s_and_b32 s16, s16, 30
	s_add_nc_u64 s[24:25], s[12:13], s[24:25]
	s_mov_b64 s[26:27], s[12:13]
.LBB85_72:                              ; =>This Inner Loop Header: Depth=1
	s_clause 0x1
	s_load_b128 s[40:43], s[26:27], 0x4
	s_load_b64 s[38:39], s[26:27], 0x14
	s_load_b32 s44, s[24:25], 0xe4
	s_add_co_i32 s16, s16, -2
	s_wait_xcnt 0x0
	s_add_nc_u64 s[26:27], s[26:27], 24
	s_cmp_eq_u32 s16, 0
	s_wait_kmcnt 0x0
	v_mul_hi_u32 v2, s41, v1
	s_delay_alu instid0(VALU_DEP_1) | instskip(NEXT) | instid1(VALU_DEP_1)
	v_add_nc_u32_e32 v2, v1, v2
	v_lshrrev_b32_e32 v2, s42, v2
	s_delay_alu instid0(VALU_DEP_1) | instskip(SKIP_2) | instid1(VALU_DEP_2)
	v_mul_hi_u32 v3, s38, v2
	v_mul_lo_u32 v7, v2, s40
	s_load_b96 s[40:42], s[24:25], 0xec
	v_add_nc_u32_e32 v3, v2, v3
	s_delay_alu instid0(VALU_DEP_2) | instskip(NEXT) | instid1(VALU_DEP_2)
	v_sub_nc_u32_e32 v7, v1, v7
	v_lshrrev_b32_e32 v1, s39, v3
	s_load_b64 s[38:39], s[24:25], 0xfc
	s_delay_alu instid0(VALU_DEP_2)
	v_mad_u32 v4, v7, s44, v4
	s_wait_xcnt 0x0
	s_add_nc_u64 s[24:25], s[24:25], 32
	v_mul_lo_u32 v3, v1, s43
	s_wait_kmcnt 0x0
	v_mad_u32 v5, v7, s41, v5
	v_mad_u32 v6, v7, s40, v6
	s_delay_alu instid0(VALU_DEP_3) | instskip(NEXT) | instid1(VALU_DEP_1)
	v_sub_nc_u32_e32 v2, v2, v3
	v_mad_u32 v4, v2, s42, v4
	s_delay_alu instid0(VALU_DEP_4) | instskip(NEXT) | instid1(VALU_DEP_4)
	v_mad_u32 v5, v2, s39, v5
	v_mad_u32 v6, v2, s38, v6
	s_cbranch_scc0 .LBB85_72
; %bb.73:
	s_bitcmp1_b32 s35, 0
	s_cselect_b32 s16, -1, 0
	s_delay_alu instid0(SALU_CYCLE_1)
	s_and_b32 vcc_lo, exec_lo, s16
	s_cbranch_vccnz .LBB85_77
; %bb.74:
	s_load_b96 s[40:42], s[26:27], 0x4
	s_load_b32 s16, s[24:25], 0xe4
	s_wait_xcnt 0x0
	s_load_b64 s[26:27], s[24:25], 0xec
	s_wait_kmcnt 0x0
	v_mul_hi_u32 v2, s41, v1
	s_delay_alu instid0(VALU_DEP_1) | instskip(NEXT) | instid1(VALU_DEP_1)
	v_add_nc_u32_e32 v2, v1, v2
	v_lshrrev_b32_e32 v2, s42, v2
	s_delay_alu instid0(VALU_DEP_1) | instskip(NEXT) | instid1(VALU_DEP_1)
	v_mul_lo_u32 v2, v2, s40
	v_sub_nc_u32_e32 v1, v1, v2
	s_delay_alu instid0(VALU_DEP_1)
	v_mad_u32 v4, v1, s16, v4
	v_mad_u32 v6, v1, s26, v6
	;; [unrolled: 1-line block ×3, first 2 shown]
	s_branch .LBB85_77
.LBB85_75:
                                        ; implicit-def: $vgpr5
                                        ; implicit-def: $vgpr6
                                        ; implicit-def: $vgpr4
	s_branch .LBB85_78
.LBB85_76:
	v_dual_mov_b32 v5, 0 :: v_dual_mov_b32 v6, 0
	v_mov_b32_e32 v4, 0
.LBB85_77:
	s_cbranch_execnz .LBB85_80
.LBB85_78:
	v_mov_b32_e32 v1, 0
	s_and_not1_b32 vcc_lo, exec_lo, s34
	s_delay_alu instid0(VALU_DEP_1) | instskip(NEXT) | instid1(VALU_DEP_1)
	v_mul_u64_e32 v[2:3], s[20:21], v[0:1]
	v_add_nc_u32_e32 v2, v0, v3
	s_delay_alu instid0(VALU_DEP_1) | instskip(NEXT) | instid1(VALU_DEP_1)
	v_lshrrev_b32_e32 v2, s6, v2
	v_mul_lo_u32 v3, v2, s4
	s_delay_alu instid0(VALU_DEP_1) | instskip(NEXT) | instid1(VALU_DEP_1)
	v_sub_nc_u32_e32 v3, v0, v3
	v_mul_lo_u32 v4, v3, s33
	v_mul_lo_u32 v5, v3, s9
	;; [unrolled: 1-line block ×3, first 2 shown]
	s_cbranch_vccnz .LBB85_80
; %bb.79:
	v_mov_b32_e32 v3, v1
	s_delay_alu instid0(VALU_DEP_1) | instskip(NEXT) | instid1(VALU_DEP_1)
	v_mul_u64_e32 v[8:9], s[22:23], v[2:3]
	v_add_nc_u32_e32 v1, v2, v9
	s_delay_alu instid0(VALU_DEP_1) | instskip(NEXT) | instid1(VALU_DEP_1)
	v_lshrrev_b32_e32 v1, s17, v1
	v_mul_lo_u32 v1, v1, s7
	s_delay_alu instid0(VALU_DEP_1) | instskip(NEXT) | instid1(VALU_DEP_1)
	v_sub_nc_u32_e32 v1, v2, v1
	v_mad_u32 v4, v1, s10, v4
	v_mad_u32 v6, v1, s18, v6
	;; [unrolled: 1-line block ×3, first 2 shown]
.LBB85_80:
	global_load_u16 v1, v6, s[0:1]
	global_load_u16 v2, v5, s[2:3]
	v_add_nc_u32_e32 v0, 0x80, v0
	s_wait_loadcnt 0x1
	v_mul_lo_u16 v1, v1, s31
	s_wait_loadcnt 0x0
	s_delay_alu instid0(VALU_DEP_1) | instskip(SKIP_3) | instid1(SALU_CYCLE_1)
	v_mul_lo_u16 v1, v1, v2
	global_store_b16 v4, v1, s[14:15]
	s_wait_xcnt 0x0
	s_or_b32 exec_lo, exec_lo, s5
	s_mov_b32 s5, exec_lo
	v_cmpx_gt_i32_e64 s36, v0
	s_cbranch_execz .LBB85_8
.LBB85_81:
	s_and_not1_b32 vcc_lo, exec_lo, s29
	s_cbranch_vccnz .LBB85_87
; %bb.82:
	s_and_not1_b32 vcc_lo, exec_lo, s37
	s_cbranch_vccnz .LBB85_88
; %bb.83:
	v_dual_mov_b32 v4, 0 :: v_dual_mov_b32 v1, v0
	v_dual_mov_b32 v6, 0 :: v_dual_mov_b32 v5, 0
	s_add_co_i32 s16, s35, 1
	s_mov_b64 s[24:25], 0xffffffffffffffe0
	s_and_b32 s16, s16, 30
	s_add_nc_u64 s[24:25], s[12:13], s[24:25]
	s_mov_b64 s[26:27], s[12:13]
.LBB85_84:                              ; =>This Inner Loop Header: Depth=1
	s_clause 0x1
	s_load_b128 s[40:43], s[26:27], 0x4
	s_load_b64 s[38:39], s[26:27], 0x14
	s_load_b32 s44, s[24:25], 0xe4
	s_add_co_i32 s16, s16, -2
	s_wait_xcnt 0x0
	s_add_nc_u64 s[26:27], s[26:27], 24
	s_cmp_eq_u32 s16, 0
	s_wait_kmcnt 0x0
	v_mul_hi_u32 v2, s41, v1
	s_delay_alu instid0(VALU_DEP_1) | instskip(NEXT) | instid1(VALU_DEP_1)
	v_add_nc_u32_e32 v2, v1, v2
	v_lshrrev_b32_e32 v2, s42, v2
	s_delay_alu instid0(VALU_DEP_1) | instskip(SKIP_2) | instid1(VALU_DEP_2)
	v_mul_hi_u32 v3, s38, v2
	v_mul_lo_u32 v7, v2, s40
	s_load_b96 s[40:42], s[24:25], 0xec
	v_add_nc_u32_e32 v3, v2, v3
	s_delay_alu instid0(VALU_DEP_2) | instskip(NEXT) | instid1(VALU_DEP_2)
	v_sub_nc_u32_e32 v7, v1, v7
	v_lshrrev_b32_e32 v1, s39, v3
	s_load_b64 s[38:39], s[24:25], 0xfc
	s_delay_alu instid0(VALU_DEP_2)
	v_mad_u32 v4, v7, s44, v4
	s_wait_xcnt 0x0
	s_add_nc_u64 s[24:25], s[24:25], 32
	v_mul_lo_u32 v3, v1, s43
	s_wait_kmcnt 0x0
	v_mad_u32 v5, v7, s41, v5
	v_mad_u32 v6, v7, s40, v6
	s_delay_alu instid0(VALU_DEP_3) | instskip(NEXT) | instid1(VALU_DEP_1)
	v_sub_nc_u32_e32 v2, v2, v3
	v_mad_u32 v4, v2, s42, v4
	s_delay_alu instid0(VALU_DEP_4) | instskip(NEXT) | instid1(VALU_DEP_4)
	v_mad_u32 v5, v2, s39, v5
	v_mad_u32 v6, v2, s38, v6
	s_cbranch_scc0 .LBB85_84
; %bb.85:
	s_bitcmp1_b32 s35, 0
	s_cselect_b32 s16, -1, 0
	s_delay_alu instid0(SALU_CYCLE_1)
	s_and_b32 vcc_lo, exec_lo, s16
	s_cbranch_vccnz .LBB85_89
; %bb.86:
	s_load_b96 s[40:42], s[26:27], 0x4
	s_load_b32 s16, s[24:25], 0xe4
	s_wait_xcnt 0x0
	s_load_b64 s[26:27], s[24:25], 0xec
	s_wait_kmcnt 0x0
	v_mul_hi_u32 v2, s41, v1
	s_delay_alu instid0(VALU_DEP_1) | instskip(NEXT) | instid1(VALU_DEP_1)
	v_add_nc_u32_e32 v2, v1, v2
	v_lshrrev_b32_e32 v2, s42, v2
	s_delay_alu instid0(VALU_DEP_1) | instskip(NEXT) | instid1(VALU_DEP_1)
	v_mul_lo_u32 v2, v2, s40
	v_sub_nc_u32_e32 v1, v1, v2
	s_delay_alu instid0(VALU_DEP_1)
	v_mad_u32 v4, v1, s16, v4
	v_mad_u32 v6, v1, s26, v6
	;; [unrolled: 1-line block ×3, first 2 shown]
	s_branch .LBB85_89
.LBB85_87:
                                        ; implicit-def: $vgpr5
                                        ; implicit-def: $vgpr6
                                        ; implicit-def: $vgpr4
	s_branch .LBB85_90
.LBB85_88:
	v_dual_mov_b32 v5, 0 :: v_dual_mov_b32 v6, 0
	v_mov_b32_e32 v4, 0
.LBB85_89:
	s_cbranch_execnz .LBB85_92
.LBB85_90:
	v_mov_b32_e32 v1, 0
	s_and_not1_b32 vcc_lo, exec_lo, s34
	s_delay_alu instid0(VALU_DEP_1) | instskip(NEXT) | instid1(VALU_DEP_1)
	v_mul_u64_e32 v[2:3], s[20:21], v[0:1]
	v_add_nc_u32_e32 v2, v0, v3
	s_delay_alu instid0(VALU_DEP_1) | instskip(NEXT) | instid1(VALU_DEP_1)
	v_lshrrev_b32_e32 v2, s6, v2
	v_mul_lo_u32 v3, v2, s4
	s_delay_alu instid0(VALU_DEP_1) | instskip(NEXT) | instid1(VALU_DEP_1)
	v_sub_nc_u32_e32 v3, v0, v3
	v_mul_lo_u32 v4, v3, s33
	v_mul_lo_u32 v5, v3, s9
	;; [unrolled: 1-line block ×3, first 2 shown]
	s_cbranch_vccnz .LBB85_92
; %bb.91:
	v_mov_b32_e32 v3, v1
	s_delay_alu instid0(VALU_DEP_1) | instskip(NEXT) | instid1(VALU_DEP_1)
	v_mul_u64_e32 v[8:9], s[22:23], v[2:3]
	v_add_nc_u32_e32 v1, v2, v9
	s_delay_alu instid0(VALU_DEP_1) | instskip(NEXT) | instid1(VALU_DEP_1)
	v_lshrrev_b32_e32 v1, s17, v1
	v_mul_lo_u32 v1, v1, s7
	s_delay_alu instid0(VALU_DEP_1) | instskip(NEXT) | instid1(VALU_DEP_1)
	v_sub_nc_u32_e32 v1, v2, v1
	v_mad_u32 v4, v1, s10, v4
	v_mad_u32 v6, v1, s18, v6
	;; [unrolled: 1-line block ×3, first 2 shown]
.LBB85_92:
	global_load_u16 v1, v6, s[0:1]
	global_load_u16 v2, v5, s[2:3]
	v_add_nc_u32_e32 v0, 0x80, v0
	s_wait_loadcnt 0x1
	v_mul_lo_u16 v1, v1, s31
	s_wait_loadcnt 0x0
	s_delay_alu instid0(VALU_DEP_1) | instskip(SKIP_3) | instid1(SALU_CYCLE_1)
	v_mul_lo_u16 v1, v1, v2
	global_store_b16 v4, v1, s[14:15]
	s_wait_xcnt 0x0
	s_or_b32 exec_lo, exec_lo, s5
	s_mov_b32 s5, exec_lo
	v_cmpx_gt_i32_e64 s36, v0
	s_cbranch_execz .LBB85_105
.LBB85_93:
	s_and_not1_b32 vcc_lo, exec_lo, s29
	s_cbranch_vccnz .LBB85_99
; %bb.94:
	s_and_not1_b32 vcc_lo, exec_lo, s37
	s_cbranch_vccnz .LBB85_100
; %bb.95:
	v_dual_mov_b32 v4, 0 :: v_dual_mov_b32 v1, v0
	v_dual_mov_b32 v6, 0 :: v_dual_mov_b32 v5, 0
	s_add_co_i32 s16, s35, 1
	s_mov_b64 s[24:25], 0xffffffffffffffe0
	s_and_b32 s16, s16, 30
	s_add_nc_u64 s[24:25], s[12:13], s[24:25]
	s_mov_b64 s[26:27], s[12:13]
.LBB85_96:                              ; =>This Inner Loop Header: Depth=1
	s_clause 0x1
	s_load_b128 s[36:39], s[26:27], 0x4
	s_load_b64 s[40:41], s[26:27], 0x14
	s_load_b32 s42, s[24:25], 0xe4
	s_add_co_i32 s16, s16, -2
	s_wait_xcnt 0x0
	s_add_nc_u64 s[26:27], s[26:27], 24
	s_cmp_eq_u32 s16, 0
	s_wait_kmcnt 0x0
	v_mul_hi_u32 v2, s37, v1
	s_delay_alu instid0(VALU_DEP_1) | instskip(NEXT) | instid1(VALU_DEP_1)
	v_add_nc_u32_e32 v2, v1, v2
	v_lshrrev_b32_e32 v2, s38, v2
	s_delay_alu instid0(VALU_DEP_1) | instskip(SKIP_2) | instid1(VALU_DEP_2)
	v_mul_hi_u32 v3, s40, v2
	v_mul_lo_u32 v7, v2, s36
	s_load_b96 s[36:38], s[24:25], 0xec
	v_add_nc_u32_e32 v3, v2, v3
	s_delay_alu instid0(VALU_DEP_2) | instskip(NEXT) | instid1(VALU_DEP_2)
	v_sub_nc_u32_e32 v7, v1, v7
	v_lshrrev_b32_e32 v1, s41, v3
	s_load_b64 s[40:41], s[24:25], 0xfc
	s_delay_alu instid0(VALU_DEP_2)
	v_mad_u32 v4, v7, s42, v4
	s_wait_xcnt 0x0
	s_add_nc_u64 s[24:25], s[24:25], 32
	v_mul_lo_u32 v3, v1, s39
	s_wait_kmcnt 0x0
	v_mad_u32 v5, v7, s37, v5
	v_mad_u32 v6, v7, s36, v6
	s_delay_alu instid0(VALU_DEP_3) | instskip(NEXT) | instid1(VALU_DEP_1)
	v_sub_nc_u32_e32 v2, v2, v3
	v_mad_u32 v4, v2, s38, v4
	s_delay_alu instid0(VALU_DEP_4) | instskip(NEXT) | instid1(VALU_DEP_4)
	v_mad_u32 v5, v2, s41, v5
	v_mad_u32 v6, v2, s40, v6
	s_cbranch_scc0 .LBB85_96
; %bb.97:
	s_bitcmp1_b32 s35, 0
	s_cselect_b32 s16, -1, 0
	s_delay_alu instid0(SALU_CYCLE_1)
	s_and_b32 vcc_lo, exec_lo, s16
	s_cbranch_vccnz .LBB85_101
; %bb.98:
	s_load_b96 s[36:38], s[26:27], 0x4
	s_load_b32 s16, s[24:25], 0xe4
	s_wait_xcnt 0x0
	s_load_b64 s[26:27], s[24:25], 0xec
	s_wait_kmcnt 0x0
	v_mul_hi_u32 v2, s37, v1
	s_delay_alu instid0(VALU_DEP_1) | instskip(NEXT) | instid1(VALU_DEP_1)
	v_add_nc_u32_e32 v2, v1, v2
	v_lshrrev_b32_e32 v2, s38, v2
	s_delay_alu instid0(VALU_DEP_1) | instskip(NEXT) | instid1(VALU_DEP_1)
	v_mul_lo_u32 v2, v2, s36
	v_sub_nc_u32_e32 v1, v1, v2
	s_delay_alu instid0(VALU_DEP_1)
	v_mad_u32 v4, v1, s16, v4
	v_mad_u32 v6, v1, s26, v6
	;; [unrolled: 1-line block ×3, first 2 shown]
	s_branch .LBB85_101
.LBB85_99:
                                        ; implicit-def: $vgpr5
                                        ; implicit-def: $vgpr6
                                        ; implicit-def: $vgpr4
	s_branch .LBB85_102
.LBB85_100:
	v_dual_mov_b32 v5, 0 :: v_dual_mov_b32 v6, 0
	v_mov_b32_e32 v4, 0
.LBB85_101:
	s_cbranch_execnz .LBB85_104
.LBB85_102:
	v_mov_b32_e32 v1, 0
	s_and_not1_b32 vcc_lo, exec_lo, s34
	s_delay_alu instid0(VALU_DEP_1) | instskip(NEXT) | instid1(VALU_DEP_1)
	v_mul_u64_e32 v[2:3], s[20:21], v[0:1]
	v_add_nc_u32_e32 v2, v0, v3
	s_delay_alu instid0(VALU_DEP_1) | instskip(NEXT) | instid1(VALU_DEP_1)
	v_lshrrev_b32_e32 v2, s6, v2
	v_mul_lo_u32 v3, v2, s4
	s_delay_alu instid0(VALU_DEP_1) | instskip(NEXT) | instid1(VALU_DEP_1)
	v_sub_nc_u32_e32 v0, v0, v3
	v_mul_lo_u32 v4, v0, s33
	v_mul_lo_u32 v5, v0, s9
	;; [unrolled: 1-line block ×3, first 2 shown]
	s_cbranch_vccnz .LBB85_104
; %bb.103:
	v_mov_b32_e32 v3, v1
	s_delay_alu instid0(VALU_DEP_1) | instskip(NEXT) | instid1(VALU_DEP_1)
	v_mul_u64_e32 v[0:1], s[22:23], v[2:3]
	v_add_nc_u32_e32 v0, v2, v1
	s_delay_alu instid0(VALU_DEP_1) | instskip(NEXT) | instid1(VALU_DEP_1)
	v_lshrrev_b32_e32 v0, s17, v0
	v_mul_lo_u32 v0, v0, s7
	s_delay_alu instid0(VALU_DEP_1) | instskip(NEXT) | instid1(VALU_DEP_1)
	v_sub_nc_u32_e32 v0, v2, v0
	v_mad_u32 v4, v0, s10, v4
	v_mad_u32 v6, v0, s18, v6
	v_mad_u32 v5, v0, s19, v5
.LBB85_104:
	global_load_u16 v0, v6, s[0:1]
	global_load_u16 v1, v5, s[2:3]
	s_wait_loadcnt 0x1
	v_mul_lo_u16 v0, v0, s31
	s_wait_loadcnt 0x0
	s_delay_alu instid0(VALU_DEP_1)
	v_mul_lo_u16 v0, v0, v1
	global_store_b16 v4, v0, s[14:15]
.LBB85_105:
	s_wait_xcnt 0x0
	s_or_b32 exec_lo, exec_lo, s5
                                        ; implicit-def: $vgpr4
                                        ; implicit-def: $vgpr0
.LBB85_106:
	s_and_not1_saveexec_b32 s0, s30
	s_cbranch_execz .LBB85_113
; %bb.107:
	v_cndmask_b32_e64 v7, 0, 1, s29
	s_and_not1_b32 vcc_lo, exec_lo, s29
	s_cbranch_vccnz .LBB85_114
; %bb.108:
	s_cmp_lg_u32 s11, 0
	s_mov_b32 s4, 0
	s_cbranch_scc0 .LBB85_118
; %bb.109:
	s_min_u32 s5, s28, 15
	v_dual_mov_b32 v1, 0 :: v_dual_mov_b32 v5, v0
	v_dual_mov_b32 v3, 0 :: v_dual_mov_b32 v2, 0
	s_add_co_i32 s2, s5, 1
	s_mov_b64 s[0:1], 0xffffffffffffffe0
	s_and_b32 s6, s2, 30
	s_add_nc_u64 s[0:1], s[12:13], s[0:1]
	s_mov_b64 s[2:3], s[12:13]
.LBB85_110:                             ; =>This Inner Loop Header: Depth=1
	s_clause 0x1
	s_load_b128 s[16:19], s[2:3], 0x4
	s_load_b64 s[14:15], s[2:3], 0x14
	s_clause 0x1
	s_load_b32 s7, s[0:1], 0xe4
	s_load_b96 s[8:10], s[0:1], 0xec
	s_add_co_i32 s6, s6, -2
	s_wait_xcnt 0x0
	s_add_nc_u64 s[2:3], s[2:3], 24
	s_cmp_lg_u32 s6, 0
	s_wait_kmcnt 0x0
	v_mul_hi_u32 v6, s17, v5
	s_delay_alu instid0(VALU_DEP_1) | instskip(NEXT) | instid1(VALU_DEP_1)
	v_add_nc_u32_e32 v6, v5, v6
	v_lshrrev_b32_e32 v6, s18, v6
	s_delay_alu instid0(VALU_DEP_1) | instskip(SKIP_1) | instid1(VALU_DEP_1)
	v_mul_hi_u32 v8, s14, v6
	v_mul_lo_u32 v9, v6, s16
	v_dual_add_nc_u32 v8, v6, v8 :: v_dual_sub_nc_u32 v9, v5, v9
	s_delay_alu instid0(VALU_DEP_1) | instskip(SKIP_1) | instid1(VALU_DEP_2)
	v_lshrrev_b32_e32 v5, s15, v8
	s_load_b64 s[14:15], s[0:1], 0xfc
	v_mad_u32 v1, v9, s7, v1
	v_mad_u32 v2, v9, s9, v2
	;; [unrolled: 1-line block ×3, first 2 shown]
	v_mul_lo_u32 v8, v5, s19
	s_wait_xcnt 0x0
	s_add_nc_u64 s[0:1], s[0:1], 32
	s_delay_alu instid0(VALU_DEP_1) | instskip(NEXT) | instid1(VALU_DEP_1)
	v_sub_nc_u32_e32 v6, v6, v8
	v_mad_u32 v1, v6, s10, v1
	s_wait_kmcnt 0x0
	v_mad_u32 v2, v6, s15, v2
	v_mad_u32 v3, v6, s14, v3
	s_cbranch_scc1 .LBB85_110
; %bb.111:
	s_bitcmp1_b32 s5, 0
	s_cselect_b32 s5, -1, 0
	s_delay_alu instid0(SALU_CYCLE_1)
	s_and_b32 vcc_lo, exec_lo, s5
	s_cbranch_vccnz .LBB85_115
; %bb.112:
	s_load_b96 s[8:10], s[2:3], 0x4
	s_load_b32 s5, s[0:1], 0xe4
	s_wait_xcnt 0x0
	s_load_b64 s[2:3], s[0:1], 0xec
	s_wait_kmcnt 0x0
	v_mul_hi_u32 v6, s9, v5
	s_delay_alu instid0(VALU_DEP_1) | instskip(NEXT) | instid1(VALU_DEP_1)
	v_add_nc_u32_e32 v6, v5, v6
	v_lshrrev_b32_e32 v6, s10, v6
	s_delay_alu instid0(VALU_DEP_1) | instskip(NEXT) | instid1(VALU_DEP_1)
	v_mul_lo_u32 v6, v6, s8
	v_sub_nc_u32_e32 v5, v5, v6
	s_delay_alu instid0(VALU_DEP_1)
	v_mad_u32 v1, v5, s5, v1
	v_mad_u32 v3, v5, s2, v3
	;; [unrolled: 1-line block ×3, first 2 shown]
	s_and_not1_b32 vcc_lo, exec_lo, s4
	s_cbranch_vccz .LBB85_116
	s_branch .LBB85_119
.LBB85_113:
	s_endpgm
.LBB85_114:
	s_mov_b32 s4, -1
                                        ; implicit-def: $vgpr2
                                        ; implicit-def: $vgpr3
                                        ; implicit-def: $vgpr1
.LBB85_115:
	s_delay_alu instid0(SALU_CYCLE_1)
	s_and_not1_b32 vcc_lo, exec_lo, s4
	s_cbranch_vccnz .LBB85_119
.LBB85_116:
	s_clause 0x2
	s_load_b96 s[0:2], s[12:13], 0x4
	s_load_b32 s3, s[12:13], 0xc4
	s_load_b64 s[4:5], s[12:13], 0xcc
	s_cmp_lt_u32 s11, 2
	s_wait_kmcnt 0x0
	v_mul_hi_u32 v1, s1, v0
	s_delay_alu instid0(VALU_DEP_1) | instskip(NEXT) | instid1(VALU_DEP_1)
	v_add_nc_u32_e32 v1, v0, v1
	v_lshrrev_b32_e32 v5, s2, v1
	s_delay_alu instid0(VALU_DEP_1) | instskip(NEXT) | instid1(VALU_DEP_1)
	v_mul_lo_u32 v1, v5, s0
	v_sub_nc_u32_e32 v3, v0, v1
	s_delay_alu instid0(VALU_DEP_1)
	v_mul_lo_u32 v1, v3, s3
	v_mul_lo_u32 v2, v3, s5
	v_mul_lo_u32 v3, v3, s4
	s_cbranch_scc1 .LBB85_119
; %bb.117:
	s_clause 0x2
	s_load_b96 s[0:2], s[12:13], 0x10
	s_load_b32 s3, s[12:13], 0xd4
	s_load_b64 s[4:5], s[12:13], 0xdc
	s_wait_kmcnt 0x0
	v_mul_hi_u32 v6, s1, v5
	s_delay_alu instid0(VALU_DEP_1) | instskip(NEXT) | instid1(VALU_DEP_1)
	v_add_nc_u32_e32 v6, v5, v6
	v_lshrrev_b32_e32 v6, s2, v6
	s_delay_alu instid0(VALU_DEP_1) | instskip(NEXT) | instid1(VALU_DEP_1)
	v_mul_lo_u32 v6, v6, s0
	v_sub_nc_u32_e32 v5, v5, v6
	s_delay_alu instid0(VALU_DEP_1)
	v_mad_u32 v1, v5, s3, v1
	v_mad_u32 v3, v5, s4, v3
	;; [unrolled: 1-line block ×3, first 2 shown]
	s_branch .LBB85_119
.LBB85_118:
	v_dual_mov_b32 v2, 0 :: v_dual_mov_b32 v3, 0
	v_mov_b32_e32 v1, 0
	s_and_not1_b32 vcc_lo, exec_lo, s4
	s_cbranch_vccz .LBB85_116
.LBB85_119:
	v_cmp_ne_u32_e32 vcc_lo, 1, v7
	v_add_nc_u32_e32 v9, 0x80, v0
	s_cbranch_vccnz .LBB85_125
; %bb.120:
	s_cmp_lg_u32 s11, 0
	s_mov_b32 s4, 0
	s_cbranch_scc0 .LBB85_129
; %bb.121:
	s_min_u32 s5, s28, 15
	v_dual_mov_b32 v5, 0 :: v_dual_mov_b32 v10, v9
	v_dual_mov_b32 v8, 0 :: v_dual_mov_b32 v6, 0
	s_add_co_i32 s2, s5, 1
	s_mov_b64 s[0:1], 0xffffffffffffffe0
	s_and_b32 s6, s2, 30
	s_add_nc_u64 s[0:1], s[12:13], s[0:1]
	s_mov_b64 s[2:3], s[12:13]
.LBB85_122:                             ; =>This Inner Loop Header: Depth=1
	s_clause 0x1
	s_load_b128 s[16:19], s[2:3], 0x4
	s_load_b64 s[14:15], s[2:3], 0x14
	s_clause 0x1
	s_load_b32 s7, s[0:1], 0xe4
	s_load_b96 s[8:10], s[0:1], 0xec
	s_add_co_i32 s6, s6, -2
	s_wait_xcnt 0x0
	s_add_nc_u64 s[2:3], s[2:3], 24
	s_cmp_lg_u32 s6, 0
	s_wait_kmcnt 0x0
	v_mul_hi_u32 v11, s17, v10
	s_delay_alu instid0(VALU_DEP_1) | instskip(NEXT) | instid1(VALU_DEP_1)
	v_add_nc_u32_e32 v11, v10, v11
	v_lshrrev_b32_e32 v11, s18, v11
	s_delay_alu instid0(VALU_DEP_1) | instskip(SKIP_1) | instid1(VALU_DEP_1)
	v_mul_hi_u32 v12, s14, v11
	v_mul_lo_u32 v13, v11, s16
	v_dual_add_nc_u32 v12, v11, v12 :: v_dual_sub_nc_u32 v13, v10, v13
	s_delay_alu instid0(VALU_DEP_1) | instskip(SKIP_1) | instid1(VALU_DEP_2)
	v_lshrrev_b32_e32 v10, s15, v12
	s_load_b64 s[14:15], s[0:1], 0xfc
	v_mad_u32 v5, v13, s7, v5
	v_mad_u32 v6, v13, s9, v6
	;; [unrolled: 1-line block ×3, first 2 shown]
	v_mul_lo_u32 v12, v10, s19
	s_wait_xcnt 0x0
	s_add_nc_u64 s[0:1], s[0:1], 32
	s_delay_alu instid0(VALU_DEP_1) | instskip(NEXT) | instid1(VALU_DEP_1)
	v_sub_nc_u32_e32 v11, v11, v12
	v_mad_u32 v5, v11, s10, v5
	s_wait_kmcnt 0x0
	v_mad_u32 v6, v11, s15, v6
	v_mad_u32 v8, v11, s14, v8
	s_cbranch_scc1 .LBB85_122
; %bb.123:
	s_bitcmp1_b32 s5, 0
	s_cselect_b32 s5, -1, 0
	s_delay_alu instid0(SALU_CYCLE_1)
	s_and_b32 vcc_lo, exec_lo, s5
	s_cbranch_vccnz .LBB85_126
; %bb.124:
	s_load_b96 s[8:10], s[2:3], 0x4
	s_load_b32 s5, s[0:1], 0xe4
	s_wait_xcnt 0x0
	s_load_b64 s[2:3], s[0:1], 0xec
	s_wait_kmcnt 0x0
	v_mul_hi_u32 v11, s9, v10
	s_delay_alu instid0(VALU_DEP_1) | instskip(NEXT) | instid1(VALU_DEP_1)
	v_add_nc_u32_e32 v11, v10, v11
	v_lshrrev_b32_e32 v11, s10, v11
	s_delay_alu instid0(VALU_DEP_1) | instskip(NEXT) | instid1(VALU_DEP_1)
	v_mul_lo_u32 v11, v11, s8
	v_sub_nc_u32_e32 v10, v10, v11
	s_delay_alu instid0(VALU_DEP_1)
	v_mad_u32 v5, v10, s5, v5
	v_mad_u32 v8, v10, s2, v8
	;; [unrolled: 1-line block ×3, first 2 shown]
	s_and_not1_b32 vcc_lo, exec_lo, s4
	s_cbranch_vccz .LBB85_127
	s_branch .LBB85_130
.LBB85_125:
	s_mov_b32 s4, -1
                                        ; implicit-def: $vgpr6
                                        ; implicit-def: $vgpr8
                                        ; implicit-def: $vgpr5
.LBB85_126:
	s_delay_alu instid0(SALU_CYCLE_1)
	s_and_not1_b32 vcc_lo, exec_lo, s4
	s_cbranch_vccnz .LBB85_130
.LBB85_127:
	s_clause 0x2
	s_load_b96 s[0:2], s[12:13], 0x4
	s_load_b32 s3, s[12:13], 0xc4
	s_load_b64 s[4:5], s[12:13], 0xcc
	s_cmp_lt_u32 s11, 2
	s_wait_kmcnt 0x0
	v_mul_hi_u32 v5, s1, v9
	s_delay_alu instid0(VALU_DEP_1) | instskip(NEXT) | instid1(VALU_DEP_1)
	v_add_nc_u32_e32 v5, v9, v5
	v_lshrrev_b32_e32 v10, s2, v5
	s_delay_alu instid0(VALU_DEP_1) | instskip(NEXT) | instid1(VALU_DEP_1)
	v_mul_lo_u32 v5, v10, s0
	v_sub_nc_u32_e32 v8, v9, v5
	s_delay_alu instid0(VALU_DEP_1)
	v_mul_lo_u32 v5, v8, s3
	v_mul_lo_u32 v6, v8, s5
	;; [unrolled: 1-line block ×3, first 2 shown]
	s_cbranch_scc1 .LBB85_130
; %bb.128:
	s_clause 0x2
	s_load_b96 s[0:2], s[12:13], 0x10
	s_load_b32 s3, s[12:13], 0xd4
	s_load_b64 s[4:5], s[12:13], 0xdc
	s_wait_kmcnt 0x0
	v_mul_hi_u32 v9, s1, v10
	s_delay_alu instid0(VALU_DEP_1) | instskip(NEXT) | instid1(VALU_DEP_1)
	v_add_nc_u32_e32 v9, v10, v9
	v_lshrrev_b32_e32 v9, s2, v9
	s_delay_alu instid0(VALU_DEP_1) | instskip(NEXT) | instid1(VALU_DEP_1)
	v_mul_lo_u32 v9, v9, s0
	v_sub_nc_u32_e32 v9, v10, v9
	s_delay_alu instid0(VALU_DEP_1)
	v_mad_u32 v5, v9, s3, v5
	v_mad_u32 v8, v9, s4, v8
	;; [unrolled: 1-line block ×3, first 2 shown]
	s_branch .LBB85_130
.LBB85_129:
	v_dual_mov_b32 v6, 0 :: v_dual_mov_b32 v8, 0
	v_mov_b32_e32 v5, 0
	s_and_not1_b32 vcc_lo, exec_lo, s4
	s_cbranch_vccz .LBB85_127
.LBB85_130:
	v_cmp_ne_u32_e32 vcc_lo, 1, v7
	v_add_nc_u32_e32 v12, 0x100, v0
	s_cbranch_vccnz .LBB85_136
; %bb.131:
	s_cmp_lg_u32 s11, 0
	s_mov_b32 s4, 0
	s_cbranch_scc0 .LBB85_140
; %bb.132:
	s_min_u32 s5, s28, 15
	v_dual_mov_b32 v9, 0 :: v_dual_mov_b32 v13, v12
	v_dual_mov_b32 v10, 0 :: v_dual_mov_b32 v11, 0
	s_add_co_i32 s2, s5, 1
	s_mov_b64 s[0:1], 0xffffffffffffffe0
	s_and_b32 s6, s2, 30
	s_add_nc_u64 s[0:1], s[12:13], s[0:1]
	s_mov_b64 s[2:3], s[12:13]
.LBB85_133:                             ; =>This Inner Loop Header: Depth=1
	s_clause 0x1
	s_load_b128 s[16:19], s[2:3], 0x4
	s_load_b64 s[14:15], s[2:3], 0x14
	s_clause 0x1
	s_load_b32 s7, s[0:1], 0xe4
	s_load_b96 s[8:10], s[0:1], 0xec
	s_add_co_i32 s6, s6, -2
	s_wait_xcnt 0x0
	s_add_nc_u64 s[2:3], s[2:3], 24
	s_cmp_lg_u32 s6, 0
	s_wait_kmcnt 0x0
	v_mul_hi_u32 v14, s17, v13
	s_delay_alu instid0(VALU_DEP_1) | instskip(NEXT) | instid1(VALU_DEP_1)
	v_add_nc_u32_e32 v14, v13, v14
	v_lshrrev_b32_e32 v14, s18, v14
	s_delay_alu instid0(VALU_DEP_1) | instskip(SKIP_1) | instid1(VALU_DEP_1)
	v_mul_hi_u32 v15, s14, v14
	v_mul_lo_u32 v16, v14, s16
	v_dual_add_nc_u32 v15, v14, v15 :: v_dual_sub_nc_u32 v16, v13, v16
	s_delay_alu instid0(VALU_DEP_1) | instskip(SKIP_1) | instid1(VALU_DEP_2)
	v_lshrrev_b32_e32 v13, s15, v15
	s_load_b64 s[14:15], s[0:1], 0xfc
	v_mad_u32 v9, v16, s7, v9
	v_mad_u32 v11, v16, s9, v11
	;; [unrolled: 1-line block ×3, first 2 shown]
	v_mul_lo_u32 v15, v13, s19
	s_wait_xcnt 0x0
	s_add_nc_u64 s[0:1], s[0:1], 32
	s_delay_alu instid0(VALU_DEP_1) | instskip(NEXT) | instid1(VALU_DEP_1)
	v_sub_nc_u32_e32 v14, v14, v15
	v_mad_u32 v9, v14, s10, v9
	s_wait_kmcnt 0x0
	v_mad_u32 v11, v14, s15, v11
	v_mad_u32 v10, v14, s14, v10
	s_cbranch_scc1 .LBB85_133
; %bb.134:
	s_bitcmp1_b32 s5, 0
	s_cselect_b32 s5, -1, 0
	s_delay_alu instid0(SALU_CYCLE_1)
	s_and_b32 vcc_lo, exec_lo, s5
	s_cbranch_vccnz .LBB85_137
; %bb.135:
	s_load_b96 s[8:10], s[2:3], 0x4
	s_load_b32 s5, s[0:1], 0xe4
	s_wait_xcnt 0x0
	s_load_b64 s[2:3], s[0:1], 0xec
	s_wait_kmcnt 0x0
	v_mul_hi_u32 v14, s9, v13
	s_delay_alu instid0(VALU_DEP_1) | instskip(NEXT) | instid1(VALU_DEP_1)
	v_add_nc_u32_e32 v14, v13, v14
	v_lshrrev_b32_e32 v14, s10, v14
	s_delay_alu instid0(VALU_DEP_1) | instskip(NEXT) | instid1(VALU_DEP_1)
	v_mul_lo_u32 v14, v14, s8
	v_sub_nc_u32_e32 v13, v13, v14
	s_delay_alu instid0(VALU_DEP_1)
	v_mad_u32 v9, v13, s5, v9
	v_mad_u32 v10, v13, s2, v10
	;; [unrolled: 1-line block ×3, first 2 shown]
	s_and_not1_b32 vcc_lo, exec_lo, s4
	s_cbranch_vccz .LBB85_138
	s_branch .LBB85_141
.LBB85_136:
	s_mov_b32 s4, -1
                                        ; implicit-def: $vgpr11
                                        ; implicit-def: $vgpr10
                                        ; implicit-def: $vgpr9
.LBB85_137:
	s_delay_alu instid0(SALU_CYCLE_1)
	s_and_not1_b32 vcc_lo, exec_lo, s4
	s_cbranch_vccnz .LBB85_141
.LBB85_138:
	s_clause 0x2
	s_load_b96 s[0:2], s[12:13], 0x4
	s_load_b32 s3, s[12:13], 0xc4
	s_load_b64 s[4:5], s[12:13], 0xcc
	s_cmp_lt_u32 s11, 2
	s_wait_kmcnt 0x0
	v_mul_hi_u32 v9, s1, v12
	s_delay_alu instid0(VALU_DEP_1) | instskip(NEXT) | instid1(VALU_DEP_1)
	v_add_nc_u32_e32 v9, v12, v9
	v_lshrrev_b32_e32 v13, s2, v9
	s_delay_alu instid0(VALU_DEP_1) | instskip(NEXT) | instid1(VALU_DEP_1)
	v_mul_lo_u32 v9, v13, s0
	v_sub_nc_u32_e32 v10, v12, v9
	s_delay_alu instid0(VALU_DEP_1)
	v_mul_lo_u32 v9, v10, s3
	v_mul_lo_u32 v11, v10, s5
	;; [unrolled: 1-line block ×3, first 2 shown]
	s_cbranch_scc1 .LBB85_141
; %bb.139:
	s_clause 0x2
	s_load_b96 s[0:2], s[12:13], 0x10
	s_load_b32 s3, s[12:13], 0xd4
	s_load_b64 s[4:5], s[12:13], 0xdc
	s_wait_kmcnt 0x0
	v_mul_hi_u32 v12, s1, v13
	s_delay_alu instid0(VALU_DEP_1) | instskip(NEXT) | instid1(VALU_DEP_1)
	v_add_nc_u32_e32 v12, v13, v12
	v_lshrrev_b32_e32 v12, s2, v12
	s_delay_alu instid0(VALU_DEP_1) | instskip(NEXT) | instid1(VALU_DEP_1)
	v_mul_lo_u32 v12, v12, s0
	v_sub_nc_u32_e32 v12, v13, v12
	s_delay_alu instid0(VALU_DEP_1)
	v_mad_u32 v9, v12, s3, v9
	v_mad_u32 v10, v12, s4, v10
	;; [unrolled: 1-line block ×3, first 2 shown]
	s_branch .LBB85_141
.LBB85_140:
	v_dual_mov_b32 v11, 0 :: v_dual_mov_b32 v10, 0
	v_mov_b32_e32 v9, 0
	s_and_not1_b32 vcc_lo, exec_lo, s4
	s_cbranch_vccz .LBB85_138
.LBB85_141:
	v_cmp_ne_u32_e32 vcc_lo, 1, v7
	v_add_nc_u32_e32 v15, 0x180, v0
	s_cbranch_vccnz .LBB85_147
; %bb.142:
	s_cmp_lg_u32 s11, 0
	s_mov_b32 s4, 0
	s_cbranch_scc0 .LBB85_151
; %bb.143:
	s_min_u32 s5, s28, 15
	v_dual_mov_b32 v12, 0 :: v_dual_mov_b32 v16, v15
	v_dual_mov_b32 v14, 0 :: v_dual_mov_b32 v13, 0
	s_add_co_i32 s2, s5, 1
	s_mov_b64 s[0:1], 0xffffffffffffffe0
	s_and_b32 s6, s2, 30
	s_add_nc_u64 s[0:1], s[12:13], s[0:1]
	s_mov_b64 s[2:3], s[12:13]
.LBB85_144:                             ; =>This Inner Loop Header: Depth=1
	s_clause 0x1
	s_load_b128 s[16:19], s[2:3], 0x4
	s_load_b64 s[14:15], s[2:3], 0x14
	s_clause 0x1
	s_load_b32 s7, s[0:1], 0xe4
	s_load_b96 s[8:10], s[0:1], 0xec
	s_add_co_i32 s6, s6, -2
	s_wait_xcnt 0x0
	s_add_nc_u64 s[2:3], s[2:3], 24
	s_cmp_lg_u32 s6, 0
	s_wait_kmcnt 0x0
	v_mul_hi_u32 v17, s17, v16
	s_delay_alu instid0(VALU_DEP_1) | instskip(NEXT) | instid1(VALU_DEP_1)
	v_add_nc_u32_e32 v17, v16, v17
	v_lshrrev_b32_e32 v17, s18, v17
	s_delay_alu instid0(VALU_DEP_1) | instskip(SKIP_1) | instid1(VALU_DEP_1)
	v_mul_hi_u32 v18, s14, v17
	v_mul_lo_u32 v19, v17, s16
	v_dual_add_nc_u32 v18, v17, v18 :: v_dual_sub_nc_u32 v19, v16, v19
	s_delay_alu instid0(VALU_DEP_1) | instskip(SKIP_1) | instid1(VALU_DEP_2)
	v_lshrrev_b32_e32 v16, s15, v18
	s_load_b64 s[14:15], s[0:1], 0xfc
	v_mad_u32 v12, v19, s7, v12
	v_mad_u32 v13, v19, s9, v13
	;; [unrolled: 1-line block ×3, first 2 shown]
	v_mul_lo_u32 v18, v16, s19
	s_wait_xcnt 0x0
	s_add_nc_u64 s[0:1], s[0:1], 32
	s_delay_alu instid0(VALU_DEP_1) | instskip(NEXT) | instid1(VALU_DEP_1)
	v_sub_nc_u32_e32 v17, v17, v18
	v_mad_u32 v12, v17, s10, v12
	s_wait_kmcnt 0x0
	v_mad_u32 v13, v17, s15, v13
	v_mad_u32 v14, v17, s14, v14
	s_cbranch_scc1 .LBB85_144
; %bb.145:
	s_bitcmp1_b32 s5, 0
	s_cselect_b32 s5, -1, 0
	s_delay_alu instid0(SALU_CYCLE_1)
	s_and_b32 vcc_lo, exec_lo, s5
	s_cbranch_vccnz .LBB85_148
; %bb.146:
	s_load_b96 s[8:10], s[2:3], 0x4
	s_load_b32 s5, s[0:1], 0xe4
	s_wait_xcnt 0x0
	s_load_b64 s[2:3], s[0:1], 0xec
	s_wait_kmcnt 0x0
	v_mul_hi_u32 v17, s9, v16
	s_delay_alu instid0(VALU_DEP_1) | instskip(NEXT) | instid1(VALU_DEP_1)
	v_add_nc_u32_e32 v17, v16, v17
	v_lshrrev_b32_e32 v17, s10, v17
	s_delay_alu instid0(VALU_DEP_1) | instskip(NEXT) | instid1(VALU_DEP_1)
	v_mul_lo_u32 v17, v17, s8
	v_sub_nc_u32_e32 v16, v16, v17
	s_delay_alu instid0(VALU_DEP_1)
	v_mad_u32 v12, v16, s5, v12
	v_mad_u32 v14, v16, s2, v14
	;; [unrolled: 1-line block ×3, first 2 shown]
	s_and_not1_b32 vcc_lo, exec_lo, s4
	s_cbranch_vccz .LBB85_149
	s_branch .LBB85_152
.LBB85_147:
	s_mov_b32 s4, -1
                                        ; implicit-def: $vgpr13
                                        ; implicit-def: $vgpr14
                                        ; implicit-def: $vgpr12
.LBB85_148:
	s_delay_alu instid0(SALU_CYCLE_1)
	s_and_not1_b32 vcc_lo, exec_lo, s4
	s_cbranch_vccnz .LBB85_152
.LBB85_149:
	s_clause 0x2
	s_load_b96 s[0:2], s[12:13], 0x4
	s_load_b32 s3, s[12:13], 0xc4
	s_load_b64 s[4:5], s[12:13], 0xcc
	s_cmp_lt_u32 s11, 2
	s_wait_kmcnt 0x0
	v_mul_hi_u32 v12, s1, v15
	s_delay_alu instid0(VALU_DEP_1) | instskip(NEXT) | instid1(VALU_DEP_1)
	v_add_nc_u32_e32 v12, v15, v12
	v_lshrrev_b32_e32 v16, s2, v12
	s_delay_alu instid0(VALU_DEP_1) | instskip(NEXT) | instid1(VALU_DEP_1)
	v_mul_lo_u32 v12, v16, s0
	v_sub_nc_u32_e32 v14, v15, v12
	s_delay_alu instid0(VALU_DEP_1)
	v_mul_lo_u32 v12, v14, s3
	v_mul_lo_u32 v13, v14, s5
	;; [unrolled: 1-line block ×3, first 2 shown]
	s_cbranch_scc1 .LBB85_152
; %bb.150:
	s_clause 0x2
	s_load_b96 s[0:2], s[12:13], 0x10
	s_load_b32 s3, s[12:13], 0xd4
	s_load_b64 s[4:5], s[12:13], 0xdc
	s_wait_kmcnt 0x0
	v_mul_hi_u32 v15, s1, v16
	s_delay_alu instid0(VALU_DEP_1) | instskip(NEXT) | instid1(VALU_DEP_1)
	v_add_nc_u32_e32 v15, v16, v15
	v_lshrrev_b32_e32 v15, s2, v15
	s_delay_alu instid0(VALU_DEP_1) | instskip(NEXT) | instid1(VALU_DEP_1)
	v_mul_lo_u32 v15, v15, s0
	v_sub_nc_u32_e32 v15, v16, v15
	s_delay_alu instid0(VALU_DEP_1)
	v_mad_u32 v12, v15, s3, v12
	v_mad_u32 v14, v15, s4, v14
	;; [unrolled: 1-line block ×3, first 2 shown]
	s_branch .LBB85_152
.LBB85_151:
	v_dual_mov_b32 v13, 0 :: v_dual_mov_b32 v14, 0
	v_mov_b32_e32 v12, 0
	s_and_not1_b32 vcc_lo, exec_lo, s4
	s_cbranch_vccz .LBB85_149
.LBB85_152:
	v_cmp_ne_u32_e32 vcc_lo, 1, v7
	v_add_nc_u32_e32 v18, 0x200, v0
	s_cbranch_vccnz .LBB85_158
; %bb.153:
	s_cmp_lg_u32 s11, 0
	s_mov_b32 s4, 0
	s_cbranch_scc0 .LBB85_162
; %bb.154:
	s_min_u32 s5, s28, 15
	v_dual_mov_b32 v15, 0 :: v_dual_mov_b32 v19, v18
	v_dual_mov_b32 v17, 0 :: v_dual_mov_b32 v16, 0
	s_add_co_i32 s2, s5, 1
	s_mov_b64 s[0:1], 0xffffffffffffffe0
	s_and_b32 s6, s2, 30
	s_add_nc_u64 s[0:1], s[12:13], s[0:1]
	s_mov_b64 s[2:3], s[12:13]
.LBB85_155:                             ; =>This Inner Loop Header: Depth=1
	s_clause 0x1
	s_load_b128 s[16:19], s[2:3], 0x4
	s_load_b64 s[14:15], s[2:3], 0x14
	s_clause 0x1
	s_load_b32 s7, s[0:1], 0xe4
	s_load_b96 s[8:10], s[0:1], 0xec
	s_add_co_i32 s6, s6, -2
	s_wait_xcnt 0x0
	s_add_nc_u64 s[2:3], s[2:3], 24
	s_cmp_lg_u32 s6, 0
	s_wait_kmcnt 0x0
	v_mul_hi_u32 v20, s17, v19
	s_delay_alu instid0(VALU_DEP_1) | instskip(NEXT) | instid1(VALU_DEP_1)
	v_add_nc_u32_e32 v20, v19, v20
	v_lshrrev_b32_e32 v20, s18, v20
	s_delay_alu instid0(VALU_DEP_1) | instskip(SKIP_1) | instid1(VALU_DEP_1)
	v_mul_hi_u32 v21, s14, v20
	v_mul_lo_u32 v22, v20, s16
	v_dual_add_nc_u32 v21, v20, v21 :: v_dual_sub_nc_u32 v22, v19, v22
	s_delay_alu instid0(VALU_DEP_1) | instskip(SKIP_1) | instid1(VALU_DEP_2)
	v_lshrrev_b32_e32 v19, s15, v21
	s_load_b64 s[14:15], s[0:1], 0xfc
	v_mad_u32 v15, v22, s7, v15
	v_mad_u32 v16, v22, s9, v16
	;; [unrolled: 1-line block ×3, first 2 shown]
	v_mul_lo_u32 v21, v19, s19
	s_wait_xcnt 0x0
	s_add_nc_u64 s[0:1], s[0:1], 32
	s_delay_alu instid0(VALU_DEP_1) | instskip(NEXT) | instid1(VALU_DEP_1)
	v_sub_nc_u32_e32 v20, v20, v21
	v_mad_u32 v15, v20, s10, v15
	s_wait_kmcnt 0x0
	v_mad_u32 v16, v20, s15, v16
	v_mad_u32 v17, v20, s14, v17
	s_cbranch_scc1 .LBB85_155
; %bb.156:
	s_bitcmp1_b32 s5, 0
	s_cselect_b32 s5, -1, 0
	s_delay_alu instid0(SALU_CYCLE_1)
	s_and_b32 vcc_lo, exec_lo, s5
	s_cbranch_vccnz .LBB85_159
; %bb.157:
	s_load_b96 s[8:10], s[2:3], 0x4
	s_load_b32 s5, s[0:1], 0xe4
	s_wait_xcnt 0x0
	s_load_b64 s[2:3], s[0:1], 0xec
	s_wait_kmcnt 0x0
	v_mul_hi_u32 v20, s9, v19
	s_delay_alu instid0(VALU_DEP_1) | instskip(NEXT) | instid1(VALU_DEP_1)
	v_add_nc_u32_e32 v20, v19, v20
	v_lshrrev_b32_e32 v20, s10, v20
	s_delay_alu instid0(VALU_DEP_1) | instskip(NEXT) | instid1(VALU_DEP_1)
	v_mul_lo_u32 v20, v20, s8
	v_sub_nc_u32_e32 v19, v19, v20
	s_delay_alu instid0(VALU_DEP_1)
	v_mad_u32 v15, v19, s5, v15
	v_mad_u32 v17, v19, s2, v17
	;; [unrolled: 1-line block ×3, first 2 shown]
	s_and_not1_b32 vcc_lo, exec_lo, s4
	s_cbranch_vccz .LBB85_160
	s_branch .LBB85_163
.LBB85_158:
	s_mov_b32 s4, -1
                                        ; implicit-def: $vgpr16
                                        ; implicit-def: $vgpr17
                                        ; implicit-def: $vgpr15
.LBB85_159:
	s_delay_alu instid0(SALU_CYCLE_1)
	s_and_not1_b32 vcc_lo, exec_lo, s4
	s_cbranch_vccnz .LBB85_163
.LBB85_160:
	s_clause 0x2
	s_load_b96 s[0:2], s[12:13], 0x4
	s_load_b32 s3, s[12:13], 0xc4
	s_load_b64 s[4:5], s[12:13], 0xcc
	s_cmp_lt_u32 s11, 2
	s_wait_kmcnt 0x0
	v_mul_hi_u32 v15, s1, v18
	s_delay_alu instid0(VALU_DEP_1) | instskip(NEXT) | instid1(VALU_DEP_1)
	v_add_nc_u32_e32 v15, v18, v15
	v_lshrrev_b32_e32 v19, s2, v15
	s_delay_alu instid0(VALU_DEP_1) | instskip(NEXT) | instid1(VALU_DEP_1)
	v_mul_lo_u32 v15, v19, s0
	v_sub_nc_u32_e32 v17, v18, v15
	s_delay_alu instid0(VALU_DEP_1)
	v_mul_lo_u32 v15, v17, s3
	v_mul_lo_u32 v16, v17, s5
	;; [unrolled: 1-line block ×3, first 2 shown]
	s_cbranch_scc1 .LBB85_163
; %bb.161:
	s_clause 0x2
	s_load_b96 s[0:2], s[12:13], 0x10
	s_load_b32 s3, s[12:13], 0xd4
	s_load_b64 s[4:5], s[12:13], 0xdc
	s_wait_kmcnt 0x0
	v_mul_hi_u32 v18, s1, v19
	s_delay_alu instid0(VALU_DEP_1) | instskip(NEXT) | instid1(VALU_DEP_1)
	v_add_nc_u32_e32 v18, v19, v18
	v_lshrrev_b32_e32 v18, s2, v18
	s_delay_alu instid0(VALU_DEP_1) | instskip(NEXT) | instid1(VALU_DEP_1)
	v_mul_lo_u32 v18, v18, s0
	v_sub_nc_u32_e32 v18, v19, v18
	s_delay_alu instid0(VALU_DEP_1)
	v_mad_u32 v15, v18, s3, v15
	v_mad_u32 v17, v18, s4, v17
	;; [unrolled: 1-line block ×3, first 2 shown]
	s_branch .LBB85_163
.LBB85_162:
	v_dual_mov_b32 v16, 0 :: v_dual_mov_b32 v17, 0
	v_mov_b32_e32 v15, 0
	s_and_not1_b32 vcc_lo, exec_lo, s4
	s_cbranch_vccz .LBB85_160
.LBB85_163:
	v_cmp_ne_u32_e32 vcc_lo, 1, v7
	v_add_nc_u32_e32 v21, 0x280, v0
	s_cbranch_vccnz .LBB85_169
; %bb.164:
	s_cmp_lg_u32 s11, 0
	s_mov_b32 s4, 0
	s_cbranch_scc0 .LBB85_173
; %bb.165:
	s_min_u32 s5, s28, 15
	v_dual_mov_b32 v18, 0 :: v_dual_mov_b32 v22, v21
	v_dual_mov_b32 v19, 0 :: v_dual_mov_b32 v20, 0
	s_add_co_i32 s2, s5, 1
	s_mov_b64 s[0:1], 0xffffffffffffffe0
	s_and_b32 s6, s2, 30
	s_add_nc_u64 s[0:1], s[12:13], s[0:1]
	s_mov_b64 s[2:3], s[12:13]
.LBB85_166:                             ; =>This Inner Loop Header: Depth=1
	s_clause 0x1
	s_load_b128 s[16:19], s[2:3], 0x4
	s_load_b64 s[14:15], s[2:3], 0x14
	s_clause 0x1
	s_load_b32 s7, s[0:1], 0xe4
	s_load_b96 s[8:10], s[0:1], 0xec
	s_add_co_i32 s6, s6, -2
	s_wait_xcnt 0x0
	s_add_nc_u64 s[2:3], s[2:3], 24
	s_cmp_lg_u32 s6, 0
	s_wait_kmcnt 0x0
	v_mul_hi_u32 v23, s17, v22
	s_delay_alu instid0(VALU_DEP_1) | instskip(NEXT) | instid1(VALU_DEP_1)
	v_add_nc_u32_e32 v23, v22, v23
	v_lshrrev_b32_e32 v23, s18, v23
	s_delay_alu instid0(VALU_DEP_1) | instskip(SKIP_1) | instid1(VALU_DEP_1)
	v_mul_hi_u32 v24, s14, v23
	v_mul_lo_u32 v25, v23, s16
	v_dual_add_nc_u32 v24, v23, v24 :: v_dual_sub_nc_u32 v25, v22, v25
	s_delay_alu instid0(VALU_DEP_1) | instskip(SKIP_1) | instid1(VALU_DEP_2)
	v_lshrrev_b32_e32 v22, s15, v24
	s_load_b64 s[14:15], s[0:1], 0xfc
	v_mad_u32 v18, v25, s7, v18
	v_mad_u32 v20, v25, s9, v20
	;; [unrolled: 1-line block ×3, first 2 shown]
	v_mul_lo_u32 v24, v22, s19
	s_wait_xcnt 0x0
	s_add_nc_u64 s[0:1], s[0:1], 32
	s_delay_alu instid0(VALU_DEP_1) | instskip(NEXT) | instid1(VALU_DEP_1)
	v_sub_nc_u32_e32 v23, v23, v24
	v_mad_u32 v18, v23, s10, v18
	s_wait_kmcnt 0x0
	v_mad_u32 v20, v23, s15, v20
	v_mad_u32 v19, v23, s14, v19
	s_cbranch_scc1 .LBB85_166
; %bb.167:
	s_bitcmp1_b32 s5, 0
	s_cselect_b32 s5, -1, 0
	s_delay_alu instid0(SALU_CYCLE_1)
	s_and_b32 vcc_lo, exec_lo, s5
	s_cbranch_vccnz .LBB85_170
; %bb.168:
	s_load_b96 s[8:10], s[2:3], 0x4
	s_load_b32 s5, s[0:1], 0xe4
	s_wait_xcnt 0x0
	s_load_b64 s[2:3], s[0:1], 0xec
	s_wait_kmcnt 0x0
	v_mul_hi_u32 v23, s9, v22
	s_delay_alu instid0(VALU_DEP_1) | instskip(NEXT) | instid1(VALU_DEP_1)
	v_add_nc_u32_e32 v23, v22, v23
	v_lshrrev_b32_e32 v23, s10, v23
	s_delay_alu instid0(VALU_DEP_1) | instskip(NEXT) | instid1(VALU_DEP_1)
	v_mul_lo_u32 v23, v23, s8
	v_sub_nc_u32_e32 v22, v22, v23
	s_delay_alu instid0(VALU_DEP_1)
	v_mad_u32 v18, v22, s5, v18
	v_mad_u32 v19, v22, s2, v19
	;; [unrolled: 1-line block ×3, first 2 shown]
	s_and_not1_b32 vcc_lo, exec_lo, s4
	s_cbranch_vccz .LBB85_171
	s_branch .LBB85_174
.LBB85_169:
	s_mov_b32 s4, -1
                                        ; implicit-def: $vgpr20
                                        ; implicit-def: $vgpr19
                                        ; implicit-def: $vgpr18
.LBB85_170:
	s_delay_alu instid0(SALU_CYCLE_1)
	s_and_not1_b32 vcc_lo, exec_lo, s4
	s_cbranch_vccnz .LBB85_174
.LBB85_171:
	s_clause 0x2
	s_load_b96 s[0:2], s[12:13], 0x4
	s_load_b32 s3, s[12:13], 0xc4
	s_load_b64 s[4:5], s[12:13], 0xcc
	s_cmp_lt_u32 s11, 2
	s_wait_kmcnt 0x0
	v_mul_hi_u32 v18, s1, v21
	s_delay_alu instid0(VALU_DEP_1) | instskip(NEXT) | instid1(VALU_DEP_1)
	v_add_nc_u32_e32 v18, v21, v18
	v_lshrrev_b32_e32 v22, s2, v18
	s_delay_alu instid0(VALU_DEP_1) | instskip(NEXT) | instid1(VALU_DEP_1)
	v_mul_lo_u32 v18, v22, s0
	v_sub_nc_u32_e32 v19, v21, v18
	s_delay_alu instid0(VALU_DEP_1)
	v_mul_lo_u32 v18, v19, s3
	v_mul_lo_u32 v20, v19, s5
	;; [unrolled: 1-line block ×3, first 2 shown]
	s_cbranch_scc1 .LBB85_174
; %bb.172:
	s_clause 0x2
	s_load_b96 s[0:2], s[12:13], 0x10
	s_load_b32 s3, s[12:13], 0xd4
	s_load_b64 s[4:5], s[12:13], 0xdc
	s_wait_kmcnt 0x0
	v_mul_hi_u32 v21, s1, v22
	s_delay_alu instid0(VALU_DEP_1) | instskip(NEXT) | instid1(VALU_DEP_1)
	v_add_nc_u32_e32 v21, v22, v21
	v_lshrrev_b32_e32 v21, s2, v21
	s_delay_alu instid0(VALU_DEP_1) | instskip(NEXT) | instid1(VALU_DEP_1)
	v_mul_lo_u32 v21, v21, s0
	v_sub_nc_u32_e32 v21, v22, v21
	s_delay_alu instid0(VALU_DEP_1)
	v_mad_u32 v18, v21, s3, v18
	v_mad_u32 v19, v21, s4, v19
	;; [unrolled: 1-line block ×3, first 2 shown]
	s_branch .LBB85_174
.LBB85_173:
	v_dual_mov_b32 v20, 0 :: v_dual_mov_b32 v19, 0
	v_mov_b32_e32 v18, 0
	s_and_not1_b32 vcc_lo, exec_lo, s4
	s_cbranch_vccz .LBB85_171
.LBB85_174:
	v_cmp_ne_u32_e32 vcc_lo, 1, v7
	v_add_nc_u32_e32 v23, 0x300, v0
	s_cbranch_vccnz .LBB85_180
; %bb.175:
	s_cmp_lg_u32 s11, 0
	s_mov_b32 s4, 0
	s_cbranch_scc0 .LBB85_184
; %bb.176:
	s_min_u32 s5, s28, 15
	v_dual_mov_b32 v0, 0 :: v_dual_mov_b32 v24, v23
	v_dual_mov_b32 v22, 0 :: v_dual_mov_b32 v21, 0
	s_add_co_i32 s2, s5, 1
	s_mov_b64 s[0:1], 0xffffffffffffffe0
	s_and_b32 s6, s2, 30
	s_add_nc_u64 s[0:1], s[12:13], s[0:1]
	s_mov_b64 s[2:3], s[12:13]
.LBB85_177:                             ; =>This Inner Loop Header: Depth=1
	s_clause 0x1
	s_load_b128 s[16:19], s[2:3], 0x4
	s_load_b64 s[14:15], s[2:3], 0x14
	s_clause 0x1
	s_load_b32 s7, s[0:1], 0xe4
	s_load_b96 s[8:10], s[0:1], 0xec
	s_add_co_i32 s6, s6, -2
	s_wait_xcnt 0x0
	s_add_nc_u64 s[2:3], s[2:3], 24
	s_cmp_lg_u32 s6, 0
	s_wait_kmcnt 0x0
	v_mul_hi_u32 v25, s17, v24
	s_delay_alu instid0(VALU_DEP_1) | instskip(NEXT) | instid1(VALU_DEP_1)
	v_add_nc_u32_e32 v25, v24, v25
	v_lshrrev_b32_e32 v25, s18, v25
	s_delay_alu instid0(VALU_DEP_1) | instskip(SKIP_1) | instid1(VALU_DEP_1)
	v_mul_hi_u32 v26, s14, v25
	v_mul_lo_u32 v27, v25, s16
	v_dual_add_nc_u32 v26, v25, v26 :: v_dual_sub_nc_u32 v27, v24, v27
	s_delay_alu instid0(VALU_DEP_1) | instskip(SKIP_1) | instid1(VALU_DEP_2)
	v_lshrrev_b32_e32 v24, s15, v26
	s_load_b64 s[14:15], s[0:1], 0xfc
	v_mad_u32 v0, v27, s7, v0
	v_mad_u32 v21, v27, s9, v21
	;; [unrolled: 1-line block ×3, first 2 shown]
	v_mul_lo_u32 v26, v24, s19
	s_wait_xcnt 0x0
	s_add_nc_u64 s[0:1], s[0:1], 32
	s_delay_alu instid0(VALU_DEP_1) | instskip(NEXT) | instid1(VALU_DEP_1)
	v_sub_nc_u32_e32 v25, v25, v26
	v_mad_u32 v0, v25, s10, v0
	s_wait_kmcnt 0x0
	v_mad_u32 v21, v25, s15, v21
	v_mad_u32 v22, v25, s14, v22
	s_cbranch_scc1 .LBB85_177
; %bb.178:
	s_bitcmp1_b32 s5, 0
	s_cselect_b32 s5, -1, 0
	s_delay_alu instid0(SALU_CYCLE_1)
	s_and_b32 vcc_lo, exec_lo, s5
	s_cbranch_vccnz .LBB85_181
; %bb.179:
	s_load_b96 s[8:10], s[2:3], 0x4
	s_load_b32 s5, s[0:1], 0xe4
	s_wait_xcnt 0x0
	s_load_b64 s[2:3], s[0:1], 0xec
	s_wait_kmcnt 0x0
	v_mul_hi_u32 v25, s9, v24
	s_delay_alu instid0(VALU_DEP_1) | instskip(NEXT) | instid1(VALU_DEP_1)
	v_add_nc_u32_e32 v25, v24, v25
	v_lshrrev_b32_e32 v25, s10, v25
	s_delay_alu instid0(VALU_DEP_1) | instskip(NEXT) | instid1(VALU_DEP_1)
	v_mul_lo_u32 v25, v25, s8
	v_sub_nc_u32_e32 v24, v24, v25
	s_delay_alu instid0(VALU_DEP_1)
	v_mad_u32 v0, v24, s5, v0
	v_mad_u32 v22, v24, s2, v22
	;; [unrolled: 1-line block ×3, first 2 shown]
	s_and_not1_b32 vcc_lo, exec_lo, s4
	s_cbranch_vccz .LBB85_182
	s_branch .LBB85_185
.LBB85_180:
	s_mov_b32 s4, -1
                                        ; implicit-def: $vgpr21
                                        ; implicit-def: $vgpr22
                                        ; implicit-def: $vgpr0
.LBB85_181:
	s_delay_alu instid0(SALU_CYCLE_1)
	s_and_not1_b32 vcc_lo, exec_lo, s4
	s_cbranch_vccnz .LBB85_185
.LBB85_182:
	s_clause 0x2
	s_load_b96 s[0:2], s[12:13], 0x4
	s_load_b32 s3, s[12:13], 0xc4
	s_load_b64 s[4:5], s[12:13], 0xcc
	s_cmp_lt_u32 s11, 2
	s_wait_kmcnt 0x0
	v_mul_hi_u32 v0, s1, v23
	s_delay_alu instid0(VALU_DEP_1) | instskip(NEXT) | instid1(VALU_DEP_1)
	v_add_nc_u32_e32 v0, v23, v0
	v_lshrrev_b32_e32 v24, s2, v0
	s_delay_alu instid0(VALU_DEP_1) | instskip(NEXT) | instid1(VALU_DEP_1)
	v_mul_lo_u32 v0, v24, s0
	v_sub_nc_u32_e32 v22, v23, v0
	s_delay_alu instid0(VALU_DEP_1)
	v_mul_lo_u32 v0, v22, s3
	v_mul_lo_u32 v21, v22, s5
	;; [unrolled: 1-line block ×3, first 2 shown]
	s_cbranch_scc1 .LBB85_185
; %bb.183:
	s_clause 0x2
	s_load_b96 s[0:2], s[12:13], 0x10
	s_load_b32 s3, s[12:13], 0xd4
	s_load_b64 s[4:5], s[12:13], 0xdc
	s_wait_kmcnt 0x0
	v_mul_hi_u32 v23, s1, v24
	s_delay_alu instid0(VALU_DEP_1) | instskip(NEXT) | instid1(VALU_DEP_1)
	v_add_nc_u32_e32 v23, v24, v23
	v_lshrrev_b32_e32 v23, s2, v23
	s_delay_alu instid0(VALU_DEP_1) | instskip(NEXT) | instid1(VALU_DEP_1)
	v_mul_lo_u32 v23, v23, s0
	v_sub_nc_u32_e32 v23, v24, v23
	s_delay_alu instid0(VALU_DEP_1)
	v_mad_u32 v0, v23, s3, v0
	v_mad_u32 v22, v23, s4, v22
	;; [unrolled: 1-line block ×3, first 2 shown]
	s_branch .LBB85_185
.LBB85_184:
	v_dual_mov_b32 v21, 0 :: v_dual_mov_b32 v22, 0
	v_mov_b32_e32 v0, 0
	s_and_not1_b32 vcc_lo, exec_lo, s4
	s_cbranch_vccz .LBB85_182
.LBB85_185:
	v_cmp_ne_u32_e32 vcc_lo, 1, v7
	s_cbranch_vccnz .LBB85_191
; %bb.186:
	s_cmp_lg_u32 s11, 0
	s_mov_b32 s4, 0
	s_cbranch_scc0 .LBB85_195
; %bb.187:
	s_min_u32 s5, s28, 15
	v_dual_mov_b32 v7, 0 :: v_dual_mov_b32 v25, v4
	v_dual_mov_b32 v24, 0 :: v_dual_mov_b32 v23, 0
	s_add_co_i32 s2, s5, 1
	s_mov_b64 s[0:1], 0xffffffffffffffe0
	s_and_b32 s6, s2, 30
	s_add_nc_u64 s[0:1], s[12:13], s[0:1]
	s_mov_b64 s[2:3], s[12:13]
.LBB85_188:                             ; =>This Inner Loop Header: Depth=1
	s_clause 0x1
	s_load_b128 s[16:19], s[2:3], 0x4
	s_load_b64 s[14:15], s[2:3], 0x14
	s_clause 0x1
	s_load_b32 s7, s[0:1], 0xe4
	s_load_b96 s[8:10], s[0:1], 0xec
	s_add_co_i32 s6, s6, -2
	s_wait_xcnt 0x0
	s_add_nc_u64 s[2:3], s[2:3], 24
	s_cmp_lg_u32 s6, 0
	s_wait_kmcnt 0x0
	v_mul_hi_u32 v26, s17, v25
	s_delay_alu instid0(VALU_DEP_1) | instskip(NEXT) | instid1(VALU_DEP_1)
	v_add_nc_u32_e32 v26, v25, v26
	v_lshrrev_b32_e32 v26, s18, v26
	s_delay_alu instid0(VALU_DEP_1) | instskip(SKIP_1) | instid1(VALU_DEP_1)
	v_mul_hi_u32 v27, s14, v26
	v_mul_lo_u32 v28, v26, s16
	v_dual_add_nc_u32 v27, v26, v27 :: v_dual_sub_nc_u32 v28, v25, v28
	s_delay_alu instid0(VALU_DEP_1) | instskip(SKIP_1) | instid1(VALU_DEP_2)
	v_lshrrev_b32_e32 v25, s15, v27
	s_load_b64 s[14:15], s[0:1], 0xfc
	v_mad_u32 v7, v28, s7, v7
	v_mad_u32 v23, v28, s9, v23
	;; [unrolled: 1-line block ×3, first 2 shown]
	v_mul_lo_u32 v27, v25, s19
	s_wait_xcnt 0x0
	s_add_nc_u64 s[0:1], s[0:1], 32
	s_delay_alu instid0(VALU_DEP_1) | instskip(NEXT) | instid1(VALU_DEP_1)
	v_sub_nc_u32_e32 v26, v26, v27
	v_mad_u32 v7, v26, s10, v7
	s_wait_kmcnt 0x0
	v_mad_u32 v23, v26, s15, v23
	v_mad_u32 v24, v26, s14, v24
	s_cbranch_scc1 .LBB85_188
; %bb.189:
	s_bitcmp1_b32 s5, 0
	s_cselect_b32 s5, -1, 0
	s_delay_alu instid0(SALU_CYCLE_1)
	s_and_b32 vcc_lo, exec_lo, s5
	s_cbranch_vccnz .LBB85_192
; %bb.190:
	s_load_b96 s[8:10], s[2:3], 0x4
	s_load_b32 s5, s[0:1], 0xe4
	s_wait_xcnt 0x0
	s_load_b64 s[2:3], s[0:1], 0xec
	s_wait_kmcnt 0x0
	v_mul_hi_u32 v26, s9, v25
	s_delay_alu instid0(VALU_DEP_1) | instskip(NEXT) | instid1(VALU_DEP_1)
	v_add_nc_u32_e32 v26, v25, v26
	v_lshrrev_b32_e32 v26, s10, v26
	s_delay_alu instid0(VALU_DEP_1) | instskip(NEXT) | instid1(VALU_DEP_1)
	v_mul_lo_u32 v26, v26, s8
	v_sub_nc_u32_e32 v25, v25, v26
	s_delay_alu instid0(VALU_DEP_1)
	v_mad_u32 v7, v25, s5, v7
	v_mad_u32 v24, v25, s2, v24
	;; [unrolled: 1-line block ×3, first 2 shown]
	s_and_not1_b32 vcc_lo, exec_lo, s4
	s_cbranch_vccz .LBB85_193
	s_branch .LBB85_196
.LBB85_191:
	s_mov_b32 s4, -1
                                        ; implicit-def: $vgpr23
                                        ; implicit-def: $vgpr24
                                        ; implicit-def: $vgpr7
.LBB85_192:
	s_delay_alu instid0(SALU_CYCLE_1)
	s_and_not1_b32 vcc_lo, exec_lo, s4
	s_cbranch_vccnz .LBB85_196
.LBB85_193:
	s_clause 0x2
	s_load_b96 s[0:2], s[12:13], 0x4
	s_load_b32 s3, s[12:13], 0xc4
	s_load_b64 s[4:5], s[12:13], 0xcc
	s_cmp_lt_u32 s11, 2
	s_wait_kmcnt 0x0
	v_mul_hi_u32 v7, s1, v4
	s_delay_alu instid0(VALU_DEP_1) | instskip(NEXT) | instid1(VALU_DEP_1)
	v_add_nc_u32_e32 v7, v4, v7
	v_lshrrev_b32_e32 v25, s2, v7
	s_delay_alu instid0(VALU_DEP_1) | instskip(NEXT) | instid1(VALU_DEP_1)
	v_mul_lo_u32 v7, v25, s0
	v_sub_nc_u32_e32 v4, v4, v7
	s_delay_alu instid0(VALU_DEP_1)
	v_mul_lo_u32 v7, v4, s3
	v_mul_lo_u32 v23, v4, s5
	;; [unrolled: 1-line block ×3, first 2 shown]
	s_cbranch_scc1 .LBB85_196
; %bb.194:
	s_clause 0x2
	s_load_b96 s[0:2], s[12:13], 0x10
	s_load_b32 s3, s[12:13], 0xd4
	s_load_b64 s[4:5], s[12:13], 0xdc
	s_wait_kmcnt 0x0
	v_mul_hi_u32 v4, s1, v25
	s_delay_alu instid0(VALU_DEP_1) | instskip(NEXT) | instid1(VALU_DEP_1)
	v_add_nc_u32_e32 v4, v25, v4
	v_lshrrev_b32_e32 v4, s2, v4
	s_delay_alu instid0(VALU_DEP_1) | instskip(NEXT) | instid1(VALU_DEP_1)
	v_mul_lo_u32 v4, v4, s0
	v_sub_nc_u32_e32 v4, v25, v4
	s_delay_alu instid0(VALU_DEP_1)
	v_mad_u32 v7, v4, s3, v7
	v_mad_u32 v24, v4, s4, v24
	;; [unrolled: 1-line block ×3, first 2 shown]
	s_branch .LBB85_196
.LBB85_195:
	v_dual_mov_b32 v23, 0 :: v_dual_mov_b32 v24, 0
	v_mov_b32_e32 v7, 0
	s_and_not1_b32 vcc_lo, exec_lo, s4
	s_cbranch_vccz .LBB85_193
.LBB85_196:
	s_load_b128 s[0:3], s[12:13], 0x1d8
	s_wait_kmcnt 0x0
	s_clause 0x7
	global_load_u16 v4, v3, s[0:1]
	global_load_u16 v25, v8, s[0:1]
	;; [unrolled: 1-line block ×8, first 2 shown]
	s_clause 0x7
	global_load_u16 v32, v2, s[2:3]
	global_load_u16 v33, v6, s[2:3]
	;; [unrolled: 1-line block ×7, first 2 shown]
	; meta instruction
	; meta instruction
	;; [unrolled: 1-line block ×16, first 2 shown]
	global_load_u16 v2, v23, s[2:3]
	s_wait_xcnt 0x0
	s_clause 0x1
	s_load_b32 s2, s[12:13], 0x1e8
	s_load_b64 s[0:1], s[12:13], 0x1c8
	s_wait_loadcnt 0xf
	s_wait_kmcnt 0x0
	v_mul_lo_u16 v3, v4, s2
	s_wait_loadcnt 0xe
	v_mul_lo_u16 v4, v25, s2
	s_wait_loadcnt 0xd
	;; [unrolled: 2-line block ×15, first 2 shown]
	v_mul_lo_u16 v2, v14, v2
	s_clause 0x7
	global_store_b16 v1, v3, s[0:1]
	global_store_b16 v5, v4, s[0:1]
	;; [unrolled: 1-line block ×8, first 2 shown]
	s_endpgm
	.section	.rodata,"a",@progbits
	.p2align	6, 0x0
	.amdhsa_kernel _ZN2at6native32elementwise_kernel_manual_unrollILi128ELi8EZNS0_22gpu_kernel_impl_nocastIZZZNS0_12_GLOBAL__N_116addr_kernel_cudaERNS_14TensorIteratorERKN3c106ScalarES9_ENKUlvE_clEvENKUlvE3_clEvEUlsssE_EEvRNS_18TensorIteratorBaseERKT_EUlibE_EEviT1_
		.amdhsa_group_segment_fixed_size 0
		.amdhsa_private_segment_fixed_size 0
		.amdhsa_kernarg_size 504
		.amdhsa_user_sgpr_count 2
		.amdhsa_user_sgpr_dispatch_ptr 0
		.amdhsa_user_sgpr_queue_ptr 0
		.amdhsa_user_sgpr_kernarg_segment_ptr 1
		.amdhsa_user_sgpr_dispatch_id 0
		.amdhsa_user_sgpr_kernarg_preload_length 0
		.amdhsa_user_sgpr_kernarg_preload_offset 0
		.amdhsa_user_sgpr_private_segment_size 0
		.amdhsa_wavefront_size32 1
		.amdhsa_uses_dynamic_stack 0
		.amdhsa_enable_private_segment 0
		.amdhsa_system_sgpr_workgroup_id_x 1
		.amdhsa_system_sgpr_workgroup_id_y 0
		.amdhsa_system_sgpr_workgroup_id_z 0
		.amdhsa_system_sgpr_workgroup_info 0
		.amdhsa_system_vgpr_workitem_id 0
		.amdhsa_next_free_vgpr 39
		.amdhsa_next_free_sgpr 45
		.amdhsa_named_barrier_count 0
		.amdhsa_reserve_vcc 1
		.amdhsa_float_round_mode_32 0
		.amdhsa_float_round_mode_16_64 0
		.amdhsa_float_denorm_mode_32 3
		.amdhsa_float_denorm_mode_16_64 3
		.amdhsa_fp16_overflow 0
		.amdhsa_memory_ordered 1
		.amdhsa_forward_progress 1
		.amdhsa_inst_pref_size 88
		.amdhsa_round_robin_scheduling 0
		.amdhsa_exception_fp_ieee_invalid_op 0
		.amdhsa_exception_fp_denorm_src 0
		.amdhsa_exception_fp_ieee_div_zero 0
		.amdhsa_exception_fp_ieee_overflow 0
		.amdhsa_exception_fp_ieee_underflow 0
		.amdhsa_exception_fp_ieee_inexact 0
		.amdhsa_exception_int_div_zero 0
	.end_amdhsa_kernel
	.section	.text._ZN2at6native32elementwise_kernel_manual_unrollILi128ELi8EZNS0_22gpu_kernel_impl_nocastIZZZNS0_12_GLOBAL__N_116addr_kernel_cudaERNS_14TensorIteratorERKN3c106ScalarES9_ENKUlvE_clEvENKUlvE3_clEvEUlsssE_EEvRNS_18TensorIteratorBaseERKT_EUlibE_EEviT1_,"axG",@progbits,_ZN2at6native32elementwise_kernel_manual_unrollILi128ELi8EZNS0_22gpu_kernel_impl_nocastIZZZNS0_12_GLOBAL__N_116addr_kernel_cudaERNS_14TensorIteratorERKN3c106ScalarES9_ENKUlvE_clEvENKUlvE3_clEvEUlsssE_EEvRNS_18TensorIteratorBaseERKT_EUlibE_EEviT1_,comdat
.Lfunc_end85:
	.size	_ZN2at6native32elementwise_kernel_manual_unrollILi128ELi8EZNS0_22gpu_kernel_impl_nocastIZZZNS0_12_GLOBAL__N_116addr_kernel_cudaERNS_14TensorIteratorERKN3c106ScalarES9_ENKUlvE_clEvENKUlvE3_clEvEUlsssE_EEvRNS_18TensorIteratorBaseERKT_EUlibE_EEviT1_, .Lfunc_end85-_ZN2at6native32elementwise_kernel_manual_unrollILi128ELi8EZNS0_22gpu_kernel_impl_nocastIZZZNS0_12_GLOBAL__N_116addr_kernel_cudaERNS_14TensorIteratorERKN3c106ScalarES9_ENKUlvE_clEvENKUlvE3_clEvEUlsssE_EEvRNS_18TensorIteratorBaseERKT_EUlibE_EEviT1_
                                        ; -- End function
	.set _ZN2at6native32elementwise_kernel_manual_unrollILi128ELi8EZNS0_22gpu_kernel_impl_nocastIZZZNS0_12_GLOBAL__N_116addr_kernel_cudaERNS_14TensorIteratorERKN3c106ScalarES9_ENKUlvE_clEvENKUlvE3_clEvEUlsssE_EEvRNS_18TensorIteratorBaseERKT_EUlibE_EEviT1_.num_vgpr, 39
	.set _ZN2at6native32elementwise_kernel_manual_unrollILi128ELi8EZNS0_22gpu_kernel_impl_nocastIZZZNS0_12_GLOBAL__N_116addr_kernel_cudaERNS_14TensorIteratorERKN3c106ScalarES9_ENKUlvE_clEvENKUlvE3_clEvEUlsssE_EEvRNS_18TensorIteratorBaseERKT_EUlibE_EEviT1_.num_agpr, 0
	.set _ZN2at6native32elementwise_kernel_manual_unrollILi128ELi8EZNS0_22gpu_kernel_impl_nocastIZZZNS0_12_GLOBAL__N_116addr_kernel_cudaERNS_14TensorIteratorERKN3c106ScalarES9_ENKUlvE_clEvENKUlvE3_clEvEUlsssE_EEvRNS_18TensorIteratorBaseERKT_EUlibE_EEviT1_.numbered_sgpr, 45
	.set _ZN2at6native32elementwise_kernel_manual_unrollILi128ELi8EZNS0_22gpu_kernel_impl_nocastIZZZNS0_12_GLOBAL__N_116addr_kernel_cudaERNS_14TensorIteratorERKN3c106ScalarES9_ENKUlvE_clEvENKUlvE3_clEvEUlsssE_EEvRNS_18TensorIteratorBaseERKT_EUlibE_EEviT1_.num_named_barrier, 0
	.set _ZN2at6native32elementwise_kernel_manual_unrollILi128ELi8EZNS0_22gpu_kernel_impl_nocastIZZZNS0_12_GLOBAL__N_116addr_kernel_cudaERNS_14TensorIteratorERKN3c106ScalarES9_ENKUlvE_clEvENKUlvE3_clEvEUlsssE_EEvRNS_18TensorIteratorBaseERKT_EUlibE_EEviT1_.private_seg_size, 0
	.set _ZN2at6native32elementwise_kernel_manual_unrollILi128ELi8EZNS0_22gpu_kernel_impl_nocastIZZZNS0_12_GLOBAL__N_116addr_kernel_cudaERNS_14TensorIteratorERKN3c106ScalarES9_ENKUlvE_clEvENKUlvE3_clEvEUlsssE_EEvRNS_18TensorIteratorBaseERKT_EUlibE_EEviT1_.uses_vcc, 1
	.set _ZN2at6native32elementwise_kernel_manual_unrollILi128ELi8EZNS0_22gpu_kernel_impl_nocastIZZZNS0_12_GLOBAL__N_116addr_kernel_cudaERNS_14TensorIteratorERKN3c106ScalarES9_ENKUlvE_clEvENKUlvE3_clEvEUlsssE_EEvRNS_18TensorIteratorBaseERKT_EUlibE_EEviT1_.uses_flat_scratch, 0
	.set _ZN2at6native32elementwise_kernel_manual_unrollILi128ELi8EZNS0_22gpu_kernel_impl_nocastIZZZNS0_12_GLOBAL__N_116addr_kernel_cudaERNS_14TensorIteratorERKN3c106ScalarES9_ENKUlvE_clEvENKUlvE3_clEvEUlsssE_EEvRNS_18TensorIteratorBaseERKT_EUlibE_EEviT1_.has_dyn_sized_stack, 0
	.set _ZN2at6native32elementwise_kernel_manual_unrollILi128ELi8EZNS0_22gpu_kernel_impl_nocastIZZZNS0_12_GLOBAL__N_116addr_kernel_cudaERNS_14TensorIteratorERKN3c106ScalarES9_ENKUlvE_clEvENKUlvE3_clEvEUlsssE_EEvRNS_18TensorIteratorBaseERKT_EUlibE_EEviT1_.has_recursion, 0
	.set _ZN2at6native32elementwise_kernel_manual_unrollILi128ELi8EZNS0_22gpu_kernel_impl_nocastIZZZNS0_12_GLOBAL__N_116addr_kernel_cudaERNS_14TensorIteratorERKN3c106ScalarES9_ENKUlvE_clEvENKUlvE3_clEvEUlsssE_EEvRNS_18TensorIteratorBaseERKT_EUlibE_EEviT1_.has_indirect_call, 0
	.section	.AMDGPU.csdata,"",@progbits
; Kernel info:
; codeLenInByte = 11244
; TotalNumSgprs: 47
; NumVgprs: 39
; ScratchSize: 0
; MemoryBound: 0
; FloatMode: 240
; IeeeMode: 1
; LDSByteSize: 0 bytes/workgroup (compile time only)
; SGPRBlocks: 0
; VGPRBlocks: 2
; NumSGPRsForWavesPerEU: 47
; NumVGPRsForWavesPerEU: 39
; NamedBarCnt: 0
; Occupancy: 16
; WaveLimiterHint : 1
; COMPUTE_PGM_RSRC2:SCRATCH_EN: 0
; COMPUTE_PGM_RSRC2:USER_SGPR: 2
; COMPUTE_PGM_RSRC2:TRAP_HANDLER: 0
; COMPUTE_PGM_RSRC2:TGID_X_EN: 1
; COMPUTE_PGM_RSRC2:TGID_Y_EN: 0
; COMPUTE_PGM_RSRC2:TGID_Z_EN: 0
; COMPUTE_PGM_RSRC2:TIDIG_COMP_CNT: 0
	.section	.text._ZN2at6native32elementwise_kernel_manual_unrollILi128ELi4EZNS0_15gpu_kernel_implIZZZNS0_12_GLOBAL__N_116addr_kernel_cudaERNS_14TensorIteratorERKN3c106ScalarES9_ENKUlvE_clEvENKUlvE3_clEvEUlsssE_EEvRNS_18TensorIteratorBaseERKT_EUlibE_EEviT1_,"axG",@progbits,_ZN2at6native32elementwise_kernel_manual_unrollILi128ELi4EZNS0_15gpu_kernel_implIZZZNS0_12_GLOBAL__N_116addr_kernel_cudaERNS_14TensorIteratorERKN3c106ScalarES9_ENKUlvE_clEvENKUlvE3_clEvEUlsssE_EEvRNS_18TensorIteratorBaseERKT_EUlibE_EEviT1_,comdat
	.globl	_ZN2at6native32elementwise_kernel_manual_unrollILi128ELi4EZNS0_15gpu_kernel_implIZZZNS0_12_GLOBAL__N_116addr_kernel_cudaERNS_14TensorIteratorERKN3c106ScalarES9_ENKUlvE_clEvENKUlvE3_clEvEUlsssE_EEvRNS_18TensorIteratorBaseERKT_EUlibE_EEviT1_ ; -- Begin function _ZN2at6native32elementwise_kernel_manual_unrollILi128ELi4EZNS0_15gpu_kernel_implIZZZNS0_12_GLOBAL__N_116addr_kernel_cudaERNS_14TensorIteratorERKN3c106ScalarES9_ENKUlvE_clEvENKUlvE3_clEvEUlsssE_EEvRNS_18TensorIteratorBaseERKT_EUlibE_EEviT1_
	.p2align	8
	.type	_ZN2at6native32elementwise_kernel_manual_unrollILi128ELi4EZNS0_15gpu_kernel_implIZZZNS0_12_GLOBAL__N_116addr_kernel_cudaERNS_14TensorIteratorERKN3c106ScalarES9_ENKUlvE_clEvENKUlvE3_clEvEUlsssE_EEvRNS_18TensorIteratorBaseERKT_EUlibE_EEviT1_,@function
_ZN2at6native32elementwise_kernel_manual_unrollILi128ELi4EZNS0_15gpu_kernel_implIZZZNS0_12_GLOBAL__N_116addr_kernel_cudaERNS_14TensorIteratorERKN3c106ScalarES9_ENKUlvE_clEvENKUlvE3_clEvEUlsssE_EEvRNS_18TensorIteratorBaseERKT_EUlibE_EEviT1_: ; @_ZN2at6native32elementwise_kernel_manual_unrollILi128ELi4EZNS0_15gpu_kernel_implIZZZNS0_12_GLOBAL__N_116addr_kernel_cudaERNS_14TensorIteratorERKN3c106ScalarES9_ENKUlvE_clEvENKUlvE3_clEvEUlsssE_EEvRNS_18TensorIteratorBaseERKT_EUlibE_EEviT1_
; %bb.0:
	v_mov_b32_e32 v1, 0
	s_bfe_u32 s4, ttmp6, 0x4000c
	s_clause 0x1
	s_load_b32 s18, s[0:1], 0x0
	s_load_b64 s[2:3], s[0:1], 0x8
	s_add_co_i32 s13, s4, 1
	s_clause 0x1
	s_load_b128 s[4:7], s[0:1], 0x18
	s_load_b32 s11, s[0:1], 0x28
	global_load_b32 v1, v1, s[0:1] offset:58
	s_load_b96 s[8:10], s[0:1], 0x30
	s_and_b32 s14, ttmp6, 15
	s_wait_xcnt 0x0
	s_mul_i32 s0, ttmp9, s13
	s_getreg_b32 s16, hwreg(HW_REG_IB_STS2, 6, 4)
	s_add_co_i32 s14, s14, s0
	s_mov_b32 s17, 0
	s_wait_loadcnt 0x0
	v_readfirstlane_b32 s12, v1
	s_lshr_b32 s13, s12, 16
	s_lshr_b32 s15, s12, 8
	;; [unrolled: 1-line block ×3, first 2 shown]
	s_cmp_eq_u32 s16, 0
	s_cselect_b32 s0, ttmp9, s14
	s_mov_b32 s14, 0
	v_lshl_or_b32 v18, s0, 9, v0
	s_mov_b32 s0, exec_lo
	s_delay_alu instid0(VALU_DEP_1) | instskip(SKIP_1) | instid1(VALU_DEP_1)
	v_or_b32_e32 v0, 0x180, v18
	s_wait_kmcnt 0x0
	v_cmpx_le_i32_e64 s18, v0
	s_xor_b32 s16, exec_lo, s0
	s_cbranch_execz .LBB86_1592
; %bb.1:
	s_mov_b32 s0, -1
	s_mov_b32 s23, 0
	s_mov_b32 s21, 0
	;; [unrolled: 1-line block ×4, first 2 shown]
	s_mov_b32 s22, exec_lo
	v_cmpx_gt_i32_e64 s18, v18
	s_cbranch_execz .LBB86_394
; %bb.2:
	s_and_b32 s17, s15, 0xff
	s_delay_alu instid0(SALU_CYCLE_1)
	s_cmp_lt_i32 s17, 23
	s_cbranch_scc1 .LBB86_6
; %bb.3:
	s_and_b32 s19, 0xffff, s17
	s_delay_alu instid0(SALU_CYCLE_1)
	s_cmp_gt_i32 s19, 43
	s_cbranch_scc0 .LBB86_7
; %bb.4:
	s_cmp_gt_i32 s19, 45
	s_cbranch_scc0 .LBB86_8
; %bb.5:
	s_cmp_eq_u32 s19, 46
	s_mov_b32 s21, -1
	s_cselect_b32 s0, -1, 0
	s_branch .LBB86_9
.LBB86_6:
	s_mov_b32 s0, 0
	s_cbranch_execnz .LBB86_14
	s_branch .LBB86_18
.LBB86_7:
	s_mov_b32 s0, 0
	s_cbranch_execnz .LBB86_12
	s_branch .LBB86_13
.LBB86_8:
	s_mov_b32 s20, -1
	s_mov_b32 s0, 0
.LBB86_9:
	s_and_not1_b32 vcc_lo, exec_lo, s20
	s_cbranch_vccnz .LBB86_11
; %bb.10:
	s_cmp_eq_u32 s19, 44
	s_cselect_b32 s0, -1, 0
	s_cmp_lg_u32 s19, 44
	s_cselect_b32 s21, -1, 0
.LBB86_11:
	s_branch .LBB86_13
.LBB86_12:
	s_cmp_lt_i32 s19, 30
	s_cselect_b32 s0, -1, 0
	s_cmp_gt_i32 s19, 29
	s_cselect_b32 s21, -1, 0
.LBB86_13:
	s_branch .LBB86_18
.LBB86_14:
	s_and_b32 s17, 0xffff, s17
	s_mov_b32 s19, -1
	s_cmp_gt_i32 s17, 14
	s_cbranch_scc0 .LBB86_16
; %bb.15:
	s_cmp_eq_u32 s17, 15
	s_mov_b32 s19, 0
	s_cselect_b32 s0, -1, 0
	s_cmp_lg_u32 s17, 15
	s_cselect_b32 s21, -1, 0
.LBB86_16:
	s_and_not1_b32 vcc_lo, exec_lo, s19
	s_cbranch_vccnz .LBB86_18
; %bb.17:
	s_cmp_lt_i32 s17, 12
	s_cselect_b32 s0, -1, 0
	s_cmp_gt_i32 s17, 11
	s_cselect_b32 s21, -1, 0
.LBB86_18:
	s_and_b32 vcc_lo, exec_lo, s0
	s_cbranch_vccz .LBB86_26
; %bb.19:
	v_mul_lo_u32 v0, v18, s8
	s_and_b32 s0, s13, 0xff
	s_delay_alu instid0(SALU_CYCLE_1) | instskip(NEXT) | instid1(VALU_DEP_1)
	s_cmp_lt_i32 s0, 11
	v_ashrrev_i32_e32 v1, 31, v0
	s_delay_alu instid0(VALU_DEP_1)
	v_add_nc_u64_e32 v[2:3], s[4:5], v[0:1]
	s_cbranch_scc1 .LBB86_28
; %bb.20:
	s_and_b32 s17, 0xffff, s0
	s_delay_alu instid0(SALU_CYCLE_1)
	s_cmp_gt_i32 s17, 25
	s_cbranch_scc0 .LBB86_29
; %bb.21:
	s_cmp_gt_i32 s17, 28
	s_cbranch_scc0 .LBB86_30
; %bb.22:
	;; [unrolled: 3-line block ×4, first 2 shown]
	s_cmp_eq_u32 s17, 46
	s_mov_b32 s21, 0
	s_cbranch_scc0 .LBB86_33
; %bb.25:
	global_load_b32 v0, v[2:3], off
	s_mov_b32 s19, -1
	s_mov_b32 s20, 0
	s_wait_loadcnt 0x0
	v_lshlrev_b32_e32 v0, 16, v0
	s_delay_alu instid0(VALU_DEP_1)
	v_cvt_i32_f32_e32 v0, v0
	s_branch .LBB86_35
.LBB86_26:
	s_mov_b32 s0, 0
	s_mov_b32 s19, 0
	;; [unrolled: 1-line block ×3, first 2 shown]
.LBB86_27:
	s_mov_b32 s24, 0
                                        ; implicit-def: $vgpr18
	s_branch .LBB86_393
.LBB86_28:
	s_mov_b32 s20, 0
	s_mov_b32 s19, 0
                                        ; implicit-def: $vgpr0
	s_cbranch_execnz .LBB86_96
	s_branch .LBB86_144
.LBB86_29:
	s_mov_b32 s21, -1
	s_mov_b32 s20, 0
	s_mov_b32 s19, 0
                                        ; implicit-def: $vgpr0
	s_branch .LBB86_62
.LBB86_30:
	s_mov_b32 s21, -1
	s_mov_b32 s20, 0
	s_mov_b32 s19, 0
                                        ; implicit-def: $vgpr0
	s_branch .LBB86_45
.LBB86_31:
	s_mov_b32 s21, -1
	s_mov_b32 s20, 0
	s_mov_b32 s19, 0
                                        ; implicit-def: $vgpr0
	s_branch .LBB86_40
.LBB86_32:
	s_mov_b32 s21, -1
	s_mov_b32 s20, 0
	s_branch .LBB86_34
.LBB86_33:
	s_mov_b32 s20, -1
.LBB86_34:
	s_mov_b32 s19, 0
                                        ; implicit-def: $vgpr0
.LBB86_35:
	s_and_b32 vcc_lo, exec_lo, s21
	s_cbranch_vccz .LBB86_39
; %bb.36:
	s_cmp_eq_u32 s17, 44
	s_cbranch_scc0 .LBB86_38
; %bb.37:
	global_load_u8 v0, v[2:3], off
	s_mov_b32 s20, 0
	s_mov_b32 s19, -1
	s_wait_loadcnt 0x0
	v_lshlrev_b32_e32 v1, 23, v0
	v_cmp_ne_u32_e32 vcc_lo, 0, v0
	s_delay_alu instid0(VALU_DEP_2) | instskip(NEXT) | instid1(VALU_DEP_1)
	v_cvt_i32_f32_e32 v1, v1
	v_cndmask_b32_e32 v0, 0, v1, vcc_lo
	s_branch .LBB86_39
.LBB86_38:
	s_mov_b32 s20, -1
                                        ; implicit-def: $vgpr0
.LBB86_39:
	s_mov_b32 s21, 0
.LBB86_40:
	s_delay_alu instid0(SALU_CYCLE_1)
	s_and_b32 vcc_lo, exec_lo, s21
	s_cbranch_vccz .LBB86_44
; %bb.41:
	s_cmp_eq_u32 s17, 29
	s_cbranch_scc0 .LBB86_43
; %bb.42:
	global_load_b64 v[0:1], v[2:3], off
	s_mov_b32 s19, -1
	s_mov_b32 s20, 0
	s_branch .LBB86_44
.LBB86_43:
	s_mov_b32 s20, -1
                                        ; implicit-def: $vgpr0
.LBB86_44:
	s_mov_b32 s21, 0
.LBB86_45:
	s_delay_alu instid0(SALU_CYCLE_1)
	s_and_b32 vcc_lo, exec_lo, s21
	s_cbranch_vccz .LBB86_61
; %bb.46:
	s_cmp_lt_i32 s17, 27
	s_cbranch_scc1 .LBB86_49
; %bb.47:
	s_cmp_gt_i32 s17, 27
	s_cbranch_scc0 .LBB86_50
; %bb.48:
	s_wait_loadcnt 0x0
	global_load_b32 v0, v[2:3], off
	s_mov_b32 s19, 0
	s_branch .LBB86_51
.LBB86_49:
	s_mov_b32 s19, -1
                                        ; implicit-def: $vgpr0
	s_branch .LBB86_54
.LBB86_50:
	s_mov_b32 s19, -1
                                        ; implicit-def: $vgpr0
.LBB86_51:
	s_delay_alu instid0(SALU_CYCLE_1)
	s_and_not1_b32 vcc_lo, exec_lo, s19
	s_cbranch_vccnz .LBB86_53
; %bb.52:
	s_wait_loadcnt 0x0
	global_load_u16 v0, v[2:3], off
.LBB86_53:
	s_mov_b32 s19, 0
.LBB86_54:
	s_delay_alu instid0(SALU_CYCLE_1)
	s_and_not1_b32 vcc_lo, exec_lo, s19
	s_cbranch_vccnz .LBB86_60
; %bb.55:
	s_wait_loadcnt 0x0
	global_load_u8 v1, v[2:3], off
	s_mov_b32 s21, 0
	s_mov_b32 s19, exec_lo
	s_wait_loadcnt 0x0
	v_cmpx_lt_i16_e32 0x7f, v1
	s_xor_b32 s19, exec_lo, s19
	s_cbranch_execz .LBB86_72
; %bb.56:
	v_cmp_ne_u16_e32 vcc_lo, 0x80, v1
	s_and_b32 s21, vcc_lo, exec_lo
	s_and_not1_saveexec_b32 s19, s19
	s_cbranch_execnz .LBB86_73
.LBB86_57:
	s_or_b32 exec_lo, exec_lo, s19
	v_mov_b32_e32 v0, 0
	s_and_saveexec_b32 s19, s21
	s_cbranch_execz .LBB86_59
.LBB86_58:
	v_and_b32_e32 v0, 0xffff, v1
	s_delay_alu instid0(VALU_DEP_1) | instskip(SKIP_1) | instid1(VALU_DEP_2)
	v_and_b32_e32 v4, 7, v0
	v_bfe_u32 v7, v0, 3, 4
	v_clz_i32_u32_e32 v5, v4
	s_delay_alu instid0(VALU_DEP_2) | instskip(NEXT) | instid1(VALU_DEP_2)
	v_cmp_eq_u32_e32 vcc_lo, 0, v7
	v_min_u32_e32 v5, 32, v5
	s_delay_alu instid0(VALU_DEP_1) | instskip(NEXT) | instid1(VALU_DEP_1)
	v_subrev_nc_u32_e32 v6, 28, v5
	v_dual_lshlrev_b32 v0, v6, v0 :: v_dual_sub_nc_u32 v5, 29, v5
	s_delay_alu instid0(VALU_DEP_1) | instskip(NEXT) | instid1(VALU_DEP_1)
	v_dual_lshlrev_b32 v1, 24, v1 :: v_dual_bitop2_b32 v0, 7, v0 bitop3:0x40
	v_dual_cndmask_b32 v0, v4, v0 :: v_dual_cndmask_b32 v5, v7, v5
	s_delay_alu instid0(VALU_DEP_2) | instskip(NEXT) | instid1(VALU_DEP_2)
	v_and_b32_e32 v1, 0x80000000, v1
	v_lshlrev_b32_e32 v0, 20, v0
	s_delay_alu instid0(VALU_DEP_3) | instskip(NEXT) | instid1(VALU_DEP_1)
	v_lshl_add_u32 v4, v5, 23, 0x3b800000
	v_or3_b32 v0, v1, v4, v0
	s_delay_alu instid0(VALU_DEP_1)
	v_cvt_i32_f32_e32 v0, v0
.LBB86_59:
	s_or_b32 exec_lo, exec_lo, s19
.LBB86_60:
	s_mov_b32 s19, -1
.LBB86_61:
	s_mov_b32 s21, 0
.LBB86_62:
	s_delay_alu instid0(SALU_CYCLE_1)
	s_and_b32 vcc_lo, exec_lo, s21
	s_cbranch_vccz .LBB86_95
; %bb.63:
	s_cmp_gt_i32 s17, 22
	s_cbranch_scc0 .LBB86_71
; %bb.64:
	s_cmp_lt_i32 s17, 24
	s_cbranch_scc1 .LBB86_74
; %bb.65:
	s_cmp_gt_i32 s17, 24
	s_cbranch_scc0 .LBB86_75
; %bb.66:
	s_wait_loadcnt 0x0
	global_load_u8 v1, v[2:3], off
	s_mov_b32 s21, 0
	s_mov_b32 s19, exec_lo
	s_wait_loadcnt 0x0
	v_cmpx_lt_i16_e32 0x7f, v1
	s_xor_b32 s19, exec_lo, s19
	s_cbranch_execz .LBB86_87
; %bb.67:
	v_cmp_ne_u16_e32 vcc_lo, 0x80, v1
	s_and_b32 s21, vcc_lo, exec_lo
	s_and_not1_saveexec_b32 s19, s19
	s_cbranch_execnz .LBB86_88
.LBB86_68:
	s_or_b32 exec_lo, exec_lo, s19
	v_mov_b32_e32 v0, 0
	s_and_saveexec_b32 s19, s21
	s_cbranch_execz .LBB86_70
.LBB86_69:
	v_and_b32_e32 v0, 0xffff, v1
	s_delay_alu instid0(VALU_DEP_1) | instskip(SKIP_1) | instid1(VALU_DEP_2)
	v_and_b32_e32 v4, 3, v0
	v_bfe_u32 v7, v0, 2, 5
	v_clz_i32_u32_e32 v5, v4
	s_delay_alu instid0(VALU_DEP_2) | instskip(NEXT) | instid1(VALU_DEP_2)
	v_cmp_eq_u32_e32 vcc_lo, 0, v7
	v_min_u32_e32 v5, 32, v5
	s_delay_alu instid0(VALU_DEP_1) | instskip(NEXT) | instid1(VALU_DEP_1)
	v_subrev_nc_u32_e32 v6, 29, v5
	v_dual_lshlrev_b32 v0, v6, v0 :: v_dual_sub_nc_u32 v5, 30, v5
	s_delay_alu instid0(VALU_DEP_1) | instskip(NEXT) | instid1(VALU_DEP_1)
	v_dual_lshlrev_b32 v1, 24, v1 :: v_dual_bitop2_b32 v0, 3, v0 bitop3:0x40
	v_dual_cndmask_b32 v0, v4, v0 :: v_dual_cndmask_b32 v5, v7, v5
	s_delay_alu instid0(VALU_DEP_2) | instskip(NEXT) | instid1(VALU_DEP_2)
	v_and_b32_e32 v1, 0x80000000, v1
	v_lshlrev_b32_e32 v0, 21, v0
	s_delay_alu instid0(VALU_DEP_3) | instskip(NEXT) | instid1(VALU_DEP_1)
	v_lshl_add_u32 v4, v5, 23, 0x37800000
	v_or3_b32 v0, v1, v4, v0
	s_delay_alu instid0(VALU_DEP_1)
	v_cvt_i32_f32_e32 v0, v0
.LBB86_70:
	s_or_b32 exec_lo, exec_lo, s19
	s_mov_b32 s19, 0
	s_branch .LBB86_76
.LBB86_71:
	s_mov_b32 s21, -1
                                        ; implicit-def: $vgpr0
	s_branch .LBB86_82
.LBB86_72:
	s_and_not1_saveexec_b32 s19, s19
	s_cbranch_execz .LBB86_57
.LBB86_73:
	v_cmp_ne_u16_e32 vcc_lo, 0, v1
	s_and_not1_b32 s21, s21, exec_lo
	s_and_b32 s24, vcc_lo, exec_lo
	s_delay_alu instid0(SALU_CYCLE_1)
	s_or_b32 s21, s21, s24
	s_or_b32 exec_lo, exec_lo, s19
	v_mov_b32_e32 v0, 0
	s_and_saveexec_b32 s19, s21
	s_cbranch_execnz .LBB86_58
	s_branch .LBB86_59
.LBB86_74:
	s_mov_b32 s19, -1
                                        ; implicit-def: $vgpr0
	s_branch .LBB86_79
.LBB86_75:
	s_mov_b32 s19, -1
                                        ; implicit-def: $vgpr0
.LBB86_76:
	s_delay_alu instid0(SALU_CYCLE_1)
	s_and_b32 vcc_lo, exec_lo, s19
	s_cbranch_vccz .LBB86_78
; %bb.77:
	s_wait_loadcnt 0x0
	global_load_u8 v0, v[2:3], off
	s_wait_loadcnt 0x0
	v_lshlrev_b32_e32 v0, 24, v0
	s_delay_alu instid0(VALU_DEP_1) | instskip(NEXT) | instid1(VALU_DEP_1)
	v_and_b32_e32 v1, 0x7f000000, v0
	v_clz_i32_u32_e32 v4, v1
	v_cmp_ne_u32_e32 vcc_lo, 0, v1
	v_add_nc_u32_e32 v6, 0x1000000, v1
	s_delay_alu instid0(VALU_DEP_3) | instskip(NEXT) | instid1(VALU_DEP_1)
	v_min_u32_e32 v4, 32, v4
	v_sub_nc_u32_e64 v4, v4, 4 clamp
	s_delay_alu instid0(VALU_DEP_1) | instskip(NEXT) | instid1(VALU_DEP_1)
	v_dual_lshlrev_b32 v5, v4, v1 :: v_dual_lshlrev_b32 v4, 23, v4
	v_lshrrev_b32_e32 v5, 4, v5
	s_delay_alu instid0(VALU_DEP_1) | instskip(NEXT) | instid1(VALU_DEP_1)
	v_dual_sub_nc_u32 v4, v5, v4 :: v_dual_ashrrev_i32 v5, 8, v6
	v_add_nc_u32_e32 v4, 0x3c000000, v4
	s_delay_alu instid0(VALU_DEP_1) | instskip(NEXT) | instid1(VALU_DEP_1)
	v_and_or_b32 v4, 0x7f800000, v5, v4
	v_cndmask_b32_e32 v1, 0, v4, vcc_lo
	s_delay_alu instid0(VALU_DEP_1) | instskip(NEXT) | instid1(VALU_DEP_1)
	v_and_or_b32 v0, 0x80000000, v0, v1
	v_cvt_i32_f32_e32 v0, v0
.LBB86_78:
	s_mov_b32 s19, 0
.LBB86_79:
	s_delay_alu instid0(SALU_CYCLE_1)
	s_and_not1_b32 vcc_lo, exec_lo, s19
	s_cbranch_vccnz .LBB86_81
; %bb.80:
	s_wait_loadcnt 0x0
	global_load_u8 v0, v[2:3], off
	s_wait_loadcnt 0x0
	v_lshlrev_b32_e32 v1, 25, v0
	v_lshlrev_b16 v0, 8, v0
	s_delay_alu instid0(VALU_DEP_1) | instskip(SKIP_1) | instid1(VALU_DEP_2)
	v_and_or_b32 v5, 0x7f00, v0, 0.5
	v_bfe_i32 v0, v0, 0, 16
	v_add_f32_e32 v5, -0.5, v5
	v_lshrrev_b32_e32 v4, 4, v1
	v_cmp_gt_u32_e32 vcc_lo, 0x8000000, v1
	s_delay_alu instid0(VALU_DEP_2) | instskip(NEXT) | instid1(VALU_DEP_1)
	v_or_b32_e32 v4, 0x70000000, v4
	v_mul_f32_e32 v4, 0x7800000, v4
	s_delay_alu instid0(VALU_DEP_1) | instskip(NEXT) | instid1(VALU_DEP_1)
	v_cndmask_b32_e32 v1, v4, v5, vcc_lo
	v_and_or_b32 v0, 0x80000000, v0, v1
	s_delay_alu instid0(VALU_DEP_1)
	v_cvt_i32_f32_e32 v0, v0
.LBB86_81:
	s_mov_b32 s21, 0
	s_mov_b32 s19, -1
.LBB86_82:
	s_and_not1_b32 vcc_lo, exec_lo, s21
	s_cbranch_vccnz .LBB86_95
; %bb.83:
	s_cmp_gt_i32 s17, 14
	s_cbranch_scc0 .LBB86_86
; %bb.84:
	s_cmp_eq_u32 s17, 15
	s_cbranch_scc0 .LBB86_89
; %bb.85:
	s_wait_loadcnt 0x0
	global_load_u16 v0, v[2:3], off
	s_mov_b32 s19, -1
	s_mov_b32 s20, 0
	s_wait_loadcnt 0x0
	v_lshlrev_b32_e32 v0, 16, v0
	s_delay_alu instid0(VALU_DEP_1)
	v_cvt_i32_f32_e32 v0, v0
	s_branch .LBB86_90
.LBB86_86:
	s_mov_b32 s21, -1
                                        ; implicit-def: $vgpr0
	s_branch .LBB86_91
.LBB86_87:
	s_and_not1_saveexec_b32 s19, s19
	s_cbranch_execz .LBB86_68
.LBB86_88:
	v_cmp_ne_u16_e32 vcc_lo, 0, v1
	s_and_not1_b32 s21, s21, exec_lo
	s_and_b32 s24, vcc_lo, exec_lo
	s_delay_alu instid0(SALU_CYCLE_1)
	s_or_b32 s21, s21, s24
	s_or_b32 exec_lo, exec_lo, s19
	v_mov_b32_e32 v0, 0
	s_and_saveexec_b32 s19, s21
	s_cbranch_execnz .LBB86_69
	s_branch .LBB86_70
.LBB86_89:
	s_mov_b32 s20, -1
                                        ; implicit-def: $vgpr0
.LBB86_90:
	s_mov_b32 s21, 0
.LBB86_91:
	s_delay_alu instid0(SALU_CYCLE_1)
	s_and_b32 vcc_lo, exec_lo, s21
	s_cbranch_vccz .LBB86_95
; %bb.92:
	s_cmp_eq_u32 s17, 11
	s_cbranch_scc0 .LBB86_94
; %bb.93:
	s_wait_loadcnt 0x0
	global_load_u8 v0, v[2:3], off
	s_mov_b32 s20, 0
	s_mov_b32 s19, -1
	s_wait_loadcnt 0x0
	v_cmp_ne_u16_e32 vcc_lo, 0, v0
	v_cndmask_b32_e64 v0, 0, 1, vcc_lo
	s_branch .LBB86_95
.LBB86_94:
	s_mov_b32 s20, -1
                                        ; implicit-def: $vgpr0
.LBB86_95:
	s_branch .LBB86_144
.LBB86_96:
	s_and_b32 s0, 0xffff, s0
	s_delay_alu instid0(SALU_CYCLE_1)
	s_cmp_lt_i32 s0, 5
	s_cbranch_scc1 .LBB86_101
; %bb.97:
	s_cmp_lt_i32 s0, 8
	s_cbranch_scc1 .LBB86_102
; %bb.98:
	;; [unrolled: 3-line block ×3, first 2 shown]
	s_cmp_gt_i32 s0, 9
	s_cbranch_scc0 .LBB86_104
; %bb.100:
	s_wait_loadcnt 0x0
	global_load_b64 v[0:1], v[2:3], off
	s_mov_b32 s17, 0
	s_wait_loadcnt 0x0
	v_cvt_i32_f64_e32 v0, v[0:1]
	s_branch .LBB86_105
.LBB86_101:
	s_mov_b32 s17, -1
                                        ; implicit-def: $vgpr0
	s_branch .LBB86_123
.LBB86_102:
	s_mov_b32 s17, -1
                                        ; implicit-def: $vgpr0
	s_branch .LBB86_111
.LBB86_103:
	s_mov_b32 s17, -1
                                        ; implicit-def: $vgpr0
	s_branch .LBB86_108
.LBB86_104:
	s_mov_b32 s17, -1
                                        ; implicit-def: $vgpr0
.LBB86_105:
	s_delay_alu instid0(SALU_CYCLE_1)
	s_and_not1_b32 vcc_lo, exec_lo, s17
	s_cbranch_vccnz .LBB86_107
; %bb.106:
	s_wait_loadcnt 0x0
	global_load_b32 v0, v[2:3], off
	s_wait_loadcnt 0x0
	v_cvt_i32_f32_e32 v0, v0
.LBB86_107:
	s_mov_b32 s17, 0
.LBB86_108:
	s_delay_alu instid0(SALU_CYCLE_1)
	s_and_not1_b32 vcc_lo, exec_lo, s17
	s_cbranch_vccnz .LBB86_110
; %bb.109:
	s_wait_loadcnt 0x0
	global_load_b32 v0, v[2:3], off
	s_wait_loadcnt 0x0
	v_cvt_i16_f16_e32 v0, v0
.LBB86_110:
	s_mov_b32 s17, 0
.LBB86_111:
	s_delay_alu instid0(SALU_CYCLE_1)
	s_and_not1_b32 vcc_lo, exec_lo, s17
	s_cbranch_vccnz .LBB86_122
; %bb.112:
	s_cmp_lt_i32 s0, 6
	s_cbranch_scc1 .LBB86_115
; %bb.113:
	s_cmp_gt_i32 s0, 6
	s_cbranch_scc0 .LBB86_116
; %bb.114:
	s_wait_loadcnt 0x0
	global_load_b64 v[0:1], v[2:3], off
	s_mov_b32 s17, 0
	s_wait_loadcnt 0x0
	v_cvt_i32_f64_e32 v0, v[0:1]
	s_branch .LBB86_117
.LBB86_115:
	s_mov_b32 s17, -1
                                        ; implicit-def: $vgpr0
	s_branch .LBB86_120
.LBB86_116:
	s_mov_b32 s17, -1
                                        ; implicit-def: $vgpr0
.LBB86_117:
	s_delay_alu instid0(SALU_CYCLE_1)
	s_and_not1_b32 vcc_lo, exec_lo, s17
	s_cbranch_vccnz .LBB86_119
; %bb.118:
	s_wait_loadcnt 0x0
	global_load_b32 v0, v[2:3], off
	s_wait_loadcnt 0x0
	v_cvt_i32_f32_e32 v0, v0
.LBB86_119:
	s_mov_b32 s17, 0
.LBB86_120:
	s_delay_alu instid0(SALU_CYCLE_1)
	s_and_not1_b32 vcc_lo, exec_lo, s17
	s_cbranch_vccnz .LBB86_122
; %bb.121:
	s_wait_loadcnt 0x0
	global_load_u16 v0, v[2:3], off
	s_wait_loadcnt 0x0
	v_cvt_i16_f16_e32 v0, v0
.LBB86_122:
	s_mov_b32 s17, 0
.LBB86_123:
	s_delay_alu instid0(SALU_CYCLE_1)
	s_and_not1_b32 vcc_lo, exec_lo, s17
	s_cbranch_vccnz .LBB86_143
; %bb.124:
	s_cmp_lt_i32 s0, 2
	s_cbranch_scc1 .LBB86_128
; %bb.125:
	s_cmp_lt_i32 s0, 3
	s_cbranch_scc1 .LBB86_129
; %bb.126:
	s_cmp_gt_i32 s0, 3
	s_cbranch_scc0 .LBB86_130
; %bb.127:
	s_wait_loadcnt 0x0
	global_load_b64 v[0:1], v[2:3], off
	s_mov_b32 s17, 0
	s_branch .LBB86_131
.LBB86_128:
	s_mov_b32 s17, -1
                                        ; implicit-def: $vgpr0
	s_branch .LBB86_137
.LBB86_129:
	s_mov_b32 s17, -1
                                        ; implicit-def: $vgpr0
	s_branch .LBB86_134
.LBB86_130:
	s_mov_b32 s17, -1
                                        ; implicit-def: $vgpr0
.LBB86_131:
	s_delay_alu instid0(SALU_CYCLE_1)
	s_and_not1_b32 vcc_lo, exec_lo, s17
	s_cbranch_vccnz .LBB86_133
; %bb.132:
	s_wait_loadcnt 0x0
	global_load_b32 v0, v[2:3], off
.LBB86_133:
	s_mov_b32 s17, 0
.LBB86_134:
	s_delay_alu instid0(SALU_CYCLE_1)
	s_and_not1_b32 vcc_lo, exec_lo, s17
	s_cbranch_vccnz .LBB86_136
; %bb.135:
	s_wait_loadcnt 0x0
	global_load_u16 v0, v[2:3], off
.LBB86_136:
	s_mov_b32 s17, 0
.LBB86_137:
	s_delay_alu instid0(SALU_CYCLE_1)
	s_and_not1_b32 vcc_lo, exec_lo, s17
	s_cbranch_vccnz .LBB86_143
; %bb.138:
	s_cmp_gt_i32 s0, 0
	s_mov_b32 s0, 0
	s_cbranch_scc0 .LBB86_140
; %bb.139:
	s_wait_loadcnt 0x0
	global_load_i8 v0, v[2:3], off
	s_branch .LBB86_141
.LBB86_140:
	s_mov_b32 s0, -1
                                        ; implicit-def: $vgpr0
.LBB86_141:
	s_delay_alu instid0(SALU_CYCLE_1)
	s_and_not1_b32 vcc_lo, exec_lo, s0
	s_cbranch_vccnz .LBB86_143
; %bb.142:
	s_wait_loadcnt 0x0
	global_load_u8 v0, v[2:3], off
.LBB86_143:
	s_mov_b32 s19, -1
.LBB86_144:
	s_mov_b32 s21, 0
	s_mov_b32 s0, 0
	s_and_not1_b32 vcc_lo, exec_lo, s19
	s_mov_b32 s19, 0
	s_mov_b32 s24, 0
	s_cbranch_vccnz .LBB86_393
; %bb.145:
	s_wait_xcnt 0x0
	v_mul_lo_u32 v2, v18, s9
	s_and_b32 s0, 0xffff, s1
	s_delay_alu instid0(SALU_CYCLE_1) | instskip(NEXT) | instid1(VALU_DEP_1)
	s_cmp_lt_i32 s0, 11
	v_ashrrev_i32_e32 v3, 31, v2
	s_delay_alu instid0(VALU_DEP_1)
	v_add_nc_u64_e32 v[2:3], s[6:7], v[2:3]
	s_cbranch_scc1 .LBB86_152
; %bb.146:
	s_cmp_gt_i32 s0, 25
	s_cbranch_scc0 .LBB86_153
; %bb.147:
	s_cmp_gt_i32 s0, 28
	s_cbranch_scc0 .LBB86_154
	;; [unrolled: 3-line block ×4, first 2 shown]
; %bb.150:
	s_cmp_eq_u32 s0, 46
	s_cbranch_scc0 .LBB86_157
; %bb.151:
	s_wait_loadcnt 0x0
	global_load_b32 v1, v[2:3], off
	s_mov_b32 s17, -1
	s_wait_loadcnt 0x0
	v_lshlrev_b32_e32 v1, 16, v1
	s_delay_alu instid0(VALU_DEP_1)
	v_cvt_i32_f32_e32 v4, v1
	s_branch .LBB86_159
.LBB86_152:
	s_mov_b32 s24, -1
	s_mov_b32 s17, 0
                                        ; implicit-def: $vgpr4
	s_branch .LBB86_220
.LBB86_153:
	s_mov_b32 s24, -1
	s_mov_b32 s17, 0
                                        ; implicit-def: $vgpr4
	s_branch .LBB86_186
.LBB86_154:
	s_mov_b32 s24, -1
	s_mov_b32 s17, 0
                                        ; implicit-def: $vgpr4
	s_branch .LBB86_169
.LBB86_155:
	s_mov_b32 s24, -1
	s_mov_b32 s17, 0
                                        ; implicit-def: $vgpr4
	s_branch .LBB86_164
.LBB86_156:
	s_mov_b32 s24, -1
	s_branch .LBB86_158
.LBB86_157:
	s_mov_b32 s19, -1
.LBB86_158:
	s_mov_b32 s17, 0
                                        ; implicit-def: $vgpr4
.LBB86_159:
	s_and_b32 vcc_lo, exec_lo, s24
	s_cbranch_vccz .LBB86_163
; %bb.160:
	s_cmp_eq_u32 s0, 44
	s_cbranch_scc0 .LBB86_162
; %bb.161:
	s_wait_loadcnt 0x0
	global_load_u8 v1, v[2:3], off
	s_mov_b32 s19, 0
	s_mov_b32 s17, -1
	s_wait_loadcnt 0x0
	v_lshlrev_b32_e32 v4, 23, v1
	v_cmp_ne_u32_e32 vcc_lo, 0, v1
	s_delay_alu instid0(VALU_DEP_2) | instskip(NEXT) | instid1(VALU_DEP_1)
	v_cvt_i32_f32_e32 v4, v4
	v_cndmask_b32_e32 v4, 0, v4, vcc_lo
	s_branch .LBB86_163
.LBB86_162:
	s_mov_b32 s19, -1
                                        ; implicit-def: $vgpr4
.LBB86_163:
	s_mov_b32 s24, 0
.LBB86_164:
	s_delay_alu instid0(SALU_CYCLE_1)
	s_and_b32 vcc_lo, exec_lo, s24
	s_cbranch_vccz .LBB86_168
; %bb.165:
	s_cmp_eq_u32 s0, 29
	s_cbranch_scc0 .LBB86_167
; %bb.166:
	global_load_b64 v[4:5], v[2:3], off
	s_mov_b32 s17, -1
	s_mov_b32 s19, 0
	s_branch .LBB86_168
.LBB86_167:
	s_mov_b32 s19, -1
                                        ; implicit-def: $vgpr4
.LBB86_168:
	s_mov_b32 s24, 0
.LBB86_169:
	s_delay_alu instid0(SALU_CYCLE_1)
	s_and_b32 vcc_lo, exec_lo, s24
	s_cbranch_vccz .LBB86_185
; %bb.170:
	s_cmp_lt_i32 s0, 27
	s_cbranch_scc1 .LBB86_173
; %bb.171:
	s_cmp_gt_i32 s0, 27
	s_cbranch_scc0 .LBB86_174
; %bb.172:
	s_wait_loadcnt 0x0
	global_load_b32 v4, v[2:3], off
	s_mov_b32 s17, 0
	s_branch .LBB86_175
.LBB86_173:
	s_mov_b32 s17, -1
                                        ; implicit-def: $vgpr4
	s_branch .LBB86_178
.LBB86_174:
	s_mov_b32 s17, -1
                                        ; implicit-def: $vgpr4
.LBB86_175:
	s_delay_alu instid0(SALU_CYCLE_1)
	s_and_not1_b32 vcc_lo, exec_lo, s17
	s_cbranch_vccnz .LBB86_177
; %bb.176:
	s_wait_loadcnt 0x0
	global_load_u16 v4, v[2:3], off
.LBB86_177:
	s_mov_b32 s17, 0
.LBB86_178:
	s_delay_alu instid0(SALU_CYCLE_1)
	s_and_not1_b32 vcc_lo, exec_lo, s17
	s_cbranch_vccnz .LBB86_184
; %bb.179:
	s_wait_loadcnt 0x0
	global_load_u8 v1, v[2:3], off
	s_mov_b32 s24, 0
	s_mov_b32 s17, exec_lo
	s_wait_loadcnt 0x0
	v_cmpx_lt_i16_e32 0x7f, v1
	s_xor_b32 s17, exec_lo, s17
	s_cbranch_execz .LBB86_196
; %bb.180:
	v_cmp_ne_u16_e32 vcc_lo, 0x80, v1
	s_and_b32 s24, vcc_lo, exec_lo
	s_and_not1_saveexec_b32 s17, s17
	s_cbranch_execnz .LBB86_197
.LBB86_181:
	s_or_b32 exec_lo, exec_lo, s17
	v_mov_b32_e32 v4, 0
	s_and_saveexec_b32 s17, s24
	s_cbranch_execz .LBB86_183
.LBB86_182:
	v_and_b32_e32 v4, 0xffff, v1
	s_delay_alu instid0(VALU_DEP_1) | instskip(SKIP_1) | instid1(VALU_DEP_2)
	v_and_b32_e32 v5, 7, v4
	v_bfe_u32 v8, v4, 3, 4
	v_clz_i32_u32_e32 v6, v5
	s_delay_alu instid0(VALU_DEP_2) | instskip(NEXT) | instid1(VALU_DEP_2)
	v_cmp_eq_u32_e32 vcc_lo, 0, v8
	v_min_u32_e32 v6, 32, v6
	s_delay_alu instid0(VALU_DEP_1) | instskip(NEXT) | instid1(VALU_DEP_1)
	v_subrev_nc_u32_e32 v7, 28, v6
	v_dual_lshlrev_b32 v4, v7, v4 :: v_dual_sub_nc_u32 v6, 29, v6
	s_delay_alu instid0(VALU_DEP_1) | instskip(NEXT) | instid1(VALU_DEP_1)
	v_dual_lshlrev_b32 v1, 24, v1 :: v_dual_bitop2_b32 v4, 7, v4 bitop3:0x40
	v_dual_cndmask_b32 v6, v8, v6, vcc_lo :: v_dual_cndmask_b32 v4, v5, v4, vcc_lo
	s_delay_alu instid0(VALU_DEP_2) | instskip(NEXT) | instid1(VALU_DEP_2)
	v_and_b32_e32 v1, 0x80000000, v1
	v_lshl_add_u32 v5, v6, 23, 0x3b800000
	s_delay_alu instid0(VALU_DEP_3) | instskip(NEXT) | instid1(VALU_DEP_1)
	v_lshlrev_b32_e32 v4, 20, v4
	v_or3_b32 v1, v1, v5, v4
	s_delay_alu instid0(VALU_DEP_1)
	v_cvt_i32_f32_e32 v4, v1
.LBB86_183:
	s_or_b32 exec_lo, exec_lo, s17
.LBB86_184:
	s_mov_b32 s17, -1
.LBB86_185:
	s_mov_b32 s24, 0
.LBB86_186:
	s_delay_alu instid0(SALU_CYCLE_1)
	s_and_b32 vcc_lo, exec_lo, s24
	s_cbranch_vccz .LBB86_219
; %bb.187:
	s_cmp_gt_i32 s0, 22
	s_cbranch_scc0 .LBB86_195
; %bb.188:
	s_cmp_lt_i32 s0, 24
	s_cbranch_scc1 .LBB86_198
; %bb.189:
	s_cmp_gt_i32 s0, 24
	s_cbranch_scc0 .LBB86_199
; %bb.190:
	s_wait_loadcnt 0x0
	global_load_u8 v1, v[2:3], off
	s_mov_b32 s24, 0
	s_mov_b32 s17, exec_lo
	s_wait_loadcnt 0x0
	v_cmpx_lt_i16_e32 0x7f, v1
	s_xor_b32 s17, exec_lo, s17
	s_cbranch_execz .LBB86_211
; %bb.191:
	v_cmp_ne_u16_e32 vcc_lo, 0x80, v1
	s_and_b32 s24, vcc_lo, exec_lo
	s_and_not1_saveexec_b32 s17, s17
	s_cbranch_execnz .LBB86_212
.LBB86_192:
	s_or_b32 exec_lo, exec_lo, s17
	v_mov_b32_e32 v4, 0
	s_and_saveexec_b32 s17, s24
	s_cbranch_execz .LBB86_194
.LBB86_193:
	v_and_b32_e32 v4, 0xffff, v1
	s_delay_alu instid0(VALU_DEP_1) | instskip(SKIP_1) | instid1(VALU_DEP_2)
	v_and_b32_e32 v5, 3, v4
	v_bfe_u32 v8, v4, 2, 5
	v_clz_i32_u32_e32 v6, v5
	s_delay_alu instid0(VALU_DEP_2) | instskip(NEXT) | instid1(VALU_DEP_2)
	v_cmp_eq_u32_e32 vcc_lo, 0, v8
	v_min_u32_e32 v6, 32, v6
	s_delay_alu instid0(VALU_DEP_1) | instskip(NEXT) | instid1(VALU_DEP_1)
	v_subrev_nc_u32_e32 v7, 29, v6
	v_dual_lshlrev_b32 v4, v7, v4 :: v_dual_sub_nc_u32 v6, 30, v6
	s_delay_alu instid0(VALU_DEP_1) | instskip(NEXT) | instid1(VALU_DEP_1)
	v_dual_lshlrev_b32 v1, 24, v1 :: v_dual_bitop2_b32 v4, 3, v4 bitop3:0x40
	v_dual_cndmask_b32 v6, v8, v6, vcc_lo :: v_dual_cndmask_b32 v4, v5, v4, vcc_lo
	s_delay_alu instid0(VALU_DEP_2) | instskip(NEXT) | instid1(VALU_DEP_2)
	v_and_b32_e32 v1, 0x80000000, v1
	v_lshl_add_u32 v5, v6, 23, 0x37800000
	s_delay_alu instid0(VALU_DEP_3) | instskip(NEXT) | instid1(VALU_DEP_1)
	v_lshlrev_b32_e32 v4, 21, v4
	v_or3_b32 v1, v1, v5, v4
	s_delay_alu instid0(VALU_DEP_1)
	v_cvt_i32_f32_e32 v4, v1
.LBB86_194:
	s_or_b32 exec_lo, exec_lo, s17
	s_mov_b32 s17, 0
	s_branch .LBB86_200
.LBB86_195:
	s_mov_b32 s24, -1
                                        ; implicit-def: $vgpr4
	s_branch .LBB86_206
.LBB86_196:
	s_and_not1_saveexec_b32 s17, s17
	s_cbranch_execz .LBB86_181
.LBB86_197:
	v_cmp_ne_u16_e32 vcc_lo, 0, v1
	s_and_not1_b32 s24, s24, exec_lo
	s_and_b32 s25, vcc_lo, exec_lo
	s_delay_alu instid0(SALU_CYCLE_1)
	s_or_b32 s24, s24, s25
	s_or_b32 exec_lo, exec_lo, s17
	v_mov_b32_e32 v4, 0
	s_and_saveexec_b32 s17, s24
	s_cbranch_execnz .LBB86_182
	s_branch .LBB86_183
.LBB86_198:
	s_mov_b32 s17, -1
                                        ; implicit-def: $vgpr4
	s_branch .LBB86_203
.LBB86_199:
	s_mov_b32 s17, -1
                                        ; implicit-def: $vgpr4
.LBB86_200:
	s_delay_alu instid0(SALU_CYCLE_1)
	s_and_b32 vcc_lo, exec_lo, s17
	s_cbranch_vccz .LBB86_202
; %bb.201:
	s_wait_loadcnt 0x0
	global_load_u8 v1, v[2:3], off
	s_wait_loadcnt 0x0
	v_lshlrev_b32_e32 v1, 24, v1
	s_delay_alu instid0(VALU_DEP_1) | instskip(NEXT) | instid1(VALU_DEP_1)
	v_and_b32_e32 v4, 0x7f000000, v1
	v_clz_i32_u32_e32 v5, v4
	v_cmp_ne_u32_e32 vcc_lo, 0, v4
	v_add_nc_u32_e32 v7, 0x1000000, v4
	s_delay_alu instid0(VALU_DEP_3) | instskip(NEXT) | instid1(VALU_DEP_1)
	v_min_u32_e32 v5, 32, v5
	v_sub_nc_u32_e64 v5, v5, 4 clamp
	s_delay_alu instid0(VALU_DEP_1) | instskip(NEXT) | instid1(VALU_DEP_1)
	v_dual_lshlrev_b32 v6, v5, v4 :: v_dual_lshlrev_b32 v5, 23, v5
	v_lshrrev_b32_e32 v6, 4, v6
	s_delay_alu instid0(VALU_DEP_1) | instskip(NEXT) | instid1(VALU_DEP_1)
	v_dual_sub_nc_u32 v5, v6, v5 :: v_dual_ashrrev_i32 v6, 8, v7
	v_add_nc_u32_e32 v5, 0x3c000000, v5
	s_delay_alu instid0(VALU_DEP_1) | instskip(NEXT) | instid1(VALU_DEP_1)
	v_and_or_b32 v5, 0x7f800000, v6, v5
	v_cndmask_b32_e32 v4, 0, v5, vcc_lo
	s_delay_alu instid0(VALU_DEP_1) | instskip(NEXT) | instid1(VALU_DEP_1)
	v_and_or_b32 v1, 0x80000000, v1, v4
	v_cvt_i32_f32_e32 v4, v1
.LBB86_202:
	s_mov_b32 s17, 0
.LBB86_203:
	s_delay_alu instid0(SALU_CYCLE_1)
	s_and_not1_b32 vcc_lo, exec_lo, s17
	s_cbranch_vccnz .LBB86_205
; %bb.204:
	s_wait_loadcnt 0x0
	global_load_u8 v1, v[2:3], off
	s_wait_loadcnt 0x0
	v_lshlrev_b32_e32 v4, 25, v1
	v_lshlrev_b16 v1, 8, v1
	s_delay_alu instid0(VALU_DEP_1) | instskip(SKIP_1) | instid1(VALU_DEP_2)
	v_and_or_b32 v6, 0x7f00, v1, 0.5
	v_bfe_i32 v1, v1, 0, 16
	v_dual_add_f32 v6, -0.5, v6 :: v_dual_lshrrev_b32 v5, 4, v4
	v_cmp_gt_u32_e32 vcc_lo, 0x8000000, v4
	s_delay_alu instid0(VALU_DEP_2) | instskip(NEXT) | instid1(VALU_DEP_1)
	v_or_b32_e32 v5, 0x70000000, v5
	v_mul_f32_e32 v5, 0x7800000, v5
	s_delay_alu instid0(VALU_DEP_1) | instskip(NEXT) | instid1(VALU_DEP_1)
	v_cndmask_b32_e32 v4, v5, v6, vcc_lo
	v_and_or_b32 v1, 0x80000000, v1, v4
	s_delay_alu instid0(VALU_DEP_1)
	v_cvt_i32_f32_e32 v4, v1
.LBB86_205:
	s_mov_b32 s24, 0
	s_mov_b32 s17, -1
.LBB86_206:
	s_and_not1_b32 vcc_lo, exec_lo, s24
	s_cbranch_vccnz .LBB86_219
; %bb.207:
	s_cmp_gt_i32 s0, 14
	s_cbranch_scc0 .LBB86_210
; %bb.208:
	s_cmp_eq_u32 s0, 15
	s_cbranch_scc0 .LBB86_213
; %bb.209:
	s_wait_loadcnt 0x0
	global_load_u16 v1, v[2:3], off
	s_mov_b32 s17, -1
	s_mov_b32 s19, 0
	s_wait_loadcnt 0x0
	v_lshlrev_b32_e32 v1, 16, v1
	s_delay_alu instid0(VALU_DEP_1)
	v_cvt_i32_f32_e32 v4, v1
	s_branch .LBB86_214
.LBB86_210:
	s_mov_b32 s24, -1
                                        ; implicit-def: $vgpr4
	s_branch .LBB86_215
.LBB86_211:
	s_and_not1_saveexec_b32 s17, s17
	s_cbranch_execz .LBB86_192
.LBB86_212:
	v_cmp_ne_u16_e32 vcc_lo, 0, v1
	s_and_not1_b32 s24, s24, exec_lo
	s_and_b32 s25, vcc_lo, exec_lo
	s_delay_alu instid0(SALU_CYCLE_1)
	s_or_b32 s24, s24, s25
	s_or_b32 exec_lo, exec_lo, s17
	v_mov_b32_e32 v4, 0
	s_and_saveexec_b32 s17, s24
	s_cbranch_execnz .LBB86_193
	s_branch .LBB86_194
.LBB86_213:
	s_mov_b32 s19, -1
                                        ; implicit-def: $vgpr4
.LBB86_214:
	s_mov_b32 s24, 0
.LBB86_215:
	s_delay_alu instid0(SALU_CYCLE_1)
	s_and_b32 vcc_lo, exec_lo, s24
	s_cbranch_vccz .LBB86_219
; %bb.216:
	s_cmp_eq_u32 s0, 11
	s_cbranch_scc0 .LBB86_218
; %bb.217:
	s_wait_loadcnt 0x0
	global_load_u8 v1, v[2:3], off
	s_mov_b32 s19, 0
	s_mov_b32 s17, -1
	s_wait_loadcnt 0x0
	v_cmp_ne_u16_e32 vcc_lo, 0, v1
	v_cndmask_b32_e64 v4, 0, 1, vcc_lo
	s_branch .LBB86_219
.LBB86_218:
	s_mov_b32 s19, -1
                                        ; implicit-def: $vgpr4
.LBB86_219:
	s_mov_b32 s24, 0
.LBB86_220:
	s_delay_alu instid0(SALU_CYCLE_1)
	s_and_b32 vcc_lo, exec_lo, s24
	s_cbranch_vccz .LBB86_269
; %bb.221:
	s_cmp_lt_i32 s0, 5
	s_cbranch_scc1 .LBB86_226
; %bb.222:
	s_cmp_lt_i32 s0, 8
	s_cbranch_scc1 .LBB86_227
	;; [unrolled: 3-line block ×3, first 2 shown]
; %bb.224:
	s_cmp_gt_i32 s0, 9
	s_cbranch_scc0 .LBB86_229
; %bb.225:
	s_wait_loadcnt 0x0
	global_load_b64 v[4:5], v[2:3], off
	s_mov_b32 s17, 0
	s_wait_loadcnt 0x0
	v_cvt_i32_f64_e32 v4, v[4:5]
	s_branch .LBB86_230
.LBB86_226:
	s_mov_b32 s17, -1
                                        ; implicit-def: $vgpr4
	s_branch .LBB86_248
.LBB86_227:
	s_mov_b32 s17, -1
                                        ; implicit-def: $vgpr4
	s_branch .LBB86_236
.LBB86_228:
	s_mov_b32 s17, -1
                                        ; implicit-def: $vgpr4
	s_branch .LBB86_233
.LBB86_229:
	s_mov_b32 s17, -1
                                        ; implicit-def: $vgpr4
.LBB86_230:
	s_delay_alu instid0(SALU_CYCLE_1)
	s_and_not1_b32 vcc_lo, exec_lo, s17
	s_cbranch_vccnz .LBB86_232
; %bb.231:
	s_wait_loadcnt 0x0
	global_load_b32 v1, v[2:3], off
	s_wait_loadcnt 0x0
	v_cvt_i32_f32_e32 v4, v1
.LBB86_232:
	s_mov_b32 s17, 0
.LBB86_233:
	s_delay_alu instid0(SALU_CYCLE_1)
	s_and_not1_b32 vcc_lo, exec_lo, s17
	s_cbranch_vccnz .LBB86_235
; %bb.234:
	s_wait_loadcnt 0x0
	global_load_b32 v1, v[2:3], off
	s_wait_loadcnt 0x0
	v_cvt_i16_f16_e32 v4, v1
.LBB86_235:
	s_mov_b32 s17, 0
.LBB86_236:
	s_delay_alu instid0(SALU_CYCLE_1)
	s_and_not1_b32 vcc_lo, exec_lo, s17
	s_cbranch_vccnz .LBB86_247
; %bb.237:
	s_cmp_lt_i32 s0, 6
	s_cbranch_scc1 .LBB86_240
; %bb.238:
	s_cmp_gt_i32 s0, 6
	s_cbranch_scc0 .LBB86_241
; %bb.239:
	s_wait_loadcnt 0x0
	global_load_b64 v[4:5], v[2:3], off
	s_mov_b32 s17, 0
	s_wait_loadcnt 0x0
	v_cvt_i32_f64_e32 v4, v[4:5]
	s_branch .LBB86_242
.LBB86_240:
	s_mov_b32 s17, -1
                                        ; implicit-def: $vgpr4
	s_branch .LBB86_245
.LBB86_241:
	s_mov_b32 s17, -1
                                        ; implicit-def: $vgpr4
.LBB86_242:
	s_delay_alu instid0(SALU_CYCLE_1)
	s_and_not1_b32 vcc_lo, exec_lo, s17
	s_cbranch_vccnz .LBB86_244
; %bb.243:
	s_wait_loadcnt 0x0
	global_load_b32 v1, v[2:3], off
	s_wait_loadcnt 0x0
	v_cvt_i32_f32_e32 v4, v1
.LBB86_244:
	s_mov_b32 s17, 0
.LBB86_245:
	s_delay_alu instid0(SALU_CYCLE_1)
	s_and_not1_b32 vcc_lo, exec_lo, s17
	s_cbranch_vccnz .LBB86_247
; %bb.246:
	s_wait_loadcnt 0x0
	global_load_u16 v1, v[2:3], off
	s_wait_loadcnt 0x0
	v_cvt_i16_f16_e32 v4, v1
.LBB86_247:
	s_mov_b32 s17, 0
.LBB86_248:
	s_delay_alu instid0(SALU_CYCLE_1)
	s_and_not1_b32 vcc_lo, exec_lo, s17
	s_cbranch_vccnz .LBB86_268
; %bb.249:
	s_cmp_lt_i32 s0, 2
	s_cbranch_scc1 .LBB86_253
; %bb.250:
	s_cmp_lt_i32 s0, 3
	s_cbranch_scc1 .LBB86_254
; %bb.251:
	s_cmp_gt_i32 s0, 3
	s_cbranch_scc0 .LBB86_255
; %bb.252:
	s_wait_loadcnt 0x0
	global_load_b64 v[4:5], v[2:3], off
	s_mov_b32 s17, 0
	s_branch .LBB86_256
.LBB86_253:
	s_mov_b32 s17, -1
                                        ; implicit-def: $vgpr4
	s_branch .LBB86_262
.LBB86_254:
	s_mov_b32 s17, -1
                                        ; implicit-def: $vgpr4
	s_branch .LBB86_259
.LBB86_255:
	s_mov_b32 s17, -1
                                        ; implicit-def: $vgpr4
.LBB86_256:
	s_delay_alu instid0(SALU_CYCLE_1)
	s_and_not1_b32 vcc_lo, exec_lo, s17
	s_cbranch_vccnz .LBB86_258
; %bb.257:
	s_wait_loadcnt 0x0
	global_load_b32 v4, v[2:3], off
.LBB86_258:
	s_mov_b32 s17, 0
.LBB86_259:
	s_delay_alu instid0(SALU_CYCLE_1)
	s_and_not1_b32 vcc_lo, exec_lo, s17
	s_cbranch_vccnz .LBB86_261
; %bb.260:
	s_wait_loadcnt 0x0
	global_load_u16 v4, v[2:3], off
.LBB86_261:
	s_mov_b32 s17, 0
.LBB86_262:
	s_delay_alu instid0(SALU_CYCLE_1)
	s_and_not1_b32 vcc_lo, exec_lo, s17
	s_cbranch_vccnz .LBB86_268
; %bb.263:
	s_cmp_gt_i32 s0, 0
	s_mov_b32 s0, 0
	s_cbranch_scc0 .LBB86_265
; %bb.264:
	s_wait_loadcnt 0x0
	global_load_i8 v4, v[2:3], off
	s_branch .LBB86_266
.LBB86_265:
	s_mov_b32 s0, -1
                                        ; implicit-def: $vgpr4
.LBB86_266:
	s_delay_alu instid0(SALU_CYCLE_1)
	s_and_not1_b32 vcc_lo, exec_lo, s0
	s_cbranch_vccnz .LBB86_268
; %bb.267:
	s_wait_loadcnt 0x0
	global_load_u8 v4, v[2:3], off
.LBB86_268:
	s_mov_b32 s17, -1
.LBB86_269:
	s_delay_alu instid0(SALU_CYCLE_1)
	s_and_not1_b32 vcc_lo, exec_lo, s17
	s_cbranch_vccnz .LBB86_277
; %bb.270:
	s_wait_xcnt 0x0
	v_mul_lo_u32 v2, v18, s11
	s_wait_loadcnt 0x0
	v_mul_lo_u16 v5, v0, s10
	s_and_b32 s17, s12, 0xff
	s_delay_alu instid0(SALU_CYCLE_1) | instskip(NEXT) | instid1(VALU_DEP_1)
	s_cmp_lt_i32 s17, 11
	v_mul_lo_u16 v4, v5, v4
	s_delay_alu instid0(VALU_DEP_3) | instskip(NEXT) | instid1(VALU_DEP_1)
	v_ashrrev_i32_e32 v3, 31, v2
	v_add_nc_u64_e32 v[0:1], s[2:3], v[2:3]
	s_cbranch_scc1 .LBB86_278
; %bb.271:
	s_and_b32 s24, 0xffff, s17
	s_delay_alu instid0(SALU_CYCLE_1)
	s_cmp_gt_i32 s24, 25
	s_cbranch_scc0 .LBB86_279
; %bb.272:
	s_cmp_gt_i32 s24, 28
	s_cbranch_scc0 .LBB86_280
; %bb.273:
	;; [unrolled: 3-line block ×4, first 2 shown]
	s_mov_b32 s26, 0
	s_mov_b32 s0, -1
	s_cmp_eq_u32 s24, 46
	s_mov_b32 s25, 0
	s_cbranch_scc0 .LBB86_283
; %bb.276:
	v_bfe_i32 v2, v4, 0, 16
	s_mov_b32 s25, -1
	s_mov_b32 s0, 0
	s_delay_alu instid0(VALU_DEP_1) | instskip(NEXT) | instid1(VALU_DEP_1)
	v_cvt_f32_i32_e32 v2, v2
	v_bfe_u32 v3, v2, 16, 1
	s_delay_alu instid0(VALU_DEP_1) | instskip(NEXT) | instid1(VALU_DEP_1)
	v_add3_u32 v2, v2, v3, 0x7fff
	v_lshrrev_b32_e32 v2, 16, v2
	global_store_b32 v[0:1], v2, off
	s_branch .LBB86_283
.LBB86_277:
	s_mov_b32 s0, 0
	s_mov_b32 s24, 0
                                        ; implicit-def: $vgpr18
	s_branch .LBB86_393
.LBB86_278:
	s_mov_b32 s24, -1
	s_mov_b32 s0, 0
	s_mov_b32 s25, 0
	s_branch .LBB86_352
.LBB86_279:
	s_mov_b32 s26, -1
	s_mov_b32 s0, 0
	s_mov_b32 s25, 0
	s_branch .LBB86_310
.LBB86_280:
	s_mov_b32 s26, -1
	s_mov_b32 s0, 0
	s_mov_b32 s25, 0
	s_branch .LBB86_293
.LBB86_281:
	s_mov_b32 s26, -1
	s_mov_b32 s0, 0
	s_mov_b32 s25, 0
	s_branch .LBB86_289
.LBB86_282:
	s_mov_b32 s26, -1
	s_mov_b32 s0, 0
	s_mov_b32 s25, 0
.LBB86_283:
	s_and_b32 vcc_lo, exec_lo, s26
	s_cbranch_vccz .LBB86_288
; %bb.284:
	s_cmp_eq_u32 s24, 44
	s_mov_b32 s0, -1
	s_cbranch_scc0 .LBB86_288
; %bb.285:
	s_wait_xcnt 0x0
	v_bfe_i32 v2, v4, 0, 16
	v_mov_b32_e32 v3, 0xff
	s_mov_b32 s25, exec_lo
	s_delay_alu instid0(VALU_DEP_2) | instskip(NEXT) | instid1(VALU_DEP_1)
	v_cvt_f32_i32_e32 v2, v2
	v_bfe_u32 v5, v2, 23, 8
	s_delay_alu instid0(VALU_DEP_1)
	v_cmpx_ne_u32_e32 0xff, v5
	s_cbranch_execz .LBB86_287
; %bb.286:
	v_and_b32_e32 v3, 0x400000, v2
	v_and_or_b32 v5, 0x3fffff, v2, v5
	v_lshrrev_b32_e32 v2, 23, v2
	s_delay_alu instid0(VALU_DEP_3) | instskip(NEXT) | instid1(VALU_DEP_3)
	v_cmp_ne_u32_e32 vcc_lo, 0, v3
	v_cmp_ne_u32_e64 s0, 0, v5
	s_and_b32 s0, vcc_lo, s0
	s_delay_alu instid0(SALU_CYCLE_1) | instskip(NEXT) | instid1(VALU_DEP_1)
	v_cndmask_b32_e64 v3, 0, 1, s0
	v_add_nc_u32_e32 v3, v2, v3
.LBB86_287:
	s_or_b32 exec_lo, exec_lo, s25
	s_mov_b32 s25, -1
	s_mov_b32 s0, 0
	global_store_b8 v[0:1], v3, off
.LBB86_288:
	s_mov_b32 s26, 0
.LBB86_289:
	s_delay_alu instid0(SALU_CYCLE_1)
	s_and_b32 vcc_lo, exec_lo, s26
	s_cbranch_vccz .LBB86_292
; %bb.290:
	s_cmp_eq_u32 s24, 29
	s_mov_b32 s0, -1
	s_cbranch_scc0 .LBB86_292
; %bb.291:
	s_wait_xcnt 0x0
	v_bfe_i32 v2, v4, 0, 16
	s_mov_b32 s0, 0
	s_mov_b32 s25, -1
	s_mov_b32 s26, 0
	s_delay_alu instid0(VALU_DEP_1)
	v_ashrrev_i32_e32 v3, 31, v2
	global_store_b64 v[0:1], v[2:3], off
	s_branch .LBB86_293
.LBB86_292:
	s_mov_b32 s26, 0
.LBB86_293:
	s_delay_alu instid0(SALU_CYCLE_1)
	s_and_b32 vcc_lo, exec_lo, s26
	s_cbranch_vccz .LBB86_309
; %bb.294:
	s_cmp_lt_i32 s24, 27
	s_mov_b32 s25, -1
	s_cbranch_scc1 .LBB86_300
; %bb.295:
	s_cmp_gt_i32 s24, 27
	s_cbranch_scc0 .LBB86_297
; %bb.296:
	s_wait_xcnt 0x0
	v_bfe_i32 v2, v4, 0, 16
	s_mov_b32 s25, 0
	global_store_b32 v[0:1], v2, off
.LBB86_297:
	s_and_not1_b32 vcc_lo, exec_lo, s25
	s_cbranch_vccnz .LBB86_299
; %bb.298:
	global_store_b16 v[0:1], v4, off
.LBB86_299:
	s_mov_b32 s25, 0
.LBB86_300:
	s_delay_alu instid0(SALU_CYCLE_1)
	s_and_not1_b32 vcc_lo, exec_lo, s25
	s_cbranch_vccnz .LBB86_308
; %bb.301:
	s_wait_xcnt 0x0
	v_bfe_i32 v2, v4, 0, 16
	v_mov_b32_e32 v5, 0x80
	s_mov_b32 s25, exec_lo
	s_delay_alu instid0(VALU_DEP_2) | instskip(NEXT) | instid1(VALU_DEP_1)
	v_cvt_f32_i32_e32 v2, v2
	v_and_b32_e32 v3, 0x7fffffff, v2
	s_delay_alu instid0(VALU_DEP_1)
	v_cmpx_gt_u32_e32 0x43800000, v3
	s_cbranch_execz .LBB86_307
; %bb.302:
	v_cmp_lt_u32_e32 vcc_lo, 0x3bffffff, v3
	s_mov_b32 s26, 0
                                        ; implicit-def: $vgpr3
	s_and_saveexec_b32 s27, vcc_lo
	s_delay_alu instid0(SALU_CYCLE_1)
	s_xor_b32 s27, exec_lo, s27
	s_cbranch_execz .LBB86_428
; %bb.303:
	v_bfe_u32 v3, v2, 20, 1
	s_mov_b32 s26, exec_lo
	s_delay_alu instid0(VALU_DEP_1) | instskip(NEXT) | instid1(VALU_DEP_1)
	v_add3_u32 v3, v2, v3, 0x487ffff
	v_lshrrev_b32_e32 v3, 20, v3
	s_and_not1_saveexec_b32 s27, s27
	s_cbranch_execnz .LBB86_429
.LBB86_304:
	s_or_b32 exec_lo, exec_lo, s27
	v_mov_b32_e32 v5, 0
	s_and_saveexec_b32 s27, s26
.LBB86_305:
	v_lshrrev_b32_e32 v2, 24, v2
	s_delay_alu instid0(VALU_DEP_1)
	v_and_or_b32 v5, 0x80, v2, v3
.LBB86_306:
	s_or_b32 exec_lo, exec_lo, s27
.LBB86_307:
	s_delay_alu instid0(SALU_CYCLE_1)
	s_or_b32 exec_lo, exec_lo, s25
	global_store_b8 v[0:1], v5, off
.LBB86_308:
	s_mov_b32 s25, -1
.LBB86_309:
	s_mov_b32 s26, 0
.LBB86_310:
	s_delay_alu instid0(SALU_CYCLE_1)
	s_and_b32 vcc_lo, exec_lo, s26
	s_cbranch_vccz .LBB86_351
; %bb.311:
	s_cmp_gt_i32 s24, 22
	s_mov_b32 s26, -1
	s_cbranch_scc0 .LBB86_343
; %bb.312:
	s_cmp_lt_i32 s24, 24
	s_mov_b32 s25, -1
	s_cbranch_scc1 .LBB86_332
; %bb.313:
	s_cmp_gt_i32 s24, 24
	s_cbranch_scc0 .LBB86_321
; %bb.314:
	s_wait_xcnt 0x0
	v_bfe_i32 v2, v4, 0, 16
	v_mov_b32_e32 v5, 0x80
	s_mov_b32 s25, exec_lo
	s_delay_alu instid0(VALU_DEP_2) | instskip(NEXT) | instid1(VALU_DEP_1)
	v_cvt_f32_i32_e32 v2, v2
	v_and_b32_e32 v3, 0x7fffffff, v2
	s_delay_alu instid0(VALU_DEP_1)
	v_cmpx_gt_u32_e32 0x47800000, v3
	s_cbranch_execz .LBB86_320
; %bb.315:
	v_cmp_lt_u32_e32 vcc_lo, 0x37ffffff, v3
	s_mov_b32 s26, 0
                                        ; implicit-def: $vgpr3
	s_and_saveexec_b32 s27, vcc_lo
	s_delay_alu instid0(SALU_CYCLE_1)
	s_xor_b32 s27, exec_lo, s27
	s_cbranch_execz .LBB86_555
; %bb.316:
	v_bfe_u32 v3, v2, 21, 1
	s_mov_b32 s26, exec_lo
	s_delay_alu instid0(VALU_DEP_1) | instskip(NEXT) | instid1(VALU_DEP_1)
	v_add3_u32 v3, v2, v3, 0x88fffff
	v_lshrrev_b32_e32 v3, 21, v3
	s_and_not1_saveexec_b32 s27, s27
	s_cbranch_execnz .LBB86_556
.LBB86_317:
	s_or_b32 exec_lo, exec_lo, s27
	v_mov_b32_e32 v5, 0
	s_and_saveexec_b32 s27, s26
.LBB86_318:
	v_lshrrev_b32_e32 v2, 24, v2
	s_delay_alu instid0(VALU_DEP_1)
	v_and_or_b32 v5, 0x80, v2, v3
.LBB86_319:
	s_or_b32 exec_lo, exec_lo, s27
.LBB86_320:
	s_delay_alu instid0(SALU_CYCLE_1)
	s_or_b32 exec_lo, exec_lo, s25
	s_mov_b32 s25, 0
	global_store_b8 v[0:1], v5, off
.LBB86_321:
	s_and_b32 vcc_lo, exec_lo, s25
	s_cbranch_vccz .LBB86_331
; %bb.322:
	s_wait_xcnt 0x0
	v_bfe_i32 v2, v4, 0, 16
	s_mov_b32 s25, exec_lo
                                        ; implicit-def: $vgpr3
	s_delay_alu instid0(VALU_DEP_1) | instskip(NEXT) | instid1(VALU_DEP_1)
	v_cvt_f32_i32_e32 v2, v2
	v_and_b32_e32 v5, 0x7fffffff, v2
	s_delay_alu instid0(VALU_DEP_1)
	v_cmpx_gt_u32_e32 0x43f00000, v5
	s_xor_b32 s25, exec_lo, s25
	s_cbranch_execz .LBB86_328
; %bb.323:
	s_mov_b32 s26, exec_lo
                                        ; implicit-def: $vgpr3
	v_cmpx_lt_u32_e32 0x3c7fffff, v5
	s_xor_b32 s26, exec_lo, s26
; %bb.324:
	v_bfe_u32 v3, v2, 20, 1
	s_delay_alu instid0(VALU_DEP_1) | instskip(NEXT) | instid1(VALU_DEP_1)
	v_add3_u32 v3, v2, v3, 0x407ffff
	v_and_b32_e32 v5, 0xff00000, v3
	v_lshrrev_b32_e32 v3, 20, v3
	s_delay_alu instid0(VALU_DEP_2) | instskip(NEXT) | instid1(VALU_DEP_2)
	v_cmp_ne_u32_e32 vcc_lo, 0x7f00000, v5
	v_cndmask_b32_e32 v3, 0x7e, v3, vcc_lo
; %bb.325:
	s_and_not1_saveexec_b32 s26, s26
; %bb.326:
	v_add_f32_e64 v3, 0x46800000, |v2|
; %bb.327:
	s_or_b32 exec_lo, exec_lo, s26
                                        ; implicit-def: $vgpr5
.LBB86_328:
	s_and_not1_saveexec_b32 s25, s25
; %bb.329:
	v_mov_b32_e32 v3, 0x7f
	v_cmp_lt_u32_e32 vcc_lo, 0x7f800000, v5
	s_delay_alu instid0(VALU_DEP_2)
	v_cndmask_b32_e32 v3, 0x7e, v3, vcc_lo
; %bb.330:
	s_or_b32 exec_lo, exec_lo, s25
	v_lshrrev_b32_e32 v2, 24, v2
	s_delay_alu instid0(VALU_DEP_1)
	v_and_or_b32 v2, 0x80, v2, v3
	global_store_b8 v[0:1], v2, off
.LBB86_331:
	s_mov_b32 s25, 0
.LBB86_332:
	s_delay_alu instid0(SALU_CYCLE_1)
	s_and_not1_b32 vcc_lo, exec_lo, s25
	s_cbranch_vccnz .LBB86_342
; %bb.333:
	s_wait_xcnt 0x0
	v_bfe_i32 v2, v4, 0, 16
	s_mov_b32 s25, exec_lo
                                        ; implicit-def: $vgpr3
	s_delay_alu instid0(VALU_DEP_1) | instskip(NEXT) | instid1(VALU_DEP_1)
	v_cvt_f32_i32_e32 v2, v2
	v_and_b32_e32 v5, 0x7fffffff, v2
	s_delay_alu instid0(VALU_DEP_1)
	v_cmpx_gt_u32_e32 0x47800000, v5
	s_xor_b32 s25, exec_lo, s25
	s_cbranch_execz .LBB86_339
; %bb.334:
	s_mov_b32 s26, exec_lo
                                        ; implicit-def: $vgpr3
	v_cmpx_lt_u32_e32 0x387fffff, v5
	s_xor_b32 s26, exec_lo, s26
; %bb.335:
	v_bfe_u32 v3, v2, 21, 1
	s_delay_alu instid0(VALU_DEP_1) | instskip(NEXT) | instid1(VALU_DEP_1)
	v_add3_u32 v3, v2, v3, 0x80fffff
	v_lshrrev_b32_e32 v3, 21, v3
; %bb.336:
	s_and_not1_saveexec_b32 s26, s26
; %bb.337:
	v_add_f32_e64 v3, 0x43000000, |v2|
; %bb.338:
	s_or_b32 exec_lo, exec_lo, s26
                                        ; implicit-def: $vgpr5
.LBB86_339:
	s_and_not1_saveexec_b32 s25, s25
; %bb.340:
	v_mov_b32_e32 v3, 0x7f
	v_cmp_lt_u32_e32 vcc_lo, 0x7f800000, v5
	s_delay_alu instid0(VALU_DEP_2)
	v_cndmask_b32_e32 v3, 0x7c, v3, vcc_lo
; %bb.341:
	s_or_b32 exec_lo, exec_lo, s25
	v_lshrrev_b32_e32 v2, 24, v2
	s_delay_alu instid0(VALU_DEP_1)
	v_and_or_b32 v2, 0x80, v2, v3
	global_store_b8 v[0:1], v2, off
.LBB86_342:
	s_mov_b32 s26, 0
	s_mov_b32 s25, -1
.LBB86_343:
	s_and_not1_b32 vcc_lo, exec_lo, s26
	s_cbranch_vccnz .LBB86_351
; %bb.344:
	s_cmp_gt_i32 s24, 14
	s_mov_b32 s26, -1
	s_cbranch_scc0 .LBB86_348
; %bb.345:
	s_cmp_eq_u32 s24, 15
	s_mov_b32 s0, -1
	s_cbranch_scc0 .LBB86_347
; %bb.346:
	s_wait_xcnt 0x0
	v_bfe_i32 v2, v4, 0, 16
	s_mov_b32 s25, -1
	s_mov_b32 s0, 0
	s_delay_alu instid0(VALU_DEP_1) | instskip(NEXT) | instid1(VALU_DEP_1)
	v_cvt_f32_i32_e32 v2, v2
	v_bfe_u32 v3, v2, 16, 1
	s_delay_alu instid0(VALU_DEP_1)
	v_add3_u32 v2, v2, v3, 0x7fff
	global_store_d16_hi_b16 v[0:1], v2, off
.LBB86_347:
	s_mov_b32 s26, 0
.LBB86_348:
	s_delay_alu instid0(SALU_CYCLE_1)
	s_and_b32 vcc_lo, exec_lo, s26
	s_cbranch_vccz .LBB86_351
; %bb.349:
	s_cmp_eq_u32 s24, 11
	s_mov_b32 s0, -1
	s_cbranch_scc0 .LBB86_351
; %bb.350:
	v_cmp_ne_u16_e32 vcc_lo, 0, v4
	s_mov_b32 s0, 0
	s_mov_b32 s25, -1
	s_wait_xcnt 0x0
	v_cndmask_b32_e64 v2, 0, 1, vcc_lo
	global_store_b8 v[0:1], v2, off
.LBB86_351:
	s_mov_b32 s24, 0
.LBB86_352:
	s_delay_alu instid0(SALU_CYCLE_1)
	s_and_b32 vcc_lo, exec_lo, s24
	s_cbranch_vccz .LBB86_391
; %bb.353:
	s_and_b32 s17, 0xffff, s17
	s_mov_b32 s24, -1
	s_cmp_lt_i32 s17, 5
	s_cbranch_scc1 .LBB86_374
; %bb.354:
	s_cmp_lt_i32 s17, 8
	s_cbranch_scc1 .LBB86_364
; %bb.355:
	;; [unrolled: 3-line block ×3, first 2 shown]
	s_cmp_gt_i32 s17, 9
	s_cbranch_scc0 .LBB86_358
; %bb.357:
	s_wait_xcnt 0x0
	v_bfe_i32 v2, v4, 0, 16
	v_mov_b32_e32 v8, 0
	s_mov_b32 s24, 0
	s_delay_alu instid0(VALU_DEP_2) | instskip(NEXT) | instid1(VALU_DEP_2)
	v_cvt_f64_i32_e32 v[6:7], v2
	v_mov_b32_e32 v9, v8
	global_store_b128 v[0:1], v[6:9], off
.LBB86_358:
	s_and_not1_b32 vcc_lo, exec_lo, s24
	s_cbranch_vccnz .LBB86_360
; %bb.359:
	s_wait_xcnt 0x0
	v_bfe_i32 v2, v4, 0, 16
	v_mov_b32_e32 v3, 0
	s_delay_alu instid0(VALU_DEP_2)
	v_cvt_f32_i32_e32 v2, v2
	global_store_b64 v[0:1], v[2:3], off
.LBB86_360:
	s_mov_b32 s24, 0
.LBB86_361:
	s_delay_alu instid0(SALU_CYCLE_1)
	s_and_not1_b32 vcc_lo, exec_lo, s24
	s_cbranch_vccnz .LBB86_363
; %bb.362:
	s_wait_xcnt 0x0
	v_cvt_f16_i16_e32 v2, v4
	s_delay_alu instid0(VALU_DEP_1)
	v_and_b32_e32 v2, 0xffff, v2
	global_store_b32 v[0:1], v2, off
.LBB86_363:
	s_mov_b32 s24, 0
.LBB86_364:
	s_delay_alu instid0(SALU_CYCLE_1)
	s_and_not1_b32 vcc_lo, exec_lo, s24
	s_cbranch_vccnz .LBB86_373
; %bb.365:
	s_cmp_lt_i32 s17, 6
	s_mov_b32 s24, -1
	s_cbranch_scc1 .LBB86_371
; %bb.366:
	s_cmp_gt_i32 s17, 6
	s_cbranch_scc0 .LBB86_368
; %bb.367:
	s_wait_xcnt 0x0
	v_bfe_i32 v2, v4, 0, 16
	s_mov_b32 s24, 0
	s_delay_alu instid0(VALU_DEP_1)
	v_cvt_f64_i32_e32 v[2:3], v2
	global_store_b64 v[0:1], v[2:3], off
.LBB86_368:
	s_and_not1_b32 vcc_lo, exec_lo, s24
	s_cbranch_vccnz .LBB86_370
; %bb.369:
	s_wait_xcnt 0x0
	v_bfe_i32 v2, v4, 0, 16
	s_delay_alu instid0(VALU_DEP_1)
	v_cvt_f32_i32_e32 v2, v2
	global_store_b32 v[0:1], v2, off
.LBB86_370:
	s_mov_b32 s24, 0
.LBB86_371:
	s_delay_alu instid0(SALU_CYCLE_1)
	s_and_not1_b32 vcc_lo, exec_lo, s24
	s_cbranch_vccnz .LBB86_373
; %bb.372:
	s_wait_xcnt 0x0
	v_cvt_f16_i16_e32 v2, v4
	global_store_b16 v[0:1], v2, off
.LBB86_373:
	s_mov_b32 s24, 0
.LBB86_374:
	s_delay_alu instid0(SALU_CYCLE_1)
	s_and_not1_b32 vcc_lo, exec_lo, s24
	s_cbranch_vccnz .LBB86_390
; %bb.375:
	s_cmp_lt_i32 s17, 2
	s_mov_b32 s24, -1
	s_cbranch_scc1 .LBB86_385
; %bb.376:
	s_cmp_lt_i32 s17, 3
	s_cbranch_scc1 .LBB86_382
; %bb.377:
	s_wait_xcnt 0x0
	v_bfe_i32 v2, v4, 0, 16
	s_cmp_gt_i32 s17, 3
	s_cbranch_scc0 .LBB86_379
; %bb.378:
	s_delay_alu instid0(VALU_DEP_1)
	v_ashrrev_i32_e32 v3, 31, v2
	s_mov_b32 s24, 0
	global_store_b64 v[0:1], v[2:3], off
.LBB86_379:
	s_and_not1_b32 vcc_lo, exec_lo, s24
	s_cbranch_vccnz .LBB86_381
; %bb.380:
	global_store_b32 v[0:1], v2, off
.LBB86_381:
	s_mov_b32 s24, 0
.LBB86_382:
	s_delay_alu instid0(SALU_CYCLE_1)
	s_and_not1_b32 vcc_lo, exec_lo, s24
	s_cbranch_vccnz .LBB86_384
; %bb.383:
	global_store_b16 v[0:1], v4, off
.LBB86_384:
	s_mov_b32 s24, 0
.LBB86_385:
	s_delay_alu instid0(SALU_CYCLE_1)
	s_and_not1_b32 vcc_lo, exec_lo, s24
	s_cbranch_vccnz .LBB86_390
; %bb.386:
	s_cmp_gt_i32 s17, 0
	s_mov_b32 s17, -1
	s_cbranch_scc0 .LBB86_388
; %bb.387:
	s_mov_b32 s17, 0
	global_store_b8 v[0:1], v4, off
.LBB86_388:
	s_and_not1_b32 vcc_lo, exec_lo, s17
	s_cbranch_vccnz .LBB86_390
; %bb.389:
	global_store_b8 v[0:1], v4, off
.LBB86_390:
	s_mov_b32 s25, -1
.LBB86_391:
	s_delay_alu instid0(SALU_CYCLE_1)
	s_and_not1_b32 vcc_lo, exec_lo, s25
	s_cbranch_vccnz .LBB86_27
; %bb.392:
	v_add_nc_u32_e32 v18, 0x80, v18
	s_mov_b32 s24, -1
.LBB86_393:
	s_and_b32 s17, s0, exec_lo
	s_and_b32 s19, s19, exec_lo
	;; [unrolled: 1-line block ×4, first 2 shown]
	s_or_not1_b32 s0, s24, exec_lo
.LBB86_394:
	s_wait_xcnt 0x0
	s_or_b32 exec_lo, exec_lo, s22
	s_and_saveexec_b32 s22, s0
	s_cbranch_execz .LBB86_1221
; %bb.395:
	s_mov_b32 s28, -1
	s_mov_b32 s23, s21
	s_mov_b32 s26, s20
	;; [unrolled: 1-line block ×4, first 2 shown]
	s_mov_b32 s27, exec_lo
	v_cmpx_gt_i32_e64 s18, v18
	s_cbranch_execz .LBB86_794
; %bb.396:
	s_and_b32 s23, s15, 0xff
	s_delay_alu instid0(SALU_CYCLE_1)
	s_cmp_lt_i32 s23, 23
	s_cbranch_scc1 .LBB86_400
; %bb.397:
	s_and_b32 s24, 0xffff, s23
	s_delay_alu instid0(SALU_CYCLE_1)
	s_cmp_gt_i32 s24, 43
	s_cbranch_scc0 .LBB86_401
; %bb.398:
	s_cmp_gt_i32 s24, 45
	s_cbranch_scc0 .LBB86_402
; %bb.399:
	s_cmp_eq_u32 s24, 46
	s_mov_b32 s25, 0
	s_cselect_b32 s0, -1, 0
	s_or_b32 s26, s21, exec_lo
	s_branch .LBB86_403
.LBB86_400:
	s_mov_b32 s0, 0
	s_mov_b32 s26, s21
	s_cbranch_execnz .LBB86_409
	s_branch .LBB86_413
.LBB86_401:
	s_mov_b32 s25, -1
	s_mov_b32 s0, 0
	s_mov_b32 s26, s21
	s_branch .LBB86_406
.LBB86_402:
	s_mov_b32 s25, -1
	s_mov_b32 s0, 0
	s_mov_b32 s26, s21
.LBB86_403:
	s_and_not1_b32 vcc_lo, exec_lo, s25
	s_cbranch_vccnz .LBB86_405
; %bb.404:
	s_cmp_eq_u32 s24, 44
	s_cselect_b32 s0, -1, 0
	s_cmp_lg_u32 s24, 44
	s_cselect_b32 s25, -1, 0
	s_and_not1_b32 s26, s26, exec_lo
	s_and_b32 s25, s25, exec_lo
	s_delay_alu instid0(SALU_CYCLE_1)
	s_or_b32 s26, s26, s25
.LBB86_405:
	s_mov_b32 s25, 0
.LBB86_406:
	s_delay_alu instid0(SALU_CYCLE_1)
	s_and_b32 vcc_lo, exec_lo, s25
	s_cbranch_vccz .LBB86_408
; %bb.407:
	s_cmp_lt_i32 s24, 30
	s_cselect_b32 s0, -1, 0
	s_cmp_gt_i32 s24, 29
	s_cselect_b32 s24, -1, 0
	s_and_not1_b32 s25, s26, exec_lo
	s_and_b32 s24, s24, exec_lo
	s_delay_alu instid0(SALU_CYCLE_1)
	s_or_b32 s26, s25, s24
.LBB86_408:
	s_branch .LBB86_413
.LBB86_409:
	s_and_b32 s23, 0xffff, s23
	s_mov_b32 s24, -1
	s_cmp_gt_i32 s23, 14
	s_cbranch_scc0 .LBB86_411
; %bb.410:
	s_cmp_eq_u32 s23, 15
	s_cselect_b32 s0, -1, 0
	s_cmp_lg_u32 s23, 15
	s_cselect_b32 s24, -1, 0
	s_and_not1_b32 s25, s26, exec_lo
	s_and_b32 s26, s24, exec_lo
	s_mov_b32 s24, 0
	s_or_b32 s26, s25, s26
.LBB86_411:
	s_and_not1_b32 vcc_lo, exec_lo, s24
	s_cbranch_vccnz .LBB86_413
; %bb.412:
	s_cmp_lt_i32 s23, 12
	s_cselect_b32 s0, -1, 0
	s_cmp_gt_i32 s23, 11
	s_cselect_b32 s23, -1, 0
	s_and_not1_b32 s24, s26, exec_lo
	s_and_b32 s23, s23, exec_lo
	s_delay_alu instid0(SALU_CYCLE_1)
	s_or_b32 s26, s24, s23
.LBB86_413:
	s_and_b32 vcc_lo, exec_lo, s0
	s_cbranch_vccz .LBB86_421
; %bb.414:
	s_wait_loadcnt 0x0
	v_mul_lo_u32 v0, v18, s8
	s_and_b32 s0, s13, 0xff
	s_delay_alu instid0(SALU_CYCLE_1) | instskip(NEXT) | instid1(VALU_DEP_1)
	s_cmp_lt_i32 s0, 11
	v_ashrrev_i32_e32 v1, 31, v0
	s_delay_alu instid0(VALU_DEP_1)
	v_add_nc_u64_e32 v[2:3], s[4:5], v[0:1]
	s_cbranch_scc1 .LBB86_423
; %bb.415:
	s_and_b32 s24, 0xffff, s0
	s_delay_alu instid0(SALU_CYCLE_1)
	s_cmp_gt_i32 s24, 25
	s_cbranch_scc0 .LBB86_424
; %bb.416:
	s_cmp_gt_i32 s24, 28
	s_cbranch_scc0 .LBB86_425
; %bb.417:
	;; [unrolled: 3-line block ×4, first 2 shown]
	s_cmp_eq_u32 s24, 46
	s_mov_b32 s26, 0
	s_cbranch_scc0 .LBB86_430
; %bb.420:
	global_load_b32 v0, v[2:3], off
	s_mov_b32 s25, -1
	s_mov_b32 s23, 0
	s_wait_loadcnt 0x0
	v_lshlrev_b32_e32 v0, 16, v0
	s_delay_alu instid0(VALU_DEP_1)
	v_cvt_i32_f32_e32 v0, v0
	s_branch .LBB86_432
.LBB86_421:
	s_mov_b32 s28, 0
	s_mov_b32 s0, s17
	;; [unrolled: 1-line block ×4, first 2 shown]
.LBB86_422:
                                        ; implicit-def: $vgpr18
	s_branch .LBB86_793
.LBB86_423:
	s_mov_b32 s24, -1
	s_mov_b32 s25, 0
	s_mov_b32 s23, s20
                                        ; implicit-def: $vgpr0
	s_branch .LBB86_493
.LBB86_424:
	s_mov_b32 s26, -1
	s_mov_b32 s25, 0
	s_mov_b32 s23, s20
                                        ; implicit-def: $vgpr0
	s_branch .LBB86_459
.LBB86_425:
	s_mov_b32 s26, -1
	s_mov_b32 s25, 0
	s_mov_b32 s23, s20
                                        ; implicit-def: $vgpr0
	s_branch .LBB86_442
.LBB86_426:
	s_mov_b32 s26, -1
	s_mov_b32 s25, 0
	s_mov_b32 s23, s20
                                        ; implicit-def: $vgpr0
	s_branch .LBB86_437
.LBB86_427:
	s_mov_b32 s26, -1
	s_mov_b32 s25, 0
	s_mov_b32 s23, s20
	s_branch .LBB86_431
.LBB86_428:
	s_and_not1_saveexec_b32 s27, s27
	s_cbranch_execz .LBB86_304
.LBB86_429:
	v_add_f32_e64 v3, 0x46000000, |v2|
	s_and_not1_b32 s26, s26, exec_lo
	s_delay_alu instid0(VALU_DEP_1) | instskip(NEXT) | instid1(VALU_DEP_1)
	v_and_b32_e32 v3, 0xff, v3
	v_cmp_ne_u32_e32 vcc_lo, 0, v3
	s_and_b32 s28, vcc_lo, exec_lo
	s_delay_alu instid0(SALU_CYCLE_1)
	s_or_b32 s26, s26, s28
	s_or_b32 exec_lo, exec_lo, s27
	v_mov_b32_e32 v5, 0
	s_and_saveexec_b32 s27, s26
	s_cbranch_execnz .LBB86_305
	s_branch .LBB86_306
.LBB86_430:
	s_mov_b32 s23, -1
	s_mov_b32 s25, 0
.LBB86_431:
                                        ; implicit-def: $vgpr0
.LBB86_432:
	s_and_b32 vcc_lo, exec_lo, s26
	s_cbranch_vccz .LBB86_436
; %bb.433:
	s_cmp_eq_u32 s24, 44
	s_cbranch_scc0 .LBB86_435
; %bb.434:
	global_load_u8 v0, v[2:3], off
	s_mov_b32 s23, 0
	s_mov_b32 s25, -1
	s_wait_loadcnt 0x0
	v_lshlrev_b32_e32 v1, 23, v0
	v_cmp_ne_u32_e32 vcc_lo, 0, v0
	s_delay_alu instid0(VALU_DEP_2) | instskip(NEXT) | instid1(VALU_DEP_1)
	v_cvt_i32_f32_e32 v1, v1
	v_cndmask_b32_e32 v0, 0, v1, vcc_lo
	s_branch .LBB86_436
.LBB86_435:
	s_mov_b32 s23, -1
                                        ; implicit-def: $vgpr0
.LBB86_436:
	s_mov_b32 s26, 0
.LBB86_437:
	s_delay_alu instid0(SALU_CYCLE_1)
	s_and_b32 vcc_lo, exec_lo, s26
	s_cbranch_vccz .LBB86_441
; %bb.438:
	s_cmp_eq_u32 s24, 29
	s_cbranch_scc0 .LBB86_440
; %bb.439:
	global_load_b64 v[0:1], v[2:3], off
	s_mov_b32 s25, -1
	s_mov_b32 s23, 0
	s_branch .LBB86_441
.LBB86_440:
	s_mov_b32 s23, -1
                                        ; implicit-def: $vgpr0
.LBB86_441:
	s_mov_b32 s26, 0
.LBB86_442:
	s_delay_alu instid0(SALU_CYCLE_1)
	s_and_b32 vcc_lo, exec_lo, s26
	s_cbranch_vccz .LBB86_458
; %bb.443:
	s_cmp_lt_i32 s24, 27
	s_cbranch_scc1 .LBB86_446
; %bb.444:
	s_cmp_gt_i32 s24, 27
	s_cbranch_scc0 .LBB86_447
; %bb.445:
	s_wait_loadcnt 0x0
	global_load_b32 v0, v[2:3], off
	s_mov_b32 s25, 0
	s_branch .LBB86_448
.LBB86_446:
	s_mov_b32 s25, -1
                                        ; implicit-def: $vgpr0
	s_branch .LBB86_451
.LBB86_447:
	s_mov_b32 s25, -1
                                        ; implicit-def: $vgpr0
.LBB86_448:
	s_delay_alu instid0(SALU_CYCLE_1)
	s_and_not1_b32 vcc_lo, exec_lo, s25
	s_cbranch_vccnz .LBB86_450
; %bb.449:
	s_wait_loadcnt 0x0
	global_load_u16 v0, v[2:3], off
.LBB86_450:
	s_mov_b32 s25, 0
.LBB86_451:
	s_delay_alu instid0(SALU_CYCLE_1)
	s_and_not1_b32 vcc_lo, exec_lo, s25
	s_cbranch_vccnz .LBB86_457
; %bb.452:
	s_wait_loadcnt 0x0
	global_load_u8 v1, v[2:3], off
	s_mov_b32 s26, 0
	s_mov_b32 s25, exec_lo
	s_wait_loadcnt 0x0
	v_cmpx_lt_i16_e32 0x7f, v1
	s_xor_b32 s25, exec_lo, s25
	s_cbranch_execz .LBB86_469
; %bb.453:
	v_cmp_ne_u16_e32 vcc_lo, 0x80, v1
	s_and_b32 s26, vcc_lo, exec_lo
	s_and_not1_saveexec_b32 s25, s25
	s_cbranch_execnz .LBB86_470
.LBB86_454:
	s_or_b32 exec_lo, exec_lo, s25
	v_mov_b32_e32 v0, 0
	s_and_saveexec_b32 s25, s26
	s_cbranch_execz .LBB86_456
.LBB86_455:
	v_and_b32_e32 v0, 0xffff, v1
	s_delay_alu instid0(VALU_DEP_1) | instskip(SKIP_1) | instid1(VALU_DEP_2)
	v_and_b32_e32 v4, 7, v0
	v_bfe_u32 v7, v0, 3, 4
	v_clz_i32_u32_e32 v5, v4
	s_delay_alu instid0(VALU_DEP_2) | instskip(NEXT) | instid1(VALU_DEP_2)
	v_cmp_eq_u32_e32 vcc_lo, 0, v7
	v_min_u32_e32 v5, 32, v5
	s_delay_alu instid0(VALU_DEP_1) | instskip(NEXT) | instid1(VALU_DEP_1)
	v_subrev_nc_u32_e32 v6, 28, v5
	v_dual_lshlrev_b32 v0, v6, v0 :: v_dual_sub_nc_u32 v5, 29, v5
	s_delay_alu instid0(VALU_DEP_1) | instskip(NEXT) | instid1(VALU_DEP_1)
	v_dual_lshlrev_b32 v1, 24, v1 :: v_dual_bitop2_b32 v0, 7, v0 bitop3:0x40
	v_dual_cndmask_b32 v0, v4, v0 :: v_dual_cndmask_b32 v5, v7, v5
	s_delay_alu instid0(VALU_DEP_2) | instskip(NEXT) | instid1(VALU_DEP_2)
	v_and_b32_e32 v1, 0x80000000, v1
	v_lshlrev_b32_e32 v0, 20, v0
	s_delay_alu instid0(VALU_DEP_3) | instskip(NEXT) | instid1(VALU_DEP_1)
	v_lshl_add_u32 v4, v5, 23, 0x3b800000
	v_or3_b32 v0, v1, v4, v0
	s_delay_alu instid0(VALU_DEP_1)
	v_cvt_i32_f32_e32 v0, v0
.LBB86_456:
	s_or_b32 exec_lo, exec_lo, s25
.LBB86_457:
	s_mov_b32 s25, -1
.LBB86_458:
	s_mov_b32 s26, 0
.LBB86_459:
	s_delay_alu instid0(SALU_CYCLE_1)
	s_and_b32 vcc_lo, exec_lo, s26
	s_cbranch_vccz .LBB86_492
; %bb.460:
	s_cmp_gt_i32 s24, 22
	s_cbranch_scc0 .LBB86_468
; %bb.461:
	s_cmp_lt_i32 s24, 24
	s_cbranch_scc1 .LBB86_471
; %bb.462:
	s_cmp_gt_i32 s24, 24
	s_cbranch_scc0 .LBB86_472
; %bb.463:
	s_wait_loadcnt 0x0
	global_load_u8 v1, v[2:3], off
	s_mov_b32 s26, 0
	s_mov_b32 s25, exec_lo
	s_wait_loadcnt 0x0
	v_cmpx_lt_i16_e32 0x7f, v1
	s_xor_b32 s25, exec_lo, s25
	s_cbranch_execz .LBB86_484
; %bb.464:
	v_cmp_ne_u16_e32 vcc_lo, 0x80, v1
	s_and_b32 s26, vcc_lo, exec_lo
	s_and_not1_saveexec_b32 s25, s25
	s_cbranch_execnz .LBB86_485
.LBB86_465:
	s_or_b32 exec_lo, exec_lo, s25
	v_mov_b32_e32 v0, 0
	s_and_saveexec_b32 s25, s26
	s_cbranch_execz .LBB86_467
.LBB86_466:
	v_and_b32_e32 v0, 0xffff, v1
	s_delay_alu instid0(VALU_DEP_1) | instskip(SKIP_1) | instid1(VALU_DEP_2)
	v_and_b32_e32 v4, 3, v0
	v_bfe_u32 v7, v0, 2, 5
	v_clz_i32_u32_e32 v5, v4
	s_delay_alu instid0(VALU_DEP_2) | instskip(NEXT) | instid1(VALU_DEP_2)
	v_cmp_eq_u32_e32 vcc_lo, 0, v7
	v_min_u32_e32 v5, 32, v5
	s_delay_alu instid0(VALU_DEP_1) | instskip(NEXT) | instid1(VALU_DEP_1)
	v_subrev_nc_u32_e32 v6, 29, v5
	v_dual_lshlrev_b32 v0, v6, v0 :: v_dual_sub_nc_u32 v5, 30, v5
	s_delay_alu instid0(VALU_DEP_1) | instskip(NEXT) | instid1(VALU_DEP_1)
	v_dual_lshlrev_b32 v1, 24, v1 :: v_dual_bitop2_b32 v0, 3, v0 bitop3:0x40
	v_dual_cndmask_b32 v0, v4, v0 :: v_dual_cndmask_b32 v5, v7, v5
	s_delay_alu instid0(VALU_DEP_2) | instskip(NEXT) | instid1(VALU_DEP_2)
	v_and_b32_e32 v1, 0x80000000, v1
	v_lshlrev_b32_e32 v0, 21, v0
	s_delay_alu instid0(VALU_DEP_3) | instskip(NEXT) | instid1(VALU_DEP_1)
	v_lshl_add_u32 v4, v5, 23, 0x37800000
	v_or3_b32 v0, v1, v4, v0
	s_delay_alu instid0(VALU_DEP_1)
	v_cvt_i32_f32_e32 v0, v0
.LBB86_467:
	s_or_b32 exec_lo, exec_lo, s25
	s_mov_b32 s25, 0
	s_branch .LBB86_473
.LBB86_468:
	s_mov_b32 s26, -1
                                        ; implicit-def: $vgpr0
	s_branch .LBB86_479
.LBB86_469:
	s_and_not1_saveexec_b32 s25, s25
	s_cbranch_execz .LBB86_454
.LBB86_470:
	v_cmp_ne_u16_e32 vcc_lo, 0, v1
	s_and_not1_b32 s26, s26, exec_lo
	s_and_b32 s28, vcc_lo, exec_lo
	s_delay_alu instid0(SALU_CYCLE_1)
	s_or_b32 s26, s26, s28
	s_or_b32 exec_lo, exec_lo, s25
	v_mov_b32_e32 v0, 0
	s_and_saveexec_b32 s25, s26
	s_cbranch_execnz .LBB86_455
	s_branch .LBB86_456
.LBB86_471:
	s_mov_b32 s25, -1
                                        ; implicit-def: $vgpr0
	s_branch .LBB86_476
.LBB86_472:
	s_mov_b32 s25, -1
                                        ; implicit-def: $vgpr0
.LBB86_473:
	s_delay_alu instid0(SALU_CYCLE_1)
	s_and_b32 vcc_lo, exec_lo, s25
	s_cbranch_vccz .LBB86_475
; %bb.474:
	s_wait_loadcnt 0x0
	global_load_u8 v0, v[2:3], off
	s_wait_loadcnt 0x0
	v_lshlrev_b32_e32 v0, 24, v0
	s_delay_alu instid0(VALU_DEP_1) | instskip(NEXT) | instid1(VALU_DEP_1)
	v_and_b32_e32 v1, 0x7f000000, v0
	v_clz_i32_u32_e32 v4, v1
	v_cmp_ne_u32_e32 vcc_lo, 0, v1
	v_add_nc_u32_e32 v6, 0x1000000, v1
	s_delay_alu instid0(VALU_DEP_3) | instskip(NEXT) | instid1(VALU_DEP_1)
	v_min_u32_e32 v4, 32, v4
	v_sub_nc_u32_e64 v4, v4, 4 clamp
	s_delay_alu instid0(VALU_DEP_1) | instskip(NEXT) | instid1(VALU_DEP_1)
	v_dual_lshlrev_b32 v5, v4, v1 :: v_dual_lshlrev_b32 v4, 23, v4
	v_lshrrev_b32_e32 v5, 4, v5
	s_delay_alu instid0(VALU_DEP_1) | instskip(NEXT) | instid1(VALU_DEP_1)
	v_dual_sub_nc_u32 v4, v5, v4 :: v_dual_ashrrev_i32 v5, 8, v6
	v_add_nc_u32_e32 v4, 0x3c000000, v4
	s_delay_alu instid0(VALU_DEP_1) | instskip(NEXT) | instid1(VALU_DEP_1)
	v_and_or_b32 v4, 0x7f800000, v5, v4
	v_cndmask_b32_e32 v1, 0, v4, vcc_lo
	s_delay_alu instid0(VALU_DEP_1) | instskip(NEXT) | instid1(VALU_DEP_1)
	v_and_or_b32 v0, 0x80000000, v0, v1
	v_cvt_i32_f32_e32 v0, v0
.LBB86_475:
	s_mov_b32 s25, 0
.LBB86_476:
	s_delay_alu instid0(SALU_CYCLE_1)
	s_and_not1_b32 vcc_lo, exec_lo, s25
	s_cbranch_vccnz .LBB86_478
; %bb.477:
	s_wait_loadcnt 0x0
	global_load_u8 v0, v[2:3], off
	s_wait_loadcnt 0x0
	v_lshlrev_b32_e32 v1, 25, v0
	v_lshlrev_b16 v0, 8, v0
	s_delay_alu instid0(VALU_DEP_1) | instskip(SKIP_1) | instid1(VALU_DEP_2)
	v_and_or_b32 v5, 0x7f00, v0, 0.5
	v_bfe_i32 v0, v0, 0, 16
	v_add_f32_e32 v5, -0.5, v5
	v_lshrrev_b32_e32 v4, 4, v1
	v_cmp_gt_u32_e32 vcc_lo, 0x8000000, v1
	s_delay_alu instid0(VALU_DEP_2) | instskip(NEXT) | instid1(VALU_DEP_1)
	v_or_b32_e32 v4, 0x70000000, v4
	v_mul_f32_e32 v4, 0x7800000, v4
	s_delay_alu instid0(VALU_DEP_1) | instskip(NEXT) | instid1(VALU_DEP_1)
	v_cndmask_b32_e32 v1, v4, v5, vcc_lo
	v_and_or_b32 v0, 0x80000000, v0, v1
	s_delay_alu instid0(VALU_DEP_1)
	v_cvt_i32_f32_e32 v0, v0
.LBB86_478:
	s_mov_b32 s26, 0
	s_mov_b32 s25, -1
.LBB86_479:
	s_and_not1_b32 vcc_lo, exec_lo, s26
	s_cbranch_vccnz .LBB86_492
; %bb.480:
	s_cmp_gt_i32 s24, 14
	s_cbranch_scc0 .LBB86_483
; %bb.481:
	s_cmp_eq_u32 s24, 15
	s_cbranch_scc0 .LBB86_486
; %bb.482:
	s_wait_loadcnt 0x0
	global_load_u16 v0, v[2:3], off
	s_mov_b32 s25, -1
	s_mov_b32 s23, 0
	s_wait_loadcnt 0x0
	v_lshlrev_b32_e32 v0, 16, v0
	s_delay_alu instid0(VALU_DEP_1)
	v_cvt_i32_f32_e32 v0, v0
	s_branch .LBB86_487
.LBB86_483:
	s_mov_b32 s26, -1
                                        ; implicit-def: $vgpr0
	s_branch .LBB86_488
.LBB86_484:
	s_and_not1_saveexec_b32 s25, s25
	s_cbranch_execz .LBB86_465
.LBB86_485:
	v_cmp_ne_u16_e32 vcc_lo, 0, v1
	s_and_not1_b32 s26, s26, exec_lo
	s_and_b32 s28, vcc_lo, exec_lo
	s_delay_alu instid0(SALU_CYCLE_1)
	s_or_b32 s26, s26, s28
	s_or_b32 exec_lo, exec_lo, s25
	v_mov_b32_e32 v0, 0
	s_and_saveexec_b32 s25, s26
	s_cbranch_execnz .LBB86_466
	s_branch .LBB86_467
.LBB86_486:
	s_mov_b32 s23, -1
                                        ; implicit-def: $vgpr0
.LBB86_487:
	s_mov_b32 s26, 0
.LBB86_488:
	s_delay_alu instid0(SALU_CYCLE_1)
	s_and_b32 vcc_lo, exec_lo, s26
	s_cbranch_vccz .LBB86_492
; %bb.489:
	s_cmp_eq_u32 s24, 11
	s_cbranch_scc0 .LBB86_491
; %bb.490:
	s_wait_loadcnt 0x0
	global_load_u8 v0, v[2:3], off
	s_mov_b32 s23, 0
	s_mov_b32 s25, -1
	s_wait_loadcnt 0x0
	v_cmp_ne_u16_e32 vcc_lo, 0, v0
	v_cndmask_b32_e64 v0, 0, 1, vcc_lo
	s_branch .LBB86_492
.LBB86_491:
	s_mov_b32 s23, -1
                                        ; implicit-def: $vgpr0
.LBB86_492:
	s_mov_b32 s24, 0
.LBB86_493:
	s_delay_alu instid0(SALU_CYCLE_1)
	s_and_b32 vcc_lo, exec_lo, s24
	s_cbranch_vccz .LBB86_542
; %bb.494:
	s_and_b32 s0, 0xffff, s0
	s_delay_alu instid0(SALU_CYCLE_1)
	s_cmp_lt_i32 s0, 5
	s_cbranch_scc1 .LBB86_499
; %bb.495:
	s_cmp_lt_i32 s0, 8
	s_cbranch_scc1 .LBB86_500
; %bb.496:
	;; [unrolled: 3-line block ×3, first 2 shown]
	s_cmp_gt_i32 s0, 9
	s_cbranch_scc0 .LBB86_502
; %bb.498:
	s_wait_loadcnt 0x0
	global_load_b64 v[0:1], v[2:3], off
	s_mov_b32 s24, 0
	s_wait_loadcnt 0x0
	v_cvt_i32_f64_e32 v0, v[0:1]
	s_branch .LBB86_503
.LBB86_499:
	s_mov_b32 s24, -1
                                        ; implicit-def: $vgpr0
	s_branch .LBB86_521
.LBB86_500:
	s_mov_b32 s24, -1
                                        ; implicit-def: $vgpr0
	s_branch .LBB86_509
.LBB86_501:
	s_mov_b32 s24, -1
                                        ; implicit-def: $vgpr0
	s_branch .LBB86_506
.LBB86_502:
	s_mov_b32 s24, -1
                                        ; implicit-def: $vgpr0
.LBB86_503:
	s_delay_alu instid0(SALU_CYCLE_1)
	s_and_not1_b32 vcc_lo, exec_lo, s24
	s_cbranch_vccnz .LBB86_505
; %bb.504:
	s_wait_loadcnt 0x0
	global_load_b32 v0, v[2:3], off
	s_wait_loadcnt 0x0
	v_cvt_i32_f32_e32 v0, v0
.LBB86_505:
	s_mov_b32 s24, 0
.LBB86_506:
	s_delay_alu instid0(SALU_CYCLE_1)
	s_and_not1_b32 vcc_lo, exec_lo, s24
	s_cbranch_vccnz .LBB86_508
; %bb.507:
	s_wait_loadcnt 0x0
	global_load_b32 v0, v[2:3], off
	s_wait_loadcnt 0x0
	v_cvt_i16_f16_e32 v0, v0
.LBB86_508:
	s_mov_b32 s24, 0
.LBB86_509:
	s_delay_alu instid0(SALU_CYCLE_1)
	s_and_not1_b32 vcc_lo, exec_lo, s24
	s_cbranch_vccnz .LBB86_520
; %bb.510:
	s_cmp_lt_i32 s0, 6
	s_cbranch_scc1 .LBB86_513
; %bb.511:
	s_cmp_gt_i32 s0, 6
	s_cbranch_scc0 .LBB86_514
; %bb.512:
	s_wait_loadcnt 0x0
	global_load_b64 v[0:1], v[2:3], off
	s_mov_b32 s24, 0
	s_wait_loadcnt 0x0
	v_cvt_i32_f64_e32 v0, v[0:1]
	s_branch .LBB86_515
.LBB86_513:
	s_mov_b32 s24, -1
                                        ; implicit-def: $vgpr0
	s_branch .LBB86_518
.LBB86_514:
	s_mov_b32 s24, -1
                                        ; implicit-def: $vgpr0
.LBB86_515:
	s_delay_alu instid0(SALU_CYCLE_1)
	s_and_not1_b32 vcc_lo, exec_lo, s24
	s_cbranch_vccnz .LBB86_517
; %bb.516:
	s_wait_loadcnt 0x0
	global_load_b32 v0, v[2:3], off
	s_wait_loadcnt 0x0
	v_cvt_i32_f32_e32 v0, v0
.LBB86_517:
	s_mov_b32 s24, 0
.LBB86_518:
	s_delay_alu instid0(SALU_CYCLE_1)
	s_and_not1_b32 vcc_lo, exec_lo, s24
	s_cbranch_vccnz .LBB86_520
; %bb.519:
	s_wait_loadcnt 0x0
	global_load_u16 v0, v[2:3], off
	s_wait_loadcnt 0x0
	v_cvt_i16_f16_e32 v0, v0
.LBB86_520:
	s_mov_b32 s24, 0
.LBB86_521:
	s_delay_alu instid0(SALU_CYCLE_1)
	s_and_not1_b32 vcc_lo, exec_lo, s24
	s_cbranch_vccnz .LBB86_541
; %bb.522:
	s_cmp_lt_i32 s0, 2
	s_cbranch_scc1 .LBB86_526
; %bb.523:
	s_cmp_lt_i32 s0, 3
	s_cbranch_scc1 .LBB86_527
; %bb.524:
	s_cmp_gt_i32 s0, 3
	s_cbranch_scc0 .LBB86_528
; %bb.525:
	s_wait_loadcnt 0x0
	global_load_b64 v[0:1], v[2:3], off
	s_mov_b32 s24, 0
	s_branch .LBB86_529
.LBB86_526:
	s_mov_b32 s24, -1
                                        ; implicit-def: $vgpr0
	s_branch .LBB86_535
.LBB86_527:
	s_mov_b32 s24, -1
                                        ; implicit-def: $vgpr0
	s_branch .LBB86_532
.LBB86_528:
	s_mov_b32 s24, -1
                                        ; implicit-def: $vgpr0
.LBB86_529:
	s_delay_alu instid0(SALU_CYCLE_1)
	s_and_not1_b32 vcc_lo, exec_lo, s24
	s_cbranch_vccnz .LBB86_531
; %bb.530:
	s_wait_loadcnt 0x0
	global_load_b32 v0, v[2:3], off
.LBB86_531:
	s_mov_b32 s24, 0
.LBB86_532:
	s_delay_alu instid0(SALU_CYCLE_1)
	s_and_not1_b32 vcc_lo, exec_lo, s24
	s_cbranch_vccnz .LBB86_534
; %bb.533:
	s_wait_loadcnt 0x0
	global_load_u16 v0, v[2:3], off
.LBB86_534:
	s_mov_b32 s24, 0
.LBB86_535:
	s_delay_alu instid0(SALU_CYCLE_1)
	s_and_not1_b32 vcc_lo, exec_lo, s24
	s_cbranch_vccnz .LBB86_541
; %bb.536:
	s_cmp_gt_i32 s0, 0
	s_mov_b32 s0, 0
	s_cbranch_scc0 .LBB86_538
; %bb.537:
	s_wait_loadcnt 0x0
	global_load_i8 v0, v[2:3], off
	s_branch .LBB86_539
.LBB86_538:
	s_mov_b32 s0, -1
                                        ; implicit-def: $vgpr0
.LBB86_539:
	s_delay_alu instid0(SALU_CYCLE_1)
	s_and_not1_b32 vcc_lo, exec_lo, s0
	s_cbranch_vccnz .LBB86_541
; %bb.540:
	s_wait_loadcnt 0x0
	global_load_u8 v0, v[2:3], off
.LBB86_541:
	s_mov_b32 s25, -1
.LBB86_542:
	s_mov_b32 s26, 0
	s_mov_b32 s0, s17
	s_and_not1_b32 vcc_lo, exec_lo, s25
	s_mov_b32 s24, s19
	s_mov_b32 s28, 0
	s_cbranch_vccnz .LBB86_793
; %bb.543:
	s_wait_xcnt 0x0
	v_mul_lo_u32 v2, v18, s9
	s_and_b32 s0, 0xffff, s1
	s_delay_alu instid0(SALU_CYCLE_1) | instskip(NEXT) | instid1(VALU_DEP_1)
	s_cmp_lt_i32 s0, 11
	v_ashrrev_i32_e32 v3, 31, v2
	s_delay_alu instid0(VALU_DEP_1)
	v_add_nc_u64_e32 v[2:3], s[6:7], v[2:3]
	s_cbranch_scc1 .LBB86_550
; %bb.544:
	s_cmp_gt_i32 s0, 25
	s_cbranch_scc0 .LBB86_551
; %bb.545:
	s_cmp_gt_i32 s0, 28
	s_cbranch_scc0 .LBB86_552
	;; [unrolled: 3-line block ×4, first 2 shown]
; %bb.548:
	s_cmp_eq_u32 s0, 46
	s_cbranch_scc0 .LBB86_557
; %bb.549:
	s_wait_loadcnt 0x0
	global_load_b32 v1, v[2:3], off
	s_mov_b32 s25, -1
	s_mov_b32 s24, 0
	s_wait_loadcnt 0x0
	v_lshlrev_b32_e32 v1, 16, v1
	s_delay_alu instid0(VALU_DEP_1)
	v_cvt_i32_f32_e32 v4, v1
	s_branch .LBB86_559
.LBB86_550:
	s_mov_b32 s28, -1
	s_mov_b32 s25, 0
	s_mov_b32 s24, s19
                                        ; implicit-def: $vgpr4
	s_branch .LBB86_620
.LBB86_551:
	s_mov_b32 s28, -1
	s_mov_b32 s25, 0
	s_mov_b32 s24, s19
                                        ; implicit-def: $vgpr4
	s_branch .LBB86_586
.LBB86_552:
	s_mov_b32 s28, -1
	s_mov_b32 s25, 0
	s_mov_b32 s24, s19
                                        ; implicit-def: $vgpr4
	s_branch .LBB86_569
.LBB86_553:
	s_mov_b32 s28, -1
	s_mov_b32 s25, 0
	s_mov_b32 s24, s19
                                        ; implicit-def: $vgpr4
	s_branch .LBB86_564
.LBB86_554:
	s_mov_b32 s28, -1
	s_mov_b32 s25, 0
	s_mov_b32 s24, s19
	s_branch .LBB86_558
.LBB86_555:
	s_and_not1_saveexec_b32 s27, s27
	s_cbranch_execz .LBB86_317
.LBB86_556:
	v_add_f32_e64 v3, 0x42800000, |v2|
	s_and_not1_b32 s26, s26, exec_lo
	s_delay_alu instid0(VALU_DEP_1) | instskip(NEXT) | instid1(VALU_DEP_1)
	v_and_b32_e32 v3, 0xff, v3
	v_cmp_ne_u32_e32 vcc_lo, 0, v3
	s_and_b32 s28, vcc_lo, exec_lo
	s_delay_alu instid0(SALU_CYCLE_1)
	s_or_b32 s26, s26, s28
	s_or_b32 exec_lo, exec_lo, s27
	v_mov_b32_e32 v5, 0
	s_and_saveexec_b32 s27, s26
	s_cbranch_execnz .LBB86_318
	s_branch .LBB86_319
.LBB86_557:
	s_mov_b32 s24, -1
	s_mov_b32 s25, 0
.LBB86_558:
                                        ; implicit-def: $vgpr4
.LBB86_559:
	s_and_b32 vcc_lo, exec_lo, s28
	s_cbranch_vccz .LBB86_563
; %bb.560:
	s_cmp_eq_u32 s0, 44
	s_cbranch_scc0 .LBB86_562
; %bb.561:
	s_wait_loadcnt 0x0
	global_load_u8 v1, v[2:3], off
	s_mov_b32 s24, 0
	s_mov_b32 s25, -1
	s_wait_loadcnt 0x0
	v_lshlrev_b32_e32 v4, 23, v1
	v_cmp_ne_u32_e32 vcc_lo, 0, v1
	s_delay_alu instid0(VALU_DEP_2) | instskip(NEXT) | instid1(VALU_DEP_1)
	v_cvt_i32_f32_e32 v4, v4
	v_cndmask_b32_e32 v4, 0, v4, vcc_lo
	s_branch .LBB86_563
.LBB86_562:
	s_mov_b32 s24, -1
                                        ; implicit-def: $vgpr4
.LBB86_563:
	s_mov_b32 s28, 0
.LBB86_564:
	s_delay_alu instid0(SALU_CYCLE_1)
	s_and_b32 vcc_lo, exec_lo, s28
	s_cbranch_vccz .LBB86_568
; %bb.565:
	s_cmp_eq_u32 s0, 29
	s_cbranch_scc0 .LBB86_567
; %bb.566:
	global_load_b64 v[4:5], v[2:3], off
	s_mov_b32 s25, -1
	s_mov_b32 s24, 0
	s_branch .LBB86_568
.LBB86_567:
	s_mov_b32 s24, -1
                                        ; implicit-def: $vgpr4
.LBB86_568:
	s_mov_b32 s28, 0
.LBB86_569:
	s_delay_alu instid0(SALU_CYCLE_1)
	s_and_b32 vcc_lo, exec_lo, s28
	s_cbranch_vccz .LBB86_585
; %bb.570:
	s_cmp_lt_i32 s0, 27
	s_cbranch_scc1 .LBB86_573
; %bb.571:
	s_cmp_gt_i32 s0, 27
	s_cbranch_scc0 .LBB86_574
; %bb.572:
	s_wait_loadcnt 0x0
	global_load_b32 v4, v[2:3], off
	s_mov_b32 s25, 0
	s_branch .LBB86_575
.LBB86_573:
	s_mov_b32 s25, -1
                                        ; implicit-def: $vgpr4
	s_branch .LBB86_578
.LBB86_574:
	s_mov_b32 s25, -1
                                        ; implicit-def: $vgpr4
.LBB86_575:
	s_delay_alu instid0(SALU_CYCLE_1)
	s_and_not1_b32 vcc_lo, exec_lo, s25
	s_cbranch_vccnz .LBB86_577
; %bb.576:
	s_wait_loadcnt 0x0
	global_load_u16 v4, v[2:3], off
.LBB86_577:
	s_mov_b32 s25, 0
.LBB86_578:
	s_delay_alu instid0(SALU_CYCLE_1)
	s_and_not1_b32 vcc_lo, exec_lo, s25
	s_cbranch_vccnz .LBB86_584
; %bb.579:
	s_wait_loadcnt 0x0
	global_load_u8 v1, v[2:3], off
	s_mov_b32 s28, 0
	s_mov_b32 s25, exec_lo
	s_wait_loadcnt 0x0
	v_cmpx_lt_i16_e32 0x7f, v1
	s_xor_b32 s25, exec_lo, s25
	s_cbranch_execz .LBB86_596
; %bb.580:
	v_cmp_ne_u16_e32 vcc_lo, 0x80, v1
	s_and_b32 s28, vcc_lo, exec_lo
	s_and_not1_saveexec_b32 s25, s25
	s_cbranch_execnz .LBB86_597
.LBB86_581:
	s_or_b32 exec_lo, exec_lo, s25
	v_mov_b32_e32 v4, 0
	s_and_saveexec_b32 s25, s28
	s_cbranch_execz .LBB86_583
.LBB86_582:
	v_and_b32_e32 v4, 0xffff, v1
	s_delay_alu instid0(VALU_DEP_1) | instskip(SKIP_1) | instid1(VALU_DEP_2)
	v_and_b32_e32 v5, 7, v4
	v_bfe_u32 v8, v4, 3, 4
	v_clz_i32_u32_e32 v6, v5
	s_delay_alu instid0(VALU_DEP_2) | instskip(NEXT) | instid1(VALU_DEP_2)
	v_cmp_eq_u32_e32 vcc_lo, 0, v8
	v_min_u32_e32 v6, 32, v6
	s_delay_alu instid0(VALU_DEP_1) | instskip(NEXT) | instid1(VALU_DEP_1)
	v_subrev_nc_u32_e32 v7, 28, v6
	v_dual_lshlrev_b32 v4, v7, v4 :: v_dual_sub_nc_u32 v6, 29, v6
	s_delay_alu instid0(VALU_DEP_1) | instskip(NEXT) | instid1(VALU_DEP_1)
	v_dual_lshlrev_b32 v1, 24, v1 :: v_dual_bitop2_b32 v4, 7, v4 bitop3:0x40
	v_dual_cndmask_b32 v6, v8, v6, vcc_lo :: v_dual_cndmask_b32 v4, v5, v4, vcc_lo
	s_delay_alu instid0(VALU_DEP_2) | instskip(NEXT) | instid1(VALU_DEP_2)
	v_and_b32_e32 v1, 0x80000000, v1
	v_lshl_add_u32 v5, v6, 23, 0x3b800000
	s_delay_alu instid0(VALU_DEP_3) | instskip(NEXT) | instid1(VALU_DEP_1)
	v_lshlrev_b32_e32 v4, 20, v4
	v_or3_b32 v1, v1, v5, v4
	s_delay_alu instid0(VALU_DEP_1)
	v_cvt_i32_f32_e32 v4, v1
.LBB86_583:
	s_or_b32 exec_lo, exec_lo, s25
.LBB86_584:
	s_mov_b32 s25, -1
.LBB86_585:
	s_mov_b32 s28, 0
.LBB86_586:
	s_delay_alu instid0(SALU_CYCLE_1)
	s_and_b32 vcc_lo, exec_lo, s28
	s_cbranch_vccz .LBB86_619
; %bb.587:
	s_cmp_gt_i32 s0, 22
	s_cbranch_scc0 .LBB86_595
; %bb.588:
	s_cmp_lt_i32 s0, 24
	s_cbranch_scc1 .LBB86_598
; %bb.589:
	s_cmp_gt_i32 s0, 24
	s_cbranch_scc0 .LBB86_599
; %bb.590:
	s_wait_loadcnt 0x0
	global_load_u8 v1, v[2:3], off
	s_mov_b32 s28, 0
	s_mov_b32 s25, exec_lo
	s_wait_loadcnt 0x0
	v_cmpx_lt_i16_e32 0x7f, v1
	s_xor_b32 s25, exec_lo, s25
	s_cbranch_execz .LBB86_611
; %bb.591:
	v_cmp_ne_u16_e32 vcc_lo, 0x80, v1
	s_and_b32 s28, vcc_lo, exec_lo
	s_and_not1_saveexec_b32 s25, s25
	s_cbranch_execnz .LBB86_612
.LBB86_592:
	s_or_b32 exec_lo, exec_lo, s25
	v_mov_b32_e32 v4, 0
	s_and_saveexec_b32 s25, s28
	s_cbranch_execz .LBB86_594
.LBB86_593:
	v_and_b32_e32 v4, 0xffff, v1
	s_delay_alu instid0(VALU_DEP_1) | instskip(SKIP_1) | instid1(VALU_DEP_2)
	v_and_b32_e32 v5, 3, v4
	v_bfe_u32 v8, v4, 2, 5
	v_clz_i32_u32_e32 v6, v5
	s_delay_alu instid0(VALU_DEP_2) | instskip(NEXT) | instid1(VALU_DEP_2)
	v_cmp_eq_u32_e32 vcc_lo, 0, v8
	v_min_u32_e32 v6, 32, v6
	s_delay_alu instid0(VALU_DEP_1) | instskip(NEXT) | instid1(VALU_DEP_1)
	v_subrev_nc_u32_e32 v7, 29, v6
	v_dual_lshlrev_b32 v4, v7, v4 :: v_dual_sub_nc_u32 v6, 30, v6
	s_delay_alu instid0(VALU_DEP_1) | instskip(NEXT) | instid1(VALU_DEP_1)
	v_dual_lshlrev_b32 v1, 24, v1 :: v_dual_bitop2_b32 v4, 3, v4 bitop3:0x40
	v_dual_cndmask_b32 v6, v8, v6, vcc_lo :: v_dual_cndmask_b32 v4, v5, v4, vcc_lo
	s_delay_alu instid0(VALU_DEP_2) | instskip(NEXT) | instid1(VALU_DEP_2)
	v_and_b32_e32 v1, 0x80000000, v1
	v_lshl_add_u32 v5, v6, 23, 0x37800000
	s_delay_alu instid0(VALU_DEP_3) | instskip(NEXT) | instid1(VALU_DEP_1)
	v_lshlrev_b32_e32 v4, 21, v4
	v_or3_b32 v1, v1, v5, v4
	s_delay_alu instid0(VALU_DEP_1)
	v_cvt_i32_f32_e32 v4, v1
.LBB86_594:
	s_or_b32 exec_lo, exec_lo, s25
	s_mov_b32 s25, 0
	s_branch .LBB86_600
.LBB86_595:
	s_mov_b32 s28, -1
                                        ; implicit-def: $vgpr4
	s_branch .LBB86_606
.LBB86_596:
	s_and_not1_saveexec_b32 s25, s25
	s_cbranch_execz .LBB86_581
.LBB86_597:
	v_cmp_ne_u16_e32 vcc_lo, 0, v1
	s_and_not1_b32 s28, s28, exec_lo
	s_and_b32 s29, vcc_lo, exec_lo
	s_delay_alu instid0(SALU_CYCLE_1)
	s_or_b32 s28, s28, s29
	s_or_b32 exec_lo, exec_lo, s25
	v_mov_b32_e32 v4, 0
	s_and_saveexec_b32 s25, s28
	s_cbranch_execnz .LBB86_582
	s_branch .LBB86_583
.LBB86_598:
	s_mov_b32 s25, -1
                                        ; implicit-def: $vgpr4
	s_branch .LBB86_603
.LBB86_599:
	s_mov_b32 s25, -1
                                        ; implicit-def: $vgpr4
.LBB86_600:
	s_delay_alu instid0(SALU_CYCLE_1)
	s_and_b32 vcc_lo, exec_lo, s25
	s_cbranch_vccz .LBB86_602
; %bb.601:
	s_wait_loadcnt 0x0
	global_load_u8 v1, v[2:3], off
	s_wait_loadcnt 0x0
	v_lshlrev_b32_e32 v1, 24, v1
	s_delay_alu instid0(VALU_DEP_1) | instskip(NEXT) | instid1(VALU_DEP_1)
	v_and_b32_e32 v4, 0x7f000000, v1
	v_clz_i32_u32_e32 v5, v4
	v_cmp_ne_u32_e32 vcc_lo, 0, v4
	v_add_nc_u32_e32 v7, 0x1000000, v4
	s_delay_alu instid0(VALU_DEP_3) | instskip(NEXT) | instid1(VALU_DEP_1)
	v_min_u32_e32 v5, 32, v5
	v_sub_nc_u32_e64 v5, v5, 4 clamp
	s_delay_alu instid0(VALU_DEP_1) | instskip(NEXT) | instid1(VALU_DEP_1)
	v_dual_lshlrev_b32 v6, v5, v4 :: v_dual_lshlrev_b32 v5, 23, v5
	v_lshrrev_b32_e32 v6, 4, v6
	s_delay_alu instid0(VALU_DEP_1) | instskip(NEXT) | instid1(VALU_DEP_1)
	v_dual_sub_nc_u32 v5, v6, v5 :: v_dual_ashrrev_i32 v6, 8, v7
	v_add_nc_u32_e32 v5, 0x3c000000, v5
	s_delay_alu instid0(VALU_DEP_1) | instskip(NEXT) | instid1(VALU_DEP_1)
	v_and_or_b32 v5, 0x7f800000, v6, v5
	v_cndmask_b32_e32 v4, 0, v5, vcc_lo
	s_delay_alu instid0(VALU_DEP_1) | instskip(NEXT) | instid1(VALU_DEP_1)
	v_and_or_b32 v1, 0x80000000, v1, v4
	v_cvt_i32_f32_e32 v4, v1
.LBB86_602:
	s_mov_b32 s25, 0
.LBB86_603:
	s_delay_alu instid0(SALU_CYCLE_1)
	s_and_not1_b32 vcc_lo, exec_lo, s25
	s_cbranch_vccnz .LBB86_605
; %bb.604:
	s_wait_loadcnt 0x0
	global_load_u8 v1, v[2:3], off
	s_wait_loadcnt 0x0
	v_lshlrev_b32_e32 v4, 25, v1
	v_lshlrev_b16 v1, 8, v1
	s_delay_alu instid0(VALU_DEP_1) | instskip(SKIP_1) | instid1(VALU_DEP_2)
	v_and_or_b32 v6, 0x7f00, v1, 0.5
	v_bfe_i32 v1, v1, 0, 16
	v_dual_add_f32 v6, -0.5, v6 :: v_dual_lshrrev_b32 v5, 4, v4
	v_cmp_gt_u32_e32 vcc_lo, 0x8000000, v4
	s_delay_alu instid0(VALU_DEP_2) | instskip(NEXT) | instid1(VALU_DEP_1)
	v_or_b32_e32 v5, 0x70000000, v5
	v_mul_f32_e32 v5, 0x7800000, v5
	s_delay_alu instid0(VALU_DEP_1) | instskip(NEXT) | instid1(VALU_DEP_1)
	v_cndmask_b32_e32 v4, v5, v6, vcc_lo
	v_and_or_b32 v1, 0x80000000, v1, v4
	s_delay_alu instid0(VALU_DEP_1)
	v_cvt_i32_f32_e32 v4, v1
.LBB86_605:
	s_mov_b32 s28, 0
	s_mov_b32 s25, -1
.LBB86_606:
	s_and_not1_b32 vcc_lo, exec_lo, s28
	s_cbranch_vccnz .LBB86_619
; %bb.607:
	s_cmp_gt_i32 s0, 14
	s_cbranch_scc0 .LBB86_610
; %bb.608:
	s_cmp_eq_u32 s0, 15
	s_cbranch_scc0 .LBB86_613
; %bb.609:
	s_wait_loadcnt 0x0
	global_load_u16 v1, v[2:3], off
	s_mov_b32 s25, -1
	s_mov_b32 s24, 0
	s_wait_loadcnt 0x0
	v_lshlrev_b32_e32 v1, 16, v1
	s_delay_alu instid0(VALU_DEP_1)
	v_cvt_i32_f32_e32 v4, v1
	s_branch .LBB86_614
.LBB86_610:
	s_mov_b32 s28, -1
                                        ; implicit-def: $vgpr4
	s_branch .LBB86_615
.LBB86_611:
	s_and_not1_saveexec_b32 s25, s25
	s_cbranch_execz .LBB86_592
.LBB86_612:
	v_cmp_ne_u16_e32 vcc_lo, 0, v1
	s_and_not1_b32 s28, s28, exec_lo
	s_and_b32 s29, vcc_lo, exec_lo
	s_delay_alu instid0(SALU_CYCLE_1)
	s_or_b32 s28, s28, s29
	s_or_b32 exec_lo, exec_lo, s25
	v_mov_b32_e32 v4, 0
	s_and_saveexec_b32 s25, s28
	s_cbranch_execnz .LBB86_593
	s_branch .LBB86_594
.LBB86_613:
	s_mov_b32 s24, -1
                                        ; implicit-def: $vgpr4
.LBB86_614:
	s_mov_b32 s28, 0
.LBB86_615:
	s_delay_alu instid0(SALU_CYCLE_1)
	s_and_b32 vcc_lo, exec_lo, s28
	s_cbranch_vccz .LBB86_619
; %bb.616:
	s_cmp_eq_u32 s0, 11
	s_cbranch_scc0 .LBB86_618
; %bb.617:
	s_wait_loadcnt 0x0
	global_load_u8 v1, v[2:3], off
	s_mov_b32 s24, 0
	s_mov_b32 s25, -1
	s_wait_loadcnt 0x0
	v_cmp_ne_u16_e32 vcc_lo, 0, v1
	v_cndmask_b32_e64 v4, 0, 1, vcc_lo
	s_branch .LBB86_619
.LBB86_618:
	s_mov_b32 s24, -1
                                        ; implicit-def: $vgpr4
.LBB86_619:
	s_mov_b32 s28, 0
.LBB86_620:
	s_delay_alu instid0(SALU_CYCLE_1)
	s_and_b32 vcc_lo, exec_lo, s28
	s_cbranch_vccz .LBB86_669
; %bb.621:
	s_cmp_lt_i32 s0, 5
	s_cbranch_scc1 .LBB86_626
; %bb.622:
	s_cmp_lt_i32 s0, 8
	s_cbranch_scc1 .LBB86_627
	;; [unrolled: 3-line block ×3, first 2 shown]
; %bb.624:
	s_cmp_gt_i32 s0, 9
	s_cbranch_scc0 .LBB86_629
; %bb.625:
	s_wait_loadcnt 0x0
	global_load_b64 v[4:5], v[2:3], off
	s_mov_b32 s25, 0
	s_wait_loadcnt 0x0
	v_cvt_i32_f64_e32 v4, v[4:5]
	s_branch .LBB86_630
.LBB86_626:
	s_mov_b32 s25, -1
                                        ; implicit-def: $vgpr4
	s_branch .LBB86_648
.LBB86_627:
	s_mov_b32 s25, -1
                                        ; implicit-def: $vgpr4
	s_branch .LBB86_636
.LBB86_628:
	s_mov_b32 s25, -1
                                        ; implicit-def: $vgpr4
	s_branch .LBB86_633
.LBB86_629:
	s_mov_b32 s25, -1
                                        ; implicit-def: $vgpr4
.LBB86_630:
	s_delay_alu instid0(SALU_CYCLE_1)
	s_and_not1_b32 vcc_lo, exec_lo, s25
	s_cbranch_vccnz .LBB86_632
; %bb.631:
	s_wait_loadcnt 0x0
	global_load_b32 v1, v[2:3], off
	s_wait_loadcnt 0x0
	v_cvt_i32_f32_e32 v4, v1
.LBB86_632:
	s_mov_b32 s25, 0
.LBB86_633:
	s_delay_alu instid0(SALU_CYCLE_1)
	s_and_not1_b32 vcc_lo, exec_lo, s25
	s_cbranch_vccnz .LBB86_635
; %bb.634:
	s_wait_loadcnt 0x0
	global_load_b32 v1, v[2:3], off
	s_wait_loadcnt 0x0
	v_cvt_i16_f16_e32 v4, v1
.LBB86_635:
	s_mov_b32 s25, 0
.LBB86_636:
	s_delay_alu instid0(SALU_CYCLE_1)
	s_and_not1_b32 vcc_lo, exec_lo, s25
	s_cbranch_vccnz .LBB86_647
; %bb.637:
	s_cmp_lt_i32 s0, 6
	s_cbranch_scc1 .LBB86_640
; %bb.638:
	s_cmp_gt_i32 s0, 6
	s_cbranch_scc0 .LBB86_641
; %bb.639:
	s_wait_loadcnt 0x0
	global_load_b64 v[4:5], v[2:3], off
	s_mov_b32 s25, 0
	s_wait_loadcnt 0x0
	v_cvt_i32_f64_e32 v4, v[4:5]
	s_branch .LBB86_642
.LBB86_640:
	s_mov_b32 s25, -1
                                        ; implicit-def: $vgpr4
	s_branch .LBB86_645
.LBB86_641:
	s_mov_b32 s25, -1
                                        ; implicit-def: $vgpr4
.LBB86_642:
	s_delay_alu instid0(SALU_CYCLE_1)
	s_and_not1_b32 vcc_lo, exec_lo, s25
	s_cbranch_vccnz .LBB86_644
; %bb.643:
	s_wait_loadcnt 0x0
	global_load_b32 v1, v[2:3], off
	s_wait_loadcnt 0x0
	v_cvt_i32_f32_e32 v4, v1
.LBB86_644:
	s_mov_b32 s25, 0
.LBB86_645:
	s_delay_alu instid0(SALU_CYCLE_1)
	s_and_not1_b32 vcc_lo, exec_lo, s25
	s_cbranch_vccnz .LBB86_647
; %bb.646:
	s_wait_loadcnt 0x0
	global_load_u16 v1, v[2:3], off
	s_wait_loadcnt 0x0
	v_cvt_i16_f16_e32 v4, v1
.LBB86_647:
	s_mov_b32 s25, 0
.LBB86_648:
	s_delay_alu instid0(SALU_CYCLE_1)
	s_and_not1_b32 vcc_lo, exec_lo, s25
	s_cbranch_vccnz .LBB86_668
; %bb.649:
	s_cmp_lt_i32 s0, 2
	s_cbranch_scc1 .LBB86_653
; %bb.650:
	s_cmp_lt_i32 s0, 3
	s_cbranch_scc1 .LBB86_654
; %bb.651:
	s_cmp_gt_i32 s0, 3
	s_cbranch_scc0 .LBB86_655
; %bb.652:
	s_wait_loadcnt 0x0
	global_load_b64 v[4:5], v[2:3], off
	s_mov_b32 s25, 0
	s_branch .LBB86_656
.LBB86_653:
	s_mov_b32 s25, -1
                                        ; implicit-def: $vgpr4
	s_branch .LBB86_662
.LBB86_654:
	s_mov_b32 s25, -1
                                        ; implicit-def: $vgpr4
	s_branch .LBB86_659
.LBB86_655:
	s_mov_b32 s25, -1
                                        ; implicit-def: $vgpr4
.LBB86_656:
	s_delay_alu instid0(SALU_CYCLE_1)
	s_and_not1_b32 vcc_lo, exec_lo, s25
	s_cbranch_vccnz .LBB86_658
; %bb.657:
	s_wait_loadcnt 0x0
	global_load_b32 v4, v[2:3], off
.LBB86_658:
	s_mov_b32 s25, 0
.LBB86_659:
	s_delay_alu instid0(SALU_CYCLE_1)
	s_and_not1_b32 vcc_lo, exec_lo, s25
	s_cbranch_vccnz .LBB86_661
; %bb.660:
	s_wait_loadcnt 0x0
	global_load_u16 v4, v[2:3], off
.LBB86_661:
	s_mov_b32 s25, 0
.LBB86_662:
	s_delay_alu instid0(SALU_CYCLE_1)
	s_and_not1_b32 vcc_lo, exec_lo, s25
	s_cbranch_vccnz .LBB86_668
; %bb.663:
	s_cmp_gt_i32 s0, 0
	s_mov_b32 s0, 0
	s_cbranch_scc0 .LBB86_665
; %bb.664:
	s_wait_loadcnt 0x0
	global_load_i8 v4, v[2:3], off
	s_branch .LBB86_666
.LBB86_665:
	s_mov_b32 s0, -1
                                        ; implicit-def: $vgpr4
.LBB86_666:
	s_delay_alu instid0(SALU_CYCLE_1)
	s_and_not1_b32 vcc_lo, exec_lo, s0
	s_cbranch_vccnz .LBB86_668
; %bb.667:
	s_wait_loadcnt 0x0
	global_load_u8 v4, v[2:3], off
.LBB86_668:
	s_mov_b32 s25, -1
.LBB86_669:
	s_delay_alu instid0(SALU_CYCLE_1)
	s_and_not1_b32 vcc_lo, exec_lo, s25
	s_cbranch_vccnz .LBB86_677
; %bb.670:
	s_wait_xcnt 0x0
	v_mul_lo_u32 v2, v18, s11
	s_wait_loadcnt 0x0
	v_mul_lo_u16 v5, v0, s10
	s_and_b32 s25, s12, 0xff
	s_delay_alu instid0(SALU_CYCLE_1) | instskip(NEXT) | instid1(VALU_DEP_1)
	s_cmp_lt_i32 s25, 11
	v_mul_lo_u16 v4, v5, v4
	s_delay_alu instid0(VALU_DEP_3) | instskip(NEXT) | instid1(VALU_DEP_1)
	v_ashrrev_i32_e32 v3, 31, v2
	v_add_nc_u64_e32 v[0:1], s[2:3], v[2:3]
	s_cbranch_scc1 .LBB86_678
; %bb.671:
	s_and_b32 s28, 0xffff, s25
	s_delay_alu instid0(SALU_CYCLE_1)
	s_cmp_gt_i32 s28, 25
	s_cbranch_scc0 .LBB86_679
; %bb.672:
	s_cmp_gt_i32 s28, 28
	s_cbranch_scc0 .LBB86_680
; %bb.673:
	;; [unrolled: 3-line block ×4, first 2 shown]
	s_mov_b32 s30, 0
	s_mov_b32 s0, -1
	s_cmp_eq_u32 s28, 46
	s_mov_b32 s29, 0
	s_cbranch_scc0 .LBB86_683
; %bb.676:
	v_bfe_i32 v2, v4, 0, 16
	s_mov_b32 s29, -1
	s_mov_b32 s0, 0
	s_delay_alu instid0(VALU_DEP_1) | instskip(NEXT) | instid1(VALU_DEP_1)
	v_cvt_f32_i32_e32 v2, v2
	v_bfe_u32 v3, v2, 16, 1
	s_delay_alu instid0(VALU_DEP_1) | instskip(NEXT) | instid1(VALU_DEP_1)
	v_add3_u32 v2, v2, v3, 0x7fff
	v_lshrrev_b32_e32 v2, 16, v2
	global_store_b32 v[0:1], v2, off
	s_branch .LBB86_683
.LBB86_677:
	s_mov_b32 s28, 0
	s_mov_b32 s0, s17
	s_branch .LBB86_422
.LBB86_678:
	s_mov_b32 s28, -1
	s_mov_b32 s29, 0
	s_mov_b32 s0, s17
	s_branch .LBB86_752
.LBB86_679:
	s_mov_b32 s30, -1
	s_mov_b32 s29, 0
	s_mov_b32 s0, s17
	s_branch .LBB86_710
.LBB86_680:
	s_mov_b32 s30, -1
	s_mov_b32 s29, 0
	s_mov_b32 s0, s17
	s_branch .LBB86_693
.LBB86_681:
	s_mov_b32 s30, -1
	s_mov_b32 s29, 0
	s_mov_b32 s0, s17
	s_branch .LBB86_689
.LBB86_682:
	s_mov_b32 s30, -1
	s_mov_b32 s29, 0
	s_mov_b32 s0, s17
.LBB86_683:
	s_and_b32 vcc_lo, exec_lo, s30
	s_cbranch_vccz .LBB86_688
; %bb.684:
	s_cmp_eq_u32 s28, 44
	s_mov_b32 s0, -1
	s_cbranch_scc0 .LBB86_688
; %bb.685:
	s_wait_xcnt 0x0
	v_bfe_i32 v2, v4, 0, 16
	v_mov_b32_e32 v3, 0xff
	s_mov_b32 s29, exec_lo
	s_delay_alu instid0(VALU_DEP_2) | instskip(NEXT) | instid1(VALU_DEP_1)
	v_cvt_f32_i32_e32 v2, v2
	v_bfe_u32 v5, v2, 23, 8
	s_delay_alu instid0(VALU_DEP_1)
	v_cmpx_ne_u32_e32 0xff, v5
	s_cbranch_execz .LBB86_687
; %bb.686:
	v_and_b32_e32 v3, 0x400000, v2
	v_and_or_b32 v5, 0x3fffff, v2, v5
	v_lshrrev_b32_e32 v2, 23, v2
	s_delay_alu instid0(VALU_DEP_3) | instskip(NEXT) | instid1(VALU_DEP_3)
	v_cmp_ne_u32_e32 vcc_lo, 0, v3
	v_cmp_ne_u32_e64 s0, 0, v5
	s_and_b32 s0, vcc_lo, s0
	s_delay_alu instid0(SALU_CYCLE_1) | instskip(NEXT) | instid1(VALU_DEP_1)
	v_cndmask_b32_e64 v3, 0, 1, s0
	v_add_nc_u32_e32 v3, v2, v3
.LBB86_687:
	s_or_b32 exec_lo, exec_lo, s29
	s_mov_b32 s29, -1
	s_mov_b32 s0, 0
	global_store_b8 v[0:1], v3, off
.LBB86_688:
	s_mov_b32 s30, 0
.LBB86_689:
	s_delay_alu instid0(SALU_CYCLE_1)
	s_and_b32 vcc_lo, exec_lo, s30
	s_cbranch_vccz .LBB86_692
; %bb.690:
	s_cmp_eq_u32 s28, 29
	s_mov_b32 s0, -1
	s_cbranch_scc0 .LBB86_692
; %bb.691:
	s_wait_xcnt 0x0
	v_bfe_i32 v2, v4, 0, 16
	s_mov_b32 s0, 0
	s_mov_b32 s29, -1
	s_mov_b32 s30, 0
	s_delay_alu instid0(VALU_DEP_1)
	v_ashrrev_i32_e32 v3, 31, v2
	global_store_b64 v[0:1], v[2:3], off
	s_branch .LBB86_693
.LBB86_692:
	s_mov_b32 s30, 0
.LBB86_693:
	s_delay_alu instid0(SALU_CYCLE_1)
	s_and_b32 vcc_lo, exec_lo, s30
	s_cbranch_vccz .LBB86_709
; %bb.694:
	s_cmp_lt_i32 s28, 27
	s_mov_b32 s29, -1
	s_cbranch_scc1 .LBB86_700
; %bb.695:
	s_cmp_gt_i32 s28, 27
	s_cbranch_scc0 .LBB86_697
; %bb.696:
	s_wait_xcnt 0x0
	v_bfe_i32 v2, v4, 0, 16
	s_mov_b32 s29, 0
	global_store_b32 v[0:1], v2, off
.LBB86_697:
	s_and_not1_b32 vcc_lo, exec_lo, s29
	s_cbranch_vccnz .LBB86_699
; %bb.698:
	global_store_b16 v[0:1], v4, off
.LBB86_699:
	s_mov_b32 s29, 0
.LBB86_700:
	s_delay_alu instid0(SALU_CYCLE_1)
	s_and_not1_b32 vcc_lo, exec_lo, s29
	s_cbranch_vccnz .LBB86_708
; %bb.701:
	s_wait_xcnt 0x0
	v_bfe_i32 v2, v4, 0, 16
	v_mov_b32_e32 v5, 0x80
	s_mov_b32 s29, exec_lo
	s_delay_alu instid0(VALU_DEP_2) | instskip(NEXT) | instid1(VALU_DEP_1)
	v_cvt_f32_i32_e32 v2, v2
	v_and_b32_e32 v3, 0x7fffffff, v2
	s_delay_alu instid0(VALU_DEP_1)
	v_cmpx_gt_u32_e32 0x43800000, v3
	s_cbranch_execz .LBB86_707
; %bb.702:
	v_cmp_lt_u32_e32 vcc_lo, 0x3bffffff, v3
	s_mov_b32 s30, 0
                                        ; implicit-def: $vgpr3
	s_and_saveexec_b32 s31, vcc_lo
	s_delay_alu instid0(SALU_CYCLE_1)
	s_xor_b32 s31, exec_lo, s31
	s_cbranch_execz .LBB86_830
; %bb.703:
	v_bfe_u32 v3, v2, 20, 1
	s_mov_b32 s30, exec_lo
	s_delay_alu instid0(VALU_DEP_1) | instskip(NEXT) | instid1(VALU_DEP_1)
	v_add3_u32 v3, v2, v3, 0x487ffff
	v_lshrrev_b32_e32 v3, 20, v3
	s_and_not1_saveexec_b32 s31, s31
	s_cbranch_execnz .LBB86_831
.LBB86_704:
	s_or_b32 exec_lo, exec_lo, s31
	v_mov_b32_e32 v5, 0
	s_and_saveexec_b32 s31, s30
.LBB86_705:
	v_lshrrev_b32_e32 v2, 24, v2
	s_delay_alu instid0(VALU_DEP_1)
	v_and_or_b32 v5, 0x80, v2, v3
.LBB86_706:
	s_or_b32 exec_lo, exec_lo, s31
.LBB86_707:
	s_delay_alu instid0(SALU_CYCLE_1)
	s_or_b32 exec_lo, exec_lo, s29
	global_store_b8 v[0:1], v5, off
.LBB86_708:
	s_mov_b32 s29, -1
.LBB86_709:
	s_mov_b32 s30, 0
.LBB86_710:
	s_delay_alu instid0(SALU_CYCLE_1)
	s_and_b32 vcc_lo, exec_lo, s30
	s_cbranch_vccz .LBB86_751
; %bb.711:
	s_cmp_gt_i32 s28, 22
	s_mov_b32 s30, -1
	s_cbranch_scc0 .LBB86_743
; %bb.712:
	s_cmp_lt_i32 s28, 24
	s_mov_b32 s29, -1
	s_cbranch_scc1 .LBB86_732
; %bb.713:
	s_cmp_gt_i32 s28, 24
	s_cbranch_scc0 .LBB86_721
; %bb.714:
	s_wait_xcnt 0x0
	v_bfe_i32 v2, v4, 0, 16
	v_mov_b32_e32 v5, 0x80
	s_mov_b32 s29, exec_lo
	s_delay_alu instid0(VALU_DEP_2) | instskip(NEXT) | instid1(VALU_DEP_1)
	v_cvt_f32_i32_e32 v2, v2
	v_and_b32_e32 v3, 0x7fffffff, v2
	s_delay_alu instid0(VALU_DEP_1)
	v_cmpx_gt_u32_e32 0x47800000, v3
	s_cbranch_execz .LBB86_720
; %bb.715:
	v_cmp_lt_u32_e32 vcc_lo, 0x37ffffff, v3
	s_mov_b32 s30, 0
                                        ; implicit-def: $vgpr3
	s_and_saveexec_b32 s31, vcc_lo
	s_delay_alu instid0(SALU_CYCLE_1)
	s_xor_b32 s31, exec_lo, s31
	s_cbranch_execz .LBB86_957
; %bb.716:
	v_bfe_u32 v3, v2, 21, 1
	s_mov_b32 s30, exec_lo
	s_delay_alu instid0(VALU_DEP_1) | instskip(NEXT) | instid1(VALU_DEP_1)
	v_add3_u32 v3, v2, v3, 0x88fffff
	v_lshrrev_b32_e32 v3, 21, v3
	s_and_not1_saveexec_b32 s31, s31
	s_cbranch_execnz .LBB86_958
.LBB86_717:
	s_or_b32 exec_lo, exec_lo, s31
	v_mov_b32_e32 v5, 0
	s_and_saveexec_b32 s31, s30
.LBB86_718:
	v_lshrrev_b32_e32 v2, 24, v2
	s_delay_alu instid0(VALU_DEP_1)
	v_and_or_b32 v5, 0x80, v2, v3
.LBB86_719:
	s_or_b32 exec_lo, exec_lo, s31
.LBB86_720:
	s_delay_alu instid0(SALU_CYCLE_1)
	s_or_b32 exec_lo, exec_lo, s29
	s_mov_b32 s29, 0
	global_store_b8 v[0:1], v5, off
.LBB86_721:
	s_and_b32 vcc_lo, exec_lo, s29
	s_cbranch_vccz .LBB86_731
; %bb.722:
	s_wait_xcnt 0x0
	v_bfe_i32 v2, v4, 0, 16
	s_mov_b32 s29, exec_lo
                                        ; implicit-def: $vgpr3
	s_delay_alu instid0(VALU_DEP_1) | instskip(NEXT) | instid1(VALU_DEP_1)
	v_cvt_f32_i32_e32 v2, v2
	v_and_b32_e32 v5, 0x7fffffff, v2
	s_delay_alu instid0(VALU_DEP_1)
	v_cmpx_gt_u32_e32 0x43f00000, v5
	s_xor_b32 s29, exec_lo, s29
	s_cbranch_execz .LBB86_728
; %bb.723:
	s_mov_b32 s30, exec_lo
                                        ; implicit-def: $vgpr3
	v_cmpx_lt_u32_e32 0x3c7fffff, v5
	s_xor_b32 s30, exec_lo, s30
; %bb.724:
	v_bfe_u32 v3, v2, 20, 1
	s_delay_alu instid0(VALU_DEP_1) | instskip(NEXT) | instid1(VALU_DEP_1)
	v_add3_u32 v3, v2, v3, 0x407ffff
	v_and_b32_e32 v5, 0xff00000, v3
	v_lshrrev_b32_e32 v3, 20, v3
	s_delay_alu instid0(VALU_DEP_2) | instskip(NEXT) | instid1(VALU_DEP_2)
	v_cmp_ne_u32_e32 vcc_lo, 0x7f00000, v5
	v_cndmask_b32_e32 v3, 0x7e, v3, vcc_lo
; %bb.725:
	s_and_not1_saveexec_b32 s30, s30
; %bb.726:
	v_add_f32_e64 v3, 0x46800000, |v2|
; %bb.727:
	s_or_b32 exec_lo, exec_lo, s30
                                        ; implicit-def: $vgpr5
.LBB86_728:
	s_and_not1_saveexec_b32 s29, s29
; %bb.729:
	v_mov_b32_e32 v3, 0x7f
	v_cmp_lt_u32_e32 vcc_lo, 0x7f800000, v5
	s_delay_alu instid0(VALU_DEP_2)
	v_cndmask_b32_e32 v3, 0x7e, v3, vcc_lo
; %bb.730:
	s_or_b32 exec_lo, exec_lo, s29
	v_lshrrev_b32_e32 v2, 24, v2
	s_delay_alu instid0(VALU_DEP_1)
	v_and_or_b32 v2, 0x80, v2, v3
	global_store_b8 v[0:1], v2, off
.LBB86_731:
	s_mov_b32 s29, 0
.LBB86_732:
	s_delay_alu instid0(SALU_CYCLE_1)
	s_and_not1_b32 vcc_lo, exec_lo, s29
	s_cbranch_vccnz .LBB86_742
; %bb.733:
	s_wait_xcnt 0x0
	v_bfe_i32 v2, v4, 0, 16
	s_mov_b32 s29, exec_lo
                                        ; implicit-def: $vgpr3
	s_delay_alu instid0(VALU_DEP_1) | instskip(NEXT) | instid1(VALU_DEP_1)
	v_cvt_f32_i32_e32 v2, v2
	v_and_b32_e32 v5, 0x7fffffff, v2
	s_delay_alu instid0(VALU_DEP_1)
	v_cmpx_gt_u32_e32 0x47800000, v5
	s_xor_b32 s29, exec_lo, s29
	s_cbranch_execz .LBB86_739
; %bb.734:
	s_mov_b32 s30, exec_lo
                                        ; implicit-def: $vgpr3
	v_cmpx_lt_u32_e32 0x387fffff, v5
	s_xor_b32 s30, exec_lo, s30
; %bb.735:
	v_bfe_u32 v3, v2, 21, 1
	s_delay_alu instid0(VALU_DEP_1) | instskip(NEXT) | instid1(VALU_DEP_1)
	v_add3_u32 v3, v2, v3, 0x80fffff
	v_lshrrev_b32_e32 v3, 21, v3
; %bb.736:
	s_and_not1_saveexec_b32 s30, s30
; %bb.737:
	v_add_f32_e64 v3, 0x43000000, |v2|
; %bb.738:
	s_or_b32 exec_lo, exec_lo, s30
                                        ; implicit-def: $vgpr5
.LBB86_739:
	s_and_not1_saveexec_b32 s29, s29
; %bb.740:
	v_mov_b32_e32 v3, 0x7f
	v_cmp_lt_u32_e32 vcc_lo, 0x7f800000, v5
	s_delay_alu instid0(VALU_DEP_2)
	v_cndmask_b32_e32 v3, 0x7c, v3, vcc_lo
; %bb.741:
	s_or_b32 exec_lo, exec_lo, s29
	v_lshrrev_b32_e32 v2, 24, v2
	s_delay_alu instid0(VALU_DEP_1)
	v_and_or_b32 v2, 0x80, v2, v3
	global_store_b8 v[0:1], v2, off
.LBB86_742:
	s_mov_b32 s30, 0
	s_mov_b32 s29, -1
.LBB86_743:
	s_and_not1_b32 vcc_lo, exec_lo, s30
	s_cbranch_vccnz .LBB86_751
; %bb.744:
	s_cmp_gt_i32 s28, 14
	s_mov_b32 s30, -1
	s_cbranch_scc0 .LBB86_748
; %bb.745:
	s_cmp_eq_u32 s28, 15
	s_mov_b32 s0, -1
	s_cbranch_scc0 .LBB86_747
; %bb.746:
	s_wait_xcnt 0x0
	v_bfe_i32 v2, v4, 0, 16
	s_mov_b32 s29, -1
	s_mov_b32 s0, 0
	s_delay_alu instid0(VALU_DEP_1) | instskip(NEXT) | instid1(VALU_DEP_1)
	v_cvt_f32_i32_e32 v2, v2
	v_bfe_u32 v3, v2, 16, 1
	s_delay_alu instid0(VALU_DEP_1)
	v_add3_u32 v2, v2, v3, 0x7fff
	global_store_d16_hi_b16 v[0:1], v2, off
.LBB86_747:
	s_mov_b32 s30, 0
.LBB86_748:
	s_delay_alu instid0(SALU_CYCLE_1)
	s_and_b32 vcc_lo, exec_lo, s30
	s_cbranch_vccz .LBB86_751
; %bb.749:
	s_cmp_eq_u32 s28, 11
	s_mov_b32 s0, -1
	s_cbranch_scc0 .LBB86_751
; %bb.750:
	v_cmp_ne_u16_e32 vcc_lo, 0, v4
	s_mov_b32 s0, 0
	s_mov_b32 s29, -1
	s_wait_xcnt 0x0
	v_cndmask_b32_e64 v2, 0, 1, vcc_lo
	global_store_b8 v[0:1], v2, off
.LBB86_751:
	s_mov_b32 s28, 0
.LBB86_752:
	s_delay_alu instid0(SALU_CYCLE_1)
	s_and_b32 vcc_lo, exec_lo, s28
	s_cbranch_vccz .LBB86_791
; %bb.753:
	s_and_b32 s25, 0xffff, s25
	s_mov_b32 s28, -1
	s_cmp_lt_i32 s25, 5
	s_cbranch_scc1 .LBB86_774
; %bb.754:
	s_cmp_lt_i32 s25, 8
	s_cbranch_scc1 .LBB86_764
; %bb.755:
	s_cmp_lt_i32 s25, 9
	s_cbranch_scc1 .LBB86_761
; %bb.756:
	s_cmp_gt_i32 s25, 9
	s_cbranch_scc0 .LBB86_758
; %bb.757:
	s_wait_xcnt 0x0
	v_bfe_i32 v2, v4, 0, 16
	v_mov_b32_e32 v8, 0
	s_mov_b32 s28, 0
	s_delay_alu instid0(VALU_DEP_2) | instskip(NEXT) | instid1(VALU_DEP_2)
	v_cvt_f64_i32_e32 v[6:7], v2
	v_mov_b32_e32 v9, v8
	global_store_b128 v[0:1], v[6:9], off
.LBB86_758:
	s_and_not1_b32 vcc_lo, exec_lo, s28
	s_cbranch_vccnz .LBB86_760
; %bb.759:
	s_wait_xcnt 0x0
	v_bfe_i32 v2, v4, 0, 16
	v_mov_b32_e32 v3, 0
	s_delay_alu instid0(VALU_DEP_2)
	v_cvt_f32_i32_e32 v2, v2
	global_store_b64 v[0:1], v[2:3], off
.LBB86_760:
	s_mov_b32 s28, 0
.LBB86_761:
	s_delay_alu instid0(SALU_CYCLE_1)
	s_and_not1_b32 vcc_lo, exec_lo, s28
	s_cbranch_vccnz .LBB86_763
; %bb.762:
	s_wait_xcnt 0x0
	v_cvt_f16_i16_e32 v2, v4
	s_delay_alu instid0(VALU_DEP_1)
	v_and_b32_e32 v2, 0xffff, v2
	global_store_b32 v[0:1], v2, off
.LBB86_763:
	s_mov_b32 s28, 0
.LBB86_764:
	s_delay_alu instid0(SALU_CYCLE_1)
	s_and_not1_b32 vcc_lo, exec_lo, s28
	s_cbranch_vccnz .LBB86_773
; %bb.765:
	s_cmp_lt_i32 s25, 6
	s_mov_b32 s28, -1
	s_cbranch_scc1 .LBB86_771
; %bb.766:
	s_cmp_gt_i32 s25, 6
	s_cbranch_scc0 .LBB86_768
; %bb.767:
	s_wait_xcnt 0x0
	v_bfe_i32 v2, v4, 0, 16
	s_mov_b32 s28, 0
	s_delay_alu instid0(VALU_DEP_1)
	v_cvt_f64_i32_e32 v[2:3], v2
	global_store_b64 v[0:1], v[2:3], off
.LBB86_768:
	s_and_not1_b32 vcc_lo, exec_lo, s28
	s_cbranch_vccnz .LBB86_770
; %bb.769:
	s_wait_xcnt 0x0
	v_bfe_i32 v2, v4, 0, 16
	s_delay_alu instid0(VALU_DEP_1)
	v_cvt_f32_i32_e32 v2, v2
	global_store_b32 v[0:1], v2, off
.LBB86_770:
	s_mov_b32 s28, 0
.LBB86_771:
	s_delay_alu instid0(SALU_CYCLE_1)
	s_and_not1_b32 vcc_lo, exec_lo, s28
	s_cbranch_vccnz .LBB86_773
; %bb.772:
	s_wait_xcnt 0x0
	v_cvt_f16_i16_e32 v2, v4
	global_store_b16 v[0:1], v2, off
.LBB86_773:
	s_mov_b32 s28, 0
.LBB86_774:
	s_delay_alu instid0(SALU_CYCLE_1)
	s_and_not1_b32 vcc_lo, exec_lo, s28
	s_cbranch_vccnz .LBB86_790
; %bb.775:
	s_cmp_lt_i32 s25, 2
	s_mov_b32 s28, -1
	s_cbranch_scc1 .LBB86_785
; %bb.776:
	s_cmp_lt_i32 s25, 3
	s_cbranch_scc1 .LBB86_782
; %bb.777:
	s_wait_xcnt 0x0
	v_bfe_i32 v2, v4, 0, 16
	s_cmp_gt_i32 s25, 3
	s_cbranch_scc0 .LBB86_779
; %bb.778:
	s_delay_alu instid0(VALU_DEP_1)
	v_ashrrev_i32_e32 v3, 31, v2
	s_mov_b32 s28, 0
	global_store_b64 v[0:1], v[2:3], off
.LBB86_779:
	s_and_not1_b32 vcc_lo, exec_lo, s28
	s_cbranch_vccnz .LBB86_781
; %bb.780:
	global_store_b32 v[0:1], v2, off
.LBB86_781:
	s_mov_b32 s28, 0
.LBB86_782:
	s_delay_alu instid0(SALU_CYCLE_1)
	s_and_not1_b32 vcc_lo, exec_lo, s28
	s_cbranch_vccnz .LBB86_784
; %bb.783:
	global_store_b16 v[0:1], v4, off
.LBB86_784:
	s_mov_b32 s28, 0
.LBB86_785:
	s_delay_alu instid0(SALU_CYCLE_1)
	s_and_not1_b32 vcc_lo, exec_lo, s28
	s_cbranch_vccnz .LBB86_790
; %bb.786:
	s_cmp_gt_i32 s25, 0
	s_mov_b32 s25, -1
	s_cbranch_scc0 .LBB86_788
; %bb.787:
	s_mov_b32 s25, 0
	global_store_b8 v[0:1], v4, off
.LBB86_788:
	s_and_not1_b32 vcc_lo, exec_lo, s25
	s_cbranch_vccnz .LBB86_790
; %bb.789:
	global_store_b8 v[0:1], v4, off
.LBB86_790:
	s_mov_b32 s29, -1
.LBB86_791:
	s_delay_alu instid0(SALU_CYCLE_1)
	s_and_not1_b32 vcc_lo, exec_lo, s29
	s_cbranch_vccnz .LBB86_802
; %bb.792:
	v_add_nc_u32_e32 v18, 0x80, v18
	s_mov_b32 s28, -1
.LBB86_793:
	s_and_not1_b32 s25, s17, exec_lo
	s_and_b32 s0, s0, exec_lo
	s_and_not1_b32 s29, s19, exec_lo
	s_and_b32 s30, s24, exec_lo
	s_or_b32 s24, s25, s0
	s_or_b32 s25, s29, s30
	s_and_not1_b32 s0, s20, exec_lo
	s_and_b32 s23, s23, exec_lo
	s_and_not1_b32 s29, s21, exec_lo
	s_and_b32 s30, s26, exec_lo
	s_or_b32 s26, s0, s23
	s_or_b32 s23, s29, s30
	s_or_not1_b32 s28, s28, exec_lo
.LBB86_794:
	s_wait_xcnt 0x0
	s_or_b32 exec_lo, exec_lo, s27
	s_mov_b32 s0, 0
	s_and_saveexec_b32 s27, s28
	s_cbranch_execz .LBB86_1220
; %bb.795:
	s_mov_b32 s30, -1
	s_mov_b32 s0, s23
	s_mov_b32 s29, s26
	s_mov_b32 s31, s25
	s_mov_b32 s33, s24
	s_mov_b32 s28, exec_lo
	v_cmpx_gt_i32_e64 s18, v18
	s_cbranch_execz .LBB86_1196
; %bb.796:
	s_and_b32 s29, s15, 0xff
	s_delay_alu instid0(SALU_CYCLE_1)
	s_cmp_lt_i32 s29, 23
	s_cbranch_scc1 .LBB86_800
; %bb.797:
	s_and_b32 s31, 0xffff, s29
	s_delay_alu instid0(SALU_CYCLE_1)
	s_cmp_gt_i32 s31, 43
	s_cbranch_scc0 .LBB86_801
; %bb.798:
	s_cmp_gt_i32 s31, 45
	s_cbranch_scc0 .LBB86_803
; %bb.799:
	s_cmp_eq_u32 s31, 46
	s_mov_b32 s33, 0
	s_cselect_b32 s0, -1, 0
	s_or_b32 s30, s23, exec_lo
	s_branch .LBB86_804
.LBB86_800:
	s_mov_b32 s31, -1
	s_mov_b32 s0, 0
	s_mov_b32 s30, s23
	s_branch .LBB86_810
.LBB86_801:
	s_mov_b32 s33, -1
	s_mov_b32 s0, 0
	s_mov_b32 s30, s23
	s_branch .LBB86_807
.LBB86_802:
	s_mov_b32 s28, 0
	s_branch .LBB86_422
.LBB86_803:
	s_mov_b32 s33, -1
	s_mov_b32 s0, 0
	s_mov_b32 s30, s23
.LBB86_804:
	s_and_not1_b32 vcc_lo, exec_lo, s33
	s_cbranch_vccnz .LBB86_806
; %bb.805:
	s_cmp_eq_u32 s31, 44
	s_cselect_b32 s0, -1, 0
	s_cmp_lg_u32 s31, 44
	s_cselect_b32 s33, -1, 0
	s_and_not1_b32 s30, s30, exec_lo
	s_and_b32 s33, s33, exec_lo
	s_delay_alu instid0(SALU_CYCLE_1)
	s_or_b32 s30, s30, s33
.LBB86_806:
	s_mov_b32 s33, 0
.LBB86_807:
	s_delay_alu instid0(SALU_CYCLE_1)
	s_and_b32 vcc_lo, exec_lo, s33
	s_cbranch_vccz .LBB86_809
; %bb.808:
	s_cmp_lt_i32 s31, 30
	s_cselect_b32 s0, -1, 0
	s_cmp_gt_i32 s31, 29
	s_cselect_b32 s31, -1, 0
	s_and_not1_b32 s30, s30, exec_lo
	s_and_b32 s31, s31, exec_lo
	s_delay_alu instid0(SALU_CYCLE_1)
	s_or_b32 s30, s30, s31
.LBB86_809:
	s_mov_b32 s31, 0
.LBB86_810:
	s_delay_alu instid0(SALU_CYCLE_1)
	s_and_b32 vcc_lo, exec_lo, s31
	s_cbranch_vccz .LBB86_815
; %bb.811:
	s_and_b32 s29, 0xffff, s29
	s_mov_b32 s31, -1
	s_cmp_gt_i32 s29, 14
	s_cbranch_scc0 .LBB86_813
; %bb.812:
	s_cmp_eq_u32 s29, 15
	s_cselect_b32 s0, -1, 0
	s_cmp_lg_u32 s29, 15
	s_cselect_b32 s31, -1, 0
	s_and_not1_b32 s30, s30, exec_lo
	s_and_b32 s33, s31, exec_lo
	s_mov_b32 s31, 0
	s_or_b32 s30, s30, s33
.LBB86_813:
	s_and_not1_b32 vcc_lo, exec_lo, s31
	s_cbranch_vccnz .LBB86_815
; %bb.814:
	s_cmp_lt_i32 s29, 12
	s_cselect_b32 s0, -1, 0
	s_cmp_gt_i32 s29, 11
	s_cselect_b32 s29, -1, 0
	s_and_not1_b32 s30, s30, exec_lo
	s_and_b32 s29, s29, exec_lo
	s_delay_alu instid0(SALU_CYCLE_1)
	s_or_b32 s30, s30, s29
.LBB86_815:
	s_and_b32 vcc_lo, exec_lo, s0
	s_cbranch_vccz .LBB86_823
; %bb.816:
	s_wait_loadcnt 0x0
	v_mul_lo_u32 v0, v18, s8
	s_and_b32 s0, s13, 0xff
	s_delay_alu instid0(SALU_CYCLE_1) | instskip(NEXT) | instid1(VALU_DEP_1)
	s_cmp_lt_i32 s0, 11
	v_ashrrev_i32_e32 v1, 31, v0
	s_delay_alu instid0(VALU_DEP_1)
	v_add_nc_u64_e32 v[2:3], s[4:5], v[0:1]
	s_cbranch_scc1 .LBB86_825
; %bb.817:
	s_and_b32 s30, 0xffff, s0
	s_delay_alu instid0(SALU_CYCLE_1)
	s_cmp_gt_i32 s30, 25
	s_cbranch_scc0 .LBB86_826
; %bb.818:
	s_cmp_gt_i32 s30, 28
	s_cbranch_scc0 .LBB86_827
; %bb.819:
	;; [unrolled: 3-line block ×4, first 2 shown]
	s_cmp_eq_u32 s30, 46
	s_mov_b32 s33, 0
	s_cbranch_scc0 .LBB86_832
; %bb.822:
	global_load_b32 v0, v[2:3], off
	s_mov_b32 s31, -1
	s_mov_b32 s29, 0
	s_wait_loadcnt 0x0
	v_lshlrev_b32_e32 v0, 16, v0
	s_delay_alu instid0(VALU_DEP_1)
	v_cvt_i32_f32_e32 v0, v0
	s_branch .LBB86_834
.LBB86_823:
	s_mov_b32 s34, 0
	s_mov_b32 s0, s24
	;; [unrolled: 1-line block ×4, first 2 shown]
.LBB86_824:
                                        ; implicit-def: $vgpr18
	s_branch .LBB86_1195
.LBB86_825:
	s_mov_b32 s30, -1
	s_mov_b32 s31, 0
	s_mov_b32 s29, s26
                                        ; implicit-def: $vgpr0
	s_branch .LBB86_895
.LBB86_826:
	s_mov_b32 s33, -1
	s_mov_b32 s31, 0
	s_mov_b32 s29, s26
                                        ; implicit-def: $vgpr0
	s_branch .LBB86_861
.LBB86_827:
	s_mov_b32 s33, -1
	s_mov_b32 s31, 0
	s_mov_b32 s29, s26
                                        ; implicit-def: $vgpr0
	s_branch .LBB86_844
.LBB86_828:
	s_mov_b32 s33, -1
	s_mov_b32 s31, 0
	s_mov_b32 s29, s26
                                        ; implicit-def: $vgpr0
	s_branch .LBB86_839
.LBB86_829:
	s_mov_b32 s33, -1
	s_mov_b32 s31, 0
	s_mov_b32 s29, s26
	s_branch .LBB86_833
.LBB86_830:
	s_and_not1_saveexec_b32 s31, s31
	s_cbranch_execz .LBB86_704
.LBB86_831:
	v_add_f32_e64 v3, 0x46000000, |v2|
	s_and_not1_b32 s30, s30, exec_lo
	s_delay_alu instid0(VALU_DEP_1) | instskip(NEXT) | instid1(VALU_DEP_1)
	v_and_b32_e32 v3, 0xff, v3
	v_cmp_ne_u32_e32 vcc_lo, 0, v3
	s_and_b32 s33, vcc_lo, exec_lo
	s_delay_alu instid0(SALU_CYCLE_1)
	s_or_b32 s30, s30, s33
	s_or_b32 exec_lo, exec_lo, s31
	v_mov_b32_e32 v5, 0
	s_and_saveexec_b32 s31, s30
	s_cbranch_execnz .LBB86_705
	s_branch .LBB86_706
.LBB86_832:
	s_mov_b32 s29, -1
	s_mov_b32 s31, 0
.LBB86_833:
                                        ; implicit-def: $vgpr0
.LBB86_834:
	s_and_b32 vcc_lo, exec_lo, s33
	s_cbranch_vccz .LBB86_838
; %bb.835:
	s_cmp_eq_u32 s30, 44
	s_cbranch_scc0 .LBB86_837
; %bb.836:
	global_load_u8 v0, v[2:3], off
	s_mov_b32 s29, 0
	s_mov_b32 s31, -1
	s_wait_loadcnt 0x0
	v_lshlrev_b32_e32 v1, 23, v0
	v_cmp_ne_u32_e32 vcc_lo, 0, v0
	s_delay_alu instid0(VALU_DEP_2) | instskip(NEXT) | instid1(VALU_DEP_1)
	v_cvt_i32_f32_e32 v1, v1
	v_cndmask_b32_e32 v0, 0, v1, vcc_lo
	s_branch .LBB86_838
.LBB86_837:
	s_mov_b32 s29, -1
                                        ; implicit-def: $vgpr0
.LBB86_838:
	s_mov_b32 s33, 0
.LBB86_839:
	s_delay_alu instid0(SALU_CYCLE_1)
	s_and_b32 vcc_lo, exec_lo, s33
	s_cbranch_vccz .LBB86_843
; %bb.840:
	s_cmp_eq_u32 s30, 29
	s_cbranch_scc0 .LBB86_842
; %bb.841:
	global_load_b64 v[0:1], v[2:3], off
	s_mov_b32 s31, -1
	s_mov_b32 s29, 0
	s_branch .LBB86_843
.LBB86_842:
	s_mov_b32 s29, -1
                                        ; implicit-def: $vgpr0
.LBB86_843:
	s_mov_b32 s33, 0
.LBB86_844:
	s_delay_alu instid0(SALU_CYCLE_1)
	s_and_b32 vcc_lo, exec_lo, s33
	s_cbranch_vccz .LBB86_860
; %bb.845:
	s_cmp_lt_i32 s30, 27
	s_cbranch_scc1 .LBB86_848
; %bb.846:
	s_cmp_gt_i32 s30, 27
	s_cbranch_scc0 .LBB86_849
; %bb.847:
	s_wait_loadcnt 0x0
	global_load_b32 v0, v[2:3], off
	s_mov_b32 s31, 0
	s_branch .LBB86_850
.LBB86_848:
	s_mov_b32 s31, -1
                                        ; implicit-def: $vgpr0
	s_branch .LBB86_853
.LBB86_849:
	s_mov_b32 s31, -1
                                        ; implicit-def: $vgpr0
.LBB86_850:
	s_delay_alu instid0(SALU_CYCLE_1)
	s_and_not1_b32 vcc_lo, exec_lo, s31
	s_cbranch_vccnz .LBB86_852
; %bb.851:
	s_wait_loadcnt 0x0
	global_load_u16 v0, v[2:3], off
.LBB86_852:
	s_mov_b32 s31, 0
.LBB86_853:
	s_delay_alu instid0(SALU_CYCLE_1)
	s_and_not1_b32 vcc_lo, exec_lo, s31
	s_cbranch_vccnz .LBB86_859
; %bb.854:
	s_wait_loadcnt 0x0
	global_load_u8 v1, v[2:3], off
	s_mov_b32 s33, 0
	s_mov_b32 s31, exec_lo
	s_wait_loadcnt 0x0
	v_cmpx_lt_i16_e32 0x7f, v1
	s_xor_b32 s31, exec_lo, s31
	s_cbranch_execz .LBB86_871
; %bb.855:
	v_cmp_ne_u16_e32 vcc_lo, 0x80, v1
	s_and_b32 s33, vcc_lo, exec_lo
	s_and_not1_saveexec_b32 s31, s31
	s_cbranch_execnz .LBB86_872
.LBB86_856:
	s_or_b32 exec_lo, exec_lo, s31
	v_mov_b32_e32 v0, 0
	s_and_saveexec_b32 s31, s33
	s_cbranch_execz .LBB86_858
.LBB86_857:
	v_and_b32_e32 v0, 0xffff, v1
	s_delay_alu instid0(VALU_DEP_1) | instskip(SKIP_1) | instid1(VALU_DEP_2)
	v_and_b32_e32 v4, 7, v0
	v_bfe_u32 v7, v0, 3, 4
	v_clz_i32_u32_e32 v5, v4
	s_delay_alu instid0(VALU_DEP_2) | instskip(NEXT) | instid1(VALU_DEP_2)
	v_cmp_eq_u32_e32 vcc_lo, 0, v7
	v_min_u32_e32 v5, 32, v5
	s_delay_alu instid0(VALU_DEP_1) | instskip(NEXT) | instid1(VALU_DEP_1)
	v_subrev_nc_u32_e32 v6, 28, v5
	v_dual_lshlrev_b32 v0, v6, v0 :: v_dual_sub_nc_u32 v5, 29, v5
	s_delay_alu instid0(VALU_DEP_1) | instskip(NEXT) | instid1(VALU_DEP_1)
	v_dual_lshlrev_b32 v1, 24, v1 :: v_dual_bitop2_b32 v0, 7, v0 bitop3:0x40
	v_dual_cndmask_b32 v0, v4, v0 :: v_dual_cndmask_b32 v5, v7, v5
	s_delay_alu instid0(VALU_DEP_2) | instskip(NEXT) | instid1(VALU_DEP_2)
	v_and_b32_e32 v1, 0x80000000, v1
	v_lshlrev_b32_e32 v0, 20, v0
	s_delay_alu instid0(VALU_DEP_3) | instskip(NEXT) | instid1(VALU_DEP_1)
	v_lshl_add_u32 v4, v5, 23, 0x3b800000
	v_or3_b32 v0, v1, v4, v0
	s_delay_alu instid0(VALU_DEP_1)
	v_cvt_i32_f32_e32 v0, v0
.LBB86_858:
	s_or_b32 exec_lo, exec_lo, s31
.LBB86_859:
	s_mov_b32 s31, -1
.LBB86_860:
	s_mov_b32 s33, 0
.LBB86_861:
	s_delay_alu instid0(SALU_CYCLE_1)
	s_and_b32 vcc_lo, exec_lo, s33
	s_cbranch_vccz .LBB86_894
; %bb.862:
	s_cmp_gt_i32 s30, 22
	s_cbranch_scc0 .LBB86_870
; %bb.863:
	s_cmp_lt_i32 s30, 24
	s_cbranch_scc1 .LBB86_873
; %bb.864:
	s_cmp_gt_i32 s30, 24
	s_cbranch_scc0 .LBB86_874
; %bb.865:
	s_wait_loadcnt 0x0
	global_load_u8 v1, v[2:3], off
	s_mov_b32 s33, 0
	s_mov_b32 s31, exec_lo
	s_wait_loadcnt 0x0
	v_cmpx_lt_i16_e32 0x7f, v1
	s_xor_b32 s31, exec_lo, s31
	s_cbranch_execz .LBB86_886
; %bb.866:
	v_cmp_ne_u16_e32 vcc_lo, 0x80, v1
	s_and_b32 s33, vcc_lo, exec_lo
	s_and_not1_saveexec_b32 s31, s31
	s_cbranch_execnz .LBB86_887
.LBB86_867:
	s_or_b32 exec_lo, exec_lo, s31
	v_mov_b32_e32 v0, 0
	s_and_saveexec_b32 s31, s33
	s_cbranch_execz .LBB86_869
.LBB86_868:
	v_and_b32_e32 v0, 0xffff, v1
	s_delay_alu instid0(VALU_DEP_1) | instskip(SKIP_1) | instid1(VALU_DEP_2)
	v_and_b32_e32 v4, 3, v0
	v_bfe_u32 v7, v0, 2, 5
	v_clz_i32_u32_e32 v5, v4
	s_delay_alu instid0(VALU_DEP_2) | instskip(NEXT) | instid1(VALU_DEP_2)
	v_cmp_eq_u32_e32 vcc_lo, 0, v7
	v_min_u32_e32 v5, 32, v5
	s_delay_alu instid0(VALU_DEP_1) | instskip(NEXT) | instid1(VALU_DEP_1)
	v_subrev_nc_u32_e32 v6, 29, v5
	v_dual_lshlrev_b32 v0, v6, v0 :: v_dual_sub_nc_u32 v5, 30, v5
	s_delay_alu instid0(VALU_DEP_1) | instskip(NEXT) | instid1(VALU_DEP_1)
	v_dual_lshlrev_b32 v1, 24, v1 :: v_dual_bitop2_b32 v0, 3, v0 bitop3:0x40
	v_dual_cndmask_b32 v0, v4, v0 :: v_dual_cndmask_b32 v5, v7, v5
	s_delay_alu instid0(VALU_DEP_2) | instskip(NEXT) | instid1(VALU_DEP_2)
	v_and_b32_e32 v1, 0x80000000, v1
	v_lshlrev_b32_e32 v0, 21, v0
	s_delay_alu instid0(VALU_DEP_3) | instskip(NEXT) | instid1(VALU_DEP_1)
	v_lshl_add_u32 v4, v5, 23, 0x37800000
	v_or3_b32 v0, v1, v4, v0
	s_delay_alu instid0(VALU_DEP_1)
	v_cvt_i32_f32_e32 v0, v0
.LBB86_869:
	s_or_b32 exec_lo, exec_lo, s31
	s_mov_b32 s31, 0
	s_branch .LBB86_875
.LBB86_870:
	s_mov_b32 s33, -1
                                        ; implicit-def: $vgpr0
	s_branch .LBB86_881
.LBB86_871:
	s_and_not1_saveexec_b32 s31, s31
	s_cbranch_execz .LBB86_856
.LBB86_872:
	v_cmp_ne_u16_e32 vcc_lo, 0, v1
	s_and_not1_b32 s33, s33, exec_lo
	s_and_b32 s34, vcc_lo, exec_lo
	s_delay_alu instid0(SALU_CYCLE_1)
	s_or_b32 s33, s33, s34
	s_or_b32 exec_lo, exec_lo, s31
	v_mov_b32_e32 v0, 0
	s_and_saveexec_b32 s31, s33
	s_cbranch_execnz .LBB86_857
	s_branch .LBB86_858
.LBB86_873:
	s_mov_b32 s31, -1
                                        ; implicit-def: $vgpr0
	s_branch .LBB86_878
.LBB86_874:
	s_mov_b32 s31, -1
                                        ; implicit-def: $vgpr0
.LBB86_875:
	s_delay_alu instid0(SALU_CYCLE_1)
	s_and_b32 vcc_lo, exec_lo, s31
	s_cbranch_vccz .LBB86_877
; %bb.876:
	s_wait_loadcnt 0x0
	global_load_u8 v0, v[2:3], off
	s_wait_loadcnt 0x0
	v_lshlrev_b32_e32 v0, 24, v0
	s_delay_alu instid0(VALU_DEP_1) | instskip(NEXT) | instid1(VALU_DEP_1)
	v_and_b32_e32 v1, 0x7f000000, v0
	v_clz_i32_u32_e32 v4, v1
	v_cmp_ne_u32_e32 vcc_lo, 0, v1
	v_add_nc_u32_e32 v6, 0x1000000, v1
	s_delay_alu instid0(VALU_DEP_3) | instskip(NEXT) | instid1(VALU_DEP_1)
	v_min_u32_e32 v4, 32, v4
	v_sub_nc_u32_e64 v4, v4, 4 clamp
	s_delay_alu instid0(VALU_DEP_1) | instskip(NEXT) | instid1(VALU_DEP_1)
	v_dual_lshlrev_b32 v5, v4, v1 :: v_dual_lshlrev_b32 v4, 23, v4
	v_lshrrev_b32_e32 v5, 4, v5
	s_delay_alu instid0(VALU_DEP_1) | instskip(NEXT) | instid1(VALU_DEP_1)
	v_dual_sub_nc_u32 v4, v5, v4 :: v_dual_ashrrev_i32 v5, 8, v6
	v_add_nc_u32_e32 v4, 0x3c000000, v4
	s_delay_alu instid0(VALU_DEP_1) | instskip(NEXT) | instid1(VALU_DEP_1)
	v_and_or_b32 v4, 0x7f800000, v5, v4
	v_cndmask_b32_e32 v1, 0, v4, vcc_lo
	s_delay_alu instid0(VALU_DEP_1) | instskip(NEXT) | instid1(VALU_DEP_1)
	v_and_or_b32 v0, 0x80000000, v0, v1
	v_cvt_i32_f32_e32 v0, v0
.LBB86_877:
	s_mov_b32 s31, 0
.LBB86_878:
	s_delay_alu instid0(SALU_CYCLE_1)
	s_and_not1_b32 vcc_lo, exec_lo, s31
	s_cbranch_vccnz .LBB86_880
; %bb.879:
	s_wait_loadcnt 0x0
	global_load_u8 v0, v[2:3], off
	s_wait_loadcnt 0x0
	v_lshlrev_b32_e32 v1, 25, v0
	v_lshlrev_b16 v0, 8, v0
	s_delay_alu instid0(VALU_DEP_1) | instskip(SKIP_1) | instid1(VALU_DEP_2)
	v_and_or_b32 v5, 0x7f00, v0, 0.5
	v_bfe_i32 v0, v0, 0, 16
	v_add_f32_e32 v5, -0.5, v5
	v_lshrrev_b32_e32 v4, 4, v1
	v_cmp_gt_u32_e32 vcc_lo, 0x8000000, v1
	s_delay_alu instid0(VALU_DEP_2) | instskip(NEXT) | instid1(VALU_DEP_1)
	v_or_b32_e32 v4, 0x70000000, v4
	v_mul_f32_e32 v4, 0x7800000, v4
	s_delay_alu instid0(VALU_DEP_1) | instskip(NEXT) | instid1(VALU_DEP_1)
	v_cndmask_b32_e32 v1, v4, v5, vcc_lo
	v_and_or_b32 v0, 0x80000000, v0, v1
	s_delay_alu instid0(VALU_DEP_1)
	v_cvt_i32_f32_e32 v0, v0
.LBB86_880:
	s_mov_b32 s33, 0
	s_mov_b32 s31, -1
.LBB86_881:
	s_and_not1_b32 vcc_lo, exec_lo, s33
	s_cbranch_vccnz .LBB86_894
; %bb.882:
	s_cmp_gt_i32 s30, 14
	s_cbranch_scc0 .LBB86_885
; %bb.883:
	s_cmp_eq_u32 s30, 15
	s_cbranch_scc0 .LBB86_888
; %bb.884:
	s_wait_loadcnt 0x0
	global_load_u16 v0, v[2:3], off
	s_mov_b32 s31, -1
	s_mov_b32 s29, 0
	s_wait_loadcnt 0x0
	v_lshlrev_b32_e32 v0, 16, v0
	s_delay_alu instid0(VALU_DEP_1)
	v_cvt_i32_f32_e32 v0, v0
	s_branch .LBB86_889
.LBB86_885:
	s_mov_b32 s33, -1
                                        ; implicit-def: $vgpr0
	s_branch .LBB86_890
.LBB86_886:
	s_and_not1_saveexec_b32 s31, s31
	s_cbranch_execz .LBB86_867
.LBB86_887:
	v_cmp_ne_u16_e32 vcc_lo, 0, v1
	s_and_not1_b32 s33, s33, exec_lo
	s_and_b32 s34, vcc_lo, exec_lo
	s_delay_alu instid0(SALU_CYCLE_1)
	s_or_b32 s33, s33, s34
	s_or_b32 exec_lo, exec_lo, s31
	v_mov_b32_e32 v0, 0
	s_and_saveexec_b32 s31, s33
	s_cbranch_execnz .LBB86_868
	s_branch .LBB86_869
.LBB86_888:
	s_mov_b32 s29, -1
                                        ; implicit-def: $vgpr0
.LBB86_889:
	s_mov_b32 s33, 0
.LBB86_890:
	s_delay_alu instid0(SALU_CYCLE_1)
	s_and_b32 vcc_lo, exec_lo, s33
	s_cbranch_vccz .LBB86_894
; %bb.891:
	s_cmp_eq_u32 s30, 11
	s_cbranch_scc0 .LBB86_893
; %bb.892:
	s_wait_loadcnt 0x0
	global_load_u8 v0, v[2:3], off
	s_mov_b32 s29, 0
	s_mov_b32 s31, -1
	s_wait_loadcnt 0x0
	v_cmp_ne_u16_e32 vcc_lo, 0, v0
	v_cndmask_b32_e64 v0, 0, 1, vcc_lo
	s_branch .LBB86_894
.LBB86_893:
	s_mov_b32 s29, -1
                                        ; implicit-def: $vgpr0
.LBB86_894:
	s_mov_b32 s30, 0
.LBB86_895:
	s_delay_alu instid0(SALU_CYCLE_1)
	s_and_b32 vcc_lo, exec_lo, s30
	s_cbranch_vccz .LBB86_944
; %bb.896:
	s_and_b32 s0, 0xffff, s0
	s_delay_alu instid0(SALU_CYCLE_1)
	s_cmp_lt_i32 s0, 5
	s_cbranch_scc1 .LBB86_901
; %bb.897:
	s_cmp_lt_i32 s0, 8
	s_cbranch_scc1 .LBB86_902
; %bb.898:
	;; [unrolled: 3-line block ×3, first 2 shown]
	s_cmp_gt_i32 s0, 9
	s_cbranch_scc0 .LBB86_904
; %bb.900:
	s_wait_loadcnt 0x0
	global_load_b64 v[0:1], v[2:3], off
	s_mov_b32 s30, 0
	s_wait_loadcnt 0x0
	v_cvt_i32_f64_e32 v0, v[0:1]
	s_branch .LBB86_905
.LBB86_901:
	s_mov_b32 s30, -1
                                        ; implicit-def: $vgpr0
	s_branch .LBB86_923
.LBB86_902:
	s_mov_b32 s30, -1
                                        ; implicit-def: $vgpr0
	s_branch .LBB86_911
.LBB86_903:
	s_mov_b32 s30, -1
                                        ; implicit-def: $vgpr0
	s_branch .LBB86_908
.LBB86_904:
	s_mov_b32 s30, -1
                                        ; implicit-def: $vgpr0
.LBB86_905:
	s_delay_alu instid0(SALU_CYCLE_1)
	s_and_not1_b32 vcc_lo, exec_lo, s30
	s_cbranch_vccnz .LBB86_907
; %bb.906:
	s_wait_loadcnt 0x0
	global_load_b32 v0, v[2:3], off
	s_wait_loadcnt 0x0
	v_cvt_i32_f32_e32 v0, v0
.LBB86_907:
	s_mov_b32 s30, 0
.LBB86_908:
	s_delay_alu instid0(SALU_CYCLE_1)
	s_and_not1_b32 vcc_lo, exec_lo, s30
	s_cbranch_vccnz .LBB86_910
; %bb.909:
	s_wait_loadcnt 0x0
	global_load_b32 v0, v[2:3], off
	s_wait_loadcnt 0x0
	v_cvt_i16_f16_e32 v0, v0
.LBB86_910:
	s_mov_b32 s30, 0
.LBB86_911:
	s_delay_alu instid0(SALU_CYCLE_1)
	s_and_not1_b32 vcc_lo, exec_lo, s30
	s_cbranch_vccnz .LBB86_922
; %bb.912:
	s_cmp_lt_i32 s0, 6
	s_cbranch_scc1 .LBB86_915
; %bb.913:
	s_cmp_gt_i32 s0, 6
	s_cbranch_scc0 .LBB86_916
; %bb.914:
	s_wait_loadcnt 0x0
	global_load_b64 v[0:1], v[2:3], off
	s_mov_b32 s30, 0
	s_wait_loadcnt 0x0
	v_cvt_i32_f64_e32 v0, v[0:1]
	s_branch .LBB86_917
.LBB86_915:
	s_mov_b32 s30, -1
                                        ; implicit-def: $vgpr0
	s_branch .LBB86_920
.LBB86_916:
	s_mov_b32 s30, -1
                                        ; implicit-def: $vgpr0
.LBB86_917:
	s_delay_alu instid0(SALU_CYCLE_1)
	s_and_not1_b32 vcc_lo, exec_lo, s30
	s_cbranch_vccnz .LBB86_919
; %bb.918:
	s_wait_loadcnt 0x0
	global_load_b32 v0, v[2:3], off
	s_wait_loadcnt 0x0
	v_cvt_i32_f32_e32 v0, v0
.LBB86_919:
	s_mov_b32 s30, 0
.LBB86_920:
	s_delay_alu instid0(SALU_CYCLE_1)
	s_and_not1_b32 vcc_lo, exec_lo, s30
	s_cbranch_vccnz .LBB86_922
; %bb.921:
	s_wait_loadcnt 0x0
	global_load_u16 v0, v[2:3], off
	s_wait_loadcnt 0x0
	v_cvt_i16_f16_e32 v0, v0
.LBB86_922:
	s_mov_b32 s30, 0
.LBB86_923:
	s_delay_alu instid0(SALU_CYCLE_1)
	s_and_not1_b32 vcc_lo, exec_lo, s30
	s_cbranch_vccnz .LBB86_943
; %bb.924:
	s_cmp_lt_i32 s0, 2
	s_cbranch_scc1 .LBB86_928
; %bb.925:
	s_cmp_lt_i32 s0, 3
	s_cbranch_scc1 .LBB86_929
; %bb.926:
	s_cmp_gt_i32 s0, 3
	s_cbranch_scc0 .LBB86_930
; %bb.927:
	s_wait_loadcnt 0x0
	global_load_b64 v[0:1], v[2:3], off
	s_mov_b32 s30, 0
	s_branch .LBB86_931
.LBB86_928:
	s_mov_b32 s30, -1
                                        ; implicit-def: $vgpr0
	s_branch .LBB86_937
.LBB86_929:
	s_mov_b32 s30, -1
                                        ; implicit-def: $vgpr0
	s_branch .LBB86_934
.LBB86_930:
	s_mov_b32 s30, -1
                                        ; implicit-def: $vgpr0
.LBB86_931:
	s_delay_alu instid0(SALU_CYCLE_1)
	s_and_not1_b32 vcc_lo, exec_lo, s30
	s_cbranch_vccnz .LBB86_933
; %bb.932:
	s_wait_loadcnt 0x0
	global_load_b32 v0, v[2:3], off
.LBB86_933:
	s_mov_b32 s30, 0
.LBB86_934:
	s_delay_alu instid0(SALU_CYCLE_1)
	s_and_not1_b32 vcc_lo, exec_lo, s30
	s_cbranch_vccnz .LBB86_936
; %bb.935:
	s_wait_loadcnt 0x0
	global_load_u16 v0, v[2:3], off
.LBB86_936:
	s_mov_b32 s30, 0
.LBB86_937:
	s_delay_alu instid0(SALU_CYCLE_1)
	s_and_not1_b32 vcc_lo, exec_lo, s30
	s_cbranch_vccnz .LBB86_943
; %bb.938:
	s_cmp_gt_i32 s0, 0
	s_mov_b32 s0, 0
	s_cbranch_scc0 .LBB86_940
; %bb.939:
	s_wait_loadcnt 0x0
	global_load_i8 v0, v[2:3], off
	s_branch .LBB86_941
.LBB86_940:
	s_mov_b32 s0, -1
                                        ; implicit-def: $vgpr0
.LBB86_941:
	s_delay_alu instid0(SALU_CYCLE_1)
	s_and_not1_b32 vcc_lo, exec_lo, s0
	s_cbranch_vccnz .LBB86_943
; %bb.942:
	s_wait_loadcnt 0x0
	global_load_u8 v0, v[2:3], off
.LBB86_943:
	s_mov_b32 s31, -1
.LBB86_944:
	s_mov_b32 s30, 0
	s_mov_b32 s0, s24
	s_and_not1_b32 vcc_lo, exec_lo, s31
	s_mov_b32 s31, s25
	s_mov_b32 s34, 0
	s_cbranch_vccnz .LBB86_1195
; %bb.945:
	s_wait_xcnt 0x0
	v_mul_lo_u32 v2, v18, s9
	s_and_b32 s0, 0xffff, s1
	s_delay_alu instid0(SALU_CYCLE_1) | instskip(NEXT) | instid1(VALU_DEP_1)
	s_cmp_lt_i32 s0, 11
	v_ashrrev_i32_e32 v3, 31, v2
	s_delay_alu instid0(VALU_DEP_1)
	v_add_nc_u64_e32 v[2:3], s[6:7], v[2:3]
	s_cbranch_scc1 .LBB86_952
; %bb.946:
	s_cmp_gt_i32 s0, 25
	s_cbranch_scc0 .LBB86_953
; %bb.947:
	s_cmp_gt_i32 s0, 28
	s_cbranch_scc0 .LBB86_954
	;; [unrolled: 3-line block ×4, first 2 shown]
; %bb.950:
	s_cmp_eq_u32 s0, 46
	s_cbranch_scc0 .LBB86_959
; %bb.951:
	s_wait_loadcnt 0x0
	global_load_b32 v1, v[2:3], off
	s_mov_b32 s33, -1
	s_mov_b32 s31, 0
	s_wait_loadcnt 0x0
	v_lshlrev_b32_e32 v1, 16, v1
	s_delay_alu instid0(VALU_DEP_1)
	v_cvt_i32_f32_e32 v4, v1
	s_branch .LBB86_961
.LBB86_952:
	s_mov_b32 s34, -1
	s_mov_b32 s33, 0
	s_mov_b32 s31, s25
                                        ; implicit-def: $vgpr4
	s_branch .LBB86_1022
.LBB86_953:
	s_mov_b32 s34, -1
	s_mov_b32 s33, 0
	s_mov_b32 s31, s25
                                        ; implicit-def: $vgpr4
	s_branch .LBB86_988
.LBB86_954:
	s_mov_b32 s34, -1
	s_mov_b32 s33, 0
	s_mov_b32 s31, s25
                                        ; implicit-def: $vgpr4
	s_branch .LBB86_971
.LBB86_955:
	s_mov_b32 s34, -1
	s_mov_b32 s33, 0
	s_mov_b32 s31, s25
                                        ; implicit-def: $vgpr4
	s_branch .LBB86_966
.LBB86_956:
	s_mov_b32 s34, -1
	s_mov_b32 s33, 0
	s_mov_b32 s31, s25
	s_branch .LBB86_960
.LBB86_957:
	s_and_not1_saveexec_b32 s31, s31
	s_cbranch_execz .LBB86_717
.LBB86_958:
	v_add_f32_e64 v3, 0x42800000, |v2|
	s_and_not1_b32 s30, s30, exec_lo
	s_delay_alu instid0(VALU_DEP_1) | instskip(NEXT) | instid1(VALU_DEP_1)
	v_and_b32_e32 v3, 0xff, v3
	v_cmp_ne_u32_e32 vcc_lo, 0, v3
	s_and_b32 s33, vcc_lo, exec_lo
	s_delay_alu instid0(SALU_CYCLE_1)
	s_or_b32 s30, s30, s33
	s_or_b32 exec_lo, exec_lo, s31
	v_mov_b32_e32 v5, 0
	s_and_saveexec_b32 s31, s30
	s_cbranch_execnz .LBB86_718
	s_branch .LBB86_719
.LBB86_959:
	s_mov_b32 s31, -1
	s_mov_b32 s33, 0
.LBB86_960:
                                        ; implicit-def: $vgpr4
.LBB86_961:
	s_and_b32 vcc_lo, exec_lo, s34
	s_cbranch_vccz .LBB86_965
; %bb.962:
	s_cmp_eq_u32 s0, 44
	s_cbranch_scc0 .LBB86_964
; %bb.963:
	s_wait_loadcnt 0x0
	global_load_u8 v1, v[2:3], off
	s_mov_b32 s31, 0
	s_mov_b32 s33, -1
	s_wait_loadcnt 0x0
	v_lshlrev_b32_e32 v4, 23, v1
	v_cmp_ne_u32_e32 vcc_lo, 0, v1
	s_delay_alu instid0(VALU_DEP_2) | instskip(NEXT) | instid1(VALU_DEP_1)
	v_cvt_i32_f32_e32 v4, v4
	v_cndmask_b32_e32 v4, 0, v4, vcc_lo
	s_branch .LBB86_965
.LBB86_964:
	s_mov_b32 s31, -1
                                        ; implicit-def: $vgpr4
.LBB86_965:
	s_mov_b32 s34, 0
.LBB86_966:
	s_delay_alu instid0(SALU_CYCLE_1)
	s_and_b32 vcc_lo, exec_lo, s34
	s_cbranch_vccz .LBB86_970
; %bb.967:
	s_cmp_eq_u32 s0, 29
	s_cbranch_scc0 .LBB86_969
; %bb.968:
	global_load_b64 v[4:5], v[2:3], off
	s_mov_b32 s33, -1
	s_mov_b32 s31, 0
	s_branch .LBB86_970
.LBB86_969:
	s_mov_b32 s31, -1
                                        ; implicit-def: $vgpr4
.LBB86_970:
	s_mov_b32 s34, 0
.LBB86_971:
	s_delay_alu instid0(SALU_CYCLE_1)
	s_and_b32 vcc_lo, exec_lo, s34
	s_cbranch_vccz .LBB86_987
; %bb.972:
	s_cmp_lt_i32 s0, 27
	s_cbranch_scc1 .LBB86_975
; %bb.973:
	s_cmp_gt_i32 s0, 27
	s_cbranch_scc0 .LBB86_976
; %bb.974:
	s_wait_loadcnt 0x0
	global_load_b32 v4, v[2:3], off
	s_mov_b32 s33, 0
	s_branch .LBB86_977
.LBB86_975:
	s_mov_b32 s33, -1
                                        ; implicit-def: $vgpr4
	s_branch .LBB86_980
.LBB86_976:
	s_mov_b32 s33, -1
                                        ; implicit-def: $vgpr4
.LBB86_977:
	s_delay_alu instid0(SALU_CYCLE_1)
	s_and_not1_b32 vcc_lo, exec_lo, s33
	s_cbranch_vccnz .LBB86_979
; %bb.978:
	s_wait_loadcnt 0x0
	global_load_u16 v4, v[2:3], off
.LBB86_979:
	s_mov_b32 s33, 0
.LBB86_980:
	s_delay_alu instid0(SALU_CYCLE_1)
	s_and_not1_b32 vcc_lo, exec_lo, s33
	s_cbranch_vccnz .LBB86_986
; %bb.981:
	s_wait_loadcnt 0x0
	global_load_u8 v1, v[2:3], off
	s_mov_b32 s34, 0
	s_mov_b32 s33, exec_lo
	s_wait_loadcnt 0x0
	v_cmpx_lt_i16_e32 0x7f, v1
	s_xor_b32 s33, exec_lo, s33
	s_cbranch_execz .LBB86_998
; %bb.982:
	v_cmp_ne_u16_e32 vcc_lo, 0x80, v1
	s_and_b32 s34, vcc_lo, exec_lo
	s_and_not1_saveexec_b32 s33, s33
	s_cbranch_execnz .LBB86_999
.LBB86_983:
	s_or_b32 exec_lo, exec_lo, s33
	v_mov_b32_e32 v4, 0
	s_and_saveexec_b32 s33, s34
	s_cbranch_execz .LBB86_985
.LBB86_984:
	v_and_b32_e32 v4, 0xffff, v1
	s_delay_alu instid0(VALU_DEP_1) | instskip(SKIP_1) | instid1(VALU_DEP_2)
	v_and_b32_e32 v5, 7, v4
	v_bfe_u32 v8, v4, 3, 4
	v_clz_i32_u32_e32 v6, v5
	s_delay_alu instid0(VALU_DEP_2) | instskip(NEXT) | instid1(VALU_DEP_2)
	v_cmp_eq_u32_e32 vcc_lo, 0, v8
	v_min_u32_e32 v6, 32, v6
	s_delay_alu instid0(VALU_DEP_1) | instskip(NEXT) | instid1(VALU_DEP_1)
	v_subrev_nc_u32_e32 v7, 28, v6
	v_dual_lshlrev_b32 v4, v7, v4 :: v_dual_sub_nc_u32 v6, 29, v6
	s_delay_alu instid0(VALU_DEP_1) | instskip(NEXT) | instid1(VALU_DEP_1)
	v_dual_lshlrev_b32 v1, 24, v1 :: v_dual_bitop2_b32 v4, 7, v4 bitop3:0x40
	v_dual_cndmask_b32 v6, v8, v6, vcc_lo :: v_dual_cndmask_b32 v4, v5, v4, vcc_lo
	s_delay_alu instid0(VALU_DEP_2) | instskip(NEXT) | instid1(VALU_DEP_2)
	v_and_b32_e32 v1, 0x80000000, v1
	v_lshl_add_u32 v5, v6, 23, 0x3b800000
	s_delay_alu instid0(VALU_DEP_3) | instskip(NEXT) | instid1(VALU_DEP_1)
	v_lshlrev_b32_e32 v4, 20, v4
	v_or3_b32 v1, v1, v5, v4
	s_delay_alu instid0(VALU_DEP_1)
	v_cvt_i32_f32_e32 v4, v1
.LBB86_985:
	s_or_b32 exec_lo, exec_lo, s33
.LBB86_986:
	s_mov_b32 s33, -1
.LBB86_987:
	s_mov_b32 s34, 0
.LBB86_988:
	s_delay_alu instid0(SALU_CYCLE_1)
	s_and_b32 vcc_lo, exec_lo, s34
	s_cbranch_vccz .LBB86_1021
; %bb.989:
	s_cmp_gt_i32 s0, 22
	s_cbranch_scc0 .LBB86_997
; %bb.990:
	s_cmp_lt_i32 s0, 24
	s_cbranch_scc1 .LBB86_1000
; %bb.991:
	s_cmp_gt_i32 s0, 24
	s_cbranch_scc0 .LBB86_1001
; %bb.992:
	s_wait_loadcnt 0x0
	global_load_u8 v1, v[2:3], off
	s_mov_b32 s34, 0
	s_mov_b32 s33, exec_lo
	s_wait_loadcnt 0x0
	v_cmpx_lt_i16_e32 0x7f, v1
	s_xor_b32 s33, exec_lo, s33
	s_cbranch_execz .LBB86_1013
; %bb.993:
	v_cmp_ne_u16_e32 vcc_lo, 0x80, v1
	s_and_b32 s34, vcc_lo, exec_lo
	s_and_not1_saveexec_b32 s33, s33
	s_cbranch_execnz .LBB86_1014
.LBB86_994:
	s_or_b32 exec_lo, exec_lo, s33
	v_mov_b32_e32 v4, 0
	s_and_saveexec_b32 s33, s34
	s_cbranch_execz .LBB86_996
.LBB86_995:
	v_and_b32_e32 v4, 0xffff, v1
	s_delay_alu instid0(VALU_DEP_1) | instskip(SKIP_1) | instid1(VALU_DEP_2)
	v_and_b32_e32 v5, 3, v4
	v_bfe_u32 v8, v4, 2, 5
	v_clz_i32_u32_e32 v6, v5
	s_delay_alu instid0(VALU_DEP_2) | instskip(NEXT) | instid1(VALU_DEP_2)
	v_cmp_eq_u32_e32 vcc_lo, 0, v8
	v_min_u32_e32 v6, 32, v6
	s_delay_alu instid0(VALU_DEP_1) | instskip(NEXT) | instid1(VALU_DEP_1)
	v_subrev_nc_u32_e32 v7, 29, v6
	v_dual_lshlrev_b32 v4, v7, v4 :: v_dual_sub_nc_u32 v6, 30, v6
	s_delay_alu instid0(VALU_DEP_1) | instskip(NEXT) | instid1(VALU_DEP_1)
	v_dual_lshlrev_b32 v1, 24, v1 :: v_dual_bitop2_b32 v4, 3, v4 bitop3:0x40
	v_dual_cndmask_b32 v6, v8, v6, vcc_lo :: v_dual_cndmask_b32 v4, v5, v4, vcc_lo
	s_delay_alu instid0(VALU_DEP_2) | instskip(NEXT) | instid1(VALU_DEP_2)
	v_and_b32_e32 v1, 0x80000000, v1
	v_lshl_add_u32 v5, v6, 23, 0x37800000
	s_delay_alu instid0(VALU_DEP_3) | instskip(NEXT) | instid1(VALU_DEP_1)
	v_lshlrev_b32_e32 v4, 21, v4
	v_or3_b32 v1, v1, v5, v4
	s_delay_alu instid0(VALU_DEP_1)
	v_cvt_i32_f32_e32 v4, v1
.LBB86_996:
	s_or_b32 exec_lo, exec_lo, s33
	s_mov_b32 s33, 0
	s_branch .LBB86_1002
.LBB86_997:
	s_mov_b32 s34, -1
                                        ; implicit-def: $vgpr4
	s_branch .LBB86_1008
.LBB86_998:
	s_and_not1_saveexec_b32 s33, s33
	s_cbranch_execz .LBB86_983
.LBB86_999:
	v_cmp_ne_u16_e32 vcc_lo, 0, v1
	s_and_not1_b32 s34, s34, exec_lo
	s_and_b32 s35, vcc_lo, exec_lo
	s_delay_alu instid0(SALU_CYCLE_1)
	s_or_b32 s34, s34, s35
	s_or_b32 exec_lo, exec_lo, s33
	v_mov_b32_e32 v4, 0
	s_and_saveexec_b32 s33, s34
	s_cbranch_execnz .LBB86_984
	s_branch .LBB86_985
.LBB86_1000:
	s_mov_b32 s33, -1
                                        ; implicit-def: $vgpr4
	s_branch .LBB86_1005
.LBB86_1001:
	s_mov_b32 s33, -1
                                        ; implicit-def: $vgpr4
.LBB86_1002:
	s_delay_alu instid0(SALU_CYCLE_1)
	s_and_b32 vcc_lo, exec_lo, s33
	s_cbranch_vccz .LBB86_1004
; %bb.1003:
	s_wait_loadcnt 0x0
	global_load_u8 v1, v[2:3], off
	s_wait_loadcnt 0x0
	v_lshlrev_b32_e32 v1, 24, v1
	s_delay_alu instid0(VALU_DEP_1) | instskip(NEXT) | instid1(VALU_DEP_1)
	v_and_b32_e32 v4, 0x7f000000, v1
	v_clz_i32_u32_e32 v5, v4
	v_cmp_ne_u32_e32 vcc_lo, 0, v4
	v_add_nc_u32_e32 v7, 0x1000000, v4
	s_delay_alu instid0(VALU_DEP_3) | instskip(NEXT) | instid1(VALU_DEP_1)
	v_min_u32_e32 v5, 32, v5
	v_sub_nc_u32_e64 v5, v5, 4 clamp
	s_delay_alu instid0(VALU_DEP_1) | instskip(NEXT) | instid1(VALU_DEP_1)
	v_dual_lshlrev_b32 v6, v5, v4 :: v_dual_lshlrev_b32 v5, 23, v5
	v_lshrrev_b32_e32 v6, 4, v6
	s_delay_alu instid0(VALU_DEP_1) | instskip(NEXT) | instid1(VALU_DEP_1)
	v_dual_sub_nc_u32 v5, v6, v5 :: v_dual_ashrrev_i32 v6, 8, v7
	v_add_nc_u32_e32 v5, 0x3c000000, v5
	s_delay_alu instid0(VALU_DEP_1) | instskip(NEXT) | instid1(VALU_DEP_1)
	v_and_or_b32 v5, 0x7f800000, v6, v5
	v_cndmask_b32_e32 v4, 0, v5, vcc_lo
	s_delay_alu instid0(VALU_DEP_1) | instskip(NEXT) | instid1(VALU_DEP_1)
	v_and_or_b32 v1, 0x80000000, v1, v4
	v_cvt_i32_f32_e32 v4, v1
.LBB86_1004:
	s_mov_b32 s33, 0
.LBB86_1005:
	s_delay_alu instid0(SALU_CYCLE_1)
	s_and_not1_b32 vcc_lo, exec_lo, s33
	s_cbranch_vccnz .LBB86_1007
; %bb.1006:
	s_wait_loadcnt 0x0
	global_load_u8 v1, v[2:3], off
	s_wait_loadcnt 0x0
	v_lshlrev_b32_e32 v4, 25, v1
	v_lshlrev_b16 v1, 8, v1
	s_delay_alu instid0(VALU_DEP_1) | instskip(SKIP_1) | instid1(VALU_DEP_2)
	v_and_or_b32 v6, 0x7f00, v1, 0.5
	v_bfe_i32 v1, v1, 0, 16
	v_dual_add_f32 v6, -0.5, v6 :: v_dual_lshrrev_b32 v5, 4, v4
	v_cmp_gt_u32_e32 vcc_lo, 0x8000000, v4
	s_delay_alu instid0(VALU_DEP_2) | instskip(NEXT) | instid1(VALU_DEP_1)
	v_or_b32_e32 v5, 0x70000000, v5
	v_mul_f32_e32 v5, 0x7800000, v5
	s_delay_alu instid0(VALU_DEP_1) | instskip(NEXT) | instid1(VALU_DEP_1)
	v_cndmask_b32_e32 v4, v5, v6, vcc_lo
	v_and_or_b32 v1, 0x80000000, v1, v4
	s_delay_alu instid0(VALU_DEP_1)
	v_cvt_i32_f32_e32 v4, v1
.LBB86_1007:
	s_mov_b32 s34, 0
	s_mov_b32 s33, -1
.LBB86_1008:
	s_and_not1_b32 vcc_lo, exec_lo, s34
	s_cbranch_vccnz .LBB86_1021
; %bb.1009:
	s_cmp_gt_i32 s0, 14
	s_cbranch_scc0 .LBB86_1012
; %bb.1010:
	s_cmp_eq_u32 s0, 15
	s_cbranch_scc0 .LBB86_1015
; %bb.1011:
	s_wait_loadcnt 0x0
	global_load_u16 v1, v[2:3], off
	s_mov_b32 s33, -1
	s_mov_b32 s31, 0
	s_wait_loadcnt 0x0
	v_lshlrev_b32_e32 v1, 16, v1
	s_delay_alu instid0(VALU_DEP_1)
	v_cvt_i32_f32_e32 v4, v1
	s_branch .LBB86_1016
.LBB86_1012:
	s_mov_b32 s34, -1
                                        ; implicit-def: $vgpr4
	s_branch .LBB86_1017
.LBB86_1013:
	s_and_not1_saveexec_b32 s33, s33
	s_cbranch_execz .LBB86_994
.LBB86_1014:
	v_cmp_ne_u16_e32 vcc_lo, 0, v1
	s_and_not1_b32 s34, s34, exec_lo
	s_and_b32 s35, vcc_lo, exec_lo
	s_delay_alu instid0(SALU_CYCLE_1)
	s_or_b32 s34, s34, s35
	s_or_b32 exec_lo, exec_lo, s33
	v_mov_b32_e32 v4, 0
	s_and_saveexec_b32 s33, s34
	s_cbranch_execnz .LBB86_995
	s_branch .LBB86_996
.LBB86_1015:
	s_mov_b32 s31, -1
                                        ; implicit-def: $vgpr4
.LBB86_1016:
	s_mov_b32 s34, 0
.LBB86_1017:
	s_delay_alu instid0(SALU_CYCLE_1)
	s_and_b32 vcc_lo, exec_lo, s34
	s_cbranch_vccz .LBB86_1021
; %bb.1018:
	s_cmp_eq_u32 s0, 11
	s_cbranch_scc0 .LBB86_1020
; %bb.1019:
	s_wait_loadcnt 0x0
	global_load_u8 v1, v[2:3], off
	s_mov_b32 s31, 0
	s_mov_b32 s33, -1
	s_wait_loadcnt 0x0
	v_cmp_ne_u16_e32 vcc_lo, 0, v1
	v_cndmask_b32_e64 v4, 0, 1, vcc_lo
	s_branch .LBB86_1021
.LBB86_1020:
	s_mov_b32 s31, -1
                                        ; implicit-def: $vgpr4
.LBB86_1021:
	s_mov_b32 s34, 0
.LBB86_1022:
	s_delay_alu instid0(SALU_CYCLE_1)
	s_and_b32 vcc_lo, exec_lo, s34
	s_cbranch_vccz .LBB86_1071
; %bb.1023:
	s_cmp_lt_i32 s0, 5
	s_cbranch_scc1 .LBB86_1028
; %bb.1024:
	s_cmp_lt_i32 s0, 8
	s_cbranch_scc1 .LBB86_1029
	;; [unrolled: 3-line block ×3, first 2 shown]
; %bb.1026:
	s_cmp_gt_i32 s0, 9
	s_cbranch_scc0 .LBB86_1031
; %bb.1027:
	s_wait_loadcnt 0x0
	global_load_b64 v[4:5], v[2:3], off
	s_mov_b32 s33, 0
	s_wait_loadcnt 0x0
	v_cvt_i32_f64_e32 v4, v[4:5]
	s_branch .LBB86_1032
.LBB86_1028:
	s_mov_b32 s33, -1
                                        ; implicit-def: $vgpr4
	s_branch .LBB86_1050
.LBB86_1029:
	s_mov_b32 s33, -1
                                        ; implicit-def: $vgpr4
	s_branch .LBB86_1038
.LBB86_1030:
	s_mov_b32 s33, -1
                                        ; implicit-def: $vgpr4
	s_branch .LBB86_1035
.LBB86_1031:
	s_mov_b32 s33, -1
                                        ; implicit-def: $vgpr4
.LBB86_1032:
	s_delay_alu instid0(SALU_CYCLE_1)
	s_and_not1_b32 vcc_lo, exec_lo, s33
	s_cbranch_vccnz .LBB86_1034
; %bb.1033:
	s_wait_loadcnt 0x0
	global_load_b32 v1, v[2:3], off
	s_wait_loadcnt 0x0
	v_cvt_i32_f32_e32 v4, v1
.LBB86_1034:
	s_mov_b32 s33, 0
.LBB86_1035:
	s_delay_alu instid0(SALU_CYCLE_1)
	s_and_not1_b32 vcc_lo, exec_lo, s33
	s_cbranch_vccnz .LBB86_1037
; %bb.1036:
	s_wait_loadcnt 0x0
	global_load_b32 v1, v[2:3], off
	s_wait_loadcnt 0x0
	v_cvt_i16_f16_e32 v4, v1
.LBB86_1037:
	s_mov_b32 s33, 0
.LBB86_1038:
	s_delay_alu instid0(SALU_CYCLE_1)
	s_and_not1_b32 vcc_lo, exec_lo, s33
	s_cbranch_vccnz .LBB86_1049
; %bb.1039:
	s_cmp_lt_i32 s0, 6
	s_cbranch_scc1 .LBB86_1042
; %bb.1040:
	s_cmp_gt_i32 s0, 6
	s_cbranch_scc0 .LBB86_1043
; %bb.1041:
	s_wait_loadcnt 0x0
	global_load_b64 v[4:5], v[2:3], off
	s_mov_b32 s33, 0
	s_wait_loadcnt 0x0
	v_cvt_i32_f64_e32 v4, v[4:5]
	s_branch .LBB86_1044
.LBB86_1042:
	s_mov_b32 s33, -1
                                        ; implicit-def: $vgpr4
	s_branch .LBB86_1047
.LBB86_1043:
	s_mov_b32 s33, -1
                                        ; implicit-def: $vgpr4
.LBB86_1044:
	s_delay_alu instid0(SALU_CYCLE_1)
	s_and_not1_b32 vcc_lo, exec_lo, s33
	s_cbranch_vccnz .LBB86_1046
; %bb.1045:
	s_wait_loadcnt 0x0
	global_load_b32 v1, v[2:3], off
	s_wait_loadcnt 0x0
	v_cvt_i32_f32_e32 v4, v1
.LBB86_1046:
	s_mov_b32 s33, 0
.LBB86_1047:
	s_delay_alu instid0(SALU_CYCLE_1)
	s_and_not1_b32 vcc_lo, exec_lo, s33
	s_cbranch_vccnz .LBB86_1049
; %bb.1048:
	s_wait_loadcnt 0x0
	global_load_u16 v1, v[2:3], off
	s_wait_loadcnt 0x0
	v_cvt_i16_f16_e32 v4, v1
.LBB86_1049:
	s_mov_b32 s33, 0
.LBB86_1050:
	s_delay_alu instid0(SALU_CYCLE_1)
	s_and_not1_b32 vcc_lo, exec_lo, s33
	s_cbranch_vccnz .LBB86_1070
; %bb.1051:
	s_cmp_lt_i32 s0, 2
	s_cbranch_scc1 .LBB86_1055
; %bb.1052:
	s_cmp_lt_i32 s0, 3
	s_cbranch_scc1 .LBB86_1056
; %bb.1053:
	s_cmp_gt_i32 s0, 3
	s_cbranch_scc0 .LBB86_1057
; %bb.1054:
	s_wait_loadcnt 0x0
	global_load_b64 v[4:5], v[2:3], off
	s_mov_b32 s33, 0
	s_branch .LBB86_1058
.LBB86_1055:
	s_mov_b32 s33, -1
                                        ; implicit-def: $vgpr4
	s_branch .LBB86_1064
.LBB86_1056:
	s_mov_b32 s33, -1
                                        ; implicit-def: $vgpr4
	s_branch .LBB86_1061
.LBB86_1057:
	s_mov_b32 s33, -1
                                        ; implicit-def: $vgpr4
.LBB86_1058:
	s_delay_alu instid0(SALU_CYCLE_1)
	s_and_not1_b32 vcc_lo, exec_lo, s33
	s_cbranch_vccnz .LBB86_1060
; %bb.1059:
	s_wait_loadcnt 0x0
	global_load_b32 v4, v[2:3], off
.LBB86_1060:
	s_mov_b32 s33, 0
.LBB86_1061:
	s_delay_alu instid0(SALU_CYCLE_1)
	s_and_not1_b32 vcc_lo, exec_lo, s33
	s_cbranch_vccnz .LBB86_1063
; %bb.1062:
	s_wait_loadcnt 0x0
	global_load_u16 v4, v[2:3], off
.LBB86_1063:
	s_mov_b32 s33, 0
.LBB86_1064:
	s_delay_alu instid0(SALU_CYCLE_1)
	s_and_not1_b32 vcc_lo, exec_lo, s33
	s_cbranch_vccnz .LBB86_1070
; %bb.1065:
	s_cmp_gt_i32 s0, 0
	s_mov_b32 s0, 0
	s_cbranch_scc0 .LBB86_1067
; %bb.1066:
	s_wait_loadcnt 0x0
	global_load_i8 v4, v[2:3], off
	s_branch .LBB86_1068
.LBB86_1067:
	s_mov_b32 s0, -1
                                        ; implicit-def: $vgpr4
.LBB86_1068:
	s_delay_alu instid0(SALU_CYCLE_1)
	s_and_not1_b32 vcc_lo, exec_lo, s0
	s_cbranch_vccnz .LBB86_1070
; %bb.1069:
	s_wait_loadcnt 0x0
	global_load_u8 v4, v[2:3], off
.LBB86_1070:
	s_mov_b32 s33, -1
.LBB86_1071:
	s_delay_alu instid0(SALU_CYCLE_1)
	s_and_not1_b32 vcc_lo, exec_lo, s33
	s_cbranch_vccnz .LBB86_1079
; %bb.1072:
	s_wait_xcnt 0x0
	v_mul_lo_u32 v2, v18, s11
	s_wait_loadcnt 0x0
	v_mul_lo_u16 v5, v0, s10
	s_and_b32 s33, s12, 0xff
	s_delay_alu instid0(SALU_CYCLE_1) | instskip(NEXT) | instid1(VALU_DEP_1)
	s_cmp_lt_i32 s33, 11
	v_mul_lo_u16 v4, v5, v4
	s_delay_alu instid0(VALU_DEP_3) | instskip(NEXT) | instid1(VALU_DEP_1)
	v_ashrrev_i32_e32 v3, 31, v2
	v_add_nc_u64_e32 v[0:1], s[2:3], v[2:3]
	s_cbranch_scc1 .LBB86_1080
; %bb.1073:
	s_and_b32 s34, 0xffff, s33
	s_delay_alu instid0(SALU_CYCLE_1)
	s_cmp_gt_i32 s34, 25
	s_cbranch_scc0 .LBB86_1081
; %bb.1074:
	s_cmp_gt_i32 s34, 28
	s_cbranch_scc0 .LBB86_1082
; %bb.1075:
	;; [unrolled: 3-line block ×4, first 2 shown]
	s_mov_b32 s36, 0
	s_mov_b32 s0, -1
	s_cmp_eq_u32 s34, 46
	s_mov_b32 s35, 0
	s_cbranch_scc0 .LBB86_1085
; %bb.1078:
	v_bfe_i32 v2, v4, 0, 16
	s_mov_b32 s35, -1
	s_mov_b32 s0, 0
	s_delay_alu instid0(VALU_DEP_1) | instskip(NEXT) | instid1(VALU_DEP_1)
	v_cvt_f32_i32_e32 v2, v2
	v_bfe_u32 v3, v2, 16, 1
	s_delay_alu instid0(VALU_DEP_1) | instskip(NEXT) | instid1(VALU_DEP_1)
	v_add3_u32 v2, v2, v3, 0x7fff
	v_lshrrev_b32_e32 v2, 16, v2
	global_store_b32 v[0:1], v2, off
	s_branch .LBB86_1085
.LBB86_1079:
	s_mov_b32 s34, 0
	s_mov_b32 s0, s24
	s_branch .LBB86_824
.LBB86_1080:
	s_mov_b32 s34, -1
	s_mov_b32 s35, 0
	s_mov_b32 s0, s24
	s_branch .LBB86_1154
.LBB86_1081:
	s_mov_b32 s36, -1
	s_mov_b32 s35, 0
	s_mov_b32 s0, s24
	s_branch .LBB86_1112
.LBB86_1082:
	s_mov_b32 s36, -1
	s_mov_b32 s35, 0
	s_mov_b32 s0, s24
	s_branch .LBB86_1095
.LBB86_1083:
	s_mov_b32 s36, -1
	s_mov_b32 s35, 0
	s_mov_b32 s0, s24
	s_branch .LBB86_1091
.LBB86_1084:
	s_mov_b32 s36, -1
	s_mov_b32 s35, 0
	s_mov_b32 s0, s24
.LBB86_1085:
	s_and_b32 vcc_lo, exec_lo, s36
	s_cbranch_vccz .LBB86_1090
; %bb.1086:
	s_cmp_eq_u32 s34, 44
	s_mov_b32 s0, -1
	s_cbranch_scc0 .LBB86_1090
; %bb.1087:
	s_wait_xcnt 0x0
	v_bfe_i32 v2, v4, 0, 16
	v_mov_b32_e32 v3, 0xff
	s_mov_b32 s35, exec_lo
	s_delay_alu instid0(VALU_DEP_2) | instskip(NEXT) | instid1(VALU_DEP_1)
	v_cvt_f32_i32_e32 v2, v2
	v_bfe_u32 v5, v2, 23, 8
	s_delay_alu instid0(VALU_DEP_1)
	v_cmpx_ne_u32_e32 0xff, v5
	s_cbranch_execz .LBB86_1089
; %bb.1088:
	v_and_b32_e32 v3, 0x400000, v2
	v_and_or_b32 v5, 0x3fffff, v2, v5
	v_lshrrev_b32_e32 v2, 23, v2
	s_delay_alu instid0(VALU_DEP_3) | instskip(NEXT) | instid1(VALU_DEP_3)
	v_cmp_ne_u32_e32 vcc_lo, 0, v3
	v_cmp_ne_u32_e64 s0, 0, v5
	s_and_b32 s0, vcc_lo, s0
	s_delay_alu instid0(SALU_CYCLE_1) | instskip(NEXT) | instid1(VALU_DEP_1)
	v_cndmask_b32_e64 v3, 0, 1, s0
	v_add_nc_u32_e32 v3, v2, v3
.LBB86_1089:
	s_or_b32 exec_lo, exec_lo, s35
	s_mov_b32 s35, -1
	s_mov_b32 s0, 0
	global_store_b8 v[0:1], v3, off
.LBB86_1090:
	s_mov_b32 s36, 0
.LBB86_1091:
	s_delay_alu instid0(SALU_CYCLE_1)
	s_and_b32 vcc_lo, exec_lo, s36
	s_cbranch_vccz .LBB86_1094
; %bb.1092:
	s_cmp_eq_u32 s34, 29
	s_mov_b32 s0, -1
	s_cbranch_scc0 .LBB86_1094
; %bb.1093:
	s_wait_xcnt 0x0
	v_bfe_i32 v2, v4, 0, 16
	s_mov_b32 s0, 0
	s_mov_b32 s35, -1
	s_mov_b32 s36, 0
	s_delay_alu instid0(VALU_DEP_1)
	v_ashrrev_i32_e32 v3, 31, v2
	global_store_b64 v[0:1], v[2:3], off
	s_branch .LBB86_1095
.LBB86_1094:
	s_mov_b32 s36, 0
.LBB86_1095:
	s_delay_alu instid0(SALU_CYCLE_1)
	s_and_b32 vcc_lo, exec_lo, s36
	s_cbranch_vccz .LBB86_1111
; %bb.1096:
	s_cmp_lt_i32 s34, 27
	s_mov_b32 s35, -1
	s_cbranch_scc1 .LBB86_1102
; %bb.1097:
	s_cmp_gt_i32 s34, 27
	s_cbranch_scc0 .LBB86_1099
; %bb.1098:
	s_wait_xcnt 0x0
	v_bfe_i32 v2, v4, 0, 16
	s_mov_b32 s35, 0
	global_store_b32 v[0:1], v2, off
.LBB86_1099:
	s_and_not1_b32 vcc_lo, exec_lo, s35
	s_cbranch_vccnz .LBB86_1101
; %bb.1100:
	global_store_b16 v[0:1], v4, off
.LBB86_1101:
	s_mov_b32 s35, 0
.LBB86_1102:
	s_delay_alu instid0(SALU_CYCLE_1)
	s_and_not1_b32 vcc_lo, exec_lo, s35
	s_cbranch_vccnz .LBB86_1110
; %bb.1103:
	s_wait_xcnt 0x0
	v_bfe_i32 v2, v4, 0, 16
	v_mov_b32_e32 v5, 0x80
	s_mov_b32 s35, exec_lo
	s_delay_alu instid0(VALU_DEP_2) | instskip(NEXT) | instid1(VALU_DEP_1)
	v_cvt_f32_i32_e32 v2, v2
	v_and_b32_e32 v3, 0x7fffffff, v2
	s_delay_alu instid0(VALU_DEP_1)
	v_cmpx_gt_u32_e32 0x43800000, v3
	s_cbranch_execz .LBB86_1109
; %bb.1104:
	v_cmp_lt_u32_e32 vcc_lo, 0x3bffffff, v3
	s_mov_b32 s36, 0
                                        ; implicit-def: $vgpr3
	s_and_saveexec_b32 s37, vcc_lo
	s_delay_alu instid0(SALU_CYCLE_1)
	s_xor_b32 s37, exec_lo, s37
	s_cbranch_execz .LBB86_2025
; %bb.1105:
	v_bfe_u32 v3, v2, 20, 1
	s_mov_b32 s36, exec_lo
	s_delay_alu instid0(VALU_DEP_1) | instskip(NEXT) | instid1(VALU_DEP_1)
	v_add3_u32 v3, v2, v3, 0x487ffff
	v_lshrrev_b32_e32 v3, 20, v3
	s_and_not1_saveexec_b32 s37, s37
	s_cbranch_execnz .LBB86_2026
.LBB86_1106:
	s_or_b32 exec_lo, exec_lo, s37
	v_mov_b32_e32 v5, 0
	s_and_saveexec_b32 s37, s36
.LBB86_1107:
	v_lshrrev_b32_e32 v2, 24, v2
	s_delay_alu instid0(VALU_DEP_1)
	v_and_or_b32 v5, 0x80, v2, v3
.LBB86_1108:
	s_or_b32 exec_lo, exec_lo, s37
.LBB86_1109:
	s_delay_alu instid0(SALU_CYCLE_1)
	s_or_b32 exec_lo, exec_lo, s35
	global_store_b8 v[0:1], v5, off
.LBB86_1110:
	s_mov_b32 s35, -1
.LBB86_1111:
	s_mov_b32 s36, 0
.LBB86_1112:
	s_delay_alu instid0(SALU_CYCLE_1)
	s_and_b32 vcc_lo, exec_lo, s36
	s_cbranch_vccz .LBB86_1153
; %bb.1113:
	s_cmp_gt_i32 s34, 22
	s_mov_b32 s36, -1
	s_cbranch_scc0 .LBB86_1145
; %bb.1114:
	s_cmp_lt_i32 s34, 24
	s_mov_b32 s35, -1
	s_cbranch_scc1 .LBB86_1134
; %bb.1115:
	s_cmp_gt_i32 s34, 24
	s_cbranch_scc0 .LBB86_1123
; %bb.1116:
	s_wait_xcnt 0x0
	v_bfe_i32 v2, v4, 0, 16
	v_mov_b32_e32 v5, 0x80
	s_mov_b32 s35, exec_lo
	s_delay_alu instid0(VALU_DEP_2) | instskip(NEXT) | instid1(VALU_DEP_1)
	v_cvt_f32_i32_e32 v2, v2
	v_and_b32_e32 v3, 0x7fffffff, v2
	s_delay_alu instid0(VALU_DEP_1)
	v_cmpx_gt_u32_e32 0x47800000, v3
	s_cbranch_execz .LBB86_1122
; %bb.1117:
	v_cmp_lt_u32_e32 vcc_lo, 0x37ffffff, v3
	s_mov_b32 s36, 0
                                        ; implicit-def: $vgpr3
	s_and_saveexec_b32 s37, vcc_lo
	s_delay_alu instid0(SALU_CYCLE_1)
	s_xor_b32 s37, exec_lo, s37
	s_cbranch_execz .LBB86_2174
; %bb.1118:
	v_bfe_u32 v3, v2, 21, 1
	s_mov_b32 s36, exec_lo
	s_delay_alu instid0(VALU_DEP_1) | instskip(NEXT) | instid1(VALU_DEP_1)
	v_add3_u32 v3, v2, v3, 0x88fffff
	v_lshrrev_b32_e32 v3, 21, v3
	s_and_not1_saveexec_b32 s37, s37
	s_cbranch_execnz .LBB86_2175
.LBB86_1119:
	s_or_b32 exec_lo, exec_lo, s37
	v_mov_b32_e32 v5, 0
	s_and_saveexec_b32 s37, s36
.LBB86_1120:
	v_lshrrev_b32_e32 v2, 24, v2
	s_delay_alu instid0(VALU_DEP_1)
	v_and_or_b32 v5, 0x80, v2, v3
.LBB86_1121:
	s_or_b32 exec_lo, exec_lo, s37
.LBB86_1122:
	s_delay_alu instid0(SALU_CYCLE_1)
	s_or_b32 exec_lo, exec_lo, s35
	s_mov_b32 s35, 0
	global_store_b8 v[0:1], v5, off
.LBB86_1123:
	s_and_b32 vcc_lo, exec_lo, s35
	s_cbranch_vccz .LBB86_1133
; %bb.1124:
	s_wait_xcnt 0x0
	v_bfe_i32 v2, v4, 0, 16
	s_mov_b32 s35, exec_lo
                                        ; implicit-def: $vgpr3
	s_delay_alu instid0(VALU_DEP_1) | instskip(NEXT) | instid1(VALU_DEP_1)
	v_cvt_f32_i32_e32 v2, v2
	v_and_b32_e32 v5, 0x7fffffff, v2
	s_delay_alu instid0(VALU_DEP_1)
	v_cmpx_gt_u32_e32 0x43f00000, v5
	s_xor_b32 s35, exec_lo, s35
	s_cbranch_execz .LBB86_1130
; %bb.1125:
	s_mov_b32 s36, exec_lo
                                        ; implicit-def: $vgpr3
	v_cmpx_lt_u32_e32 0x3c7fffff, v5
	s_xor_b32 s36, exec_lo, s36
; %bb.1126:
	v_bfe_u32 v3, v2, 20, 1
	s_delay_alu instid0(VALU_DEP_1) | instskip(NEXT) | instid1(VALU_DEP_1)
	v_add3_u32 v3, v2, v3, 0x407ffff
	v_and_b32_e32 v5, 0xff00000, v3
	v_lshrrev_b32_e32 v3, 20, v3
	s_delay_alu instid0(VALU_DEP_2) | instskip(NEXT) | instid1(VALU_DEP_2)
	v_cmp_ne_u32_e32 vcc_lo, 0x7f00000, v5
	v_cndmask_b32_e32 v3, 0x7e, v3, vcc_lo
; %bb.1127:
	s_and_not1_saveexec_b32 s36, s36
; %bb.1128:
	v_add_f32_e64 v3, 0x46800000, |v2|
; %bb.1129:
	s_or_b32 exec_lo, exec_lo, s36
                                        ; implicit-def: $vgpr5
.LBB86_1130:
	s_and_not1_saveexec_b32 s35, s35
; %bb.1131:
	v_mov_b32_e32 v3, 0x7f
	v_cmp_lt_u32_e32 vcc_lo, 0x7f800000, v5
	s_delay_alu instid0(VALU_DEP_2)
	v_cndmask_b32_e32 v3, 0x7e, v3, vcc_lo
; %bb.1132:
	s_or_b32 exec_lo, exec_lo, s35
	v_lshrrev_b32_e32 v2, 24, v2
	s_delay_alu instid0(VALU_DEP_1)
	v_and_or_b32 v2, 0x80, v2, v3
	global_store_b8 v[0:1], v2, off
.LBB86_1133:
	s_mov_b32 s35, 0
.LBB86_1134:
	s_delay_alu instid0(SALU_CYCLE_1)
	s_and_not1_b32 vcc_lo, exec_lo, s35
	s_cbranch_vccnz .LBB86_1144
; %bb.1135:
	s_wait_xcnt 0x0
	v_bfe_i32 v2, v4, 0, 16
	s_mov_b32 s35, exec_lo
                                        ; implicit-def: $vgpr3
	s_delay_alu instid0(VALU_DEP_1) | instskip(NEXT) | instid1(VALU_DEP_1)
	v_cvt_f32_i32_e32 v2, v2
	v_and_b32_e32 v5, 0x7fffffff, v2
	s_delay_alu instid0(VALU_DEP_1)
	v_cmpx_gt_u32_e32 0x47800000, v5
	s_xor_b32 s35, exec_lo, s35
	s_cbranch_execz .LBB86_1141
; %bb.1136:
	s_mov_b32 s36, exec_lo
                                        ; implicit-def: $vgpr3
	v_cmpx_lt_u32_e32 0x387fffff, v5
	s_xor_b32 s36, exec_lo, s36
; %bb.1137:
	v_bfe_u32 v3, v2, 21, 1
	s_delay_alu instid0(VALU_DEP_1) | instskip(NEXT) | instid1(VALU_DEP_1)
	v_add3_u32 v3, v2, v3, 0x80fffff
	v_lshrrev_b32_e32 v3, 21, v3
; %bb.1138:
	s_and_not1_saveexec_b32 s36, s36
; %bb.1139:
	v_add_f32_e64 v3, 0x43000000, |v2|
; %bb.1140:
	s_or_b32 exec_lo, exec_lo, s36
                                        ; implicit-def: $vgpr5
.LBB86_1141:
	s_and_not1_saveexec_b32 s35, s35
; %bb.1142:
	v_mov_b32_e32 v3, 0x7f
	v_cmp_lt_u32_e32 vcc_lo, 0x7f800000, v5
	s_delay_alu instid0(VALU_DEP_2)
	v_cndmask_b32_e32 v3, 0x7c, v3, vcc_lo
; %bb.1143:
	s_or_b32 exec_lo, exec_lo, s35
	v_lshrrev_b32_e32 v2, 24, v2
	s_delay_alu instid0(VALU_DEP_1)
	v_and_or_b32 v2, 0x80, v2, v3
	global_store_b8 v[0:1], v2, off
.LBB86_1144:
	s_mov_b32 s36, 0
	s_mov_b32 s35, -1
.LBB86_1145:
	s_and_not1_b32 vcc_lo, exec_lo, s36
	s_cbranch_vccnz .LBB86_1153
; %bb.1146:
	s_cmp_gt_i32 s34, 14
	s_mov_b32 s36, -1
	s_cbranch_scc0 .LBB86_1150
; %bb.1147:
	s_cmp_eq_u32 s34, 15
	s_mov_b32 s0, -1
	s_cbranch_scc0 .LBB86_1149
; %bb.1148:
	s_wait_xcnt 0x0
	v_bfe_i32 v2, v4, 0, 16
	s_mov_b32 s35, -1
	s_mov_b32 s0, 0
	s_delay_alu instid0(VALU_DEP_1) | instskip(NEXT) | instid1(VALU_DEP_1)
	v_cvt_f32_i32_e32 v2, v2
	v_bfe_u32 v3, v2, 16, 1
	s_delay_alu instid0(VALU_DEP_1)
	v_add3_u32 v2, v2, v3, 0x7fff
	global_store_d16_hi_b16 v[0:1], v2, off
.LBB86_1149:
	s_mov_b32 s36, 0
.LBB86_1150:
	s_delay_alu instid0(SALU_CYCLE_1)
	s_and_b32 vcc_lo, exec_lo, s36
	s_cbranch_vccz .LBB86_1153
; %bb.1151:
	s_cmp_eq_u32 s34, 11
	s_mov_b32 s0, -1
	s_cbranch_scc0 .LBB86_1153
; %bb.1152:
	v_cmp_ne_u16_e32 vcc_lo, 0, v4
	s_mov_b32 s0, 0
	s_mov_b32 s35, -1
	s_wait_xcnt 0x0
	v_cndmask_b32_e64 v2, 0, 1, vcc_lo
	global_store_b8 v[0:1], v2, off
.LBB86_1153:
	s_mov_b32 s34, 0
.LBB86_1154:
	s_delay_alu instid0(SALU_CYCLE_1)
	s_and_b32 vcc_lo, exec_lo, s34
	s_cbranch_vccz .LBB86_1193
; %bb.1155:
	s_and_b32 s33, 0xffff, s33
	s_mov_b32 s34, -1
	s_cmp_lt_i32 s33, 5
	s_cbranch_scc1 .LBB86_1176
; %bb.1156:
	s_cmp_lt_i32 s33, 8
	s_cbranch_scc1 .LBB86_1166
; %bb.1157:
	;; [unrolled: 3-line block ×3, first 2 shown]
	s_cmp_gt_i32 s33, 9
	s_cbranch_scc0 .LBB86_1160
; %bb.1159:
	s_wait_xcnt 0x0
	v_bfe_i32 v2, v4, 0, 16
	v_mov_b32_e32 v8, 0
	s_mov_b32 s34, 0
	s_delay_alu instid0(VALU_DEP_2) | instskip(NEXT) | instid1(VALU_DEP_2)
	v_cvt_f64_i32_e32 v[6:7], v2
	v_mov_b32_e32 v9, v8
	global_store_b128 v[0:1], v[6:9], off
.LBB86_1160:
	s_and_not1_b32 vcc_lo, exec_lo, s34
	s_cbranch_vccnz .LBB86_1162
; %bb.1161:
	s_wait_xcnt 0x0
	v_bfe_i32 v2, v4, 0, 16
	v_mov_b32_e32 v3, 0
	s_delay_alu instid0(VALU_DEP_2)
	v_cvt_f32_i32_e32 v2, v2
	global_store_b64 v[0:1], v[2:3], off
.LBB86_1162:
	s_mov_b32 s34, 0
.LBB86_1163:
	s_delay_alu instid0(SALU_CYCLE_1)
	s_and_not1_b32 vcc_lo, exec_lo, s34
	s_cbranch_vccnz .LBB86_1165
; %bb.1164:
	s_wait_xcnt 0x0
	v_cvt_f16_i16_e32 v2, v4
	s_delay_alu instid0(VALU_DEP_1)
	v_and_b32_e32 v2, 0xffff, v2
	global_store_b32 v[0:1], v2, off
.LBB86_1165:
	s_mov_b32 s34, 0
.LBB86_1166:
	s_delay_alu instid0(SALU_CYCLE_1)
	s_and_not1_b32 vcc_lo, exec_lo, s34
	s_cbranch_vccnz .LBB86_1175
; %bb.1167:
	s_cmp_lt_i32 s33, 6
	s_mov_b32 s34, -1
	s_cbranch_scc1 .LBB86_1173
; %bb.1168:
	s_cmp_gt_i32 s33, 6
	s_cbranch_scc0 .LBB86_1170
; %bb.1169:
	s_wait_xcnt 0x0
	v_bfe_i32 v2, v4, 0, 16
	s_mov_b32 s34, 0
	s_delay_alu instid0(VALU_DEP_1)
	v_cvt_f64_i32_e32 v[2:3], v2
	global_store_b64 v[0:1], v[2:3], off
.LBB86_1170:
	s_and_not1_b32 vcc_lo, exec_lo, s34
	s_cbranch_vccnz .LBB86_1172
; %bb.1171:
	s_wait_xcnt 0x0
	v_bfe_i32 v2, v4, 0, 16
	s_delay_alu instid0(VALU_DEP_1)
	v_cvt_f32_i32_e32 v2, v2
	global_store_b32 v[0:1], v2, off
.LBB86_1172:
	s_mov_b32 s34, 0
.LBB86_1173:
	s_delay_alu instid0(SALU_CYCLE_1)
	s_and_not1_b32 vcc_lo, exec_lo, s34
	s_cbranch_vccnz .LBB86_1175
; %bb.1174:
	s_wait_xcnt 0x0
	v_cvt_f16_i16_e32 v2, v4
	global_store_b16 v[0:1], v2, off
.LBB86_1175:
	s_mov_b32 s34, 0
.LBB86_1176:
	s_delay_alu instid0(SALU_CYCLE_1)
	s_and_not1_b32 vcc_lo, exec_lo, s34
	s_cbranch_vccnz .LBB86_1192
; %bb.1177:
	s_cmp_lt_i32 s33, 2
	s_mov_b32 s34, -1
	s_cbranch_scc1 .LBB86_1187
; %bb.1178:
	s_cmp_lt_i32 s33, 3
	s_cbranch_scc1 .LBB86_1184
; %bb.1179:
	s_wait_xcnt 0x0
	v_bfe_i32 v2, v4, 0, 16
	s_cmp_gt_i32 s33, 3
	s_cbranch_scc0 .LBB86_1181
; %bb.1180:
	s_delay_alu instid0(VALU_DEP_1)
	v_ashrrev_i32_e32 v3, 31, v2
	s_mov_b32 s34, 0
	global_store_b64 v[0:1], v[2:3], off
.LBB86_1181:
	s_and_not1_b32 vcc_lo, exec_lo, s34
	s_cbranch_vccnz .LBB86_1183
; %bb.1182:
	global_store_b32 v[0:1], v2, off
.LBB86_1183:
	s_mov_b32 s34, 0
.LBB86_1184:
	s_delay_alu instid0(SALU_CYCLE_1)
	s_and_not1_b32 vcc_lo, exec_lo, s34
	s_cbranch_vccnz .LBB86_1186
; %bb.1185:
	global_store_b16 v[0:1], v4, off
.LBB86_1186:
	s_mov_b32 s34, 0
.LBB86_1187:
	s_delay_alu instid0(SALU_CYCLE_1)
	s_and_not1_b32 vcc_lo, exec_lo, s34
	s_cbranch_vccnz .LBB86_1192
; %bb.1188:
	s_cmp_gt_i32 s33, 0
	s_mov_b32 s33, -1
	s_cbranch_scc0 .LBB86_1190
; %bb.1189:
	s_mov_b32 s33, 0
	global_store_b8 v[0:1], v4, off
.LBB86_1190:
	s_and_not1_b32 vcc_lo, exec_lo, s33
	s_cbranch_vccnz .LBB86_1192
; %bb.1191:
	global_store_b8 v[0:1], v4, off
.LBB86_1192:
	s_mov_b32 s35, -1
.LBB86_1193:
	s_delay_alu instid0(SALU_CYCLE_1)
	s_and_not1_b32 vcc_lo, exec_lo, s35
	s_cbranch_vccnz .LBB86_1204
; %bb.1194:
	v_add_nc_u32_e32 v18, 0x80, v18
	s_mov_b32 s34, -1
.LBB86_1195:
	s_and_not1_b32 s33, s24, exec_lo
	s_and_b32 s0, s0, exec_lo
	s_and_not1_b32 s35, s25, exec_lo
	s_and_b32 s31, s31, exec_lo
	s_or_b32 s33, s33, s0
	s_or_b32 s31, s35, s31
	s_and_not1_b32 s0, s26, exec_lo
	s_and_b32 s29, s29, exec_lo
	s_and_not1_b32 s35, s23, exec_lo
	s_and_b32 s30, s30, exec_lo
	s_or_b32 s29, s0, s29
	s_or_b32 s0, s35, s30
	s_or_not1_b32 s30, s34, exec_lo
.LBB86_1196:
	s_wait_xcnt 0x0
	s_or_b32 exec_lo, exec_lo, s28
	s_mov_b32 s34, 0
	s_and_saveexec_b32 s28, s30
	s_cbranch_execz .LBB86_1219
; %bb.1197:
	v_cmp_gt_i32_e32 vcc_lo, s18, v18
	s_mov_b32 s30, 0
	s_mov_b32 s34, s0
	s_and_saveexec_b32 s18, vcc_lo
	s_cbranch_execz .LBB86_1218
; %bb.1198:
	s_and_b32 s35, s15, 0xff
	s_delay_alu instid0(SALU_CYCLE_1)
	s_cmp_lt_i32 s35, 23
	s_cbranch_scc1 .LBB86_1202
; %bb.1199:
	s_and_b32 s36, 0xffff, s35
	s_delay_alu instid0(SALU_CYCLE_1)
	s_cmp_gt_i32 s36, 43
	s_cbranch_scc0 .LBB86_1203
; %bb.1200:
	s_cmp_gt_i32 s36, 45
	s_cbranch_scc0 .LBB86_1205
; %bb.1201:
	s_cmp_lg_u32 s36, 46
	s_mov_b32 s37, 0
	s_cselect_b32 s30, -1, 0
	s_and_not1_b32 s34, s0, exec_lo
	s_and_b32 s38, s30, exec_lo
	s_mov_b32 s30, -1
	s_or_b32 s34, s34, s38
	s_branch .LBB86_1206
.LBB86_1202:
	s_mov_b32 s36, -1
	s_mov_b32 s34, s0
	s_branch .LBB86_1212
.LBB86_1203:
	s_mov_b32 s37, -1
	s_mov_b32 s34, s0
	s_branch .LBB86_1209
.LBB86_1204:
	s_mov_b32 s34, 0
	s_branch .LBB86_824
.LBB86_1205:
	s_mov_b32 s37, -1
	s_mov_b32 s34, s0
.LBB86_1206:
	s_and_not1_b32 vcc_lo, exec_lo, s37
	s_cbranch_vccnz .LBB86_1208
; %bb.1207:
	s_cmp_eq_u32 s36, 44
	s_cselect_b32 s30, -1, 0
	s_cmp_lg_u32 s36, 44
	s_cselect_b32 s37, -1, 0
	s_and_not1_b32 s34, s34, exec_lo
	s_and_b32 s37, s37, exec_lo
	s_delay_alu instid0(SALU_CYCLE_1)
	s_or_b32 s34, s34, s37
.LBB86_1208:
	s_mov_b32 s37, 0
.LBB86_1209:
	s_delay_alu instid0(SALU_CYCLE_1)
	s_and_b32 vcc_lo, exec_lo, s37
	s_cbranch_vccz .LBB86_1211
; %bb.1210:
	s_cmp_lt_i32 s36, 30
	s_cselect_b32 s30, -1, 0
	s_cmp_gt_i32 s36, 29
	s_cselect_b32 s36, -1, 0
	s_and_not1_b32 s34, s34, exec_lo
	s_and_b32 s36, s36, exec_lo
	s_delay_alu instid0(SALU_CYCLE_1)
	s_or_b32 s34, s34, s36
.LBB86_1211:
	s_mov_b32 s36, 0
.LBB86_1212:
	s_delay_alu instid0(SALU_CYCLE_1)
	s_and_b32 vcc_lo, exec_lo, s36
	s_cbranch_vccz .LBB86_1217
; %bb.1213:
	s_and_b32 s35, 0xffff, s35
	s_mov_b32 s36, -1
	s_cmp_gt_i32 s35, 14
	s_cbranch_scc0 .LBB86_1215
; %bb.1214:
	s_cmp_eq_u32 s35, 15
	s_cselect_b32 s30, -1, 0
	s_cmp_lg_u32 s35, 15
	s_cselect_b32 s36, -1, 0
	s_and_not1_b32 s34, s34, exec_lo
	s_and_b32 s37, s36, exec_lo
	s_mov_b32 s36, 0
	s_or_b32 s34, s34, s37
.LBB86_1215:
	s_and_not1_b32 vcc_lo, exec_lo, s36
	s_cbranch_vccnz .LBB86_1217
; %bb.1216:
	s_cmp_lt_i32 s35, 12
	s_cselect_b32 s30, -1, 0
	s_cmp_gt_i32 s35, 11
	s_cselect_b32 s35, -1, 0
	s_and_not1_b32 s34, s34, exec_lo
	s_and_b32 s35, s35, exec_lo
	s_delay_alu instid0(SALU_CYCLE_1)
	s_or_b32 s34, s34, s35
.LBB86_1217:
	s_and_not1_b32 s35, s0, exec_lo
	s_and_b32 s34, s34, exec_lo
	s_and_b32 s30, s30, exec_lo
	s_or_b32 s34, s35, s34
.LBB86_1218:
	s_or_b32 exec_lo, exec_lo, s18
	s_delay_alu instid0(SALU_CYCLE_1)
	s_and_not1_b32 s0, s0, exec_lo
	s_and_b32 s18, s34, exec_lo
	s_and_b32 s34, s30, exec_lo
	s_or_b32 s0, s0, s18
.LBB86_1219:
	s_or_b32 exec_lo, exec_lo, s28
	s_delay_alu instid0(SALU_CYCLE_1)
	s_and_not1_b32 s18, s24, exec_lo
	s_and_b32 s24, s33, exec_lo
	s_and_not1_b32 s26, s26, exec_lo
	s_or_b32 s24, s18, s24
	s_and_not1_b32 s18, s25, exec_lo
	s_and_b32 s25, s31, exec_lo
	s_and_b32 s28, s29, exec_lo
	s_or_b32 s25, s18, s25
	s_and_not1_b32 s18, s23, exec_lo
	s_and_b32 s23, s0, exec_lo
	s_or_b32 s26, s26, s28
	s_and_b32 s0, s34, exec_lo
	s_or_b32 s23, s18, s23
.LBB86_1220:
	s_or_b32 exec_lo, exec_lo, s27
	s_delay_alu instid0(SALU_CYCLE_1)
	s_and_not1_b32 s17, s17, exec_lo
	s_and_b32 s18, s24, exec_lo
	s_and_not1_b32 s20, s20, exec_lo
	s_or_b32 s17, s17, s18
	s_and_not1_b32 s18, s19, exec_lo
	s_and_b32 s19, s25, exec_lo
	s_and_b32 s24, s26, exec_lo
	s_or_b32 s19, s18, s19
	s_and_not1_b32 s18, s21, exec_lo
	s_and_b32 s21, s23, exec_lo
	s_or_b32 s20, s20, s24
	s_and_b32 s23, s0, exec_lo
	s_or_b32 s21, s18, s21
.LBB86_1221:
	s_or_b32 exec_lo, exec_lo, s22
	s_mov_b32 s24, 0
	s_mov_b32 s18, 0
	s_and_saveexec_b32 s0, s21
	s_cbranch_execnz .LBB86_1236
.LBB86_1222:
	s_or_b32 exec_lo, exec_lo, s0
	s_mov_b32 s25, 0
	s_mov_b32 s22, 0
                                        ; implicit-def: $sgpr0
                                        ; implicit-def: $vgpr2_vgpr3
                                        ; implicit-def: $vgpr0
	s_and_saveexec_b32 s21, s23
	s_cbranch_execz .LBB86_1230
; %bb.1223:
	s_wait_loadcnt 0x0
	v_mul_lo_u32 v0, v18, s8
	s_and_b32 s0, s13, 0xff
	s_delay_alu instid0(SALU_CYCLE_1) | instskip(NEXT) | instid1(VALU_DEP_1)
	s_cmp_lt_i32 s0, 11
	v_ashrrev_i32_e32 v1, 31, v0
	s_delay_alu instid0(VALU_DEP_1)
	v_add_nc_u64_e32 v[2:3], s[4:5], v[0:1]
	s_cbranch_scc1 .LBB86_1233
; %bb.1224:
	s_and_b32 s22, 0xffff, s0
	s_delay_alu instid0(SALU_CYCLE_1)
	s_cmp_gt_i32 s22, 25
	s_cbranch_scc0 .LBB86_1234
; %bb.1225:
	s_cmp_gt_i32 s22, 28
	s_cbranch_scc0 .LBB86_1235
; %bb.1226:
	;; [unrolled: 3-line block ×4, first 2 shown]
	s_cmp_eq_u32 s22, 46
	s_mov_b32 s26, 0
	s_cbranch_scc0 .LBB86_1239
; %bb.1229:
	global_load_b32 v0, v[2:3], off
	s_mov_b32 s23, 0
	s_mov_b32 s25, -1
	s_wait_loadcnt 0x0
	v_lshlrev_b32_e32 v0, 16, v0
	s_delay_alu instid0(VALU_DEP_1)
	v_cvt_i32_f32_e32 v0, v0
	s_branch .LBB86_1241
.LBB86_1230:
	s_or_b32 exec_lo, exec_lo, s21
	s_and_saveexec_b32 s21, s20
	s_cbranch_execnz .LBB86_1300
.LBB86_1231:
	s_or_b32 exec_lo, exec_lo, s21
	s_and_saveexec_b32 s20, s24
	s_delay_alu instid0(SALU_CYCLE_1)
	s_xor_b32 s20, exec_lo, s20
	s_cbranch_execz .LBB86_1301
.LBB86_1232:
	s_wait_loadcnt 0x0
	global_load_u8 v0, v[2:3], off
	s_or_b32 s22, s22, exec_lo
	s_wait_loadcnt 0x0
	v_cmp_ne_u16_e32 vcc_lo, 0, v0
	v_cndmask_b32_e64 v0, 0, 1, vcc_lo
	s_wait_xcnt 0x0
	s_or_b32 exec_lo, exec_lo, s20
	s_and_saveexec_b32 s20, s25
	s_cbranch_execz .LBB86_1347
	s_branch .LBB86_1302
.LBB86_1233:
	s_mov_b32 s26, -1
	s_mov_b32 s23, s20
                                        ; implicit-def: $vgpr0
	s_branch .LBB86_1299
.LBB86_1234:
	s_mov_b32 s23, s20
                                        ; implicit-def: $vgpr0
	s_cbranch_execnz .LBB86_1268
	s_branch .LBB86_1298
.LBB86_1235:
	s_mov_b32 s26, -1
	s_mov_b32 s23, s20
                                        ; implicit-def: $vgpr0
	s_branch .LBB86_1251
.LBB86_1236:
	s_mov_b32 s18, exec_lo
	s_and_not1_b32 s23, s23, exec_lo
	s_trap 2
	s_branch .LBB86_1222
.LBB86_1237:
	s_mov_b32 s26, -1
	s_mov_b32 s23, s20
                                        ; implicit-def: $vgpr0
	s_branch .LBB86_1246
.LBB86_1238:
	s_mov_b32 s26, -1
	s_mov_b32 s23, s20
	s_branch .LBB86_1240
.LBB86_1239:
	s_mov_b32 s23, -1
.LBB86_1240:
                                        ; implicit-def: $vgpr0
.LBB86_1241:
	s_and_b32 vcc_lo, exec_lo, s26
	s_cbranch_vccz .LBB86_1245
; %bb.1242:
	s_cmp_eq_u32 s22, 44
	s_cbranch_scc0 .LBB86_1244
; %bb.1243:
	global_load_u8 v0, v[2:3], off
	s_mov_b32 s23, 0
	s_mov_b32 s25, -1
	s_wait_loadcnt 0x0
	v_lshlrev_b32_e32 v1, 23, v0
	v_cmp_ne_u32_e32 vcc_lo, 0, v0
	s_delay_alu instid0(VALU_DEP_2) | instskip(NEXT) | instid1(VALU_DEP_1)
	v_cvt_i32_f32_e32 v1, v1
	v_cndmask_b32_e32 v0, 0, v1, vcc_lo
	s_branch .LBB86_1245
.LBB86_1244:
	s_mov_b32 s23, -1
                                        ; implicit-def: $vgpr0
.LBB86_1245:
	s_mov_b32 s26, 0
.LBB86_1246:
	s_delay_alu instid0(SALU_CYCLE_1)
	s_and_b32 vcc_lo, exec_lo, s26
	s_cbranch_vccz .LBB86_1250
; %bb.1247:
	s_cmp_eq_u32 s22, 29
	s_cbranch_scc0 .LBB86_1249
; %bb.1248:
	global_load_b64 v[0:1], v[2:3], off
	s_mov_b32 s23, 0
	s_mov_b32 s25, -1
	s_branch .LBB86_1250
.LBB86_1249:
	s_mov_b32 s23, -1
                                        ; implicit-def: $vgpr0
.LBB86_1250:
	s_mov_b32 s26, 0
.LBB86_1251:
	s_delay_alu instid0(SALU_CYCLE_1)
	s_and_b32 vcc_lo, exec_lo, s26
	s_cbranch_vccz .LBB86_1267
; %bb.1252:
	s_cmp_lt_i32 s22, 27
	s_cbranch_scc1 .LBB86_1255
; %bb.1253:
	s_cmp_gt_i32 s22, 27
	s_cbranch_scc0 .LBB86_1256
; %bb.1254:
	s_wait_loadcnt 0x0
	global_load_b32 v0, v[2:3], off
	s_mov_b32 s25, 0
	s_branch .LBB86_1257
.LBB86_1255:
	s_mov_b32 s25, -1
                                        ; implicit-def: $vgpr0
	s_branch .LBB86_1260
.LBB86_1256:
	s_mov_b32 s25, -1
                                        ; implicit-def: $vgpr0
.LBB86_1257:
	s_delay_alu instid0(SALU_CYCLE_1)
	s_and_not1_b32 vcc_lo, exec_lo, s25
	s_cbranch_vccnz .LBB86_1259
; %bb.1258:
	s_wait_loadcnt 0x0
	global_load_u16 v0, v[2:3], off
.LBB86_1259:
	s_mov_b32 s25, 0
.LBB86_1260:
	s_delay_alu instid0(SALU_CYCLE_1)
	s_and_not1_b32 vcc_lo, exec_lo, s25
	s_cbranch_vccnz .LBB86_1266
; %bb.1261:
	s_wait_loadcnt 0x0
	global_load_u8 v1, v[2:3], off
	s_mov_b32 s26, 0
	s_mov_b32 s25, exec_lo
	s_wait_loadcnt 0x0
	v_cmpx_lt_i16_e32 0x7f, v1
	s_xor_b32 s25, exec_lo, s25
	s_cbranch_execz .LBB86_1277
; %bb.1262:
	v_cmp_ne_u16_e32 vcc_lo, 0x80, v1
	s_and_b32 s26, vcc_lo, exec_lo
	s_and_not1_saveexec_b32 s25, s25
	s_cbranch_execnz .LBB86_1278
.LBB86_1263:
	s_or_b32 exec_lo, exec_lo, s25
	v_mov_b32_e32 v0, 0
	s_and_saveexec_b32 s25, s26
	s_cbranch_execz .LBB86_1265
.LBB86_1264:
	v_and_b32_e32 v0, 0xffff, v1
	s_delay_alu instid0(VALU_DEP_1) | instskip(SKIP_1) | instid1(VALU_DEP_2)
	v_and_b32_e32 v4, 7, v0
	v_bfe_u32 v7, v0, 3, 4
	v_clz_i32_u32_e32 v5, v4
	s_delay_alu instid0(VALU_DEP_2) | instskip(NEXT) | instid1(VALU_DEP_2)
	v_cmp_eq_u32_e32 vcc_lo, 0, v7
	v_min_u32_e32 v5, 32, v5
	s_delay_alu instid0(VALU_DEP_1) | instskip(NEXT) | instid1(VALU_DEP_1)
	v_subrev_nc_u32_e32 v6, 28, v5
	v_dual_lshlrev_b32 v0, v6, v0 :: v_dual_sub_nc_u32 v5, 29, v5
	s_delay_alu instid0(VALU_DEP_1) | instskip(NEXT) | instid1(VALU_DEP_1)
	v_dual_lshlrev_b32 v1, 24, v1 :: v_dual_bitop2_b32 v0, 7, v0 bitop3:0x40
	v_dual_cndmask_b32 v0, v4, v0 :: v_dual_cndmask_b32 v5, v7, v5
	s_delay_alu instid0(VALU_DEP_2) | instskip(NEXT) | instid1(VALU_DEP_2)
	v_and_b32_e32 v1, 0x80000000, v1
	v_lshlrev_b32_e32 v0, 20, v0
	s_delay_alu instid0(VALU_DEP_3) | instskip(NEXT) | instid1(VALU_DEP_1)
	v_lshl_add_u32 v4, v5, 23, 0x3b800000
	v_or3_b32 v0, v1, v4, v0
	s_delay_alu instid0(VALU_DEP_1)
	v_cvt_i32_f32_e32 v0, v0
.LBB86_1265:
	s_or_b32 exec_lo, exec_lo, s25
.LBB86_1266:
	s_mov_b32 s25, -1
.LBB86_1267:
	s_branch .LBB86_1298
.LBB86_1268:
	s_cmp_gt_i32 s22, 22
	s_cbranch_scc0 .LBB86_1276
; %bb.1269:
	s_cmp_lt_i32 s22, 24
	s_cbranch_scc1 .LBB86_1279
; %bb.1270:
	s_cmp_gt_i32 s22, 24
	s_cbranch_scc0 .LBB86_1280
; %bb.1271:
	s_wait_loadcnt 0x0
	global_load_u8 v1, v[2:3], off
	s_mov_b32 s25, 0
	s_mov_b32 s24, exec_lo
	s_wait_loadcnt 0x0
	v_cmpx_lt_i16_e32 0x7f, v1
	s_xor_b32 s24, exec_lo, s24
	s_cbranch_execz .LBB86_1292
; %bb.1272:
	v_cmp_ne_u16_e32 vcc_lo, 0x80, v1
	s_and_b32 s25, vcc_lo, exec_lo
	s_and_not1_saveexec_b32 s24, s24
	s_cbranch_execnz .LBB86_1293
.LBB86_1273:
	s_or_b32 exec_lo, exec_lo, s24
	v_mov_b32_e32 v0, 0
	s_and_saveexec_b32 s24, s25
	s_cbranch_execz .LBB86_1275
.LBB86_1274:
	v_and_b32_e32 v0, 0xffff, v1
	s_delay_alu instid0(VALU_DEP_1) | instskip(SKIP_1) | instid1(VALU_DEP_2)
	v_and_b32_e32 v4, 3, v0
	v_bfe_u32 v7, v0, 2, 5
	v_clz_i32_u32_e32 v5, v4
	s_delay_alu instid0(VALU_DEP_2) | instskip(NEXT) | instid1(VALU_DEP_2)
	v_cmp_eq_u32_e32 vcc_lo, 0, v7
	v_min_u32_e32 v5, 32, v5
	s_delay_alu instid0(VALU_DEP_1) | instskip(NEXT) | instid1(VALU_DEP_1)
	v_subrev_nc_u32_e32 v6, 29, v5
	v_dual_lshlrev_b32 v0, v6, v0 :: v_dual_sub_nc_u32 v5, 30, v5
	s_delay_alu instid0(VALU_DEP_1) | instskip(NEXT) | instid1(VALU_DEP_1)
	v_dual_lshlrev_b32 v1, 24, v1 :: v_dual_bitop2_b32 v0, 3, v0 bitop3:0x40
	v_dual_cndmask_b32 v0, v4, v0 :: v_dual_cndmask_b32 v5, v7, v5
	s_delay_alu instid0(VALU_DEP_2) | instskip(NEXT) | instid1(VALU_DEP_2)
	v_and_b32_e32 v1, 0x80000000, v1
	v_lshlrev_b32_e32 v0, 21, v0
	s_delay_alu instid0(VALU_DEP_3) | instskip(NEXT) | instid1(VALU_DEP_1)
	v_lshl_add_u32 v4, v5, 23, 0x37800000
	v_or3_b32 v0, v1, v4, v0
	s_delay_alu instid0(VALU_DEP_1)
	v_cvt_i32_f32_e32 v0, v0
.LBB86_1275:
	s_or_b32 exec_lo, exec_lo, s24
	s_mov_b32 s24, 0
	s_branch .LBB86_1281
.LBB86_1276:
	s_mov_b32 s24, -1
                                        ; implicit-def: $vgpr0
	s_branch .LBB86_1287
.LBB86_1277:
	s_and_not1_saveexec_b32 s25, s25
	s_cbranch_execz .LBB86_1263
.LBB86_1278:
	v_cmp_ne_u16_e32 vcc_lo, 0, v1
	s_and_not1_b32 s26, s26, exec_lo
	s_and_b32 s27, vcc_lo, exec_lo
	s_delay_alu instid0(SALU_CYCLE_1)
	s_or_b32 s26, s26, s27
	s_or_b32 exec_lo, exec_lo, s25
	v_mov_b32_e32 v0, 0
	s_and_saveexec_b32 s25, s26
	s_cbranch_execnz .LBB86_1264
	s_branch .LBB86_1265
.LBB86_1279:
	s_mov_b32 s24, -1
                                        ; implicit-def: $vgpr0
	s_branch .LBB86_1284
.LBB86_1280:
	s_mov_b32 s24, -1
                                        ; implicit-def: $vgpr0
.LBB86_1281:
	s_delay_alu instid0(SALU_CYCLE_1)
	s_and_b32 vcc_lo, exec_lo, s24
	s_cbranch_vccz .LBB86_1283
; %bb.1282:
	s_wait_loadcnt 0x0
	global_load_u8 v0, v[2:3], off
	s_wait_loadcnt 0x0
	v_lshlrev_b32_e32 v0, 24, v0
	s_delay_alu instid0(VALU_DEP_1) | instskip(NEXT) | instid1(VALU_DEP_1)
	v_and_b32_e32 v1, 0x7f000000, v0
	v_clz_i32_u32_e32 v4, v1
	v_cmp_ne_u32_e32 vcc_lo, 0, v1
	v_add_nc_u32_e32 v6, 0x1000000, v1
	s_delay_alu instid0(VALU_DEP_3) | instskip(NEXT) | instid1(VALU_DEP_1)
	v_min_u32_e32 v4, 32, v4
	v_sub_nc_u32_e64 v4, v4, 4 clamp
	s_delay_alu instid0(VALU_DEP_1) | instskip(NEXT) | instid1(VALU_DEP_1)
	v_dual_lshlrev_b32 v5, v4, v1 :: v_dual_lshlrev_b32 v4, 23, v4
	v_lshrrev_b32_e32 v5, 4, v5
	s_delay_alu instid0(VALU_DEP_1) | instskip(NEXT) | instid1(VALU_DEP_1)
	v_dual_sub_nc_u32 v4, v5, v4 :: v_dual_ashrrev_i32 v5, 8, v6
	v_add_nc_u32_e32 v4, 0x3c000000, v4
	s_delay_alu instid0(VALU_DEP_1) | instskip(NEXT) | instid1(VALU_DEP_1)
	v_and_or_b32 v4, 0x7f800000, v5, v4
	v_cndmask_b32_e32 v1, 0, v4, vcc_lo
	s_delay_alu instid0(VALU_DEP_1) | instskip(NEXT) | instid1(VALU_DEP_1)
	v_and_or_b32 v0, 0x80000000, v0, v1
	v_cvt_i32_f32_e32 v0, v0
.LBB86_1283:
	s_mov_b32 s24, 0
.LBB86_1284:
	s_delay_alu instid0(SALU_CYCLE_1)
	s_and_not1_b32 vcc_lo, exec_lo, s24
	s_cbranch_vccnz .LBB86_1286
; %bb.1285:
	s_wait_loadcnt 0x0
	global_load_u8 v0, v[2:3], off
	s_wait_loadcnt 0x0
	v_lshlrev_b32_e32 v1, 25, v0
	v_lshlrev_b16 v0, 8, v0
	s_delay_alu instid0(VALU_DEP_1) | instskip(SKIP_1) | instid1(VALU_DEP_2)
	v_and_or_b32 v5, 0x7f00, v0, 0.5
	v_bfe_i32 v0, v0, 0, 16
	v_add_f32_e32 v5, -0.5, v5
	v_lshrrev_b32_e32 v4, 4, v1
	v_cmp_gt_u32_e32 vcc_lo, 0x8000000, v1
	s_delay_alu instid0(VALU_DEP_2) | instskip(NEXT) | instid1(VALU_DEP_1)
	v_or_b32_e32 v4, 0x70000000, v4
	v_mul_f32_e32 v4, 0x7800000, v4
	s_delay_alu instid0(VALU_DEP_1) | instskip(NEXT) | instid1(VALU_DEP_1)
	v_cndmask_b32_e32 v1, v4, v5, vcc_lo
	v_and_or_b32 v0, 0x80000000, v0, v1
	s_delay_alu instid0(VALU_DEP_1)
	v_cvt_i32_f32_e32 v0, v0
.LBB86_1286:
	s_mov_b32 s24, 0
	s_mov_b32 s25, -1
.LBB86_1287:
	s_and_not1_b32 vcc_lo, exec_lo, s24
	s_mov_b32 s24, 0
	s_cbranch_vccnz .LBB86_1298
; %bb.1288:
	s_cmp_gt_i32 s22, 14
	s_cbranch_scc0 .LBB86_1291
; %bb.1289:
	s_cmp_eq_u32 s22, 15
	s_cbranch_scc0 .LBB86_1294
; %bb.1290:
	s_wait_loadcnt 0x0
	global_load_u16 v0, v[2:3], off
	s_mov_b32 s23, 0
	s_mov_b32 s25, -1
	s_wait_loadcnt 0x0
	v_lshlrev_b32_e32 v0, 16, v0
	s_delay_alu instid0(VALU_DEP_1)
	v_cvt_i32_f32_e32 v0, v0
	s_branch .LBB86_1296
.LBB86_1291:
	s_mov_b32 s24, -1
	s_branch .LBB86_1295
.LBB86_1292:
	s_and_not1_saveexec_b32 s24, s24
	s_cbranch_execz .LBB86_1273
.LBB86_1293:
	v_cmp_ne_u16_e32 vcc_lo, 0, v1
	s_and_not1_b32 s25, s25, exec_lo
	s_and_b32 s26, vcc_lo, exec_lo
	s_delay_alu instid0(SALU_CYCLE_1)
	s_or_b32 s25, s25, s26
	s_or_b32 exec_lo, exec_lo, s24
	v_mov_b32_e32 v0, 0
	s_and_saveexec_b32 s24, s25
	s_cbranch_execnz .LBB86_1274
	s_branch .LBB86_1275
.LBB86_1294:
	s_mov_b32 s23, -1
.LBB86_1295:
                                        ; implicit-def: $vgpr0
.LBB86_1296:
	s_and_b32 vcc_lo, exec_lo, s24
	s_mov_b32 s24, 0
	s_cbranch_vccz .LBB86_1298
; %bb.1297:
	s_cmp_lg_u32 s22, 11
	s_mov_b32 s24, -1
	s_cselect_b32 s22, -1, 0
	s_and_not1_b32 s23, s23, exec_lo
	s_and_b32 s22, s22, exec_lo
	s_delay_alu instid0(SALU_CYCLE_1)
	s_or_b32 s23, s23, s22
.LBB86_1298:
	s_mov_b32 s26, 0
.LBB86_1299:
	s_and_not1_b32 s20, s20, exec_lo
	s_and_b32 s23, s23, exec_lo
	s_and_b32 s22, s25, exec_lo
	;; [unrolled: 1-line block ×4, first 2 shown]
	s_or_b32 s20, s20, s23
	s_wait_xcnt 0x0
	s_or_b32 exec_lo, exec_lo, s21
	s_and_saveexec_b32 s21, s20
	s_cbranch_execz .LBB86_1231
.LBB86_1300:
	s_or_b32 s18, s18, exec_lo
	s_and_not1_b32 s24, s24, exec_lo
	s_trap 2
	s_or_b32 exec_lo, exec_lo, s21
	s_and_saveexec_b32 s20, s24
	s_delay_alu instid0(SALU_CYCLE_1)
	s_xor_b32 s20, exec_lo, s20
	s_cbranch_execnz .LBB86_1232
.LBB86_1301:
	s_or_b32 exec_lo, exec_lo, s20
	s_and_saveexec_b32 s20, s25
	s_cbranch_execz .LBB86_1347
.LBB86_1302:
	s_sext_i32_i16 s21, s0
	s_delay_alu instid0(SALU_CYCLE_1)
	s_cmp_lt_i32 s21, 5
	s_cbranch_scc1 .LBB86_1307
; %bb.1303:
	s_cmp_lt_i32 s21, 8
	s_cbranch_scc1 .LBB86_1308
; %bb.1304:
	;; [unrolled: 3-line block ×3, first 2 shown]
	s_cmp_gt_i32 s21, 9
	s_cbranch_scc0 .LBB86_1310
; %bb.1306:
	s_wait_loadcnt 0x0
	global_load_b64 v[0:1], v[2:3], off
	s_mov_b32 s21, 0
	s_wait_loadcnt 0x0
	v_cvt_i32_f64_e32 v0, v[0:1]
	s_branch .LBB86_1311
.LBB86_1307:
                                        ; implicit-def: $vgpr0
	s_branch .LBB86_1328
.LBB86_1308:
                                        ; implicit-def: $vgpr0
	s_branch .LBB86_1317
.LBB86_1309:
	s_mov_b32 s21, -1
                                        ; implicit-def: $vgpr0
	s_branch .LBB86_1314
.LBB86_1310:
	s_mov_b32 s21, -1
                                        ; implicit-def: $vgpr0
.LBB86_1311:
	s_delay_alu instid0(SALU_CYCLE_1)
	s_and_not1_b32 vcc_lo, exec_lo, s21
	s_cbranch_vccnz .LBB86_1313
; %bb.1312:
	s_wait_loadcnt 0x0
	global_load_b32 v0, v[2:3], off
	s_wait_loadcnt 0x0
	v_cvt_i32_f32_e32 v0, v0
.LBB86_1313:
	s_mov_b32 s21, 0
.LBB86_1314:
	s_delay_alu instid0(SALU_CYCLE_1)
	s_and_not1_b32 vcc_lo, exec_lo, s21
	s_cbranch_vccnz .LBB86_1316
; %bb.1315:
	s_wait_loadcnt 0x0
	global_load_b32 v0, v[2:3], off
	s_wait_loadcnt 0x0
	v_cvt_i16_f16_e32 v0, v0
.LBB86_1316:
	s_cbranch_execnz .LBB86_1327
.LBB86_1317:
	s_sext_i32_i16 s21, s0
	s_delay_alu instid0(SALU_CYCLE_1)
	s_cmp_lt_i32 s21, 6
	s_cbranch_scc1 .LBB86_1320
; %bb.1318:
	s_cmp_gt_i32 s21, 6
	s_cbranch_scc0 .LBB86_1321
; %bb.1319:
	s_wait_loadcnt 0x0
	global_load_b64 v[0:1], v[2:3], off
	s_mov_b32 s21, 0
	s_wait_loadcnt 0x0
	v_cvt_i32_f64_e32 v0, v[0:1]
	s_branch .LBB86_1322
.LBB86_1320:
	s_mov_b32 s21, -1
                                        ; implicit-def: $vgpr0
	s_branch .LBB86_1325
.LBB86_1321:
	s_mov_b32 s21, -1
                                        ; implicit-def: $vgpr0
.LBB86_1322:
	s_delay_alu instid0(SALU_CYCLE_1)
	s_and_not1_b32 vcc_lo, exec_lo, s21
	s_cbranch_vccnz .LBB86_1324
; %bb.1323:
	s_wait_loadcnt 0x0
	global_load_b32 v0, v[2:3], off
	s_wait_loadcnt 0x0
	v_cvt_i32_f32_e32 v0, v0
.LBB86_1324:
	s_mov_b32 s21, 0
.LBB86_1325:
	s_delay_alu instid0(SALU_CYCLE_1)
	s_and_not1_b32 vcc_lo, exec_lo, s21
	s_cbranch_vccnz .LBB86_1327
; %bb.1326:
	s_wait_loadcnt 0x0
	global_load_u16 v0, v[2:3], off
	s_wait_loadcnt 0x0
	v_cvt_i16_f16_e32 v0, v0
.LBB86_1327:
	s_cbranch_execnz .LBB86_1346
.LBB86_1328:
	s_sext_i32_i16 s21, s0
	s_delay_alu instid0(SALU_CYCLE_1)
	s_cmp_lt_i32 s21, 2
	s_cbranch_scc1 .LBB86_1332
; %bb.1329:
	s_cmp_lt_i32 s21, 3
	s_cbranch_scc1 .LBB86_1333
; %bb.1330:
	s_cmp_gt_i32 s21, 3
	s_cbranch_scc0 .LBB86_1334
; %bb.1331:
	s_wait_loadcnt 0x0
	global_load_b64 v[0:1], v[2:3], off
	s_mov_b32 s21, 0
	s_branch .LBB86_1335
.LBB86_1332:
                                        ; implicit-def: $vgpr0
	s_branch .LBB86_1341
.LBB86_1333:
	s_mov_b32 s21, -1
                                        ; implicit-def: $vgpr0
	s_branch .LBB86_1338
.LBB86_1334:
	s_mov_b32 s21, -1
                                        ; implicit-def: $vgpr0
.LBB86_1335:
	s_delay_alu instid0(SALU_CYCLE_1)
	s_and_not1_b32 vcc_lo, exec_lo, s21
	s_cbranch_vccnz .LBB86_1337
; %bb.1336:
	s_wait_loadcnt 0x0
	global_load_b32 v0, v[2:3], off
.LBB86_1337:
	s_mov_b32 s21, 0
.LBB86_1338:
	s_delay_alu instid0(SALU_CYCLE_1)
	s_and_not1_b32 vcc_lo, exec_lo, s21
	s_cbranch_vccnz .LBB86_1340
; %bb.1339:
	s_wait_loadcnt 0x0
	global_load_u16 v0, v[2:3], off
.LBB86_1340:
	s_cbranch_execnz .LBB86_1346
.LBB86_1341:
	s_sext_i32_i16 s0, s0
	s_delay_alu instid0(SALU_CYCLE_1)
	s_cmp_gt_i32 s0, 0
	s_mov_b32 s0, 0
	s_cbranch_scc0 .LBB86_1343
; %bb.1342:
	s_wait_loadcnt 0x0
	global_load_i8 v0, v[2:3], off
	s_branch .LBB86_1344
.LBB86_1343:
	s_mov_b32 s0, -1
                                        ; implicit-def: $vgpr0
.LBB86_1344:
	s_delay_alu instid0(SALU_CYCLE_1)
	s_and_not1_b32 vcc_lo, exec_lo, s0
	s_cbranch_vccnz .LBB86_1346
; %bb.1345:
	s_wait_loadcnt 0x0
	global_load_u8 v0, v[2:3], off
.LBB86_1346:
	s_or_b32 s22, s22, exec_lo
.LBB86_1347:
	s_wait_xcnt 0x0
	s_or_b32 exec_lo, exec_lo, s20
	s_mov_b32 s21, 0
	s_mov_b32 s20, 0
	;; [unrolled: 1-line block ×3, first 2 shown]
                                        ; implicit-def: $vgpr2_vgpr3
                                        ; implicit-def: $vgpr4
	s_and_saveexec_b32 s0, s22
	s_cbranch_execz .LBB86_1355
; %bb.1348:
	v_mul_lo_u32 v2, v18, s9
	s_and_b32 s20, 0xffff, s1
	s_delay_alu instid0(SALU_CYCLE_1) | instskip(NEXT) | instid1(VALU_DEP_1)
	s_cmp_lt_i32 s20, 11
	v_ashrrev_i32_e32 v3, 31, v2
	s_delay_alu instid0(VALU_DEP_1)
	v_add_nc_u64_e32 v[2:3], s[6:7], v[2:3]
	s_cbranch_scc1 .LBB86_1358
; %bb.1349:
	s_cmp_gt_i32 s20, 25
	s_mov_b32 s22, 0
	s_cbranch_scc0 .LBB86_1359
; %bb.1350:
	s_cmp_gt_i32 s20, 28
	s_cbranch_scc0 .LBB86_1360
; %bb.1351:
	s_cmp_gt_i32 s20, 43
	;; [unrolled: 3-line block ×3, first 2 shown]
	s_cbranch_scc0 .LBB86_1362
; %bb.1353:
	s_cmp_eq_u32 s20, 46
	s_mov_b32 s24, 0
	s_cbranch_scc0 .LBB86_1363
; %bb.1354:
	s_wait_loadcnt 0x0
	global_load_b32 v1, v[2:3], off
	s_mov_b32 s23, -1
	s_wait_loadcnt 0x0
	v_lshlrev_b32_e32 v1, 16, v1
	s_delay_alu instid0(VALU_DEP_1)
	v_cvt_i32_f32_e32 v4, v1
	s_branch .LBB86_1365
.LBB86_1355:
	s_or_b32 exec_lo, exec_lo, s0
	s_and_saveexec_b32 s0, s19
	s_cbranch_execnz .LBB86_1424
.LBB86_1356:
	s_or_b32 exec_lo, exec_lo, s0
	s_and_saveexec_b32 s0, s21
	s_delay_alu instid0(SALU_CYCLE_1)
	s_xor_b32 s0, exec_lo, s0
	s_cbranch_execz .LBB86_1425
.LBB86_1357:
	s_wait_loadcnt 0x0
	global_load_u8 v1, v[2:3], off
	s_or_b32 s23, s23, exec_lo
	s_wait_loadcnt 0x0
	v_cmp_ne_u16_e32 vcc_lo, 0, v1
	v_cndmask_b32_e64 v4, 0, 1, vcc_lo
	s_wait_xcnt 0x0
	s_or_b32 exec_lo, exec_lo, s0
	s_and_saveexec_b32 s0, s20
	s_cbranch_execz .LBB86_1471
	s_branch .LBB86_1426
.LBB86_1358:
	s_mov_b32 s20, -1
	s_mov_b32 s22, 0
	s_mov_b32 s21, s19
                                        ; implicit-def: $vgpr4
	s_branch .LBB86_1423
.LBB86_1359:
	s_mov_b32 s21, s19
                                        ; implicit-def: $vgpr4
	s_cbranch_execnz .LBB86_1392
	s_branch .LBB86_1422
.LBB86_1360:
	s_mov_b32 s24, -1
	s_mov_b32 s21, s19
                                        ; implicit-def: $vgpr4
	s_branch .LBB86_1375
.LBB86_1361:
	s_mov_b32 s24, -1
	s_mov_b32 s21, s19
                                        ; implicit-def: $vgpr4
	s_branch .LBB86_1370
.LBB86_1362:
	s_mov_b32 s24, -1
	s_mov_b32 s21, s19
	s_branch .LBB86_1364
.LBB86_1363:
	s_mov_b32 s21, -1
.LBB86_1364:
                                        ; implicit-def: $vgpr4
.LBB86_1365:
	s_and_b32 vcc_lo, exec_lo, s24
	s_cbranch_vccz .LBB86_1369
; %bb.1366:
	s_cmp_eq_u32 s20, 44
	s_cbranch_scc0 .LBB86_1368
; %bb.1367:
	s_wait_loadcnt 0x0
	global_load_u8 v1, v[2:3], off
	s_mov_b32 s21, 0
	s_mov_b32 s23, -1
	s_wait_loadcnt 0x0
	v_lshlrev_b32_e32 v4, 23, v1
	v_cmp_ne_u32_e32 vcc_lo, 0, v1
	s_delay_alu instid0(VALU_DEP_2) | instskip(NEXT) | instid1(VALU_DEP_1)
	v_cvt_i32_f32_e32 v4, v4
	v_cndmask_b32_e32 v4, 0, v4, vcc_lo
	s_branch .LBB86_1369
.LBB86_1368:
	s_mov_b32 s21, -1
                                        ; implicit-def: $vgpr4
.LBB86_1369:
	s_mov_b32 s24, 0
.LBB86_1370:
	s_delay_alu instid0(SALU_CYCLE_1)
	s_and_b32 vcc_lo, exec_lo, s24
	s_cbranch_vccz .LBB86_1374
; %bb.1371:
	s_cmp_eq_u32 s20, 29
	s_cbranch_scc0 .LBB86_1373
; %bb.1372:
	s_wait_loadcnt 0x0
	global_load_b64 v[4:5], v[2:3], off
	s_mov_b32 s21, 0
	s_mov_b32 s23, -1
	s_branch .LBB86_1374
.LBB86_1373:
	s_mov_b32 s21, -1
                                        ; implicit-def: $vgpr4
.LBB86_1374:
	s_mov_b32 s24, 0
.LBB86_1375:
	s_delay_alu instid0(SALU_CYCLE_1)
	s_and_b32 vcc_lo, exec_lo, s24
	s_cbranch_vccz .LBB86_1391
; %bb.1376:
	s_cmp_lt_i32 s20, 27
	s_cbranch_scc1 .LBB86_1379
; %bb.1377:
	s_cmp_gt_i32 s20, 27
	s_cbranch_scc0 .LBB86_1380
; %bb.1378:
	s_wait_loadcnt 0x0
	global_load_b32 v4, v[2:3], off
	s_mov_b32 s23, 0
	s_branch .LBB86_1381
.LBB86_1379:
	s_mov_b32 s23, -1
                                        ; implicit-def: $vgpr4
	s_branch .LBB86_1384
.LBB86_1380:
	s_mov_b32 s23, -1
                                        ; implicit-def: $vgpr4
.LBB86_1381:
	s_delay_alu instid0(SALU_CYCLE_1)
	s_and_not1_b32 vcc_lo, exec_lo, s23
	s_cbranch_vccnz .LBB86_1383
; %bb.1382:
	s_wait_loadcnt 0x0
	global_load_u16 v4, v[2:3], off
.LBB86_1383:
	s_mov_b32 s23, 0
.LBB86_1384:
	s_delay_alu instid0(SALU_CYCLE_1)
	s_and_not1_b32 vcc_lo, exec_lo, s23
	s_cbranch_vccnz .LBB86_1390
; %bb.1385:
	s_wait_loadcnt 0x0
	global_load_u8 v1, v[2:3], off
	s_mov_b32 s24, 0
	s_mov_b32 s23, exec_lo
	s_wait_loadcnt 0x0
	v_cmpx_lt_i16_e32 0x7f, v1
	s_xor_b32 s23, exec_lo, s23
	s_cbranch_execz .LBB86_1401
; %bb.1386:
	v_cmp_ne_u16_e32 vcc_lo, 0x80, v1
	s_and_b32 s24, vcc_lo, exec_lo
	s_and_not1_saveexec_b32 s23, s23
	s_cbranch_execnz .LBB86_1402
.LBB86_1387:
	s_or_b32 exec_lo, exec_lo, s23
	v_mov_b32_e32 v4, 0
	s_and_saveexec_b32 s23, s24
	s_cbranch_execz .LBB86_1389
.LBB86_1388:
	v_and_b32_e32 v4, 0xffff, v1
	s_delay_alu instid0(VALU_DEP_1) | instskip(SKIP_1) | instid1(VALU_DEP_2)
	v_and_b32_e32 v5, 7, v4
	v_bfe_u32 v8, v4, 3, 4
	v_clz_i32_u32_e32 v6, v5
	s_delay_alu instid0(VALU_DEP_2) | instskip(NEXT) | instid1(VALU_DEP_2)
	v_cmp_eq_u32_e32 vcc_lo, 0, v8
	v_min_u32_e32 v6, 32, v6
	s_delay_alu instid0(VALU_DEP_1) | instskip(NEXT) | instid1(VALU_DEP_1)
	v_subrev_nc_u32_e32 v7, 28, v6
	v_dual_lshlrev_b32 v4, v7, v4 :: v_dual_sub_nc_u32 v6, 29, v6
	s_delay_alu instid0(VALU_DEP_1) | instskip(NEXT) | instid1(VALU_DEP_1)
	v_dual_lshlrev_b32 v1, 24, v1 :: v_dual_bitop2_b32 v4, 7, v4 bitop3:0x40
	v_dual_cndmask_b32 v6, v8, v6, vcc_lo :: v_dual_cndmask_b32 v4, v5, v4, vcc_lo
	s_delay_alu instid0(VALU_DEP_2) | instskip(NEXT) | instid1(VALU_DEP_2)
	v_and_b32_e32 v1, 0x80000000, v1
	v_lshl_add_u32 v5, v6, 23, 0x3b800000
	s_delay_alu instid0(VALU_DEP_3) | instskip(NEXT) | instid1(VALU_DEP_1)
	v_lshlrev_b32_e32 v4, 20, v4
	v_or3_b32 v1, v1, v5, v4
	s_delay_alu instid0(VALU_DEP_1)
	v_cvt_i32_f32_e32 v4, v1
.LBB86_1389:
	s_or_b32 exec_lo, exec_lo, s23
.LBB86_1390:
	s_mov_b32 s23, -1
.LBB86_1391:
	s_branch .LBB86_1422
.LBB86_1392:
	s_cmp_gt_i32 s20, 22
	s_cbranch_scc0 .LBB86_1400
; %bb.1393:
	s_cmp_lt_i32 s20, 24
	s_cbranch_scc1 .LBB86_1403
; %bb.1394:
	s_cmp_gt_i32 s20, 24
	s_cbranch_scc0 .LBB86_1404
; %bb.1395:
	s_wait_loadcnt 0x0
	global_load_u8 v1, v[2:3], off
	s_mov_b32 s23, 0
	s_mov_b32 s22, exec_lo
	s_wait_loadcnt 0x0
	v_cmpx_lt_i16_e32 0x7f, v1
	s_xor_b32 s22, exec_lo, s22
	s_cbranch_execz .LBB86_1416
; %bb.1396:
	v_cmp_ne_u16_e32 vcc_lo, 0x80, v1
	s_and_b32 s23, vcc_lo, exec_lo
	s_and_not1_saveexec_b32 s22, s22
	s_cbranch_execnz .LBB86_1417
.LBB86_1397:
	s_or_b32 exec_lo, exec_lo, s22
	v_mov_b32_e32 v4, 0
	s_and_saveexec_b32 s22, s23
	s_cbranch_execz .LBB86_1399
.LBB86_1398:
	v_and_b32_e32 v4, 0xffff, v1
	s_delay_alu instid0(VALU_DEP_1) | instskip(SKIP_1) | instid1(VALU_DEP_2)
	v_and_b32_e32 v5, 3, v4
	v_bfe_u32 v8, v4, 2, 5
	v_clz_i32_u32_e32 v6, v5
	s_delay_alu instid0(VALU_DEP_2) | instskip(NEXT) | instid1(VALU_DEP_2)
	v_cmp_eq_u32_e32 vcc_lo, 0, v8
	v_min_u32_e32 v6, 32, v6
	s_delay_alu instid0(VALU_DEP_1) | instskip(NEXT) | instid1(VALU_DEP_1)
	v_subrev_nc_u32_e32 v7, 29, v6
	v_dual_lshlrev_b32 v4, v7, v4 :: v_dual_sub_nc_u32 v6, 30, v6
	s_delay_alu instid0(VALU_DEP_1) | instskip(NEXT) | instid1(VALU_DEP_1)
	v_dual_lshlrev_b32 v1, 24, v1 :: v_dual_bitop2_b32 v4, 3, v4 bitop3:0x40
	v_dual_cndmask_b32 v6, v8, v6, vcc_lo :: v_dual_cndmask_b32 v4, v5, v4, vcc_lo
	s_delay_alu instid0(VALU_DEP_2) | instskip(NEXT) | instid1(VALU_DEP_2)
	v_and_b32_e32 v1, 0x80000000, v1
	v_lshl_add_u32 v5, v6, 23, 0x37800000
	s_delay_alu instid0(VALU_DEP_3) | instskip(NEXT) | instid1(VALU_DEP_1)
	v_lshlrev_b32_e32 v4, 21, v4
	v_or3_b32 v1, v1, v5, v4
	s_delay_alu instid0(VALU_DEP_1)
	v_cvt_i32_f32_e32 v4, v1
.LBB86_1399:
	s_or_b32 exec_lo, exec_lo, s22
	s_mov_b32 s22, 0
	s_branch .LBB86_1405
.LBB86_1400:
	s_mov_b32 s22, -1
                                        ; implicit-def: $vgpr4
	s_branch .LBB86_1411
.LBB86_1401:
	s_and_not1_saveexec_b32 s23, s23
	s_cbranch_execz .LBB86_1387
.LBB86_1402:
	v_cmp_ne_u16_e32 vcc_lo, 0, v1
	s_and_not1_b32 s24, s24, exec_lo
	s_and_b32 s25, vcc_lo, exec_lo
	s_delay_alu instid0(SALU_CYCLE_1)
	s_or_b32 s24, s24, s25
	s_or_b32 exec_lo, exec_lo, s23
	v_mov_b32_e32 v4, 0
	s_and_saveexec_b32 s23, s24
	s_cbranch_execnz .LBB86_1388
	s_branch .LBB86_1389
.LBB86_1403:
	s_mov_b32 s22, -1
                                        ; implicit-def: $vgpr4
	s_branch .LBB86_1408
.LBB86_1404:
	s_mov_b32 s22, -1
                                        ; implicit-def: $vgpr4
.LBB86_1405:
	s_delay_alu instid0(SALU_CYCLE_1)
	s_and_b32 vcc_lo, exec_lo, s22
	s_cbranch_vccz .LBB86_1407
; %bb.1406:
	s_wait_loadcnt 0x0
	global_load_u8 v1, v[2:3], off
	s_wait_loadcnt 0x0
	v_lshlrev_b32_e32 v1, 24, v1
	s_delay_alu instid0(VALU_DEP_1) | instskip(NEXT) | instid1(VALU_DEP_1)
	v_and_b32_e32 v4, 0x7f000000, v1
	v_clz_i32_u32_e32 v5, v4
	v_cmp_ne_u32_e32 vcc_lo, 0, v4
	v_add_nc_u32_e32 v7, 0x1000000, v4
	s_delay_alu instid0(VALU_DEP_3) | instskip(NEXT) | instid1(VALU_DEP_1)
	v_min_u32_e32 v5, 32, v5
	v_sub_nc_u32_e64 v5, v5, 4 clamp
	s_delay_alu instid0(VALU_DEP_1) | instskip(NEXT) | instid1(VALU_DEP_1)
	v_dual_lshlrev_b32 v6, v5, v4 :: v_dual_lshlrev_b32 v5, 23, v5
	v_lshrrev_b32_e32 v6, 4, v6
	s_delay_alu instid0(VALU_DEP_1) | instskip(NEXT) | instid1(VALU_DEP_1)
	v_dual_sub_nc_u32 v5, v6, v5 :: v_dual_ashrrev_i32 v6, 8, v7
	v_add_nc_u32_e32 v5, 0x3c000000, v5
	s_delay_alu instid0(VALU_DEP_1) | instskip(NEXT) | instid1(VALU_DEP_1)
	v_and_or_b32 v5, 0x7f800000, v6, v5
	v_cndmask_b32_e32 v4, 0, v5, vcc_lo
	s_delay_alu instid0(VALU_DEP_1) | instskip(NEXT) | instid1(VALU_DEP_1)
	v_and_or_b32 v1, 0x80000000, v1, v4
	v_cvt_i32_f32_e32 v4, v1
.LBB86_1407:
	s_mov_b32 s22, 0
.LBB86_1408:
	s_delay_alu instid0(SALU_CYCLE_1)
	s_and_not1_b32 vcc_lo, exec_lo, s22
	s_cbranch_vccnz .LBB86_1410
; %bb.1409:
	s_wait_loadcnt 0x0
	global_load_u8 v1, v[2:3], off
	s_wait_loadcnt 0x0
	v_lshlrev_b32_e32 v4, 25, v1
	v_lshlrev_b16 v1, 8, v1
	s_delay_alu instid0(VALU_DEP_1) | instskip(SKIP_1) | instid1(VALU_DEP_2)
	v_and_or_b32 v6, 0x7f00, v1, 0.5
	v_bfe_i32 v1, v1, 0, 16
	v_dual_add_f32 v6, -0.5, v6 :: v_dual_lshrrev_b32 v5, 4, v4
	v_cmp_gt_u32_e32 vcc_lo, 0x8000000, v4
	s_delay_alu instid0(VALU_DEP_2) | instskip(NEXT) | instid1(VALU_DEP_1)
	v_or_b32_e32 v5, 0x70000000, v5
	v_mul_f32_e32 v5, 0x7800000, v5
	s_delay_alu instid0(VALU_DEP_1) | instskip(NEXT) | instid1(VALU_DEP_1)
	v_cndmask_b32_e32 v4, v5, v6, vcc_lo
	v_and_or_b32 v1, 0x80000000, v1, v4
	s_delay_alu instid0(VALU_DEP_1)
	v_cvt_i32_f32_e32 v4, v1
.LBB86_1410:
	s_mov_b32 s22, 0
	s_mov_b32 s23, -1
.LBB86_1411:
	s_and_not1_b32 vcc_lo, exec_lo, s22
	s_mov_b32 s22, 0
	s_cbranch_vccnz .LBB86_1422
; %bb.1412:
	s_cmp_gt_i32 s20, 14
	s_cbranch_scc0 .LBB86_1415
; %bb.1413:
	s_cmp_eq_u32 s20, 15
	s_cbranch_scc0 .LBB86_1418
; %bb.1414:
	s_wait_loadcnt 0x0
	global_load_u16 v1, v[2:3], off
	s_mov_b32 s21, 0
	s_mov_b32 s23, -1
	s_wait_loadcnt 0x0
	v_lshlrev_b32_e32 v1, 16, v1
	s_delay_alu instid0(VALU_DEP_1)
	v_cvt_i32_f32_e32 v4, v1
	s_branch .LBB86_1420
.LBB86_1415:
	s_mov_b32 s22, -1
	s_branch .LBB86_1419
.LBB86_1416:
	s_and_not1_saveexec_b32 s22, s22
	s_cbranch_execz .LBB86_1397
.LBB86_1417:
	v_cmp_ne_u16_e32 vcc_lo, 0, v1
	s_and_not1_b32 s23, s23, exec_lo
	s_and_b32 s24, vcc_lo, exec_lo
	s_delay_alu instid0(SALU_CYCLE_1)
	s_or_b32 s23, s23, s24
	s_or_b32 exec_lo, exec_lo, s22
	v_mov_b32_e32 v4, 0
	s_and_saveexec_b32 s22, s23
	s_cbranch_execnz .LBB86_1398
	s_branch .LBB86_1399
.LBB86_1418:
	s_mov_b32 s21, -1
.LBB86_1419:
                                        ; implicit-def: $vgpr4
.LBB86_1420:
	s_and_b32 vcc_lo, exec_lo, s22
	s_mov_b32 s22, 0
	s_cbranch_vccz .LBB86_1422
; %bb.1421:
	s_cmp_lg_u32 s20, 11
	s_mov_b32 s22, -1
	s_cselect_b32 s20, -1, 0
	s_and_not1_b32 s21, s21, exec_lo
	s_and_b32 s20, s20, exec_lo
	s_delay_alu instid0(SALU_CYCLE_1)
	s_or_b32 s21, s21, s20
.LBB86_1422:
	s_mov_b32 s20, 0
.LBB86_1423:
	s_and_not1_b32 s19, s19, exec_lo
	s_and_b32 s24, s21, exec_lo
	s_and_b32 s23, s23, exec_lo
	;; [unrolled: 1-line block ×4, first 2 shown]
	s_or_b32 s19, s19, s24
	s_wait_xcnt 0x0
	s_or_b32 exec_lo, exec_lo, s0
	s_and_saveexec_b32 s0, s19
	s_cbranch_execz .LBB86_1356
.LBB86_1424:
	s_or_b32 s18, s18, exec_lo
	s_and_not1_b32 s21, s21, exec_lo
	s_trap 2
	s_or_b32 exec_lo, exec_lo, s0
	s_and_saveexec_b32 s0, s21
	s_delay_alu instid0(SALU_CYCLE_1)
	s_xor_b32 s0, exec_lo, s0
	s_cbranch_execnz .LBB86_1357
.LBB86_1425:
	s_or_b32 exec_lo, exec_lo, s0
	s_and_saveexec_b32 s0, s20
	s_cbranch_execz .LBB86_1471
.LBB86_1426:
	s_sext_i32_i16 s19, s1
	s_delay_alu instid0(SALU_CYCLE_1)
	s_cmp_lt_i32 s19, 5
	s_cbranch_scc1 .LBB86_1431
; %bb.1427:
	s_cmp_lt_i32 s19, 8
	s_cbranch_scc1 .LBB86_1432
; %bb.1428:
	;; [unrolled: 3-line block ×3, first 2 shown]
	s_cmp_gt_i32 s19, 9
	s_cbranch_scc0 .LBB86_1434
; %bb.1430:
	s_wait_loadcnt 0x0
	global_load_b64 v[4:5], v[2:3], off
	s_mov_b32 s19, 0
	s_wait_loadcnt 0x0
	v_cvt_i32_f64_e32 v4, v[4:5]
	s_branch .LBB86_1435
.LBB86_1431:
                                        ; implicit-def: $vgpr4
	s_branch .LBB86_1452
.LBB86_1432:
                                        ; implicit-def: $vgpr4
	s_branch .LBB86_1441
.LBB86_1433:
	s_mov_b32 s19, -1
                                        ; implicit-def: $vgpr4
	s_branch .LBB86_1438
.LBB86_1434:
	s_mov_b32 s19, -1
                                        ; implicit-def: $vgpr4
.LBB86_1435:
	s_delay_alu instid0(SALU_CYCLE_1)
	s_and_not1_b32 vcc_lo, exec_lo, s19
	s_cbranch_vccnz .LBB86_1437
; %bb.1436:
	s_wait_loadcnt 0x0
	global_load_b32 v1, v[2:3], off
	s_wait_loadcnt 0x0
	v_cvt_i32_f32_e32 v4, v1
.LBB86_1437:
	s_mov_b32 s19, 0
.LBB86_1438:
	s_delay_alu instid0(SALU_CYCLE_1)
	s_and_not1_b32 vcc_lo, exec_lo, s19
	s_cbranch_vccnz .LBB86_1440
; %bb.1439:
	s_wait_loadcnt 0x0
	global_load_b32 v1, v[2:3], off
	s_wait_loadcnt 0x0
	v_cvt_i16_f16_e32 v4, v1
.LBB86_1440:
	s_cbranch_execnz .LBB86_1451
.LBB86_1441:
	s_sext_i32_i16 s19, s1
	s_delay_alu instid0(SALU_CYCLE_1)
	s_cmp_lt_i32 s19, 6
	s_cbranch_scc1 .LBB86_1444
; %bb.1442:
	s_cmp_gt_i32 s19, 6
	s_cbranch_scc0 .LBB86_1445
; %bb.1443:
	s_wait_loadcnt 0x0
	global_load_b64 v[4:5], v[2:3], off
	s_mov_b32 s19, 0
	s_wait_loadcnt 0x0
	v_cvt_i32_f64_e32 v4, v[4:5]
	s_branch .LBB86_1446
.LBB86_1444:
	s_mov_b32 s19, -1
                                        ; implicit-def: $vgpr4
	s_branch .LBB86_1449
.LBB86_1445:
	s_mov_b32 s19, -1
                                        ; implicit-def: $vgpr4
.LBB86_1446:
	s_delay_alu instid0(SALU_CYCLE_1)
	s_and_not1_b32 vcc_lo, exec_lo, s19
	s_cbranch_vccnz .LBB86_1448
; %bb.1447:
	s_wait_loadcnt 0x0
	global_load_b32 v1, v[2:3], off
	s_wait_loadcnt 0x0
	v_cvt_i32_f32_e32 v4, v1
.LBB86_1448:
	s_mov_b32 s19, 0
.LBB86_1449:
	s_delay_alu instid0(SALU_CYCLE_1)
	s_and_not1_b32 vcc_lo, exec_lo, s19
	s_cbranch_vccnz .LBB86_1451
; %bb.1450:
	s_wait_loadcnt 0x0
	global_load_u16 v1, v[2:3], off
	s_wait_loadcnt 0x0
	v_cvt_i16_f16_e32 v4, v1
.LBB86_1451:
	s_cbranch_execnz .LBB86_1470
.LBB86_1452:
	s_sext_i32_i16 s19, s1
	s_delay_alu instid0(SALU_CYCLE_1)
	s_cmp_lt_i32 s19, 2
	s_cbranch_scc1 .LBB86_1456
; %bb.1453:
	s_cmp_lt_i32 s19, 3
	s_cbranch_scc1 .LBB86_1457
; %bb.1454:
	s_cmp_gt_i32 s19, 3
	s_cbranch_scc0 .LBB86_1458
; %bb.1455:
	s_wait_loadcnt 0x0
	global_load_b64 v[4:5], v[2:3], off
	s_mov_b32 s19, 0
	s_branch .LBB86_1459
.LBB86_1456:
                                        ; implicit-def: $vgpr4
	s_branch .LBB86_1465
.LBB86_1457:
	s_mov_b32 s19, -1
                                        ; implicit-def: $vgpr4
	s_branch .LBB86_1462
.LBB86_1458:
	s_mov_b32 s19, -1
                                        ; implicit-def: $vgpr4
.LBB86_1459:
	s_delay_alu instid0(SALU_CYCLE_1)
	s_and_not1_b32 vcc_lo, exec_lo, s19
	s_cbranch_vccnz .LBB86_1461
; %bb.1460:
	s_wait_loadcnt 0x0
	global_load_b32 v4, v[2:3], off
.LBB86_1461:
	s_mov_b32 s19, 0
.LBB86_1462:
	s_delay_alu instid0(SALU_CYCLE_1)
	s_and_not1_b32 vcc_lo, exec_lo, s19
	s_cbranch_vccnz .LBB86_1464
; %bb.1463:
	s_wait_loadcnt 0x0
	global_load_u16 v4, v[2:3], off
.LBB86_1464:
	s_cbranch_execnz .LBB86_1470
.LBB86_1465:
	s_sext_i32_i16 s19, s1
	s_delay_alu instid0(SALU_CYCLE_1)
	s_cmp_gt_i32 s19, 0
	s_mov_b32 s19, 0
	s_cbranch_scc0 .LBB86_1467
; %bb.1466:
	s_wait_loadcnt 0x0
	global_load_i8 v4, v[2:3], off
	s_branch .LBB86_1468
.LBB86_1467:
	s_mov_b32 s19, -1
                                        ; implicit-def: $vgpr4
.LBB86_1468:
	s_delay_alu instid0(SALU_CYCLE_1)
	s_and_not1_b32 vcc_lo, exec_lo, s19
	s_cbranch_vccnz .LBB86_1470
; %bb.1469:
	s_wait_loadcnt 0x0
	global_load_u8 v4, v[2:3], off
.LBB86_1470:
	s_or_b32 s23, s23, exec_lo
.LBB86_1471:
	s_wait_xcnt 0x0
	s_or_b32 exec_lo, exec_lo, s0
	s_mov_b32 s0, 0
	s_mov_b32 s21, 0
                                        ; implicit-def: $sgpr19
                                        ; implicit-def: $vgpr2_vgpr3
                                        ; implicit-def: $vgpr5
	s_and_saveexec_b32 s20, s23
	s_cbranch_execz .LBB86_1479
; %bb.1472:
	v_mul_lo_u32 v2, v18, s11
	s_wait_loadcnt 0x0
	v_mul_lo_u16 v0, v0, s10
	s_and_b32 s19, s12, 0xff
	s_delay_alu instid0(SALU_CYCLE_1) | instskip(NEXT) | instid1(VALU_DEP_1)
	s_cmp_lt_i32 s19, 11
	v_mul_lo_u16 v5, v0, v4
	s_delay_alu instid0(VALU_DEP_3) | instskip(NEXT) | instid1(VALU_DEP_1)
	v_ashrrev_i32_e32 v3, 31, v2
	v_add_nc_u64_e32 v[2:3], s[2:3], v[2:3]
	s_cbranch_scc1 .LBB86_1482
; %bb.1473:
	s_and_b32 s21, 0xffff, s19
	s_mov_b32 s22, -1
	s_cmp_gt_i32 s21, 25
	s_mov_b32 s0, s17
	s_cbranch_scc0 .LBB86_1510
; %bb.1474:
	s_cmp_gt_i32 s21, 28
	s_mov_b32 s0, s17
	s_cbranch_scc0 .LBB86_1494
; %bb.1475:
	s_cmp_gt_i32 s21, 43
	s_mov_b32 s0, s17
	s_cbranch_scc0 .LBB86_1490
; %bb.1476:
	s_cmp_gt_i32 s21, 45
	s_mov_b32 s0, s17
	s_cbranch_scc0 .LBB86_1484
; %bb.1477:
	s_cmp_eq_u32 s21, 46
	s_mov_b32 s0, -1
	s_cbranch_scc0 .LBB86_1483
; %bb.1478:
	v_bfe_i32 v0, v5, 0, 16
	s_mov_b32 s0, 0
	s_mov_b32 s22, 0
	s_delay_alu instid0(VALU_DEP_1) | instskip(NEXT) | instid1(VALU_DEP_1)
	v_cvt_f32_i32_e32 v0, v0
	v_bfe_u32 v1, v0, 16, 1
	s_delay_alu instid0(VALU_DEP_1) | instskip(NEXT) | instid1(VALU_DEP_1)
	v_add3_u32 v0, v0, v1, 0x7fff
	v_lshrrev_b32_e32 v0, 16, v0
	global_store_b32 v[2:3], v0, off
	s_branch .LBB86_1484
.LBB86_1479:
	s_or_b32 exec_lo, exec_lo, s20
	s_and_saveexec_b32 s20, s17
	s_cbranch_execnz .LBB86_1552
.LBB86_1480:
	s_or_b32 exec_lo, exec_lo, s20
	s_and_saveexec_b32 s17, s0
	s_delay_alu instid0(SALU_CYCLE_1)
	s_xor_b32 s0, exec_lo, s17
	s_cbranch_execz .LBB86_1553
.LBB86_1481:
	s_wait_loadcnt 0x0
	v_cmp_ne_u16_e32 vcc_lo, 0, v5
	v_cndmask_b32_e64 v0, 0, 1, vcc_lo
	global_store_b8 v[2:3], v0, off
	s_wait_xcnt 0x0
	s_or_b32 exec_lo, exec_lo, s0
	s_and_saveexec_b32 s0, s21
	s_delay_alu instid0(SALU_CYCLE_1)
	s_xor_b32 s0, exec_lo, s0
	s_cbranch_execz .LBB86_1591
	s_branch .LBB86_1554
.LBB86_1482:
	s_mov_b32 s23, 0
	s_mov_b32 s22, -1
	s_mov_b32 s0, s17
	s_branch .LBB86_1551
.LBB86_1483:
	s_mov_b32 s22, 0
.LBB86_1484:
	s_delay_alu instid0(SALU_CYCLE_1)
	s_and_b32 vcc_lo, exec_lo, s22
	s_cbranch_vccz .LBB86_1489
; %bb.1485:
	s_cmp_eq_u32 s21, 44
	s_mov_b32 s0, -1
	s_cbranch_scc0 .LBB86_1489
; %bb.1486:
	s_wait_xcnt 0x0
	v_bfe_i32 v0, v5, 0, 16
	v_mov_b32_e32 v1, 0xff
	s_mov_b32 s22, exec_lo
	s_delay_alu instid0(VALU_DEP_2) | instskip(NEXT) | instid1(VALU_DEP_1)
	v_cvt_f32_i32_e32 v0, v0
	v_bfe_u32 v4, v0, 23, 8
	s_delay_alu instid0(VALU_DEP_1)
	v_cmpx_ne_u32_e32 0xff, v4
	s_cbranch_execz .LBB86_1488
; %bb.1487:
	v_and_b32_e32 v1, 0x400000, v0
	v_and_or_b32 v4, 0x3fffff, v0, v4
	v_lshrrev_b32_e32 v0, 23, v0
	s_delay_alu instid0(VALU_DEP_3) | instskip(NEXT) | instid1(VALU_DEP_3)
	v_cmp_ne_u32_e32 vcc_lo, 0, v1
	v_cmp_ne_u32_e64 s0, 0, v4
	s_and_b32 s0, vcc_lo, s0
	s_delay_alu instid0(SALU_CYCLE_1) | instskip(NEXT) | instid1(VALU_DEP_1)
	v_cndmask_b32_e64 v1, 0, 1, s0
	v_add_nc_u32_e32 v1, v0, v1
.LBB86_1488:
	s_or_b32 exec_lo, exec_lo, s22
	s_mov_b32 s0, 0
	global_store_b8 v[2:3], v1, off
.LBB86_1489:
	s_mov_b32 s22, 0
.LBB86_1490:
	s_delay_alu instid0(SALU_CYCLE_1)
	s_and_b32 vcc_lo, exec_lo, s22
	s_cbranch_vccz .LBB86_1493
; %bb.1491:
	s_cmp_eq_u32 s21, 29
	s_mov_b32 s0, -1
	s_cbranch_scc0 .LBB86_1493
; %bb.1492:
	s_wait_xcnt 0x0
	v_bfe_i32 v0, v5, 0, 16
	s_mov_b32 s0, 0
	s_mov_b32 s22, 0
	s_delay_alu instid0(VALU_DEP_1)
	v_ashrrev_i32_e32 v1, 31, v0
	global_store_b64 v[2:3], v[0:1], off
	s_branch .LBB86_1494
.LBB86_1493:
	s_mov_b32 s22, 0
.LBB86_1494:
	s_delay_alu instid0(SALU_CYCLE_1)
	s_and_b32 vcc_lo, exec_lo, s22
	s_cbranch_vccz .LBB86_1509
; %bb.1495:
	s_cmp_lt_i32 s21, 27
	s_mov_b32 s22, -1
	s_cbranch_scc1 .LBB86_1501
; %bb.1496:
	s_cmp_gt_i32 s21, 27
	s_cbranch_scc0 .LBB86_1498
; %bb.1497:
	s_wait_xcnt 0x0
	v_bfe_i32 v0, v5, 0, 16
	s_mov_b32 s22, 0
	global_store_b32 v[2:3], v0, off
.LBB86_1498:
	s_and_not1_b32 vcc_lo, exec_lo, s22
	s_cbranch_vccnz .LBB86_1500
; %bb.1499:
	global_store_b16 v[2:3], v5, off
.LBB86_1500:
	s_mov_b32 s22, 0
.LBB86_1501:
	s_delay_alu instid0(SALU_CYCLE_1)
	s_and_not1_b32 vcc_lo, exec_lo, s22
	s_cbranch_vccnz .LBB86_1509
; %bb.1502:
	s_wait_xcnt 0x0
	v_bfe_i32 v0, v5, 0, 16
	v_mov_b32_e32 v4, 0x80
	s_mov_b32 s22, exec_lo
	s_delay_alu instid0(VALU_DEP_2) | instskip(NEXT) | instid1(VALU_DEP_1)
	v_cvt_f32_i32_e32 v0, v0
	v_and_b32_e32 v1, 0x7fffffff, v0
	s_delay_alu instid0(VALU_DEP_1)
	v_cmpx_gt_u32_e32 0x43800000, v1
	s_cbranch_execz .LBB86_1508
; %bb.1503:
	v_cmp_lt_u32_e32 vcc_lo, 0x3bffffff, v1
	s_mov_b32 s23, 0
                                        ; implicit-def: $vgpr1
	s_and_saveexec_b32 s24, vcc_lo
	s_delay_alu instid0(SALU_CYCLE_1)
	s_xor_b32 s24, exec_lo, s24
	s_cbranch_execz .LBB86_1623
; %bb.1504:
	v_bfe_u32 v1, v0, 20, 1
	s_mov_b32 s23, exec_lo
	s_delay_alu instid0(VALU_DEP_1) | instskip(NEXT) | instid1(VALU_DEP_1)
	v_add3_u32 v1, v0, v1, 0x487ffff
	v_lshrrev_b32_e32 v1, 20, v1
	s_and_not1_saveexec_b32 s24, s24
	s_cbranch_execnz .LBB86_1624
.LBB86_1505:
	s_or_b32 exec_lo, exec_lo, s24
	v_mov_b32_e32 v4, 0
	s_and_saveexec_b32 s24, s23
.LBB86_1506:
	v_lshrrev_b32_e32 v0, 24, v0
	s_delay_alu instid0(VALU_DEP_1)
	v_and_or_b32 v4, 0x80, v0, v1
.LBB86_1507:
	s_or_b32 exec_lo, exec_lo, s24
.LBB86_1508:
	s_delay_alu instid0(SALU_CYCLE_1)
	s_or_b32 exec_lo, exec_lo, s22
	global_store_b8 v[2:3], v4, off
.LBB86_1509:
	s_mov_b32 s22, 0
.LBB86_1510:
	s_delay_alu instid0(SALU_CYCLE_1)
	s_and_b32 vcc_lo, exec_lo, s22
	s_mov_b32 s22, 0
	s_cbranch_vccz .LBB86_1550
; %bb.1511:
	s_cmp_gt_i32 s21, 22
	s_mov_b32 s23, -1
	s_cbranch_scc0 .LBB86_1543
; %bb.1512:
	s_cmp_lt_i32 s21, 24
	s_cbranch_scc1 .LBB86_1532
; %bb.1513:
	s_cmp_gt_i32 s21, 24
	s_cbranch_scc0 .LBB86_1521
; %bb.1514:
	s_wait_xcnt 0x0
	v_bfe_i32 v0, v5, 0, 16
	v_mov_b32_e32 v4, 0x80
	s_mov_b32 s23, exec_lo
	s_delay_alu instid0(VALU_DEP_2) | instskip(NEXT) | instid1(VALU_DEP_1)
	v_cvt_f32_i32_e32 v0, v0
	v_and_b32_e32 v1, 0x7fffffff, v0
	s_delay_alu instid0(VALU_DEP_1)
	v_cmpx_gt_u32_e32 0x47800000, v1
	s_cbranch_execz .LBB86_1520
; %bb.1515:
	v_cmp_lt_u32_e32 vcc_lo, 0x37ffffff, v1
	s_mov_b32 s24, 0
                                        ; implicit-def: $vgpr1
	s_and_saveexec_b32 s25, vcc_lo
	s_delay_alu instid0(SALU_CYCLE_1)
	s_xor_b32 s25, exec_lo, s25
	s_cbranch_execz .LBB86_1626
; %bb.1516:
	v_bfe_u32 v1, v0, 21, 1
	s_mov_b32 s24, exec_lo
	s_delay_alu instid0(VALU_DEP_1) | instskip(NEXT) | instid1(VALU_DEP_1)
	v_add3_u32 v1, v0, v1, 0x88fffff
	v_lshrrev_b32_e32 v1, 21, v1
	s_and_not1_saveexec_b32 s25, s25
	s_cbranch_execnz .LBB86_1627
.LBB86_1517:
	s_or_b32 exec_lo, exec_lo, s25
	v_mov_b32_e32 v4, 0
	s_and_saveexec_b32 s25, s24
.LBB86_1518:
	v_lshrrev_b32_e32 v0, 24, v0
	s_delay_alu instid0(VALU_DEP_1)
	v_and_or_b32 v4, 0x80, v0, v1
.LBB86_1519:
	s_or_b32 exec_lo, exec_lo, s25
.LBB86_1520:
	s_delay_alu instid0(SALU_CYCLE_1)
	s_or_b32 exec_lo, exec_lo, s23
	s_mov_b32 s23, 0
	global_store_b8 v[2:3], v4, off
.LBB86_1521:
	s_and_b32 vcc_lo, exec_lo, s23
	s_cbranch_vccz .LBB86_1531
; %bb.1522:
	s_wait_xcnt 0x0
	v_bfe_i32 v0, v5, 0, 16
	s_mov_b32 s23, exec_lo
                                        ; implicit-def: $vgpr1
	s_delay_alu instid0(VALU_DEP_1) | instskip(NEXT) | instid1(VALU_DEP_1)
	v_cvt_f32_i32_e32 v0, v0
	v_and_b32_e32 v4, 0x7fffffff, v0
	s_delay_alu instid0(VALU_DEP_1)
	v_cmpx_gt_u32_e32 0x43f00000, v4
	s_xor_b32 s23, exec_lo, s23
	s_cbranch_execz .LBB86_1528
; %bb.1523:
	s_mov_b32 s24, exec_lo
                                        ; implicit-def: $vgpr1
	v_cmpx_lt_u32_e32 0x3c7fffff, v4
	s_xor_b32 s24, exec_lo, s24
; %bb.1524:
	v_bfe_u32 v1, v0, 20, 1
	s_delay_alu instid0(VALU_DEP_1) | instskip(NEXT) | instid1(VALU_DEP_1)
	v_add3_u32 v1, v0, v1, 0x407ffff
	v_and_b32_e32 v4, 0xff00000, v1
	v_lshrrev_b32_e32 v1, 20, v1
	s_delay_alu instid0(VALU_DEP_2) | instskip(NEXT) | instid1(VALU_DEP_2)
	v_cmp_ne_u32_e32 vcc_lo, 0x7f00000, v4
	v_cndmask_b32_e32 v1, 0x7e, v1, vcc_lo
; %bb.1525:
	s_and_not1_saveexec_b32 s24, s24
; %bb.1526:
	v_add_f32_e64 v1, 0x46800000, |v0|
; %bb.1527:
	s_or_b32 exec_lo, exec_lo, s24
                                        ; implicit-def: $vgpr4
.LBB86_1528:
	s_and_not1_saveexec_b32 s23, s23
; %bb.1529:
	v_mov_b32_e32 v1, 0x7f
	v_cmp_lt_u32_e32 vcc_lo, 0x7f800000, v4
	s_delay_alu instid0(VALU_DEP_2)
	v_cndmask_b32_e32 v1, 0x7e, v1, vcc_lo
; %bb.1530:
	s_or_b32 exec_lo, exec_lo, s23
	v_lshrrev_b32_e32 v0, 24, v0
	s_delay_alu instid0(VALU_DEP_1)
	v_and_or_b32 v0, 0x80, v0, v1
	global_store_b8 v[2:3], v0, off
.LBB86_1531:
	s_mov_b32 s23, 0
.LBB86_1532:
	s_delay_alu instid0(SALU_CYCLE_1)
	s_and_not1_b32 vcc_lo, exec_lo, s23
	s_cbranch_vccnz .LBB86_1542
; %bb.1533:
	s_wait_xcnt 0x0
	v_bfe_i32 v0, v5, 0, 16
	s_mov_b32 s23, exec_lo
                                        ; implicit-def: $vgpr1
	s_delay_alu instid0(VALU_DEP_1) | instskip(NEXT) | instid1(VALU_DEP_1)
	v_cvt_f32_i32_e32 v0, v0
	v_and_b32_e32 v4, 0x7fffffff, v0
	s_delay_alu instid0(VALU_DEP_1)
	v_cmpx_gt_u32_e32 0x47800000, v4
	s_xor_b32 s23, exec_lo, s23
	s_cbranch_execz .LBB86_1539
; %bb.1534:
	s_mov_b32 s24, exec_lo
                                        ; implicit-def: $vgpr1
	v_cmpx_lt_u32_e32 0x387fffff, v4
	s_xor_b32 s24, exec_lo, s24
; %bb.1535:
	v_bfe_u32 v1, v0, 21, 1
	s_delay_alu instid0(VALU_DEP_1) | instskip(NEXT) | instid1(VALU_DEP_1)
	v_add3_u32 v1, v0, v1, 0x80fffff
	v_lshrrev_b32_e32 v1, 21, v1
; %bb.1536:
	s_and_not1_saveexec_b32 s24, s24
; %bb.1537:
	v_add_f32_e64 v1, 0x43000000, |v0|
; %bb.1538:
	s_or_b32 exec_lo, exec_lo, s24
                                        ; implicit-def: $vgpr4
.LBB86_1539:
	s_and_not1_saveexec_b32 s23, s23
; %bb.1540:
	v_mov_b32_e32 v1, 0x7f
	v_cmp_lt_u32_e32 vcc_lo, 0x7f800000, v4
	s_delay_alu instid0(VALU_DEP_2)
	v_cndmask_b32_e32 v1, 0x7c, v1, vcc_lo
; %bb.1541:
	s_or_b32 exec_lo, exec_lo, s23
	v_lshrrev_b32_e32 v0, 24, v0
	s_delay_alu instid0(VALU_DEP_1)
	v_and_or_b32 v0, 0x80, v0, v1
	global_store_b8 v[2:3], v0, off
.LBB86_1542:
	s_mov_b32 s23, 0
.LBB86_1543:
	s_delay_alu instid0(SALU_CYCLE_1)
	s_and_not1_b32 vcc_lo, exec_lo, s23
	s_mov_b32 s23, 0
	s_cbranch_vccnz .LBB86_1551
; %bb.1544:
	s_cmp_gt_i32 s21, 14
	s_mov_b32 s23, -1
	s_cbranch_scc0 .LBB86_1548
; %bb.1545:
	s_cmp_eq_u32 s21, 15
	s_mov_b32 s0, -1
	s_cbranch_scc0 .LBB86_1547
; %bb.1546:
	s_wait_xcnt 0x0
	v_bfe_i32 v0, v5, 0, 16
	s_mov_b32 s0, 0
	s_delay_alu instid0(VALU_DEP_1) | instskip(NEXT) | instid1(VALU_DEP_1)
	v_cvt_f32_i32_e32 v0, v0
	v_bfe_u32 v1, v0, 16, 1
	s_delay_alu instid0(VALU_DEP_1)
	v_add3_u32 v0, v0, v1, 0x7fff
	global_store_d16_hi_b16 v[2:3], v0, off
.LBB86_1547:
	s_mov_b32 s23, 0
.LBB86_1548:
	s_delay_alu instid0(SALU_CYCLE_1)
	s_and_b32 vcc_lo, exec_lo, s23
	s_mov_b32 s23, 0
	s_cbranch_vccz .LBB86_1551
; %bb.1549:
	s_cmp_lg_u32 s21, 11
	s_mov_b32 s23, -1
	s_cselect_b32 s21, -1, 0
	s_and_not1_b32 s0, s0, exec_lo
	s_and_b32 s21, s21, exec_lo
	s_delay_alu instid0(SALU_CYCLE_1)
	s_or_b32 s0, s0, s21
	s_branch .LBB86_1551
.LBB86_1550:
	s_mov_b32 s23, 0
.LBB86_1551:
	s_and_b32 s21, s22, exec_lo
	s_and_not1_b32 s17, s17, exec_lo
	s_and_b32 s22, s0, exec_lo
	s_and_b32 s0, s23, exec_lo
	s_or_b32 s17, s17, s22
	s_wait_xcnt 0x0
	s_or_b32 exec_lo, exec_lo, s20
	s_and_saveexec_b32 s20, s17
	s_cbranch_execz .LBB86_1480
.LBB86_1552:
	s_or_b32 s18, s18, exec_lo
	s_and_not1_b32 s0, s0, exec_lo
	s_trap 2
	s_or_b32 exec_lo, exec_lo, s20
	s_and_saveexec_b32 s17, s0
	s_delay_alu instid0(SALU_CYCLE_1)
	s_xor_b32 s0, exec_lo, s17
	s_cbranch_execnz .LBB86_1481
.LBB86_1553:
	s_or_b32 exec_lo, exec_lo, s0
	s_and_saveexec_b32 s0, s21
	s_delay_alu instid0(SALU_CYCLE_1)
	s_xor_b32 s0, exec_lo, s0
	s_cbranch_execz .LBB86_1591
.LBB86_1554:
	s_sext_i32_i16 s20, s19
	s_mov_b32 s17, -1
	s_cmp_lt_i32 s20, 5
	s_cbranch_scc1 .LBB86_1575
; %bb.1555:
	s_cmp_lt_i32 s20, 8
	s_cbranch_scc1 .LBB86_1565
; %bb.1556:
	;; [unrolled: 3-line block ×3, first 2 shown]
	s_cmp_gt_i32 s20, 9
	s_cbranch_scc0 .LBB86_1559
; %bb.1558:
	s_wait_loadcnt 0x0
	v_bfe_i32 v0, v5, 0, 16
	v_mov_b32_e32 v8, 0
	s_mov_b32 s17, 0
	s_delay_alu instid0(VALU_DEP_2) | instskip(NEXT) | instid1(VALU_DEP_2)
	v_cvt_f64_i32_e32 v[6:7], v0
	v_mov_b32_e32 v9, v8
	global_store_b128 v[2:3], v[6:9], off
.LBB86_1559:
	s_and_not1_b32 vcc_lo, exec_lo, s17
	s_cbranch_vccnz .LBB86_1561
; %bb.1560:
	s_wait_loadcnt 0x0
	v_bfe_i32 v0, v5, 0, 16
	v_mov_b32_e32 v1, 0
	s_delay_alu instid0(VALU_DEP_2)
	v_cvt_f32_i32_e32 v0, v0
	global_store_b64 v[2:3], v[0:1], off
.LBB86_1561:
	s_mov_b32 s17, 0
.LBB86_1562:
	s_delay_alu instid0(SALU_CYCLE_1)
	s_and_not1_b32 vcc_lo, exec_lo, s17
	s_cbranch_vccnz .LBB86_1564
; %bb.1563:
	s_wait_loadcnt 0x0
	v_cvt_f16_i16_e32 v0, v5
	s_delay_alu instid0(VALU_DEP_1)
	v_and_b32_e32 v0, 0xffff, v0
	global_store_b32 v[2:3], v0, off
.LBB86_1564:
	s_mov_b32 s17, 0
.LBB86_1565:
	s_delay_alu instid0(SALU_CYCLE_1)
	s_and_not1_b32 vcc_lo, exec_lo, s17
	s_cbranch_vccnz .LBB86_1574
; %bb.1566:
	s_sext_i32_i16 s20, s19
	s_mov_b32 s17, -1
	s_cmp_lt_i32 s20, 6
	s_cbranch_scc1 .LBB86_1572
; %bb.1567:
	s_cmp_gt_i32 s20, 6
	s_cbranch_scc0 .LBB86_1569
; %bb.1568:
	s_wait_loadcnt 0x0
	v_bfe_i32 v0, v5, 0, 16
	s_mov_b32 s17, 0
	s_delay_alu instid0(VALU_DEP_1)
	v_cvt_f64_i32_e32 v[0:1], v0
	global_store_b64 v[2:3], v[0:1], off
.LBB86_1569:
	s_and_not1_b32 vcc_lo, exec_lo, s17
	s_cbranch_vccnz .LBB86_1571
; %bb.1570:
	s_wait_loadcnt 0x0
	v_bfe_i32 v0, v5, 0, 16
	s_delay_alu instid0(VALU_DEP_1)
	v_cvt_f32_i32_e32 v0, v0
	global_store_b32 v[2:3], v0, off
.LBB86_1571:
	s_mov_b32 s17, 0
.LBB86_1572:
	s_delay_alu instid0(SALU_CYCLE_1)
	s_and_not1_b32 vcc_lo, exec_lo, s17
	s_cbranch_vccnz .LBB86_1574
; %bb.1573:
	s_wait_loadcnt 0x0
	v_cvt_f16_i16_e32 v0, v5
	global_store_b16 v[2:3], v0, off
.LBB86_1574:
	s_mov_b32 s17, 0
.LBB86_1575:
	s_delay_alu instid0(SALU_CYCLE_1)
	s_and_not1_b32 vcc_lo, exec_lo, s17
	s_cbranch_vccnz .LBB86_1591
; %bb.1576:
	s_sext_i32_i16 s20, s19
	s_mov_b32 s17, -1
	s_cmp_lt_i32 s20, 2
	s_cbranch_scc1 .LBB86_1586
; %bb.1577:
	s_cmp_lt_i32 s20, 3
	s_cbranch_scc1 .LBB86_1583
; %bb.1578:
	s_wait_loadcnt 0x0
	v_bfe_i32 v0, v5, 0, 16
	s_cmp_gt_i32 s20, 3
	s_cbranch_scc0 .LBB86_1580
; %bb.1579:
	s_delay_alu instid0(VALU_DEP_1)
	v_ashrrev_i32_e32 v1, 31, v0
	s_mov_b32 s17, 0
	global_store_b64 v[2:3], v[0:1], off
.LBB86_1580:
	s_and_not1_b32 vcc_lo, exec_lo, s17
	s_cbranch_vccnz .LBB86_1582
; %bb.1581:
	global_store_b32 v[2:3], v0, off
.LBB86_1582:
	s_mov_b32 s17, 0
.LBB86_1583:
	s_delay_alu instid0(SALU_CYCLE_1)
	s_and_not1_b32 vcc_lo, exec_lo, s17
	s_cbranch_vccnz .LBB86_1585
; %bb.1584:
	s_wait_loadcnt 0x0
	global_store_b16 v[2:3], v5, off
.LBB86_1585:
	s_mov_b32 s17, 0
.LBB86_1586:
	s_delay_alu instid0(SALU_CYCLE_1)
	s_and_not1_b32 vcc_lo, exec_lo, s17
	s_cbranch_vccnz .LBB86_1591
; %bb.1587:
	s_sext_i32_i16 s17, s19
	s_delay_alu instid0(SALU_CYCLE_1)
	s_cmp_gt_i32 s17, 0
	s_mov_b32 s17, -1
	s_cbranch_scc0 .LBB86_1589
; %bb.1588:
	s_mov_b32 s17, 0
	s_wait_loadcnt 0x0
	global_store_b8 v[2:3], v5, off
.LBB86_1589:
	s_and_not1_b32 vcc_lo, exec_lo, s17
	s_cbranch_vccnz .LBB86_1591
; %bb.1590:
	s_wait_loadcnt 0x0
	global_store_b8 v[2:3], v5, off
.LBB86_1591:
	s_wait_xcnt 0x0
	s_or_b32 exec_lo, exec_lo, s0
	s_delay_alu instid0(SALU_CYCLE_1)
	s_and_b32 s17, s18, exec_lo
                                        ; implicit-def: $vgpr18
.LBB86_1592:
	s_or_saveexec_b32 s16, s16
	s_mov_b32 s0, 0
                                        ; implicit-def: $sgpr18
                                        ; implicit-def: $vgpr0_vgpr1
                                        ; implicit-def: $vgpr4
	s_xor_b32 exec_lo, exec_lo, s16
	s_cbranch_execz .LBB86_3128
; %bb.1593:
	s_and_b32 s15, s15, 0xff
	s_delay_alu instid0(SALU_CYCLE_1)
	s_cmp_lt_i32 s15, 23
	s_cbranch_scc1 .LBB86_1597
; %bb.1594:
	s_and_b32 s18, 0xffff, s15
	s_delay_alu instid0(SALU_CYCLE_1)
	s_cmp_gt_i32 s18, 43
	s_cbranch_scc0 .LBB86_1598
; %bb.1595:
	s_cmp_gt_i32 s18, 45
	s_cbranch_scc0 .LBB86_1599
; %bb.1596:
	s_cmp_lg_u32 s18, 46
	s_mov_b32 s0, -1
	s_cselect_b32 s14, -1, 0
	s_cbranch_execz .LBB86_1600
	s_branch .LBB86_1601
.LBB86_1597:
	s_cbranch_execnz .LBB86_1604
	s_branch .LBB86_1608
.LBB86_1598:
	s_cbranch_execnz .LBB86_1602
	s_branch .LBB86_1603
.LBB86_1599:
.LBB86_1600:
	s_cmp_eq_u32 s18, 44
	s_cselect_b32 s0, -1, 0
	s_cmp_lg_u32 s18, 44
	s_cselect_b32 s14, -1, 0
.LBB86_1601:
	s_branch .LBB86_1603
.LBB86_1602:
	s_cmp_lt_i32 s18, 30
	s_cselect_b32 s0, -1, 0
	s_cmp_gt_i32 s18, 29
	s_cselect_b32 s14, -1, 0
.LBB86_1603:
	s_branch .LBB86_1608
.LBB86_1604:
	s_and_b32 s18, 0xffff, s15
	s_mov_b32 s19, -1
	s_cmp_gt_i32 s18, 14
	s_cbranch_scc0 .LBB86_1606
; %bb.1605:
	s_cmp_eq_u32 s18, 15
	s_mov_b32 s19, 0
	s_cselect_b32 s0, -1, 0
	s_cmp_lg_u32 s18, 15
	s_cselect_b32 s14, -1, 0
.LBB86_1606:
	s_and_not1_b32 vcc_lo, exec_lo, s19
	s_cbranch_vccnz .LBB86_1608
; %bb.1607:
	s_cmp_lt_i32 s18, 12
	s_cselect_b32 s0, -1, 0
	s_cmp_gt_i32 s18, 11
	s_cselect_b32 s14, -1, 0
.LBB86_1608:
	s_delay_alu instid0(SALU_CYCLE_1)
	s_and_b32 vcc_lo, exec_lo, s14
	s_mov_b32 s14, s17
	s_cbranch_vccnz .LBB86_1621
; %bb.1609:
	s_and_not1_b32 vcc_lo, exec_lo, s0
	s_cbranch_vccnz .LBB86_3126
.LBB86_1610:
	s_wait_loadcnt 0x0
	v_mul_lo_u32 v4, s8, v18
	s_and_b32 s13, s13, 0xff
	s_delay_alu instid0(SALU_CYCLE_1) | instskip(NEXT) | instid1(VALU_DEP_1)
	s_cmp_lt_i32 s13, 11
	v_ashrrev_i32_e32 v5, 31, v4
	s_delay_alu instid0(VALU_DEP_1)
	v_add_nc_u64_e32 v[2:3], s[4:5], v[4:5]
	s_cbranch_scc1 .LBB86_1617
; %bb.1611:
	s_and_b32 s0, 0xffff, s13
	s_mov_b32 s19, 0
	s_cmp_gt_i32 s0, 25
	s_cbranch_scc0 .LBB86_1619
; %bb.1612:
	s_cmp_gt_i32 s0, 28
	s_cbranch_scc0 .LBB86_1620
; %bb.1613:
	;; [unrolled: 3-line block ×4, first 2 shown]
	s_cmp_eq_u32 s0, 46
	s_mov_b32 s21, 0
	s_cbranch_scc0 .LBB86_1628
; %bb.1616:
	global_load_b32 v0, v[2:3], off
	s_mov_b32 s18, 0
	s_mov_b32 s20, -1
	s_wait_loadcnt 0x0
	v_lshlrev_b32_e32 v0, 16, v0
	s_delay_alu instid0(VALU_DEP_1)
	v_cvt_i32_f32_e32 v0, v0
	s_branch .LBB86_1630
.LBB86_1617:
	s_mov_b32 s20, 0
                                        ; implicit-def: $vgpr0
	s_cbranch_execnz .LBB86_1691
.LBB86_1618:
	s_and_not1_b32 vcc_lo, exec_lo, s20
	s_cbranch_vccz .LBB86_1738
	s_branch .LBB86_3126
.LBB86_1619:
	s_mov_b32 s20, 0
	s_mov_b32 s18, 0
                                        ; implicit-def: $vgpr0
	s_cbranch_execnz .LBB86_1657
	s_branch .LBB86_1687
.LBB86_1620:
	s_mov_b32 s21, -1
	s_mov_b32 s20, 0
	s_mov_b32 s18, 0
                                        ; implicit-def: $vgpr0
	s_branch .LBB86_1640
.LBB86_1621:
	s_or_b32 s14, s17, exec_lo
	s_trap 2
	s_cbranch_execz .LBB86_1610
	s_branch .LBB86_3126
.LBB86_1622:
	s_mov_b32 s21, -1
	s_mov_b32 s20, 0
	s_mov_b32 s18, 0
                                        ; implicit-def: $vgpr0
	s_branch .LBB86_1635
.LBB86_1623:
	s_and_not1_saveexec_b32 s24, s24
	s_cbranch_execz .LBB86_1505
.LBB86_1624:
	v_add_f32_e64 v1, 0x46000000, |v0|
	s_and_not1_b32 s23, s23, exec_lo
	s_delay_alu instid0(VALU_DEP_1) | instskip(NEXT) | instid1(VALU_DEP_1)
	v_and_b32_e32 v1, 0xff, v1
	v_cmp_ne_u32_e32 vcc_lo, 0, v1
	s_and_b32 s25, vcc_lo, exec_lo
	s_delay_alu instid0(SALU_CYCLE_1)
	s_or_b32 s23, s23, s25
	s_or_b32 exec_lo, exec_lo, s24
	v_mov_b32_e32 v4, 0
	s_and_saveexec_b32 s24, s23
	s_cbranch_execnz .LBB86_1506
	s_branch .LBB86_1507
.LBB86_1625:
	s_mov_b32 s21, -1
	s_mov_b32 s20, 0
	s_mov_b32 s18, 0
	s_branch .LBB86_1629
.LBB86_1626:
	s_and_not1_saveexec_b32 s25, s25
	s_cbranch_execz .LBB86_1517
.LBB86_1627:
	v_add_f32_e64 v1, 0x42800000, |v0|
	s_and_not1_b32 s24, s24, exec_lo
	s_delay_alu instid0(VALU_DEP_1) | instskip(NEXT) | instid1(VALU_DEP_1)
	v_and_b32_e32 v1, 0xff, v1
	v_cmp_ne_u32_e32 vcc_lo, 0, v1
	s_and_b32 s26, vcc_lo, exec_lo
	s_delay_alu instid0(SALU_CYCLE_1)
	s_or_b32 s24, s24, s26
	s_or_b32 exec_lo, exec_lo, s25
	v_mov_b32_e32 v4, 0
	s_and_saveexec_b32 s25, s24
	s_cbranch_execnz .LBB86_1518
	s_branch .LBB86_1519
.LBB86_1628:
	s_mov_b32 s18, -1
	s_mov_b32 s20, 0
.LBB86_1629:
                                        ; implicit-def: $vgpr0
.LBB86_1630:
	s_and_b32 vcc_lo, exec_lo, s21
	s_cbranch_vccz .LBB86_1634
; %bb.1631:
	s_cmp_eq_u32 s0, 44
	s_cbranch_scc0 .LBB86_1633
; %bb.1632:
	global_load_u8 v0, v[2:3], off
	s_mov_b32 s18, 0
	s_mov_b32 s20, -1
	s_wait_loadcnt 0x0
	v_lshlrev_b32_e32 v1, 23, v0
	v_cmp_ne_u32_e32 vcc_lo, 0, v0
	s_delay_alu instid0(VALU_DEP_2) | instskip(NEXT) | instid1(VALU_DEP_1)
	v_cvt_i32_f32_e32 v1, v1
	v_cndmask_b32_e32 v0, 0, v1, vcc_lo
	s_branch .LBB86_1634
.LBB86_1633:
	s_mov_b32 s18, -1
                                        ; implicit-def: $vgpr0
.LBB86_1634:
	s_mov_b32 s21, 0
.LBB86_1635:
	s_delay_alu instid0(SALU_CYCLE_1)
	s_and_b32 vcc_lo, exec_lo, s21
	s_cbranch_vccz .LBB86_1639
; %bb.1636:
	s_cmp_eq_u32 s0, 29
	s_cbranch_scc0 .LBB86_1638
; %bb.1637:
	global_load_b64 v[0:1], v[2:3], off
	s_mov_b32 s18, 0
	s_mov_b32 s20, -1
	s_branch .LBB86_1639
.LBB86_1638:
	s_mov_b32 s18, -1
                                        ; implicit-def: $vgpr0
.LBB86_1639:
	s_mov_b32 s21, 0
.LBB86_1640:
	s_delay_alu instid0(SALU_CYCLE_1)
	s_and_b32 vcc_lo, exec_lo, s21
	s_cbranch_vccz .LBB86_1656
; %bb.1641:
	s_cmp_lt_i32 s0, 27
	s_cbranch_scc1 .LBB86_1644
; %bb.1642:
	s_cmp_gt_i32 s0, 27
	s_cbranch_scc0 .LBB86_1645
; %bb.1643:
	s_wait_loadcnt 0x0
	global_load_b32 v0, v[2:3], off
	s_mov_b32 s20, 0
	s_branch .LBB86_1646
.LBB86_1644:
	s_mov_b32 s20, -1
                                        ; implicit-def: $vgpr0
	s_branch .LBB86_1649
.LBB86_1645:
	s_mov_b32 s20, -1
                                        ; implicit-def: $vgpr0
.LBB86_1646:
	s_delay_alu instid0(SALU_CYCLE_1)
	s_and_not1_b32 vcc_lo, exec_lo, s20
	s_cbranch_vccnz .LBB86_1648
; %bb.1647:
	s_wait_loadcnt 0x0
	global_load_u16 v0, v[2:3], off
.LBB86_1648:
	s_mov_b32 s20, 0
.LBB86_1649:
	s_delay_alu instid0(SALU_CYCLE_1)
	s_and_not1_b32 vcc_lo, exec_lo, s20
	s_cbranch_vccnz .LBB86_1655
; %bb.1650:
	s_wait_loadcnt 0x0
	global_load_u8 v1, v[2:3], off
	s_mov_b32 s21, 0
	s_mov_b32 s20, exec_lo
	s_wait_loadcnt 0x0
	v_cmpx_lt_i16_e32 0x7f, v1
	s_xor_b32 s20, exec_lo, s20
	s_cbranch_execz .LBB86_1666
; %bb.1651:
	v_cmp_ne_u16_e32 vcc_lo, 0x80, v1
	s_and_b32 s21, vcc_lo, exec_lo
	s_and_not1_saveexec_b32 s20, s20
	s_cbranch_execnz .LBB86_1667
.LBB86_1652:
	s_or_b32 exec_lo, exec_lo, s20
	v_mov_b32_e32 v0, 0
	s_and_saveexec_b32 s20, s21
	s_cbranch_execz .LBB86_1654
.LBB86_1653:
	v_and_b32_e32 v0, 0xffff, v1
	s_delay_alu instid0(VALU_DEP_1) | instskip(SKIP_1) | instid1(VALU_DEP_2)
	v_and_b32_e32 v5, 7, v0
	v_bfe_u32 v8, v0, 3, 4
	v_clz_i32_u32_e32 v6, v5
	s_delay_alu instid0(VALU_DEP_2) | instskip(NEXT) | instid1(VALU_DEP_2)
	v_cmp_eq_u32_e32 vcc_lo, 0, v8
	v_min_u32_e32 v6, 32, v6
	s_delay_alu instid0(VALU_DEP_1) | instskip(NEXT) | instid1(VALU_DEP_1)
	v_subrev_nc_u32_e32 v7, 28, v6
	v_dual_lshlrev_b32 v0, v7, v0 :: v_dual_sub_nc_u32 v6, 29, v6
	s_delay_alu instid0(VALU_DEP_1) | instskip(NEXT) | instid1(VALU_DEP_1)
	v_dual_lshlrev_b32 v1, 24, v1 :: v_dual_bitop2_b32 v0, 7, v0 bitop3:0x40
	v_dual_cndmask_b32 v6, v8, v6, vcc_lo :: v_dual_cndmask_b32 v0, v5, v0, vcc_lo
	s_delay_alu instid0(VALU_DEP_2) | instskip(NEXT) | instid1(VALU_DEP_2)
	v_and_b32_e32 v1, 0x80000000, v1
	v_lshl_add_u32 v5, v6, 23, 0x3b800000
	s_delay_alu instid0(VALU_DEP_3) | instskip(NEXT) | instid1(VALU_DEP_1)
	v_lshlrev_b32_e32 v0, 20, v0
	v_or3_b32 v0, v1, v5, v0
	s_delay_alu instid0(VALU_DEP_1)
	v_cvt_i32_f32_e32 v0, v0
.LBB86_1654:
	s_or_b32 exec_lo, exec_lo, s20
.LBB86_1655:
	s_mov_b32 s20, -1
.LBB86_1656:
	s_branch .LBB86_1687
.LBB86_1657:
	s_cmp_gt_i32 s0, 22
	s_cbranch_scc0 .LBB86_1665
; %bb.1658:
	s_cmp_lt_i32 s0, 24
	s_cbranch_scc1 .LBB86_1668
; %bb.1659:
	s_cmp_gt_i32 s0, 24
	s_cbranch_scc0 .LBB86_1669
; %bb.1660:
	s_wait_loadcnt 0x0
	global_load_u8 v1, v[2:3], off
	s_mov_b32 s20, 0
	s_mov_b32 s19, exec_lo
	s_wait_loadcnt 0x0
	v_cmpx_lt_i16_e32 0x7f, v1
	s_xor_b32 s19, exec_lo, s19
	s_cbranch_execz .LBB86_1681
; %bb.1661:
	v_cmp_ne_u16_e32 vcc_lo, 0x80, v1
	s_and_b32 s20, vcc_lo, exec_lo
	s_and_not1_saveexec_b32 s19, s19
	s_cbranch_execnz .LBB86_1682
.LBB86_1662:
	s_or_b32 exec_lo, exec_lo, s19
	v_mov_b32_e32 v0, 0
	s_and_saveexec_b32 s19, s20
	s_cbranch_execz .LBB86_1664
.LBB86_1663:
	v_and_b32_e32 v0, 0xffff, v1
	s_delay_alu instid0(VALU_DEP_1) | instskip(SKIP_1) | instid1(VALU_DEP_2)
	v_and_b32_e32 v5, 3, v0
	v_bfe_u32 v8, v0, 2, 5
	v_clz_i32_u32_e32 v6, v5
	s_delay_alu instid0(VALU_DEP_2) | instskip(NEXT) | instid1(VALU_DEP_2)
	v_cmp_eq_u32_e32 vcc_lo, 0, v8
	v_min_u32_e32 v6, 32, v6
	s_delay_alu instid0(VALU_DEP_1) | instskip(NEXT) | instid1(VALU_DEP_1)
	v_subrev_nc_u32_e32 v7, 29, v6
	v_dual_lshlrev_b32 v0, v7, v0 :: v_dual_sub_nc_u32 v6, 30, v6
	s_delay_alu instid0(VALU_DEP_1) | instskip(NEXT) | instid1(VALU_DEP_1)
	v_dual_lshlrev_b32 v1, 24, v1 :: v_dual_bitop2_b32 v0, 3, v0 bitop3:0x40
	v_dual_cndmask_b32 v6, v8, v6, vcc_lo :: v_dual_cndmask_b32 v0, v5, v0, vcc_lo
	s_delay_alu instid0(VALU_DEP_2) | instskip(NEXT) | instid1(VALU_DEP_2)
	v_and_b32_e32 v1, 0x80000000, v1
	v_lshl_add_u32 v5, v6, 23, 0x37800000
	s_delay_alu instid0(VALU_DEP_3) | instskip(NEXT) | instid1(VALU_DEP_1)
	v_lshlrev_b32_e32 v0, 21, v0
	v_or3_b32 v0, v1, v5, v0
	s_delay_alu instid0(VALU_DEP_1)
	v_cvt_i32_f32_e32 v0, v0
.LBB86_1664:
	s_or_b32 exec_lo, exec_lo, s19
	s_mov_b32 s19, 0
	s_branch .LBB86_1670
.LBB86_1665:
	s_mov_b32 s19, -1
                                        ; implicit-def: $vgpr0
	s_branch .LBB86_1676
.LBB86_1666:
	s_and_not1_saveexec_b32 s20, s20
	s_cbranch_execz .LBB86_1652
.LBB86_1667:
	v_cmp_ne_u16_e32 vcc_lo, 0, v1
	s_and_not1_b32 s21, s21, exec_lo
	s_and_b32 s22, vcc_lo, exec_lo
	s_delay_alu instid0(SALU_CYCLE_1)
	s_or_b32 s21, s21, s22
	s_or_b32 exec_lo, exec_lo, s20
	v_mov_b32_e32 v0, 0
	s_and_saveexec_b32 s20, s21
	s_cbranch_execnz .LBB86_1653
	s_branch .LBB86_1654
.LBB86_1668:
	s_mov_b32 s19, -1
                                        ; implicit-def: $vgpr0
	s_branch .LBB86_1673
.LBB86_1669:
	s_mov_b32 s19, -1
                                        ; implicit-def: $vgpr0
.LBB86_1670:
	s_delay_alu instid0(SALU_CYCLE_1)
	s_and_b32 vcc_lo, exec_lo, s19
	s_cbranch_vccz .LBB86_1672
; %bb.1671:
	s_wait_loadcnt 0x0
	global_load_u8 v0, v[2:3], off
	s_wait_loadcnt 0x0
	v_lshlrev_b32_e32 v0, 24, v0
	s_delay_alu instid0(VALU_DEP_1) | instskip(NEXT) | instid1(VALU_DEP_1)
	v_and_b32_e32 v1, 0x7f000000, v0
	v_clz_i32_u32_e32 v5, v1
	v_add_nc_u32_e32 v7, 0x1000000, v1
	v_cmp_ne_u32_e32 vcc_lo, 0, v1
	s_delay_alu instid0(VALU_DEP_3) | instskip(NEXT) | instid1(VALU_DEP_1)
	v_min_u32_e32 v5, 32, v5
	v_sub_nc_u32_e64 v5, v5, 4 clamp
	s_delay_alu instid0(VALU_DEP_1) | instskip(NEXT) | instid1(VALU_DEP_1)
	v_lshlrev_b32_e32 v6, v5, v1
	v_dual_lshlrev_b32 v5, 23, v5 :: v_dual_lshrrev_b32 v6, 4, v6
	s_delay_alu instid0(VALU_DEP_1) | instskip(NEXT) | instid1(VALU_DEP_1)
	v_dual_sub_nc_u32 v5, v6, v5 :: v_dual_ashrrev_i32 v6, 8, v7
	v_add_nc_u32_e32 v5, 0x3c000000, v5
	s_delay_alu instid0(VALU_DEP_1) | instskip(NEXT) | instid1(VALU_DEP_1)
	v_and_or_b32 v5, 0x7f800000, v6, v5
	v_cndmask_b32_e32 v1, 0, v5, vcc_lo
	s_delay_alu instid0(VALU_DEP_1) | instskip(NEXT) | instid1(VALU_DEP_1)
	v_and_or_b32 v0, 0x80000000, v0, v1
	v_cvt_i32_f32_e32 v0, v0
.LBB86_1672:
	s_mov_b32 s19, 0
.LBB86_1673:
	s_delay_alu instid0(SALU_CYCLE_1)
	s_and_not1_b32 vcc_lo, exec_lo, s19
	s_cbranch_vccnz .LBB86_1675
; %bb.1674:
	s_wait_loadcnt 0x0
	global_load_u8 v0, v[2:3], off
	s_wait_loadcnt 0x0
	v_lshlrev_b32_e32 v1, 25, v0
	v_lshlrev_b16 v0, 8, v0
	s_delay_alu instid0(VALU_DEP_1) | instskip(SKIP_1) | instid1(VALU_DEP_2)
	v_and_or_b32 v6, 0x7f00, v0, 0.5
	v_bfe_i32 v0, v0, 0, 16
	v_dual_add_f32 v6, -0.5, v6 :: v_dual_lshrrev_b32 v5, 4, v1
	v_cmp_gt_u32_e32 vcc_lo, 0x8000000, v1
	s_delay_alu instid0(VALU_DEP_2) | instskip(NEXT) | instid1(VALU_DEP_1)
	v_or_b32_e32 v5, 0x70000000, v5
	v_mul_f32_e32 v5, 0x7800000, v5
	s_delay_alu instid0(VALU_DEP_1) | instskip(NEXT) | instid1(VALU_DEP_1)
	v_cndmask_b32_e32 v1, v5, v6, vcc_lo
	v_and_or_b32 v0, 0x80000000, v0, v1
	s_delay_alu instid0(VALU_DEP_1)
	v_cvt_i32_f32_e32 v0, v0
.LBB86_1675:
	s_mov_b32 s19, 0
	s_mov_b32 s20, -1
.LBB86_1676:
	s_and_not1_b32 vcc_lo, exec_lo, s19
	s_mov_b32 s19, 0
	s_cbranch_vccnz .LBB86_1687
; %bb.1677:
	s_cmp_gt_i32 s0, 14
	s_cbranch_scc0 .LBB86_1680
; %bb.1678:
	s_cmp_eq_u32 s0, 15
	s_cbranch_scc0 .LBB86_1683
; %bb.1679:
	s_wait_loadcnt 0x0
	global_load_u16 v0, v[2:3], off
	s_mov_b32 s18, 0
	s_mov_b32 s20, -1
	s_wait_loadcnt 0x0
	v_lshlrev_b32_e32 v0, 16, v0
	s_delay_alu instid0(VALU_DEP_1)
	v_cvt_i32_f32_e32 v0, v0
	s_branch .LBB86_1685
.LBB86_1680:
	s_mov_b32 s19, -1
	s_branch .LBB86_1684
.LBB86_1681:
	s_and_not1_saveexec_b32 s19, s19
	s_cbranch_execz .LBB86_1662
.LBB86_1682:
	v_cmp_ne_u16_e32 vcc_lo, 0, v1
	s_and_not1_b32 s20, s20, exec_lo
	s_and_b32 s21, vcc_lo, exec_lo
	s_delay_alu instid0(SALU_CYCLE_1)
	s_or_b32 s20, s20, s21
	s_or_b32 exec_lo, exec_lo, s19
	v_mov_b32_e32 v0, 0
	s_and_saveexec_b32 s19, s20
	s_cbranch_execnz .LBB86_1663
	s_branch .LBB86_1664
.LBB86_1683:
	s_mov_b32 s18, -1
.LBB86_1684:
                                        ; implicit-def: $vgpr0
.LBB86_1685:
	s_and_b32 vcc_lo, exec_lo, s19
	s_mov_b32 s19, 0
	s_cbranch_vccz .LBB86_1687
; %bb.1686:
	s_cmp_lg_u32 s0, 11
	s_mov_b32 s19, -1
	s_cselect_b32 s18, -1, 0
.LBB86_1687:
	s_delay_alu instid0(SALU_CYCLE_1)
	s_and_b32 vcc_lo, exec_lo, s18
	s_cbranch_vccnz .LBB86_1750
; %bb.1688:
	s_and_not1_b32 vcc_lo, exec_lo, s19
	s_cbranch_vccnz .LBB86_1690
.LBB86_1689:
	s_wait_loadcnt 0x0
	global_load_u8 v0, v[2:3], off
	s_mov_b32 s20, -1
	s_wait_loadcnt 0x0
	v_cmp_ne_u16_e32 vcc_lo, 0, v0
	v_cndmask_b32_e64 v0, 0, 1, vcc_lo
.LBB86_1690:
	s_branch .LBB86_1618
.LBB86_1691:
	s_and_b32 s0, 0xffff, s13
	s_delay_alu instid0(SALU_CYCLE_1)
	s_cmp_lt_i32 s0, 5
	s_cbranch_scc1 .LBB86_1696
; %bb.1692:
	s_cmp_lt_i32 s0, 8
	s_cbranch_scc1 .LBB86_1697
; %bb.1693:
	;; [unrolled: 3-line block ×3, first 2 shown]
	s_cmp_gt_i32 s0, 9
	s_cbranch_scc0 .LBB86_1699
; %bb.1695:
	s_wait_loadcnt 0x0
	global_load_b64 v[0:1], v[2:3], off
	s_mov_b32 s18, 0
	s_wait_loadcnt 0x0
	v_cvt_i32_f64_e32 v0, v[0:1]
	s_branch .LBB86_1700
.LBB86_1696:
                                        ; implicit-def: $vgpr0
	s_branch .LBB86_1718
.LBB86_1697:
	s_mov_b32 s18, -1
                                        ; implicit-def: $vgpr0
	s_branch .LBB86_1706
.LBB86_1698:
	s_mov_b32 s18, -1
                                        ; implicit-def: $vgpr0
	s_branch .LBB86_1703
.LBB86_1699:
	s_mov_b32 s18, -1
                                        ; implicit-def: $vgpr0
.LBB86_1700:
	s_delay_alu instid0(SALU_CYCLE_1)
	s_and_not1_b32 vcc_lo, exec_lo, s18
	s_cbranch_vccnz .LBB86_1702
; %bb.1701:
	s_wait_loadcnt 0x0
	global_load_b32 v0, v[2:3], off
	s_wait_loadcnt 0x0
	v_cvt_i32_f32_e32 v0, v0
.LBB86_1702:
	s_mov_b32 s18, 0
.LBB86_1703:
	s_delay_alu instid0(SALU_CYCLE_1)
	s_and_not1_b32 vcc_lo, exec_lo, s18
	s_cbranch_vccnz .LBB86_1705
; %bb.1704:
	s_wait_loadcnt 0x0
	global_load_b32 v0, v[2:3], off
	s_wait_loadcnt 0x0
	v_cvt_i16_f16_e32 v0, v0
.LBB86_1705:
	s_mov_b32 s18, 0
.LBB86_1706:
	s_delay_alu instid0(SALU_CYCLE_1)
	s_and_not1_b32 vcc_lo, exec_lo, s18
	s_cbranch_vccnz .LBB86_1717
; %bb.1707:
	s_cmp_lt_i32 s0, 6
	s_cbranch_scc1 .LBB86_1710
; %bb.1708:
	s_cmp_gt_i32 s0, 6
	s_cbranch_scc0 .LBB86_1711
; %bb.1709:
	s_wait_loadcnt 0x0
	global_load_b64 v[0:1], v[2:3], off
	s_mov_b32 s18, 0
	s_wait_loadcnt 0x0
	v_cvt_i32_f64_e32 v0, v[0:1]
	s_branch .LBB86_1712
.LBB86_1710:
	s_mov_b32 s18, -1
                                        ; implicit-def: $vgpr0
	s_branch .LBB86_1715
.LBB86_1711:
	s_mov_b32 s18, -1
                                        ; implicit-def: $vgpr0
.LBB86_1712:
	s_delay_alu instid0(SALU_CYCLE_1)
	s_and_not1_b32 vcc_lo, exec_lo, s18
	s_cbranch_vccnz .LBB86_1714
; %bb.1713:
	s_wait_loadcnt 0x0
	global_load_b32 v0, v[2:3], off
	s_wait_loadcnt 0x0
	v_cvt_i32_f32_e32 v0, v0
.LBB86_1714:
	s_mov_b32 s18, 0
.LBB86_1715:
	s_delay_alu instid0(SALU_CYCLE_1)
	s_and_not1_b32 vcc_lo, exec_lo, s18
	s_cbranch_vccnz .LBB86_1717
; %bb.1716:
	s_wait_loadcnt 0x0
	global_load_u16 v0, v[2:3], off
	s_wait_loadcnt 0x0
	v_cvt_i16_f16_e32 v0, v0
.LBB86_1717:
	s_cbranch_execnz .LBB86_1737
.LBB86_1718:
	s_cmp_lt_i32 s0, 2
	s_cbranch_scc1 .LBB86_1722
; %bb.1719:
	s_cmp_lt_i32 s0, 3
	s_cbranch_scc1 .LBB86_1723
; %bb.1720:
	s_cmp_gt_i32 s0, 3
	s_cbranch_scc0 .LBB86_1724
; %bb.1721:
	s_wait_loadcnt 0x0
	global_load_b64 v[0:1], v[2:3], off
	s_mov_b32 s18, 0
	s_branch .LBB86_1725
.LBB86_1722:
	s_mov_b32 s18, -1
                                        ; implicit-def: $vgpr0
	s_branch .LBB86_1731
.LBB86_1723:
	s_mov_b32 s18, -1
                                        ; implicit-def: $vgpr0
	s_branch .LBB86_1728
.LBB86_1724:
	s_mov_b32 s18, -1
                                        ; implicit-def: $vgpr0
.LBB86_1725:
	s_delay_alu instid0(SALU_CYCLE_1)
	s_and_not1_b32 vcc_lo, exec_lo, s18
	s_cbranch_vccnz .LBB86_1727
; %bb.1726:
	s_wait_loadcnt 0x0
	global_load_b32 v0, v[2:3], off
.LBB86_1727:
	s_mov_b32 s18, 0
.LBB86_1728:
	s_delay_alu instid0(SALU_CYCLE_1)
	s_and_not1_b32 vcc_lo, exec_lo, s18
	s_cbranch_vccnz .LBB86_1730
; %bb.1729:
	s_wait_loadcnt 0x0
	global_load_u16 v0, v[2:3], off
.LBB86_1730:
	s_mov_b32 s18, 0
.LBB86_1731:
	s_delay_alu instid0(SALU_CYCLE_1)
	s_and_not1_b32 vcc_lo, exec_lo, s18
	s_cbranch_vccnz .LBB86_1737
; %bb.1732:
	s_cmp_gt_i32 s0, 0
	s_mov_b32 s0, 0
	s_cbranch_scc0 .LBB86_1734
; %bb.1733:
	s_wait_loadcnt 0x0
	global_load_i8 v0, v[2:3], off
	s_branch .LBB86_1735
.LBB86_1734:
	s_mov_b32 s0, -1
                                        ; implicit-def: $vgpr0
.LBB86_1735:
	s_delay_alu instid0(SALU_CYCLE_1)
	s_and_not1_b32 vcc_lo, exec_lo, s0
	s_cbranch_vccnz .LBB86_1737
; %bb.1736:
	s_wait_loadcnt 0x0
	global_load_u8 v0, v[2:3], off
.LBB86_1737:
.LBB86_1738:
	v_mul_lo_u32 v6, s9, v18
	s_and_b32 s0, 0xffff, s1
	s_delay_alu instid0(SALU_CYCLE_1) | instskip(NEXT) | instid1(VALU_DEP_1)
	s_cmp_lt_i32 s0, 11
	v_ashrrev_i32_e32 v7, 31, v6
	s_delay_alu instid0(VALU_DEP_1)
	v_add_nc_u64_e32 v[8:9], s[6:7], v[6:7]
	s_cbranch_scc1 .LBB86_1745
; %bb.1739:
	s_cmp_gt_i32 s0, 25
	s_mov_b32 s18, 0
	s_cbranch_scc0 .LBB86_1747
; %bb.1740:
	s_cmp_gt_i32 s0, 28
	s_cbranch_scc0 .LBB86_1748
; %bb.1741:
	s_cmp_gt_i32 s0, 43
	;; [unrolled: 3-line block ×3, first 2 shown]
	s_cbranch_scc0 .LBB86_1751
; %bb.1743:
	s_cmp_eq_u32 s0, 46
	s_mov_b32 s20, 0
	s_cbranch_scc0 .LBB86_1752
; %bb.1744:
	s_wait_loadcnt 0x0
	global_load_b32 v1, v[8:9], off
	s_mov_b32 s1, 0
	s_mov_b32 s19, -1
	s_wait_loadcnt 0x0
	v_lshlrev_b32_e32 v1, 16, v1
	s_wait_xcnt 0x1
	s_delay_alu instid0(VALU_DEP_1)
	v_cvt_i32_f32_e32 v2, v1
	s_branch .LBB86_1754
.LBB86_1745:
	s_mov_b32 s19, 0
                                        ; implicit-def: $vgpr2
	s_cbranch_execnz .LBB86_1816
.LBB86_1746:
	s_and_not1_b32 vcc_lo, exec_lo, s19
	s_cbranch_vccz .LBB86_1864
	s_branch .LBB86_3126
.LBB86_1747:
	s_mov_b32 s20, -1
	s_mov_b32 s19, 0
	s_mov_b32 s1, 0
                                        ; implicit-def: $vgpr2
	s_branch .LBB86_1781
.LBB86_1748:
	s_mov_b32 s20, -1
	s_mov_b32 s19, 0
	s_mov_b32 s1, 0
                                        ; implicit-def: $vgpr2
	s_branch .LBB86_1764
.LBB86_1749:
	s_mov_b32 s20, -1
	s_mov_b32 s19, 0
	s_mov_b32 s1, 0
                                        ; implicit-def: $vgpr2
	s_branch .LBB86_1759
.LBB86_1750:
	s_or_b32 s14, s14, exec_lo
	s_trap 2
	s_cbranch_execz .LBB86_1689
	s_branch .LBB86_1690
.LBB86_1751:
	s_mov_b32 s20, -1
	s_mov_b32 s19, 0
	s_mov_b32 s1, 0
	s_branch .LBB86_1753
.LBB86_1752:
	s_mov_b32 s1, -1
	s_mov_b32 s19, 0
.LBB86_1753:
                                        ; implicit-def: $vgpr2
.LBB86_1754:
	s_and_b32 vcc_lo, exec_lo, s20
	s_cbranch_vccz .LBB86_1758
; %bb.1755:
	s_cmp_eq_u32 s0, 44
	s_cbranch_scc0 .LBB86_1757
; %bb.1756:
	s_wait_loadcnt 0x0
	global_load_u8 v1, v[8:9], off
	s_mov_b32 s1, 0
	s_mov_b32 s19, -1
	s_wait_loadcnt 0x0
	s_wait_xcnt 0x1
	v_lshlrev_b32_e32 v2, 23, v1
	v_cmp_ne_u32_e32 vcc_lo, 0, v1
	s_delay_alu instid0(VALU_DEP_2) | instskip(NEXT) | instid1(VALU_DEP_1)
	v_cvt_i32_f32_e32 v2, v2
	v_cndmask_b32_e32 v2, 0, v2, vcc_lo
	s_branch .LBB86_1758
.LBB86_1757:
	s_mov_b32 s1, -1
                                        ; implicit-def: $vgpr2
.LBB86_1758:
	s_mov_b32 s20, 0
.LBB86_1759:
	s_delay_alu instid0(SALU_CYCLE_1)
	s_and_b32 vcc_lo, exec_lo, s20
	s_cbranch_vccz .LBB86_1763
; %bb.1760:
	s_cmp_eq_u32 s0, 29
	s_cbranch_scc0 .LBB86_1762
; %bb.1761:
	global_load_b64 v[2:3], v[8:9], off
	s_mov_b32 s1, 0
	s_mov_b32 s19, -1
	s_branch .LBB86_1763
.LBB86_1762:
	s_mov_b32 s1, -1
                                        ; implicit-def: $vgpr2
.LBB86_1763:
	s_mov_b32 s20, 0
.LBB86_1764:
	s_delay_alu instid0(SALU_CYCLE_1)
	s_and_b32 vcc_lo, exec_lo, s20
	s_cbranch_vccz .LBB86_1780
; %bb.1765:
	s_cmp_lt_i32 s0, 27
	s_cbranch_scc1 .LBB86_1768
; %bb.1766:
	s_cmp_gt_i32 s0, 27
	s_cbranch_scc0 .LBB86_1769
; %bb.1767:
	s_wait_loadcnt 0x0
	global_load_b32 v2, v[8:9], off
	s_mov_b32 s19, 0
	s_branch .LBB86_1770
.LBB86_1768:
	s_mov_b32 s19, -1
                                        ; implicit-def: $vgpr2
	s_branch .LBB86_1773
.LBB86_1769:
	s_mov_b32 s19, -1
                                        ; implicit-def: $vgpr2
.LBB86_1770:
	s_delay_alu instid0(SALU_CYCLE_1)
	s_and_not1_b32 vcc_lo, exec_lo, s19
	s_cbranch_vccnz .LBB86_1772
; %bb.1771:
	s_wait_loadcnt 0x0
	global_load_u16 v2, v[8:9], off
.LBB86_1772:
	s_mov_b32 s19, 0
.LBB86_1773:
	s_delay_alu instid0(SALU_CYCLE_1)
	s_and_not1_b32 vcc_lo, exec_lo, s19
	s_cbranch_vccnz .LBB86_1779
; %bb.1774:
	s_wait_loadcnt 0x0
	global_load_u8 v1, v[8:9], off
	s_mov_b32 s20, 0
	s_mov_b32 s19, exec_lo
	s_wait_loadcnt 0x0
	v_cmpx_lt_i16_e32 0x7f, v1
	s_xor_b32 s19, exec_lo, s19
	s_cbranch_execz .LBB86_1791
; %bb.1775:
	v_cmp_ne_u16_e32 vcc_lo, 0x80, v1
	s_and_b32 s20, vcc_lo, exec_lo
	s_and_not1_saveexec_b32 s19, s19
	s_cbranch_execnz .LBB86_1792
.LBB86_1776:
	s_or_b32 exec_lo, exec_lo, s19
	v_mov_b32_e32 v2, 0
	s_and_saveexec_b32 s19, s20
	s_cbranch_execz .LBB86_1778
.LBB86_1777:
	v_and_b32_e32 v2, 0xffff, v1
	s_delay_alu instid0(VALU_DEP_1) | instskip(SKIP_1) | instid1(VALU_DEP_2)
	v_and_b32_e32 v3, 7, v2
	v_bfe_u32 v10, v2, 3, 4
	v_clz_i32_u32_e32 v5, v3
	s_delay_alu instid0(VALU_DEP_2) | instskip(NEXT) | instid1(VALU_DEP_2)
	v_cmp_eq_u32_e32 vcc_lo, 0, v10
	v_min_u32_e32 v5, 32, v5
	s_delay_alu instid0(VALU_DEP_1) | instskip(NEXT) | instid1(VALU_DEP_1)
	v_subrev_nc_u32_e32 v7, 28, v5
	v_dual_lshlrev_b32 v2, v7, v2 :: v_dual_sub_nc_u32 v5, 29, v5
	s_delay_alu instid0(VALU_DEP_1) | instskip(NEXT) | instid1(VALU_DEP_1)
	v_dual_lshlrev_b32 v1, 24, v1 :: v_dual_bitop2_b32 v2, 7, v2 bitop3:0x40
	v_dual_cndmask_b32 v2, v3, v2 :: v_dual_cndmask_b32 v5, v10, v5
	s_delay_alu instid0(VALU_DEP_2) | instskip(NEXT) | instid1(VALU_DEP_2)
	v_and_b32_e32 v1, 0x80000000, v1
	v_lshlrev_b32_e32 v2, 20, v2
	s_delay_alu instid0(VALU_DEP_3) | instskip(NEXT) | instid1(VALU_DEP_1)
	v_lshl_add_u32 v3, v5, 23, 0x3b800000
	v_or3_b32 v1, v1, v3, v2
	s_delay_alu instid0(VALU_DEP_1)
	v_cvt_i32_f32_e32 v2, v1
.LBB86_1778:
	s_or_b32 exec_lo, exec_lo, s19
.LBB86_1779:
	s_mov_b32 s19, -1
.LBB86_1780:
	s_mov_b32 s20, 0
.LBB86_1781:
	s_delay_alu instid0(SALU_CYCLE_1)
	s_and_b32 vcc_lo, exec_lo, s20
	s_cbranch_vccz .LBB86_1812
; %bb.1782:
	s_cmp_gt_i32 s0, 22
	s_cbranch_scc0 .LBB86_1790
; %bb.1783:
	s_cmp_lt_i32 s0, 24
	s_cbranch_scc1 .LBB86_1793
; %bb.1784:
	s_cmp_gt_i32 s0, 24
	s_cbranch_scc0 .LBB86_1794
; %bb.1785:
	s_wait_loadcnt 0x0
	global_load_u8 v1, v[8:9], off
	s_mov_b32 s19, 0
	s_mov_b32 s18, exec_lo
	s_wait_loadcnt 0x0
	v_cmpx_lt_i16_e32 0x7f, v1
	s_xor_b32 s18, exec_lo, s18
	s_cbranch_execz .LBB86_1806
; %bb.1786:
	v_cmp_ne_u16_e32 vcc_lo, 0x80, v1
	s_and_b32 s19, vcc_lo, exec_lo
	s_and_not1_saveexec_b32 s18, s18
	s_cbranch_execnz .LBB86_1807
.LBB86_1787:
	s_or_b32 exec_lo, exec_lo, s18
	v_mov_b32_e32 v2, 0
	s_and_saveexec_b32 s18, s19
	s_cbranch_execz .LBB86_1789
.LBB86_1788:
	v_and_b32_e32 v2, 0xffff, v1
	s_delay_alu instid0(VALU_DEP_1) | instskip(SKIP_1) | instid1(VALU_DEP_2)
	v_and_b32_e32 v3, 3, v2
	v_bfe_u32 v10, v2, 2, 5
	v_clz_i32_u32_e32 v5, v3
	s_delay_alu instid0(VALU_DEP_2) | instskip(NEXT) | instid1(VALU_DEP_2)
	v_cmp_eq_u32_e32 vcc_lo, 0, v10
	v_min_u32_e32 v5, 32, v5
	s_delay_alu instid0(VALU_DEP_1) | instskip(NEXT) | instid1(VALU_DEP_1)
	v_subrev_nc_u32_e32 v7, 29, v5
	v_dual_lshlrev_b32 v2, v7, v2 :: v_dual_sub_nc_u32 v5, 30, v5
	s_delay_alu instid0(VALU_DEP_1) | instskip(NEXT) | instid1(VALU_DEP_1)
	v_dual_lshlrev_b32 v1, 24, v1 :: v_dual_bitop2_b32 v2, 3, v2 bitop3:0x40
	v_dual_cndmask_b32 v2, v3, v2 :: v_dual_cndmask_b32 v5, v10, v5
	s_delay_alu instid0(VALU_DEP_2) | instskip(NEXT) | instid1(VALU_DEP_2)
	v_and_b32_e32 v1, 0x80000000, v1
	v_lshlrev_b32_e32 v2, 21, v2
	s_delay_alu instid0(VALU_DEP_3) | instskip(NEXT) | instid1(VALU_DEP_1)
	v_lshl_add_u32 v3, v5, 23, 0x37800000
	v_or3_b32 v1, v1, v3, v2
	s_delay_alu instid0(VALU_DEP_1)
	v_cvt_i32_f32_e32 v2, v1
.LBB86_1789:
	s_or_b32 exec_lo, exec_lo, s18
	s_mov_b32 s18, 0
	s_branch .LBB86_1795
.LBB86_1790:
	s_mov_b32 s18, -1
                                        ; implicit-def: $vgpr2
	s_branch .LBB86_1801
.LBB86_1791:
	s_and_not1_saveexec_b32 s19, s19
	s_cbranch_execz .LBB86_1776
.LBB86_1792:
	v_cmp_ne_u16_e32 vcc_lo, 0, v1
	s_and_not1_b32 s20, s20, exec_lo
	s_and_b32 s21, vcc_lo, exec_lo
	s_delay_alu instid0(SALU_CYCLE_1)
	s_or_b32 s20, s20, s21
	s_or_b32 exec_lo, exec_lo, s19
	v_mov_b32_e32 v2, 0
	s_and_saveexec_b32 s19, s20
	s_cbranch_execnz .LBB86_1777
	s_branch .LBB86_1778
.LBB86_1793:
	s_mov_b32 s18, -1
                                        ; implicit-def: $vgpr2
	s_branch .LBB86_1798
.LBB86_1794:
	s_mov_b32 s18, -1
                                        ; implicit-def: $vgpr2
.LBB86_1795:
	s_delay_alu instid0(SALU_CYCLE_1)
	s_and_b32 vcc_lo, exec_lo, s18
	s_cbranch_vccz .LBB86_1797
; %bb.1796:
	s_wait_loadcnt 0x0
	global_load_u8 v1, v[8:9], off
	s_wait_loadcnt 0x0
	v_lshlrev_b32_e32 v1, 24, v1
	s_wait_xcnt 0x1
	s_delay_alu instid0(VALU_DEP_1) | instskip(NEXT) | instid1(VALU_DEP_1)
	v_and_b32_e32 v2, 0x7f000000, v1
	v_clz_i32_u32_e32 v3, v2
	v_cmp_ne_u32_e32 vcc_lo, 0, v2
	v_add_nc_u32_e32 v7, 0x1000000, v2
	s_delay_alu instid0(VALU_DEP_3) | instskip(NEXT) | instid1(VALU_DEP_1)
	v_min_u32_e32 v3, 32, v3
	v_sub_nc_u32_e64 v3, v3, 4 clamp
	s_delay_alu instid0(VALU_DEP_1) | instskip(NEXT) | instid1(VALU_DEP_1)
	v_dual_lshlrev_b32 v5, v3, v2 :: v_dual_lshlrev_b32 v3, 23, v3
	v_lshrrev_b32_e32 v5, 4, v5
	s_delay_alu instid0(VALU_DEP_1) | instskip(SKIP_1) | instid1(VALU_DEP_2)
	v_sub_nc_u32_e32 v3, v5, v3
	v_ashrrev_i32_e32 v5, 8, v7
	v_add_nc_u32_e32 v3, 0x3c000000, v3
	s_delay_alu instid0(VALU_DEP_1) | instskip(NEXT) | instid1(VALU_DEP_1)
	v_and_or_b32 v3, 0x7f800000, v5, v3
	v_cndmask_b32_e32 v2, 0, v3, vcc_lo
	s_delay_alu instid0(VALU_DEP_1) | instskip(NEXT) | instid1(VALU_DEP_1)
	v_and_or_b32 v1, 0x80000000, v1, v2
	v_cvt_i32_f32_e32 v2, v1
.LBB86_1797:
	s_mov_b32 s18, 0
.LBB86_1798:
	s_delay_alu instid0(SALU_CYCLE_1)
	s_and_not1_b32 vcc_lo, exec_lo, s18
	s_cbranch_vccnz .LBB86_1800
; %bb.1799:
	s_wait_loadcnt 0x0
	global_load_u8 v1, v[8:9], off
	s_wait_loadcnt 0x0
	s_wait_xcnt 0x1
	v_lshlrev_b32_e32 v2, 25, v1
	v_lshlrev_b16 v1, 8, v1
	s_delay_alu instid0(VALU_DEP_1) | instskip(NEXT) | instid1(VALU_DEP_3)
	v_and_or_b32 v5, 0x7f00, v1, 0.5
	v_lshrrev_b32_e32 v3, 4, v2
	v_bfe_i32 v1, v1, 0, 16
	s_delay_alu instid0(VALU_DEP_3) | instskip(NEXT) | instid1(VALU_DEP_3)
	v_add_f32_e32 v5, -0.5, v5
	v_or_b32_e32 v3, 0x70000000, v3
	s_delay_alu instid0(VALU_DEP_1) | instskip(SKIP_1) | instid1(VALU_DEP_2)
	v_mul_f32_e32 v3, 0x7800000, v3
	v_cmp_gt_u32_e32 vcc_lo, 0x8000000, v2
	v_cndmask_b32_e32 v2, v3, v5, vcc_lo
	s_delay_alu instid0(VALU_DEP_1) | instskip(NEXT) | instid1(VALU_DEP_1)
	v_and_or_b32 v1, 0x80000000, v1, v2
	v_cvt_i32_f32_e32 v2, v1
.LBB86_1800:
	s_mov_b32 s18, 0
	s_mov_b32 s19, -1
.LBB86_1801:
	s_and_not1_b32 vcc_lo, exec_lo, s18
	s_mov_b32 s18, 0
	s_cbranch_vccnz .LBB86_1812
; %bb.1802:
	s_cmp_gt_i32 s0, 14
	s_cbranch_scc0 .LBB86_1805
; %bb.1803:
	s_cmp_eq_u32 s0, 15
	s_cbranch_scc0 .LBB86_1808
; %bb.1804:
	s_wait_loadcnt 0x0
	global_load_u16 v1, v[8:9], off
	s_mov_b32 s1, 0
	s_mov_b32 s19, -1
	s_wait_loadcnt 0x0
	v_lshlrev_b32_e32 v1, 16, v1
	s_wait_xcnt 0x1
	s_delay_alu instid0(VALU_DEP_1)
	v_cvt_i32_f32_e32 v2, v1
	s_branch .LBB86_1810
.LBB86_1805:
	s_mov_b32 s18, -1
	s_branch .LBB86_1809
.LBB86_1806:
	s_and_not1_saveexec_b32 s18, s18
	s_cbranch_execz .LBB86_1787
.LBB86_1807:
	v_cmp_ne_u16_e32 vcc_lo, 0, v1
	s_and_not1_b32 s19, s19, exec_lo
	s_and_b32 s20, vcc_lo, exec_lo
	s_delay_alu instid0(SALU_CYCLE_1)
	s_or_b32 s19, s19, s20
	s_or_b32 exec_lo, exec_lo, s18
	v_mov_b32_e32 v2, 0
	s_and_saveexec_b32 s18, s19
	s_cbranch_execnz .LBB86_1788
	s_branch .LBB86_1789
.LBB86_1808:
	s_mov_b32 s1, -1
.LBB86_1809:
                                        ; implicit-def: $vgpr2
.LBB86_1810:
	s_and_b32 vcc_lo, exec_lo, s18
	s_mov_b32 s18, 0
	s_cbranch_vccz .LBB86_1812
; %bb.1811:
	s_cmp_lg_u32 s0, 11
	s_mov_b32 s18, -1
	s_cselect_b32 s1, -1, 0
.LBB86_1812:
	s_delay_alu instid0(SALU_CYCLE_1)
	s_and_b32 vcc_lo, exec_lo, s1
	s_cbranch_vccnz .LBB86_1894
; %bb.1813:
	s_and_not1_b32 vcc_lo, exec_lo, s18
	s_cbranch_vccnz .LBB86_1815
.LBB86_1814:
	s_wait_loadcnt 0x0
	global_load_u8 v1, v[8:9], off
	s_mov_b32 s19, -1
	s_wait_loadcnt 0x0
	v_cmp_ne_u16_e32 vcc_lo, 0, v1
	s_wait_xcnt 0x1
	v_cndmask_b32_e64 v2, 0, 1, vcc_lo
.LBB86_1815:
	s_branch .LBB86_1746
.LBB86_1816:
	s_cmp_lt_i32 s0, 5
	s_cbranch_scc1 .LBB86_1821
; %bb.1817:
	s_cmp_lt_i32 s0, 8
	s_cbranch_scc1 .LBB86_1822
; %bb.1818:
	;; [unrolled: 3-line block ×3, first 2 shown]
	s_cmp_gt_i32 s0, 9
	s_cbranch_scc0 .LBB86_1824
; %bb.1820:
	s_wait_loadcnt 0x0
	global_load_b64 v[2:3], v[8:9], off
	s_mov_b32 s1, 0
	s_wait_loadcnt 0x0
	v_cvt_i32_f64_e32 v2, v[2:3]
	s_branch .LBB86_1825
.LBB86_1821:
	s_mov_b32 s1, -1
                                        ; implicit-def: $vgpr2
	s_branch .LBB86_1843
.LBB86_1822:
	s_mov_b32 s1, -1
                                        ; implicit-def: $vgpr2
	s_branch .LBB86_1831
.LBB86_1823:
	s_mov_b32 s1, -1
                                        ; implicit-def: $vgpr2
	s_branch .LBB86_1828
.LBB86_1824:
	s_mov_b32 s1, -1
                                        ; implicit-def: $vgpr2
.LBB86_1825:
	s_delay_alu instid0(SALU_CYCLE_1)
	s_and_not1_b32 vcc_lo, exec_lo, s1
	s_cbranch_vccnz .LBB86_1827
; %bb.1826:
	s_wait_loadcnt 0x0
	global_load_b32 v1, v[8:9], off
	s_wait_loadcnt 0x0
	s_wait_xcnt 0x1
	v_cvt_i32_f32_e32 v2, v1
.LBB86_1827:
	s_mov_b32 s1, 0
.LBB86_1828:
	s_delay_alu instid0(SALU_CYCLE_1)
	s_and_not1_b32 vcc_lo, exec_lo, s1
	s_cbranch_vccnz .LBB86_1830
; %bb.1829:
	s_wait_loadcnt 0x0
	global_load_b32 v1, v[8:9], off
	s_wait_loadcnt 0x0
	s_wait_xcnt 0x1
	v_cvt_i16_f16_e32 v2, v1
.LBB86_1830:
	s_mov_b32 s1, 0
.LBB86_1831:
	s_delay_alu instid0(SALU_CYCLE_1)
	s_and_not1_b32 vcc_lo, exec_lo, s1
	s_cbranch_vccnz .LBB86_1842
; %bb.1832:
	s_cmp_lt_i32 s0, 6
	s_cbranch_scc1 .LBB86_1835
; %bb.1833:
	s_cmp_gt_i32 s0, 6
	s_cbranch_scc0 .LBB86_1836
; %bb.1834:
	s_wait_loadcnt 0x0
	global_load_b64 v[2:3], v[8:9], off
	s_mov_b32 s1, 0
	s_wait_loadcnt 0x0
	v_cvt_i32_f64_e32 v2, v[2:3]
	s_branch .LBB86_1837
.LBB86_1835:
	s_mov_b32 s1, -1
                                        ; implicit-def: $vgpr2
	s_branch .LBB86_1840
.LBB86_1836:
	s_mov_b32 s1, -1
                                        ; implicit-def: $vgpr2
.LBB86_1837:
	s_delay_alu instid0(SALU_CYCLE_1)
	s_and_not1_b32 vcc_lo, exec_lo, s1
	s_cbranch_vccnz .LBB86_1839
; %bb.1838:
	s_wait_loadcnt 0x0
	global_load_b32 v1, v[8:9], off
	s_wait_loadcnt 0x0
	s_wait_xcnt 0x1
	v_cvt_i32_f32_e32 v2, v1
.LBB86_1839:
	s_mov_b32 s1, 0
.LBB86_1840:
	s_delay_alu instid0(SALU_CYCLE_1)
	s_and_not1_b32 vcc_lo, exec_lo, s1
	s_cbranch_vccnz .LBB86_1842
; %bb.1841:
	s_wait_loadcnt 0x0
	global_load_u16 v1, v[8:9], off
	s_wait_loadcnt 0x0
	s_wait_xcnt 0x1
	v_cvt_i16_f16_e32 v2, v1
.LBB86_1842:
	s_mov_b32 s1, 0
.LBB86_1843:
	s_delay_alu instid0(SALU_CYCLE_1)
	s_and_not1_b32 vcc_lo, exec_lo, s1
	s_cbranch_vccnz .LBB86_1863
; %bb.1844:
	s_cmp_lt_i32 s0, 2
	s_cbranch_scc1 .LBB86_1848
; %bb.1845:
	s_cmp_lt_i32 s0, 3
	s_cbranch_scc1 .LBB86_1849
; %bb.1846:
	s_cmp_gt_i32 s0, 3
	s_cbranch_scc0 .LBB86_1850
; %bb.1847:
	s_wait_loadcnt 0x0
	global_load_b64 v[2:3], v[8:9], off
	s_mov_b32 s1, 0
	s_branch .LBB86_1851
.LBB86_1848:
	s_mov_b32 s1, -1
                                        ; implicit-def: $vgpr2
	s_branch .LBB86_1857
.LBB86_1849:
	s_mov_b32 s1, -1
                                        ; implicit-def: $vgpr2
	s_branch .LBB86_1854
.LBB86_1850:
	s_mov_b32 s1, -1
                                        ; implicit-def: $vgpr2
.LBB86_1851:
	s_delay_alu instid0(SALU_CYCLE_1)
	s_and_not1_b32 vcc_lo, exec_lo, s1
	s_cbranch_vccnz .LBB86_1853
; %bb.1852:
	s_wait_loadcnt 0x0
	global_load_b32 v2, v[8:9], off
.LBB86_1853:
	s_mov_b32 s1, 0
.LBB86_1854:
	s_delay_alu instid0(SALU_CYCLE_1)
	s_and_not1_b32 vcc_lo, exec_lo, s1
	s_cbranch_vccnz .LBB86_1856
; %bb.1855:
	s_wait_loadcnt 0x0
	global_load_u16 v2, v[8:9], off
.LBB86_1856:
	s_mov_b32 s1, 0
.LBB86_1857:
	s_delay_alu instid0(SALU_CYCLE_1)
	s_and_not1_b32 vcc_lo, exec_lo, s1
	s_cbranch_vccnz .LBB86_1863
; %bb.1858:
	s_cmp_gt_i32 s0, 0
	s_mov_b32 s1, 0
	s_cbranch_scc0 .LBB86_1860
; %bb.1859:
	s_wait_loadcnt 0x0
	global_load_i8 v2, v[8:9], off
	s_branch .LBB86_1861
.LBB86_1860:
	s_mov_b32 s1, -1
                                        ; implicit-def: $vgpr2
.LBB86_1861:
	s_delay_alu instid0(SALU_CYCLE_1)
	s_and_not1_b32 vcc_lo, exec_lo, s1
	s_cbranch_vccnz .LBB86_1863
; %bb.1862:
	s_wait_loadcnt 0x0
	global_load_u8 v2, v[8:9], off
.LBB86_1863:
.LBB86_1864:
	s_cmp_lt_i32 s15, 23
	s_cbranch_scc1 .LBB86_1868
; %bb.1865:
	s_and_b32 s19, 0xffff, s15
	s_delay_alu instid0(SALU_CYCLE_1)
	s_cmp_gt_i32 s19, 43
	s_cbranch_scc0 .LBB86_1869
; %bb.1866:
	s_cmp_gt_i32 s19, 45
	s_cbranch_scc0 .LBB86_1870
; %bb.1867:
	s_cmp_lg_u32 s19, 46
	s_mov_b32 s20, 0
	s_mov_b32 s1, -1
	s_cselect_b32 s18, -1, 0
	s_branch .LBB86_1871
.LBB86_1868:
	s_mov_b32 s19, -1
	s_mov_b32 s1, 0
	s_mov_b32 s18, 0
	s_branch .LBB86_1877
.LBB86_1869:
	s_mov_b32 s20, -1
	s_mov_b32 s1, 0
	s_mov_b32 s18, 0
	s_branch .LBB86_1874
.LBB86_1870:
	s_mov_b32 s20, -1
	s_mov_b32 s1, 0
	s_mov_b32 s18, 0
.LBB86_1871:
	s_and_not1_b32 vcc_lo, exec_lo, s20
	s_cbranch_vccnz .LBB86_1873
; %bb.1872:
	s_cmp_eq_u32 s19, 44
	s_cselect_b32 s1, -1, 0
	s_cmp_lg_u32 s19, 44
	s_cselect_b32 s18, -1, 0
.LBB86_1873:
	s_mov_b32 s20, 0
.LBB86_1874:
	s_delay_alu instid0(SALU_CYCLE_1)
	s_and_b32 vcc_lo, exec_lo, s20
	s_cbranch_vccz .LBB86_1876
; %bb.1875:
	s_cmp_lt_i32 s19, 30
	s_cselect_b32 s1, -1, 0
	s_cmp_gt_i32 s19, 29
	s_cselect_b32 s18, -1, 0
.LBB86_1876:
	s_mov_b32 s19, 0
.LBB86_1877:
	s_delay_alu instid0(SALU_CYCLE_1)
	s_and_b32 vcc_lo, exec_lo, s19
	s_cbranch_vccz .LBB86_1882
; %bb.1878:
	s_and_b32 s19, 0xffff, s15
	s_mov_b32 s20, -1
	s_cmp_gt_i32 s19, 14
	s_cbranch_scc0 .LBB86_1880
; %bb.1879:
	s_cmp_eq_u32 s19, 15
	s_mov_b32 s20, 0
	s_cselect_b32 s1, -1, 0
	s_cmp_lg_u32 s19, 15
	s_cselect_b32 s18, -1, 0
.LBB86_1880:
	s_and_not1_b32 vcc_lo, exec_lo, s20
	s_cbranch_vccnz .LBB86_1882
; %bb.1881:
	s_cmp_lt_i32 s19, 12
	s_cselect_b32 s1, -1, 0
	s_cmp_gt_i32 s19, 11
	s_cselect_b32 s18, -1, 0
.LBB86_1882:
	s_delay_alu instid0(SALU_CYCLE_1)
	s_and_b32 vcc_lo, exec_lo, s18
	s_cbranch_vccnz .LBB86_1895
; %bb.1883:
	s_and_not1_b32 vcc_lo, exec_lo, s1
	s_cbranch_vccnz .LBB86_3126
.LBB86_1884:
	s_lshl_b32 s1, s8, 7
	s_cmp_lt_i32 s13, 11
	s_wait_xcnt 0x0
	v_add_nc_u32_e32 v8, s1, v4
	s_delay_alu instid0(VALU_DEP_1) | instskip(NEXT) | instid1(VALU_DEP_1)
	v_ashrrev_i32_e32 v9, 31, v8
	v_add_nc_u64_e32 v[10:11], s[4:5], v[8:9]
	s_cbranch_scc1 .LBB86_1891
; %bb.1885:
	s_and_b32 s8, 0xffff, s13
	s_mov_b32 s19, 0
	s_cmp_gt_i32 s8, 25
	s_cbranch_scc0 .LBB86_1892
; %bb.1886:
	s_cmp_gt_i32 s8, 28
	s_cbranch_scc0 .LBB86_1893
; %bb.1887:
	;; [unrolled: 3-line block ×4, first 2 shown]
	s_cmp_eq_u32 s8, 46
	s_mov_b32 s21, 0
	s_cbranch_scc0 .LBB86_1898
; %bb.1890:
	s_wait_loadcnt 0x0
	global_load_b32 v1, v[10:11], off
	s_mov_b32 s18, 0
	s_mov_b32 s20, -1
	s_wait_loadcnt 0x0
	v_lshlrev_b32_e32 v1, 16, v1
	s_delay_alu instid0(VALU_DEP_1)
	v_cvt_i32_f32_e32 v4, v1
	s_branch .LBB86_1900
.LBB86_1891:
	s_mov_b32 s8, -1
	s_mov_b32 s20, 0
                                        ; implicit-def: $vgpr4
	s_branch .LBB86_1962
.LBB86_1892:
	s_mov_b32 s21, -1
	s_mov_b32 s20, 0
	s_mov_b32 s18, 0
                                        ; implicit-def: $vgpr4
	s_branch .LBB86_1927
.LBB86_1893:
	s_mov_b32 s21, -1
	s_mov_b32 s20, 0
	s_mov_b32 s18, 0
                                        ; implicit-def: $vgpr4
	s_branch .LBB86_1910
.LBB86_1894:
	s_or_b32 s14, s14, exec_lo
	s_trap 2
	s_cbranch_execz .LBB86_1814
	s_branch .LBB86_1815
.LBB86_1895:
	s_or_b32 s14, s14, exec_lo
	s_trap 2
	s_cbranch_execz .LBB86_1884
	s_branch .LBB86_3126
.LBB86_1896:
	s_mov_b32 s21, -1
	s_mov_b32 s20, 0
	s_mov_b32 s18, 0
                                        ; implicit-def: $vgpr4
	s_branch .LBB86_1905
.LBB86_1897:
	s_mov_b32 s21, -1
	s_mov_b32 s20, 0
	s_mov_b32 s18, 0
	s_branch .LBB86_1899
.LBB86_1898:
	s_mov_b32 s18, -1
	s_mov_b32 s20, 0
.LBB86_1899:
                                        ; implicit-def: $vgpr4
.LBB86_1900:
	s_and_b32 vcc_lo, exec_lo, s21
	s_cbranch_vccz .LBB86_1904
; %bb.1901:
	s_cmp_eq_u32 s8, 44
	s_cbranch_scc0 .LBB86_1903
; %bb.1902:
	s_wait_loadcnt 0x0
	global_load_u8 v1, v[10:11], off
	s_mov_b32 s18, 0
	s_mov_b32 s20, -1
	s_wait_loadcnt 0x0
	v_lshlrev_b32_e32 v3, 23, v1
	v_cmp_ne_u32_e32 vcc_lo, 0, v1
	s_delay_alu instid0(VALU_DEP_2) | instskip(NEXT) | instid1(VALU_DEP_1)
	v_cvt_i32_f32_e32 v3, v3
	v_cndmask_b32_e32 v4, 0, v3, vcc_lo
	s_branch .LBB86_1904
.LBB86_1903:
	s_mov_b32 s18, -1
                                        ; implicit-def: $vgpr4
.LBB86_1904:
	s_mov_b32 s21, 0
.LBB86_1905:
	s_delay_alu instid0(SALU_CYCLE_1)
	s_and_b32 vcc_lo, exec_lo, s21
	s_cbranch_vccz .LBB86_1909
; %bb.1906:
	s_cmp_eq_u32 s8, 29
	s_cbranch_scc0 .LBB86_1908
; %bb.1907:
	global_load_b64 v[4:5], v[10:11], off
	s_mov_b32 s18, 0
	s_mov_b32 s20, -1
	s_branch .LBB86_1909
.LBB86_1908:
	s_mov_b32 s18, -1
                                        ; implicit-def: $vgpr4
.LBB86_1909:
	s_mov_b32 s21, 0
.LBB86_1910:
	s_delay_alu instid0(SALU_CYCLE_1)
	s_and_b32 vcc_lo, exec_lo, s21
	s_cbranch_vccz .LBB86_1926
; %bb.1911:
	s_cmp_lt_i32 s8, 27
	s_cbranch_scc1 .LBB86_1914
; %bb.1912:
	s_cmp_gt_i32 s8, 27
	s_cbranch_scc0 .LBB86_1915
; %bb.1913:
	s_wait_loadcnt 0x0
	global_load_b32 v4, v[10:11], off
	s_mov_b32 s20, 0
	s_branch .LBB86_1916
.LBB86_1914:
	s_mov_b32 s20, -1
                                        ; implicit-def: $vgpr4
	s_branch .LBB86_1919
.LBB86_1915:
	s_mov_b32 s20, -1
                                        ; implicit-def: $vgpr4
.LBB86_1916:
	s_delay_alu instid0(SALU_CYCLE_1)
	s_and_not1_b32 vcc_lo, exec_lo, s20
	s_cbranch_vccnz .LBB86_1918
; %bb.1917:
	s_wait_loadcnt 0x0
	global_load_u16 v4, v[10:11], off
.LBB86_1918:
	s_mov_b32 s20, 0
.LBB86_1919:
	s_delay_alu instid0(SALU_CYCLE_1)
	s_and_not1_b32 vcc_lo, exec_lo, s20
	s_cbranch_vccnz .LBB86_1925
; %bb.1920:
	s_wait_loadcnt 0x0
	global_load_u8 v1, v[10:11], off
	s_mov_b32 s21, 0
	s_mov_b32 s20, exec_lo
	s_wait_loadcnt 0x0
	v_cmpx_lt_i16_e32 0x7f, v1
	s_xor_b32 s20, exec_lo, s20
	s_cbranch_execz .LBB86_1937
; %bb.1921:
	v_cmp_ne_u16_e32 vcc_lo, 0x80, v1
	s_and_b32 s21, vcc_lo, exec_lo
	s_and_not1_saveexec_b32 s20, s20
	s_cbranch_execnz .LBB86_1938
.LBB86_1922:
	s_or_b32 exec_lo, exec_lo, s20
	v_mov_b32_e32 v4, 0
	s_and_saveexec_b32 s20, s21
	s_cbranch_execz .LBB86_1924
.LBB86_1923:
	v_and_b32_e32 v3, 0xffff, v1
	s_delay_alu instid0(VALU_DEP_1) | instskip(SKIP_1) | instid1(VALU_DEP_2)
	v_and_b32_e32 v4, 7, v3
	v_bfe_u32 v9, v3, 3, 4
	v_clz_i32_u32_e32 v5, v4
	s_delay_alu instid0(VALU_DEP_2) | instskip(NEXT) | instid1(VALU_DEP_2)
	v_cmp_eq_u32_e32 vcc_lo, 0, v9
	v_min_u32_e32 v5, 32, v5
	s_delay_alu instid0(VALU_DEP_1) | instskip(NEXT) | instid1(VALU_DEP_1)
	v_subrev_nc_u32_e32 v7, 28, v5
	v_dual_lshlrev_b32 v3, v7, v3 :: v_dual_sub_nc_u32 v5, 29, v5
	s_delay_alu instid0(VALU_DEP_1) | instskip(NEXT) | instid1(VALU_DEP_1)
	v_dual_lshlrev_b32 v1, 24, v1 :: v_dual_bitop2_b32 v3, 7, v3 bitop3:0x40
	v_dual_cndmask_b32 v3, v4, v3, vcc_lo :: v_dual_cndmask_b32 v5, v9, v5, vcc_lo
	s_delay_alu instid0(VALU_DEP_2) | instskip(NEXT) | instid1(VALU_DEP_2)
	v_and_b32_e32 v1, 0x80000000, v1
	v_lshlrev_b32_e32 v3, 20, v3
	s_delay_alu instid0(VALU_DEP_3) | instskip(NEXT) | instid1(VALU_DEP_1)
	v_lshl_add_u32 v4, v5, 23, 0x3b800000
	v_or3_b32 v1, v1, v4, v3
	s_delay_alu instid0(VALU_DEP_1)
	v_cvt_i32_f32_e32 v4, v1
.LBB86_1924:
	s_or_b32 exec_lo, exec_lo, s20
.LBB86_1925:
	s_mov_b32 s20, -1
.LBB86_1926:
	s_mov_b32 s21, 0
.LBB86_1927:
	s_delay_alu instid0(SALU_CYCLE_1)
	s_and_b32 vcc_lo, exec_lo, s21
	s_cbranch_vccz .LBB86_1958
; %bb.1928:
	s_cmp_gt_i32 s8, 22
	s_cbranch_scc0 .LBB86_1936
; %bb.1929:
	s_cmp_lt_i32 s8, 24
	s_cbranch_scc1 .LBB86_1939
; %bb.1930:
	s_cmp_gt_i32 s8, 24
	s_cbranch_scc0 .LBB86_1940
; %bb.1931:
	s_wait_loadcnt 0x0
	global_load_u8 v1, v[10:11], off
	s_mov_b32 s20, 0
	s_mov_b32 s19, exec_lo
	s_wait_loadcnt 0x0
	v_cmpx_lt_i16_e32 0x7f, v1
	s_xor_b32 s19, exec_lo, s19
	s_cbranch_execz .LBB86_1952
; %bb.1932:
	v_cmp_ne_u16_e32 vcc_lo, 0x80, v1
	s_and_b32 s20, vcc_lo, exec_lo
	s_and_not1_saveexec_b32 s19, s19
	s_cbranch_execnz .LBB86_1953
.LBB86_1933:
	s_or_b32 exec_lo, exec_lo, s19
	v_mov_b32_e32 v4, 0
	s_and_saveexec_b32 s19, s20
	s_cbranch_execz .LBB86_1935
.LBB86_1934:
	v_and_b32_e32 v3, 0xffff, v1
	s_delay_alu instid0(VALU_DEP_1) | instskip(SKIP_1) | instid1(VALU_DEP_2)
	v_and_b32_e32 v4, 3, v3
	v_bfe_u32 v9, v3, 2, 5
	v_clz_i32_u32_e32 v5, v4
	s_delay_alu instid0(VALU_DEP_2) | instskip(NEXT) | instid1(VALU_DEP_2)
	v_cmp_eq_u32_e32 vcc_lo, 0, v9
	v_min_u32_e32 v5, 32, v5
	s_delay_alu instid0(VALU_DEP_1) | instskip(NEXT) | instid1(VALU_DEP_1)
	v_subrev_nc_u32_e32 v7, 29, v5
	v_dual_lshlrev_b32 v3, v7, v3 :: v_dual_sub_nc_u32 v5, 30, v5
	s_delay_alu instid0(VALU_DEP_1) | instskip(NEXT) | instid1(VALU_DEP_1)
	v_dual_lshlrev_b32 v1, 24, v1 :: v_dual_bitop2_b32 v3, 3, v3 bitop3:0x40
	v_dual_cndmask_b32 v3, v4, v3, vcc_lo :: v_dual_cndmask_b32 v5, v9, v5, vcc_lo
	s_delay_alu instid0(VALU_DEP_2) | instskip(NEXT) | instid1(VALU_DEP_2)
	v_and_b32_e32 v1, 0x80000000, v1
	v_lshlrev_b32_e32 v3, 21, v3
	s_delay_alu instid0(VALU_DEP_3) | instskip(NEXT) | instid1(VALU_DEP_1)
	v_lshl_add_u32 v4, v5, 23, 0x37800000
	v_or3_b32 v1, v1, v4, v3
	s_delay_alu instid0(VALU_DEP_1)
	v_cvt_i32_f32_e32 v4, v1
.LBB86_1935:
	s_or_b32 exec_lo, exec_lo, s19
	s_mov_b32 s19, 0
	s_branch .LBB86_1941
.LBB86_1936:
	s_mov_b32 s19, -1
                                        ; implicit-def: $vgpr4
	s_branch .LBB86_1947
.LBB86_1937:
	s_and_not1_saveexec_b32 s20, s20
	s_cbranch_execz .LBB86_1922
.LBB86_1938:
	v_cmp_ne_u16_e32 vcc_lo, 0, v1
	s_and_not1_b32 s21, s21, exec_lo
	s_and_b32 s22, vcc_lo, exec_lo
	s_delay_alu instid0(SALU_CYCLE_1)
	s_or_b32 s21, s21, s22
	s_or_b32 exec_lo, exec_lo, s20
	v_mov_b32_e32 v4, 0
	s_and_saveexec_b32 s20, s21
	s_cbranch_execnz .LBB86_1923
	s_branch .LBB86_1924
.LBB86_1939:
	s_mov_b32 s19, -1
                                        ; implicit-def: $vgpr4
	s_branch .LBB86_1944
.LBB86_1940:
	s_mov_b32 s19, -1
                                        ; implicit-def: $vgpr4
.LBB86_1941:
	s_delay_alu instid0(SALU_CYCLE_1)
	s_and_b32 vcc_lo, exec_lo, s19
	s_cbranch_vccz .LBB86_1943
; %bb.1942:
	s_wait_loadcnt 0x0
	global_load_u8 v1, v[10:11], off
	s_wait_loadcnt 0x0
	v_lshlrev_b32_e32 v1, 24, v1
	s_delay_alu instid0(VALU_DEP_1) | instskip(NEXT) | instid1(VALU_DEP_1)
	v_and_b32_e32 v3, 0x7f000000, v1
	v_clz_i32_u32_e32 v4, v3
	v_add_nc_u32_e32 v7, 0x1000000, v3
	v_cmp_ne_u32_e32 vcc_lo, 0, v3
	s_delay_alu instid0(VALU_DEP_3) | instskip(NEXT) | instid1(VALU_DEP_1)
	v_min_u32_e32 v4, 32, v4
	v_sub_nc_u32_e64 v4, v4, 4 clamp
	s_delay_alu instid0(VALU_DEP_1) | instskip(NEXT) | instid1(VALU_DEP_1)
	v_dual_lshlrev_b32 v5, v4, v3 :: v_dual_lshlrev_b32 v4, 23, v4
	v_lshrrev_b32_e32 v5, 4, v5
	s_delay_alu instid0(VALU_DEP_1) | instskip(NEXT) | instid1(VALU_DEP_1)
	v_dual_sub_nc_u32 v4, v5, v4 :: v_dual_ashrrev_i32 v5, 8, v7
	v_add_nc_u32_e32 v4, 0x3c000000, v4
	s_delay_alu instid0(VALU_DEP_1) | instskip(NEXT) | instid1(VALU_DEP_1)
	v_and_or_b32 v4, 0x7f800000, v5, v4
	v_cndmask_b32_e32 v3, 0, v4, vcc_lo
	s_delay_alu instid0(VALU_DEP_1) | instskip(NEXT) | instid1(VALU_DEP_1)
	v_and_or_b32 v1, 0x80000000, v1, v3
	v_cvt_i32_f32_e32 v4, v1
.LBB86_1943:
	s_mov_b32 s19, 0
.LBB86_1944:
	s_delay_alu instid0(SALU_CYCLE_1)
	s_and_not1_b32 vcc_lo, exec_lo, s19
	s_cbranch_vccnz .LBB86_1946
; %bb.1945:
	s_wait_loadcnt 0x0
	global_load_u8 v1, v[10:11], off
	s_wait_loadcnt 0x0
	v_lshlrev_b32_e32 v3, 25, v1
	v_lshlrev_b16 v1, 8, v1
	s_delay_alu instid0(VALU_DEP_1) | instskip(NEXT) | instid1(VALU_DEP_3)
	v_and_or_b32 v5, 0x7f00, v1, 0.5
	v_lshrrev_b32_e32 v4, 4, v3
	v_bfe_i32 v1, v1, 0, 16
	s_delay_alu instid0(VALU_DEP_3) | instskip(NEXT) | instid1(VALU_DEP_3)
	v_add_f32_e32 v5, -0.5, v5
	v_or_b32_e32 v4, 0x70000000, v4
	s_delay_alu instid0(VALU_DEP_1) | instskip(SKIP_1) | instid1(VALU_DEP_2)
	v_mul_f32_e32 v4, 0x7800000, v4
	v_cmp_gt_u32_e32 vcc_lo, 0x8000000, v3
	v_cndmask_b32_e32 v3, v4, v5, vcc_lo
	s_delay_alu instid0(VALU_DEP_1) | instskip(NEXT) | instid1(VALU_DEP_1)
	v_and_or_b32 v1, 0x80000000, v1, v3
	v_cvt_i32_f32_e32 v4, v1
.LBB86_1946:
	s_mov_b32 s19, 0
	s_mov_b32 s20, -1
.LBB86_1947:
	s_and_not1_b32 vcc_lo, exec_lo, s19
	s_mov_b32 s19, 0
	s_cbranch_vccnz .LBB86_1958
; %bb.1948:
	s_cmp_gt_i32 s8, 14
	s_cbranch_scc0 .LBB86_1951
; %bb.1949:
	s_cmp_eq_u32 s8, 15
	s_cbranch_scc0 .LBB86_1954
; %bb.1950:
	s_wait_loadcnt 0x0
	global_load_u16 v1, v[10:11], off
	s_mov_b32 s18, 0
	s_mov_b32 s20, -1
	s_wait_loadcnt 0x0
	v_lshlrev_b32_e32 v1, 16, v1
	s_delay_alu instid0(VALU_DEP_1)
	v_cvt_i32_f32_e32 v4, v1
	s_branch .LBB86_1956
.LBB86_1951:
	s_mov_b32 s19, -1
	s_branch .LBB86_1955
.LBB86_1952:
	s_and_not1_saveexec_b32 s19, s19
	s_cbranch_execz .LBB86_1933
.LBB86_1953:
	v_cmp_ne_u16_e32 vcc_lo, 0, v1
	s_and_not1_b32 s20, s20, exec_lo
	s_and_b32 s21, vcc_lo, exec_lo
	s_delay_alu instid0(SALU_CYCLE_1)
	s_or_b32 s20, s20, s21
	s_or_b32 exec_lo, exec_lo, s19
	v_mov_b32_e32 v4, 0
	s_and_saveexec_b32 s19, s20
	s_cbranch_execnz .LBB86_1934
	s_branch .LBB86_1935
.LBB86_1954:
	s_mov_b32 s18, -1
.LBB86_1955:
                                        ; implicit-def: $vgpr4
.LBB86_1956:
	s_and_b32 vcc_lo, exec_lo, s19
	s_mov_b32 s19, 0
	s_cbranch_vccz .LBB86_1958
; %bb.1957:
	s_cmp_lg_u32 s8, 11
	s_mov_b32 s19, -1
	s_cselect_b32 s18, -1, 0
.LBB86_1958:
	s_delay_alu instid0(SALU_CYCLE_1)
	s_and_b32 vcc_lo, exec_lo, s18
	s_cbranch_vccnz .LBB86_2023
; %bb.1959:
	s_and_not1_b32 vcc_lo, exec_lo, s19
	s_cbranch_vccnz .LBB86_1961
.LBB86_1960:
	s_wait_loadcnt 0x0
	global_load_u8 v1, v[10:11], off
	s_mov_b32 s20, -1
	s_wait_loadcnt 0x0
	v_cmp_ne_u16_e32 vcc_lo, 0, v1
	v_cndmask_b32_e64 v4, 0, 1, vcc_lo
.LBB86_1961:
	s_mov_b32 s8, 0
.LBB86_1962:
	s_delay_alu instid0(SALU_CYCLE_1)
	s_and_b32 vcc_lo, exec_lo, s8
	s_cbranch_vccz .LBB86_2011
; %bb.1963:
	s_and_b32 s8, 0xffff, s13
	s_delay_alu instid0(SALU_CYCLE_1)
	s_cmp_lt_i32 s8, 5
	s_cbranch_scc1 .LBB86_1968
; %bb.1964:
	s_cmp_lt_i32 s8, 8
	s_cbranch_scc1 .LBB86_1969
; %bb.1965:
	;; [unrolled: 3-line block ×3, first 2 shown]
	s_cmp_gt_i32 s8, 9
	s_cbranch_scc0 .LBB86_1971
; %bb.1967:
	s_wait_loadcnt 0x0
	global_load_b64 v[4:5], v[10:11], off
	s_mov_b32 s18, 0
	s_wait_loadcnt 0x0
	v_cvt_i32_f64_e32 v4, v[4:5]
	s_branch .LBB86_1972
.LBB86_1968:
	s_mov_b32 s18, -1
                                        ; implicit-def: $vgpr4
	s_branch .LBB86_1990
.LBB86_1969:
	s_mov_b32 s18, -1
                                        ; implicit-def: $vgpr4
	s_branch .LBB86_1978
.LBB86_1970:
	s_mov_b32 s18, -1
                                        ; implicit-def: $vgpr4
	s_branch .LBB86_1975
.LBB86_1971:
	s_mov_b32 s18, -1
                                        ; implicit-def: $vgpr4
.LBB86_1972:
	s_delay_alu instid0(SALU_CYCLE_1)
	s_and_not1_b32 vcc_lo, exec_lo, s18
	s_cbranch_vccnz .LBB86_1974
; %bb.1973:
	s_wait_loadcnt 0x0
	global_load_b32 v1, v[10:11], off
	s_wait_loadcnt 0x0
	v_cvt_i32_f32_e32 v4, v1
.LBB86_1974:
	s_mov_b32 s18, 0
.LBB86_1975:
	s_delay_alu instid0(SALU_CYCLE_1)
	s_and_not1_b32 vcc_lo, exec_lo, s18
	s_cbranch_vccnz .LBB86_1977
; %bb.1976:
	s_wait_loadcnt 0x0
	global_load_b32 v1, v[10:11], off
	s_wait_loadcnt 0x0
	v_cvt_i16_f16_e32 v4, v1
.LBB86_1977:
	s_mov_b32 s18, 0
.LBB86_1978:
	s_delay_alu instid0(SALU_CYCLE_1)
	s_and_not1_b32 vcc_lo, exec_lo, s18
	s_cbranch_vccnz .LBB86_1989
; %bb.1979:
	s_cmp_lt_i32 s8, 6
	s_cbranch_scc1 .LBB86_1982
; %bb.1980:
	s_cmp_gt_i32 s8, 6
	s_cbranch_scc0 .LBB86_1983
; %bb.1981:
	s_wait_loadcnt 0x0
	global_load_b64 v[4:5], v[10:11], off
	s_mov_b32 s18, 0
	s_wait_loadcnt 0x0
	v_cvt_i32_f64_e32 v4, v[4:5]
	s_branch .LBB86_1984
.LBB86_1982:
	s_mov_b32 s18, -1
                                        ; implicit-def: $vgpr4
	s_branch .LBB86_1987
.LBB86_1983:
	s_mov_b32 s18, -1
                                        ; implicit-def: $vgpr4
.LBB86_1984:
	s_delay_alu instid0(SALU_CYCLE_1)
	s_and_not1_b32 vcc_lo, exec_lo, s18
	s_cbranch_vccnz .LBB86_1986
; %bb.1985:
	s_wait_loadcnt 0x0
	global_load_b32 v1, v[10:11], off
	s_wait_loadcnt 0x0
	v_cvt_i32_f32_e32 v4, v1
.LBB86_1986:
	s_mov_b32 s18, 0
.LBB86_1987:
	s_delay_alu instid0(SALU_CYCLE_1)
	s_and_not1_b32 vcc_lo, exec_lo, s18
	s_cbranch_vccnz .LBB86_1989
; %bb.1988:
	s_wait_loadcnt 0x0
	global_load_u16 v1, v[10:11], off
	s_wait_loadcnt 0x0
	v_cvt_i16_f16_e32 v4, v1
.LBB86_1989:
	s_mov_b32 s18, 0
.LBB86_1990:
	s_delay_alu instid0(SALU_CYCLE_1)
	s_and_not1_b32 vcc_lo, exec_lo, s18
	s_cbranch_vccnz .LBB86_2010
; %bb.1991:
	s_cmp_lt_i32 s8, 2
	s_cbranch_scc1 .LBB86_1995
; %bb.1992:
	s_cmp_lt_i32 s8, 3
	s_cbranch_scc1 .LBB86_1996
; %bb.1993:
	s_cmp_gt_i32 s8, 3
	s_cbranch_scc0 .LBB86_1997
; %bb.1994:
	s_wait_loadcnt 0x0
	global_load_b64 v[4:5], v[10:11], off
	s_mov_b32 s18, 0
	s_branch .LBB86_1998
.LBB86_1995:
	s_mov_b32 s18, -1
                                        ; implicit-def: $vgpr4
	s_branch .LBB86_2004
.LBB86_1996:
	s_mov_b32 s18, -1
                                        ; implicit-def: $vgpr4
	s_branch .LBB86_2001
.LBB86_1997:
	s_mov_b32 s18, -1
                                        ; implicit-def: $vgpr4
.LBB86_1998:
	s_delay_alu instid0(SALU_CYCLE_1)
	s_and_not1_b32 vcc_lo, exec_lo, s18
	s_cbranch_vccnz .LBB86_2000
; %bb.1999:
	s_wait_loadcnt 0x0
	global_load_b32 v4, v[10:11], off
.LBB86_2000:
	s_mov_b32 s18, 0
.LBB86_2001:
	s_delay_alu instid0(SALU_CYCLE_1)
	s_and_not1_b32 vcc_lo, exec_lo, s18
	s_cbranch_vccnz .LBB86_2003
; %bb.2002:
	s_wait_loadcnt 0x0
	global_load_u16 v4, v[10:11], off
.LBB86_2003:
	s_mov_b32 s18, 0
.LBB86_2004:
	s_delay_alu instid0(SALU_CYCLE_1)
	s_and_not1_b32 vcc_lo, exec_lo, s18
	s_cbranch_vccnz .LBB86_2010
; %bb.2005:
	s_cmp_gt_i32 s8, 0
	s_mov_b32 s8, 0
	s_cbranch_scc0 .LBB86_2007
; %bb.2006:
	s_wait_loadcnt 0x0
	global_load_i8 v4, v[10:11], off
	s_branch .LBB86_2008
.LBB86_2007:
	s_mov_b32 s8, -1
                                        ; implicit-def: $vgpr4
.LBB86_2008:
	s_delay_alu instid0(SALU_CYCLE_1)
	s_and_not1_b32 vcc_lo, exec_lo, s8
	s_cbranch_vccnz .LBB86_2010
; %bb.2009:
	s_wait_loadcnt 0x0
	global_load_u8 v4, v[10:11], off
.LBB86_2010:
	s_mov_b32 s20, -1
.LBB86_2011:
	s_delay_alu instid0(SALU_CYCLE_1)
	s_and_not1_b32 vcc_lo, exec_lo, s20
	s_cbranch_vccnz .LBB86_3126
; %bb.2012:
	s_lshl_b32 s8, s9, 7
	s_cmp_lt_i32 s0, 11
	s_wait_xcnt 0x0
	v_add_nc_u32_e32 v10, s8, v6
	s_delay_alu instid0(VALU_DEP_1) | instskip(NEXT) | instid1(VALU_DEP_1)
	v_ashrrev_i32_e32 v11, 31, v10
	v_add_nc_u64_e32 v[12:13], s[6:7], v[10:11]
	s_cbranch_scc1 .LBB86_2019
; %bb.2013:
	s_cmp_gt_i32 s0, 25
	s_mov_b32 s18, 0
	s_cbranch_scc0 .LBB86_2020
; %bb.2014:
	s_cmp_gt_i32 s0, 28
	s_cbranch_scc0 .LBB86_2021
; %bb.2015:
	s_cmp_gt_i32 s0, 43
	;; [unrolled: 3-line block ×3, first 2 shown]
	s_cbranch_scc0 .LBB86_2024
; %bb.2017:
	s_cmp_eq_u32 s0, 46
	s_mov_b32 s20, 0
	s_cbranch_scc0 .LBB86_2027
; %bb.2018:
	s_wait_loadcnt 0x0
	global_load_b32 v1, v[12:13], off
	s_mov_b32 s9, 0
	s_mov_b32 s19, -1
	s_wait_loadcnt 0x0
	v_lshlrev_b32_e32 v1, 16, v1
	s_delay_alu instid0(VALU_DEP_1)
	v_cvt_i32_f32_e32 v6, v1
	s_branch .LBB86_2029
.LBB86_2019:
	s_mov_b32 s9, -1
	s_mov_b32 s19, 0
                                        ; implicit-def: $vgpr6
	s_branch .LBB86_2091
.LBB86_2020:
	s_mov_b32 s20, -1
	s_mov_b32 s19, 0
	s_mov_b32 s9, 0
                                        ; implicit-def: $vgpr6
	s_branch .LBB86_2056
.LBB86_2021:
	s_mov_b32 s20, -1
	s_mov_b32 s19, 0
	s_mov_b32 s9, 0
                                        ; implicit-def: $vgpr6
	s_branch .LBB86_2039
.LBB86_2022:
	s_mov_b32 s20, -1
	s_mov_b32 s19, 0
	s_mov_b32 s9, 0
                                        ; implicit-def: $vgpr6
	s_branch .LBB86_2034
.LBB86_2023:
	s_or_b32 s14, s14, exec_lo
	s_trap 2
	s_cbranch_execz .LBB86_1960
	s_branch .LBB86_1961
.LBB86_2024:
	s_mov_b32 s20, -1
	s_mov_b32 s19, 0
	s_mov_b32 s9, 0
	s_branch .LBB86_2028
.LBB86_2025:
	s_and_not1_saveexec_b32 s37, s37
	s_cbranch_execz .LBB86_1106
.LBB86_2026:
	v_add_f32_e64 v3, 0x46000000, |v2|
	s_and_not1_b32 s36, s36, exec_lo
	s_delay_alu instid0(VALU_DEP_1) | instskip(NEXT) | instid1(VALU_DEP_1)
	v_and_b32_e32 v3, 0xff, v3
	v_cmp_ne_u32_e32 vcc_lo, 0, v3
	s_and_b32 s38, vcc_lo, exec_lo
	s_delay_alu instid0(SALU_CYCLE_1)
	s_or_b32 s36, s36, s38
	s_or_b32 exec_lo, exec_lo, s37
	v_mov_b32_e32 v5, 0
	s_and_saveexec_b32 s37, s36
	s_cbranch_execnz .LBB86_1107
	s_branch .LBB86_1108
.LBB86_2027:
	s_mov_b32 s9, -1
	s_mov_b32 s19, 0
.LBB86_2028:
                                        ; implicit-def: $vgpr6
.LBB86_2029:
	s_and_b32 vcc_lo, exec_lo, s20
	s_cbranch_vccz .LBB86_2033
; %bb.2030:
	s_cmp_eq_u32 s0, 44
	s_cbranch_scc0 .LBB86_2032
; %bb.2031:
	s_wait_loadcnt 0x0
	global_load_u8 v1, v[12:13], off
	s_mov_b32 s9, 0
	s_mov_b32 s19, -1
	s_wait_loadcnt 0x0
	v_lshlrev_b32_e32 v3, 23, v1
	v_cmp_ne_u32_e32 vcc_lo, 0, v1
	s_delay_alu instid0(VALU_DEP_2) | instskip(NEXT) | instid1(VALU_DEP_1)
	v_cvt_i32_f32_e32 v3, v3
	v_cndmask_b32_e32 v6, 0, v3, vcc_lo
	s_branch .LBB86_2033
.LBB86_2032:
	s_mov_b32 s9, -1
                                        ; implicit-def: $vgpr6
.LBB86_2033:
	s_mov_b32 s20, 0
.LBB86_2034:
	s_delay_alu instid0(SALU_CYCLE_1)
	s_and_b32 vcc_lo, exec_lo, s20
	s_cbranch_vccz .LBB86_2038
; %bb.2035:
	s_cmp_eq_u32 s0, 29
	s_cbranch_scc0 .LBB86_2037
; %bb.2036:
	global_load_b64 v[6:7], v[12:13], off
	s_mov_b32 s9, 0
	s_mov_b32 s19, -1
	s_branch .LBB86_2038
.LBB86_2037:
	s_mov_b32 s9, -1
                                        ; implicit-def: $vgpr6
.LBB86_2038:
	s_mov_b32 s20, 0
.LBB86_2039:
	s_delay_alu instid0(SALU_CYCLE_1)
	s_and_b32 vcc_lo, exec_lo, s20
	s_cbranch_vccz .LBB86_2055
; %bb.2040:
	s_cmp_lt_i32 s0, 27
	s_cbranch_scc1 .LBB86_2043
; %bb.2041:
	s_cmp_gt_i32 s0, 27
	s_cbranch_scc0 .LBB86_2044
; %bb.2042:
	s_wait_loadcnt 0x0
	global_load_b32 v6, v[12:13], off
	s_mov_b32 s19, 0
	s_branch .LBB86_2045
.LBB86_2043:
	s_mov_b32 s19, -1
                                        ; implicit-def: $vgpr6
	s_branch .LBB86_2048
.LBB86_2044:
	s_mov_b32 s19, -1
                                        ; implicit-def: $vgpr6
.LBB86_2045:
	s_delay_alu instid0(SALU_CYCLE_1)
	s_and_not1_b32 vcc_lo, exec_lo, s19
	s_cbranch_vccnz .LBB86_2047
; %bb.2046:
	s_wait_loadcnt 0x0
	global_load_u16 v6, v[12:13], off
.LBB86_2047:
	s_mov_b32 s19, 0
.LBB86_2048:
	s_delay_alu instid0(SALU_CYCLE_1)
	s_and_not1_b32 vcc_lo, exec_lo, s19
	s_cbranch_vccnz .LBB86_2054
; %bb.2049:
	s_wait_loadcnt 0x0
	global_load_u8 v1, v[12:13], off
	s_mov_b32 s20, 0
	s_mov_b32 s19, exec_lo
	s_wait_loadcnt 0x0
	v_cmpx_lt_i16_e32 0x7f, v1
	s_xor_b32 s19, exec_lo, s19
	s_cbranch_execz .LBB86_2066
; %bb.2050:
	v_cmp_ne_u16_e32 vcc_lo, 0x80, v1
	s_and_b32 s20, vcc_lo, exec_lo
	s_and_not1_saveexec_b32 s19, s19
	s_cbranch_execnz .LBB86_2067
.LBB86_2051:
	s_or_b32 exec_lo, exec_lo, s19
	v_mov_b32_e32 v6, 0
	s_and_saveexec_b32 s19, s20
	s_cbranch_execz .LBB86_2053
.LBB86_2052:
	v_and_b32_e32 v3, 0xffff, v1
	s_delay_alu instid0(VALU_DEP_1) | instskip(SKIP_1) | instid1(VALU_DEP_2)
	v_and_b32_e32 v5, 7, v3
	v_bfe_u32 v9, v3, 3, 4
	v_clz_i32_u32_e32 v6, v5
	s_delay_alu instid0(VALU_DEP_2) | instskip(NEXT) | instid1(VALU_DEP_2)
	v_cmp_eq_u32_e32 vcc_lo, 0, v9
	v_min_u32_e32 v6, 32, v6
	s_delay_alu instid0(VALU_DEP_1) | instskip(NEXT) | instid1(VALU_DEP_1)
	v_subrev_nc_u32_e32 v7, 28, v6
	v_dual_lshlrev_b32 v3, v7, v3 :: v_dual_sub_nc_u32 v6, 29, v6
	s_delay_alu instid0(VALU_DEP_1) | instskip(NEXT) | instid1(VALU_DEP_2)
	v_dual_lshlrev_b32 v1, 24, v1 :: v_dual_bitop2_b32 v3, 7, v3 bitop3:0x40
	v_cndmask_b32_e32 v6, v9, v6, vcc_lo
	s_delay_alu instid0(VALU_DEP_2) | instskip(NEXT) | instid1(VALU_DEP_3)
	v_cndmask_b32_e32 v3, v5, v3, vcc_lo
	v_and_b32_e32 v1, 0x80000000, v1
	s_delay_alu instid0(VALU_DEP_3) | instskip(NEXT) | instid1(VALU_DEP_3)
	v_lshl_add_u32 v5, v6, 23, 0x3b800000
	v_lshlrev_b32_e32 v3, 20, v3
	s_delay_alu instid0(VALU_DEP_1) | instskip(NEXT) | instid1(VALU_DEP_1)
	v_or3_b32 v1, v1, v5, v3
	v_cvt_i32_f32_e32 v6, v1
.LBB86_2053:
	s_or_b32 exec_lo, exec_lo, s19
.LBB86_2054:
	s_mov_b32 s19, -1
.LBB86_2055:
	s_mov_b32 s20, 0
.LBB86_2056:
	s_delay_alu instid0(SALU_CYCLE_1)
	s_and_b32 vcc_lo, exec_lo, s20
	s_cbranch_vccz .LBB86_2087
; %bb.2057:
	s_cmp_gt_i32 s0, 22
	s_cbranch_scc0 .LBB86_2065
; %bb.2058:
	s_cmp_lt_i32 s0, 24
	s_cbranch_scc1 .LBB86_2068
; %bb.2059:
	s_cmp_gt_i32 s0, 24
	s_cbranch_scc0 .LBB86_2069
; %bb.2060:
	s_wait_loadcnt 0x0
	global_load_u8 v1, v[12:13], off
	s_mov_b32 s19, 0
	s_mov_b32 s18, exec_lo
	s_wait_loadcnt 0x0
	v_cmpx_lt_i16_e32 0x7f, v1
	s_xor_b32 s18, exec_lo, s18
	s_cbranch_execz .LBB86_2081
; %bb.2061:
	v_cmp_ne_u16_e32 vcc_lo, 0x80, v1
	s_and_b32 s19, vcc_lo, exec_lo
	s_and_not1_saveexec_b32 s18, s18
	s_cbranch_execnz .LBB86_2082
.LBB86_2062:
	s_or_b32 exec_lo, exec_lo, s18
	v_mov_b32_e32 v6, 0
	s_and_saveexec_b32 s18, s19
	s_cbranch_execz .LBB86_2064
.LBB86_2063:
	v_and_b32_e32 v3, 0xffff, v1
	s_delay_alu instid0(VALU_DEP_1) | instskip(SKIP_1) | instid1(VALU_DEP_2)
	v_and_b32_e32 v5, 3, v3
	v_bfe_u32 v9, v3, 2, 5
	v_clz_i32_u32_e32 v6, v5
	s_delay_alu instid0(VALU_DEP_2) | instskip(NEXT) | instid1(VALU_DEP_2)
	v_cmp_eq_u32_e32 vcc_lo, 0, v9
	v_min_u32_e32 v6, 32, v6
	s_delay_alu instid0(VALU_DEP_1) | instskip(NEXT) | instid1(VALU_DEP_1)
	v_subrev_nc_u32_e32 v7, 29, v6
	v_dual_lshlrev_b32 v3, v7, v3 :: v_dual_sub_nc_u32 v6, 30, v6
	s_delay_alu instid0(VALU_DEP_1) | instskip(NEXT) | instid1(VALU_DEP_2)
	v_dual_lshlrev_b32 v1, 24, v1 :: v_dual_bitop2_b32 v3, 3, v3 bitop3:0x40
	v_cndmask_b32_e32 v6, v9, v6, vcc_lo
	s_delay_alu instid0(VALU_DEP_2) | instskip(NEXT) | instid1(VALU_DEP_3)
	v_cndmask_b32_e32 v3, v5, v3, vcc_lo
	v_and_b32_e32 v1, 0x80000000, v1
	s_delay_alu instid0(VALU_DEP_3) | instskip(NEXT) | instid1(VALU_DEP_3)
	v_lshl_add_u32 v5, v6, 23, 0x37800000
	v_lshlrev_b32_e32 v3, 21, v3
	s_delay_alu instid0(VALU_DEP_1) | instskip(NEXT) | instid1(VALU_DEP_1)
	v_or3_b32 v1, v1, v5, v3
	v_cvt_i32_f32_e32 v6, v1
.LBB86_2064:
	s_or_b32 exec_lo, exec_lo, s18
	s_mov_b32 s18, 0
	s_branch .LBB86_2070
.LBB86_2065:
	s_mov_b32 s18, -1
                                        ; implicit-def: $vgpr6
	s_branch .LBB86_2076
.LBB86_2066:
	s_and_not1_saveexec_b32 s19, s19
	s_cbranch_execz .LBB86_2051
.LBB86_2067:
	v_cmp_ne_u16_e32 vcc_lo, 0, v1
	s_and_not1_b32 s20, s20, exec_lo
	s_and_b32 s21, vcc_lo, exec_lo
	s_delay_alu instid0(SALU_CYCLE_1)
	s_or_b32 s20, s20, s21
	s_or_b32 exec_lo, exec_lo, s19
	v_mov_b32_e32 v6, 0
	s_and_saveexec_b32 s19, s20
	s_cbranch_execnz .LBB86_2052
	s_branch .LBB86_2053
.LBB86_2068:
	s_mov_b32 s18, -1
                                        ; implicit-def: $vgpr6
	s_branch .LBB86_2073
.LBB86_2069:
	s_mov_b32 s18, -1
                                        ; implicit-def: $vgpr6
.LBB86_2070:
	s_delay_alu instid0(SALU_CYCLE_1)
	s_and_b32 vcc_lo, exec_lo, s18
	s_cbranch_vccz .LBB86_2072
; %bb.2071:
	s_wait_loadcnt 0x0
	global_load_u8 v1, v[12:13], off
	s_wait_loadcnt 0x0
	v_lshlrev_b32_e32 v1, 24, v1
	s_delay_alu instid0(VALU_DEP_1) | instskip(NEXT) | instid1(VALU_DEP_1)
	v_and_b32_e32 v3, 0x7f000000, v1
	v_clz_i32_u32_e32 v5, v3
	v_add_nc_u32_e32 v7, 0x1000000, v3
	v_cmp_ne_u32_e32 vcc_lo, 0, v3
	s_delay_alu instid0(VALU_DEP_3) | instskip(NEXT) | instid1(VALU_DEP_1)
	v_min_u32_e32 v5, 32, v5
	v_sub_nc_u32_e64 v5, v5, 4 clamp
	s_delay_alu instid0(VALU_DEP_1) | instskip(NEXT) | instid1(VALU_DEP_1)
	v_dual_lshlrev_b32 v6, v5, v3 :: v_dual_lshlrev_b32 v5, 23, v5
	v_lshrrev_b32_e32 v6, 4, v6
	s_delay_alu instid0(VALU_DEP_1) | instskip(NEXT) | instid1(VALU_DEP_1)
	v_dual_sub_nc_u32 v5, v6, v5 :: v_dual_ashrrev_i32 v6, 8, v7
	v_add_nc_u32_e32 v5, 0x3c000000, v5
	s_delay_alu instid0(VALU_DEP_1) | instskip(NEXT) | instid1(VALU_DEP_1)
	v_and_or_b32 v5, 0x7f800000, v6, v5
	v_cndmask_b32_e32 v3, 0, v5, vcc_lo
	s_delay_alu instid0(VALU_DEP_1) | instskip(NEXT) | instid1(VALU_DEP_1)
	v_and_or_b32 v1, 0x80000000, v1, v3
	v_cvt_i32_f32_e32 v6, v1
.LBB86_2072:
	s_mov_b32 s18, 0
.LBB86_2073:
	s_delay_alu instid0(SALU_CYCLE_1)
	s_and_not1_b32 vcc_lo, exec_lo, s18
	s_cbranch_vccnz .LBB86_2075
; %bb.2074:
	s_wait_loadcnt 0x0
	global_load_u8 v1, v[12:13], off
	s_wait_loadcnt 0x0
	v_lshlrev_b32_e32 v3, 25, v1
	v_lshlrev_b16 v1, 8, v1
	s_delay_alu instid0(VALU_DEP_1) | instskip(SKIP_1) | instid1(VALU_DEP_2)
	v_and_or_b32 v6, 0x7f00, v1, 0.5
	v_bfe_i32 v1, v1, 0, 16
	v_dual_add_f32 v6, -0.5, v6 :: v_dual_lshrrev_b32 v5, 4, v3
	v_cmp_gt_u32_e32 vcc_lo, 0x8000000, v3
	s_delay_alu instid0(VALU_DEP_2) | instskip(NEXT) | instid1(VALU_DEP_1)
	v_or_b32_e32 v5, 0x70000000, v5
	v_mul_f32_e32 v5, 0x7800000, v5
	s_delay_alu instid0(VALU_DEP_1) | instskip(NEXT) | instid1(VALU_DEP_1)
	v_cndmask_b32_e32 v3, v5, v6, vcc_lo
	v_and_or_b32 v1, 0x80000000, v1, v3
	s_delay_alu instid0(VALU_DEP_1)
	v_cvt_i32_f32_e32 v6, v1
.LBB86_2075:
	s_mov_b32 s18, 0
	s_mov_b32 s19, -1
.LBB86_2076:
	s_and_not1_b32 vcc_lo, exec_lo, s18
	s_mov_b32 s18, 0
	s_cbranch_vccnz .LBB86_2087
; %bb.2077:
	s_cmp_gt_i32 s0, 14
	s_cbranch_scc0 .LBB86_2080
; %bb.2078:
	s_cmp_eq_u32 s0, 15
	s_cbranch_scc0 .LBB86_2083
; %bb.2079:
	s_wait_loadcnt 0x0
	global_load_u16 v1, v[12:13], off
	s_mov_b32 s9, 0
	s_mov_b32 s19, -1
	s_wait_loadcnt 0x0
	v_lshlrev_b32_e32 v1, 16, v1
	s_delay_alu instid0(VALU_DEP_1)
	v_cvt_i32_f32_e32 v6, v1
	s_branch .LBB86_2085
.LBB86_2080:
	s_mov_b32 s18, -1
	s_branch .LBB86_2084
.LBB86_2081:
	s_and_not1_saveexec_b32 s18, s18
	s_cbranch_execz .LBB86_2062
.LBB86_2082:
	v_cmp_ne_u16_e32 vcc_lo, 0, v1
	s_and_not1_b32 s19, s19, exec_lo
	s_and_b32 s20, vcc_lo, exec_lo
	s_delay_alu instid0(SALU_CYCLE_1)
	s_or_b32 s19, s19, s20
	s_or_b32 exec_lo, exec_lo, s18
	v_mov_b32_e32 v6, 0
	s_and_saveexec_b32 s18, s19
	s_cbranch_execnz .LBB86_2063
	s_branch .LBB86_2064
.LBB86_2083:
	s_mov_b32 s9, -1
.LBB86_2084:
                                        ; implicit-def: $vgpr6
.LBB86_2085:
	s_and_b32 vcc_lo, exec_lo, s18
	s_mov_b32 s18, 0
	s_cbranch_vccz .LBB86_2087
; %bb.2086:
	s_cmp_lg_u32 s0, 11
	s_mov_b32 s18, -1
	s_cselect_b32 s9, -1, 0
.LBB86_2087:
	s_delay_alu instid0(SALU_CYCLE_1)
	s_and_b32 vcc_lo, exec_lo, s9
	s_cbranch_vccnz .LBB86_2171
; %bb.2088:
	s_and_not1_b32 vcc_lo, exec_lo, s18
	s_cbranch_vccnz .LBB86_2090
.LBB86_2089:
	s_wait_loadcnt 0x0
	global_load_u8 v1, v[12:13], off
	s_mov_b32 s19, -1
	s_wait_loadcnt 0x0
	v_cmp_ne_u16_e32 vcc_lo, 0, v1
	v_cndmask_b32_e64 v6, 0, 1, vcc_lo
.LBB86_2090:
	s_mov_b32 s9, 0
.LBB86_2091:
	s_delay_alu instid0(SALU_CYCLE_1)
	s_and_b32 vcc_lo, exec_lo, s9
	s_cbranch_vccz .LBB86_2140
; %bb.2092:
	s_cmp_lt_i32 s0, 5
	s_cbranch_scc1 .LBB86_2097
; %bb.2093:
	s_cmp_lt_i32 s0, 8
	s_cbranch_scc1 .LBB86_2098
; %bb.2094:
	s_cmp_lt_i32 s0, 9
	s_cbranch_scc1 .LBB86_2099
; %bb.2095:
	s_cmp_gt_i32 s0, 9
	s_cbranch_scc0 .LBB86_2100
; %bb.2096:
	s_wait_loadcnt 0x0
	global_load_b64 v[6:7], v[12:13], off
	s_mov_b32 s9, 0
	s_wait_loadcnt 0x0
	v_cvt_i32_f64_e32 v6, v[6:7]
	s_branch .LBB86_2101
.LBB86_2097:
	s_mov_b32 s9, -1
                                        ; implicit-def: $vgpr6
	s_branch .LBB86_2119
.LBB86_2098:
	s_mov_b32 s9, -1
                                        ; implicit-def: $vgpr6
	s_branch .LBB86_2107
.LBB86_2099:
	s_mov_b32 s9, -1
                                        ; implicit-def: $vgpr6
	s_branch .LBB86_2104
.LBB86_2100:
	s_mov_b32 s9, -1
                                        ; implicit-def: $vgpr6
.LBB86_2101:
	s_delay_alu instid0(SALU_CYCLE_1)
	s_and_not1_b32 vcc_lo, exec_lo, s9
	s_cbranch_vccnz .LBB86_2103
; %bb.2102:
	s_wait_loadcnt 0x0
	global_load_b32 v1, v[12:13], off
	s_wait_loadcnt 0x0
	v_cvt_i32_f32_e32 v6, v1
.LBB86_2103:
	s_mov_b32 s9, 0
.LBB86_2104:
	s_delay_alu instid0(SALU_CYCLE_1)
	s_and_not1_b32 vcc_lo, exec_lo, s9
	s_cbranch_vccnz .LBB86_2106
; %bb.2105:
	s_wait_loadcnt 0x0
	global_load_b32 v1, v[12:13], off
	s_wait_loadcnt 0x0
	v_cvt_i16_f16_e32 v6, v1
.LBB86_2106:
	s_mov_b32 s9, 0
.LBB86_2107:
	s_delay_alu instid0(SALU_CYCLE_1)
	s_and_not1_b32 vcc_lo, exec_lo, s9
	s_cbranch_vccnz .LBB86_2118
; %bb.2108:
	s_cmp_lt_i32 s0, 6
	s_cbranch_scc1 .LBB86_2111
; %bb.2109:
	s_cmp_gt_i32 s0, 6
	s_cbranch_scc0 .LBB86_2112
; %bb.2110:
	s_wait_loadcnt 0x0
	global_load_b64 v[6:7], v[12:13], off
	s_mov_b32 s9, 0
	s_wait_loadcnt 0x0
	v_cvt_i32_f64_e32 v6, v[6:7]
	s_branch .LBB86_2113
.LBB86_2111:
	s_mov_b32 s9, -1
                                        ; implicit-def: $vgpr6
	s_branch .LBB86_2116
.LBB86_2112:
	s_mov_b32 s9, -1
                                        ; implicit-def: $vgpr6
.LBB86_2113:
	s_delay_alu instid0(SALU_CYCLE_1)
	s_and_not1_b32 vcc_lo, exec_lo, s9
	s_cbranch_vccnz .LBB86_2115
; %bb.2114:
	s_wait_loadcnt 0x0
	global_load_b32 v1, v[12:13], off
	s_wait_loadcnt 0x0
	v_cvt_i32_f32_e32 v6, v1
.LBB86_2115:
	s_mov_b32 s9, 0
.LBB86_2116:
	s_delay_alu instid0(SALU_CYCLE_1)
	s_and_not1_b32 vcc_lo, exec_lo, s9
	s_cbranch_vccnz .LBB86_2118
; %bb.2117:
	s_wait_loadcnt 0x0
	global_load_u16 v1, v[12:13], off
	s_wait_loadcnt 0x0
	v_cvt_i16_f16_e32 v6, v1
.LBB86_2118:
	s_mov_b32 s9, 0
.LBB86_2119:
	s_delay_alu instid0(SALU_CYCLE_1)
	s_and_not1_b32 vcc_lo, exec_lo, s9
	s_cbranch_vccnz .LBB86_2139
; %bb.2120:
	s_cmp_lt_i32 s0, 2
	s_cbranch_scc1 .LBB86_2124
; %bb.2121:
	s_cmp_lt_i32 s0, 3
	s_cbranch_scc1 .LBB86_2125
; %bb.2122:
	s_cmp_gt_i32 s0, 3
	s_cbranch_scc0 .LBB86_2126
; %bb.2123:
	s_wait_loadcnt 0x0
	global_load_b64 v[6:7], v[12:13], off
	s_mov_b32 s9, 0
	s_branch .LBB86_2127
.LBB86_2124:
	s_mov_b32 s9, -1
                                        ; implicit-def: $vgpr6
	s_branch .LBB86_2133
.LBB86_2125:
	s_mov_b32 s9, -1
                                        ; implicit-def: $vgpr6
	s_branch .LBB86_2130
.LBB86_2126:
	s_mov_b32 s9, -1
                                        ; implicit-def: $vgpr6
.LBB86_2127:
	s_delay_alu instid0(SALU_CYCLE_1)
	s_and_not1_b32 vcc_lo, exec_lo, s9
	s_cbranch_vccnz .LBB86_2129
; %bb.2128:
	s_wait_loadcnt 0x0
	global_load_b32 v6, v[12:13], off
.LBB86_2129:
	s_mov_b32 s9, 0
.LBB86_2130:
	s_delay_alu instid0(SALU_CYCLE_1)
	s_and_not1_b32 vcc_lo, exec_lo, s9
	s_cbranch_vccnz .LBB86_2132
; %bb.2131:
	s_wait_loadcnt 0x0
	global_load_u16 v6, v[12:13], off
.LBB86_2132:
	s_mov_b32 s9, 0
.LBB86_2133:
	s_delay_alu instid0(SALU_CYCLE_1)
	s_and_not1_b32 vcc_lo, exec_lo, s9
	s_cbranch_vccnz .LBB86_2139
; %bb.2134:
	s_cmp_gt_i32 s0, 0
	s_mov_b32 s9, 0
	s_cbranch_scc0 .LBB86_2136
; %bb.2135:
	s_wait_loadcnt 0x0
	global_load_i8 v6, v[12:13], off
	s_branch .LBB86_2137
.LBB86_2136:
	s_mov_b32 s9, -1
                                        ; implicit-def: $vgpr6
.LBB86_2137:
	s_delay_alu instid0(SALU_CYCLE_1)
	s_and_not1_b32 vcc_lo, exec_lo, s9
	s_cbranch_vccnz .LBB86_2139
; %bb.2138:
	s_wait_loadcnt 0x0
	global_load_u8 v6, v[12:13], off
.LBB86_2139:
	s_mov_b32 s19, -1
.LBB86_2140:
	s_delay_alu instid0(SALU_CYCLE_1)
	s_and_not1_b32 vcc_lo, exec_lo, s19
	s_cbranch_vccnz .LBB86_3126
; %bb.2141:
	s_cmp_lt_i32 s15, 23
	s_cbranch_scc1 .LBB86_2145
; %bb.2142:
	s_and_b32 s19, 0xffff, s15
	s_delay_alu instid0(SALU_CYCLE_1)
	s_cmp_gt_i32 s19, 43
	s_cbranch_scc0 .LBB86_2146
; %bb.2143:
	s_cmp_gt_i32 s19, 45
	s_cbranch_scc0 .LBB86_2147
; %bb.2144:
	s_cmp_lg_u32 s19, 46
	s_mov_b32 s20, 0
	s_mov_b32 s9, -1
	s_cselect_b32 s18, -1, 0
	s_branch .LBB86_2148
.LBB86_2145:
	s_mov_b32 s19, -1
	s_mov_b32 s9, 0
	s_mov_b32 s18, 0
	s_branch .LBB86_2154
.LBB86_2146:
	s_mov_b32 s20, -1
	s_mov_b32 s9, 0
	s_mov_b32 s18, 0
	s_branch .LBB86_2151
.LBB86_2147:
	s_mov_b32 s20, -1
	s_mov_b32 s9, 0
	s_mov_b32 s18, 0
.LBB86_2148:
	s_and_not1_b32 vcc_lo, exec_lo, s20
	s_cbranch_vccnz .LBB86_2150
; %bb.2149:
	s_cmp_eq_u32 s19, 44
	s_cselect_b32 s9, -1, 0
	s_cmp_lg_u32 s19, 44
	s_cselect_b32 s18, -1, 0
.LBB86_2150:
	s_mov_b32 s20, 0
.LBB86_2151:
	s_delay_alu instid0(SALU_CYCLE_1)
	s_and_b32 vcc_lo, exec_lo, s20
	s_cbranch_vccz .LBB86_2153
; %bb.2152:
	s_cmp_lt_i32 s19, 30
	s_cselect_b32 s9, -1, 0
	s_cmp_gt_i32 s19, 29
	s_cselect_b32 s18, -1, 0
.LBB86_2153:
	s_mov_b32 s19, 0
.LBB86_2154:
	s_delay_alu instid0(SALU_CYCLE_1)
	s_and_b32 vcc_lo, exec_lo, s19
	s_cbranch_vccz .LBB86_2159
; %bb.2155:
	s_and_b32 s19, 0xffff, s15
	s_mov_b32 s20, -1
	s_cmp_gt_i32 s19, 14
	s_cbranch_scc0 .LBB86_2157
; %bb.2156:
	s_cmp_eq_u32 s19, 15
	s_mov_b32 s20, 0
	s_cselect_b32 s9, -1, 0
	s_cmp_lg_u32 s19, 15
	s_cselect_b32 s18, -1, 0
.LBB86_2157:
	s_and_not1_b32 vcc_lo, exec_lo, s20
	s_cbranch_vccnz .LBB86_2159
; %bb.2158:
	s_cmp_lt_i32 s19, 12
	s_cselect_b32 s9, -1, 0
	s_cmp_gt_i32 s19, 11
	s_cselect_b32 s18, -1, 0
.LBB86_2159:
	s_delay_alu instid0(SALU_CYCLE_1)
	s_and_b32 vcc_lo, exec_lo, s18
	s_cbranch_vccnz .LBB86_2172
; %bb.2160:
	s_and_not1_b32 vcc_lo, exec_lo, s9
	s_cbranch_vccnz .LBB86_3126
.LBB86_2161:
	s_wait_xcnt 0x0
	v_add_nc_u32_e32 v12, s1, v8
	s_cmp_lt_i32 s13, 11
	s_delay_alu instid0(VALU_DEP_1) | instskip(NEXT) | instid1(VALU_DEP_1)
	v_ashrrev_i32_e32 v13, 31, v12
	v_add_nc_u64_e32 v[14:15], s[4:5], v[12:13]
	s_cbranch_scc1 .LBB86_2168
; %bb.2162:
	s_and_b32 s9, 0xffff, s13
	s_mov_b32 s19, 0
	s_cmp_gt_i32 s9, 25
	s_cbranch_scc0 .LBB86_2169
; %bb.2163:
	s_cmp_gt_i32 s9, 28
	s_cbranch_scc0 .LBB86_2170
; %bb.2164:
	;; [unrolled: 3-line block ×4, first 2 shown]
	s_cmp_eq_u32 s9, 46
	s_mov_b32 s21, 0
	s_cbranch_scc0 .LBB86_2177
; %bb.2167:
	s_wait_loadcnt 0x0
	global_load_b32 v1, v[14:15], off
	s_mov_b32 s18, 0
	s_mov_b32 s20, -1
	s_wait_loadcnt 0x0
	v_lshlrev_b32_e32 v1, 16, v1
	s_delay_alu instid0(VALU_DEP_1)
	v_cvt_i32_f32_e32 v8, v1
	s_branch .LBB86_2179
.LBB86_2168:
	s_mov_b32 s9, -1
	s_mov_b32 s20, 0
                                        ; implicit-def: $vgpr8
	s_branch .LBB86_2241
.LBB86_2169:
	s_mov_b32 s21, -1
	s_mov_b32 s20, 0
	s_mov_b32 s18, 0
                                        ; implicit-def: $vgpr8
	s_branch .LBB86_2206
.LBB86_2170:
	s_mov_b32 s21, -1
	s_mov_b32 s20, 0
	s_mov_b32 s18, 0
                                        ; implicit-def: $vgpr8
	s_branch .LBB86_2189
.LBB86_2171:
	s_or_b32 s14, s14, exec_lo
	s_trap 2
	s_cbranch_execz .LBB86_2089
	s_branch .LBB86_2090
.LBB86_2172:
	s_or_b32 s14, s14, exec_lo
	s_trap 2
	s_cbranch_execz .LBB86_2161
	s_branch .LBB86_3126
.LBB86_2173:
	s_mov_b32 s21, -1
	s_mov_b32 s20, 0
	s_mov_b32 s18, 0
                                        ; implicit-def: $vgpr8
	s_branch .LBB86_2184
.LBB86_2174:
	s_and_not1_saveexec_b32 s37, s37
	s_cbranch_execz .LBB86_1119
.LBB86_2175:
	v_add_f32_e64 v3, 0x42800000, |v2|
	s_and_not1_b32 s36, s36, exec_lo
	s_delay_alu instid0(VALU_DEP_1) | instskip(NEXT) | instid1(VALU_DEP_1)
	v_and_b32_e32 v3, 0xff, v3
	v_cmp_ne_u32_e32 vcc_lo, 0, v3
	s_and_b32 s38, vcc_lo, exec_lo
	s_delay_alu instid0(SALU_CYCLE_1)
	s_or_b32 s36, s36, s38
	s_or_b32 exec_lo, exec_lo, s37
	v_mov_b32_e32 v5, 0
	s_and_saveexec_b32 s37, s36
	s_cbranch_execnz .LBB86_1120
	s_branch .LBB86_1121
.LBB86_2176:
	s_mov_b32 s21, -1
	s_mov_b32 s20, 0
	s_mov_b32 s18, 0
	s_branch .LBB86_2178
.LBB86_2177:
	s_mov_b32 s18, -1
	s_mov_b32 s20, 0
.LBB86_2178:
                                        ; implicit-def: $vgpr8
.LBB86_2179:
	s_and_b32 vcc_lo, exec_lo, s21
	s_cbranch_vccz .LBB86_2183
; %bb.2180:
	s_cmp_eq_u32 s9, 44
	s_cbranch_scc0 .LBB86_2182
; %bb.2181:
	s_wait_loadcnt 0x0
	global_load_u8 v1, v[14:15], off
	s_mov_b32 s18, 0
	s_mov_b32 s20, -1
	s_wait_loadcnt 0x0
	v_lshlrev_b32_e32 v3, 23, v1
	v_cmp_ne_u32_e32 vcc_lo, 0, v1
	s_delay_alu instid0(VALU_DEP_2) | instskip(NEXT) | instid1(VALU_DEP_1)
	v_cvt_i32_f32_e32 v3, v3
	v_cndmask_b32_e32 v8, 0, v3, vcc_lo
	s_branch .LBB86_2183
.LBB86_2182:
	s_mov_b32 s18, -1
                                        ; implicit-def: $vgpr8
.LBB86_2183:
	s_mov_b32 s21, 0
.LBB86_2184:
	s_delay_alu instid0(SALU_CYCLE_1)
	s_and_b32 vcc_lo, exec_lo, s21
	s_cbranch_vccz .LBB86_2188
; %bb.2185:
	s_cmp_eq_u32 s9, 29
	s_cbranch_scc0 .LBB86_2187
; %bb.2186:
	global_load_b64 v[8:9], v[14:15], off
	s_mov_b32 s18, 0
	s_mov_b32 s20, -1
	s_branch .LBB86_2188
.LBB86_2187:
	s_mov_b32 s18, -1
                                        ; implicit-def: $vgpr8
.LBB86_2188:
	s_mov_b32 s21, 0
.LBB86_2189:
	s_delay_alu instid0(SALU_CYCLE_1)
	s_and_b32 vcc_lo, exec_lo, s21
	s_cbranch_vccz .LBB86_2205
; %bb.2190:
	s_cmp_lt_i32 s9, 27
	s_cbranch_scc1 .LBB86_2193
; %bb.2191:
	s_cmp_gt_i32 s9, 27
	s_cbranch_scc0 .LBB86_2194
; %bb.2192:
	s_wait_loadcnt 0x0
	global_load_b32 v8, v[14:15], off
	s_mov_b32 s20, 0
	s_branch .LBB86_2195
.LBB86_2193:
	s_mov_b32 s20, -1
                                        ; implicit-def: $vgpr8
	s_branch .LBB86_2198
.LBB86_2194:
	s_mov_b32 s20, -1
                                        ; implicit-def: $vgpr8
.LBB86_2195:
	s_delay_alu instid0(SALU_CYCLE_1)
	s_and_not1_b32 vcc_lo, exec_lo, s20
	s_cbranch_vccnz .LBB86_2197
; %bb.2196:
	s_wait_loadcnt 0x0
	global_load_u16 v8, v[14:15], off
.LBB86_2197:
	s_mov_b32 s20, 0
.LBB86_2198:
	s_delay_alu instid0(SALU_CYCLE_1)
	s_and_not1_b32 vcc_lo, exec_lo, s20
	s_cbranch_vccnz .LBB86_2204
; %bb.2199:
	s_wait_loadcnt 0x0
	global_load_u8 v1, v[14:15], off
	s_mov_b32 s21, 0
	s_mov_b32 s20, exec_lo
	s_wait_loadcnt 0x0
	v_cmpx_lt_i16_e32 0x7f, v1
	s_xor_b32 s20, exec_lo, s20
	s_cbranch_execz .LBB86_2216
; %bb.2200:
	v_cmp_ne_u16_e32 vcc_lo, 0x80, v1
	s_and_b32 s21, vcc_lo, exec_lo
	s_and_not1_saveexec_b32 s20, s20
	s_cbranch_execnz .LBB86_2217
.LBB86_2201:
	s_or_b32 exec_lo, exec_lo, s20
	v_mov_b32_e32 v8, 0
	s_and_saveexec_b32 s20, s21
	s_cbranch_execz .LBB86_2203
.LBB86_2202:
	v_and_b32_e32 v3, 0xffff, v1
	s_delay_alu instid0(VALU_DEP_1) | instskip(SKIP_1) | instid1(VALU_DEP_2)
	v_dual_lshlrev_b32 v1, 24, v1 :: v_dual_bitop2_b32 v5, 7, v3 bitop3:0x40
	v_bfe_u32 v9, v3, 3, 4
	v_and_b32_e32 v1, 0x80000000, v1
	s_delay_alu instid0(VALU_DEP_3) | instskip(NEXT) | instid1(VALU_DEP_3)
	v_clz_i32_u32_e32 v7, v5
	v_cmp_eq_u32_e32 vcc_lo, 0, v9
	s_delay_alu instid0(VALU_DEP_2) | instskip(NEXT) | instid1(VALU_DEP_1)
	v_min_u32_e32 v7, 32, v7
	v_subrev_nc_u32_e32 v8, 28, v7
	v_sub_nc_u32_e32 v7, 29, v7
	s_delay_alu instid0(VALU_DEP_2) | instskip(NEXT) | instid1(VALU_DEP_2)
	v_lshlrev_b32_e32 v3, v8, v3
	v_cndmask_b32_e32 v7, v9, v7, vcc_lo
	s_delay_alu instid0(VALU_DEP_2) | instskip(NEXT) | instid1(VALU_DEP_1)
	v_and_b32_e32 v3, 7, v3
	v_cndmask_b32_e32 v3, v5, v3, vcc_lo
	s_delay_alu instid0(VALU_DEP_3) | instskip(NEXT) | instid1(VALU_DEP_2)
	v_lshl_add_u32 v5, v7, 23, 0x3b800000
	v_lshlrev_b32_e32 v3, 20, v3
	s_delay_alu instid0(VALU_DEP_1) | instskip(NEXT) | instid1(VALU_DEP_1)
	v_or3_b32 v1, v1, v5, v3
	v_cvt_i32_f32_e32 v8, v1
.LBB86_2203:
	s_or_b32 exec_lo, exec_lo, s20
.LBB86_2204:
	s_mov_b32 s20, -1
.LBB86_2205:
	s_mov_b32 s21, 0
.LBB86_2206:
	s_delay_alu instid0(SALU_CYCLE_1)
	s_and_b32 vcc_lo, exec_lo, s21
	s_cbranch_vccz .LBB86_2237
; %bb.2207:
	s_cmp_gt_i32 s9, 22
	s_cbranch_scc0 .LBB86_2215
; %bb.2208:
	s_cmp_lt_i32 s9, 24
	s_cbranch_scc1 .LBB86_2218
; %bb.2209:
	s_cmp_gt_i32 s9, 24
	s_cbranch_scc0 .LBB86_2219
; %bb.2210:
	s_wait_loadcnt 0x0
	global_load_u8 v1, v[14:15], off
	s_mov_b32 s20, 0
	s_mov_b32 s19, exec_lo
	s_wait_loadcnt 0x0
	v_cmpx_lt_i16_e32 0x7f, v1
	s_xor_b32 s19, exec_lo, s19
	s_cbranch_execz .LBB86_2231
; %bb.2211:
	v_cmp_ne_u16_e32 vcc_lo, 0x80, v1
	s_and_b32 s20, vcc_lo, exec_lo
	s_and_not1_saveexec_b32 s19, s19
	s_cbranch_execnz .LBB86_2232
.LBB86_2212:
	s_or_b32 exec_lo, exec_lo, s19
	v_mov_b32_e32 v8, 0
	s_and_saveexec_b32 s19, s20
	s_cbranch_execz .LBB86_2214
.LBB86_2213:
	v_and_b32_e32 v3, 0xffff, v1
	s_delay_alu instid0(VALU_DEP_1) | instskip(SKIP_1) | instid1(VALU_DEP_2)
	v_dual_lshlrev_b32 v1, 24, v1 :: v_dual_bitop2_b32 v5, 3, v3 bitop3:0x40
	v_bfe_u32 v9, v3, 2, 5
	v_and_b32_e32 v1, 0x80000000, v1
	s_delay_alu instid0(VALU_DEP_3) | instskip(NEXT) | instid1(VALU_DEP_3)
	v_clz_i32_u32_e32 v7, v5
	v_cmp_eq_u32_e32 vcc_lo, 0, v9
	s_delay_alu instid0(VALU_DEP_2) | instskip(NEXT) | instid1(VALU_DEP_1)
	v_min_u32_e32 v7, 32, v7
	v_subrev_nc_u32_e32 v8, 29, v7
	v_sub_nc_u32_e32 v7, 30, v7
	s_delay_alu instid0(VALU_DEP_2) | instskip(NEXT) | instid1(VALU_DEP_2)
	v_lshlrev_b32_e32 v3, v8, v3
	v_cndmask_b32_e32 v7, v9, v7, vcc_lo
	s_delay_alu instid0(VALU_DEP_2) | instskip(NEXT) | instid1(VALU_DEP_1)
	v_and_b32_e32 v3, 3, v3
	v_cndmask_b32_e32 v3, v5, v3, vcc_lo
	s_delay_alu instid0(VALU_DEP_3) | instskip(NEXT) | instid1(VALU_DEP_2)
	v_lshl_add_u32 v5, v7, 23, 0x37800000
	v_lshlrev_b32_e32 v3, 21, v3
	s_delay_alu instid0(VALU_DEP_1) | instskip(NEXT) | instid1(VALU_DEP_1)
	v_or3_b32 v1, v1, v5, v3
	v_cvt_i32_f32_e32 v8, v1
.LBB86_2214:
	s_or_b32 exec_lo, exec_lo, s19
	s_mov_b32 s19, 0
	s_branch .LBB86_2220
.LBB86_2215:
	s_mov_b32 s19, -1
                                        ; implicit-def: $vgpr8
	s_branch .LBB86_2226
.LBB86_2216:
	s_and_not1_saveexec_b32 s20, s20
	s_cbranch_execz .LBB86_2201
.LBB86_2217:
	v_cmp_ne_u16_e32 vcc_lo, 0, v1
	s_and_not1_b32 s21, s21, exec_lo
	s_and_b32 s22, vcc_lo, exec_lo
	s_delay_alu instid0(SALU_CYCLE_1)
	s_or_b32 s21, s21, s22
	s_or_b32 exec_lo, exec_lo, s20
	v_mov_b32_e32 v8, 0
	s_and_saveexec_b32 s20, s21
	s_cbranch_execnz .LBB86_2202
	s_branch .LBB86_2203
.LBB86_2218:
	s_mov_b32 s19, -1
                                        ; implicit-def: $vgpr8
	s_branch .LBB86_2223
.LBB86_2219:
	s_mov_b32 s19, -1
                                        ; implicit-def: $vgpr8
.LBB86_2220:
	s_delay_alu instid0(SALU_CYCLE_1)
	s_and_b32 vcc_lo, exec_lo, s19
	s_cbranch_vccz .LBB86_2222
; %bb.2221:
	s_wait_loadcnt 0x0
	global_load_u8 v1, v[14:15], off
	s_wait_loadcnt 0x0
	v_lshlrev_b32_e32 v1, 24, v1
	s_delay_alu instid0(VALU_DEP_1) | instskip(NEXT) | instid1(VALU_DEP_1)
	v_and_b32_e32 v3, 0x7f000000, v1
	v_clz_i32_u32_e32 v5, v3
	v_cmp_ne_u32_e32 vcc_lo, 0, v3
	v_add_nc_u32_e32 v8, 0x1000000, v3
	s_delay_alu instid0(VALU_DEP_3) | instskip(NEXT) | instid1(VALU_DEP_1)
	v_min_u32_e32 v5, 32, v5
	v_sub_nc_u32_e64 v5, v5, 4 clamp
	s_delay_alu instid0(VALU_DEP_1) | instskip(NEXT) | instid1(VALU_DEP_1)
	v_dual_lshlrev_b32 v7, v5, v3 :: v_dual_lshlrev_b32 v5, 23, v5
	v_lshrrev_b32_e32 v7, 4, v7
	s_delay_alu instid0(VALU_DEP_1) | instskip(NEXT) | instid1(VALU_DEP_1)
	v_dual_sub_nc_u32 v5, v7, v5 :: v_dual_ashrrev_i32 v7, 8, v8
	v_add_nc_u32_e32 v5, 0x3c000000, v5
	s_delay_alu instid0(VALU_DEP_1) | instskip(NEXT) | instid1(VALU_DEP_1)
	v_and_or_b32 v5, 0x7f800000, v7, v5
	v_cndmask_b32_e32 v3, 0, v5, vcc_lo
	s_delay_alu instid0(VALU_DEP_1) | instskip(NEXT) | instid1(VALU_DEP_1)
	v_and_or_b32 v1, 0x80000000, v1, v3
	v_cvt_i32_f32_e32 v8, v1
.LBB86_2222:
	s_mov_b32 s19, 0
.LBB86_2223:
	s_delay_alu instid0(SALU_CYCLE_1)
	s_and_not1_b32 vcc_lo, exec_lo, s19
	s_cbranch_vccnz .LBB86_2225
; %bb.2224:
	s_wait_loadcnt 0x0
	global_load_u8 v1, v[14:15], off
	s_wait_loadcnt 0x0
	v_lshlrev_b32_e32 v3, 25, v1
	v_lshlrev_b16 v1, 8, v1
	s_delay_alu instid0(VALU_DEP_1) | instskip(SKIP_1) | instid1(VALU_DEP_2)
	v_and_or_b32 v7, 0x7f00, v1, 0.5
	v_bfe_i32 v1, v1, 0, 16
	v_add_f32_e32 v7, -0.5, v7
	v_lshrrev_b32_e32 v5, 4, v3
	v_cmp_gt_u32_e32 vcc_lo, 0x8000000, v3
	s_delay_alu instid0(VALU_DEP_2) | instskip(NEXT) | instid1(VALU_DEP_1)
	v_or_b32_e32 v5, 0x70000000, v5
	v_mul_f32_e32 v5, 0x7800000, v5
	s_delay_alu instid0(VALU_DEP_1) | instskip(NEXT) | instid1(VALU_DEP_1)
	v_cndmask_b32_e32 v3, v5, v7, vcc_lo
	v_and_or_b32 v1, 0x80000000, v1, v3
	s_delay_alu instid0(VALU_DEP_1)
	v_cvt_i32_f32_e32 v8, v1
.LBB86_2225:
	s_mov_b32 s19, 0
	s_mov_b32 s20, -1
.LBB86_2226:
	s_and_not1_b32 vcc_lo, exec_lo, s19
	s_mov_b32 s19, 0
	s_cbranch_vccnz .LBB86_2237
; %bb.2227:
	s_cmp_gt_i32 s9, 14
	s_cbranch_scc0 .LBB86_2230
; %bb.2228:
	s_cmp_eq_u32 s9, 15
	s_cbranch_scc0 .LBB86_2233
; %bb.2229:
	s_wait_loadcnt 0x0
	global_load_u16 v1, v[14:15], off
	s_mov_b32 s18, 0
	s_mov_b32 s20, -1
	s_wait_loadcnt 0x0
	v_lshlrev_b32_e32 v1, 16, v1
	s_delay_alu instid0(VALU_DEP_1)
	v_cvt_i32_f32_e32 v8, v1
	s_branch .LBB86_2235
.LBB86_2230:
	s_mov_b32 s19, -1
	s_branch .LBB86_2234
.LBB86_2231:
	s_and_not1_saveexec_b32 s19, s19
	s_cbranch_execz .LBB86_2212
.LBB86_2232:
	v_cmp_ne_u16_e32 vcc_lo, 0, v1
	s_and_not1_b32 s20, s20, exec_lo
	s_and_b32 s21, vcc_lo, exec_lo
	s_delay_alu instid0(SALU_CYCLE_1)
	s_or_b32 s20, s20, s21
	s_or_b32 exec_lo, exec_lo, s19
	v_mov_b32_e32 v8, 0
	s_and_saveexec_b32 s19, s20
	s_cbranch_execnz .LBB86_2213
	s_branch .LBB86_2214
.LBB86_2233:
	s_mov_b32 s18, -1
.LBB86_2234:
                                        ; implicit-def: $vgpr8
.LBB86_2235:
	s_and_b32 vcc_lo, exec_lo, s19
	s_mov_b32 s19, 0
	s_cbranch_vccz .LBB86_2237
; %bb.2236:
	s_cmp_lg_u32 s9, 11
	s_mov_b32 s19, -1
	s_cselect_b32 s18, -1, 0
.LBB86_2237:
	s_delay_alu instid0(SALU_CYCLE_1)
	s_and_b32 vcc_lo, exec_lo, s18
	s_cbranch_vccnz .LBB86_2302
; %bb.2238:
	s_and_not1_b32 vcc_lo, exec_lo, s19
	s_cbranch_vccnz .LBB86_2240
.LBB86_2239:
	s_wait_loadcnt 0x0
	global_load_u8 v1, v[14:15], off
	s_mov_b32 s20, -1
	s_wait_loadcnt 0x0
	v_cmp_ne_u16_e32 vcc_lo, 0, v1
	v_cndmask_b32_e64 v8, 0, 1, vcc_lo
.LBB86_2240:
	s_mov_b32 s9, 0
.LBB86_2241:
	s_delay_alu instid0(SALU_CYCLE_1)
	s_and_b32 vcc_lo, exec_lo, s9
	s_cbranch_vccz .LBB86_2290
; %bb.2242:
	s_and_b32 s9, 0xffff, s13
	s_delay_alu instid0(SALU_CYCLE_1)
	s_cmp_lt_i32 s9, 5
	s_cbranch_scc1 .LBB86_2247
; %bb.2243:
	s_cmp_lt_i32 s9, 8
	s_cbranch_scc1 .LBB86_2248
; %bb.2244:
	;; [unrolled: 3-line block ×3, first 2 shown]
	s_cmp_gt_i32 s9, 9
	s_cbranch_scc0 .LBB86_2250
; %bb.2246:
	s_wait_loadcnt 0x0
	global_load_b64 v[8:9], v[14:15], off
	s_mov_b32 s18, 0
	s_wait_loadcnt 0x0
	v_cvt_i32_f64_e32 v8, v[8:9]
	s_branch .LBB86_2251
.LBB86_2247:
	s_mov_b32 s18, -1
                                        ; implicit-def: $vgpr8
	s_branch .LBB86_2269
.LBB86_2248:
	s_mov_b32 s18, -1
                                        ; implicit-def: $vgpr8
	s_branch .LBB86_2257
.LBB86_2249:
	s_mov_b32 s18, -1
                                        ; implicit-def: $vgpr8
	s_branch .LBB86_2254
.LBB86_2250:
	s_mov_b32 s18, -1
                                        ; implicit-def: $vgpr8
.LBB86_2251:
	s_delay_alu instid0(SALU_CYCLE_1)
	s_and_not1_b32 vcc_lo, exec_lo, s18
	s_cbranch_vccnz .LBB86_2253
; %bb.2252:
	s_wait_loadcnt 0x0
	global_load_b32 v1, v[14:15], off
	s_wait_loadcnt 0x0
	v_cvt_i32_f32_e32 v8, v1
.LBB86_2253:
	s_mov_b32 s18, 0
.LBB86_2254:
	s_delay_alu instid0(SALU_CYCLE_1)
	s_and_not1_b32 vcc_lo, exec_lo, s18
	s_cbranch_vccnz .LBB86_2256
; %bb.2255:
	s_wait_loadcnt 0x0
	global_load_b32 v1, v[14:15], off
	s_wait_loadcnt 0x0
	v_cvt_i16_f16_e32 v8, v1
.LBB86_2256:
	s_mov_b32 s18, 0
.LBB86_2257:
	s_delay_alu instid0(SALU_CYCLE_1)
	s_and_not1_b32 vcc_lo, exec_lo, s18
	s_cbranch_vccnz .LBB86_2268
; %bb.2258:
	s_cmp_lt_i32 s9, 6
	s_cbranch_scc1 .LBB86_2261
; %bb.2259:
	s_cmp_gt_i32 s9, 6
	s_cbranch_scc0 .LBB86_2262
; %bb.2260:
	s_wait_loadcnt 0x0
	global_load_b64 v[8:9], v[14:15], off
	s_mov_b32 s18, 0
	s_wait_loadcnt 0x0
	v_cvt_i32_f64_e32 v8, v[8:9]
	s_branch .LBB86_2263
.LBB86_2261:
	s_mov_b32 s18, -1
                                        ; implicit-def: $vgpr8
	s_branch .LBB86_2266
.LBB86_2262:
	s_mov_b32 s18, -1
                                        ; implicit-def: $vgpr8
.LBB86_2263:
	s_delay_alu instid0(SALU_CYCLE_1)
	s_and_not1_b32 vcc_lo, exec_lo, s18
	s_cbranch_vccnz .LBB86_2265
; %bb.2264:
	s_wait_loadcnt 0x0
	global_load_b32 v1, v[14:15], off
	s_wait_loadcnt 0x0
	v_cvt_i32_f32_e32 v8, v1
.LBB86_2265:
	s_mov_b32 s18, 0
.LBB86_2266:
	s_delay_alu instid0(SALU_CYCLE_1)
	s_and_not1_b32 vcc_lo, exec_lo, s18
	s_cbranch_vccnz .LBB86_2268
; %bb.2267:
	s_wait_loadcnt 0x0
	global_load_u16 v1, v[14:15], off
	s_wait_loadcnt 0x0
	v_cvt_i16_f16_e32 v8, v1
.LBB86_2268:
	s_mov_b32 s18, 0
.LBB86_2269:
	s_delay_alu instid0(SALU_CYCLE_1)
	s_and_not1_b32 vcc_lo, exec_lo, s18
	s_cbranch_vccnz .LBB86_2289
; %bb.2270:
	s_cmp_lt_i32 s9, 2
	s_cbranch_scc1 .LBB86_2274
; %bb.2271:
	s_cmp_lt_i32 s9, 3
	s_cbranch_scc1 .LBB86_2275
; %bb.2272:
	s_cmp_gt_i32 s9, 3
	s_cbranch_scc0 .LBB86_2276
; %bb.2273:
	s_wait_loadcnt 0x0
	global_load_b64 v[8:9], v[14:15], off
	s_mov_b32 s18, 0
	s_branch .LBB86_2277
.LBB86_2274:
	s_mov_b32 s18, -1
                                        ; implicit-def: $vgpr8
	s_branch .LBB86_2283
.LBB86_2275:
	s_mov_b32 s18, -1
                                        ; implicit-def: $vgpr8
	s_branch .LBB86_2280
.LBB86_2276:
	s_mov_b32 s18, -1
                                        ; implicit-def: $vgpr8
.LBB86_2277:
	s_delay_alu instid0(SALU_CYCLE_1)
	s_and_not1_b32 vcc_lo, exec_lo, s18
	s_cbranch_vccnz .LBB86_2279
; %bb.2278:
	s_wait_loadcnt 0x0
	global_load_b32 v8, v[14:15], off
.LBB86_2279:
	s_mov_b32 s18, 0
.LBB86_2280:
	s_delay_alu instid0(SALU_CYCLE_1)
	s_and_not1_b32 vcc_lo, exec_lo, s18
	s_cbranch_vccnz .LBB86_2282
; %bb.2281:
	s_wait_loadcnt 0x0
	global_load_u16 v8, v[14:15], off
.LBB86_2282:
	s_mov_b32 s18, 0
.LBB86_2283:
	s_delay_alu instid0(SALU_CYCLE_1)
	s_and_not1_b32 vcc_lo, exec_lo, s18
	s_cbranch_vccnz .LBB86_2289
; %bb.2284:
	s_cmp_gt_i32 s9, 0
	s_mov_b32 s9, 0
	s_cbranch_scc0 .LBB86_2286
; %bb.2285:
	s_wait_loadcnt 0x0
	global_load_i8 v8, v[14:15], off
	s_branch .LBB86_2287
.LBB86_2286:
	s_mov_b32 s9, -1
                                        ; implicit-def: $vgpr8
.LBB86_2287:
	s_delay_alu instid0(SALU_CYCLE_1)
	s_and_not1_b32 vcc_lo, exec_lo, s9
	s_cbranch_vccnz .LBB86_2289
; %bb.2288:
	s_wait_loadcnt 0x0
	global_load_u8 v8, v[14:15], off
.LBB86_2289:
	s_mov_b32 s20, -1
.LBB86_2290:
	s_delay_alu instid0(SALU_CYCLE_1)
	s_and_not1_b32 vcc_lo, exec_lo, s20
	s_cbranch_vccnz .LBB86_3126
; %bb.2291:
	s_wait_xcnt 0x0
	v_add_nc_u32_e32 v14, s8, v10
	s_cmp_lt_i32 s0, 11
	s_delay_alu instid0(VALU_DEP_1) | instskip(NEXT) | instid1(VALU_DEP_1)
	v_ashrrev_i32_e32 v15, 31, v14
	v_add_nc_u64_e32 v[16:17], s[6:7], v[14:15]
	s_cbranch_scc1 .LBB86_2298
; %bb.2292:
	s_cmp_gt_i32 s0, 25
	s_mov_b32 s18, 0
	s_cbranch_scc0 .LBB86_2299
; %bb.2293:
	s_cmp_gt_i32 s0, 28
	s_cbranch_scc0 .LBB86_2300
; %bb.2294:
	s_cmp_gt_i32 s0, 43
	;; [unrolled: 3-line block ×3, first 2 shown]
	s_cbranch_scc0 .LBB86_2303
; %bb.2296:
	s_cmp_eq_u32 s0, 46
	s_mov_b32 s20, 0
	s_cbranch_scc0 .LBB86_2304
; %bb.2297:
	s_wait_loadcnt 0x0
	global_load_b32 v1, v[16:17], off
	s_mov_b32 s9, 0
	s_mov_b32 s19, -1
	s_wait_loadcnt 0x0
	v_lshlrev_b32_e32 v1, 16, v1
	s_delay_alu instid0(VALU_DEP_1)
	v_cvt_i32_f32_e32 v10, v1
	s_branch .LBB86_2306
.LBB86_2298:
	s_mov_b32 s9, -1
	s_mov_b32 s19, 0
                                        ; implicit-def: $vgpr10
	s_branch .LBB86_2368
.LBB86_2299:
	s_mov_b32 s20, -1
	s_mov_b32 s19, 0
	s_mov_b32 s9, 0
                                        ; implicit-def: $vgpr10
	s_branch .LBB86_2333
.LBB86_2300:
	s_mov_b32 s20, -1
	s_mov_b32 s19, 0
	s_mov_b32 s9, 0
                                        ; implicit-def: $vgpr10
	s_branch .LBB86_2316
.LBB86_2301:
	s_mov_b32 s20, -1
	s_mov_b32 s19, 0
	s_mov_b32 s9, 0
                                        ; implicit-def: $vgpr10
	s_branch .LBB86_2311
.LBB86_2302:
	s_or_b32 s14, s14, exec_lo
	s_trap 2
	s_cbranch_execz .LBB86_2239
	s_branch .LBB86_2240
.LBB86_2303:
	s_mov_b32 s20, -1
	s_mov_b32 s19, 0
	s_mov_b32 s9, 0
	s_branch .LBB86_2305
.LBB86_2304:
	s_mov_b32 s9, -1
	s_mov_b32 s19, 0
.LBB86_2305:
                                        ; implicit-def: $vgpr10
.LBB86_2306:
	s_and_b32 vcc_lo, exec_lo, s20
	s_cbranch_vccz .LBB86_2310
; %bb.2307:
	s_cmp_eq_u32 s0, 44
	s_cbranch_scc0 .LBB86_2309
; %bb.2308:
	s_wait_loadcnt 0x0
	global_load_u8 v1, v[16:17], off
	s_mov_b32 s9, 0
	s_mov_b32 s19, -1
	s_wait_loadcnt 0x0
	v_lshlrev_b32_e32 v3, 23, v1
	v_cmp_ne_u32_e32 vcc_lo, 0, v1
	s_delay_alu instid0(VALU_DEP_2) | instskip(NEXT) | instid1(VALU_DEP_1)
	v_cvt_i32_f32_e32 v3, v3
	v_cndmask_b32_e32 v10, 0, v3, vcc_lo
	s_branch .LBB86_2310
.LBB86_2309:
	s_mov_b32 s9, -1
                                        ; implicit-def: $vgpr10
.LBB86_2310:
	s_mov_b32 s20, 0
.LBB86_2311:
	s_delay_alu instid0(SALU_CYCLE_1)
	s_and_b32 vcc_lo, exec_lo, s20
	s_cbranch_vccz .LBB86_2315
; %bb.2312:
	s_cmp_eq_u32 s0, 29
	s_cbranch_scc0 .LBB86_2314
; %bb.2313:
	global_load_b64 v[10:11], v[16:17], off
	s_mov_b32 s9, 0
	s_mov_b32 s19, -1
	s_branch .LBB86_2315
.LBB86_2314:
	s_mov_b32 s9, -1
                                        ; implicit-def: $vgpr10
.LBB86_2315:
	s_mov_b32 s20, 0
.LBB86_2316:
	s_delay_alu instid0(SALU_CYCLE_1)
	s_and_b32 vcc_lo, exec_lo, s20
	s_cbranch_vccz .LBB86_2332
; %bb.2317:
	s_cmp_lt_i32 s0, 27
	s_cbranch_scc1 .LBB86_2320
; %bb.2318:
	s_cmp_gt_i32 s0, 27
	s_cbranch_scc0 .LBB86_2321
; %bb.2319:
	s_wait_loadcnt 0x0
	global_load_b32 v10, v[16:17], off
	s_mov_b32 s19, 0
	s_branch .LBB86_2322
.LBB86_2320:
	s_mov_b32 s19, -1
                                        ; implicit-def: $vgpr10
	s_branch .LBB86_2325
.LBB86_2321:
	s_mov_b32 s19, -1
                                        ; implicit-def: $vgpr10
.LBB86_2322:
	s_delay_alu instid0(SALU_CYCLE_1)
	s_and_not1_b32 vcc_lo, exec_lo, s19
	s_cbranch_vccnz .LBB86_2324
; %bb.2323:
	s_wait_loadcnt 0x0
	global_load_u16 v10, v[16:17], off
.LBB86_2324:
	s_mov_b32 s19, 0
.LBB86_2325:
	s_delay_alu instid0(SALU_CYCLE_1)
	s_and_not1_b32 vcc_lo, exec_lo, s19
	s_cbranch_vccnz .LBB86_2331
; %bb.2326:
	s_wait_loadcnt 0x0
	global_load_u8 v1, v[16:17], off
	s_mov_b32 s20, 0
	s_mov_b32 s19, exec_lo
	s_wait_loadcnt 0x0
	v_cmpx_lt_i16_e32 0x7f, v1
	s_xor_b32 s19, exec_lo, s19
	s_cbranch_execz .LBB86_2343
; %bb.2327:
	v_cmp_ne_u16_e32 vcc_lo, 0x80, v1
	s_and_b32 s20, vcc_lo, exec_lo
	s_and_not1_saveexec_b32 s19, s19
	s_cbranch_execnz .LBB86_2344
.LBB86_2328:
	s_or_b32 exec_lo, exec_lo, s19
	v_mov_b32_e32 v10, 0
	s_and_saveexec_b32 s19, s20
	s_cbranch_execz .LBB86_2330
.LBB86_2329:
	v_and_b32_e32 v3, 0xffff, v1
	s_delay_alu instid0(VALU_DEP_1) | instskip(SKIP_1) | instid1(VALU_DEP_2)
	v_dual_lshlrev_b32 v1, 24, v1 :: v_dual_bitop2_b32 v5, 7, v3 bitop3:0x40
	v_bfe_u32 v10, v3, 3, 4
	v_and_b32_e32 v1, 0x80000000, v1
	s_delay_alu instid0(VALU_DEP_3) | instskip(NEXT) | instid1(VALU_DEP_3)
	v_clz_i32_u32_e32 v7, v5
	v_cmp_eq_u32_e32 vcc_lo, 0, v10
	s_delay_alu instid0(VALU_DEP_2) | instskip(NEXT) | instid1(VALU_DEP_1)
	v_min_u32_e32 v7, 32, v7
	v_subrev_nc_u32_e32 v9, 28, v7
	v_sub_nc_u32_e32 v7, 29, v7
	s_delay_alu instid0(VALU_DEP_2) | instskip(NEXT) | instid1(VALU_DEP_2)
	v_lshlrev_b32_e32 v3, v9, v3
	v_cndmask_b32_e32 v7, v10, v7, vcc_lo
	s_delay_alu instid0(VALU_DEP_2) | instskip(NEXT) | instid1(VALU_DEP_1)
	v_and_b32_e32 v3, 7, v3
	v_cndmask_b32_e32 v3, v5, v3, vcc_lo
	s_delay_alu instid0(VALU_DEP_3) | instskip(NEXT) | instid1(VALU_DEP_2)
	v_lshl_add_u32 v5, v7, 23, 0x3b800000
	v_lshlrev_b32_e32 v3, 20, v3
	s_delay_alu instid0(VALU_DEP_1) | instskip(NEXT) | instid1(VALU_DEP_1)
	v_or3_b32 v1, v1, v5, v3
	v_cvt_i32_f32_e32 v10, v1
.LBB86_2330:
	s_or_b32 exec_lo, exec_lo, s19
.LBB86_2331:
	s_mov_b32 s19, -1
.LBB86_2332:
	s_mov_b32 s20, 0
.LBB86_2333:
	s_delay_alu instid0(SALU_CYCLE_1)
	s_and_b32 vcc_lo, exec_lo, s20
	s_cbranch_vccz .LBB86_2364
; %bb.2334:
	s_cmp_gt_i32 s0, 22
	s_cbranch_scc0 .LBB86_2342
; %bb.2335:
	s_cmp_lt_i32 s0, 24
	s_cbranch_scc1 .LBB86_2345
; %bb.2336:
	s_cmp_gt_i32 s0, 24
	s_cbranch_scc0 .LBB86_2346
; %bb.2337:
	s_wait_loadcnt 0x0
	global_load_u8 v1, v[16:17], off
	s_mov_b32 s19, 0
	s_mov_b32 s18, exec_lo
	s_wait_loadcnt 0x0
	v_cmpx_lt_i16_e32 0x7f, v1
	s_xor_b32 s18, exec_lo, s18
	s_cbranch_execz .LBB86_2358
; %bb.2338:
	v_cmp_ne_u16_e32 vcc_lo, 0x80, v1
	s_and_b32 s19, vcc_lo, exec_lo
	s_and_not1_saveexec_b32 s18, s18
	s_cbranch_execnz .LBB86_2359
.LBB86_2339:
	s_or_b32 exec_lo, exec_lo, s18
	v_mov_b32_e32 v10, 0
	s_and_saveexec_b32 s18, s19
	s_cbranch_execz .LBB86_2341
.LBB86_2340:
	v_and_b32_e32 v3, 0xffff, v1
	s_delay_alu instid0(VALU_DEP_1) | instskip(SKIP_1) | instid1(VALU_DEP_2)
	v_dual_lshlrev_b32 v1, 24, v1 :: v_dual_bitop2_b32 v5, 3, v3 bitop3:0x40
	v_bfe_u32 v10, v3, 2, 5
	v_and_b32_e32 v1, 0x80000000, v1
	s_delay_alu instid0(VALU_DEP_3) | instskip(NEXT) | instid1(VALU_DEP_3)
	v_clz_i32_u32_e32 v7, v5
	v_cmp_eq_u32_e32 vcc_lo, 0, v10
	s_delay_alu instid0(VALU_DEP_2) | instskip(NEXT) | instid1(VALU_DEP_1)
	v_min_u32_e32 v7, 32, v7
	v_subrev_nc_u32_e32 v9, 29, v7
	v_sub_nc_u32_e32 v7, 30, v7
	s_delay_alu instid0(VALU_DEP_2) | instskip(NEXT) | instid1(VALU_DEP_2)
	v_lshlrev_b32_e32 v3, v9, v3
	v_cndmask_b32_e32 v7, v10, v7, vcc_lo
	s_delay_alu instid0(VALU_DEP_2) | instskip(NEXT) | instid1(VALU_DEP_1)
	v_and_b32_e32 v3, 3, v3
	v_cndmask_b32_e32 v3, v5, v3, vcc_lo
	s_delay_alu instid0(VALU_DEP_3) | instskip(NEXT) | instid1(VALU_DEP_2)
	v_lshl_add_u32 v5, v7, 23, 0x37800000
	v_lshlrev_b32_e32 v3, 21, v3
	s_delay_alu instid0(VALU_DEP_1) | instskip(NEXT) | instid1(VALU_DEP_1)
	v_or3_b32 v1, v1, v5, v3
	v_cvt_i32_f32_e32 v10, v1
.LBB86_2341:
	s_or_b32 exec_lo, exec_lo, s18
	s_mov_b32 s18, 0
	s_branch .LBB86_2347
.LBB86_2342:
	s_mov_b32 s18, -1
                                        ; implicit-def: $vgpr10
	s_branch .LBB86_2353
.LBB86_2343:
	s_and_not1_saveexec_b32 s19, s19
	s_cbranch_execz .LBB86_2328
.LBB86_2344:
	v_cmp_ne_u16_e32 vcc_lo, 0, v1
	s_and_not1_b32 s20, s20, exec_lo
	s_and_b32 s21, vcc_lo, exec_lo
	s_delay_alu instid0(SALU_CYCLE_1)
	s_or_b32 s20, s20, s21
	s_or_b32 exec_lo, exec_lo, s19
	v_mov_b32_e32 v10, 0
	s_and_saveexec_b32 s19, s20
	s_cbranch_execnz .LBB86_2329
	s_branch .LBB86_2330
.LBB86_2345:
	s_mov_b32 s18, -1
                                        ; implicit-def: $vgpr10
	s_branch .LBB86_2350
.LBB86_2346:
	s_mov_b32 s18, -1
                                        ; implicit-def: $vgpr10
.LBB86_2347:
	s_delay_alu instid0(SALU_CYCLE_1)
	s_and_b32 vcc_lo, exec_lo, s18
	s_cbranch_vccz .LBB86_2349
; %bb.2348:
	s_wait_loadcnt 0x0
	global_load_u8 v1, v[16:17], off
	s_wait_loadcnt 0x0
	v_lshlrev_b32_e32 v1, 24, v1
	s_delay_alu instid0(VALU_DEP_1) | instskip(NEXT) | instid1(VALU_DEP_1)
	v_and_b32_e32 v3, 0x7f000000, v1
	v_clz_i32_u32_e32 v5, v3
	v_add_nc_u32_e32 v9, 0x1000000, v3
	v_cmp_ne_u32_e32 vcc_lo, 0, v3
	s_delay_alu instid0(VALU_DEP_3) | instskip(NEXT) | instid1(VALU_DEP_1)
	v_min_u32_e32 v5, 32, v5
	v_sub_nc_u32_e64 v5, v5, 4 clamp
	s_delay_alu instid0(VALU_DEP_1) | instskip(NEXT) | instid1(VALU_DEP_1)
	v_dual_lshlrev_b32 v7, v5, v3 :: v_dual_lshlrev_b32 v5, 23, v5
	v_lshrrev_b32_e32 v7, 4, v7
	s_delay_alu instid0(VALU_DEP_1) | instskip(SKIP_1) | instid1(VALU_DEP_2)
	v_sub_nc_u32_e32 v5, v7, v5
	v_ashrrev_i32_e32 v7, 8, v9
	v_add_nc_u32_e32 v5, 0x3c000000, v5
	s_delay_alu instid0(VALU_DEP_1) | instskip(NEXT) | instid1(VALU_DEP_1)
	v_and_or_b32 v5, 0x7f800000, v7, v5
	v_cndmask_b32_e32 v3, 0, v5, vcc_lo
	s_delay_alu instid0(VALU_DEP_1) | instskip(NEXT) | instid1(VALU_DEP_1)
	v_and_or_b32 v1, 0x80000000, v1, v3
	v_cvt_i32_f32_e32 v10, v1
.LBB86_2349:
	s_mov_b32 s18, 0
.LBB86_2350:
	s_delay_alu instid0(SALU_CYCLE_1)
	s_and_not1_b32 vcc_lo, exec_lo, s18
	s_cbranch_vccnz .LBB86_2352
; %bb.2351:
	s_wait_loadcnt 0x0
	global_load_u8 v1, v[16:17], off
	s_wait_loadcnt 0x0
	v_lshlrev_b32_e32 v3, 25, v1
	v_lshlrev_b16 v1, 8, v1
	s_delay_alu instid0(VALU_DEP_1) | instskip(SKIP_1) | instid1(VALU_DEP_2)
	v_and_or_b32 v7, 0x7f00, v1, 0.5
	v_bfe_i32 v1, v1, 0, 16
	v_add_f32_e32 v7, -0.5, v7
	v_lshrrev_b32_e32 v5, 4, v3
	v_cmp_gt_u32_e32 vcc_lo, 0x8000000, v3
	s_delay_alu instid0(VALU_DEP_2) | instskip(NEXT) | instid1(VALU_DEP_1)
	v_or_b32_e32 v5, 0x70000000, v5
	v_mul_f32_e32 v5, 0x7800000, v5
	s_delay_alu instid0(VALU_DEP_1) | instskip(NEXT) | instid1(VALU_DEP_1)
	v_cndmask_b32_e32 v3, v5, v7, vcc_lo
	v_and_or_b32 v1, 0x80000000, v1, v3
	s_delay_alu instid0(VALU_DEP_1)
	v_cvt_i32_f32_e32 v10, v1
.LBB86_2352:
	s_mov_b32 s18, 0
	s_mov_b32 s19, -1
.LBB86_2353:
	s_and_not1_b32 vcc_lo, exec_lo, s18
	s_mov_b32 s18, 0
	s_cbranch_vccnz .LBB86_2364
; %bb.2354:
	s_cmp_gt_i32 s0, 14
	s_cbranch_scc0 .LBB86_2357
; %bb.2355:
	s_cmp_eq_u32 s0, 15
	s_cbranch_scc0 .LBB86_2360
; %bb.2356:
	s_wait_loadcnt 0x0
	global_load_u16 v1, v[16:17], off
	s_mov_b32 s9, 0
	s_mov_b32 s19, -1
	s_wait_loadcnt 0x0
	v_lshlrev_b32_e32 v1, 16, v1
	s_delay_alu instid0(VALU_DEP_1)
	v_cvt_i32_f32_e32 v10, v1
	s_branch .LBB86_2362
.LBB86_2357:
	s_mov_b32 s18, -1
	s_branch .LBB86_2361
.LBB86_2358:
	s_and_not1_saveexec_b32 s18, s18
	s_cbranch_execz .LBB86_2339
.LBB86_2359:
	v_cmp_ne_u16_e32 vcc_lo, 0, v1
	s_and_not1_b32 s19, s19, exec_lo
	s_and_b32 s20, vcc_lo, exec_lo
	s_delay_alu instid0(SALU_CYCLE_1)
	s_or_b32 s19, s19, s20
	s_or_b32 exec_lo, exec_lo, s18
	v_mov_b32_e32 v10, 0
	s_and_saveexec_b32 s18, s19
	s_cbranch_execnz .LBB86_2340
	s_branch .LBB86_2341
.LBB86_2360:
	s_mov_b32 s9, -1
.LBB86_2361:
                                        ; implicit-def: $vgpr10
.LBB86_2362:
	s_and_b32 vcc_lo, exec_lo, s18
	s_mov_b32 s18, 0
	s_cbranch_vccz .LBB86_2364
; %bb.2363:
	s_cmp_lg_u32 s0, 11
	s_mov_b32 s18, -1
	s_cselect_b32 s9, -1, 0
.LBB86_2364:
	s_delay_alu instid0(SALU_CYCLE_1)
	s_and_b32 vcc_lo, exec_lo, s9
	s_cbranch_vccnz .LBB86_2448
; %bb.2365:
	s_and_not1_b32 vcc_lo, exec_lo, s18
	s_cbranch_vccnz .LBB86_2367
.LBB86_2366:
	s_wait_loadcnt 0x0
	global_load_u8 v1, v[16:17], off
	s_mov_b32 s19, -1
	s_wait_loadcnt 0x0
	v_cmp_ne_u16_e32 vcc_lo, 0, v1
	v_cndmask_b32_e64 v10, 0, 1, vcc_lo
.LBB86_2367:
	s_mov_b32 s9, 0
.LBB86_2368:
	s_delay_alu instid0(SALU_CYCLE_1)
	s_and_b32 vcc_lo, exec_lo, s9
	s_cbranch_vccz .LBB86_2417
; %bb.2369:
	s_cmp_lt_i32 s0, 5
	s_cbranch_scc1 .LBB86_2374
; %bb.2370:
	s_cmp_lt_i32 s0, 8
	s_cbranch_scc1 .LBB86_2375
; %bb.2371:
	s_cmp_lt_i32 s0, 9
	s_cbranch_scc1 .LBB86_2376
; %bb.2372:
	s_cmp_gt_i32 s0, 9
	s_cbranch_scc0 .LBB86_2377
; %bb.2373:
	s_wait_loadcnt 0x0
	global_load_b64 v[10:11], v[16:17], off
	s_mov_b32 s9, 0
	s_wait_loadcnt 0x0
	v_cvt_i32_f64_e32 v10, v[10:11]
	s_branch .LBB86_2378
.LBB86_2374:
	s_mov_b32 s9, -1
                                        ; implicit-def: $vgpr10
	s_branch .LBB86_2396
.LBB86_2375:
	s_mov_b32 s9, -1
                                        ; implicit-def: $vgpr10
	s_branch .LBB86_2384
.LBB86_2376:
	s_mov_b32 s9, -1
                                        ; implicit-def: $vgpr10
	s_branch .LBB86_2381
.LBB86_2377:
	s_mov_b32 s9, -1
                                        ; implicit-def: $vgpr10
.LBB86_2378:
	s_delay_alu instid0(SALU_CYCLE_1)
	s_and_not1_b32 vcc_lo, exec_lo, s9
	s_cbranch_vccnz .LBB86_2380
; %bb.2379:
	s_wait_loadcnt 0x0
	global_load_b32 v1, v[16:17], off
	s_wait_loadcnt 0x0
	v_cvt_i32_f32_e32 v10, v1
.LBB86_2380:
	s_mov_b32 s9, 0
.LBB86_2381:
	s_delay_alu instid0(SALU_CYCLE_1)
	s_and_not1_b32 vcc_lo, exec_lo, s9
	s_cbranch_vccnz .LBB86_2383
; %bb.2382:
	s_wait_loadcnt 0x0
	global_load_b32 v1, v[16:17], off
	s_wait_loadcnt 0x0
	v_cvt_i16_f16_e32 v10, v1
.LBB86_2383:
	s_mov_b32 s9, 0
.LBB86_2384:
	s_delay_alu instid0(SALU_CYCLE_1)
	s_and_not1_b32 vcc_lo, exec_lo, s9
	s_cbranch_vccnz .LBB86_2395
; %bb.2385:
	s_cmp_lt_i32 s0, 6
	s_cbranch_scc1 .LBB86_2388
; %bb.2386:
	s_cmp_gt_i32 s0, 6
	s_cbranch_scc0 .LBB86_2389
; %bb.2387:
	s_wait_loadcnt 0x0
	global_load_b64 v[10:11], v[16:17], off
	s_mov_b32 s9, 0
	s_wait_loadcnt 0x0
	v_cvt_i32_f64_e32 v10, v[10:11]
	s_branch .LBB86_2390
.LBB86_2388:
	s_mov_b32 s9, -1
                                        ; implicit-def: $vgpr10
	s_branch .LBB86_2393
.LBB86_2389:
	s_mov_b32 s9, -1
                                        ; implicit-def: $vgpr10
.LBB86_2390:
	s_delay_alu instid0(SALU_CYCLE_1)
	s_and_not1_b32 vcc_lo, exec_lo, s9
	s_cbranch_vccnz .LBB86_2392
; %bb.2391:
	s_wait_loadcnt 0x0
	global_load_b32 v1, v[16:17], off
	s_wait_loadcnt 0x0
	v_cvt_i32_f32_e32 v10, v1
.LBB86_2392:
	s_mov_b32 s9, 0
.LBB86_2393:
	s_delay_alu instid0(SALU_CYCLE_1)
	s_and_not1_b32 vcc_lo, exec_lo, s9
	s_cbranch_vccnz .LBB86_2395
; %bb.2394:
	s_wait_loadcnt 0x0
	global_load_u16 v1, v[16:17], off
	s_wait_loadcnt 0x0
	v_cvt_i16_f16_e32 v10, v1
.LBB86_2395:
	s_mov_b32 s9, 0
.LBB86_2396:
	s_delay_alu instid0(SALU_CYCLE_1)
	s_and_not1_b32 vcc_lo, exec_lo, s9
	s_cbranch_vccnz .LBB86_2416
; %bb.2397:
	s_cmp_lt_i32 s0, 2
	s_cbranch_scc1 .LBB86_2401
; %bb.2398:
	s_cmp_lt_i32 s0, 3
	s_cbranch_scc1 .LBB86_2402
; %bb.2399:
	s_cmp_gt_i32 s0, 3
	s_cbranch_scc0 .LBB86_2403
; %bb.2400:
	s_wait_loadcnt 0x0
	global_load_b64 v[10:11], v[16:17], off
	s_mov_b32 s9, 0
	s_branch .LBB86_2404
.LBB86_2401:
	s_mov_b32 s9, -1
                                        ; implicit-def: $vgpr10
	s_branch .LBB86_2410
.LBB86_2402:
	s_mov_b32 s9, -1
                                        ; implicit-def: $vgpr10
	s_branch .LBB86_2407
.LBB86_2403:
	s_mov_b32 s9, -1
                                        ; implicit-def: $vgpr10
.LBB86_2404:
	s_delay_alu instid0(SALU_CYCLE_1)
	s_and_not1_b32 vcc_lo, exec_lo, s9
	s_cbranch_vccnz .LBB86_2406
; %bb.2405:
	s_wait_loadcnt 0x0
	global_load_b32 v10, v[16:17], off
.LBB86_2406:
	s_mov_b32 s9, 0
.LBB86_2407:
	s_delay_alu instid0(SALU_CYCLE_1)
	s_and_not1_b32 vcc_lo, exec_lo, s9
	s_cbranch_vccnz .LBB86_2409
; %bb.2408:
	s_wait_loadcnt 0x0
	global_load_u16 v10, v[16:17], off
.LBB86_2409:
	s_mov_b32 s9, 0
.LBB86_2410:
	s_delay_alu instid0(SALU_CYCLE_1)
	s_and_not1_b32 vcc_lo, exec_lo, s9
	s_cbranch_vccnz .LBB86_2416
; %bb.2411:
	s_cmp_gt_i32 s0, 0
	s_mov_b32 s9, 0
	s_cbranch_scc0 .LBB86_2413
; %bb.2412:
	s_wait_loadcnt 0x0
	global_load_i8 v10, v[16:17], off
	s_branch .LBB86_2414
.LBB86_2413:
	s_mov_b32 s9, -1
                                        ; implicit-def: $vgpr10
.LBB86_2414:
	s_delay_alu instid0(SALU_CYCLE_1)
	s_and_not1_b32 vcc_lo, exec_lo, s9
	s_cbranch_vccnz .LBB86_2416
; %bb.2415:
	s_wait_loadcnt 0x0
	global_load_u8 v10, v[16:17], off
.LBB86_2416:
	s_mov_b32 s19, -1
.LBB86_2417:
	s_delay_alu instid0(SALU_CYCLE_1)
	s_and_not1_b32 vcc_lo, exec_lo, s19
	s_cbranch_vccnz .LBB86_3126
; %bb.2418:
	s_cmp_lt_i32 s15, 23
	s_cbranch_scc1 .LBB86_2422
; %bb.2419:
	s_and_b32 s19, 0xffff, s15
	s_delay_alu instid0(SALU_CYCLE_1)
	s_cmp_gt_i32 s19, 43
	s_cbranch_scc0 .LBB86_2423
; %bb.2420:
	s_cmp_gt_i32 s19, 45
	s_cbranch_scc0 .LBB86_2424
; %bb.2421:
	s_cmp_lg_u32 s19, 46
	s_mov_b32 s20, 0
	s_mov_b32 s9, -1
	s_cselect_b32 s18, -1, 0
	s_branch .LBB86_2425
.LBB86_2422:
	s_mov_b32 s19, -1
	s_mov_b32 s9, 0
	s_mov_b32 s18, 0
	s_branch .LBB86_2431
.LBB86_2423:
	s_mov_b32 s20, -1
	s_mov_b32 s9, 0
	s_mov_b32 s18, 0
	s_branch .LBB86_2428
.LBB86_2424:
	s_mov_b32 s20, -1
	s_mov_b32 s9, 0
	s_mov_b32 s18, 0
.LBB86_2425:
	s_and_not1_b32 vcc_lo, exec_lo, s20
	s_cbranch_vccnz .LBB86_2427
; %bb.2426:
	s_cmp_eq_u32 s19, 44
	s_cselect_b32 s9, -1, 0
	s_cmp_lg_u32 s19, 44
	s_cselect_b32 s18, -1, 0
.LBB86_2427:
	s_mov_b32 s20, 0
.LBB86_2428:
	s_delay_alu instid0(SALU_CYCLE_1)
	s_and_b32 vcc_lo, exec_lo, s20
	s_cbranch_vccz .LBB86_2430
; %bb.2429:
	s_cmp_lt_i32 s19, 30
	s_cselect_b32 s9, -1, 0
	s_cmp_gt_i32 s19, 29
	s_cselect_b32 s18, -1, 0
.LBB86_2430:
	s_mov_b32 s19, 0
.LBB86_2431:
	s_delay_alu instid0(SALU_CYCLE_1)
	s_and_b32 vcc_lo, exec_lo, s19
	s_cbranch_vccz .LBB86_2436
; %bb.2432:
	s_and_b32 s15, 0xffff, s15
	s_mov_b32 s19, -1
	s_cmp_gt_i32 s15, 14
	s_cbranch_scc0 .LBB86_2434
; %bb.2433:
	s_cmp_eq_u32 s15, 15
	s_mov_b32 s19, 0
	s_cselect_b32 s9, -1, 0
	s_cmp_lg_u32 s15, 15
	s_cselect_b32 s18, -1, 0
.LBB86_2434:
	s_and_not1_b32 vcc_lo, exec_lo, s19
	s_cbranch_vccnz .LBB86_2436
; %bb.2435:
	s_cmp_lt_i32 s15, 12
	s_cselect_b32 s9, -1, 0
	s_cmp_gt_i32 s15, 11
	s_cselect_b32 s18, -1, 0
.LBB86_2436:
	s_delay_alu instid0(SALU_CYCLE_1)
	s_and_b32 vcc_lo, exec_lo, s18
	s_cbranch_vccnz .LBB86_2449
; %bb.2437:
	s_and_not1_b32 vcc_lo, exec_lo, s9
	s_cbranch_vccnz .LBB86_3126
.LBB86_2438:
	v_add_nc_u32_e32 v12, s1, v12
	s_cmp_lt_i32 s13, 11
	s_delay_alu instid0(VALU_DEP_1) | instskip(SKIP_1) | instid1(VALU_DEP_1)
	v_ashrrev_i32_e32 v13, 31, v12
	s_wait_xcnt 0x0
	v_add_nc_u64_e32 v[16:17], s[4:5], v[12:13]
	s_cbranch_scc1 .LBB86_2445
; %bb.2439:
	s_and_b32 s1, 0xffff, s13
	s_mov_b32 s5, 0
	s_cmp_gt_i32 s1, 25
	s_cbranch_scc0 .LBB86_2446
; %bb.2440:
	s_cmp_gt_i32 s1, 28
	s_cbranch_scc0 .LBB86_2447
; %bb.2441:
	;; [unrolled: 3-line block ×4, first 2 shown]
	s_cmp_eq_u32 s1, 46
	s_mov_b32 s15, 0
	s_cbranch_scc0 .LBB86_2452
; %bb.2444:
	s_wait_loadcnt 0x0
	global_load_b32 v1, v[16:17], off
	s_mov_b32 s4, 0
	s_mov_b32 s9, -1
	s_wait_loadcnt 0x0
	v_lshlrev_b32_e32 v1, 16, v1
	s_delay_alu instid0(VALU_DEP_1)
	v_cvt_i32_f32_e32 v12, v1
	s_branch .LBB86_2454
.LBB86_2445:
	s_mov_b32 s1, -1
	s_mov_b32 s9, 0
                                        ; implicit-def: $vgpr12
	s_branch .LBB86_2516
.LBB86_2446:
	s_mov_b32 s15, -1
	s_mov_b32 s9, 0
	s_mov_b32 s4, 0
                                        ; implicit-def: $vgpr12
	s_branch .LBB86_2481
.LBB86_2447:
	s_mov_b32 s15, -1
	s_mov_b32 s9, 0
	s_mov_b32 s4, 0
                                        ; implicit-def: $vgpr12
	s_branch .LBB86_2464
.LBB86_2448:
	s_or_b32 s14, s14, exec_lo
	s_trap 2
	s_cbranch_execz .LBB86_2366
	s_branch .LBB86_2367
.LBB86_2449:
	s_or_b32 s14, s14, exec_lo
	s_trap 2
	s_cbranch_execz .LBB86_2438
	s_branch .LBB86_3126
.LBB86_2450:
	s_mov_b32 s15, -1
	s_mov_b32 s9, 0
	s_mov_b32 s4, 0
                                        ; implicit-def: $vgpr12
	s_branch .LBB86_2459
.LBB86_2451:
	s_mov_b32 s15, -1
	s_mov_b32 s9, 0
	s_mov_b32 s4, 0
	s_branch .LBB86_2453
.LBB86_2452:
	s_mov_b32 s4, -1
	s_mov_b32 s9, 0
.LBB86_2453:
                                        ; implicit-def: $vgpr12
.LBB86_2454:
	s_and_b32 vcc_lo, exec_lo, s15
	s_cbranch_vccz .LBB86_2458
; %bb.2455:
	s_cmp_eq_u32 s1, 44
	s_cbranch_scc0 .LBB86_2457
; %bb.2456:
	s_wait_loadcnt 0x0
	global_load_u8 v1, v[16:17], off
	s_mov_b32 s4, 0
	s_mov_b32 s9, -1
	s_wait_loadcnt 0x0
	v_lshlrev_b32_e32 v3, 23, v1
	v_cmp_ne_u32_e32 vcc_lo, 0, v1
	s_delay_alu instid0(VALU_DEP_2) | instskip(NEXT) | instid1(VALU_DEP_1)
	v_cvt_i32_f32_e32 v3, v3
	v_cndmask_b32_e32 v12, 0, v3, vcc_lo
	s_branch .LBB86_2458
.LBB86_2457:
	s_mov_b32 s4, -1
                                        ; implicit-def: $vgpr12
.LBB86_2458:
	s_mov_b32 s15, 0
.LBB86_2459:
	s_delay_alu instid0(SALU_CYCLE_1)
	s_and_b32 vcc_lo, exec_lo, s15
	s_cbranch_vccz .LBB86_2463
; %bb.2460:
	s_cmp_eq_u32 s1, 29
	s_cbranch_scc0 .LBB86_2462
; %bb.2461:
	global_load_b64 v[12:13], v[16:17], off
	s_mov_b32 s4, 0
	s_mov_b32 s9, -1
	s_branch .LBB86_2463
.LBB86_2462:
	s_mov_b32 s4, -1
                                        ; implicit-def: $vgpr12
.LBB86_2463:
	s_mov_b32 s15, 0
.LBB86_2464:
	s_delay_alu instid0(SALU_CYCLE_1)
	s_and_b32 vcc_lo, exec_lo, s15
	s_cbranch_vccz .LBB86_2480
; %bb.2465:
	s_cmp_lt_i32 s1, 27
	s_cbranch_scc1 .LBB86_2468
; %bb.2466:
	s_cmp_gt_i32 s1, 27
	s_cbranch_scc0 .LBB86_2469
; %bb.2467:
	s_wait_loadcnt 0x0
	global_load_b32 v12, v[16:17], off
	s_mov_b32 s9, 0
	s_branch .LBB86_2470
.LBB86_2468:
	s_mov_b32 s9, -1
                                        ; implicit-def: $vgpr12
	s_branch .LBB86_2473
.LBB86_2469:
	s_mov_b32 s9, -1
                                        ; implicit-def: $vgpr12
.LBB86_2470:
	s_delay_alu instid0(SALU_CYCLE_1)
	s_and_not1_b32 vcc_lo, exec_lo, s9
	s_cbranch_vccnz .LBB86_2472
; %bb.2471:
	s_wait_loadcnt 0x0
	global_load_u16 v12, v[16:17], off
.LBB86_2472:
	s_mov_b32 s9, 0
.LBB86_2473:
	s_delay_alu instid0(SALU_CYCLE_1)
	s_and_not1_b32 vcc_lo, exec_lo, s9
	s_cbranch_vccnz .LBB86_2479
; %bb.2474:
	s_wait_loadcnt 0x0
	global_load_u8 v1, v[16:17], off
	s_mov_b32 s15, 0
	s_mov_b32 s9, exec_lo
	s_wait_loadcnt 0x0
	v_cmpx_lt_i16_e32 0x7f, v1
	s_xor_b32 s9, exec_lo, s9
	s_cbranch_execz .LBB86_2491
; %bb.2475:
	v_cmp_ne_u16_e32 vcc_lo, 0x80, v1
	s_and_b32 s15, vcc_lo, exec_lo
	s_and_not1_saveexec_b32 s9, s9
	s_cbranch_execnz .LBB86_2492
.LBB86_2476:
	s_or_b32 exec_lo, exec_lo, s9
	v_mov_b32_e32 v12, 0
	s_and_saveexec_b32 s9, s15
	s_cbranch_execz .LBB86_2478
.LBB86_2477:
	v_and_b32_e32 v3, 0xffff, v1
	s_delay_alu instid0(VALU_DEP_1) | instskip(SKIP_1) | instid1(VALU_DEP_2)
	v_dual_lshlrev_b32 v1, 24, v1 :: v_dual_bitop2_b32 v5, 7, v3 bitop3:0x40
	v_bfe_u32 v11, v3, 3, 4
	v_and_b32_e32 v1, 0x80000000, v1
	s_delay_alu instid0(VALU_DEP_3) | instskip(NEXT) | instid1(VALU_DEP_3)
	v_clz_i32_u32_e32 v7, v5
	v_cmp_eq_u32_e32 vcc_lo, 0, v11
	s_delay_alu instid0(VALU_DEP_2) | instskip(NEXT) | instid1(VALU_DEP_1)
	v_min_u32_e32 v7, 32, v7
	v_subrev_nc_u32_e32 v9, 28, v7
	v_sub_nc_u32_e32 v7, 29, v7
	s_delay_alu instid0(VALU_DEP_2) | instskip(NEXT) | instid1(VALU_DEP_2)
	v_lshlrev_b32_e32 v3, v9, v3
	v_cndmask_b32_e32 v7, v11, v7, vcc_lo
	s_delay_alu instid0(VALU_DEP_2) | instskip(NEXT) | instid1(VALU_DEP_1)
	v_and_b32_e32 v3, 7, v3
	v_cndmask_b32_e32 v3, v5, v3, vcc_lo
	s_delay_alu instid0(VALU_DEP_3) | instskip(NEXT) | instid1(VALU_DEP_2)
	v_lshl_add_u32 v5, v7, 23, 0x3b800000
	v_lshlrev_b32_e32 v3, 20, v3
	s_delay_alu instid0(VALU_DEP_1) | instskip(NEXT) | instid1(VALU_DEP_1)
	v_or3_b32 v1, v1, v5, v3
	v_cvt_i32_f32_e32 v12, v1
.LBB86_2478:
	s_or_b32 exec_lo, exec_lo, s9
.LBB86_2479:
	s_mov_b32 s9, -1
.LBB86_2480:
	s_mov_b32 s15, 0
.LBB86_2481:
	s_delay_alu instid0(SALU_CYCLE_1)
	s_and_b32 vcc_lo, exec_lo, s15
	s_cbranch_vccz .LBB86_2512
; %bb.2482:
	s_cmp_gt_i32 s1, 22
	s_cbranch_scc0 .LBB86_2490
; %bb.2483:
	s_cmp_lt_i32 s1, 24
	s_cbranch_scc1 .LBB86_2493
; %bb.2484:
	s_cmp_gt_i32 s1, 24
	s_cbranch_scc0 .LBB86_2494
; %bb.2485:
	s_wait_loadcnt 0x0
	global_load_u8 v1, v[16:17], off
	s_mov_b32 s9, 0
	s_mov_b32 s5, exec_lo
	s_wait_loadcnt 0x0
	v_cmpx_lt_i16_e32 0x7f, v1
	s_xor_b32 s5, exec_lo, s5
	s_cbranch_execz .LBB86_2506
; %bb.2486:
	v_cmp_ne_u16_e32 vcc_lo, 0x80, v1
	s_and_b32 s9, vcc_lo, exec_lo
	s_and_not1_saveexec_b32 s5, s5
	s_cbranch_execnz .LBB86_2507
.LBB86_2487:
	s_or_b32 exec_lo, exec_lo, s5
	v_mov_b32_e32 v12, 0
	s_and_saveexec_b32 s5, s9
	s_cbranch_execz .LBB86_2489
.LBB86_2488:
	v_and_b32_e32 v3, 0xffff, v1
	s_delay_alu instid0(VALU_DEP_1) | instskip(SKIP_1) | instid1(VALU_DEP_2)
	v_dual_lshlrev_b32 v1, 24, v1 :: v_dual_bitop2_b32 v5, 3, v3 bitop3:0x40
	v_bfe_u32 v11, v3, 2, 5
	v_and_b32_e32 v1, 0x80000000, v1
	s_delay_alu instid0(VALU_DEP_3) | instskip(NEXT) | instid1(VALU_DEP_3)
	v_clz_i32_u32_e32 v7, v5
	v_cmp_eq_u32_e32 vcc_lo, 0, v11
	s_delay_alu instid0(VALU_DEP_2) | instskip(NEXT) | instid1(VALU_DEP_1)
	v_min_u32_e32 v7, 32, v7
	v_subrev_nc_u32_e32 v9, 29, v7
	v_sub_nc_u32_e32 v7, 30, v7
	s_delay_alu instid0(VALU_DEP_2) | instskip(NEXT) | instid1(VALU_DEP_2)
	v_lshlrev_b32_e32 v3, v9, v3
	v_cndmask_b32_e32 v7, v11, v7, vcc_lo
	s_delay_alu instid0(VALU_DEP_2) | instskip(NEXT) | instid1(VALU_DEP_1)
	v_and_b32_e32 v3, 3, v3
	v_cndmask_b32_e32 v3, v5, v3, vcc_lo
	s_delay_alu instid0(VALU_DEP_3) | instskip(NEXT) | instid1(VALU_DEP_2)
	v_lshl_add_u32 v5, v7, 23, 0x37800000
	v_lshlrev_b32_e32 v3, 21, v3
	s_delay_alu instid0(VALU_DEP_1) | instskip(NEXT) | instid1(VALU_DEP_1)
	v_or3_b32 v1, v1, v5, v3
	v_cvt_i32_f32_e32 v12, v1
.LBB86_2489:
	s_or_b32 exec_lo, exec_lo, s5
	s_mov_b32 s5, 0
	s_branch .LBB86_2495
.LBB86_2490:
	s_mov_b32 s5, -1
                                        ; implicit-def: $vgpr12
	s_branch .LBB86_2501
.LBB86_2491:
	s_and_not1_saveexec_b32 s9, s9
	s_cbranch_execz .LBB86_2476
.LBB86_2492:
	v_cmp_ne_u16_e32 vcc_lo, 0, v1
	s_and_not1_b32 s15, s15, exec_lo
	s_and_b32 s18, vcc_lo, exec_lo
	s_delay_alu instid0(SALU_CYCLE_1)
	s_or_b32 s15, s15, s18
	s_or_b32 exec_lo, exec_lo, s9
	v_mov_b32_e32 v12, 0
	s_and_saveexec_b32 s9, s15
	s_cbranch_execnz .LBB86_2477
	s_branch .LBB86_2478
.LBB86_2493:
	s_mov_b32 s5, -1
                                        ; implicit-def: $vgpr12
	s_branch .LBB86_2498
.LBB86_2494:
	s_mov_b32 s5, -1
                                        ; implicit-def: $vgpr12
.LBB86_2495:
	s_delay_alu instid0(SALU_CYCLE_1)
	s_and_b32 vcc_lo, exec_lo, s5
	s_cbranch_vccz .LBB86_2497
; %bb.2496:
	s_wait_loadcnt 0x0
	global_load_u8 v1, v[16:17], off
	s_wait_loadcnt 0x0
	v_lshlrev_b32_e32 v1, 24, v1
	s_delay_alu instid0(VALU_DEP_1) | instskip(NEXT) | instid1(VALU_DEP_1)
	v_and_b32_e32 v3, 0x7f000000, v1
	v_clz_i32_u32_e32 v5, v3
	v_add_nc_u32_e32 v9, 0x1000000, v3
	v_cmp_ne_u32_e32 vcc_lo, 0, v3
	s_delay_alu instid0(VALU_DEP_3) | instskip(NEXT) | instid1(VALU_DEP_1)
	v_min_u32_e32 v5, 32, v5
	v_sub_nc_u32_e64 v5, v5, 4 clamp
	s_delay_alu instid0(VALU_DEP_1) | instskip(NEXT) | instid1(VALU_DEP_1)
	v_dual_lshlrev_b32 v7, v5, v3 :: v_dual_lshlrev_b32 v5, 23, v5
	v_lshrrev_b32_e32 v7, 4, v7
	s_delay_alu instid0(VALU_DEP_1) | instskip(SKIP_1) | instid1(VALU_DEP_2)
	v_sub_nc_u32_e32 v5, v7, v5
	v_ashrrev_i32_e32 v7, 8, v9
	v_add_nc_u32_e32 v5, 0x3c000000, v5
	s_delay_alu instid0(VALU_DEP_1) | instskip(NEXT) | instid1(VALU_DEP_1)
	v_and_or_b32 v5, 0x7f800000, v7, v5
	v_cndmask_b32_e32 v3, 0, v5, vcc_lo
	s_delay_alu instid0(VALU_DEP_1) | instskip(NEXT) | instid1(VALU_DEP_1)
	v_and_or_b32 v1, 0x80000000, v1, v3
	v_cvt_i32_f32_e32 v12, v1
.LBB86_2497:
	s_mov_b32 s5, 0
.LBB86_2498:
	s_delay_alu instid0(SALU_CYCLE_1)
	s_and_not1_b32 vcc_lo, exec_lo, s5
	s_cbranch_vccnz .LBB86_2500
; %bb.2499:
	s_wait_loadcnt 0x0
	global_load_u8 v1, v[16:17], off
	s_wait_loadcnt 0x0
	v_lshlrev_b32_e32 v3, 25, v1
	v_lshlrev_b16 v1, 8, v1
	s_delay_alu instid0(VALU_DEP_1) | instskip(SKIP_1) | instid1(VALU_DEP_2)
	v_and_or_b32 v7, 0x7f00, v1, 0.5
	v_bfe_i32 v1, v1, 0, 16
	v_add_f32_e32 v7, -0.5, v7
	v_lshrrev_b32_e32 v5, 4, v3
	v_cmp_gt_u32_e32 vcc_lo, 0x8000000, v3
	s_delay_alu instid0(VALU_DEP_2) | instskip(NEXT) | instid1(VALU_DEP_1)
	v_or_b32_e32 v5, 0x70000000, v5
	v_mul_f32_e32 v5, 0x7800000, v5
	s_delay_alu instid0(VALU_DEP_1) | instskip(NEXT) | instid1(VALU_DEP_1)
	v_cndmask_b32_e32 v3, v5, v7, vcc_lo
	v_and_or_b32 v1, 0x80000000, v1, v3
	s_delay_alu instid0(VALU_DEP_1)
	v_cvt_i32_f32_e32 v12, v1
.LBB86_2500:
	s_mov_b32 s5, 0
	s_mov_b32 s9, -1
.LBB86_2501:
	s_and_not1_b32 vcc_lo, exec_lo, s5
	s_mov_b32 s5, 0
	s_cbranch_vccnz .LBB86_2512
; %bb.2502:
	s_cmp_gt_i32 s1, 14
	s_cbranch_scc0 .LBB86_2505
; %bb.2503:
	s_cmp_eq_u32 s1, 15
	s_cbranch_scc0 .LBB86_2508
; %bb.2504:
	s_wait_loadcnt 0x0
	global_load_u16 v1, v[16:17], off
	s_mov_b32 s4, 0
	s_mov_b32 s9, -1
	s_wait_loadcnt 0x0
	v_lshlrev_b32_e32 v1, 16, v1
	s_delay_alu instid0(VALU_DEP_1)
	v_cvt_i32_f32_e32 v12, v1
	s_branch .LBB86_2510
.LBB86_2505:
	s_mov_b32 s5, -1
	s_branch .LBB86_2509
.LBB86_2506:
	s_and_not1_saveexec_b32 s5, s5
	s_cbranch_execz .LBB86_2487
.LBB86_2507:
	v_cmp_ne_u16_e32 vcc_lo, 0, v1
	s_and_not1_b32 s9, s9, exec_lo
	s_and_b32 s15, vcc_lo, exec_lo
	s_delay_alu instid0(SALU_CYCLE_1)
	s_or_b32 s9, s9, s15
	s_or_b32 exec_lo, exec_lo, s5
	v_mov_b32_e32 v12, 0
	s_and_saveexec_b32 s5, s9
	s_cbranch_execnz .LBB86_2488
	s_branch .LBB86_2489
.LBB86_2508:
	s_mov_b32 s4, -1
.LBB86_2509:
                                        ; implicit-def: $vgpr12
.LBB86_2510:
	s_and_b32 vcc_lo, exec_lo, s5
	s_mov_b32 s5, 0
	s_cbranch_vccz .LBB86_2512
; %bb.2511:
	s_cmp_lg_u32 s1, 11
	s_mov_b32 s5, -1
	s_cselect_b32 s4, -1, 0
.LBB86_2512:
	s_delay_alu instid0(SALU_CYCLE_1)
	s_and_b32 vcc_lo, exec_lo, s4
	s_cbranch_vccnz .LBB86_2577
; %bb.2513:
	s_and_not1_b32 vcc_lo, exec_lo, s5
	s_cbranch_vccnz .LBB86_2515
.LBB86_2514:
	s_wait_loadcnt 0x0
	global_load_u8 v1, v[16:17], off
	s_mov_b32 s9, -1
	s_wait_loadcnt 0x0
	v_cmp_ne_u16_e32 vcc_lo, 0, v1
	v_cndmask_b32_e64 v12, 0, 1, vcc_lo
.LBB86_2515:
	s_mov_b32 s1, 0
.LBB86_2516:
	s_delay_alu instid0(SALU_CYCLE_1)
	s_and_b32 vcc_lo, exec_lo, s1
	s_cbranch_vccz .LBB86_2565
; %bb.2517:
	s_and_b32 s1, 0xffff, s13
	s_delay_alu instid0(SALU_CYCLE_1)
	s_cmp_lt_i32 s1, 5
	s_cbranch_scc1 .LBB86_2522
; %bb.2518:
	s_cmp_lt_i32 s1, 8
	s_cbranch_scc1 .LBB86_2523
; %bb.2519:
	;; [unrolled: 3-line block ×3, first 2 shown]
	s_cmp_gt_i32 s1, 9
	s_cbranch_scc0 .LBB86_2525
; %bb.2521:
	s_wait_loadcnt 0x0
	global_load_b64 v[12:13], v[16:17], off
	s_mov_b32 s4, 0
	s_wait_loadcnt 0x0
	v_cvt_i32_f64_e32 v12, v[12:13]
	s_branch .LBB86_2526
.LBB86_2522:
	s_mov_b32 s4, -1
                                        ; implicit-def: $vgpr12
	s_branch .LBB86_2544
.LBB86_2523:
	s_mov_b32 s4, -1
                                        ; implicit-def: $vgpr12
	s_branch .LBB86_2532
.LBB86_2524:
	s_mov_b32 s4, -1
                                        ; implicit-def: $vgpr12
	s_branch .LBB86_2529
.LBB86_2525:
	s_mov_b32 s4, -1
                                        ; implicit-def: $vgpr12
.LBB86_2526:
	s_delay_alu instid0(SALU_CYCLE_1)
	s_and_not1_b32 vcc_lo, exec_lo, s4
	s_cbranch_vccnz .LBB86_2528
; %bb.2527:
	s_wait_loadcnt 0x0
	global_load_b32 v1, v[16:17], off
	s_wait_loadcnt 0x0
	v_cvt_i32_f32_e32 v12, v1
.LBB86_2528:
	s_mov_b32 s4, 0
.LBB86_2529:
	s_delay_alu instid0(SALU_CYCLE_1)
	s_and_not1_b32 vcc_lo, exec_lo, s4
	s_cbranch_vccnz .LBB86_2531
; %bb.2530:
	s_wait_loadcnt 0x0
	global_load_b32 v1, v[16:17], off
	s_wait_loadcnt 0x0
	v_cvt_i16_f16_e32 v12, v1
.LBB86_2531:
	s_mov_b32 s4, 0
.LBB86_2532:
	s_delay_alu instid0(SALU_CYCLE_1)
	s_and_not1_b32 vcc_lo, exec_lo, s4
	s_cbranch_vccnz .LBB86_2543
; %bb.2533:
	s_cmp_lt_i32 s1, 6
	s_cbranch_scc1 .LBB86_2536
; %bb.2534:
	s_cmp_gt_i32 s1, 6
	s_cbranch_scc0 .LBB86_2537
; %bb.2535:
	s_wait_loadcnt 0x0
	global_load_b64 v[12:13], v[16:17], off
	s_mov_b32 s4, 0
	s_wait_loadcnt 0x0
	v_cvt_i32_f64_e32 v12, v[12:13]
	s_branch .LBB86_2538
.LBB86_2536:
	s_mov_b32 s4, -1
                                        ; implicit-def: $vgpr12
	s_branch .LBB86_2541
.LBB86_2537:
	s_mov_b32 s4, -1
                                        ; implicit-def: $vgpr12
.LBB86_2538:
	s_delay_alu instid0(SALU_CYCLE_1)
	s_and_not1_b32 vcc_lo, exec_lo, s4
	s_cbranch_vccnz .LBB86_2540
; %bb.2539:
	s_wait_loadcnt 0x0
	global_load_b32 v1, v[16:17], off
	s_wait_loadcnt 0x0
	v_cvt_i32_f32_e32 v12, v1
.LBB86_2540:
	s_mov_b32 s4, 0
.LBB86_2541:
	s_delay_alu instid0(SALU_CYCLE_1)
	s_and_not1_b32 vcc_lo, exec_lo, s4
	s_cbranch_vccnz .LBB86_2543
; %bb.2542:
	s_wait_loadcnt 0x0
	global_load_u16 v1, v[16:17], off
	s_wait_loadcnt 0x0
	v_cvt_i16_f16_e32 v12, v1
.LBB86_2543:
	s_mov_b32 s4, 0
.LBB86_2544:
	s_delay_alu instid0(SALU_CYCLE_1)
	s_and_not1_b32 vcc_lo, exec_lo, s4
	s_cbranch_vccnz .LBB86_2564
; %bb.2545:
	s_cmp_lt_i32 s1, 2
	s_cbranch_scc1 .LBB86_2549
; %bb.2546:
	s_cmp_lt_i32 s1, 3
	s_cbranch_scc1 .LBB86_2550
; %bb.2547:
	s_cmp_gt_i32 s1, 3
	s_cbranch_scc0 .LBB86_2551
; %bb.2548:
	s_wait_loadcnt 0x0
	global_load_b64 v[12:13], v[16:17], off
	s_mov_b32 s4, 0
	s_branch .LBB86_2552
.LBB86_2549:
	s_mov_b32 s4, -1
                                        ; implicit-def: $vgpr12
	s_branch .LBB86_2558
.LBB86_2550:
	s_mov_b32 s4, -1
                                        ; implicit-def: $vgpr12
	s_branch .LBB86_2555
.LBB86_2551:
	s_mov_b32 s4, -1
                                        ; implicit-def: $vgpr12
.LBB86_2552:
	s_delay_alu instid0(SALU_CYCLE_1)
	s_and_not1_b32 vcc_lo, exec_lo, s4
	s_cbranch_vccnz .LBB86_2554
; %bb.2553:
	s_wait_loadcnt 0x0
	global_load_b32 v12, v[16:17], off
.LBB86_2554:
	s_mov_b32 s4, 0
.LBB86_2555:
	s_delay_alu instid0(SALU_CYCLE_1)
	s_and_not1_b32 vcc_lo, exec_lo, s4
	s_cbranch_vccnz .LBB86_2557
; %bb.2556:
	s_wait_loadcnt 0x0
	global_load_u16 v12, v[16:17], off
.LBB86_2557:
	s_mov_b32 s4, 0
.LBB86_2558:
	s_delay_alu instid0(SALU_CYCLE_1)
	s_and_not1_b32 vcc_lo, exec_lo, s4
	s_cbranch_vccnz .LBB86_2564
; %bb.2559:
	s_cmp_gt_i32 s1, 0
	s_mov_b32 s1, 0
	s_cbranch_scc0 .LBB86_2561
; %bb.2560:
	s_wait_loadcnt 0x0
	global_load_i8 v12, v[16:17], off
	s_branch .LBB86_2562
.LBB86_2561:
	s_mov_b32 s1, -1
                                        ; implicit-def: $vgpr12
.LBB86_2562:
	s_delay_alu instid0(SALU_CYCLE_1)
	s_and_not1_b32 vcc_lo, exec_lo, s1
	s_cbranch_vccnz .LBB86_2564
; %bb.2563:
	s_wait_loadcnt 0x0
	global_load_u8 v12, v[16:17], off
.LBB86_2564:
	s_mov_b32 s9, -1
.LBB86_2565:
	s_delay_alu instid0(SALU_CYCLE_1)
	s_and_not1_b32 vcc_lo, exec_lo, s9
	s_cbranch_vccnz .LBB86_3126
; %bb.2566:
	v_add_nc_u32_e32 v14, s8, v14
	s_cmp_lt_i32 s0, 11
	s_delay_alu instid0(VALU_DEP_1) | instskip(SKIP_1) | instid1(VALU_DEP_1)
	v_ashrrev_i32_e32 v15, 31, v14
	s_wait_xcnt 0x0
	v_add_nc_u64_e32 v[16:17], s[6:7], v[14:15]
	s_cbranch_scc1 .LBB86_2573
; %bb.2567:
	s_cmp_gt_i32 s0, 25
	s_mov_b32 s4, 0
	s_cbranch_scc0 .LBB86_2574
; %bb.2568:
	s_cmp_gt_i32 s0, 28
	s_cbranch_scc0 .LBB86_2575
; %bb.2569:
	s_cmp_gt_i32 s0, 43
	;; [unrolled: 3-line block ×3, first 2 shown]
	s_cbranch_scc0 .LBB86_2578
; %bb.2571:
	s_cmp_eq_u32 s0, 46
	s_mov_b32 s6, 0
	s_cbranch_scc0 .LBB86_2579
; %bb.2572:
	s_wait_loadcnt 0x0
	global_load_b32 v1, v[16:17], off
	s_mov_b32 s1, 0
	s_mov_b32 s5, -1
	s_wait_loadcnt 0x0
	v_lshlrev_b32_e32 v1, 16, v1
	s_delay_alu instid0(VALU_DEP_1)
	v_cvt_i32_f32_e32 v14, v1
	s_branch .LBB86_2581
.LBB86_2573:
	s_mov_b32 s1, -1
	s_mov_b32 s5, 0
                                        ; implicit-def: $vgpr14
	s_branch .LBB86_2643
.LBB86_2574:
	s_mov_b32 s6, -1
	s_mov_b32 s5, 0
	s_mov_b32 s1, 0
                                        ; implicit-def: $vgpr14
	s_branch .LBB86_2608
.LBB86_2575:
	s_mov_b32 s6, -1
	s_mov_b32 s5, 0
	s_mov_b32 s1, 0
                                        ; implicit-def: $vgpr14
	s_branch .LBB86_2591
.LBB86_2576:
	s_mov_b32 s6, -1
	s_mov_b32 s5, 0
	s_mov_b32 s1, 0
                                        ; implicit-def: $vgpr14
	s_branch .LBB86_2586
.LBB86_2577:
	s_or_b32 s14, s14, exec_lo
	s_trap 2
	s_cbranch_execz .LBB86_2514
	s_branch .LBB86_2515
.LBB86_2578:
	s_mov_b32 s6, -1
	s_mov_b32 s5, 0
	s_mov_b32 s1, 0
	s_branch .LBB86_2580
.LBB86_2579:
	s_mov_b32 s1, -1
	s_mov_b32 s5, 0
.LBB86_2580:
                                        ; implicit-def: $vgpr14
.LBB86_2581:
	s_and_b32 vcc_lo, exec_lo, s6
	s_cbranch_vccz .LBB86_2585
; %bb.2582:
	s_cmp_eq_u32 s0, 44
	s_cbranch_scc0 .LBB86_2584
; %bb.2583:
	s_wait_loadcnt 0x0
	global_load_u8 v1, v[16:17], off
	s_mov_b32 s1, 0
	s_mov_b32 s5, -1
	s_wait_loadcnt 0x0
	v_lshlrev_b32_e32 v3, 23, v1
	v_cmp_ne_u32_e32 vcc_lo, 0, v1
	s_delay_alu instid0(VALU_DEP_2) | instskip(NEXT) | instid1(VALU_DEP_1)
	v_cvt_i32_f32_e32 v3, v3
	v_cndmask_b32_e32 v14, 0, v3, vcc_lo
	s_branch .LBB86_2585
.LBB86_2584:
	s_mov_b32 s1, -1
                                        ; implicit-def: $vgpr14
.LBB86_2585:
	s_mov_b32 s6, 0
.LBB86_2586:
	s_delay_alu instid0(SALU_CYCLE_1)
	s_and_b32 vcc_lo, exec_lo, s6
	s_cbranch_vccz .LBB86_2590
; %bb.2587:
	s_cmp_eq_u32 s0, 29
	s_cbranch_scc0 .LBB86_2589
; %bb.2588:
	global_load_b64 v[14:15], v[16:17], off
	s_mov_b32 s1, 0
	s_mov_b32 s5, -1
	s_branch .LBB86_2590
.LBB86_2589:
	s_mov_b32 s1, -1
                                        ; implicit-def: $vgpr14
.LBB86_2590:
	s_mov_b32 s6, 0
.LBB86_2591:
	s_delay_alu instid0(SALU_CYCLE_1)
	s_and_b32 vcc_lo, exec_lo, s6
	s_cbranch_vccz .LBB86_2607
; %bb.2592:
	s_cmp_lt_i32 s0, 27
	s_cbranch_scc1 .LBB86_2595
; %bb.2593:
	s_cmp_gt_i32 s0, 27
	s_cbranch_scc0 .LBB86_2596
; %bb.2594:
	s_wait_loadcnt 0x0
	global_load_b32 v14, v[16:17], off
	s_mov_b32 s5, 0
	s_branch .LBB86_2597
.LBB86_2595:
	s_mov_b32 s5, -1
                                        ; implicit-def: $vgpr14
	s_branch .LBB86_2600
.LBB86_2596:
	s_mov_b32 s5, -1
                                        ; implicit-def: $vgpr14
.LBB86_2597:
	s_delay_alu instid0(SALU_CYCLE_1)
	s_and_not1_b32 vcc_lo, exec_lo, s5
	s_cbranch_vccnz .LBB86_2599
; %bb.2598:
	s_wait_loadcnt 0x0
	global_load_u16 v14, v[16:17], off
.LBB86_2599:
	s_mov_b32 s5, 0
.LBB86_2600:
	s_delay_alu instid0(SALU_CYCLE_1)
	s_and_not1_b32 vcc_lo, exec_lo, s5
	s_cbranch_vccnz .LBB86_2606
; %bb.2601:
	s_wait_loadcnt 0x0
	global_load_u8 v1, v[16:17], off
	s_mov_b32 s6, 0
	s_mov_b32 s5, exec_lo
	s_wait_loadcnt 0x0
	v_cmpx_lt_i16_e32 0x7f, v1
	s_xor_b32 s5, exec_lo, s5
	s_cbranch_execz .LBB86_2618
; %bb.2602:
	v_cmp_ne_u16_e32 vcc_lo, 0x80, v1
	s_and_b32 s6, vcc_lo, exec_lo
	s_and_not1_saveexec_b32 s5, s5
	s_cbranch_execnz .LBB86_2619
.LBB86_2603:
	s_or_b32 exec_lo, exec_lo, s5
	v_mov_b32_e32 v14, 0
	s_and_saveexec_b32 s5, s6
	s_cbranch_execz .LBB86_2605
.LBB86_2604:
	v_and_b32_e32 v3, 0xffff, v1
	s_delay_alu instid0(VALU_DEP_1) | instskip(SKIP_1) | instid1(VALU_DEP_2)
	v_dual_lshlrev_b32 v1, 24, v1 :: v_dual_bitop2_b32 v5, 7, v3 bitop3:0x40
	v_bfe_u32 v11, v3, 3, 4
	v_and_b32_e32 v1, 0x80000000, v1
	s_delay_alu instid0(VALU_DEP_3) | instskip(NEXT) | instid1(VALU_DEP_3)
	v_clz_i32_u32_e32 v7, v5
	v_cmp_eq_u32_e32 vcc_lo, 0, v11
	s_delay_alu instid0(VALU_DEP_2) | instskip(NEXT) | instid1(VALU_DEP_1)
	v_min_u32_e32 v7, 32, v7
	v_subrev_nc_u32_e32 v9, 28, v7
	v_sub_nc_u32_e32 v7, 29, v7
	s_delay_alu instid0(VALU_DEP_2) | instskip(NEXT) | instid1(VALU_DEP_2)
	v_lshlrev_b32_e32 v3, v9, v3
	v_cndmask_b32_e32 v7, v11, v7, vcc_lo
	s_delay_alu instid0(VALU_DEP_2) | instskip(NEXT) | instid1(VALU_DEP_1)
	v_and_b32_e32 v3, 7, v3
	v_cndmask_b32_e32 v3, v5, v3, vcc_lo
	s_delay_alu instid0(VALU_DEP_3) | instskip(NEXT) | instid1(VALU_DEP_2)
	v_lshl_add_u32 v5, v7, 23, 0x3b800000
	v_lshlrev_b32_e32 v3, 20, v3
	s_delay_alu instid0(VALU_DEP_1) | instskip(NEXT) | instid1(VALU_DEP_1)
	v_or3_b32 v1, v1, v5, v3
	v_cvt_i32_f32_e32 v14, v1
.LBB86_2605:
	s_or_b32 exec_lo, exec_lo, s5
.LBB86_2606:
	s_mov_b32 s5, -1
.LBB86_2607:
	s_mov_b32 s6, 0
.LBB86_2608:
	s_delay_alu instid0(SALU_CYCLE_1)
	s_and_b32 vcc_lo, exec_lo, s6
	s_cbranch_vccz .LBB86_2639
; %bb.2609:
	s_cmp_gt_i32 s0, 22
	s_cbranch_scc0 .LBB86_2617
; %bb.2610:
	s_cmp_lt_i32 s0, 24
	s_cbranch_scc1 .LBB86_2620
; %bb.2611:
	s_cmp_gt_i32 s0, 24
	s_cbranch_scc0 .LBB86_2621
; %bb.2612:
	s_wait_loadcnt 0x0
	global_load_u8 v1, v[16:17], off
	s_mov_b32 s5, 0
	s_mov_b32 s4, exec_lo
	s_wait_loadcnt 0x0
	v_cmpx_lt_i16_e32 0x7f, v1
	s_xor_b32 s4, exec_lo, s4
	s_cbranch_execz .LBB86_2633
; %bb.2613:
	v_cmp_ne_u16_e32 vcc_lo, 0x80, v1
	s_and_b32 s5, vcc_lo, exec_lo
	s_and_not1_saveexec_b32 s4, s4
	s_cbranch_execnz .LBB86_2634
.LBB86_2614:
	s_or_b32 exec_lo, exec_lo, s4
	v_mov_b32_e32 v14, 0
	s_and_saveexec_b32 s4, s5
	s_cbranch_execz .LBB86_2616
.LBB86_2615:
	v_and_b32_e32 v3, 0xffff, v1
	s_delay_alu instid0(VALU_DEP_1) | instskip(SKIP_1) | instid1(VALU_DEP_2)
	v_dual_lshlrev_b32 v1, 24, v1 :: v_dual_bitop2_b32 v5, 3, v3 bitop3:0x40
	v_bfe_u32 v11, v3, 2, 5
	v_and_b32_e32 v1, 0x80000000, v1
	s_delay_alu instid0(VALU_DEP_3) | instskip(NEXT) | instid1(VALU_DEP_3)
	v_clz_i32_u32_e32 v7, v5
	v_cmp_eq_u32_e32 vcc_lo, 0, v11
	s_delay_alu instid0(VALU_DEP_2) | instskip(NEXT) | instid1(VALU_DEP_1)
	v_min_u32_e32 v7, 32, v7
	v_subrev_nc_u32_e32 v9, 29, v7
	v_sub_nc_u32_e32 v7, 30, v7
	s_delay_alu instid0(VALU_DEP_2) | instskip(NEXT) | instid1(VALU_DEP_2)
	v_lshlrev_b32_e32 v3, v9, v3
	v_cndmask_b32_e32 v7, v11, v7, vcc_lo
	s_delay_alu instid0(VALU_DEP_2) | instskip(NEXT) | instid1(VALU_DEP_1)
	v_and_b32_e32 v3, 3, v3
	v_cndmask_b32_e32 v3, v5, v3, vcc_lo
	s_delay_alu instid0(VALU_DEP_3) | instskip(NEXT) | instid1(VALU_DEP_2)
	v_lshl_add_u32 v5, v7, 23, 0x37800000
	v_lshlrev_b32_e32 v3, 21, v3
	s_delay_alu instid0(VALU_DEP_1) | instskip(NEXT) | instid1(VALU_DEP_1)
	v_or3_b32 v1, v1, v5, v3
	v_cvt_i32_f32_e32 v14, v1
.LBB86_2616:
	s_or_b32 exec_lo, exec_lo, s4
	s_mov_b32 s4, 0
	s_branch .LBB86_2622
.LBB86_2617:
	s_mov_b32 s4, -1
                                        ; implicit-def: $vgpr14
	s_branch .LBB86_2628
.LBB86_2618:
	s_and_not1_saveexec_b32 s5, s5
	s_cbranch_execz .LBB86_2603
.LBB86_2619:
	v_cmp_ne_u16_e32 vcc_lo, 0, v1
	s_and_not1_b32 s6, s6, exec_lo
	s_and_b32 s7, vcc_lo, exec_lo
	s_delay_alu instid0(SALU_CYCLE_1)
	s_or_b32 s6, s6, s7
	s_or_b32 exec_lo, exec_lo, s5
	v_mov_b32_e32 v14, 0
	s_and_saveexec_b32 s5, s6
	s_cbranch_execnz .LBB86_2604
	s_branch .LBB86_2605
.LBB86_2620:
	s_mov_b32 s4, -1
                                        ; implicit-def: $vgpr14
	s_branch .LBB86_2625
.LBB86_2621:
	s_mov_b32 s4, -1
                                        ; implicit-def: $vgpr14
.LBB86_2622:
	s_delay_alu instid0(SALU_CYCLE_1)
	s_and_b32 vcc_lo, exec_lo, s4
	s_cbranch_vccz .LBB86_2624
; %bb.2623:
	s_wait_loadcnt 0x0
	global_load_u8 v1, v[16:17], off
	s_wait_loadcnt 0x0
	v_lshlrev_b32_e32 v1, 24, v1
	s_delay_alu instid0(VALU_DEP_1) | instskip(NEXT) | instid1(VALU_DEP_1)
	v_and_b32_e32 v3, 0x7f000000, v1
	v_clz_i32_u32_e32 v5, v3
	v_add_nc_u32_e32 v9, 0x1000000, v3
	v_cmp_ne_u32_e32 vcc_lo, 0, v3
	s_delay_alu instid0(VALU_DEP_3) | instskip(NEXT) | instid1(VALU_DEP_1)
	v_min_u32_e32 v5, 32, v5
	v_sub_nc_u32_e64 v5, v5, 4 clamp
	s_delay_alu instid0(VALU_DEP_1) | instskip(NEXT) | instid1(VALU_DEP_1)
	v_dual_lshlrev_b32 v7, v5, v3 :: v_dual_lshlrev_b32 v5, 23, v5
	v_lshrrev_b32_e32 v7, 4, v7
	s_delay_alu instid0(VALU_DEP_1) | instskip(SKIP_1) | instid1(VALU_DEP_2)
	v_sub_nc_u32_e32 v5, v7, v5
	v_ashrrev_i32_e32 v7, 8, v9
	v_add_nc_u32_e32 v5, 0x3c000000, v5
	s_delay_alu instid0(VALU_DEP_1) | instskip(NEXT) | instid1(VALU_DEP_1)
	v_and_or_b32 v5, 0x7f800000, v7, v5
	v_cndmask_b32_e32 v3, 0, v5, vcc_lo
	s_delay_alu instid0(VALU_DEP_1) | instskip(NEXT) | instid1(VALU_DEP_1)
	v_and_or_b32 v1, 0x80000000, v1, v3
	v_cvt_i32_f32_e32 v14, v1
.LBB86_2624:
	s_mov_b32 s4, 0
.LBB86_2625:
	s_delay_alu instid0(SALU_CYCLE_1)
	s_and_not1_b32 vcc_lo, exec_lo, s4
	s_cbranch_vccnz .LBB86_2627
; %bb.2626:
	s_wait_loadcnt 0x0
	global_load_u8 v1, v[16:17], off
	s_wait_loadcnt 0x0
	v_lshlrev_b32_e32 v3, 25, v1
	v_lshlrev_b16 v1, 8, v1
	s_delay_alu instid0(VALU_DEP_1) | instskip(SKIP_1) | instid1(VALU_DEP_2)
	v_and_or_b32 v7, 0x7f00, v1, 0.5
	v_bfe_i32 v1, v1, 0, 16
	v_add_f32_e32 v7, -0.5, v7
	v_lshrrev_b32_e32 v5, 4, v3
	v_cmp_gt_u32_e32 vcc_lo, 0x8000000, v3
	s_delay_alu instid0(VALU_DEP_2) | instskip(NEXT) | instid1(VALU_DEP_1)
	v_or_b32_e32 v5, 0x70000000, v5
	v_mul_f32_e32 v5, 0x7800000, v5
	s_delay_alu instid0(VALU_DEP_1) | instskip(NEXT) | instid1(VALU_DEP_1)
	v_cndmask_b32_e32 v3, v5, v7, vcc_lo
	v_and_or_b32 v1, 0x80000000, v1, v3
	s_delay_alu instid0(VALU_DEP_1)
	v_cvt_i32_f32_e32 v14, v1
.LBB86_2627:
	s_mov_b32 s4, 0
	s_mov_b32 s5, -1
.LBB86_2628:
	s_and_not1_b32 vcc_lo, exec_lo, s4
	s_mov_b32 s4, 0
	s_cbranch_vccnz .LBB86_2639
; %bb.2629:
	s_cmp_gt_i32 s0, 14
	s_cbranch_scc0 .LBB86_2632
; %bb.2630:
	s_cmp_eq_u32 s0, 15
	s_cbranch_scc0 .LBB86_2635
; %bb.2631:
	s_wait_loadcnt 0x0
	global_load_u16 v1, v[16:17], off
	s_mov_b32 s1, 0
	s_mov_b32 s5, -1
	s_wait_loadcnt 0x0
	v_lshlrev_b32_e32 v1, 16, v1
	s_delay_alu instid0(VALU_DEP_1)
	v_cvt_i32_f32_e32 v14, v1
	s_branch .LBB86_2637
.LBB86_2632:
	s_mov_b32 s4, -1
	s_branch .LBB86_2636
.LBB86_2633:
	s_and_not1_saveexec_b32 s4, s4
	s_cbranch_execz .LBB86_2614
.LBB86_2634:
	v_cmp_ne_u16_e32 vcc_lo, 0, v1
	s_and_not1_b32 s5, s5, exec_lo
	s_and_b32 s6, vcc_lo, exec_lo
	s_delay_alu instid0(SALU_CYCLE_1)
	s_or_b32 s5, s5, s6
	s_or_b32 exec_lo, exec_lo, s4
	v_mov_b32_e32 v14, 0
	s_and_saveexec_b32 s4, s5
	s_cbranch_execnz .LBB86_2615
	s_branch .LBB86_2616
.LBB86_2635:
	s_mov_b32 s1, -1
.LBB86_2636:
                                        ; implicit-def: $vgpr14
.LBB86_2637:
	s_and_b32 vcc_lo, exec_lo, s4
	s_mov_b32 s4, 0
	s_cbranch_vccz .LBB86_2639
; %bb.2638:
	s_cmp_lg_u32 s0, 11
	s_mov_b32 s4, -1
	s_cselect_b32 s1, -1, 0
.LBB86_2639:
	s_delay_alu instid0(SALU_CYCLE_1)
	s_and_b32 vcc_lo, exec_lo, s1
	s_cbranch_vccnz .LBB86_3172
; %bb.2640:
	s_and_not1_b32 vcc_lo, exec_lo, s4
	s_cbranch_vccnz .LBB86_2642
.LBB86_2641:
	s_wait_loadcnt 0x0
	global_load_u8 v1, v[16:17], off
	s_mov_b32 s5, -1
	s_wait_loadcnt 0x0
	v_cmp_ne_u16_e32 vcc_lo, 0, v1
	v_cndmask_b32_e64 v14, 0, 1, vcc_lo
.LBB86_2642:
	s_mov_b32 s1, 0
.LBB86_2643:
	s_delay_alu instid0(SALU_CYCLE_1)
	s_and_b32 vcc_lo, exec_lo, s1
	s_cbranch_vccz .LBB86_2692
; %bb.2644:
	s_cmp_lt_i32 s0, 5
	s_cbranch_scc1 .LBB86_2649
; %bb.2645:
	s_cmp_lt_i32 s0, 8
	s_cbranch_scc1 .LBB86_2650
	;; [unrolled: 3-line block ×3, first 2 shown]
; %bb.2647:
	s_cmp_gt_i32 s0, 9
	s_cbranch_scc0 .LBB86_2652
; %bb.2648:
	s_wait_loadcnt 0x0
	global_load_b64 v[14:15], v[16:17], off
	s_mov_b32 s1, 0
	s_wait_loadcnt 0x0
	v_cvt_i32_f64_e32 v14, v[14:15]
	s_branch .LBB86_2653
.LBB86_2649:
	s_mov_b32 s1, -1
                                        ; implicit-def: $vgpr14
	s_branch .LBB86_2671
.LBB86_2650:
	s_mov_b32 s1, -1
                                        ; implicit-def: $vgpr14
	s_branch .LBB86_2659
.LBB86_2651:
	s_mov_b32 s1, -1
                                        ; implicit-def: $vgpr14
	s_branch .LBB86_2656
.LBB86_2652:
	s_mov_b32 s1, -1
                                        ; implicit-def: $vgpr14
.LBB86_2653:
	s_delay_alu instid0(SALU_CYCLE_1)
	s_and_not1_b32 vcc_lo, exec_lo, s1
	s_cbranch_vccnz .LBB86_2655
; %bb.2654:
	s_wait_loadcnt 0x0
	global_load_b32 v1, v[16:17], off
	s_wait_loadcnt 0x0
	v_cvt_i32_f32_e32 v14, v1
.LBB86_2655:
	s_mov_b32 s1, 0
.LBB86_2656:
	s_delay_alu instid0(SALU_CYCLE_1)
	s_and_not1_b32 vcc_lo, exec_lo, s1
	s_cbranch_vccnz .LBB86_2658
; %bb.2657:
	s_wait_loadcnt 0x0
	global_load_b32 v1, v[16:17], off
	s_wait_loadcnt 0x0
	v_cvt_i16_f16_e32 v14, v1
.LBB86_2658:
	s_mov_b32 s1, 0
.LBB86_2659:
	s_delay_alu instid0(SALU_CYCLE_1)
	s_and_not1_b32 vcc_lo, exec_lo, s1
	s_cbranch_vccnz .LBB86_2670
; %bb.2660:
	s_cmp_lt_i32 s0, 6
	s_cbranch_scc1 .LBB86_2663
; %bb.2661:
	s_cmp_gt_i32 s0, 6
	s_cbranch_scc0 .LBB86_2664
; %bb.2662:
	s_wait_loadcnt 0x0
	global_load_b64 v[14:15], v[16:17], off
	s_mov_b32 s1, 0
	s_wait_loadcnt 0x0
	v_cvt_i32_f64_e32 v14, v[14:15]
	s_branch .LBB86_2665
.LBB86_2663:
	s_mov_b32 s1, -1
                                        ; implicit-def: $vgpr14
	s_branch .LBB86_2668
.LBB86_2664:
	s_mov_b32 s1, -1
                                        ; implicit-def: $vgpr14
.LBB86_2665:
	s_delay_alu instid0(SALU_CYCLE_1)
	s_and_not1_b32 vcc_lo, exec_lo, s1
	s_cbranch_vccnz .LBB86_2667
; %bb.2666:
	s_wait_loadcnt 0x0
	global_load_b32 v1, v[16:17], off
	s_wait_loadcnt 0x0
	v_cvt_i32_f32_e32 v14, v1
.LBB86_2667:
	s_mov_b32 s1, 0
.LBB86_2668:
	s_delay_alu instid0(SALU_CYCLE_1)
	s_and_not1_b32 vcc_lo, exec_lo, s1
	s_cbranch_vccnz .LBB86_2670
; %bb.2669:
	s_wait_loadcnt 0x0
	global_load_u16 v1, v[16:17], off
	s_wait_loadcnt 0x0
	v_cvt_i16_f16_e32 v14, v1
.LBB86_2670:
	s_mov_b32 s1, 0
.LBB86_2671:
	s_delay_alu instid0(SALU_CYCLE_1)
	s_and_not1_b32 vcc_lo, exec_lo, s1
	s_cbranch_vccnz .LBB86_2691
; %bb.2672:
	s_cmp_lt_i32 s0, 2
	s_cbranch_scc1 .LBB86_2676
; %bb.2673:
	s_cmp_lt_i32 s0, 3
	s_cbranch_scc1 .LBB86_2677
; %bb.2674:
	s_cmp_gt_i32 s0, 3
	s_cbranch_scc0 .LBB86_2678
; %bb.2675:
	s_wait_loadcnt 0x0
	global_load_b64 v[14:15], v[16:17], off
	s_mov_b32 s1, 0
	s_branch .LBB86_2679
.LBB86_2676:
	s_mov_b32 s1, -1
                                        ; implicit-def: $vgpr14
	s_branch .LBB86_2685
.LBB86_2677:
	s_mov_b32 s1, -1
                                        ; implicit-def: $vgpr14
	s_branch .LBB86_2682
.LBB86_2678:
	s_mov_b32 s1, -1
                                        ; implicit-def: $vgpr14
.LBB86_2679:
	s_delay_alu instid0(SALU_CYCLE_1)
	s_and_not1_b32 vcc_lo, exec_lo, s1
	s_cbranch_vccnz .LBB86_2681
; %bb.2680:
	s_wait_loadcnt 0x0
	global_load_b32 v14, v[16:17], off
.LBB86_2681:
	s_mov_b32 s1, 0
.LBB86_2682:
	s_delay_alu instid0(SALU_CYCLE_1)
	s_and_not1_b32 vcc_lo, exec_lo, s1
	s_cbranch_vccnz .LBB86_2684
; %bb.2683:
	s_wait_loadcnt 0x0
	global_load_u16 v14, v[16:17], off
.LBB86_2684:
	s_mov_b32 s1, 0
.LBB86_2685:
	s_delay_alu instid0(SALU_CYCLE_1)
	s_and_not1_b32 vcc_lo, exec_lo, s1
	s_cbranch_vccnz .LBB86_2691
; %bb.2686:
	s_cmp_gt_i32 s0, 0
	s_mov_b32 s0, 0
	s_cbranch_scc0 .LBB86_2688
; %bb.2687:
	s_wait_loadcnt 0x0
	global_load_i8 v14, v[16:17], off
	s_branch .LBB86_2689
.LBB86_2688:
	s_mov_b32 s0, -1
                                        ; implicit-def: $vgpr14
.LBB86_2689:
	s_delay_alu instid0(SALU_CYCLE_1)
	s_and_not1_b32 vcc_lo, exec_lo, s0
	s_cbranch_vccnz .LBB86_2691
; %bb.2690:
	s_wait_loadcnt 0x0
	global_load_u8 v14, v[16:17], off
.LBB86_2691:
	s_mov_b32 s5, -1
.LBB86_2692:
	s_delay_alu instid0(SALU_CYCLE_1)
	s_and_not1_b32 vcc_lo, exec_lo, s5
	s_cbranch_vccnz .LBB86_3126
; %bb.2693:
	s_wait_xcnt 0x0
	v_mul_lo_u32 v16, s11, v18
	s_wait_loadcnt 0x0
	v_mul_lo_u16 v3, v0, s10
	s_and_b32 s18, s12, 0xff
	s_delay_alu instid0(SALU_CYCLE_1) | instskip(NEXT) | instid1(VALU_DEP_1)
	s_cmp_lt_i32 s18, 11
	v_mul_lo_u16 v5, v3, v2
	s_delay_alu instid0(VALU_DEP_3) | instskip(NEXT) | instid1(VALU_DEP_1)
	v_ashrrev_i32_e32 v17, 31, v16
	v_add_nc_u64_e32 v[0:1], s[2:3], v[16:17]
	s_cbranch_scc1 .LBB86_2771
; %bb.2694:
	s_and_b32 s1, 0xffff, s18
	s_mov_b32 s6, -1
	s_mov_b32 s4, 0
	s_cmp_gt_i32 s1, 25
	s_mov_b32 s5, 0
	s_mov_b32 s0, 0
	s_cbranch_scc0 .LBB86_2727
; %bb.2695:
	s_cmp_gt_i32 s1, 28
	s_cbranch_scc0 .LBB86_2710
; %bb.2696:
	s_cmp_gt_i32 s1, 43
	;; [unrolled: 3-line block ×3, first 2 shown]
	s_cbranch_scc0 .LBB86_2700
; %bb.2698:
	s_mov_b32 s0, -1
	s_mov_b32 s6, 0
	s_cmp_eq_u32 s1, 46
	s_cbranch_scc0 .LBB86_2700
; %bb.2699:
	v_bfe_i32 v2, v5, 0, 16
	s_mov_b32 s0, 0
	s_mov_b32 s5, -1
	s_delay_alu instid0(VALU_DEP_1) | instskip(NEXT) | instid1(VALU_DEP_1)
	v_cvt_f32_i32_e32 v2, v2
	v_bfe_u32 v3, v2, 16, 1
	s_delay_alu instid0(VALU_DEP_1) | instskip(NEXT) | instid1(VALU_DEP_1)
	v_add3_u32 v2, v2, v3, 0x7fff
	v_lshrrev_b32_e32 v2, 16, v2
	global_store_b32 v[0:1], v2, off
.LBB86_2700:
	s_and_b32 vcc_lo, exec_lo, s6
	s_cbranch_vccz .LBB86_2705
; %bb.2701:
	s_cmp_eq_u32 s1, 44
	s_mov_b32 s0, -1
	s_cbranch_scc0 .LBB86_2705
; %bb.2702:
	s_wait_xcnt 0x0
	v_bfe_i32 v2, v5, 0, 16
	v_mov_b32_e32 v3, 0xff
	s_mov_b32 s5, exec_lo
	s_delay_alu instid0(VALU_DEP_2) | instskip(NEXT) | instid1(VALU_DEP_1)
	v_cvt_f32_i32_e32 v2, v2
	v_bfe_u32 v7, v2, 23, 8
	s_delay_alu instid0(VALU_DEP_1)
	v_cmpx_ne_u32_e32 0xff, v7
	s_cbranch_execz .LBB86_2704
; %bb.2703:
	v_and_b32_e32 v3, 0x400000, v2
	v_and_or_b32 v7, 0x3fffff, v2, v7
	v_lshrrev_b32_e32 v2, 23, v2
	s_delay_alu instid0(VALU_DEP_3) | instskip(NEXT) | instid1(VALU_DEP_3)
	v_cmp_ne_u32_e32 vcc_lo, 0, v3
	v_cmp_ne_u32_e64 s0, 0, v7
	s_and_b32 s0, vcc_lo, s0
	s_delay_alu instid0(SALU_CYCLE_1) | instskip(NEXT) | instid1(VALU_DEP_1)
	v_cndmask_b32_e64 v3, 0, 1, s0
	v_add_nc_u32_e32 v3, v2, v3
.LBB86_2704:
	s_or_b32 exec_lo, exec_lo, s5
	s_mov_b32 s0, 0
	s_mov_b32 s5, -1
	global_store_b8 v[0:1], v3, off
.LBB86_2705:
	s_mov_b32 s6, 0
.LBB86_2706:
	s_delay_alu instid0(SALU_CYCLE_1)
	s_and_b32 vcc_lo, exec_lo, s6
	s_cbranch_vccz .LBB86_2709
; %bb.2707:
	s_cmp_eq_u32 s1, 29
	s_mov_b32 s0, -1
	s_cbranch_scc0 .LBB86_2709
; %bb.2708:
	s_wait_xcnt 0x0
	v_bfe_i32 v2, v5, 0, 16
	s_mov_b32 s0, 0
	s_mov_b32 s5, -1
	s_delay_alu instid0(VALU_DEP_1)
	v_ashrrev_i32_e32 v3, 31, v2
	global_store_b64 v[0:1], v[2:3], off
.LBB86_2709:
	s_mov_b32 s6, 0
.LBB86_2710:
	s_delay_alu instid0(SALU_CYCLE_1)
	s_and_b32 vcc_lo, exec_lo, s6
	s_cbranch_vccz .LBB86_2726
; %bb.2711:
	s_cmp_lt_i32 s1, 27
	s_mov_b32 s5, -1
	s_cbranch_scc1 .LBB86_2717
; %bb.2712:
	s_cmp_gt_i32 s1, 27
	s_cbranch_scc0 .LBB86_2714
; %bb.2713:
	s_wait_xcnt 0x0
	v_bfe_i32 v2, v5, 0, 16
	s_mov_b32 s5, 0
	global_store_b32 v[0:1], v2, off
.LBB86_2714:
	s_and_not1_b32 vcc_lo, exec_lo, s5
	s_cbranch_vccnz .LBB86_2716
; %bb.2715:
	global_store_b16 v[0:1], v5, off
.LBB86_2716:
	s_mov_b32 s5, 0
.LBB86_2717:
	s_delay_alu instid0(SALU_CYCLE_1)
	s_and_not1_b32 vcc_lo, exec_lo, s5
	s_cbranch_vccnz .LBB86_2725
; %bb.2718:
	s_wait_xcnt 0x0
	v_bfe_i32 v2, v5, 0, 16
	v_mov_b32_e32 v7, 0x80
	s_mov_b32 s5, exec_lo
	s_delay_alu instid0(VALU_DEP_2) | instskip(NEXT) | instid1(VALU_DEP_1)
	v_cvt_f32_i32_e32 v2, v2
	v_and_b32_e32 v3, 0x7fffffff, v2
	s_delay_alu instid0(VALU_DEP_1)
	v_cmpx_gt_u32_e32 0x43800000, v3
	s_cbranch_execz .LBB86_2724
; %bb.2719:
	v_cmp_lt_u32_e32 vcc_lo, 0x3bffffff, v3
	s_mov_b32 s6, 0
                                        ; implicit-def: $vgpr3
	s_and_saveexec_b32 s7, vcc_lo
	s_delay_alu instid0(SALU_CYCLE_1)
	s_xor_b32 s7, exec_lo, s7
	s_cbranch_execz .LBB86_3173
; %bb.2720:
	v_bfe_u32 v3, v2, 20, 1
	s_mov_b32 s6, exec_lo
	s_delay_alu instid0(VALU_DEP_1) | instskip(NEXT) | instid1(VALU_DEP_1)
	v_add3_u32 v3, v2, v3, 0x487ffff
	v_lshrrev_b32_e32 v3, 20, v3
	s_and_not1_saveexec_b32 s7, s7
	s_cbranch_execnz .LBB86_3174
.LBB86_2721:
	s_or_b32 exec_lo, exec_lo, s7
	v_mov_b32_e32 v7, 0
	s_and_saveexec_b32 s7, s6
.LBB86_2722:
	v_lshrrev_b32_e32 v2, 24, v2
	s_delay_alu instid0(VALU_DEP_1)
	v_and_or_b32 v7, 0x80, v2, v3
.LBB86_2723:
	s_or_b32 exec_lo, exec_lo, s7
.LBB86_2724:
	s_delay_alu instid0(SALU_CYCLE_1)
	s_or_b32 exec_lo, exec_lo, s5
	global_store_b8 v[0:1], v7, off
.LBB86_2725:
	s_mov_b32 s5, -1
.LBB86_2726:
	s_mov_b32 s6, 0
.LBB86_2727:
	s_delay_alu instid0(SALU_CYCLE_1)
	s_and_b32 vcc_lo, exec_lo, s6
	s_cbranch_vccz .LBB86_2767
; %bb.2728:
	s_cmp_gt_i32 s1, 22
	s_mov_b32 s4, -1
	s_cbranch_scc0 .LBB86_2760
; %bb.2729:
	s_cmp_lt_i32 s1, 24
	s_cbranch_scc1 .LBB86_2749
; %bb.2730:
	s_cmp_gt_i32 s1, 24
	s_cbranch_scc0 .LBB86_2738
; %bb.2731:
	s_wait_xcnt 0x0
	v_bfe_i32 v2, v5, 0, 16
	v_mov_b32_e32 v7, 0x80
	s_mov_b32 s4, exec_lo
	s_delay_alu instid0(VALU_DEP_2) | instskip(NEXT) | instid1(VALU_DEP_1)
	v_cvt_f32_i32_e32 v2, v2
	v_and_b32_e32 v3, 0x7fffffff, v2
	s_delay_alu instid0(VALU_DEP_1)
	v_cmpx_gt_u32_e32 0x47800000, v3
	s_cbranch_execz .LBB86_2737
; %bb.2732:
	v_cmp_lt_u32_e32 vcc_lo, 0x37ffffff, v3
	s_mov_b32 s5, 0
                                        ; implicit-def: $vgpr3
	s_and_saveexec_b32 s6, vcc_lo
	s_delay_alu instid0(SALU_CYCLE_1)
	s_xor_b32 s6, exec_lo, s6
	s_cbranch_execz .LBB86_3176
; %bb.2733:
	v_bfe_u32 v3, v2, 21, 1
	s_mov_b32 s5, exec_lo
	s_delay_alu instid0(VALU_DEP_1) | instskip(NEXT) | instid1(VALU_DEP_1)
	v_add3_u32 v3, v2, v3, 0x88fffff
	v_lshrrev_b32_e32 v3, 21, v3
	s_and_not1_saveexec_b32 s6, s6
	s_cbranch_execnz .LBB86_3177
.LBB86_2734:
	s_or_b32 exec_lo, exec_lo, s6
	v_mov_b32_e32 v7, 0
	s_and_saveexec_b32 s6, s5
.LBB86_2735:
	v_lshrrev_b32_e32 v2, 24, v2
	s_delay_alu instid0(VALU_DEP_1)
	v_and_or_b32 v7, 0x80, v2, v3
.LBB86_2736:
	s_or_b32 exec_lo, exec_lo, s6
.LBB86_2737:
	s_delay_alu instid0(SALU_CYCLE_1)
	s_or_b32 exec_lo, exec_lo, s4
	s_mov_b32 s4, 0
	global_store_b8 v[0:1], v7, off
.LBB86_2738:
	s_and_b32 vcc_lo, exec_lo, s4
	s_cbranch_vccz .LBB86_2748
; %bb.2739:
	s_wait_xcnt 0x0
	v_bfe_i32 v2, v5, 0, 16
	s_mov_b32 s4, exec_lo
                                        ; implicit-def: $vgpr3
	s_delay_alu instid0(VALU_DEP_1) | instskip(NEXT) | instid1(VALU_DEP_1)
	v_cvt_f32_i32_e32 v2, v2
	v_and_b32_e32 v7, 0x7fffffff, v2
	s_delay_alu instid0(VALU_DEP_1)
	v_cmpx_gt_u32_e32 0x43f00000, v7
	s_xor_b32 s4, exec_lo, s4
	s_cbranch_execz .LBB86_2745
; %bb.2740:
	s_mov_b32 s5, exec_lo
                                        ; implicit-def: $vgpr3
	v_cmpx_lt_u32_e32 0x3c7fffff, v7
	s_xor_b32 s5, exec_lo, s5
; %bb.2741:
	v_bfe_u32 v3, v2, 20, 1
	s_delay_alu instid0(VALU_DEP_1) | instskip(NEXT) | instid1(VALU_DEP_1)
	v_add3_u32 v3, v2, v3, 0x407ffff
	v_and_b32_e32 v7, 0xff00000, v3
	v_lshrrev_b32_e32 v3, 20, v3
	s_delay_alu instid0(VALU_DEP_2) | instskip(NEXT) | instid1(VALU_DEP_2)
	v_cmp_ne_u32_e32 vcc_lo, 0x7f00000, v7
	v_cndmask_b32_e32 v3, 0x7e, v3, vcc_lo
; %bb.2742:
	s_and_not1_saveexec_b32 s5, s5
; %bb.2743:
	v_add_f32_e64 v3, 0x46800000, |v2|
; %bb.2744:
	s_or_b32 exec_lo, exec_lo, s5
                                        ; implicit-def: $vgpr7
.LBB86_2745:
	s_and_not1_saveexec_b32 s4, s4
; %bb.2746:
	v_mov_b32_e32 v3, 0x7f
	v_cmp_lt_u32_e32 vcc_lo, 0x7f800000, v7
	s_delay_alu instid0(VALU_DEP_2)
	v_cndmask_b32_e32 v3, 0x7e, v3, vcc_lo
; %bb.2747:
	s_or_b32 exec_lo, exec_lo, s4
	v_lshrrev_b32_e32 v2, 24, v2
	s_delay_alu instid0(VALU_DEP_1)
	v_and_or_b32 v2, 0x80, v2, v3
	global_store_b8 v[0:1], v2, off
.LBB86_2748:
	s_mov_b32 s4, 0
.LBB86_2749:
	s_delay_alu instid0(SALU_CYCLE_1)
	s_and_not1_b32 vcc_lo, exec_lo, s4
	s_cbranch_vccnz .LBB86_2759
; %bb.2750:
	s_wait_xcnt 0x0
	v_bfe_i32 v2, v5, 0, 16
	s_mov_b32 s4, exec_lo
                                        ; implicit-def: $vgpr3
	s_delay_alu instid0(VALU_DEP_1) | instskip(NEXT) | instid1(VALU_DEP_1)
	v_cvt_f32_i32_e32 v2, v2
	v_and_b32_e32 v7, 0x7fffffff, v2
	s_delay_alu instid0(VALU_DEP_1)
	v_cmpx_gt_u32_e32 0x47800000, v7
	s_xor_b32 s4, exec_lo, s4
	s_cbranch_execz .LBB86_2756
; %bb.2751:
	s_mov_b32 s5, exec_lo
                                        ; implicit-def: $vgpr3
	v_cmpx_lt_u32_e32 0x387fffff, v7
	s_xor_b32 s5, exec_lo, s5
; %bb.2752:
	v_bfe_u32 v3, v2, 21, 1
	s_delay_alu instid0(VALU_DEP_1) | instskip(NEXT) | instid1(VALU_DEP_1)
	v_add3_u32 v3, v2, v3, 0x80fffff
	v_lshrrev_b32_e32 v3, 21, v3
; %bb.2753:
	s_and_not1_saveexec_b32 s5, s5
; %bb.2754:
	v_add_f32_e64 v3, 0x43000000, |v2|
; %bb.2755:
	s_or_b32 exec_lo, exec_lo, s5
                                        ; implicit-def: $vgpr7
.LBB86_2756:
	s_and_not1_saveexec_b32 s4, s4
; %bb.2757:
	v_mov_b32_e32 v3, 0x7f
	v_cmp_lt_u32_e32 vcc_lo, 0x7f800000, v7
	s_delay_alu instid0(VALU_DEP_2)
	v_cndmask_b32_e32 v3, 0x7c, v3, vcc_lo
; %bb.2758:
	s_or_b32 exec_lo, exec_lo, s4
	v_lshrrev_b32_e32 v2, 24, v2
	s_delay_alu instid0(VALU_DEP_1)
	v_and_or_b32 v2, 0x80, v2, v3
	global_store_b8 v[0:1], v2, off
.LBB86_2759:
	s_mov_b32 s4, 0
	s_mov_b32 s5, -1
.LBB86_2760:
	s_and_not1_b32 vcc_lo, exec_lo, s4
	s_mov_b32 s4, 0
	s_cbranch_vccnz .LBB86_2767
; %bb.2761:
	s_cmp_gt_i32 s1, 14
	s_mov_b32 s4, -1
	s_cbranch_scc0 .LBB86_2765
; %bb.2762:
	s_cmp_eq_u32 s1, 15
	s_mov_b32 s0, -1
	s_cbranch_scc0 .LBB86_2764
; %bb.2763:
	s_wait_xcnt 0x0
	v_bfe_i32 v2, v5, 0, 16
	s_mov_b32 s0, 0
	s_mov_b32 s5, -1
	s_delay_alu instid0(VALU_DEP_1) | instskip(NEXT) | instid1(VALU_DEP_1)
	v_cvt_f32_i32_e32 v2, v2
	v_bfe_u32 v3, v2, 16, 1
	s_delay_alu instid0(VALU_DEP_1)
	v_add3_u32 v2, v2, v3, 0x7fff
	global_store_d16_hi_b16 v[0:1], v2, off
.LBB86_2764:
	s_mov_b32 s4, 0
.LBB86_2765:
	s_delay_alu instid0(SALU_CYCLE_1)
	s_and_b32 vcc_lo, exec_lo, s4
	s_mov_b32 s4, 0
	s_cbranch_vccz .LBB86_2767
; %bb.2766:
	s_cmp_lg_u32 s1, 11
	s_mov_b32 s4, -1
	s_cselect_b32 s0, -1, 0
.LBB86_2767:
	s_delay_alu instid0(SALU_CYCLE_1)
	s_and_b32 vcc_lo, exec_lo, s0
	s_cbranch_vccnz .LBB86_3175
; %bb.2768:
	s_and_not1_b32 vcc_lo, exec_lo, s4
	s_cbranch_vccnz .LBB86_2770
.LBB86_2769:
	v_cmp_ne_u16_e32 vcc_lo, 0, v5
	s_mov_b32 s5, -1
	s_wait_xcnt 0x0
	v_cndmask_b32_e64 v2, 0, 1, vcc_lo
	global_store_b8 v[0:1], v2, off
.LBB86_2770:
	s_mov_b32 s0, 0
	s_branch .LBB86_2772
.LBB86_2771:
	s_mov_b32 s0, -1
	s_mov_b32 s5, 0
.LBB86_2772:
	s_and_b32 vcc_lo, exec_lo, s0
	s_cbranch_vccz .LBB86_2811
; %bb.2773:
	s_and_b32 s0, 0xffff, s18
	s_mov_b32 s1, -1
	s_cmp_lt_i32 s0, 5
	s_cbranch_scc1 .LBB86_2794
; %bb.2774:
	s_cmp_lt_i32 s0, 8
	s_cbranch_scc1 .LBB86_2784
; %bb.2775:
	;; [unrolled: 3-line block ×3, first 2 shown]
	s_cmp_gt_i32 s0, 9
	s_cbranch_scc0 .LBB86_2778
; %bb.2777:
	s_wait_xcnt 0x0
	v_bfe_i32 v2, v5, 0, 16
	v_mov_b32_e32 v20, 0
	s_mov_b32 s1, 0
	s_delay_alu instid0(VALU_DEP_2) | instskip(NEXT) | instid1(VALU_DEP_2)
	v_cvt_f64_i32_e32 v[18:19], v2
	v_mov_b32_e32 v21, v20
	global_store_b128 v[0:1], v[18:21], off
.LBB86_2778:
	s_and_not1_b32 vcc_lo, exec_lo, s1
	s_cbranch_vccnz .LBB86_2780
; %bb.2779:
	s_wait_xcnt 0x0
	v_bfe_i32 v2, v5, 0, 16
	v_mov_b32_e32 v3, 0
	s_delay_alu instid0(VALU_DEP_2)
	v_cvt_f32_i32_e32 v2, v2
	global_store_b64 v[0:1], v[2:3], off
.LBB86_2780:
	s_mov_b32 s1, 0
.LBB86_2781:
	s_delay_alu instid0(SALU_CYCLE_1)
	s_and_not1_b32 vcc_lo, exec_lo, s1
	s_cbranch_vccnz .LBB86_2783
; %bb.2782:
	s_wait_xcnt 0x0
	v_cvt_f16_i16_e32 v2, v5
	s_delay_alu instid0(VALU_DEP_1)
	v_and_b32_e32 v2, 0xffff, v2
	global_store_b32 v[0:1], v2, off
.LBB86_2783:
	s_mov_b32 s1, 0
.LBB86_2784:
	s_delay_alu instid0(SALU_CYCLE_1)
	s_and_not1_b32 vcc_lo, exec_lo, s1
	s_cbranch_vccnz .LBB86_2793
; %bb.2785:
	s_cmp_lt_i32 s0, 6
	s_mov_b32 s1, -1
	s_cbranch_scc1 .LBB86_2791
; %bb.2786:
	s_cmp_gt_i32 s0, 6
	s_cbranch_scc0 .LBB86_2788
; %bb.2787:
	s_wait_xcnt 0x0
	v_bfe_i32 v2, v5, 0, 16
	s_mov_b32 s1, 0
	s_delay_alu instid0(VALU_DEP_1)
	v_cvt_f64_i32_e32 v[2:3], v2
	global_store_b64 v[0:1], v[2:3], off
.LBB86_2788:
	s_and_not1_b32 vcc_lo, exec_lo, s1
	s_cbranch_vccnz .LBB86_2790
; %bb.2789:
	s_wait_xcnt 0x0
	v_bfe_i32 v2, v5, 0, 16
	s_delay_alu instid0(VALU_DEP_1)
	v_cvt_f32_i32_e32 v2, v2
	global_store_b32 v[0:1], v2, off
.LBB86_2790:
	s_mov_b32 s1, 0
.LBB86_2791:
	s_delay_alu instid0(SALU_CYCLE_1)
	s_and_not1_b32 vcc_lo, exec_lo, s1
	s_cbranch_vccnz .LBB86_2793
; %bb.2792:
	s_wait_xcnt 0x0
	v_cvt_f16_i16_e32 v2, v5
	global_store_b16 v[0:1], v2, off
.LBB86_2793:
	s_mov_b32 s1, 0
.LBB86_2794:
	s_delay_alu instid0(SALU_CYCLE_1)
	s_and_not1_b32 vcc_lo, exec_lo, s1
	s_cbranch_vccnz .LBB86_2810
; %bb.2795:
	s_cmp_lt_i32 s0, 2
	s_mov_b32 s1, -1
	s_cbranch_scc1 .LBB86_2805
; %bb.2796:
	s_cmp_lt_i32 s0, 3
	s_cbranch_scc1 .LBB86_2802
; %bb.2797:
	s_wait_xcnt 0x0
	v_bfe_i32 v2, v5, 0, 16
	s_cmp_gt_i32 s0, 3
	s_cbranch_scc0 .LBB86_2799
; %bb.2798:
	s_delay_alu instid0(VALU_DEP_1)
	v_ashrrev_i32_e32 v3, 31, v2
	s_mov_b32 s1, 0
	global_store_b64 v[0:1], v[2:3], off
.LBB86_2799:
	s_and_not1_b32 vcc_lo, exec_lo, s1
	s_cbranch_vccnz .LBB86_2801
; %bb.2800:
	global_store_b32 v[0:1], v2, off
.LBB86_2801:
	s_mov_b32 s1, 0
.LBB86_2802:
	s_delay_alu instid0(SALU_CYCLE_1)
	s_and_not1_b32 vcc_lo, exec_lo, s1
	s_cbranch_vccnz .LBB86_2804
; %bb.2803:
	global_store_b16 v[0:1], v5, off
.LBB86_2804:
	s_mov_b32 s1, 0
.LBB86_2805:
	s_delay_alu instid0(SALU_CYCLE_1)
	s_and_not1_b32 vcc_lo, exec_lo, s1
	s_cbranch_vccnz .LBB86_2810
; %bb.2806:
	s_cmp_gt_i32 s0, 0
	s_mov_b32 s0, -1
	s_cbranch_scc0 .LBB86_2808
; %bb.2807:
	s_mov_b32 s0, 0
	global_store_b8 v[0:1], v5, off
.LBB86_2808:
	s_and_not1_b32 vcc_lo, exec_lo, s0
	s_cbranch_vccnz .LBB86_2810
; %bb.2809:
	global_store_b8 v[0:1], v5, off
.LBB86_2810:
	s_mov_b32 s5, -1
.LBB86_2811:
	s_delay_alu instid0(SALU_CYCLE_1)
	s_and_not1_b32 vcc_lo, exec_lo, s5
	s_cbranch_vccnz .LBB86_3126
; %bb.2812:
	s_lshl_b32 s1, s11, 7
	v_mul_lo_u16 v4, v4, s10
	s_wait_xcnt 0x0
	v_add_nc_u32_e32 v0, s1, v16
	s_cmp_lt_i32 s18, 11
	s_delay_alu instid0(VALU_DEP_1) | instskip(NEXT) | instid1(VALU_DEP_1)
	v_ashrrev_i32_e32 v1, 31, v0
	v_add_nc_u64_e32 v[2:3], s[2:3], v[0:1]
	v_mul_lo_u16 v1, v4, v6
	s_cbranch_scc1 .LBB86_2890
; %bb.2813:
	s_and_b32 s4, 0xffff, s18
	s_mov_b32 s7, -1
	s_mov_b32 s5, 0
	s_cmp_gt_i32 s4, 25
	s_mov_b32 s6, 0
	s_mov_b32 s0, 0
	s_cbranch_scc0 .LBB86_2846
; %bb.2814:
	s_cmp_gt_i32 s4, 28
	s_cbranch_scc0 .LBB86_2829
; %bb.2815:
	s_cmp_gt_i32 s4, 43
	;; [unrolled: 3-line block ×3, first 2 shown]
	s_cbranch_scc0 .LBB86_2819
; %bb.2817:
	s_mov_b32 s0, -1
	s_mov_b32 s7, 0
	s_cmp_eq_u32 s4, 46
	s_cbranch_scc0 .LBB86_2819
; %bb.2818:
	v_bfe_i32 v4, v1, 0, 16
	s_mov_b32 s0, 0
	s_mov_b32 s6, -1
	s_delay_alu instid0(VALU_DEP_1) | instskip(NEXT) | instid1(VALU_DEP_1)
	v_cvt_f32_i32_e32 v4, v4
	v_bfe_u32 v5, v4, 16, 1
	s_delay_alu instid0(VALU_DEP_1) | instskip(NEXT) | instid1(VALU_DEP_1)
	v_add3_u32 v4, v4, v5, 0x7fff
	v_lshrrev_b32_e32 v4, 16, v4
	global_store_b32 v[2:3], v4, off
.LBB86_2819:
	s_and_b32 vcc_lo, exec_lo, s7
	s_cbranch_vccz .LBB86_2824
; %bb.2820:
	s_cmp_eq_u32 s4, 44
	s_mov_b32 s0, -1
	s_cbranch_scc0 .LBB86_2824
; %bb.2821:
	s_wait_xcnt 0x0
	v_bfe_i32 v4, v1, 0, 16
	v_mov_b32_e32 v5, 0xff
	s_mov_b32 s6, exec_lo
	s_delay_alu instid0(VALU_DEP_2) | instskip(NEXT) | instid1(VALU_DEP_1)
	v_cvt_f32_i32_e32 v4, v4
	v_bfe_u32 v6, v4, 23, 8
	s_delay_alu instid0(VALU_DEP_1)
	v_cmpx_ne_u32_e32 0xff, v6
	s_cbranch_execz .LBB86_2823
; %bb.2822:
	v_and_b32_e32 v5, 0x400000, v4
	v_and_or_b32 v6, 0x3fffff, v4, v6
	v_lshrrev_b32_e32 v4, 23, v4
	s_delay_alu instid0(VALU_DEP_3) | instskip(NEXT) | instid1(VALU_DEP_3)
	v_cmp_ne_u32_e32 vcc_lo, 0, v5
	v_cmp_ne_u32_e64 s0, 0, v6
	s_and_b32 s0, vcc_lo, s0
	s_delay_alu instid0(SALU_CYCLE_1) | instskip(NEXT) | instid1(VALU_DEP_1)
	v_cndmask_b32_e64 v5, 0, 1, s0
	v_add_nc_u32_e32 v5, v4, v5
.LBB86_2823:
	s_or_b32 exec_lo, exec_lo, s6
	s_mov_b32 s0, 0
	s_mov_b32 s6, -1
	global_store_b8 v[2:3], v5, off
.LBB86_2824:
	s_mov_b32 s7, 0
.LBB86_2825:
	s_delay_alu instid0(SALU_CYCLE_1)
	s_and_b32 vcc_lo, exec_lo, s7
	s_cbranch_vccz .LBB86_2828
; %bb.2826:
	s_cmp_eq_u32 s4, 29
	s_mov_b32 s0, -1
	s_cbranch_scc0 .LBB86_2828
; %bb.2827:
	s_wait_xcnt 0x0
	v_bfe_i32 v4, v1, 0, 16
	s_mov_b32 s0, 0
	s_mov_b32 s6, -1
	s_delay_alu instid0(VALU_DEP_1)
	v_ashrrev_i32_e32 v5, 31, v4
	global_store_b64 v[2:3], v[4:5], off
.LBB86_2828:
	s_mov_b32 s7, 0
.LBB86_2829:
	s_delay_alu instid0(SALU_CYCLE_1)
	s_and_b32 vcc_lo, exec_lo, s7
	s_cbranch_vccz .LBB86_2845
; %bb.2830:
	s_cmp_lt_i32 s4, 27
	s_mov_b32 s6, -1
	s_cbranch_scc1 .LBB86_2836
; %bb.2831:
	s_cmp_gt_i32 s4, 27
	s_cbranch_scc0 .LBB86_2833
; %bb.2832:
	s_wait_xcnt 0x0
	v_bfe_i32 v4, v1, 0, 16
	s_mov_b32 s6, 0
	global_store_b32 v[2:3], v4, off
.LBB86_2833:
	s_and_not1_b32 vcc_lo, exec_lo, s6
	s_cbranch_vccnz .LBB86_2835
; %bb.2834:
	global_store_b16 v[2:3], v1, off
.LBB86_2835:
	s_mov_b32 s6, 0
.LBB86_2836:
	s_delay_alu instid0(SALU_CYCLE_1)
	s_and_not1_b32 vcc_lo, exec_lo, s6
	s_cbranch_vccnz .LBB86_2844
; %bb.2837:
	s_wait_xcnt 0x0
	v_bfe_i32 v4, v1, 0, 16
	v_mov_b32_e32 v6, 0x80
	s_mov_b32 s6, exec_lo
	s_delay_alu instid0(VALU_DEP_2) | instskip(NEXT) | instid1(VALU_DEP_1)
	v_cvt_f32_i32_e32 v4, v4
	v_and_b32_e32 v5, 0x7fffffff, v4
	s_delay_alu instid0(VALU_DEP_1)
	v_cmpx_gt_u32_e32 0x43800000, v5
	s_cbranch_execz .LBB86_2843
; %bb.2838:
	v_cmp_lt_u32_e32 vcc_lo, 0x3bffffff, v5
	s_mov_b32 s7, 0
                                        ; implicit-def: $vgpr5
	s_and_saveexec_b32 s8, vcc_lo
	s_delay_alu instid0(SALU_CYCLE_1)
	s_xor_b32 s8, exec_lo, s8
	s_cbranch_execz .LBB86_3178
; %bb.2839:
	v_bfe_u32 v5, v4, 20, 1
	s_mov_b32 s7, exec_lo
	s_delay_alu instid0(VALU_DEP_1) | instskip(NEXT) | instid1(VALU_DEP_1)
	v_add3_u32 v5, v4, v5, 0x487ffff
	v_lshrrev_b32_e32 v5, 20, v5
	s_and_not1_saveexec_b32 s8, s8
	s_cbranch_execnz .LBB86_3179
.LBB86_2840:
	s_or_b32 exec_lo, exec_lo, s8
	v_mov_b32_e32 v6, 0
	s_and_saveexec_b32 s8, s7
.LBB86_2841:
	v_lshrrev_b32_e32 v4, 24, v4
	s_delay_alu instid0(VALU_DEP_1)
	v_and_or_b32 v6, 0x80, v4, v5
.LBB86_2842:
	s_or_b32 exec_lo, exec_lo, s8
.LBB86_2843:
	s_delay_alu instid0(SALU_CYCLE_1)
	s_or_b32 exec_lo, exec_lo, s6
	global_store_b8 v[2:3], v6, off
.LBB86_2844:
	s_mov_b32 s6, -1
.LBB86_2845:
	s_mov_b32 s7, 0
.LBB86_2846:
	s_delay_alu instid0(SALU_CYCLE_1)
	s_and_b32 vcc_lo, exec_lo, s7
	s_cbranch_vccz .LBB86_2886
; %bb.2847:
	s_cmp_gt_i32 s4, 22
	s_mov_b32 s5, -1
	s_cbranch_scc0 .LBB86_2879
; %bb.2848:
	s_cmp_lt_i32 s4, 24
	s_cbranch_scc1 .LBB86_2868
; %bb.2849:
	s_cmp_gt_i32 s4, 24
	s_cbranch_scc0 .LBB86_2857
; %bb.2850:
	s_wait_xcnt 0x0
	v_bfe_i32 v4, v1, 0, 16
	v_mov_b32_e32 v6, 0x80
	s_mov_b32 s5, exec_lo
	s_delay_alu instid0(VALU_DEP_2) | instskip(NEXT) | instid1(VALU_DEP_1)
	v_cvt_f32_i32_e32 v4, v4
	v_and_b32_e32 v5, 0x7fffffff, v4
	s_delay_alu instid0(VALU_DEP_1)
	v_cmpx_gt_u32_e32 0x47800000, v5
	s_cbranch_execz .LBB86_2856
; %bb.2851:
	v_cmp_lt_u32_e32 vcc_lo, 0x37ffffff, v5
	s_mov_b32 s6, 0
                                        ; implicit-def: $vgpr5
	s_and_saveexec_b32 s7, vcc_lo
	s_delay_alu instid0(SALU_CYCLE_1)
	s_xor_b32 s7, exec_lo, s7
	s_cbranch_execz .LBB86_3181
; %bb.2852:
	v_bfe_u32 v5, v4, 21, 1
	s_mov_b32 s6, exec_lo
	s_delay_alu instid0(VALU_DEP_1) | instskip(NEXT) | instid1(VALU_DEP_1)
	v_add3_u32 v5, v4, v5, 0x88fffff
	v_lshrrev_b32_e32 v5, 21, v5
	s_and_not1_saveexec_b32 s7, s7
	s_cbranch_execnz .LBB86_3182
.LBB86_2853:
	s_or_b32 exec_lo, exec_lo, s7
	v_mov_b32_e32 v6, 0
	s_and_saveexec_b32 s7, s6
.LBB86_2854:
	v_lshrrev_b32_e32 v4, 24, v4
	s_delay_alu instid0(VALU_DEP_1)
	v_and_or_b32 v6, 0x80, v4, v5
.LBB86_2855:
	s_or_b32 exec_lo, exec_lo, s7
.LBB86_2856:
	s_delay_alu instid0(SALU_CYCLE_1)
	s_or_b32 exec_lo, exec_lo, s5
	s_mov_b32 s5, 0
	global_store_b8 v[2:3], v6, off
.LBB86_2857:
	s_and_b32 vcc_lo, exec_lo, s5
	s_cbranch_vccz .LBB86_2867
; %bb.2858:
	s_wait_xcnt 0x0
	v_bfe_i32 v4, v1, 0, 16
	s_mov_b32 s5, exec_lo
                                        ; implicit-def: $vgpr5
	s_delay_alu instid0(VALU_DEP_1) | instskip(NEXT) | instid1(VALU_DEP_1)
	v_cvt_f32_i32_e32 v4, v4
	v_and_b32_e32 v6, 0x7fffffff, v4
	s_delay_alu instid0(VALU_DEP_1)
	v_cmpx_gt_u32_e32 0x43f00000, v6
	s_xor_b32 s5, exec_lo, s5
	s_cbranch_execz .LBB86_2864
; %bb.2859:
	s_mov_b32 s6, exec_lo
                                        ; implicit-def: $vgpr5
	v_cmpx_lt_u32_e32 0x3c7fffff, v6
	s_xor_b32 s6, exec_lo, s6
; %bb.2860:
	v_bfe_u32 v5, v4, 20, 1
	s_delay_alu instid0(VALU_DEP_1) | instskip(NEXT) | instid1(VALU_DEP_1)
	v_add3_u32 v5, v4, v5, 0x407ffff
	v_and_b32_e32 v6, 0xff00000, v5
	v_lshrrev_b32_e32 v5, 20, v5
	s_delay_alu instid0(VALU_DEP_2) | instskip(NEXT) | instid1(VALU_DEP_2)
	v_cmp_ne_u32_e32 vcc_lo, 0x7f00000, v6
	v_cndmask_b32_e32 v5, 0x7e, v5, vcc_lo
; %bb.2861:
	s_and_not1_saveexec_b32 s6, s6
; %bb.2862:
	v_add_f32_e64 v5, 0x46800000, |v4|
; %bb.2863:
	s_or_b32 exec_lo, exec_lo, s6
                                        ; implicit-def: $vgpr6
.LBB86_2864:
	s_and_not1_saveexec_b32 s5, s5
; %bb.2865:
	v_mov_b32_e32 v5, 0x7f
	v_cmp_lt_u32_e32 vcc_lo, 0x7f800000, v6
	s_delay_alu instid0(VALU_DEP_2)
	v_cndmask_b32_e32 v5, 0x7e, v5, vcc_lo
; %bb.2866:
	s_or_b32 exec_lo, exec_lo, s5
	v_lshrrev_b32_e32 v4, 24, v4
	s_delay_alu instid0(VALU_DEP_1)
	v_and_or_b32 v4, 0x80, v4, v5
	global_store_b8 v[2:3], v4, off
.LBB86_2867:
	s_mov_b32 s5, 0
.LBB86_2868:
	s_delay_alu instid0(SALU_CYCLE_1)
	s_and_not1_b32 vcc_lo, exec_lo, s5
	s_cbranch_vccnz .LBB86_2878
; %bb.2869:
	s_wait_xcnt 0x0
	v_bfe_i32 v4, v1, 0, 16
	s_mov_b32 s5, exec_lo
                                        ; implicit-def: $vgpr5
	s_delay_alu instid0(VALU_DEP_1) | instskip(NEXT) | instid1(VALU_DEP_1)
	v_cvt_f32_i32_e32 v4, v4
	v_and_b32_e32 v6, 0x7fffffff, v4
	s_delay_alu instid0(VALU_DEP_1)
	v_cmpx_gt_u32_e32 0x47800000, v6
	s_xor_b32 s5, exec_lo, s5
	s_cbranch_execz .LBB86_2875
; %bb.2870:
	s_mov_b32 s6, exec_lo
                                        ; implicit-def: $vgpr5
	v_cmpx_lt_u32_e32 0x387fffff, v6
	s_xor_b32 s6, exec_lo, s6
; %bb.2871:
	v_bfe_u32 v5, v4, 21, 1
	s_delay_alu instid0(VALU_DEP_1) | instskip(NEXT) | instid1(VALU_DEP_1)
	v_add3_u32 v5, v4, v5, 0x80fffff
	v_lshrrev_b32_e32 v5, 21, v5
; %bb.2872:
	s_and_not1_saveexec_b32 s6, s6
; %bb.2873:
	v_add_f32_e64 v5, 0x43000000, |v4|
; %bb.2874:
	s_or_b32 exec_lo, exec_lo, s6
                                        ; implicit-def: $vgpr6
.LBB86_2875:
	s_and_not1_saveexec_b32 s5, s5
; %bb.2876:
	v_mov_b32_e32 v5, 0x7f
	v_cmp_lt_u32_e32 vcc_lo, 0x7f800000, v6
	s_delay_alu instid0(VALU_DEP_2)
	v_cndmask_b32_e32 v5, 0x7c, v5, vcc_lo
; %bb.2877:
	s_or_b32 exec_lo, exec_lo, s5
	v_lshrrev_b32_e32 v4, 24, v4
	s_delay_alu instid0(VALU_DEP_1)
	v_and_or_b32 v4, 0x80, v4, v5
	global_store_b8 v[2:3], v4, off
.LBB86_2878:
	s_mov_b32 s5, 0
	s_mov_b32 s6, -1
.LBB86_2879:
	s_and_not1_b32 vcc_lo, exec_lo, s5
	s_mov_b32 s5, 0
	s_cbranch_vccnz .LBB86_2886
; %bb.2880:
	s_cmp_gt_i32 s4, 14
	s_mov_b32 s5, -1
	s_cbranch_scc0 .LBB86_2884
; %bb.2881:
	s_cmp_eq_u32 s4, 15
	s_mov_b32 s0, -1
	s_cbranch_scc0 .LBB86_2883
; %bb.2882:
	s_wait_xcnt 0x0
	v_bfe_i32 v4, v1, 0, 16
	s_mov_b32 s0, 0
	s_mov_b32 s6, -1
	s_delay_alu instid0(VALU_DEP_1) | instskip(NEXT) | instid1(VALU_DEP_1)
	v_cvt_f32_i32_e32 v4, v4
	v_bfe_u32 v5, v4, 16, 1
	s_delay_alu instid0(VALU_DEP_1)
	v_add3_u32 v4, v4, v5, 0x7fff
	global_store_d16_hi_b16 v[2:3], v4, off
.LBB86_2883:
	s_mov_b32 s5, 0
.LBB86_2884:
	s_delay_alu instid0(SALU_CYCLE_1)
	s_and_b32 vcc_lo, exec_lo, s5
	s_mov_b32 s5, 0
	s_cbranch_vccz .LBB86_2886
; %bb.2885:
	s_cmp_lg_u32 s4, 11
	s_mov_b32 s5, -1
	s_cselect_b32 s0, -1, 0
.LBB86_2886:
	s_delay_alu instid0(SALU_CYCLE_1)
	s_and_b32 vcc_lo, exec_lo, s0
	s_cbranch_vccnz .LBB86_3180
; %bb.2887:
	s_and_not1_b32 vcc_lo, exec_lo, s5
	s_cbranch_vccnz .LBB86_2889
.LBB86_2888:
	v_cmp_ne_u16_e32 vcc_lo, 0, v1
	s_mov_b32 s6, -1
	s_wait_xcnt 0x0
	v_cndmask_b32_e64 v4, 0, 1, vcc_lo
	global_store_b8 v[2:3], v4, off
.LBB86_2889:
	s_mov_b32 s0, 0
	s_branch .LBB86_2891
.LBB86_2890:
	s_mov_b32 s0, -1
	s_mov_b32 s6, 0
.LBB86_2891:
	s_and_b32 vcc_lo, exec_lo, s0
	s_cbranch_vccz .LBB86_2930
; %bb.2892:
	s_and_b32 s0, 0xffff, s18
	s_mov_b32 s4, -1
	s_cmp_lt_i32 s0, 5
	s_cbranch_scc1 .LBB86_2913
; %bb.2893:
	s_cmp_lt_i32 s0, 8
	s_cbranch_scc1 .LBB86_2903
; %bb.2894:
	;; [unrolled: 3-line block ×3, first 2 shown]
	s_cmp_gt_i32 s0, 9
	s_cbranch_scc0 .LBB86_2897
; %bb.2896:
	s_wait_xcnt 0x0
	v_bfe_i32 v4, v1, 0, 16
	v_mov_b32_e32 v6, 0
	s_mov_b32 s4, 0
	s_delay_alu instid0(VALU_DEP_2) | instskip(NEXT) | instid1(VALU_DEP_2)
	v_cvt_f64_i32_e32 v[4:5], v4
	v_mov_b32_e32 v7, v6
	global_store_b128 v[2:3], v[4:7], off
.LBB86_2897:
	s_and_not1_b32 vcc_lo, exec_lo, s4
	s_cbranch_vccnz .LBB86_2899
; %bb.2898:
	s_wait_xcnt 0x0
	v_bfe_i32 v4, v1, 0, 16
	v_mov_b32_e32 v5, 0
	s_delay_alu instid0(VALU_DEP_2)
	v_cvt_f32_i32_e32 v4, v4
	global_store_b64 v[2:3], v[4:5], off
.LBB86_2899:
	s_mov_b32 s4, 0
.LBB86_2900:
	s_delay_alu instid0(SALU_CYCLE_1)
	s_and_not1_b32 vcc_lo, exec_lo, s4
	s_cbranch_vccnz .LBB86_2902
; %bb.2901:
	s_wait_xcnt 0x0
	v_cvt_f16_i16_e32 v4, v1
	s_delay_alu instid0(VALU_DEP_1)
	v_and_b32_e32 v4, 0xffff, v4
	global_store_b32 v[2:3], v4, off
.LBB86_2902:
	s_mov_b32 s4, 0
.LBB86_2903:
	s_delay_alu instid0(SALU_CYCLE_1)
	s_and_not1_b32 vcc_lo, exec_lo, s4
	s_cbranch_vccnz .LBB86_2912
; %bb.2904:
	s_cmp_lt_i32 s0, 6
	s_mov_b32 s4, -1
	s_cbranch_scc1 .LBB86_2910
; %bb.2905:
	s_cmp_gt_i32 s0, 6
	s_cbranch_scc0 .LBB86_2907
; %bb.2906:
	s_wait_xcnt 0x0
	v_bfe_i32 v4, v1, 0, 16
	s_mov_b32 s4, 0
	s_delay_alu instid0(VALU_DEP_1)
	v_cvt_f64_i32_e32 v[4:5], v4
	global_store_b64 v[2:3], v[4:5], off
.LBB86_2907:
	s_and_not1_b32 vcc_lo, exec_lo, s4
	s_cbranch_vccnz .LBB86_2909
; %bb.2908:
	s_wait_xcnt 0x0
	v_bfe_i32 v4, v1, 0, 16
	s_delay_alu instid0(VALU_DEP_1)
	v_cvt_f32_i32_e32 v4, v4
	global_store_b32 v[2:3], v4, off
.LBB86_2909:
	s_mov_b32 s4, 0
.LBB86_2910:
	s_delay_alu instid0(SALU_CYCLE_1)
	s_and_not1_b32 vcc_lo, exec_lo, s4
	s_cbranch_vccnz .LBB86_2912
; %bb.2911:
	s_wait_xcnt 0x0
	v_cvt_f16_i16_e32 v4, v1
	global_store_b16 v[2:3], v4, off
.LBB86_2912:
	s_mov_b32 s4, 0
.LBB86_2913:
	s_delay_alu instid0(SALU_CYCLE_1)
	s_and_not1_b32 vcc_lo, exec_lo, s4
	s_cbranch_vccnz .LBB86_2929
; %bb.2914:
	s_cmp_lt_i32 s0, 2
	s_mov_b32 s4, -1
	s_cbranch_scc1 .LBB86_2924
; %bb.2915:
	s_cmp_lt_i32 s0, 3
	s_cbranch_scc1 .LBB86_2921
; %bb.2916:
	s_wait_xcnt 0x0
	v_bfe_i32 v4, v1, 0, 16
	s_cmp_gt_i32 s0, 3
	s_cbranch_scc0 .LBB86_2918
; %bb.2917:
	s_delay_alu instid0(VALU_DEP_1)
	v_ashrrev_i32_e32 v5, 31, v4
	s_mov_b32 s4, 0
	global_store_b64 v[2:3], v[4:5], off
.LBB86_2918:
	s_and_not1_b32 vcc_lo, exec_lo, s4
	s_cbranch_vccnz .LBB86_2920
; %bb.2919:
	global_store_b32 v[2:3], v4, off
.LBB86_2920:
	s_mov_b32 s4, 0
.LBB86_2921:
	s_delay_alu instid0(SALU_CYCLE_1)
	s_and_not1_b32 vcc_lo, exec_lo, s4
	s_cbranch_vccnz .LBB86_2923
; %bb.2922:
	global_store_b16 v[2:3], v1, off
.LBB86_2923:
	s_mov_b32 s4, 0
.LBB86_2924:
	s_delay_alu instid0(SALU_CYCLE_1)
	s_and_not1_b32 vcc_lo, exec_lo, s4
	s_cbranch_vccnz .LBB86_2929
; %bb.2925:
	s_cmp_gt_i32 s0, 0
	s_mov_b32 s0, -1
	s_cbranch_scc0 .LBB86_2927
; %bb.2926:
	s_mov_b32 s0, 0
	global_store_b8 v[2:3], v1, off
.LBB86_2927:
	s_and_not1_b32 vcc_lo, exec_lo, s0
	s_cbranch_vccnz .LBB86_2929
; %bb.2928:
	global_store_b8 v[2:3], v1, off
.LBB86_2929:
	s_mov_b32 s6, -1
.LBB86_2930:
	s_delay_alu instid0(SALU_CYCLE_1)
	s_and_not1_b32 vcc_lo, exec_lo, s6
	s_cbranch_vccnz .LBB86_3126
; %bb.2931:
	v_add_nc_u32_e32 v0, s1, v0
	s_wait_xcnt 0x0
	v_mul_lo_u16 v4, v8, s10
	s_cmp_lt_i32 s18, 11
	s_delay_alu instid0(VALU_DEP_2) | instskip(NEXT) | instid1(VALU_DEP_1)
	v_ashrrev_i32_e32 v1, 31, v0
	v_add_nc_u64_e32 v[2:3], s[2:3], v[0:1]
	s_delay_alu instid0(VALU_DEP_3)
	v_mul_lo_u16 v1, v4, v10
	s_cbranch_scc1 .LBB86_3009
; %bb.2932:
	s_and_b32 s4, 0xffff, s18
	s_mov_b32 s7, -1
	s_mov_b32 s5, 0
	s_cmp_gt_i32 s4, 25
	s_mov_b32 s6, 0
	s_mov_b32 s0, 0
	s_cbranch_scc0 .LBB86_2965
; %bb.2933:
	s_cmp_gt_i32 s4, 28
	s_cbranch_scc0 .LBB86_2948
; %bb.2934:
	s_cmp_gt_i32 s4, 43
	;; [unrolled: 3-line block ×3, first 2 shown]
	s_cbranch_scc0 .LBB86_2938
; %bb.2936:
	s_mov_b32 s0, -1
	s_mov_b32 s7, 0
	s_cmp_eq_u32 s4, 46
	s_cbranch_scc0 .LBB86_2938
; %bb.2937:
	v_bfe_i32 v4, v1, 0, 16
	s_mov_b32 s0, 0
	s_mov_b32 s6, -1
	s_delay_alu instid0(VALU_DEP_1) | instskip(NEXT) | instid1(VALU_DEP_1)
	v_cvt_f32_i32_e32 v4, v4
	v_bfe_u32 v5, v4, 16, 1
	s_delay_alu instid0(VALU_DEP_1) | instskip(NEXT) | instid1(VALU_DEP_1)
	v_add3_u32 v4, v4, v5, 0x7fff
	v_lshrrev_b32_e32 v4, 16, v4
	global_store_b32 v[2:3], v4, off
.LBB86_2938:
	s_and_b32 vcc_lo, exec_lo, s7
	s_cbranch_vccz .LBB86_2943
; %bb.2939:
	s_cmp_eq_u32 s4, 44
	s_mov_b32 s0, -1
	s_cbranch_scc0 .LBB86_2943
; %bb.2940:
	s_wait_xcnt 0x0
	v_bfe_i32 v4, v1, 0, 16
	v_mov_b32_e32 v5, 0xff
	s_mov_b32 s6, exec_lo
	s_delay_alu instid0(VALU_DEP_2) | instskip(NEXT) | instid1(VALU_DEP_1)
	v_cvt_f32_i32_e32 v4, v4
	v_bfe_u32 v6, v4, 23, 8
	s_delay_alu instid0(VALU_DEP_1)
	v_cmpx_ne_u32_e32 0xff, v6
	s_cbranch_execz .LBB86_2942
; %bb.2941:
	v_and_b32_e32 v5, 0x400000, v4
	v_and_or_b32 v6, 0x3fffff, v4, v6
	v_lshrrev_b32_e32 v4, 23, v4
	s_delay_alu instid0(VALU_DEP_3) | instskip(NEXT) | instid1(VALU_DEP_3)
	v_cmp_ne_u32_e32 vcc_lo, 0, v5
	v_cmp_ne_u32_e64 s0, 0, v6
	s_and_b32 s0, vcc_lo, s0
	s_delay_alu instid0(SALU_CYCLE_1) | instskip(NEXT) | instid1(VALU_DEP_1)
	v_cndmask_b32_e64 v5, 0, 1, s0
	v_add_nc_u32_e32 v5, v4, v5
.LBB86_2942:
	s_or_b32 exec_lo, exec_lo, s6
	s_mov_b32 s0, 0
	s_mov_b32 s6, -1
	global_store_b8 v[2:3], v5, off
.LBB86_2943:
	s_mov_b32 s7, 0
.LBB86_2944:
	s_delay_alu instid0(SALU_CYCLE_1)
	s_and_b32 vcc_lo, exec_lo, s7
	s_cbranch_vccz .LBB86_2947
; %bb.2945:
	s_cmp_eq_u32 s4, 29
	s_mov_b32 s0, -1
	s_cbranch_scc0 .LBB86_2947
; %bb.2946:
	s_wait_xcnt 0x0
	v_bfe_i32 v4, v1, 0, 16
	s_mov_b32 s0, 0
	s_mov_b32 s6, -1
	s_delay_alu instid0(VALU_DEP_1)
	v_ashrrev_i32_e32 v5, 31, v4
	global_store_b64 v[2:3], v[4:5], off
.LBB86_2947:
	s_mov_b32 s7, 0
.LBB86_2948:
	s_delay_alu instid0(SALU_CYCLE_1)
	s_and_b32 vcc_lo, exec_lo, s7
	s_cbranch_vccz .LBB86_2964
; %bb.2949:
	s_cmp_lt_i32 s4, 27
	s_mov_b32 s6, -1
	s_cbranch_scc1 .LBB86_2955
; %bb.2950:
	s_cmp_gt_i32 s4, 27
	s_cbranch_scc0 .LBB86_2952
; %bb.2951:
	s_wait_xcnt 0x0
	v_bfe_i32 v4, v1, 0, 16
	s_mov_b32 s6, 0
	global_store_b32 v[2:3], v4, off
.LBB86_2952:
	s_and_not1_b32 vcc_lo, exec_lo, s6
	s_cbranch_vccnz .LBB86_2954
; %bb.2953:
	global_store_b16 v[2:3], v1, off
.LBB86_2954:
	s_mov_b32 s6, 0
.LBB86_2955:
	s_delay_alu instid0(SALU_CYCLE_1)
	s_and_not1_b32 vcc_lo, exec_lo, s6
	s_cbranch_vccnz .LBB86_2963
; %bb.2956:
	s_wait_xcnt 0x0
	v_bfe_i32 v4, v1, 0, 16
	v_mov_b32_e32 v6, 0x80
	s_mov_b32 s6, exec_lo
	s_delay_alu instid0(VALU_DEP_2) | instskip(NEXT) | instid1(VALU_DEP_1)
	v_cvt_f32_i32_e32 v4, v4
	v_and_b32_e32 v5, 0x7fffffff, v4
	s_delay_alu instid0(VALU_DEP_1)
	v_cmpx_gt_u32_e32 0x43800000, v5
	s_cbranch_execz .LBB86_2962
; %bb.2957:
	v_cmp_lt_u32_e32 vcc_lo, 0x3bffffff, v5
	s_mov_b32 s7, 0
                                        ; implicit-def: $vgpr5
	s_and_saveexec_b32 s8, vcc_lo
	s_delay_alu instid0(SALU_CYCLE_1)
	s_xor_b32 s8, exec_lo, s8
	s_cbranch_execz .LBB86_3183
; %bb.2958:
	v_bfe_u32 v5, v4, 20, 1
	s_mov_b32 s7, exec_lo
	s_delay_alu instid0(VALU_DEP_1) | instskip(NEXT) | instid1(VALU_DEP_1)
	v_add3_u32 v5, v4, v5, 0x487ffff
	v_lshrrev_b32_e32 v5, 20, v5
	s_and_not1_saveexec_b32 s8, s8
	s_cbranch_execnz .LBB86_3184
.LBB86_2959:
	s_or_b32 exec_lo, exec_lo, s8
	v_mov_b32_e32 v6, 0
	s_and_saveexec_b32 s8, s7
.LBB86_2960:
	v_lshrrev_b32_e32 v4, 24, v4
	s_delay_alu instid0(VALU_DEP_1)
	v_and_or_b32 v6, 0x80, v4, v5
.LBB86_2961:
	s_or_b32 exec_lo, exec_lo, s8
.LBB86_2962:
	s_delay_alu instid0(SALU_CYCLE_1)
	s_or_b32 exec_lo, exec_lo, s6
	global_store_b8 v[2:3], v6, off
.LBB86_2963:
	s_mov_b32 s6, -1
.LBB86_2964:
	s_mov_b32 s7, 0
.LBB86_2965:
	s_delay_alu instid0(SALU_CYCLE_1)
	s_and_b32 vcc_lo, exec_lo, s7
	s_cbranch_vccz .LBB86_3005
; %bb.2966:
	s_cmp_gt_i32 s4, 22
	s_mov_b32 s5, -1
	s_cbranch_scc0 .LBB86_2998
; %bb.2967:
	s_cmp_lt_i32 s4, 24
	s_cbranch_scc1 .LBB86_2987
; %bb.2968:
	s_cmp_gt_i32 s4, 24
	s_cbranch_scc0 .LBB86_2976
; %bb.2969:
	s_wait_xcnt 0x0
	v_bfe_i32 v4, v1, 0, 16
	v_mov_b32_e32 v6, 0x80
	s_mov_b32 s5, exec_lo
	s_delay_alu instid0(VALU_DEP_2) | instskip(NEXT) | instid1(VALU_DEP_1)
	v_cvt_f32_i32_e32 v4, v4
	v_and_b32_e32 v5, 0x7fffffff, v4
	s_delay_alu instid0(VALU_DEP_1)
	v_cmpx_gt_u32_e32 0x47800000, v5
	s_cbranch_execz .LBB86_2975
; %bb.2970:
	v_cmp_lt_u32_e32 vcc_lo, 0x37ffffff, v5
	s_mov_b32 s6, 0
                                        ; implicit-def: $vgpr5
	s_and_saveexec_b32 s7, vcc_lo
	s_delay_alu instid0(SALU_CYCLE_1)
	s_xor_b32 s7, exec_lo, s7
	s_cbranch_execz .LBB86_3186
; %bb.2971:
	v_bfe_u32 v5, v4, 21, 1
	s_mov_b32 s6, exec_lo
	s_delay_alu instid0(VALU_DEP_1) | instskip(NEXT) | instid1(VALU_DEP_1)
	v_add3_u32 v5, v4, v5, 0x88fffff
	v_lshrrev_b32_e32 v5, 21, v5
	s_and_not1_saveexec_b32 s7, s7
	s_cbranch_execnz .LBB86_3187
.LBB86_2972:
	s_or_b32 exec_lo, exec_lo, s7
	v_mov_b32_e32 v6, 0
	s_and_saveexec_b32 s7, s6
.LBB86_2973:
	v_lshrrev_b32_e32 v4, 24, v4
	s_delay_alu instid0(VALU_DEP_1)
	v_and_or_b32 v6, 0x80, v4, v5
.LBB86_2974:
	s_or_b32 exec_lo, exec_lo, s7
.LBB86_2975:
	s_delay_alu instid0(SALU_CYCLE_1)
	s_or_b32 exec_lo, exec_lo, s5
	s_mov_b32 s5, 0
	global_store_b8 v[2:3], v6, off
.LBB86_2976:
	s_and_b32 vcc_lo, exec_lo, s5
	s_cbranch_vccz .LBB86_2986
; %bb.2977:
	s_wait_xcnt 0x0
	v_bfe_i32 v4, v1, 0, 16
	s_mov_b32 s5, exec_lo
                                        ; implicit-def: $vgpr5
	s_delay_alu instid0(VALU_DEP_1) | instskip(NEXT) | instid1(VALU_DEP_1)
	v_cvt_f32_i32_e32 v4, v4
	v_and_b32_e32 v6, 0x7fffffff, v4
	s_delay_alu instid0(VALU_DEP_1)
	v_cmpx_gt_u32_e32 0x43f00000, v6
	s_xor_b32 s5, exec_lo, s5
	s_cbranch_execz .LBB86_2983
; %bb.2978:
	s_mov_b32 s6, exec_lo
                                        ; implicit-def: $vgpr5
	v_cmpx_lt_u32_e32 0x3c7fffff, v6
	s_xor_b32 s6, exec_lo, s6
; %bb.2979:
	v_bfe_u32 v5, v4, 20, 1
	s_delay_alu instid0(VALU_DEP_1) | instskip(NEXT) | instid1(VALU_DEP_1)
	v_add3_u32 v5, v4, v5, 0x407ffff
	v_and_b32_e32 v6, 0xff00000, v5
	v_lshrrev_b32_e32 v5, 20, v5
	s_delay_alu instid0(VALU_DEP_2) | instskip(NEXT) | instid1(VALU_DEP_2)
	v_cmp_ne_u32_e32 vcc_lo, 0x7f00000, v6
	v_cndmask_b32_e32 v5, 0x7e, v5, vcc_lo
; %bb.2980:
	s_and_not1_saveexec_b32 s6, s6
; %bb.2981:
	v_add_f32_e64 v5, 0x46800000, |v4|
; %bb.2982:
	s_or_b32 exec_lo, exec_lo, s6
                                        ; implicit-def: $vgpr6
.LBB86_2983:
	s_and_not1_saveexec_b32 s5, s5
; %bb.2984:
	v_mov_b32_e32 v5, 0x7f
	v_cmp_lt_u32_e32 vcc_lo, 0x7f800000, v6
	s_delay_alu instid0(VALU_DEP_2)
	v_cndmask_b32_e32 v5, 0x7e, v5, vcc_lo
; %bb.2985:
	s_or_b32 exec_lo, exec_lo, s5
	v_lshrrev_b32_e32 v4, 24, v4
	s_delay_alu instid0(VALU_DEP_1)
	v_and_or_b32 v4, 0x80, v4, v5
	global_store_b8 v[2:3], v4, off
.LBB86_2986:
	s_mov_b32 s5, 0
.LBB86_2987:
	s_delay_alu instid0(SALU_CYCLE_1)
	s_and_not1_b32 vcc_lo, exec_lo, s5
	s_cbranch_vccnz .LBB86_2997
; %bb.2988:
	s_wait_xcnt 0x0
	v_bfe_i32 v4, v1, 0, 16
	s_mov_b32 s5, exec_lo
                                        ; implicit-def: $vgpr5
	s_delay_alu instid0(VALU_DEP_1) | instskip(NEXT) | instid1(VALU_DEP_1)
	v_cvt_f32_i32_e32 v4, v4
	v_and_b32_e32 v6, 0x7fffffff, v4
	s_delay_alu instid0(VALU_DEP_1)
	v_cmpx_gt_u32_e32 0x47800000, v6
	s_xor_b32 s5, exec_lo, s5
	s_cbranch_execz .LBB86_2994
; %bb.2989:
	s_mov_b32 s6, exec_lo
                                        ; implicit-def: $vgpr5
	v_cmpx_lt_u32_e32 0x387fffff, v6
	s_xor_b32 s6, exec_lo, s6
; %bb.2990:
	v_bfe_u32 v5, v4, 21, 1
	s_delay_alu instid0(VALU_DEP_1) | instskip(NEXT) | instid1(VALU_DEP_1)
	v_add3_u32 v5, v4, v5, 0x80fffff
	v_lshrrev_b32_e32 v5, 21, v5
; %bb.2991:
	s_and_not1_saveexec_b32 s6, s6
; %bb.2992:
	v_add_f32_e64 v5, 0x43000000, |v4|
; %bb.2993:
	s_or_b32 exec_lo, exec_lo, s6
                                        ; implicit-def: $vgpr6
.LBB86_2994:
	s_and_not1_saveexec_b32 s5, s5
; %bb.2995:
	v_mov_b32_e32 v5, 0x7f
	v_cmp_lt_u32_e32 vcc_lo, 0x7f800000, v6
	s_delay_alu instid0(VALU_DEP_2)
	v_cndmask_b32_e32 v5, 0x7c, v5, vcc_lo
; %bb.2996:
	s_or_b32 exec_lo, exec_lo, s5
	v_lshrrev_b32_e32 v4, 24, v4
	s_delay_alu instid0(VALU_DEP_1)
	v_and_or_b32 v4, 0x80, v4, v5
	global_store_b8 v[2:3], v4, off
.LBB86_2997:
	s_mov_b32 s5, 0
	s_mov_b32 s6, -1
.LBB86_2998:
	s_and_not1_b32 vcc_lo, exec_lo, s5
	s_mov_b32 s5, 0
	s_cbranch_vccnz .LBB86_3005
; %bb.2999:
	s_cmp_gt_i32 s4, 14
	s_mov_b32 s5, -1
	s_cbranch_scc0 .LBB86_3003
; %bb.3000:
	s_cmp_eq_u32 s4, 15
	s_mov_b32 s0, -1
	s_cbranch_scc0 .LBB86_3002
; %bb.3001:
	s_wait_xcnt 0x0
	v_bfe_i32 v4, v1, 0, 16
	s_mov_b32 s0, 0
	s_mov_b32 s6, -1
	s_delay_alu instid0(VALU_DEP_1) | instskip(NEXT) | instid1(VALU_DEP_1)
	v_cvt_f32_i32_e32 v4, v4
	v_bfe_u32 v5, v4, 16, 1
	s_delay_alu instid0(VALU_DEP_1)
	v_add3_u32 v4, v4, v5, 0x7fff
	global_store_d16_hi_b16 v[2:3], v4, off
.LBB86_3002:
	s_mov_b32 s5, 0
.LBB86_3003:
	s_delay_alu instid0(SALU_CYCLE_1)
	s_and_b32 vcc_lo, exec_lo, s5
	s_mov_b32 s5, 0
	s_cbranch_vccz .LBB86_3005
; %bb.3004:
	s_cmp_lg_u32 s4, 11
	s_mov_b32 s5, -1
	s_cselect_b32 s0, -1, 0
.LBB86_3005:
	s_delay_alu instid0(SALU_CYCLE_1)
	s_and_b32 vcc_lo, exec_lo, s0
	s_cbranch_vccnz .LBB86_3185
; %bb.3006:
	s_and_not1_b32 vcc_lo, exec_lo, s5
	s_cbranch_vccnz .LBB86_3008
.LBB86_3007:
	v_cmp_ne_u16_e32 vcc_lo, 0, v1
	s_mov_b32 s6, -1
	s_wait_xcnt 0x0
	v_cndmask_b32_e64 v4, 0, 1, vcc_lo
	global_store_b8 v[2:3], v4, off
.LBB86_3008:
	s_mov_b32 s0, 0
	s_branch .LBB86_3010
.LBB86_3009:
	s_mov_b32 s0, -1
	s_mov_b32 s6, 0
.LBB86_3010:
	s_and_b32 vcc_lo, exec_lo, s0
	s_cbranch_vccz .LBB86_3049
; %bb.3011:
	s_and_b32 s0, 0xffff, s18
	s_mov_b32 s4, -1
	s_cmp_lt_i32 s0, 5
	s_cbranch_scc1 .LBB86_3032
; %bb.3012:
	s_cmp_lt_i32 s0, 8
	s_cbranch_scc1 .LBB86_3022
; %bb.3013:
	;; [unrolled: 3-line block ×3, first 2 shown]
	s_cmp_gt_i32 s0, 9
	s_cbranch_scc0 .LBB86_3016
; %bb.3015:
	s_wait_xcnt 0x0
	v_bfe_i32 v4, v1, 0, 16
	v_mov_b32_e32 v6, 0
	s_mov_b32 s4, 0
	s_delay_alu instid0(VALU_DEP_2) | instskip(NEXT) | instid1(VALU_DEP_2)
	v_cvt_f64_i32_e32 v[4:5], v4
	v_mov_b32_e32 v7, v6
	global_store_b128 v[2:3], v[4:7], off
.LBB86_3016:
	s_and_not1_b32 vcc_lo, exec_lo, s4
	s_cbranch_vccnz .LBB86_3018
; %bb.3017:
	s_wait_xcnt 0x0
	v_bfe_i32 v4, v1, 0, 16
	v_mov_b32_e32 v5, 0
	s_delay_alu instid0(VALU_DEP_2)
	v_cvt_f32_i32_e32 v4, v4
	global_store_b64 v[2:3], v[4:5], off
.LBB86_3018:
	s_mov_b32 s4, 0
.LBB86_3019:
	s_delay_alu instid0(SALU_CYCLE_1)
	s_and_not1_b32 vcc_lo, exec_lo, s4
	s_cbranch_vccnz .LBB86_3021
; %bb.3020:
	s_wait_xcnt 0x0
	v_cvt_f16_i16_e32 v4, v1
	s_delay_alu instid0(VALU_DEP_1)
	v_and_b32_e32 v4, 0xffff, v4
	global_store_b32 v[2:3], v4, off
.LBB86_3021:
	s_mov_b32 s4, 0
.LBB86_3022:
	s_delay_alu instid0(SALU_CYCLE_1)
	s_and_not1_b32 vcc_lo, exec_lo, s4
	s_cbranch_vccnz .LBB86_3031
; %bb.3023:
	s_cmp_lt_i32 s0, 6
	s_mov_b32 s4, -1
	s_cbranch_scc1 .LBB86_3029
; %bb.3024:
	s_cmp_gt_i32 s0, 6
	s_cbranch_scc0 .LBB86_3026
; %bb.3025:
	s_wait_xcnt 0x0
	v_bfe_i32 v4, v1, 0, 16
	s_mov_b32 s4, 0
	s_delay_alu instid0(VALU_DEP_1)
	v_cvt_f64_i32_e32 v[4:5], v4
	global_store_b64 v[2:3], v[4:5], off
.LBB86_3026:
	s_and_not1_b32 vcc_lo, exec_lo, s4
	s_cbranch_vccnz .LBB86_3028
; %bb.3027:
	s_wait_xcnt 0x0
	v_bfe_i32 v4, v1, 0, 16
	s_delay_alu instid0(VALU_DEP_1)
	v_cvt_f32_i32_e32 v4, v4
	global_store_b32 v[2:3], v4, off
.LBB86_3028:
	s_mov_b32 s4, 0
.LBB86_3029:
	s_delay_alu instid0(SALU_CYCLE_1)
	s_and_not1_b32 vcc_lo, exec_lo, s4
	s_cbranch_vccnz .LBB86_3031
; %bb.3030:
	s_wait_xcnt 0x0
	v_cvt_f16_i16_e32 v4, v1
	global_store_b16 v[2:3], v4, off
.LBB86_3031:
	s_mov_b32 s4, 0
.LBB86_3032:
	s_delay_alu instid0(SALU_CYCLE_1)
	s_and_not1_b32 vcc_lo, exec_lo, s4
	s_cbranch_vccnz .LBB86_3048
; %bb.3033:
	s_cmp_lt_i32 s0, 2
	s_mov_b32 s4, -1
	s_cbranch_scc1 .LBB86_3043
; %bb.3034:
	s_cmp_lt_i32 s0, 3
	s_cbranch_scc1 .LBB86_3040
; %bb.3035:
	s_wait_xcnt 0x0
	v_bfe_i32 v4, v1, 0, 16
	s_cmp_gt_i32 s0, 3
	s_cbranch_scc0 .LBB86_3037
; %bb.3036:
	s_delay_alu instid0(VALU_DEP_1)
	v_ashrrev_i32_e32 v5, 31, v4
	s_mov_b32 s4, 0
	global_store_b64 v[2:3], v[4:5], off
.LBB86_3037:
	s_and_not1_b32 vcc_lo, exec_lo, s4
	s_cbranch_vccnz .LBB86_3039
; %bb.3038:
	global_store_b32 v[2:3], v4, off
.LBB86_3039:
	s_mov_b32 s4, 0
.LBB86_3040:
	s_delay_alu instid0(SALU_CYCLE_1)
	s_and_not1_b32 vcc_lo, exec_lo, s4
	s_cbranch_vccnz .LBB86_3042
; %bb.3041:
	global_store_b16 v[2:3], v1, off
.LBB86_3042:
	s_mov_b32 s4, 0
.LBB86_3043:
	s_delay_alu instid0(SALU_CYCLE_1)
	s_and_not1_b32 vcc_lo, exec_lo, s4
	s_cbranch_vccnz .LBB86_3048
; %bb.3044:
	s_cmp_gt_i32 s0, 0
	s_mov_b32 s0, -1
	s_cbranch_scc0 .LBB86_3046
; %bb.3045:
	s_mov_b32 s0, 0
	global_store_b8 v[2:3], v1, off
.LBB86_3046:
	s_and_not1_b32 vcc_lo, exec_lo, s0
	s_cbranch_vccnz .LBB86_3048
; %bb.3047:
	global_store_b8 v[2:3], v1, off
.LBB86_3048:
	s_mov_b32 s6, -1
.LBB86_3049:
	s_delay_alu instid0(SALU_CYCLE_1)
	s_and_not1_b32 vcc_lo, exec_lo, s6
	s_cbranch_vccnz .LBB86_3126
; %bb.3050:
	v_add_nc_u32_e32 v0, s1, v0
	s_wait_xcnt 0x0
	v_mul_lo_u16 v2, v12, s10
	s_cmp_lt_i32 s18, 11
	s_delay_alu instid0(VALU_DEP_2) | instskip(NEXT) | instid1(VALU_DEP_2)
	v_ashrrev_i32_e32 v1, 31, v0
	v_mul_lo_u16 v4, v2, v14
	s_delay_alu instid0(VALU_DEP_2)
	v_add_nc_u64_e32 v[0:1], s[2:3], v[0:1]
	s_cbranch_scc1 .LBB86_3171
; %bb.3051:
	s_and_b32 s2, 0xffff, s18
	s_mov_b32 s3, -1
	s_mov_b32 s1, 0
	s_cmp_gt_i32 s2, 25
	s_mov_b32 s0, 0
	s_cbranch_scc0 .LBB86_3084
; %bb.3052:
	s_cmp_gt_i32 s2, 28
	s_cbranch_scc0 .LBB86_3068
; %bb.3053:
	s_cmp_gt_i32 s2, 43
	;; [unrolled: 3-line block ×3, first 2 shown]
	s_cbranch_scc0 .LBB86_3058
; %bb.3055:
	s_cmp_eq_u32 s2, 46
	s_mov_b32 s0, -1
	s_cbranch_scc0 .LBB86_3057
; %bb.3056:
	v_bfe_i32 v2, v4, 0, 16
	s_mov_b32 s0, 0
	s_delay_alu instid0(VALU_DEP_1) | instskip(NEXT) | instid1(VALU_DEP_1)
	v_cvt_f32_i32_e32 v2, v2
	v_bfe_u32 v3, v2, 16, 1
	s_delay_alu instid0(VALU_DEP_1) | instskip(NEXT) | instid1(VALU_DEP_1)
	v_add3_u32 v2, v2, v3, 0x7fff
	v_lshrrev_b32_e32 v2, 16, v2
	global_store_b32 v[0:1], v2, off
.LBB86_3057:
	s_mov_b32 s3, 0
.LBB86_3058:
	s_delay_alu instid0(SALU_CYCLE_1)
	s_and_b32 vcc_lo, exec_lo, s3
	s_cbranch_vccz .LBB86_3063
; %bb.3059:
	s_cmp_eq_u32 s2, 44
	s_mov_b32 s0, -1
	s_cbranch_scc0 .LBB86_3063
; %bb.3060:
	s_wait_xcnt 0x0
	v_bfe_i32 v2, v4, 0, 16
	v_mov_b32_e32 v3, 0xff
	s_mov_b32 s3, exec_lo
	s_delay_alu instid0(VALU_DEP_2) | instskip(NEXT) | instid1(VALU_DEP_1)
	v_cvt_f32_i32_e32 v2, v2
	v_bfe_u32 v5, v2, 23, 8
	s_delay_alu instid0(VALU_DEP_1)
	v_cmpx_ne_u32_e32 0xff, v5
	s_cbranch_execz .LBB86_3062
; %bb.3061:
	v_and_b32_e32 v3, 0x400000, v2
	v_and_or_b32 v5, 0x3fffff, v2, v5
	v_lshrrev_b32_e32 v2, 23, v2
	s_delay_alu instid0(VALU_DEP_3) | instskip(NEXT) | instid1(VALU_DEP_3)
	v_cmp_ne_u32_e32 vcc_lo, 0, v3
	v_cmp_ne_u32_e64 s0, 0, v5
	s_and_b32 s0, vcc_lo, s0
	s_delay_alu instid0(SALU_CYCLE_1) | instskip(NEXT) | instid1(VALU_DEP_1)
	v_cndmask_b32_e64 v3, 0, 1, s0
	v_add_nc_u32_e32 v3, v2, v3
.LBB86_3062:
	s_or_b32 exec_lo, exec_lo, s3
	s_mov_b32 s0, 0
	global_store_b8 v[0:1], v3, off
.LBB86_3063:
	s_mov_b32 s3, 0
.LBB86_3064:
	s_delay_alu instid0(SALU_CYCLE_1)
	s_and_b32 vcc_lo, exec_lo, s3
	s_cbranch_vccz .LBB86_3067
; %bb.3065:
	s_cmp_eq_u32 s2, 29
	s_mov_b32 s0, -1
	s_cbranch_scc0 .LBB86_3067
; %bb.3066:
	s_wait_xcnt 0x0
	v_bfe_i32 v2, v4, 0, 16
	s_mov_b32 s0, 0
	s_delay_alu instid0(VALU_DEP_1)
	v_ashrrev_i32_e32 v3, 31, v2
	global_store_b64 v[0:1], v[2:3], off
.LBB86_3067:
	s_mov_b32 s3, 0
.LBB86_3068:
	s_delay_alu instid0(SALU_CYCLE_1)
	s_and_b32 vcc_lo, exec_lo, s3
	s_cbranch_vccz .LBB86_3083
; %bb.3069:
	s_cmp_lt_i32 s2, 27
	s_mov_b32 s3, -1
	s_cbranch_scc1 .LBB86_3075
; %bb.3070:
	s_cmp_gt_i32 s2, 27
	s_cbranch_scc0 .LBB86_3072
; %bb.3071:
	s_wait_xcnt 0x0
	v_bfe_i32 v2, v4, 0, 16
	s_mov_b32 s3, 0
	global_store_b32 v[0:1], v2, off
.LBB86_3072:
	s_and_not1_b32 vcc_lo, exec_lo, s3
	s_cbranch_vccnz .LBB86_3074
; %bb.3073:
	global_store_b16 v[0:1], v4, off
.LBB86_3074:
	s_mov_b32 s3, 0
.LBB86_3075:
	s_delay_alu instid0(SALU_CYCLE_1)
	s_and_not1_b32 vcc_lo, exec_lo, s3
	s_cbranch_vccnz .LBB86_3083
; %bb.3076:
	s_wait_xcnt 0x0
	v_bfe_i32 v2, v4, 0, 16
	v_mov_b32_e32 v5, 0x80
	s_mov_b32 s3, exec_lo
	s_delay_alu instid0(VALU_DEP_2) | instskip(NEXT) | instid1(VALU_DEP_1)
	v_cvt_f32_i32_e32 v2, v2
	v_and_b32_e32 v3, 0x7fffffff, v2
	s_delay_alu instid0(VALU_DEP_1)
	v_cmpx_gt_u32_e32 0x43800000, v3
	s_cbranch_execz .LBB86_3082
; %bb.3077:
	v_cmp_lt_u32_e32 vcc_lo, 0x3bffffff, v3
	s_mov_b32 s4, 0
                                        ; implicit-def: $vgpr3
	s_and_saveexec_b32 s5, vcc_lo
	s_delay_alu instid0(SALU_CYCLE_1)
	s_xor_b32 s5, exec_lo, s5
	s_cbranch_execz .LBB86_3188
; %bb.3078:
	v_bfe_u32 v3, v2, 20, 1
	s_mov_b32 s4, exec_lo
	s_delay_alu instid0(VALU_DEP_1) | instskip(NEXT) | instid1(VALU_DEP_1)
	v_add3_u32 v3, v2, v3, 0x487ffff
	v_lshrrev_b32_e32 v3, 20, v3
	s_and_not1_saveexec_b32 s5, s5
	s_cbranch_execnz .LBB86_3189
.LBB86_3079:
	s_or_b32 exec_lo, exec_lo, s5
	v_mov_b32_e32 v5, 0
	s_and_saveexec_b32 s5, s4
.LBB86_3080:
	v_lshrrev_b32_e32 v2, 24, v2
	s_delay_alu instid0(VALU_DEP_1)
	v_and_or_b32 v5, 0x80, v2, v3
.LBB86_3081:
	s_or_b32 exec_lo, exec_lo, s5
.LBB86_3082:
	s_delay_alu instid0(SALU_CYCLE_1)
	s_or_b32 exec_lo, exec_lo, s3
	global_store_b8 v[0:1], v5, off
.LBB86_3083:
	s_mov_b32 s3, 0
.LBB86_3084:
	s_delay_alu instid0(SALU_CYCLE_1)
	s_and_b32 vcc_lo, exec_lo, s3
	s_cbranch_vccz .LBB86_3124
; %bb.3085:
	s_cmp_gt_i32 s2, 22
	s_mov_b32 s1, -1
	s_cbranch_scc0 .LBB86_3117
; %bb.3086:
	s_cmp_lt_i32 s2, 24
	s_cbranch_scc1 .LBB86_3106
; %bb.3087:
	s_cmp_gt_i32 s2, 24
	s_cbranch_scc0 .LBB86_3095
; %bb.3088:
	s_wait_xcnt 0x0
	v_bfe_i32 v2, v4, 0, 16
	v_mov_b32_e32 v5, 0x80
	s_mov_b32 s1, exec_lo
	s_delay_alu instid0(VALU_DEP_2) | instskip(NEXT) | instid1(VALU_DEP_1)
	v_cvt_f32_i32_e32 v2, v2
	v_and_b32_e32 v3, 0x7fffffff, v2
	s_delay_alu instid0(VALU_DEP_1)
	v_cmpx_gt_u32_e32 0x47800000, v3
	s_cbranch_execz .LBB86_3094
; %bb.3089:
	v_cmp_lt_u32_e32 vcc_lo, 0x37ffffff, v3
	s_mov_b32 s3, 0
                                        ; implicit-def: $vgpr3
	s_and_saveexec_b32 s4, vcc_lo
	s_delay_alu instid0(SALU_CYCLE_1)
	s_xor_b32 s4, exec_lo, s4
	s_cbranch_execz .LBB86_3191
; %bb.3090:
	v_bfe_u32 v3, v2, 21, 1
	s_mov_b32 s3, exec_lo
	s_delay_alu instid0(VALU_DEP_1) | instskip(NEXT) | instid1(VALU_DEP_1)
	v_add3_u32 v3, v2, v3, 0x88fffff
	v_lshrrev_b32_e32 v3, 21, v3
	s_and_not1_saveexec_b32 s4, s4
	s_cbranch_execnz .LBB86_3192
.LBB86_3091:
	s_or_b32 exec_lo, exec_lo, s4
	v_mov_b32_e32 v5, 0
	s_and_saveexec_b32 s4, s3
.LBB86_3092:
	v_lshrrev_b32_e32 v2, 24, v2
	s_delay_alu instid0(VALU_DEP_1)
	v_and_or_b32 v5, 0x80, v2, v3
.LBB86_3093:
	s_or_b32 exec_lo, exec_lo, s4
.LBB86_3094:
	s_delay_alu instid0(SALU_CYCLE_1)
	s_or_b32 exec_lo, exec_lo, s1
	s_mov_b32 s1, 0
	global_store_b8 v[0:1], v5, off
.LBB86_3095:
	s_and_b32 vcc_lo, exec_lo, s1
	s_cbranch_vccz .LBB86_3105
; %bb.3096:
	s_wait_xcnt 0x0
	v_bfe_i32 v2, v4, 0, 16
	s_mov_b32 s1, exec_lo
                                        ; implicit-def: $vgpr3
	s_delay_alu instid0(VALU_DEP_1) | instskip(NEXT) | instid1(VALU_DEP_1)
	v_cvt_f32_i32_e32 v2, v2
	v_and_b32_e32 v5, 0x7fffffff, v2
	s_delay_alu instid0(VALU_DEP_1)
	v_cmpx_gt_u32_e32 0x43f00000, v5
	s_xor_b32 s1, exec_lo, s1
	s_cbranch_execz .LBB86_3102
; %bb.3097:
	s_mov_b32 s3, exec_lo
                                        ; implicit-def: $vgpr3
	v_cmpx_lt_u32_e32 0x3c7fffff, v5
	s_xor_b32 s3, exec_lo, s3
; %bb.3098:
	v_bfe_u32 v3, v2, 20, 1
	s_delay_alu instid0(VALU_DEP_1) | instskip(NEXT) | instid1(VALU_DEP_1)
	v_add3_u32 v3, v2, v3, 0x407ffff
	v_and_b32_e32 v5, 0xff00000, v3
	v_lshrrev_b32_e32 v3, 20, v3
	s_delay_alu instid0(VALU_DEP_2) | instskip(NEXT) | instid1(VALU_DEP_2)
	v_cmp_ne_u32_e32 vcc_lo, 0x7f00000, v5
	v_cndmask_b32_e32 v3, 0x7e, v3, vcc_lo
; %bb.3099:
	s_and_not1_saveexec_b32 s3, s3
; %bb.3100:
	v_add_f32_e64 v3, 0x46800000, |v2|
; %bb.3101:
	s_or_b32 exec_lo, exec_lo, s3
                                        ; implicit-def: $vgpr5
.LBB86_3102:
	s_and_not1_saveexec_b32 s1, s1
; %bb.3103:
	v_mov_b32_e32 v3, 0x7f
	v_cmp_lt_u32_e32 vcc_lo, 0x7f800000, v5
	s_delay_alu instid0(VALU_DEP_2)
	v_cndmask_b32_e32 v3, 0x7e, v3, vcc_lo
; %bb.3104:
	s_or_b32 exec_lo, exec_lo, s1
	v_lshrrev_b32_e32 v2, 24, v2
	s_delay_alu instid0(VALU_DEP_1)
	v_and_or_b32 v2, 0x80, v2, v3
	global_store_b8 v[0:1], v2, off
.LBB86_3105:
	s_mov_b32 s1, 0
.LBB86_3106:
	s_delay_alu instid0(SALU_CYCLE_1)
	s_and_not1_b32 vcc_lo, exec_lo, s1
	s_cbranch_vccnz .LBB86_3116
; %bb.3107:
	s_wait_xcnt 0x0
	v_bfe_i32 v2, v4, 0, 16
	s_mov_b32 s1, exec_lo
                                        ; implicit-def: $vgpr3
	s_delay_alu instid0(VALU_DEP_1) | instskip(NEXT) | instid1(VALU_DEP_1)
	v_cvt_f32_i32_e32 v2, v2
	v_and_b32_e32 v5, 0x7fffffff, v2
	s_delay_alu instid0(VALU_DEP_1)
	v_cmpx_gt_u32_e32 0x47800000, v5
	s_xor_b32 s1, exec_lo, s1
	s_cbranch_execz .LBB86_3113
; %bb.3108:
	s_mov_b32 s3, exec_lo
                                        ; implicit-def: $vgpr3
	v_cmpx_lt_u32_e32 0x387fffff, v5
	s_xor_b32 s3, exec_lo, s3
; %bb.3109:
	v_bfe_u32 v3, v2, 21, 1
	s_delay_alu instid0(VALU_DEP_1) | instskip(NEXT) | instid1(VALU_DEP_1)
	v_add3_u32 v3, v2, v3, 0x80fffff
	v_lshrrev_b32_e32 v3, 21, v3
; %bb.3110:
	s_and_not1_saveexec_b32 s3, s3
; %bb.3111:
	v_add_f32_e64 v3, 0x43000000, |v2|
; %bb.3112:
	s_or_b32 exec_lo, exec_lo, s3
                                        ; implicit-def: $vgpr5
.LBB86_3113:
	s_and_not1_saveexec_b32 s1, s1
; %bb.3114:
	v_mov_b32_e32 v3, 0x7f
	v_cmp_lt_u32_e32 vcc_lo, 0x7f800000, v5
	s_delay_alu instid0(VALU_DEP_2)
	v_cndmask_b32_e32 v3, 0x7c, v3, vcc_lo
; %bb.3115:
	s_or_b32 exec_lo, exec_lo, s1
	v_lshrrev_b32_e32 v2, 24, v2
	s_delay_alu instid0(VALU_DEP_1)
	v_and_or_b32 v2, 0x80, v2, v3
	global_store_b8 v[0:1], v2, off
.LBB86_3116:
	s_mov_b32 s1, 0
.LBB86_3117:
	s_delay_alu instid0(SALU_CYCLE_1)
	s_and_not1_b32 vcc_lo, exec_lo, s1
	s_mov_b32 s1, 0
	s_cbranch_vccnz .LBB86_3124
; %bb.3118:
	s_cmp_gt_i32 s2, 14
	s_mov_b32 s1, -1
	s_cbranch_scc0 .LBB86_3122
; %bb.3119:
	s_cmp_eq_u32 s2, 15
	s_mov_b32 s0, -1
	s_cbranch_scc0 .LBB86_3121
; %bb.3120:
	s_wait_xcnt 0x0
	v_bfe_i32 v2, v4, 0, 16
	s_mov_b32 s0, 0
	s_delay_alu instid0(VALU_DEP_1) | instskip(NEXT) | instid1(VALU_DEP_1)
	v_cvt_f32_i32_e32 v2, v2
	v_bfe_u32 v3, v2, 16, 1
	s_delay_alu instid0(VALU_DEP_1)
	v_add3_u32 v2, v2, v3, 0x7fff
	global_store_d16_hi_b16 v[0:1], v2, off
.LBB86_3121:
	s_mov_b32 s1, 0
.LBB86_3122:
	s_delay_alu instid0(SALU_CYCLE_1)
	s_and_b32 vcc_lo, exec_lo, s1
	s_mov_b32 s1, 0
	s_cbranch_vccz .LBB86_3124
; %bb.3123:
	s_cmp_lg_u32 s2, 11
	s_mov_b32 s1, -1
	s_cselect_b32 s0, -1, 0
.LBB86_3124:
	s_delay_alu instid0(SALU_CYCLE_1)
	s_and_b32 vcc_lo, exec_lo, s0
	s_cbranch_vccnz .LBB86_3190
.LBB86_3125:
	s_mov_b32 s0, 0
	s_branch .LBB86_3127
.LBB86_3126:
	s_mov_b32 s0, 0
	s_mov_b32 s1, 0
                                        ; implicit-def: $sgpr18
                                        ; implicit-def: $vgpr0_vgpr1
                                        ; implicit-def: $vgpr4
.LBB86_3127:
	s_and_not1_b32 s2, s17, exec_lo
	s_and_b32 s3, s14, exec_lo
	s_and_b32 s0, s0, exec_lo
	;; [unrolled: 1-line block ×3, first 2 shown]
	s_or_b32 s17, s2, s3
.LBB86_3128:
	s_wait_xcnt 0x0
	s_or_b32 exec_lo, exec_lo, s16
	s_and_saveexec_b32 s1, s17
	s_cbranch_execz .LBB86_3131
; %bb.3129:
	; divergent unreachable
	s_or_b32 exec_lo, exec_lo, s1
	s_and_saveexec_b32 s1, s14
	s_delay_alu instid0(SALU_CYCLE_1)
	s_xor_b32 s1, exec_lo, s1
	s_cbranch_execnz .LBB86_3132
.LBB86_3130:
	s_or_b32 exec_lo, exec_lo, s1
	s_and_saveexec_b32 s1, s0
	s_cbranch_execnz .LBB86_3133
	s_branch .LBB86_3170
.LBB86_3131:
	s_or_b32 exec_lo, exec_lo, s1
	s_and_saveexec_b32 s1, s14
	s_delay_alu instid0(SALU_CYCLE_1)
	s_xor_b32 s1, exec_lo, s1
	s_cbranch_execz .LBB86_3130
.LBB86_3132:
	s_wait_loadcnt 0x0
	s_delay_alu instid0(VALU_DEP_1)
	v_cmp_ne_u16_e32 vcc_lo, 0, v4
	v_cndmask_b32_e64 v2, 0, 1, vcc_lo
	global_store_b8 v[0:1], v2, off
	s_wait_xcnt 0x0
	s_or_b32 exec_lo, exec_lo, s1
	s_and_saveexec_b32 s1, s0
	s_cbranch_execz .LBB86_3170
.LBB86_3133:
	s_sext_i32_i16 s1, s18
	s_mov_b32 s0, -1
	s_cmp_lt_i32 s1, 5
	s_cbranch_scc1 .LBB86_3154
; %bb.3134:
	s_cmp_lt_i32 s1, 8
	s_cbranch_scc1 .LBB86_3144
; %bb.3135:
	;; [unrolled: 3-line block ×3, first 2 shown]
	s_cmp_gt_i32 s1, 9
	s_cbranch_scc0 .LBB86_3138
; %bb.3137:
	s_wait_loadcnt 0x0
	v_bfe_i32 v2, v4, 0, 16
	v_mov_b32_e32 v8, 0
	s_mov_b32 s0, 0
	s_delay_alu instid0(VALU_DEP_2) | instskip(NEXT) | instid1(VALU_DEP_2)
	v_cvt_f64_i32_e32 v[6:7], v2
	v_mov_b32_e32 v9, v8
	global_store_b128 v[0:1], v[6:9], off
.LBB86_3138:
	s_and_not1_b32 vcc_lo, exec_lo, s0
	s_cbranch_vccnz .LBB86_3140
; %bb.3139:
	s_wait_loadcnt 0x0
	v_bfe_i32 v2, v4, 0, 16
	v_mov_b32_e32 v3, 0
	s_delay_alu instid0(VALU_DEP_2)
	v_cvt_f32_i32_e32 v2, v2
	global_store_b64 v[0:1], v[2:3], off
.LBB86_3140:
	s_mov_b32 s0, 0
.LBB86_3141:
	s_delay_alu instid0(SALU_CYCLE_1)
	s_and_not1_b32 vcc_lo, exec_lo, s0
	s_cbranch_vccnz .LBB86_3143
; %bb.3142:
	s_wait_loadcnt 0x0
	v_cvt_f16_i16_e32 v2, v4
	s_delay_alu instid0(VALU_DEP_1)
	v_and_b32_e32 v2, 0xffff, v2
	global_store_b32 v[0:1], v2, off
.LBB86_3143:
	s_mov_b32 s0, 0
.LBB86_3144:
	s_delay_alu instid0(SALU_CYCLE_1)
	s_and_not1_b32 vcc_lo, exec_lo, s0
	s_cbranch_vccnz .LBB86_3153
; %bb.3145:
	s_sext_i32_i16 s1, s18
	s_mov_b32 s0, -1
	s_cmp_lt_i32 s1, 6
	s_cbranch_scc1 .LBB86_3151
; %bb.3146:
	s_cmp_gt_i32 s1, 6
	s_cbranch_scc0 .LBB86_3148
; %bb.3147:
	s_wait_loadcnt 0x0
	v_bfe_i32 v2, v4, 0, 16
	s_mov_b32 s0, 0
	s_delay_alu instid0(VALU_DEP_1)
	v_cvt_f64_i32_e32 v[2:3], v2
	global_store_b64 v[0:1], v[2:3], off
.LBB86_3148:
	s_and_not1_b32 vcc_lo, exec_lo, s0
	s_cbranch_vccnz .LBB86_3150
; %bb.3149:
	s_wait_loadcnt 0x0
	v_bfe_i32 v2, v4, 0, 16
	s_delay_alu instid0(VALU_DEP_1)
	v_cvt_f32_i32_e32 v2, v2
	global_store_b32 v[0:1], v2, off
.LBB86_3150:
	s_mov_b32 s0, 0
.LBB86_3151:
	s_delay_alu instid0(SALU_CYCLE_1)
	s_and_not1_b32 vcc_lo, exec_lo, s0
	s_cbranch_vccnz .LBB86_3153
; %bb.3152:
	s_wait_loadcnt 0x0
	v_cvt_f16_i16_e32 v2, v4
	global_store_b16 v[0:1], v2, off
.LBB86_3153:
	s_mov_b32 s0, 0
.LBB86_3154:
	s_delay_alu instid0(SALU_CYCLE_1)
	s_and_not1_b32 vcc_lo, exec_lo, s0
	s_cbranch_vccnz .LBB86_3170
; %bb.3155:
	s_sext_i32_i16 s1, s18
	s_mov_b32 s0, -1
	s_cmp_lt_i32 s1, 2
	s_cbranch_scc1 .LBB86_3165
; %bb.3156:
	s_cmp_lt_i32 s1, 3
	s_cbranch_scc1 .LBB86_3162
; %bb.3157:
	s_wait_loadcnt 0x0
	v_bfe_i32 v2, v4, 0, 16
	s_cmp_gt_i32 s1, 3
	s_cbranch_scc0 .LBB86_3159
; %bb.3158:
	s_delay_alu instid0(VALU_DEP_1)
	v_ashrrev_i32_e32 v3, 31, v2
	s_mov_b32 s0, 0
	global_store_b64 v[0:1], v[2:3], off
.LBB86_3159:
	s_and_not1_b32 vcc_lo, exec_lo, s0
	s_cbranch_vccnz .LBB86_3161
; %bb.3160:
	global_store_b32 v[0:1], v2, off
.LBB86_3161:
	s_mov_b32 s0, 0
.LBB86_3162:
	s_delay_alu instid0(SALU_CYCLE_1)
	s_and_not1_b32 vcc_lo, exec_lo, s0
	s_cbranch_vccnz .LBB86_3164
; %bb.3163:
	s_wait_loadcnt 0x0
	global_store_b16 v[0:1], v4, off
.LBB86_3164:
	s_mov_b32 s0, 0
.LBB86_3165:
	s_delay_alu instid0(SALU_CYCLE_1)
	s_and_not1_b32 vcc_lo, exec_lo, s0
	s_cbranch_vccnz .LBB86_3170
; %bb.3166:
	s_sext_i32_i16 s0, s18
	s_delay_alu instid0(SALU_CYCLE_1)
	s_cmp_gt_i32 s0, 0
	s_mov_b32 s0, -1
	s_cbranch_scc0 .LBB86_3168
; %bb.3167:
	s_mov_b32 s0, 0
	s_wait_loadcnt 0x0
	global_store_b8 v[0:1], v4, off
.LBB86_3168:
	s_and_not1_b32 vcc_lo, exec_lo, s0
	s_cbranch_vccnz .LBB86_3170
; %bb.3169:
	s_wait_loadcnt 0x0
	global_store_b8 v[0:1], v4, off
	s_endpgm
.LBB86_3170:
	s_endpgm
.LBB86_3171:
	s_mov_b32 s1, 0
	s_mov_b32 s0, -1
	s_branch .LBB86_3127
.LBB86_3172:
	s_or_b32 s14, s14, exec_lo
	s_trap 2
	s_cbranch_execz .LBB86_2641
	s_branch .LBB86_2642
.LBB86_3173:
	s_and_not1_saveexec_b32 s7, s7
	s_cbranch_execz .LBB86_2721
.LBB86_3174:
	v_add_f32_e64 v3, 0x46000000, |v2|
	s_and_not1_b32 s6, s6, exec_lo
	s_delay_alu instid0(VALU_DEP_1) | instskip(NEXT) | instid1(VALU_DEP_1)
	v_and_b32_e32 v3, 0xff, v3
	v_cmp_ne_u32_e32 vcc_lo, 0, v3
	s_and_b32 s8, vcc_lo, exec_lo
	s_delay_alu instid0(SALU_CYCLE_1)
	s_or_b32 s6, s6, s8
	s_or_b32 exec_lo, exec_lo, s7
	v_mov_b32_e32 v7, 0
	s_and_saveexec_b32 s7, s6
	s_cbranch_execnz .LBB86_2722
	s_branch .LBB86_2723
.LBB86_3175:
	s_or_b32 s14, s14, exec_lo
	s_trap 2
	s_cbranch_execz .LBB86_2769
	s_branch .LBB86_2770
.LBB86_3176:
	s_and_not1_saveexec_b32 s6, s6
	s_cbranch_execz .LBB86_2734
.LBB86_3177:
	v_add_f32_e64 v3, 0x42800000, |v2|
	s_and_not1_b32 s5, s5, exec_lo
	s_delay_alu instid0(VALU_DEP_1) | instskip(NEXT) | instid1(VALU_DEP_1)
	v_and_b32_e32 v3, 0xff, v3
	v_cmp_ne_u32_e32 vcc_lo, 0, v3
	s_and_b32 s7, vcc_lo, exec_lo
	s_delay_alu instid0(SALU_CYCLE_1)
	s_or_b32 s5, s5, s7
	s_or_b32 exec_lo, exec_lo, s6
	v_mov_b32_e32 v7, 0
	s_and_saveexec_b32 s6, s5
	s_cbranch_execnz .LBB86_2735
	s_branch .LBB86_2736
.LBB86_3178:
	s_and_not1_saveexec_b32 s8, s8
	s_cbranch_execz .LBB86_2840
.LBB86_3179:
	v_add_f32_e64 v5, 0x46000000, |v4|
	s_and_not1_b32 s7, s7, exec_lo
	s_delay_alu instid0(VALU_DEP_1) | instskip(NEXT) | instid1(VALU_DEP_1)
	v_and_b32_e32 v5, 0xff, v5
	v_cmp_ne_u32_e32 vcc_lo, 0, v5
	s_and_b32 s9, vcc_lo, exec_lo
	s_delay_alu instid0(SALU_CYCLE_1)
	s_or_b32 s7, s7, s9
	s_or_b32 exec_lo, exec_lo, s8
	v_mov_b32_e32 v6, 0
	s_and_saveexec_b32 s8, s7
	s_cbranch_execnz .LBB86_2841
	s_branch .LBB86_2842
.LBB86_3180:
	s_or_b32 s14, s14, exec_lo
	s_trap 2
	s_cbranch_execz .LBB86_2888
	s_branch .LBB86_2889
.LBB86_3181:
	s_and_not1_saveexec_b32 s7, s7
	s_cbranch_execz .LBB86_2853
.LBB86_3182:
	v_add_f32_e64 v5, 0x42800000, |v4|
	s_and_not1_b32 s6, s6, exec_lo
	s_delay_alu instid0(VALU_DEP_1) | instskip(NEXT) | instid1(VALU_DEP_1)
	v_and_b32_e32 v5, 0xff, v5
	v_cmp_ne_u32_e32 vcc_lo, 0, v5
	s_and_b32 s8, vcc_lo, exec_lo
	s_delay_alu instid0(SALU_CYCLE_1)
	s_or_b32 s6, s6, s8
	s_or_b32 exec_lo, exec_lo, s7
	v_mov_b32_e32 v6, 0
	s_and_saveexec_b32 s7, s6
	s_cbranch_execnz .LBB86_2854
	s_branch .LBB86_2855
.LBB86_3183:
	s_and_not1_saveexec_b32 s8, s8
	s_cbranch_execz .LBB86_2959
.LBB86_3184:
	v_add_f32_e64 v5, 0x46000000, |v4|
	s_and_not1_b32 s7, s7, exec_lo
	s_delay_alu instid0(VALU_DEP_1) | instskip(NEXT) | instid1(VALU_DEP_1)
	v_and_b32_e32 v5, 0xff, v5
	v_cmp_ne_u32_e32 vcc_lo, 0, v5
	s_and_b32 s9, vcc_lo, exec_lo
	s_delay_alu instid0(SALU_CYCLE_1)
	s_or_b32 s7, s7, s9
	s_or_b32 exec_lo, exec_lo, s8
	v_mov_b32_e32 v6, 0
	s_and_saveexec_b32 s8, s7
	s_cbranch_execnz .LBB86_2960
	s_branch .LBB86_2961
.LBB86_3185:
	s_or_b32 s14, s14, exec_lo
	s_trap 2
	s_cbranch_execz .LBB86_3007
	s_branch .LBB86_3008
.LBB86_3186:
	s_and_not1_saveexec_b32 s7, s7
	s_cbranch_execz .LBB86_2972
.LBB86_3187:
	v_add_f32_e64 v5, 0x42800000, |v4|
	s_and_not1_b32 s6, s6, exec_lo
	s_delay_alu instid0(VALU_DEP_1) | instskip(NEXT) | instid1(VALU_DEP_1)
	v_and_b32_e32 v5, 0xff, v5
	v_cmp_ne_u32_e32 vcc_lo, 0, v5
	s_and_b32 s8, vcc_lo, exec_lo
	s_delay_alu instid0(SALU_CYCLE_1)
	s_or_b32 s6, s6, s8
	s_or_b32 exec_lo, exec_lo, s7
	v_mov_b32_e32 v6, 0
	s_and_saveexec_b32 s7, s6
	s_cbranch_execnz .LBB86_2973
	s_branch .LBB86_2974
.LBB86_3188:
	s_and_not1_saveexec_b32 s5, s5
	s_cbranch_execz .LBB86_3079
.LBB86_3189:
	v_add_f32_e64 v3, 0x46000000, |v2|
	s_and_not1_b32 s4, s4, exec_lo
	s_delay_alu instid0(VALU_DEP_1) | instskip(NEXT) | instid1(VALU_DEP_1)
	v_and_b32_e32 v3, 0xff, v3
	v_cmp_ne_u32_e32 vcc_lo, 0, v3
	s_and_b32 s6, vcc_lo, exec_lo
	s_delay_alu instid0(SALU_CYCLE_1)
	s_or_b32 s4, s4, s6
	s_or_b32 exec_lo, exec_lo, s5
	v_mov_b32_e32 v5, 0
	s_and_saveexec_b32 s5, s4
	s_cbranch_execnz .LBB86_3080
	s_branch .LBB86_3081
.LBB86_3190:
	s_mov_b32 s1, 0
	s_or_b32 s14, s14, exec_lo
	s_trap 2
	s_branch .LBB86_3125
.LBB86_3191:
	s_and_not1_saveexec_b32 s4, s4
	s_cbranch_execz .LBB86_3091
.LBB86_3192:
	v_add_f32_e64 v3, 0x42800000, |v2|
	s_and_not1_b32 s3, s3, exec_lo
	s_delay_alu instid0(VALU_DEP_1) | instskip(NEXT) | instid1(VALU_DEP_1)
	v_and_b32_e32 v3, 0xff, v3
	v_cmp_ne_u32_e32 vcc_lo, 0, v3
	s_and_b32 s5, vcc_lo, exec_lo
	s_delay_alu instid0(SALU_CYCLE_1)
	s_or_b32 s3, s3, s5
	s_or_b32 exec_lo, exec_lo, s4
	v_mov_b32_e32 v5, 0
	s_and_saveexec_b32 s4, s3
	s_cbranch_execnz .LBB86_3092
	s_branch .LBB86_3093
	.section	.rodata,"a",@progbits
	.p2align	6, 0x0
	.amdhsa_kernel _ZN2at6native32elementwise_kernel_manual_unrollILi128ELi4EZNS0_15gpu_kernel_implIZZZNS0_12_GLOBAL__N_116addr_kernel_cudaERNS_14TensorIteratorERKN3c106ScalarES9_ENKUlvE_clEvENKUlvE3_clEvEUlsssE_EEvRNS_18TensorIteratorBaseERKT_EUlibE_EEviT1_
		.amdhsa_group_segment_fixed_size 0
		.amdhsa_private_segment_fixed_size 0
		.amdhsa_kernarg_size 64
		.amdhsa_user_sgpr_count 2
		.amdhsa_user_sgpr_dispatch_ptr 0
		.amdhsa_user_sgpr_queue_ptr 0
		.amdhsa_user_sgpr_kernarg_segment_ptr 1
		.amdhsa_user_sgpr_dispatch_id 0
		.amdhsa_user_sgpr_kernarg_preload_length 0
		.amdhsa_user_sgpr_kernarg_preload_offset 0
		.amdhsa_user_sgpr_private_segment_size 0
		.amdhsa_wavefront_size32 1
		.amdhsa_uses_dynamic_stack 0
		.amdhsa_enable_private_segment 0
		.amdhsa_system_sgpr_workgroup_id_x 1
		.amdhsa_system_sgpr_workgroup_id_y 0
		.amdhsa_system_sgpr_workgroup_id_z 0
		.amdhsa_system_sgpr_workgroup_info 0
		.amdhsa_system_vgpr_workitem_id 0
		.amdhsa_next_free_vgpr 22
		.amdhsa_next_free_sgpr 39
		.amdhsa_named_barrier_count 0
		.amdhsa_reserve_vcc 1
		.amdhsa_float_round_mode_32 0
		.amdhsa_float_round_mode_16_64 0
		.amdhsa_float_denorm_mode_32 3
		.amdhsa_float_denorm_mode_16_64 3
		.amdhsa_fp16_overflow 0
		.amdhsa_memory_ordered 1
		.amdhsa_forward_progress 1
		.amdhsa_inst_pref_size 255
		.amdhsa_round_robin_scheduling 0
		.amdhsa_exception_fp_ieee_invalid_op 0
		.amdhsa_exception_fp_denorm_src 0
		.amdhsa_exception_fp_ieee_div_zero 0
		.amdhsa_exception_fp_ieee_overflow 0
		.amdhsa_exception_fp_ieee_underflow 0
		.amdhsa_exception_fp_ieee_inexact 0
		.amdhsa_exception_int_div_zero 0
	.end_amdhsa_kernel
	.section	.text._ZN2at6native32elementwise_kernel_manual_unrollILi128ELi4EZNS0_15gpu_kernel_implIZZZNS0_12_GLOBAL__N_116addr_kernel_cudaERNS_14TensorIteratorERKN3c106ScalarES9_ENKUlvE_clEvENKUlvE3_clEvEUlsssE_EEvRNS_18TensorIteratorBaseERKT_EUlibE_EEviT1_,"axG",@progbits,_ZN2at6native32elementwise_kernel_manual_unrollILi128ELi4EZNS0_15gpu_kernel_implIZZZNS0_12_GLOBAL__N_116addr_kernel_cudaERNS_14TensorIteratorERKN3c106ScalarES9_ENKUlvE_clEvENKUlvE3_clEvEUlsssE_EEvRNS_18TensorIteratorBaseERKT_EUlibE_EEviT1_,comdat
.Lfunc_end86:
	.size	_ZN2at6native32elementwise_kernel_manual_unrollILi128ELi4EZNS0_15gpu_kernel_implIZZZNS0_12_GLOBAL__N_116addr_kernel_cudaERNS_14TensorIteratorERKN3c106ScalarES9_ENKUlvE_clEvENKUlvE3_clEvEUlsssE_EEvRNS_18TensorIteratorBaseERKT_EUlibE_EEviT1_, .Lfunc_end86-_ZN2at6native32elementwise_kernel_manual_unrollILi128ELi4EZNS0_15gpu_kernel_implIZZZNS0_12_GLOBAL__N_116addr_kernel_cudaERNS_14TensorIteratorERKN3c106ScalarES9_ENKUlvE_clEvENKUlvE3_clEvEUlsssE_EEvRNS_18TensorIteratorBaseERKT_EUlibE_EEviT1_
                                        ; -- End function
	.set _ZN2at6native32elementwise_kernel_manual_unrollILi128ELi4EZNS0_15gpu_kernel_implIZZZNS0_12_GLOBAL__N_116addr_kernel_cudaERNS_14TensorIteratorERKN3c106ScalarES9_ENKUlvE_clEvENKUlvE3_clEvEUlsssE_EEvRNS_18TensorIteratorBaseERKT_EUlibE_EEviT1_.num_vgpr, 22
	.set _ZN2at6native32elementwise_kernel_manual_unrollILi128ELi4EZNS0_15gpu_kernel_implIZZZNS0_12_GLOBAL__N_116addr_kernel_cudaERNS_14TensorIteratorERKN3c106ScalarES9_ENKUlvE_clEvENKUlvE3_clEvEUlsssE_EEvRNS_18TensorIteratorBaseERKT_EUlibE_EEviT1_.num_agpr, 0
	.set _ZN2at6native32elementwise_kernel_manual_unrollILi128ELi4EZNS0_15gpu_kernel_implIZZZNS0_12_GLOBAL__N_116addr_kernel_cudaERNS_14TensorIteratorERKN3c106ScalarES9_ENKUlvE_clEvENKUlvE3_clEvEUlsssE_EEvRNS_18TensorIteratorBaseERKT_EUlibE_EEviT1_.numbered_sgpr, 39
	.set _ZN2at6native32elementwise_kernel_manual_unrollILi128ELi4EZNS0_15gpu_kernel_implIZZZNS0_12_GLOBAL__N_116addr_kernel_cudaERNS_14TensorIteratorERKN3c106ScalarES9_ENKUlvE_clEvENKUlvE3_clEvEUlsssE_EEvRNS_18TensorIteratorBaseERKT_EUlibE_EEviT1_.num_named_barrier, 0
	.set _ZN2at6native32elementwise_kernel_manual_unrollILi128ELi4EZNS0_15gpu_kernel_implIZZZNS0_12_GLOBAL__N_116addr_kernel_cudaERNS_14TensorIteratorERKN3c106ScalarES9_ENKUlvE_clEvENKUlvE3_clEvEUlsssE_EEvRNS_18TensorIteratorBaseERKT_EUlibE_EEviT1_.private_seg_size, 0
	.set _ZN2at6native32elementwise_kernel_manual_unrollILi128ELi4EZNS0_15gpu_kernel_implIZZZNS0_12_GLOBAL__N_116addr_kernel_cudaERNS_14TensorIteratorERKN3c106ScalarES9_ENKUlvE_clEvENKUlvE3_clEvEUlsssE_EEvRNS_18TensorIteratorBaseERKT_EUlibE_EEviT1_.uses_vcc, 1
	.set _ZN2at6native32elementwise_kernel_manual_unrollILi128ELi4EZNS0_15gpu_kernel_implIZZZNS0_12_GLOBAL__N_116addr_kernel_cudaERNS_14TensorIteratorERKN3c106ScalarES9_ENKUlvE_clEvENKUlvE3_clEvEUlsssE_EEvRNS_18TensorIteratorBaseERKT_EUlibE_EEviT1_.uses_flat_scratch, 0
	.set _ZN2at6native32elementwise_kernel_manual_unrollILi128ELi4EZNS0_15gpu_kernel_implIZZZNS0_12_GLOBAL__N_116addr_kernel_cudaERNS_14TensorIteratorERKN3c106ScalarES9_ENKUlvE_clEvENKUlvE3_clEvEUlsssE_EEvRNS_18TensorIteratorBaseERKT_EUlibE_EEviT1_.has_dyn_sized_stack, 0
	.set _ZN2at6native32elementwise_kernel_manual_unrollILi128ELi4EZNS0_15gpu_kernel_implIZZZNS0_12_GLOBAL__N_116addr_kernel_cudaERNS_14TensorIteratorERKN3c106ScalarES9_ENKUlvE_clEvENKUlvE3_clEvEUlsssE_EEvRNS_18TensorIteratorBaseERKT_EUlibE_EEviT1_.has_recursion, 0
	.set _ZN2at6native32elementwise_kernel_manual_unrollILi128ELi4EZNS0_15gpu_kernel_implIZZZNS0_12_GLOBAL__N_116addr_kernel_cudaERNS_14TensorIteratorERKN3c106ScalarES9_ENKUlvE_clEvENKUlvE3_clEvEUlsssE_EEvRNS_18TensorIteratorBaseERKT_EUlibE_EEviT1_.has_indirect_call, 0
	.section	.AMDGPU.csdata,"",@progbits
; Kernel info:
; codeLenInByte = 55408
; TotalNumSgprs: 41
; NumVgprs: 22
; ScratchSize: 0
; MemoryBound: 1
; FloatMode: 240
; IeeeMode: 1
; LDSByteSize: 0 bytes/workgroup (compile time only)
; SGPRBlocks: 0
; VGPRBlocks: 1
; NumSGPRsForWavesPerEU: 41
; NumVGPRsForWavesPerEU: 22
; NamedBarCnt: 0
; Occupancy: 16
; WaveLimiterHint : 0
; COMPUTE_PGM_RSRC2:SCRATCH_EN: 0
; COMPUTE_PGM_RSRC2:USER_SGPR: 2
; COMPUTE_PGM_RSRC2:TRAP_HANDLER: 0
; COMPUTE_PGM_RSRC2:TGID_X_EN: 1
; COMPUTE_PGM_RSRC2:TGID_Y_EN: 0
; COMPUTE_PGM_RSRC2:TGID_Z_EN: 0
; COMPUTE_PGM_RSRC2:TIDIG_COMP_CNT: 0
	.section	.text._ZN2at6native32elementwise_kernel_manual_unrollILi128ELi4EZNS0_15gpu_kernel_implIZZZNS0_12_GLOBAL__N_116addr_kernel_cudaERNS_14TensorIteratorERKN3c106ScalarES9_ENKUlvE_clEvENKUlvE3_clEvEUlsssE_EEvRNS_18TensorIteratorBaseERKT_EUlibE0_EEviT1_,"axG",@progbits,_ZN2at6native32elementwise_kernel_manual_unrollILi128ELi4EZNS0_15gpu_kernel_implIZZZNS0_12_GLOBAL__N_116addr_kernel_cudaERNS_14TensorIteratorERKN3c106ScalarES9_ENKUlvE_clEvENKUlvE3_clEvEUlsssE_EEvRNS_18TensorIteratorBaseERKT_EUlibE0_EEviT1_,comdat
	.globl	_ZN2at6native32elementwise_kernel_manual_unrollILi128ELi4EZNS0_15gpu_kernel_implIZZZNS0_12_GLOBAL__N_116addr_kernel_cudaERNS_14TensorIteratorERKN3c106ScalarES9_ENKUlvE_clEvENKUlvE3_clEvEUlsssE_EEvRNS_18TensorIteratorBaseERKT_EUlibE0_EEviT1_ ; -- Begin function _ZN2at6native32elementwise_kernel_manual_unrollILi128ELi4EZNS0_15gpu_kernel_implIZZZNS0_12_GLOBAL__N_116addr_kernel_cudaERNS_14TensorIteratorERKN3c106ScalarES9_ENKUlvE_clEvENKUlvE3_clEvEUlsssE_EEvRNS_18TensorIteratorBaseERKT_EUlibE0_EEviT1_
	.p2align	8
	.type	_ZN2at6native32elementwise_kernel_manual_unrollILi128ELi4EZNS0_15gpu_kernel_implIZZZNS0_12_GLOBAL__N_116addr_kernel_cudaERNS_14TensorIteratorERKN3c106ScalarES9_ENKUlvE_clEvENKUlvE3_clEvEUlsssE_EEvRNS_18TensorIteratorBaseERKT_EUlibE0_EEviT1_,@function
_ZN2at6native32elementwise_kernel_manual_unrollILi128ELi4EZNS0_15gpu_kernel_implIZZZNS0_12_GLOBAL__N_116addr_kernel_cudaERNS_14TensorIteratorERKN3c106ScalarES9_ENKUlvE_clEvENKUlvE3_clEvEUlsssE_EEvRNS_18TensorIteratorBaseERKT_EUlibE0_EEviT1_: ; @_ZN2at6native32elementwise_kernel_manual_unrollILi128ELi4EZNS0_15gpu_kernel_implIZZZNS0_12_GLOBAL__N_116addr_kernel_cudaERNS_14TensorIteratorERKN3c106ScalarES9_ENKUlvE_clEvENKUlvE3_clEvEUlsssE_EEvRNS_18TensorIteratorBaseERKT_EUlibE0_EEviT1_
; %bb.0:
	s_clause 0x1
	s_load_b32 s15, s[0:1], 0x8
	s_load_b32 s40, s[0:1], 0x0
	s_bfe_u32 s2, ttmp6, 0x4000c
	s_and_b32 s3, ttmp6, 15
	s_add_co_i32 s2, s2, 1
	s_getreg_b32 s4, hwreg(HW_REG_IB_STS2, 6, 4)
	s_mul_i32 s2, ttmp9, s2
	s_mov_b32 s29, 0
	s_add_co_i32 s3, s3, s2
	s_cmp_eq_u32 s4, 0
	s_mov_b32 s24, -1
	s_cselect_b32 s2, ttmp9, s3
	s_mov_b32 s6, 0
	v_lshl_or_b32 v0, s2, 9, v0
	s_add_nc_u64 s[2:3], s[0:1], 8
	s_wait_xcnt 0x0
	s_mov_b32 s0, exec_lo
	s_delay_alu instid0(VALU_DEP_1) | instskip(SKIP_2) | instid1(SALU_CYCLE_1)
	v_or_b32_e32 v1, 0x180, v0
	s_wait_kmcnt 0x0
	s_add_co_i32 s28, s15, -1
	s_cmp_gt_u32 s28, 1
	s_cselect_b32 s30, -1, 0
	v_cmpx_le_i32_e64 s40, v1
	s_xor_b32 s31, exec_lo, s0
	s_cbranch_execz .LBB87_1638
; %bb.1:
	v_mov_b32_e32 v1, 0
	s_clause 0x7
	s_load_b128 s[8:11], s[2:3], 0x4
	s_load_b64 s[0:1], s[2:3], 0x14
	s_load_b32 s37, s[2:3], 0xc4
	s_load_b96 s[12:14], s[2:3], 0xcc
	s_load_b64 s[20:21], s[2:3], 0xdc
	s_load_b64 s[16:17], s[2:3], 0x1c8
	s_load_b32 s33, s[2:3], 0x1e8
	s_load_b128 s[4:7], s[2:3], 0x1d8
	s_cmp_lg_u32 s15, 0
	s_mov_b32 s19, 0
	s_cselect_b32 s41, -1, 0
	global_load_b32 v1, v1, s[2:3] offset:490
	s_min_u32 s39, s28, 15
	s_cmp_gt_u32 s15, 1
	s_mov_b32 s23, s19
	s_mov_b32 s45, s19
	;; [unrolled: 1-line block ×4, first 2 shown]
	s_cselect_b32 s38, -1, 0
	s_mov_b32 s42, s19
	s_wait_kmcnt 0x0
	s_mov_b32 s18, s9
	s_mov_b32 s22, s0
	s_mov_b32 s46, exec_lo
	s_wait_loadcnt 0x0
	v_readfirstlane_b32 s34, v1
	s_lshr_b32 s35, s34, 16
	s_lshr_b32 s36, s34, 8
	;; [unrolled: 1-line block ×3, first 2 shown]
	v_cmpx_gt_i32_e64 s40, v0
	s_cbranch_execz .LBB87_405
; %bb.2:
	s_and_not1_b32 vcc_lo, exec_lo, s30
	s_cbranch_vccnz .LBB87_8
; %bb.3:
	s_and_not1_b32 vcc_lo, exec_lo, s41
	s_cbranch_vccnz .LBB87_9
; %bb.4:
	v_dual_mov_b32 v2, 0 :: v_dual_mov_b32 v1, v0
	v_dual_mov_b32 v4, 0 :: v_dual_mov_b32 v6, 0
	s_add_co_i32 s0, s39, 1
	s_mov_b64 s[24:25], 0xffffffffffffffe0
	s_and_b32 s0, s0, 30
	s_add_nc_u64 s[24:25], s[2:3], s[24:25]
	s_mov_b64 s[26:27], s[2:3]
.LBB87_5:                               ; =>This Inner Loop Header: Depth=1
	s_clause 0x1
	s_load_b128 s[48:51], s[26:27], 0x4
	s_load_b64 s[42:43], s[26:27], 0x14
	s_load_b32 s44, s[24:25], 0xe4
	s_add_co_i32 s0, s0, -2
	s_wait_xcnt 0x0
	s_add_nc_u64 s[26:27], s[26:27], 24
	s_cmp_lg_u32 s0, 0
	s_wait_kmcnt 0x0
	v_mul_hi_u32 v3, s49, v1
	s_delay_alu instid0(VALU_DEP_1) | instskip(NEXT) | instid1(VALU_DEP_1)
	v_add_nc_u32_e32 v3, v1, v3
	v_lshrrev_b32_e32 v3, s50, v3
	s_delay_alu instid0(VALU_DEP_1) | instskip(SKIP_2) | instid1(VALU_DEP_1)
	v_mul_hi_u32 v5, s42, v3
	v_mul_lo_u32 v7, v3, s48
	s_load_b96 s[48:50], s[24:25], 0xec
	v_dual_add_nc_u32 v5, v3, v5 :: v_dual_sub_nc_u32 v7, v1, v7
	s_delay_alu instid0(VALU_DEP_1) | instskip(SKIP_1) | instid1(VALU_DEP_2)
	v_lshrrev_b32_e32 v1, s43, v5
	s_load_b64 s[42:43], s[24:25], 0xfc
	v_mad_u32 v2, v7, s44, v2
	s_wait_xcnt 0x0
	s_add_nc_u64 s[24:25], s[24:25], 32
	v_mul_lo_u32 v5, v1, s51
	s_wait_kmcnt 0x0
	v_mad_u32 v6, v7, s49, v6
	v_mad_u32 v4, v7, s48, v4
	s_delay_alu instid0(VALU_DEP_3) | instskip(NEXT) | instid1(VALU_DEP_1)
	v_sub_nc_u32_e32 v3, v3, v5
	v_mad_u32 v2, v3, s50, v2
	s_delay_alu instid0(VALU_DEP_4) | instskip(NEXT) | instid1(VALU_DEP_4)
	v_mad_u32 v6, v3, s43, v6
	v_mad_u32 v4, v3, s42, v4
	s_cbranch_scc1 .LBB87_5
; %bb.6:
	s_bitcmp1_b32 s39, 0
	s_cselect_b32 s0, -1, 0
	s_delay_alu instid0(SALU_CYCLE_1)
	s_and_b32 vcc_lo, exec_lo, s0
	s_cbranch_vccnz .LBB87_10
; %bb.7:
	s_load_b96 s[48:50], s[26:27], 0x4
	s_load_b32 s0, s[24:25], 0xe4
	s_wait_xcnt 0x0
	s_load_b64 s[26:27], s[24:25], 0xec
	s_wait_kmcnt 0x0
	v_mul_hi_u32 v3, s49, v1
	s_delay_alu instid0(VALU_DEP_1) | instskip(NEXT) | instid1(VALU_DEP_1)
	v_add_nc_u32_e32 v3, v1, v3
	v_lshrrev_b32_e32 v3, s50, v3
	s_delay_alu instid0(VALU_DEP_1) | instskip(NEXT) | instid1(VALU_DEP_1)
	v_mul_lo_u32 v3, v3, s48
	v_sub_nc_u32_e32 v1, v1, v3
	s_delay_alu instid0(VALU_DEP_1)
	v_mad_u32 v2, v1, s0, v2
	v_mad_u32 v4, v1, s26, v4
	;; [unrolled: 1-line block ×3, first 2 shown]
	s_cbranch_execz .LBB87_11
	s_branch .LBB87_13
.LBB87_8:
                                        ; implicit-def: $vgpr6
                                        ; implicit-def: $vgpr4
                                        ; implicit-def: $vgpr2
	s_branch .LBB87_11
.LBB87_9:
	v_dual_mov_b32 v6, 0 :: v_dual_mov_b32 v4, 0
	v_mov_b32_e32 v2, 0
.LBB87_10:
	s_cbranch_execnz .LBB87_13
.LBB87_11:
	v_mov_b32_e32 v1, 0
	s_and_not1_b32 vcc_lo, exec_lo, s38
	s_delay_alu instid0(VALU_DEP_1) | instskip(NEXT) | instid1(VALU_DEP_1)
	v_mul_u64_e32 v[2:3], s[18:19], v[0:1]
	v_add_nc_u32_e32 v2, v0, v3
	s_delay_alu instid0(VALU_DEP_1) | instskip(NEXT) | instid1(VALU_DEP_1)
	v_lshrrev_b32_e32 v8, s10, v2
	v_mul_lo_u32 v2, v8, s8
	s_delay_alu instid0(VALU_DEP_1) | instskip(NEXT) | instid1(VALU_DEP_1)
	v_sub_nc_u32_e32 v3, v0, v2
	v_mul_lo_u32 v2, v3, s37
	v_mul_lo_u32 v6, v3, s13
	;; [unrolled: 1-line block ×3, first 2 shown]
	s_cbranch_vccnz .LBB87_13
; %bb.12:
	v_mov_b32_e32 v9, v1
	s_delay_alu instid0(VALU_DEP_1) | instskip(NEXT) | instid1(VALU_DEP_1)
	v_mul_u64_e32 v[10:11], s[22:23], v[8:9]
	v_add_nc_u32_e32 v1, v8, v11
	s_delay_alu instid0(VALU_DEP_1) | instskip(NEXT) | instid1(VALU_DEP_1)
	v_lshrrev_b32_e32 v1, s1, v1
	v_mul_lo_u32 v1, v1, s11
	s_delay_alu instid0(VALU_DEP_1) | instskip(NEXT) | instid1(VALU_DEP_1)
	v_sub_nc_u32_e32 v1, v8, v1
	v_mad_u32 v2, v1, s14, v2
	v_mad_u32 v4, v1, s20, v4
	;; [unrolled: 1-line block ×3, first 2 shown]
.LBB87_13:
	s_and_b32 s24, s36, 0xff
	s_delay_alu instid0(SALU_CYCLE_1)
	s_cmp_lt_i32 s24, 23
	s_cbranch_scc1 .LBB87_17
; %bb.14:
	s_and_b32 s26, 0xffff, s24
	s_delay_alu instid0(SALU_CYCLE_1)
	s_cmp_gt_i32 s26, 43
	s_cbranch_scc0 .LBB87_18
; %bb.15:
	s_cmp_gt_i32 s26, 45
	s_cbranch_scc0 .LBB87_19
; %bb.16:
	s_cmp_eq_u32 s26, 46
	s_mov_b32 s27, 0
	s_mov_b32 s25, -1
	s_cselect_b32 s0, -1, 0
	s_branch .LBB87_20
.LBB87_17:
	s_mov_b32 s25, 0
	s_mov_b32 s0, 0
	s_cbranch_execnz .LBB87_25
	s_branch .LBB87_29
.LBB87_18:
	s_mov_b32 s25, 0
	s_mov_b32 s0, 0
	s_cbranch_execnz .LBB87_23
	s_branch .LBB87_24
.LBB87_19:
	s_mov_b32 s27, -1
	s_mov_b32 s25, 0
	s_mov_b32 s0, 0
.LBB87_20:
	s_and_not1_b32 vcc_lo, exec_lo, s27
	s_cbranch_vccnz .LBB87_22
; %bb.21:
	s_cmp_eq_u32 s26, 44
	s_cselect_b32 s0, -1, 0
	s_cmp_lg_u32 s26, 44
	s_cselect_b32 s25, -1, 0
.LBB87_22:
	s_branch .LBB87_24
.LBB87_23:
	s_cmp_lt_i32 s26, 30
	s_cselect_b32 s0, -1, 0
	s_cmp_gt_i32 s26, 29
	s_cselect_b32 s25, -1, 0
.LBB87_24:
	s_branch .LBB87_29
.LBB87_25:
	s_and_b32 s24, 0xffff, s24
	s_mov_b32 s26, -1
	s_cmp_gt_i32 s24, 14
	s_cbranch_scc0 .LBB87_27
; %bb.26:
	s_cmp_eq_u32 s24, 15
	s_mov_b32 s26, 0
	s_cselect_b32 s0, -1, 0
	s_cmp_lg_u32 s24, 15
	s_cselect_b32 s25, -1, 0
.LBB87_27:
	s_and_not1_b32 vcc_lo, exec_lo, s26
	s_cbranch_vccnz .LBB87_29
; %bb.28:
	s_cmp_lt_i32 s24, 12
	s_cselect_b32 s0, -1, 0
	s_cmp_gt_i32 s24, 11
	s_cselect_b32 s25, -1, 0
.LBB87_29:
	s_and_b32 vcc_lo, exec_lo, s0
	s_cbranch_vccz .LBB87_37
; %bb.30:
	v_mov_b32_e32 v5, 0
	s_and_b32 s0, s35, 0xff
	s_delay_alu instid0(SALU_CYCLE_1) | instskip(NEXT) | instid1(VALU_DEP_1)
	s_cmp_lt_i32 s0, 11
	v_add_nc_u64_e32 v[8:9], s[4:5], v[4:5]
	s_cbranch_scc1 .LBB87_39
; %bb.31:
	s_and_b32 s25, 0xffff, s0
	s_delay_alu instid0(SALU_CYCLE_1)
	s_cmp_gt_i32 s25, 25
	s_cbranch_scc0 .LBB87_40
; %bb.32:
	s_cmp_gt_i32 s25, 28
	s_cbranch_scc0 .LBB87_41
; %bb.33:
	;; [unrolled: 3-line block ×4, first 2 shown]
	s_cmp_eq_u32 s25, 46
	s_mov_b32 s27, 0
	s_cbranch_scc0 .LBB87_44
; %bb.36:
	global_load_b32 v1, v[8:9], off
	s_mov_b32 s26, -1
	s_mov_b32 s24, 0
	s_wait_loadcnt 0x0
	v_lshlrev_b32_e32 v1, 16, v1
	s_delay_alu instid0(VALU_DEP_1)
	v_cvt_i32_f32_e32 v4, v1
	s_branch .LBB87_46
.LBB87_37:
	s_mov_b32 s0, 0
	s_mov_b32 s26, 0
	;; [unrolled: 1-line block ×3, first 2 shown]
.LBB87_38:
	s_mov_b32 s27, 0
                                        ; implicit-def: $vgpr0
	s_branch .LBB87_404
.LBB87_39:
	s_mov_b32 s24, 0
	s_mov_b32 s26, 0
                                        ; implicit-def: $vgpr4
	s_cbranch_execnz .LBB87_107
	s_branch .LBB87_155
.LBB87_40:
	s_mov_b32 s27, -1
	s_mov_b32 s24, 0
	s_mov_b32 s26, 0
                                        ; implicit-def: $vgpr4
	s_branch .LBB87_73
.LBB87_41:
	s_mov_b32 s27, -1
	s_mov_b32 s24, 0
	s_mov_b32 s26, 0
                                        ; implicit-def: $vgpr4
	s_branch .LBB87_56
.LBB87_42:
	s_mov_b32 s27, -1
	s_mov_b32 s24, 0
	s_mov_b32 s26, 0
                                        ; implicit-def: $vgpr4
	s_branch .LBB87_51
.LBB87_43:
	s_mov_b32 s27, -1
	s_mov_b32 s24, 0
	s_branch .LBB87_45
.LBB87_44:
	s_mov_b32 s24, -1
.LBB87_45:
	s_mov_b32 s26, 0
                                        ; implicit-def: $vgpr4
.LBB87_46:
	s_and_b32 vcc_lo, exec_lo, s27
	s_cbranch_vccz .LBB87_50
; %bb.47:
	s_cmp_eq_u32 s25, 44
	s_cbranch_scc0 .LBB87_49
; %bb.48:
	global_load_u8 v1, v[8:9], off
	s_mov_b32 s24, 0
	s_mov_b32 s26, -1
	s_wait_loadcnt 0x0
	v_lshlrev_b32_e32 v3, 23, v1
	v_cmp_ne_u32_e32 vcc_lo, 0, v1
	s_delay_alu instid0(VALU_DEP_2) | instskip(NEXT) | instid1(VALU_DEP_1)
	v_cvt_i32_f32_e32 v3, v3
	v_cndmask_b32_e32 v4, 0, v3, vcc_lo
	s_branch .LBB87_50
.LBB87_49:
	s_mov_b32 s24, -1
                                        ; implicit-def: $vgpr4
.LBB87_50:
	s_mov_b32 s27, 0
.LBB87_51:
	s_delay_alu instid0(SALU_CYCLE_1)
	s_and_b32 vcc_lo, exec_lo, s27
	s_cbranch_vccz .LBB87_55
; %bb.52:
	s_cmp_eq_u32 s25, 29
	s_cbranch_scc0 .LBB87_54
; %bb.53:
	global_load_b64 v[4:5], v[8:9], off
	s_mov_b32 s26, -1
	s_mov_b32 s24, 0
	s_branch .LBB87_55
.LBB87_54:
	s_mov_b32 s24, -1
                                        ; implicit-def: $vgpr4
.LBB87_55:
	s_mov_b32 s27, 0
.LBB87_56:
	s_delay_alu instid0(SALU_CYCLE_1)
	s_and_b32 vcc_lo, exec_lo, s27
	s_cbranch_vccz .LBB87_72
; %bb.57:
	s_cmp_lt_i32 s25, 27
	s_cbranch_scc1 .LBB87_60
; %bb.58:
	s_cmp_gt_i32 s25, 27
	s_cbranch_scc0 .LBB87_61
; %bb.59:
	s_wait_loadcnt 0x0
	global_load_b32 v4, v[8:9], off
	s_mov_b32 s26, 0
	s_branch .LBB87_62
.LBB87_60:
	s_mov_b32 s26, -1
                                        ; implicit-def: $vgpr4
	s_branch .LBB87_65
.LBB87_61:
	s_mov_b32 s26, -1
                                        ; implicit-def: $vgpr4
.LBB87_62:
	s_delay_alu instid0(SALU_CYCLE_1)
	s_and_not1_b32 vcc_lo, exec_lo, s26
	s_cbranch_vccnz .LBB87_64
; %bb.63:
	s_wait_loadcnt 0x0
	global_load_u16 v4, v[8:9], off
.LBB87_64:
	s_mov_b32 s26, 0
.LBB87_65:
	s_delay_alu instid0(SALU_CYCLE_1)
	s_and_not1_b32 vcc_lo, exec_lo, s26
	s_cbranch_vccnz .LBB87_71
; %bb.66:
	global_load_u8 v1, v[8:9], off
	s_mov_b32 s27, 0
	s_mov_b32 s26, exec_lo
	s_wait_loadcnt 0x0
	v_cmpx_lt_i16_e32 0x7f, v1
	s_xor_b32 s26, exec_lo, s26
	s_cbranch_execz .LBB87_83
; %bb.67:
	v_cmp_ne_u16_e32 vcc_lo, 0x80, v1
	s_and_b32 s27, vcc_lo, exec_lo
	s_and_not1_saveexec_b32 s26, s26
	s_cbranch_execnz .LBB87_84
.LBB87_68:
	s_or_b32 exec_lo, exec_lo, s26
	v_mov_b32_e32 v4, 0
	s_and_saveexec_b32 s26, s27
	s_cbranch_execz .LBB87_70
.LBB87_69:
	v_and_b32_e32 v3, 0xffff, v1
	s_delay_alu instid0(VALU_DEP_1) | instskip(SKIP_1) | instid1(VALU_DEP_2)
	v_and_b32_e32 v4, 7, v3
	v_bfe_u32 v10, v3, 3, 4
	v_clz_i32_u32_e32 v5, v4
	s_delay_alu instid0(VALU_DEP_2) | instskip(NEXT) | instid1(VALU_DEP_2)
	v_cmp_eq_u32_e32 vcc_lo, 0, v10
	v_min_u32_e32 v5, 32, v5
	s_delay_alu instid0(VALU_DEP_1) | instskip(NEXT) | instid1(VALU_DEP_1)
	v_subrev_nc_u32_e32 v7, 28, v5
	v_dual_lshlrev_b32 v3, v7, v3 :: v_dual_sub_nc_u32 v5, 29, v5
	s_delay_alu instid0(VALU_DEP_1) | instskip(NEXT) | instid1(VALU_DEP_1)
	v_dual_lshlrev_b32 v1, 24, v1 :: v_dual_bitop2_b32 v3, 7, v3 bitop3:0x40
	v_dual_cndmask_b32 v3, v4, v3, vcc_lo :: v_dual_cndmask_b32 v5, v10, v5, vcc_lo
	s_delay_alu instid0(VALU_DEP_2) | instskip(NEXT) | instid1(VALU_DEP_2)
	v_and_b32_e32 v1, 0x80000000, v1
	v_lshlrev_b32_e32 v3, 20, v3
	s_delay_alu instid0(VALU_DEP_3) | instskip(NEXT) | instid1(VALU_DEP_1)
	v_lshl_add_u32 v4, v5, 23, 0x3b800000
	v_or3_b32 v1, v1, v4, v3
	s_delay_alu instid0(VALU_DEP_1)
	v_cvt_i32_f32_e32 v4, v1
.LBB87_70:
	s_or_b32 exec_lo, exec_lo, s26
.LBB87_71:
	s_mov_b32 s26, -1
.LBB87_72:
	s_mov_b32 s27, 0
.LBB87_73:
	s_delay_alu instid0(SALU_CYCLE_1)
	s_and_b32 vcc_lo, exec_lo, s27
	s_cbranch_vccz .LBB87_106
; %bb.74:
	s_cmp_gt_i32 s25, 22
	s_cbranch_scc0 .LBB87_82
; %bb.75:
	s_cmp_lt_i32 s25, 24
	s_cbranch_scc1 .LBB87_85
; %bb.76:
	s_cmp_gt_i32 s25, 24
	s_cbranch_scc0 .LBB87_86
; %bb.77:
	global_load_u8 v1, v[8:9], off
	s_mov_b32 s27, 0
	s_mov_b32 s26, exec_lo
	s_wait_loadcnt 0x0
	v_cmpx_lt_i16_e32 0x7f, v1
	s_xor_b32 s26, exec_lo, s26
	s_cbranch_execz .LBB87_98
; %bb.78:
	v_cmp_ne_u16_e32 vcc_lo, 0x80, v1
	s_and_b32 s27, vcc_lo, exec_lo
	s_and_not1_saveexec_b32 s26, s26
	s_cbranch_execnz .LBB87_99
.LBB87_79:
	s_or_b32 exec_lo, exec_lo, s26
	v_mov_b32_e32 v4, 0
	s_and_saveexec_b32 s26, s27
	s_cbranch_execz .LBB87_81
.LBB87_80:
	v_and_b32_e32 v3, 0xffff, v1
	s_delay_alu instid0(VALU_DEP_1) | instskip(SKIP_1) | instid1(VALU_DEP_2)
	v_and_b32_e32 v4, 3, v3
	v_bfe_u32 v10, v3, 2, 5
	v_clz_i32_u32_e32 v5, v4
	s_delay_alu instid0(VALU_DEP_2) | instskip(NEXT) | instid1(VALU_DEP_2)
	v_cmp_eq_u32_e32 vcc_lo, 0, v10
	v_min_u32_e32 v5, 32, v5
	s_delay_alu instid0(VALU_DEP_1) | instskip(NEXT) | instid1(VALU_DEP_1)
	v_subrev_nc_u32_e32 v7, 29, v5
	v_dual_lshlrev_b32 v3, v7, v3 :: v_dual_sub_nc_u32 v5, 30, v5
	s_delay_alu instid0(VALU_DEP_1) | instskip(NEXT) | instid1(VALU_DEP_1)
	v_dual_lshlrev_b32 v1, 24, v1 :: v_dual_bitop2_b32 v3, 3, v3 bitop3:0x40
	v_dual_cndmask_b32 v3, v4, v3, vcc_lo :: v_dual_cndmask_b32 v5, v10, v5, vcc_lo
	s_delay_alu instid0(VALU_DEP_2) | instskip(NEXT) | instid1(VALU_DEP_2)
	v_and_b32_e32 v1, 0x80000000, v1
	v_lshlrev_b32_e32 v3, 21, v3
	s_delay_alu instid0(VALU_DEP_3) | instskip(NEXT) | instid1(VALU_DEP_1)
	v_lshl_add_u32 v4, v5, 23, 0x37800000
	v_or3_b32 v1, v1, v4, v3
	s_delay_alu instid0(VALU_DEP_1)
	v_cvt_i32_f32_e32 v4, v1
.LBB87_81:
	s_or_b32 exec_lo, exec_lo, s26
	s_mov_b32 s26, 0
	s_branch .LBB87_87
.LBB87_82:
	s_mov_b32 s27, -1
                                        ; implicit-def: $vgpr4
	s_branch .LBB87_93
.LBB87_83:
	s_and_not1_saveexec_b32 s26, s26
	s_cbranch_execz .LBB87_68
.LBB87_84:
	v_cmp_ne_u16_e32 vcc_lo, 0, v1
	s_and_not1_b32 s27, s27, exec_lo
	s_and_b32 s42, vcc_lo, exec_lo
	s_delay_alu instid0(SALU_CYCLE_1)
	s_or_b32 s27, s27, s42
	s_or_b32 exec_lo, exec_lo, s26
	v_mov_b32_e32 v4, 0
	s_and_saveexec_b32 s26, s27
	s_cbranch_execnz .LBB87_69
	s_branch .LBB87_70
.LBB87_85:
	s_mov_b32 s26, -1
                                        ; implicit-def: $vgpr4
	s_branch .LBB87_90
.LBB87_86:
	s_mov_b32 s26, -1
                                        ; implicit-def: $vgpr4
.LBB87_87:
	s_delay_alu instid0(SALU_CYCLE_1)
	s_and_b32 vcc_lo, exec_lo, s26
	s_cbranch_vccz .LBB87_89
; %bb.88:
	global_load_u8 v1, v[8:9], off
	s_wait_loadcnt 0x0
	v_lshlrev_b32_e32 v1, 24, v1
	s_delay_alu instid0(VALU_DEP_1) | instskip(NEXT) | instid1(VALU_DEP_1)
	v_and_b32_e32 v3, 0x7f000000, v1
	v_clz_i32_u32_e32 v4, v3
	v_add_nc_u32_e32 v7, 0x1000000, v3
	v_cmp_ne_u32_e32 vcc_lo, 0, v3
	s_delay_alu instid0(VALU_DEP_3) | instskip(NEXT) | instid1(VALU_DEP_1)
	v_min_u32_e32 v4, 32, v4
	v_sub_nc_u32_e64 v4, v4, 4 clamp
	s_delay_alu instid0(VALU_DEP_1) | instskip(NEXT) | instid1(VALU_DEP_1)
	v_dual_lshlrev_b32 v5, v4, v3 :: v_dual_lshlrev_b32 v4, 23, v4
	v_lshrrev_b32_e32 v5, 4, v5
	s_delay_alu instid0(VALU_DEP_1) | instskip(NEXT) | instid1(VALU_DEP_1)
	v_dual_sub_nc_u32 v4, v5, v4 :: v_dual_ashrrev_i32 v5, 8, v7
	v_add_nc_u32_e32 v4, 0x3c000000, v4
	s_delay_alu instid0(VALU_DEP_1) | instskip(NEXT) | instid1(VALU_DEP_1)
	v_and_or_b32 v4, 0x7f800000, v5, v4
	v_cndmask_b32_e32 v3, 0, v4, vcc_lo
	s_delay_alu instid0(VALU_DEP_1) | instskip(NEXT) | instid1(VALU_DEP_1)
	v_and_or_b32 v1, 0x80000000, v1, v3
	v_cvt_i32_f32_e32 v4, v1
.LBB87_89:
	s_mov_b32 s26, 0
.LBB87_90:
	s_delay_alu instid0(SALU_CYCLE_1)
	s_and_not1_b32 vcc_lo, exec_lo, s26
	s_cbranch_vccnz .LBB87_92
; %bb.91:
	global_load_u8 v1, v[8:9], off
	s_wait_loadcnt 0x0
	v_lshlrev_b32_e32 v3, 25, v1
	v_lshlrev_b16 v1, 8, v1
	s_delay_alu instid0(VALU_DEP_1) | instskip(NEXT) | instid1(VALU_DEP_3)
	v_and_or_b32 v5, 0x7f00, v1, 0.5
	v_lshrrev_b32_e32 v4, 4, v3
	v_bfe_i32 v1, v1, 0, 16
	s_delay_alu instid0(VALU_DEP_3) | instskip(NEXT) | instid1(VALU_DEP_3)
	v_add_f32_e32 v5, -0.5, v5
	v_or_b32_e32 v4, 0x70000000, v4
	s_delay_alu instid0(VALU_DEP_1) | instskip(SKIP_1) | instid1(VALU_DEP_2)
	v_mul_f32_e32 v4, 0x7800000, v4
	v_cmp_gt_u32_e32 vcc_lo, 0x8000000, v3
	v_cndmask_b32_e32 v3, v4, v5, vcc_lo
	s_delay_alu instid0(VALU_DEP_1) | instskip(NEXT) | instid1(VALU_DEP_1)
	v_and_or_b32 v1, 0x80000000, v1, v3
	v_cvt_i32_f32_e32 v4, v1
.LBB87_92:
	s_mov_b32 s27, 0
	s_mov_b32 s26, -1
.LBB87_93:
	s_and_not1_b32 vcc_lo, exec_lo, s27
	s_cbranch_vccnz .LBB87_106
; %bb.94:
	s_cmp_gt_i32 s25, 14
	s_cbranch_scc0 .LBB87_97
; %bb.95:
	s_cmp_eq_u32 s25, 15
	s_cbranch_scc0 .LBB87_100
; %bb.96:
	global_load_u16 v1, v[8:9], off
	s_mov_b32 s26, -1
	s_mov_b32 s24, 0
	s_wait_loadcnt 0x0
	v_lshlrev_b32_e32 v1, 16, v1
	s_delay_alu instid0(VALU_DEP_1)
	v_cvt_i32_f32_e32 v4, v1
	s_branch .LBB87_101
.LBB87_97:
	s_mov_b32 s27, -1
                                        ; implicit-def: $vgpr4
	s_branch .LBB87_102
.LBB87_98:
	s_and_not1_saveexec_b32 s26, s26
	s_cbranch_execz .LBB87_79
.LBB87_99:
	v_cmp_ne_u16_e32 vcc_lo, 0, v1
	s_and_not1_b32 s27, s27, exec_lo
	s_and_b32 s42, vcc_lo, exec_lo
	s_delay_alu instid0(SALU_CYCLE_1)
	s_or_b32 s27, s27, s42
	s_or_b32 exec_lo, exec_lo, s26
	v_mov_b32_e32 v4, 0
	s_and_saveexec_b32 s26, s27
	s_cbranch_execnz .LBB87_80
	s_branch .LBB87_81
.LBB87_100:
	s_mov_b32 s24, -1
                                        ; implicit-def: $vgpr4
.LBB87_101:
	s_mov_b32 s27, 0
.LBB87_102:
	s_delay_alu instid0(SALU_CYCLE_1)
	s_and_b32 vcc_lo, exec_lo, s27
	s_cbranch_vccz .LBB87_106
; %bb.103:
	s_cmp_eq_u32 s25, 11
	s_cbranch_scc0 .LBB87_105
; %bb.104:
	global_load_u8 v1, v[8:9], off
	s_mov_b32 s24, 0
	s_mov_b32 s26, -1
	s_wait_loadcnt 0x0
	v_cmp_ne_u16_e32 vcc_lo, 0, v1
	v_cndmask_b32_e64 v4, 0, 1, vcc_lo
	s_branch .LBB87_106
.LBB87_105:
	s_mov_b32 s24, -1
                                        ; implicit-def: $vgpr4
.LBB87_106:
	s_branch .LBB87_155
.LBB87_107:
	s_and_b32 s0, 0xffff, s0
	s_delay_alu instid0(SALU_CYCLE_1)
	s_cmp_lt_i32 s0, 5
	s_cbranch_scc1 .LBB87_112
; %bb.108:
	s_cmp_lt_i32 s0, 8
	s_cbranch_scc1 .LBB87_113
; %bb.109:
	;; [unrolled: 3-line block ×3, first 2 shown]
	s_cmp_gt_i32 s0, 9
	s_cbranch_scc0 .LBB87_115
; %bb.111:
	s_wait_loadcnt 0x0
	global_load_b64 v[4:5], v[8:9], off
	s_mov_b32 s25, 0
	s_wait_loadcnt 0x0
	v_cvt_i32_f64_e32 v4, v[4:5]
	s_branch .LBB87_116
.LBB87_112:
	s_mov_b32 s25, -1
                                        ; implicit-def: $vgpr4
	s_branch .LBB87_134
.LBB87_113:
	s_mov_b32 s25, -1
                                        ; implicit-def: $vgpr4
	s_branch .LBB87_122
.LBB87_114:
	s_mov_b32 s25, -1
                                        ; implicit-def: $vgpr4
	s_branch .LBB87_119
.LBB87_115:
	s_mov_b32 s25, -1
                                        ; implicit-def: $vgpr4
.LBB87_116:
	s_delay_alu instid0(SALU_CYCLE_1)
	s_and_not1_b32 vcc_lo, exec_lo, s25
	s_cbranch_vccnz .LBB87_118
; %bb.117:
	global_load_b32 v1, v[8:9], off
	s_wait_loadcnt 0x0
	v_cvt_i32_f32_e32 v4, v1
.LBB87_118:
	s_mov_b32 s25, 0
.LBB87_119:
	s_delay_alu instid0(SALU_CYCLE_1)
	s_and_not1_b32 vcc_lo, exec_lo, s25
	s_cbranch_vccnz .LBB87_121
; %bb.120:
	global_load_b32 v1, v[8:9], off
	s_wait_loadcnt 0x0
	v_cvt_i16_f16_e32 v4, v1
.LBB87_121:
	s_mov_b32 s25, 0
.LBB87_122:
	s_delay_alu instid0(SALU_CYCLE_1)
	s_and_not1_b32 vcc_lo, exec_lo, s25
	s_cbranch_vccnz .LBB87_133
; %bb.123:
	s_cmp_lt_i32 s0, 6
	s_cbranch_scc1 .LBB87_126
; %bb.124:
	s_cmp_gt_i32 s0, 6
	s_cbranch_scc0 .LBB87_127
; %bb.125:
	s_wait_loadcnt 0x0
	global_load_b64 v[4:5], v[8:9], off
	s_mov_b32 s25, 0
	s_wait_loadcnt 0x0
	v_cvt_i32_f64_e32 v4, v[4:5]
	s_branch .LBB87_128
.LBB87_126:
	s_mov_b32 s25, -1
                                        ; implicit-def: $vgpr4
	s_branch .LBB87_131
.LBB87_127:
	s_mov_b32 s25, -1
                                        ; implicit-def: $vgpr4
.LBB87_128:
	s_delay_alu instid0(SALU_CYCLE_1)
	s_and_not1_b32 vcc_lo, exec_lo, s25
	s_cbranch_vccnz .LBB87_130
; %bb.129:
	global_load_b32 v1, v[8:9], off
	s_wait_loadcnt 0x0
	v_cvt_i32_f32_e32 v4, v1
.LBB87_130:
	s_mov_b32 s25, 0
.LBB87_131:
	s_delay_alu instid0(SALU_CYCLE_1)
	s_and_not1_b32 vcc_lo, exec_lo, s25
	s_cbranch_vccnz .LBB87_133
; %bb.132:
	global_load_u16 v1, v[8:9], off
	s_wait_loadcnt 0x0
	v_cvt_i16_f16_e32 v4, v1
.LBB87_133:
	s_mov_b32 s25, 0
.LBB87_134:
	s_delay_alu instid0(SALU_CYCLE_1)
	s_and_not1_b32 vcc_lo, exec_lo, s25
	s_cbranch_vccnz .LBB87_154
; %bb.135:
	s_cmp_lt_i32 s0, 2
	s_cbranch_scc1 .LBB87_139
; %bb.136:
	s_cmp_lt_i32 s0, 3
	s_cbranch_scc1 .LBB87_140
; %bb.137:
	s_cmp_gt_i32 s0, 3
	s_cbranch_scc0 .LBB87_141
; %bb.138:
	s_wait_loadcnt 0x0
	global_load_b64 v[4:5], v[8:9], off
	s_mov_b32 s25, 0
	s_branch .LBB87_142
.LBB87_139:
	s_mov_b32 s25, -1
                                        ; implicit-def: $vgpr4
	s_branch .LBB87_148
.LBB87_140:
	s_mov_b32 s25, -1
                                        ; implicit-def: $vgpr4
	s_branch .LBB87_145
.LBB87_141:
	s_mov_b32 s25, -1
                                        ; implicit-def: $vgpr4
.LBB87_142:
	s_delay_alu instid0(SALU_CYCLE_1)
	s_and_not1_b32 vcc_lo, exec_lo, s25
	s_cbranch_vccnz .LBB87_144
; %bb.143:
	s_wait_loadcnt 0x0
	global_load_b32 v4, v[8:9], off
.LBB87_144:
	s_mov_b32 s25, 0
.LBB87_145:
	s_delay_alu instid0(SALU_CYCLE_1)
	s_and_not1_b32 vcc_lo, exec_lo, s25
	s_cbranch_vccnz .LBB87_147
; %bb.146:
	s_wait_loadcnt 0x0
	global_load_u16 v4, v[8:9], off
.LBB87_147:
	s_mov_b32 s25, 0
.LBB87_148:
	s_delay_alu instid0(SALU_CYCLE_1)
	s_and_not1_b32 vcc_lo, exec_lo, s25
	s_cbranch_vccnz .LBB87_154
; %bb.149:
	s_cmp_gt_i32 s0, 0
	s_mov_b32 s0, 0
	s_cbranch_scc0 .LBB87_151
; %bb.150:
	s_wait_loadcnt 0x0
	global_load_i8 v4, v[8:9], off
	s_branch .LBB87_152
.LBB87_151:
	s_mov_b32 s0, -1
                                        ; implicit-def: $vgpr4
.LBB87_152:
	s_delay_alu instid0(SALU_CYCLE_1)
	s_and_not1_b32 vcc_lo, exec_lo, s0
	s_cbranch_vccnz .LBB87_154
; %bb.153:
	s_wait_loadcnt 0x0
	global_load_u8 v4, v[8:9], off
.LBB87_154:
	s_mov_b32 s26, -1
.LBB87_155:
	s_mov_b32 s25, 0
	s_mov_b32 s0, 0
	s_and_not1_b32 vcc_lo, exec_lo, s26
	s_mov_b32 s26, 0
	s_mov_b32 s27, 0
	s_cbranch_vccnz .LBB87_404
; %bb.156:
	v_mov_b32_e32 v7, 0
	s_and_b32 s0, 0xffff, s9
	s_delay_alu instid0(SALU_CYCLE_1) | instskip(NEXT) | instid1(VALU_DEP_1)
	s_cmp_lt_i32 s0, 11
	v_add_nc_u64_e32 v[6:7], s[6:7], v[6:7]
	s_cbranch_scc1 .LBB87_163
; %bb.157:
	s_cmp_gt_i32 s0, 25
	s_cbranch_scc0 .LBB87_164
; %bb.158:
	s_cmp_gt_i32 s0, 28
	s_cbranch_scc0 .LBB87_165
	;; [unrolled: 3-line block ×4, first 2 shown]
; %bb.161:
	s_cmp_eq_u32 s0, 46
	s_mov_b32 s42, 0
	s_cbranch_scc0 .LBB87_168
; %bb.162:
	global_load_b32 v1, v[6:7], off
	s_mov_b32 s27, -1
	s_wait_loadcnt 0x0
	v_lshlrev_b32_e32 v1, 16, v1
	s_delay_alu instid0(VALU_DEP_1)
	v_cvt_i32_f32_e32 v8, v1
	s_branch .LBB87_170
.LBB87_163:
	s_mov_b32 s42, -1
                                        ; implicit-def: $vgpr8
	s_branch .LBB87_231
.LBB87_164:
	s_mov_b32 s42, -1
                                        ; implicit-def: $vgpr8
	s_branch .LBB87_197
.LBB87_165:
	s_mov_b32 s42, -1
                                        ; implicit-def: $vgpr8
	s_branch .LBB87_180
.LBB87_166:
	s_mov_b32 s42, -1
                                        ; implicit-def: $vgpr8
	s_branch .LBB87_175
.LBB87_167:
	s_mov_b32 s42, -1
	s_branch .LBB87_169
.LBB87_168:
	s_mov_b32 s26, -1
.LBB87_169:
                                        ; implicit-def: $vgpr8
.LBB87_170:
	s_and_b32 vcc_lo, exec_lo, s42
	s_cbranch_vccz .LBB87_174
; %bb.171:
	s_cmp_eq_u32 s0, 44
	s_cbranch_scc0 .LBB87_173
; %bb.172:
	global_load_u8 v1, v[6:7], off
	s_mov_b32 s26, 0
	s_mov_b32 s27, -1
	s_wait_loadcnt 0x0
	v_lshlrev_b32_e32 v3, 23, v1
	v_cmp_ne_u32_e32 vcc_lo, 0, v1
	s_delay_alu instid0(VALU_DEP_2) | instskip(NEXT) | instid1(VALU_DEP_1)
	v_cvt_i32_f32_e32 v3, v3
	v_cndmask_b32_e32 v8, 0, v3, vcc_lo
	s_branch .LBB87_174
.LBB87_173:
	s_mov_b32 s26, -1
                                        ; implicit-def: $vgpr8
.LBB87_174:
	s_mov_b32 s42, 0
.LBB87_175:
	s_delay_alu instid0(SALU_CYCLE_1)
	s_and_b32 vcc_lo, exec_lo, s42
	s_cbranch_vccz .LBB87_179
; %bb.176:
	s_cmp_eq_u32 s0, 29
	s_cbranch_scc0 .LBB87_178
; %bb.177:
	global_load_b64 v[8:9], v[6:7], off
	s_mov_b32 s27, -1
	s_mov_b32 s26, 0
	s_branch .LBB87_179
.LBB87_178:
	s_mov_b32 s26, -1
                                        ; implicit-def: $vgpr8
.LBB87_179:
	s_mov_b32 s42, 0
.LBB87_180:
	s_delay_alu instid0(SALU_CYCLE_1)
	s_and_b32 vcc_lo, exec_lo, s42
	s_cbranch_vccz .LBB87_196
; %bb.181:
	s_cmp_lt_i32 s0, 27
	s_cbranch_scc1 .LBB87_184
; %bb.182:
	s_cmp_gt_i32 s0, 27
	s_cbranch_scc0 .LBB87_185
; %bb.183:
	s_wait_loadcnt 0x0
	global_load_b32 v8, v[6:7], off
	s_mov_b32 s27, 0
	s_branch .LBB87_186
.LBB87_184:
	s_mov_b32 s27, -1
                                        ; implicit-def: $vgpr8
	s_branch .LBB87_189
.LBB87_185:
	s_mov_b32 s27, -1
                                        ; implicit-def: $vgpr8
.LBB87_186:
	s_delay_alu instid0(SALU_CYCLE_1)
	s_and_not1_b32 vcc_lo, exec_lo, s27
	s_cbranch_vccnz .LBB87_188
; %bb.187:
	s_wait_loadcnt 0x0
	global_load_u16 v8, v[6:7], off
.LBB87_188:
	s_mov_b32 s27, 0
.LBB87_189:
	s_delay_alu instid0(SALU_CYCLE_1)
	s_and_not1_b32 vcc_lo, exec_lo, s27
	s_cbranch_vccnz .LBB87_195
; %bb.190:
	global_load_u8 v1, v[6:7], off
	s_mov_b32 s42, 0
	s_mov_b32 s27, exec_lo
	s_wait_loadcnt 0x0
	v_cmpx_lt_i16_e32 0x7f, v1
	s_xor_b32 s27, exec_lo, s27
	s_cbranch_execz .LBB87_207
; %bb.191:
	v_cmp_ne_u16_e32 vcc_lo, 0x80, v1
	s_and_b32 s42, vcc_lo, exec_lo
	s_and_not1_saveexec_b32 s27, s27
	s_cbranch_execnz .LBB87_208
.LBB87_192:
	s_or_b32 exec_lo, exec_lo, s27
	v_mov_b32_e32 v8, 0
	s_and_saveexec_b32 s27, s42
	s_cbranch_execz .LBB87_194
.LBB87_193:
	v_and_b32_e32 v3, 0xffff, v1
	s_delay_alu instid0(VALU_DEP_1) | instskip(SKIP_1) | instid1(VALU_DEP_2)
	v_and_b32_e32 v5, 7, v3
	v_bfe_u32 v10, v3, 3, 4
	v_clz_i32_u32_e32 v8, v5
	s_delay_alu instid0(VALU_DEP_2) | instskip(NEXT) | instid1(VALU_DEP_2)
	v_cmp_eq_u32_e32 vcc_lo, 0, v10
	v_min_u32_e32 v8, 32, v8
	s_delay_alu instid0(VALU_DEP_1) | instskip(NEXT) | instid1(VALU_DEP_1)
	v_subrev_nc_u32_e32 v9, 28, v8
	v_dual_lshlrev_b32 v3, v9, v3 :: v_dual_sub_nc_u32 v8, 29, v8
	s_delay_alu instid0(VALU_DEP_1) | instskip(NEXT) | instid1(VALU_DEP_1)
	v_dual_lshlrev_b32 v1, 24, v1 :: v_dual_bitop2_b32 v3, 7, v3 bitop3:0x40
	v_dual_cndmask_b32 v8, v10, v8 :: v_dual_cndmask_b32 v3, v5, v3
	s_delay_alu instid0(VALU_DEP_2) | instskip(NEXT) | instid1(VALU_DEP_2)
	v_and_b32_e32 v1, 0x80000000, v1
	v_lshl_add_u32 v5, v8, 23, 0x3b800000
	s_delay_alu instid0(VALU_DEP_3) | instskip(NEXT) | instid1(VALU_DEP_1)
	v_lshlrev_b32_e32 v3, 20, v3
	v_or3_b32 v1, v1, v5, v3
	s_delay_alu instid0(VALU_DEP_1)
	v_cvt_i32_f32_e32 v8, v1
.LBB87_194:
	s_or_b32 exec_lo, exec_lo, s27
.LBB87_195:
	s_mov_b32 s27, -1
.LBB87_196:
	s_mov_b32 s42, 0
.LBB87_197:
	s_delay_alu instid0(SALU_CYCLE_1)
	s_and_b32 vcc_lo, exec_lo, s42
	s_cbranch_vccz .LBB87_230
; %bb.198:
	s_cmp_gt_i32 s0, 22
	s_cbranch_scc0 .LBB87_206
; %bb.199:
	s_cmp_lt_i32 s0, 24
	s_cbranch_scc1 .LBB87_209
; %bb.200:
	s_cmp_gt_i32 s0, 24
	s_cbranch_scc0 .LBB87_210
; %bb.201:
	global_load_u8 v1, v[6:7], off
	s_mov_b32 s42, 0
	s_mov_b32 s27, exec_lo
	s_wait_loadcnt 0x0
	v_cmpx_lt_i16_e32 0x7f, v1
	s_xor_b32 s27, exec_lo, s27
	s_cbranch_execz .LBB87_222
; %bb.202:
	v_cmp_ne_u16_e32 vcc_lo, 0x80, v1
	s_and_b32 s42, vcc_lo, exec_lo
	s_and_not1_saveexec_b32 s27, s27
	s_cbranch_execnz .LBB87_223
.LBB87_203:
	s_or_b32 exec_lo, exec_lo, s27
	v_mov_b32_e32 v8, 0
	s_and_saveexec_b32 s27, s42
	s_cbranch_execz .LBB87_205
.LBB87_204:
	v_and_b32_e32 v3, 0xffff, v1
	s_delay_alu instid0(VALU_DEP_1) | instskip(SKIP_1) | instid1(VALU_DEP_2)
	v_and_b32_e32 v5, 3, v3
	v_bfe_u32 v10, v3, 2, 5
	v_clz_i32_u32_e32 v8, v5
	s_delay_alu instid0(VALU_DEP_2) | instskip(NEXT) | instid1(VALU_DEP_2)
	v_cmp_eq_u32_e32 vcc_lo, 0, v10
	v_min_u32_e32 v8, 32, v8
	s_delay_alu instid0(VALU_DEP_1) | instskip(NEXT) | instid1(VALU_DEP_1)
	v_subrev_nc_u32_e32 v9, 29, v8
	v_dual_lshlrev_b32 v3, v9, v3 :: v_dual_sub_nc_u32 v8, 30, v8
	s_delay_alu instid0(VALU_DEP_1) | instskip(NEXT) | instid1(VALU_DEP_1)
	v_dual_lshlrev_b32 v1, 24, v1 :: v_dual_bitop2_b32 v3, 3, v3 bitop3:0x40
	v_dual_cndmask_b32 v8, v10, v8 :: v_dual_cndmask_b32 v3, v5, v3
	s_delay_alu instid0(VALU_DEP_2) | instskip(NEXT) | instid1(VALU_DEP_2)
	v_and_b32_e32 v1, 0x80000000, v1
	v_lshl_add_u32 v5, v8, 23, 0x37800000
	s_delay_alu instid0(VALU_DEP_3) | instskip(NEXT) | instid1(VALU_DEP_1)
	v_lshlrev_b32_e32 v3, 21, v3
	v_or3_b32 v1, v1, v5, v3
	s_delay_alu instid0(VALU_DEP_1)
	v_cvt_i32_f32_e32 v8, v1
.LBB87_205:
	s_or_b32 exec_lo, exec_lo, s27
	s_mov_b32 s27, 0
	s_branch .LBB87_211
.LBB87_206:
	s_mov_b32 s42, -1
                                        ; implicit-def: $vgpr8
	s_branch .LBB87_217
.LBB87_207:
	s_and_not1_saveexec_b32 s27, s27
	s_cbranch_execz .LBB87_192
.LBB87_208:
	v_cmp_ne_u16_e32 vcc_lo, 0, v1
	s_and_not1_b32 s42, s42, exec_lo
	s_and_b32 s43, vcc_lo, exec_lo
	s_delay_alu instid0(SALU_CYCLE_1)
	s_or_b32 s42, s42, s43
	s_or_b32 exec_lo, exec_lo, s27
	v_mov_b32_e32 v8, 0
	s_and_saveexec_b32 s27, s42
	s_cbranch_execnz .LBB87_193
	s_branch .LBB87_194
.LBB87_209:
	s_mov_b32 s27, -1
                                        ; implicit-def: $vgpr8
	s_branch .LBB87_214
.LBB87_210:
	s_mov_b32 s27, -1
                                        ; implicit-def: $vgpr8
.LBB87_211:
	s_delay_alu instid0(SALU_CYCLE_1)
	s_and_b32 vcc_lo, exec_lo, s27
	s_cbranch_vccz .LBB87_213
; %bb.212:
	global_load_u8 v1, v[6:7], off
	s_wait_loadcnt 0x0
	v_lshlrev_b32_e32 v1, 24, v1
	s_delay_alu instid0(VALU_DEP_1) | instskip(NEXT) | instid1(VALU_DEP_1)
	v_and_b32_e32 v3, 0x7f000000, v1
	v_clz_i32_u32_e32 v5, v3
	v_add_nc_u32_e32 v9, 0x1000000, v3
	v_cmp_ne_u32_e32 vcc_lo, 0, v3
	s_delay_alu instid0(VALU_DEP_3) | instskip(NEXT) | instid1(VALU_DEP_1)
	v_min_u32_e32 v5, 32, v5
	v_sub_nc_u32_e64 v5, v5, 4 clamp
	s_delay_alu instid0(VALU_DEP_1) | instskip(NEXT) | instid1(VALU_DEP_1)
	v_dual_lshlrev_b32 v8, v5, v3 :: v_dual_lshlrev_b32 v5, 23, v5
	v_lshrrev_b32_e32 v8, 4, v8
	s_delay_alu instid0(VALU_DEP_1) | instskip(SKIP_1) | instid1(VALU_DEP_2)
	v_sub_nc_u32_e32 v5, v8, v5
	v_ashrrev_i32_e32 v8, 8, v9
	v_add_nc_u32_e32 v5, 0x3c000000, v5
	s_delay_alu instid0(VALU_DEP_1) | instskip(NEXT) | instid1(VALU_DEP_1)
	v_and_or_b32 v5, 0x7f800000, v8, v5
	v_cndmask_b32_e32 v3, 0, v5, vcc_lo
	s_delay_alu instid0(VALU_DEP_1) | instskip(NEXT) | instid1(VALU_DEP_1)
	v_and_or_b32 v1, 0x80000000, v1, v3
	v_cvt_i32_f32_e32 v8, v1
.LBB87_213:
	s_mov_b32 s27, 0
.LBB87_214:
	s_delay_alu instid0(SALU_CYCLE_1)
	s_and_not1_b32 vcc_lo, exec_lo, s27
	s_cbranch_vccnz .LBB87_216
; %bb.215:
	global_load_u8 v1, v[6:7], off
	s_wait_loadcnt 0x0
	v_lshlrev_b32_e32 v3, 25, v1
	v_lshlrev_b16 v1, 8, v1
	s_delay_alu instid0(VALU_DEP_1) | instskip(SKIP_1) | instid1(VALU_DEP_2)
	v_and_or_b32 v8, 0x7f00, v1, 0.5
	v_bfe_i32 v1, v1, 0, 16
	v_dual_add_f32 v8, -0.5, v8 :: v_dual_lshrrev_b32 v5, 4, v3
	v_cmp_gt_u32_e32 vcc_lo, 0x8000000, v3
	s_delay_alu instid0(VALU_DEP_2) | instskip(NEXT) | instid1(VALU_DEP_1)
	v_or_b32_e32 v5, 0x70000000, v5
	v_mul_f32_e32 v5, 0x7800000, v5
	s_delay_alu instid0(VALU_DEP_1) | instskip(NEXT) | instid1(VALU_DEP_1)
	v_cndmask_b32_e32 v3, v5, v8, vcc_lo
	v_and_or_b32 v1, 0x80000000, v1, v3
	s_delay_alu instid0(VALU_DEP_1)
	v_cvt_i32_f32_e32 v8, v1
.LBB87_216:
	s_mov_b32 s42, 0
	s_mov_b32 s27, -1
.LBB87_217:
	s_and_not1_b32 vcc_lo, exec_lo, s42
	s_cbranch_vccnz .LBB87_230
; %bb.218:
	s_cmp_gt_i32 s0, 14
	s_cbranch_scc0 .LBB87_221
; %bb.219:
	s_cmp_eq_u32 s0, 15
	s_cbranch_scc0 .LBB87_224
; %bb.220:
	global_load_u16 v1, v[6:7], off
	s_mov_b32 s27, -1
	s_mov_b32 s26, 0
	s_wait_loadcnt 0x0
	v_lshlrev_b32_e32 v1, 16, v1
	s_delay_alu instid0(VALU_DEP_1)
	v_cvt_i32_f32_e32 v8, v1
	s_branch .LBB87_225
.LBB87_221:
	s_mov_b32 s42, -1
                                        ; implicit-def: $vgpr8
	s_branch .LBB87_226
.LBB87_222:
	s_and_not1_saveexec_b32 s27, s27
	s_cbranch_execz .LBB87_203
.LBB87_223:
	v_cmp_ne_u16_e32 vcc_lo, 0, v1
	s_and_not1_b32 s42, s42, exec_lo
	s_and_b32 s43, vcc_lo, exec_lo
	s_delay_alu instid0(SALU_CYCLE_1)
	s_or_b32 s42, s42, s43
	s_or_b32 exec_lo, exec_lo, s27
	v_mov_b32_e32 v8, 0
	s_and_saveexec_b32 s27, s42
	s_cbranch_execnz .LBB87_204
	s_branch .LBB87_205
.LBB87_224:
	s_mov_b32 s26, -1
                                        ; implicit-def: $vgpr8
.LBB87_225:
	s_mov_b32 s42, 0
.LBB87_226:
	s_delay_alu instid0(SALU_CYCLE_1)
	s_and_b32 vcc_lo, exec_lo, s42
	s_cbranch_vccz .LBB87_230
; %bb.227:
	s_cmp_eq_u32 s0, 11
	s_cbranch_scc0 .LBB87_229
; %bb.228:
	global_load_u8 v1, v[6:7], off
	s_mov_b32 s26, 0
	s_mov_b32 s27, -1
	s_wait_loadcnt 0x0
	v_cmp_ne_u16_e32 vcc_lo, 0, v1
	v_cndmask_b32_e64 v8, 0, 1, vcc_lo
	s_branch .LBB87_230
.LBB87_229:
	s_mov_b32 s26, -1
                                        ; implicit-def: $vgpr8
.LBB87_230:
	s_mov_b32 s42, 0
.LBB87_231:
	s_delay_alu instid0(SALU_CYCLE_1)
	s_and_b32 vcc_lo, exec_lo, s42
	s_cbranch_vccz .LBB87_280
; %bb.232:
	s_cmp_lt_i32 s0, 5
	s_cbranch_scc1 .LBB87_237
; %bb.233:
	s_cmp_lt_i32 s0, 8
	s_cbranch_scc1 .LBB87_238
	;; [unrolled: 3-line block ×3, first 2 shown]
; %bb.235:
	s_cmp_gt_i32 s0, 9
	s_cbranch_scc0 .LBB87_240
; %bb.236:
	s_wait_loadcnt 0x0
	global_load_b64 v[8:9], v[6:7], off
	s_mov_b32 s27, 0
	s_wait_loadcnt 0x0
	v_cvt_i32_f64_e32 v8, v[8:9]
	s_branch .LBB87_241
.LBB87_237:
	s_mov_b32 s27, -1
                                        ; implicit-def: $vgpr8
	s_branch .LBB87_259
.LBB87_238:
	s_mov_b32 s27, -1
                                        ; implicit-def: $vgpr8
	s_branch .LBB87_247
.LBB87_239:
	s_mov_b32 s27, -1
                                        ; implicit-def: $vgpr8
	s_branch .LBB87_244
.LBB87_240:
	s_mov_b32 s27, -1
                                        ; implicit-def: $vgpr8
.LBB87_241:
	s_delay_alu instid0(SALU_CYCLE_1)
	s_and_not1_b32 vcc_lo, exec_lo, s27
	s_cbranch_vccnz .LBB87_243
; %bb.242:
	global_load_b32 v1, v[6:7], off
	s_wait_loadcnt 0x0
	v_cvt_i32_f32_e32 v8, v1
.LBB87_243:
	s_mov_b32 s27, 0
.LBB87_244:
	s_delay_alu instid0(SALU_CYCLE_1)
	s_and_not1_b32 vcc_lo, exec_lo, s27
	s_cbranch_vccnz .LBB87_246
; %bb.245:
	global_load_b32 v1, v[6:7], off
	s_wait_loadcnt 0x0
	v_cvt_i16_f16_e32 v8, v1
.LBB87_246:
	s_mov_b32 s27, 0
.LBB87_247:
	s_delay_alu instid0(SALU_CYCLE_1)
	s_and_not1_b32 vcc_lo, exec_lo, s27
	s_cbranch_vccnz .LBB87_258
; %bb.248:
	s_cmp_lt_i32 s0, 6
	s_cbranch_scc1 .LBB87_251
; %bb.249:
	s_cmp_gt_i32 s0, 6
	s_cbranch_scc0 .LBB87_252
; %bb.250:
	s_wait_loadcnt 0x0
	global_load_b64 v[8:9], v[6:7], off
	s_mov_b32 s27, 0
	s_wait_loadcnt 0x0
	v_cvt_i32_f64_e32 v8, v[8:9]
	s_branch .LBB87_253
.LBB87_251:
	s_mov_b32 s27, -1
                                        ; implicit-def: $vgpr8
	s_branch .LBB87_256
.LBB87_252:
	s_mov_b32 s27, -1
                                        ; implicit-def: $vgpr8
.LBB87_253:
	s_delay_alu instid0(SALU_CYCLE_1)
	s_and_not1_b32 vcc_lo, exec_lo, s27
	s_cbranch_vccnz .LBB87_255
; %bb.254:
	global_load_b32 v1, v[6:7], off
	s_wait_loadcnt 0x0
	v_cvt_i32_f32_e32 v8, v1
.LBB87_255:
	s_mov_b32 s27, 0
.LBB87_256:
	s_delay_alu instid0(SALU_CYCLE_1)
	s_and_not1_b32 vcc_lo, exec_lo, s27
	s_cbranch_vccnz .LBB87_258
; %bb.257:
	global_load_u16 v1, v[6:7], off
	s_wait_loadcnt 0x0
	v_cvt_i16_f16_e32 v8, v1
.LBB87_258:
	s_mov_b32 s27, 0
.LBB87_259:
	s_delay_alu instid0(SALU_CYCLE_1)
	s_and_not1_b32 vcc_lo, exec_lo, s27
	s_cbranch_vccnz .LBB87_279
; %bb.260:
	s_cmp_lt_i32 s0, 2
	s_cbranch_scc1 .LBB87_264
; %bb.261:
	s_cmp_lt_i32 s0, 3
	s_cbranch_scc1 .LBB87_265
; %bb.262:
	s_cmp_gt_i32 s0, 3
	s_cbranch_scc0 .LBB87_266
; %bb.263:
	s_wait_loadcnt 0x0
	global_load_b64 v[8:9], v[6:7], off
	s_mov_b32 s27, 0
	s_branch .LBB87_267
.LBB87_264:
	s_mov_b32 s27, -1
                                        ; implicit-def: $vgpr8
	s_branch .LBB87_273
.LBB87_265:
	s_mov_b32 s27, -1
                                        ; implicit-def: $vgpr8
	s_branch .LBB87_270
.LBB87_266:
	s_mov_b32 s27, -1
                                        ; implicit-def: $vgpr8
.LBB87_267:
	s_delay_alu instid0(SALU_CYCLE_1)
	s_and_not1_b32 vcc_lo, exec_lo, s27
	s_cbranch_vccnz .LBB87_269
; %bb.268:
	s_wait_loadcnt 0x0
	global_load_b32 v8, v[6:7], off
.LBB87_269:
	s_mov_b32 s27, 0
.LBB87_270:
	s_delay_alu instid0(SALU_CYCLE_1)
	s_and_not1_b32 vcc_lo, exec_lo, s27
	s_cbranch_vccnz .LBB87_272
; %bb.271:
	s_wait_loadcnt 0x0
	global_load_u16 v8, v[6:7], off
.LBB87_272:
	s_mov_b32 s27, 0
.LBB87_273:
	s_delay_alu instid0(SALU_CYCLE_1)
	s_and_not1_b32 vcc_lo, exec_lo, s27
	s_cbranch_vccnz .LBB87_279
; %bb.274:
	s_cmp_gt_i32 s0, 0
	s_mov_b32 s0, 0
	s_cbranch_scc0 .LBB87_276
; %bb.275:
	s_wait_loadcnt 0x0
	global_load_i8 v8, v[6:7], off
	s_branch .LBB87_277
.LBB87_276:
	s_mov_b32 s0, -1
                                        ; implicit-def: $vgpr8
.LBB87_277:
	s_delay_alu instid0(SALU_CYCLE_1)
	s_and_not1_b32 vcc_lo, exec_lo, s0
	s_cbranch_vccnz .LBB87_279
; %bb.278:
	s_wait_loadcnt 0x0
	global_load_u8 v8, v[6:7], off
.LBB87_279:
	s_mov_b32 s27, -1
.LBB87_280:
	s_delay_alu instid0(SALU_CYCLE_1)
	s_and_not1_b32 vcc_lo, exec_lo, s27
	s_cbranch_vccnz .LBB87_288
; %bb.281:
	v_mov_b32_e32 v3, 0
	s_wait_loadcnt 0x0
	s_delay_alu instid0(VALU_DEP_4) | instskip(SKIP_1) | instid1(SALU_CYCLE_1)
	v_mul_lo_u16 v1, v4, s33
	s_and_b32 s27, s34, 0xff
	s_cmp_lt_i32 s27, 11
	v_add_nc_u64_e32 v[2:3], s[16:17], v[2:3]
	s_delay_alu instid0(VALU_DEP_2)
	v_mul_lo_u16 v1, v1, v8
	s_cbranch_scc1 .LBB87_289
; %bb.282:
	s_and_b32 s42, 0xffff, s27
	s_delay_alu instid0(SALU_CYCLE_1)
	s_cmp_gt_i32 s42, 25
	s_cbranch_scc0 .LBB87_290
; %bb.283:
	s_cmp_gt_i32 s42, 28
	s_cbranch_scc0 .LBB87_291
; %bb.284:
	;; [unrolled: 3-line block ×4, first 2 shown]
	s_mov_b32 s44, 0
	s_mov_b32 s0, -1
	s_cmp_eq_u32 s42, 46
	s_mov_b32 s43, 0
	s_cbranch_scc0 .LBB87_294
; %bb.287:
	v_bfe_i32 v4, v1, 0, 16
	s_mov_b32 s43, -1
	s_mov_b32 s0, 0
	s_delay_alu instid0(VALU_DEP_1) | instskip(NEXT) | instid1(VALU_DEP_1)
	v_cvt_f32_i32_e32 v4, v4
	v_bfe_u32 v5, v4, 16, 1
	s_delay_alu instid0(VALU_DEP_1) | instskip(NEXT) | instid1(VALU_DEP_1)
	v_add3_u32 v4, v4, v5, 0x7fff
	v_lshrrev_b32_e32 v4, 16, v4
	global_store_b32 v[2:3], v4, off
	s_branch .LBB87_294
.LBB87_288:
	s_mov_b32 s0, 0
	s_branch .LBB87_38
.LBB87_289:
	s_mov_b32 s42, -1
	s_mov_b32 s0, 0
	s_mov_b32 s43, 0
	s_branch .LBB87_363
.LBB87_290:
	s_mov_b32 s44, -1
	s_mov_b32 s0, 0
	s_mov_b32 s43, 0
	s_branch .LBB87_321
.LBB87_291:
	s_mov_b32 s44, -1
	s_mov_b32 s0, 0
	s_mov_b32 s43, 0
	s_branch .LBB87_304
.LBB87_292:
	s_mov_b32 s44, -1
	s_mov_b32 s0, 0
	s_mov_b32 s43, 0
	s_branch .LBB87_300
.LBB87_293:
	s_mov_b32 s44, -1
	s_mov_b32 s0, 0
	s_mov_b32 s43, 0
.LBB87_294:
	s_and_b32 vcc_lo, exec_lo, s44
	s_cbranch_vccz .LBB87_299
; %bb.295:
	s_cmp_eq_u32 s42, 44
	s_mov_b32 s0, -1
	s_cbranch_scc0 .LBB87_299
; %bb.296:
	s_wait_xcnt 0x0
	v_bfe_i32 v4, v1, 0, 16
	v_mov_b32_e32 v5, 0xff
	s_mov_b32 s43, exec_lo
	s_delay_alu instid0(VALU_DEP_2) | instskip(NEXT) | instid1(VALU_DEP_1)
	v_cvt_f32_i32_e32 v4, v4
	v_bfe_u32 v6, v4, 23, 8
	s_delay_alu instid0(VALU_DEP_1)
	v_cmpx_ne_u32_e32 0xff, v6
	s_cbranch_execz .LBB87_298
; %bb.297:
	v_and_b32_e32 v5, 0x400000, v4
	v_and_or_b32 v6, 0x3fffff, v4, v6
	v_lshrrev_b32_e32 v4, 23, v4
	s_delay_alu instid0(VALU_DEP_3) | instskip(NEXT) | instid1(VALU_DEP_3)
	v_cmp_ne_u32_e32 vcc_lo, 0, v5
	v_cmp_ne_u32_e64 s0, 0, v6
	s_and_b32 s0, vcc_lo, s0
	s_delay_alu instid0(SALU_CYCLE_1) | instskip(NEXT) | instid1(VALU_DEP_1)
	v_cndmask_b32_e64 v5, 0, 1, s0
	v_add_nc_u32_e32 v5, v4, v5
.LBB87_298:
	s_or_b32 exec_lo, exec_lo, s43
	s_mov_b32 s43, -1
	s_mov_b32 s0, 0
	global_store_b8 v[2:3], v5, off
.LBB87_299:
	s_mov_b32 s44, 0
.LBB87_300:
	s_delay_alu instid0(SALU_CYCLE_1)
	s_and_b32 vcc_lo, exec_lo, s44
	s_cbranch_vccz .LBB87_303
; %bb.301:
	s_cmp_eq_u32 s42, 29
	s_mov_b32 s0, -1
	s_cbranch_scc0 .LBB87_303
; %bb.302:
	s_wait_xcnt 0x0
	v_bfe_i32 v4, v1, 0, 16
	s_mov_b32 s0, 0
	s_mov_b32 s43, -1
	s_mov_b32 s44, 0
	s_delay_alu instid0(VALU_DEP_1)
	v_ashrrev_i32_e32 v5, 31, v4
	global_store_b64 v[2:3], v[4:5], off
	s_branch .LBB87_304
.LBB87_303:
	s_mov_b32 s44, 0
.LBB87_304:
	s_delay_alu instid0(SALU_CYCLE_1)
	s_and_b32 vcc_lo, exec_lo, s44
	s_cbranch_vccz .LBB87_320
; %bb.305:
	s_cmp_lt_i32 s42, 27
	s_mov_b32 s43, -1
	s_cbranch_scc1 .LBB87_311
; %bb.306:
	s_cmp_gt_i32 s42, 27
	s_cbranch_scc0 .LBB87_308
; %bb.307:
	s_wait_xcnt 0x0
	v_bfe_i32 v4, v1, 0, 16
	s_mov_b32 s43, 0
	global_store_b32 v[2:3], v4, off
.LBB87_308:
	s_and_not1_b32 vcc_lo, exec_lo, s43
	s_cbranch_vccnz .LBB87_310
; %bb.309:
	global_store_b16 v[2:3], v1, off
.LBB87_310:
	s_mov_b32 s43, 0
.LBB87_311:
	s_delay_alu instid0(SALU_CYCLE_1)
	s_and_not1_b32 vcc_lo, exec_lo, s43
	s_cbranch_vccnz .LBB87_319
; %bb.312:
	s_wait_xcnt 0x0
	v_bfe_i32 v4, v1, 0, 16
	v_mov_b32_e32 v6, 0x80
	s_mov_b32 s43, exec_lo
	s_delay_alu instid0(VALU_DEP_2) | instskip(NEXT) | instid1(VALU_DEP_1)
	v_cvt_f32_i32_e32 v4, v4
	v_and_b32_e32 v5, 0x7fffffff, v4
	s_delay_alu instid0(VALU_DEP_1)
	v_cmpx_gt_u32_e32 0x43800000, v5
	s_cbranch_execz .LBB87_318
; %bb.313:
	v_cmp_lt_u32_e32 vcc_lo, 0x3bffffff, v5
	s_mov_b32 s44, 0
                                        ; implicit-def: $vgpr5
	s_and_saveexec_b32 s45, vcc_lo
	s_delay_alu instid0(SALU_CYCLE_1)
	s_xor_b32 s45, exec_lo, s45
	s_cbranch_execz .LBB87_450
; %bb.314:
	v_bfe_u32 v5, v4, 20, 1
	s_mov_b32 s44, exec_lo
	s_delay_alu instid0(VALU_DEP_1) | instskip(NEXT) | instid1(VALU_DEP_1)
	v_add3_u32 v5, v4, v5, 0x487ffff
	v_lshrrev_b32_e32 v5, 20, v5
	s_and_not1_saveexec_b32 s45, s45
	s_cbranch_execnz .LBB87_451
.LBB87_315:
	s_or_b32 exec_lo, exec_lo, s45
	v_mov_b32_e32 v6, 0
	s_and_saveexec_b32 s45, s44
.LBB87_316:
	v_lshrrev_b32_e32 v4, 24, v4
	s_delay_alu instid0(VALU_DEP_1)
	v_and_or_b32 v6, 0x80, v4, v5
.LBB87_317:
	s_or_b32 exec_lo, exec_lo, s45
.LBB87_318:
	s_delay_alu instid0(SALU_CYCLE_1)
	s_or_b32 exec_lo, exec_lo, s43
	global_store_b8 v[2:3], v6, off
.LBB87_319:
	s_mov_b32 s43, -1
.LBB87_320:
	s_mov_b32 s44, 0
.LBB87_321:
	s_delay_alu instid0(SALU_CYCLE_1)
	s_and_b32 vcc_lo, exec_lo, s44
	s_cbranch_vccz .LBB87_362
; %bb.322:
	s_cmp_gt_i32 s42, 22
	s_mov_b32 s44, -1
	s_cbranch_scc0 .LBB87_354
; %bb.323:
	s_cmp_lt_i32 s42, 24
	s_mov_b32 s43, -1
	s_cbranch_scc1 .LBB87_343
; %bb.324:
	s_cmp_gt_i32 s42, 24
	s_cbranch_scc0 .LBB87_332
; %bb.325:
	s_wait_xcnt 0x0
	v_bfe_i32 v4, v1, 0, 16
	v_mov_b32_e32 v6, 0x80
	s_mov_b32 s43, exec_lo
	s_delay_alu instid0(VALU_DEP_2) | instskip(NEXT) | instid1(VALU_DEP_1)
	v_cvt_f32_i32_e32 v4, v4
	v_and_b32_e32 v5, 0x7fffffff, v4
	s_delay_alu instid0(VALU_DEP_1)
	v_cmpx_gt_u32_e32 0x47800000, v5
	s_cbranch_execz .LBB87_331
; %bb.326:
	v_cmp_lt_u32_e32 vcc_lo, 0x37ffffff, v5
	s_mov_b32 s44, 0
                                        ; implicit-def: $vgpr5
	s_and_saveexec_b32 s45, vcc_lo
	s_delay_alu instid0(SALU_CYCLE_1)
	s_xor_b32 s45, exec_lo, s45
	s_cbranch_execz .LBB87_577
; %bb.327:
	v_bfe_u32 v5, v4, 21, 1
	s_mov_b32 s44, exec_lo
	s_delay_alu instid0(VALU_DEP_1) | instskip(NEXT) | instid1(VALU_DEP_1)
	v_add3_u32 v5, v4, v5, 0x88fffff
	v_lshrrev_b32_e32 v5, 21, v5
	s_and_not1_saveexec_b32 s45, s45
	s_cbranch_execnz .LBB87_578
.LBB87_328:
	s_or_b32 exec_lo, exec_lo, s45
	v_mov_b32_e32 v6, 0
	s_and_saveexec_b32 s45, s44
.LBB87_329:
	v_lshrrev_b32_e32 v4, 24, v4
	s_delay_alu instid0(VALU_DEP_1)
	v_and_or_b32 v6, 0x80, v4, v5
.LBB87_330:
	s_or_b32 exec_lo, exec_lo, s45
.LBB87_331:
	s_delay_alu instid0(SALU_CYCLE_1)
	s_or_b32 exec_lo, exec_lo, s43
	s_mov_b32 s43, 0
	global_store_b8 v[2:3], v6, off
.LBB87_332:
	s_and_b32 vcc_lo, exec_lo, s43
	s_cbranch_vccz .LBB87_342
; %bb.333:
	s_wait_xcnt 0x0
	v_bfe_i32 v4, v1, 0, 16
	s_mov_b32 s43, exec_lo
                                        ; implicit-def: $vgpr5
	s_delay_alu instid0(VALU_DEP_1) | instskip(NEXT) | instid1(VALU_DEP_1)
	v_cvt_f32_i32_e32 v4, v4
	v_and_b32_e32 v6, 0x7fffffff, v4
	s_delay_alu instid0(VALU_DEP_1)
	v_cmpx_gt_u32_e32 0x43f00000, v6
	s_xor_b32 s43, exec_lo, s43
	s_cbranch_execz .LBB87_339
; %bb.334:
	s_mov_b32 s44, exec_lo
                                        ; implicit-def: $vgpr5
	v_cmpx_lt_u32_e32 0x3c7fffff, v6
	s_xor_b32 s44, exec_lo, s44
; %bb.335:
	v_bfe_u32 v5, v4, 20, 1
	s_delay_alu instid0(VALU_DEP_1) | instskip(NEXT) | instid1(VALU_DEP_1)
	v_add3_u32 v5, v4, v5, 0x407ffff
	v_and_b32_e32 v6, 0xff00000, v5
	v_lshrrev_b32_e32 v5, 20, v5
	s_delay_alu instid0(VALU_DEP_2) | instskip(NEXT) | instid1(VALU_DEP_2)
	v_cmp_ne_u32_e32 vcc_lo, 0x7f00000, v6
	v_cndmask_b32_e32 v5, 0x7e, v5, vcc_lo
; %bb.336:
	s_and_not1_saveexec_b32 s44, s44
; %bb.337:
	v_add_f32_e64 v5, 0x46800000, |v4|
; %bb.338:
	s_or_b32 exec_lo, exec_lo, s44
                                        ; implicit-def: $vgpr6
.LBB87_339:
	s_and_not1_saveexec_b32 s43, s43
; %bb.340:
	v_mov_b32_e32 v5, 0x7f
	v_cmp_lt_u32_e32 vcc_lo, 0x7f800000, v6
	s_delay_alu instid0(VALU_DEP_2)
	v_cndmask_b32_e32 v5, 0x7e, v5, vcc_lo
; %bb.341:
	s_or_b32 exec_lo, exec_lo, s43
	v_lshrrev_b32_e32 v4, 24, v4
	s_delay_alu instid0(VALU_DEP_1)
	v_and_or_b32 v4, 0x80, v4, v5
	global_store_b8 v[2:3], v4, off
.LBB87_342:
	s_mov_b32 s43, 0
.LBB87_343:
	s_delay_alu instid0(SALU_CYCLE_1)
	s_and_not1_b32 vcc_lo, exec_lo, s43
	s_cbranch_vccnz .LBB87_353
; %bb.344:
	s_wait_xcnt 0x0
	v_bfe_i32 v4, v1, 0, 16
	s_mov_b32 s43, exec_lo
                                        ; implicit-def: $vgpr5
	s_delay_alu instid0(VALU_DEP_1) | instskip(NEXT) | instid1(VALU_DEP_1)
	v_cvt_f32_i32_e32 v4, v4
	v_and_b32_e32 v6, 0x7fffffff, v4
	s_delay_alu instid0(VALU_DEP_1)
	v_cmpx_gt_u32_e32 0x47800000, v6
	s_xor_b32 s43, exec_lo, s43
	s_cbranch_execz .LBB87_350
; %bb.345:
	s_mov_b32 s44, exec_lo
                                        ; implicit-def: $vgpr5
	v_cmpx_lt_u32_e32 0x387fffff, v6
	s_xor_b32 s44, exec_lo, s44
; %bb.346:
	v_bfe_u32 v5, v4, 21, 1
	s_delay_alu instid0(VALU_DEP_1) | instskip(NEXT) | instid1(VALU_DEP_1)
	v_add3_u32 v5, v4, v5, 0x80fffff
	v_lshrrev_b32_e32 v5, 21, v5
; %bb.347:
	s_and_not1_saveexec_b32 s44, s44
; %bb.348:
	v_add_f32_e64 v5, 0x43000000, |v4|
; %bb.349:
	s_or_b32 exec_lo, exec_lo, s44
                                        ; implicit-def: $vgpr6
.LBB87_350:
	s_and_not1_saveexec_b32 s43, s43
; %bb.351:
	v_mov_b32_e32 v5, 0x7f
	v_cmp_lt_u32_e32 vcc_lo, 0x7f800000, v6
	s_delay_alu instid0(VALU_DEP_2)
	v_cndmask_b32_e32 v5, 0x7c, v5, vcc_lo
; %bb.352:
	s_or_b32 exec_lo, exec_lo, s43
	v_lshrrev_b32_e32 v4, 24, v4
	s_delay_alu instid0(VALU_DEP_1)
	v_and_or_b32 v4, 0x80, v4, v5
	global_store_b8 v[2:3], v4, off
.LBB87_353:
	s_mov_b32 s44, 0
	s_mov_b32 s43, -1
.LBB87_354:
	s_and_not1_b32 vcc_lo, exec_lo, s44
	s_cbranch_vccnz .LBB87_362
; %bb.355:
	s_cmp_gt_i32 s42, 14
	s_mov_b32 s44, -1
	s_cbranch_scc0 .LBB87_359
; %bb.356:
	s_cmp_eq_u32 s42, 15
	s_mov_b32 s0, -1
	s_cbranch_scc0 .LBB87_358
; %bb.357:
	s_wait_xcnt 0x0
	v_bfe_i32 v4, v1, 0, 16
	s_mov_b32 s43, -1
	s_mov_b32 s0, 0
	s_delay_alu instid0(VALU_DEP_1) | instskip(NEXT) | instid1(VALU_DEP_1)
	v_cvt_f32_i32_e32 v4, v4
	v_bfe_u32 v5, v4, 16, 1
	s_delay_alu instid0(VALU_DEP_1)
	v_add3_u32 v4, v4, v5, 0x7fff
	global_store_d16_hi_b16 v[2:3], v4, off
.LBB87_358:
	s_mov_b32 s44, 0
.LBB87_359:
	s_delay_alu instid0(SALU_CYCLE_1)
	s_and_b32 vcc_lo, exec_lo, s44
	s_cbranch_vccz .LBB87_362
; %bb.360:
	s_cmp_eq_u32 s42, 11
	s_mov_b32 s0, -1
	s_cbranch_scc0 .LBB87_362
; %bb.361:
	v_cmp_ne_u16_e32 vcc_lo, 0, v1
	s_mov_b32 s0, 0
	s_mov_b32 s43, -1
	s_wait_xcnt 0x0
	v_cndmask_b32_e64 v4, 0, 1, vcc_lo
	global_store_b8 v[2:3], v4, off
.LBB87_362:
	s_mov_b32 s42, 0
.LBB87_363:
	s_delay_alu instid0(SALU_CYCLE_1)
	s_and_b32 vcc_lo, exec_lo, s42
	s_cbranch_vccz .LBB87_402
; %bb.364:
	s_and_b32 s27, 0xffff, s27
	s_mov_b32 s42, -1
	s_cmp_lt_i32 s27, 5
	s_cbranch_scc1 .LBB87_385
; %bb.365:
	s_cmp_lt_i32 s27, 8
	s_cbranch_scc1 .LBB87_375
; %bb.366:
	;; [unrolled: 3-line block ×3, first 2 shown]
	s_cmp_gt_i32 s27, 9
	s_cbranch_scc0 .LBB87_369
; %bb.368:
	s_wait_xcnt 0x0
	v_bfe_i32 v4, v1, 0, 16
	v_mov_b32_e32 v6, 0
	s_mov_b32 s42, 0
	s_delay_alu instid0(VALU_DEP_2) | instskip(NEXT) | instid1(VALU_DEP_2)
	v_cvt_f64_i32_e32 v[4:5], v4
	v_mov_b32_e32 v7, v6
	global_store_b128 v[2:3], v[4:7], off
.LBB87_369:
	s_and_not1_b32 vcc_lo, exec_lo, s42
	s_cbranch_vccnz .LBB87_371
; %bb.370:
	s_wait_xcnt 0x0
	v_bfe_i32 v4, v1, 0, 16
	v_mov_b32_e32 v5, 0
	s_delay_alu instid0(VALU_DEP_2)
	v_cvt_f32_i32_e32 v4, v4
	global_store_b64 v[2:3], v[4:5], off
.LBB87_371:
	s_mov_b32 s42, 0
.LBB87_372:
	s_delay_alu instid0(SALU_CYCLE_1)
	s_and_not1_b32 vcc_lo, exec_lo, s42
	s_cbranch_vccnz .LBB87_374
; %bb.373:
	s_wait_xcnt 0x0
	v_cvt_f16_i16_e32 v4, v1
	s_delay_alu instid0(VALU_DEP_1)
	v_and_b32_e32 v4, 0xffff, v4
	global_store_b32 v[2:3], v4, off
.LBB87_374:
	s_mov_b32 s42, 0
.LBB87_375:
	s_delay_alu instid0(SALU_CYCLE_1)
	s_and_not1_b32 vcc_lo, exec_lo, s42
	s_cbranch_vccnz .LBB87_384
; %bb.376:
	s_cmp_lt_i32 s27, 6
	s_mov_b32 s42, -1
	s_cbranch_scc1 .LBB87_382
; %bb.377:
	s_cmp_gt_i32 s27, 6
	s_cbranch_scc0 .LBB87_379
; %bb.378:
	s_wait_xcnt 0x0
	v_bfe_i32 v4, v1, 0, 16
	s_mov_b32 s42, 0
	s_delay_alu instid0(VALU_DEP_1)
	v_cvt_f64_i32_e32 v[4:5], v4
	global_store_b64 v[2:3], v[4:5], off
.LBB87_379:
	s_and_not1_b32 vcc_lo, exec_lo, s42
	s_cbranch_vccnz .LBB87_381
; %bb.380:
	s_wait_xcnt 0x0
	v_bfe_i32 v4, v1, 0, 16
	s_delay_alu instid0(VALU_DEP_1)
	v_cvt_f32_i32_e32 v4, v4
	global_store_b32 v[2:3], v4, off
.LBB87_381:
	s_mov_b32 s42, 0
.LBB87_382:
	s_delay_alu instid0(SALU_CYCLE_1)
	s_and_not1_b32 vcc_lo, exec_lo, s42
	s_cbranch_vccnz .LBB87_384
; %bb.383:
	s_wait_xcnt 0x0
	v_cvt_f16_i16_e32 v4, v1
	global_store_b16 v[2:3], v4, off
.LBB87_384:
	s_mov_b32 s42, 0
.LBB87_385:
	s_delay_alu instid0(SALU_CYCLE_1)
	s_and_not1_b32 vcc_lo, exec_lo, s42
	s_cbranch_vccnz .LBB87_401
; %bb.386:
	s_cmp_lt_i32 s27, 2
	s_mov_b32 s42, -1
	s_cbranch_scc1 .LBB87_396
; %bb.387:
	s_cmp_lt_i32 s27, 3
	s_cbranch_scc1 .LBB87_393
; %bb.388:
	s_wait_xcnt 0x0
	v_bfe_i32 v4, v1, 0, 16
	s_cmp_gt_i32 s27, 3
	s_cbranch_scc0 .LBB87_390
; %bb.389:
	s_delay_alu instid0(VALU_DEP_1)
	v_ashrrev_i32_e32 v5, 31, v4
	s_mov_b32 s42, 0
	global_store_b64 v[2:3], v[4:5], off
.LBB87_390:
	s_and_not1_b32 vcc_lo, exec_lo, s42
	s_cbranch_vccnz .LBB87_392
; %bb.391:
	global_store_b32 v[2:3], v4, off
.LBB87_392:
	s_mov_b32 s42, 0
.LBB87_393:
	s_delay_alu instid0(SALU_CYCLE_1)
	s_and_not1_b32 vcc_lo, exec_lo, s42
	s_cbranch_vccnz .LBB87_395
; %bb.394:
	global_store_b16 v[2:3], v1, off
.LBB87_395:
	s_mov_b32 s42, 0
.LBB87_396:
	s_delay_alu instid0(SALU_CYCLE_1)
	s_and_not1_b32 vcc_lo, exec_lo, s42
	s_cbranch_vccnz .LBB87_401
; %bb.397:
	s_cmp_gt_i32 s27, 0
	s_mov_b32 s27, -1
	s_cbranch_scc0 .LBB87_399
; %bb.398:
	s_mov_b32 s27, 0
	global_store_b8 v[2:3], v1, off
.LBB87_399:
	s_and_not1_b32 vcc_lo, exec_lo, s27
	s_cbranch_vccnz .LBB87_401
; %bb.400:
	global_store_b8 v[2:3], v1, off
.LBB87_401:
	s_mov_b32 s43, -1
.LBB87_402:
	s_delay_alu instid0(SALU_CYCLE_1)
	s_and_not1_b32 vcc_lo, exec_lo, s43
	s_cbranch_vccnz .LBB87_38
; %bb.403:
	v_add_nc_u32_e32 v0, 0x80, v0
	s_mov_b32 s27, -1
.LBB87_404:
	s_and_b32 s42, s0, exec_lo
	s_and_b32 s43, s26, exec_lo
	;; [unrolled: 1-line block ×4, first 2 shown]
	s_or_not1_b32 s24, s27, exec_lo
.LBB87_405:
	s_wait_xcnt 0x0
	s_or_b32 exec_lo, exec_lo, s46
                                        ; implicit-def: $vgpr4
                                        ; implicit-def: $vgpr8
                                        ; implicit-def: $vgpr2
	s_and_saveexec_b32 s46, s24
	s_cbranch_execz .LBB87_1267
; %bb.406:
	s_mov_b32 s24, -1
	s_mov_b32 s47, s45
	s_mov_b32 s50, s44
	;; [unrolled: 1-line block ×4, first 2 shown]
	s_mov_b32 s51, exec_lo
	v_cmpx_gt_i32_e64 s40, v0
	s_cbranch_execz .LBB87_816
; %bb.407:
	s_and_not1_b32 vcc_lo, exec_lo, s30
	s_cbranch_vccnz .LBB87_413
; %bb.408:
	s_and_not1_b32 vcc_lo, exec_lo, s41
	s_cbranch_vccnz .LBB87_414
; %bb.409:
	v_dual_mov_b32 v2, 0 :: v_dual_mov_b32 v1, v0
	s_wait_loadcnt 0x0
	v_dual_mov_b32 v4, 0 :: v_dual_mov_b32 v6, 0
	s_add_co_i32 s0, s39, 1
	s_mov_b64 s[24:25], 0xffffffffffffffe0
	s_and_b32 s0, s0, 30
	s_add_nc_u64 s[24:25], s[2:3], s[24:25]
	s_mov_b64 s[26:27], s[2:3]
.LBB87_410:                             ; =>This Inner Loop Header: Depth=1
	s_clause 0x1
	s_load_b128 s[52:55], s[26:27], 0x4
	s_load_b64 s[56:57], s[26:27], 0x14
	s_clause 0x1
	s_load_b32 s47, s[24:25], 0xe4
	s_load_b96 s[48:50], s[24:25], 0xec
	s_add_co_i32 s0, s0, -2
	s_wait_xcnt 0x0
	s_add_nc_u64 s[26:27], s[26:27], 24
	s_cmp_eq_u32 s0, 0
	s_wait_kmcnt 0x0
	v_mul_hi_u32 v3, s53, v1
	s_delay_alu instid0(VALU_DEP_1) | instskip(NEXT) | instid1(VALU_DEP_1)
	v_add_nc_u32_e32 v3, v1, v3
	v_lshrrev_b32_e32 v3, s54, v3
	s_delay_alu instid0(VALU_DEP_1) | instskip(SKIP_4) | instid1(VALU_DEP_1)
	v_mul_hi_u32 v5, s56, v3
	v_mul_lo_u32 v7, v3, s52
	s_load_b64 s[52:53], s[24:25], 0xfc
	s_wait_xcnt 0x0
	s_add_nc_u64 s[24:25], s[24:25], 32
	v_dual_add_nc_u32 v5, v3, v5 :: v_dual_sub_nc_u32 v7, v1, v7
	s_delay_alu instid0(VALU_DEP_1) | instskip(NEXT) | instid1(VALU_DEP_2)
	v_lshrrev_b32_e32 v1, s57, v5
	v_mad_u32 v2, v7, s47, v2
	v_mad_u32 v6, v7, s49, v6
	v_mad_u32 v4, v7, s48, v4
	s_delay_alu instid0(VALU_DEP_4) | instskip(NEXT) | instid1(VALU_DEP_1)
	v_mul_lo_u32 v5, v1, s55
	v_sub_nc_u32_e32 v3, v3, v5
	s_delay_alu instid0(VALU_DEP_1)
	v_mad_u32 v2, v3, s50, v2
	s_wait_kmcnt 0x0
	v_mad_u32 v6, v3, s53, v6
	v_mad_u32 v4, v3, s52, v4
	s_cbranch_scc0 .LBB87_410
; %bb.411:
	s_bitcmp1_b32 s39, 0
	s_cselect_b32 s0, -1, 0
	s_delay_alu instid0(SALU_CYCLE_1)
	s_and_b32 vcc_lo, exec_lo, s0
	s_cbranch_vccnz .LBB87_415
; %bb.412:
	s_load_b96 s[48:50], s[26:27], 0x4
	s_load_b32 s0, s[24:25], 0xe4
	s_wait_xcnt 0x0
	s_load_b64 s[26:27], s[24:25], 0xec
	s_wait_kmcnt 0x0
	v_mul_hi_u32 v3, s49, v1
	s_delay_alu instid0(VALU_DEP_1) | instskip(NEXT) | instid1(VALU_DEP_1)
	v_add_nc_u32_e32 v3, v1, v3
	v_lshrrev_b32_e32 v3, s50, v3
	s_delay_alu instid0(VALU_DEP_1) | instskip(NEXT) | instid1(VALU_DEP_1)
	v_mul_lo_u32 v3, v3, s48
	v_sub_nc_u32_e32 v1, v1, v3
	s_delay_alu instid0(VALU_DEP_1)
	v_mad_u32 v2, v1, s0, v2
	v_mad_u32 v4, v1, s26, v4
	;; [unrolled: 1-line block ×3, first 2 shown]
	s_branch .LBB87_415
.LBB87_413:
                                        ; implicit-def: $vgpr6
                                        ; implicit-def: $vgpr4
                                        ; implicit-def: $vgpr2
	s_branch .LBB87_416
.LBB87_414:
	s_wait_loadcnt 0x0
	v_dual_mov_b32 v6, 0 :: v_dual_mov_b32 v4, 0
	v_mov_b32_e32 v2, 0
.LBB87_415:
	s_cbranch_execnz .LBB87_418
.LBB87_416:
	v_mov_b32_e32 v1, 0
	s_and_not1_b32 vcc_lo, exec_lo, s38
	s_delay_alu instid0(VALU_DEP_1) | instskip(NEXT) | instid1(VALU_DEP_1)
	v_mul_u64_e32 v[2:3], s[18:19], v[0:1]
	v_add_nc_u32_e32 v2, v0, v3
	s_wait_loadcnt 0x0
	s_delay_alu instid0(VALU_DEP_1) | instskip(NEXT) | instid1(VALU_DEP_1)
	v_lshrrev_b32_e32 v8, s10, v2
	v_mul_lo_u32 v2, v8, s8
	s_delay_alu instid0(VALU_DEP_1) | instskip(NEXT) | instid1(VALU_DEP_1)
	v_sub_nc_u32_e32 v3, v0, v2
	v_mul_lo_u32 v2, v3, s37
	v_mul_lo_u32 v6, v3, s13
	;; [unrolled: 1-line block ×3, first 2 shown]
	s_cbranch_vccnz .LBB87_418
; %bb.417:
	v_mov_b32_e32 v9, v1
	s_delay_alu instid0(VALU_DEP_1) | instskip(NEXT) | instid1(VALU_DEP_1)
	v_mul_u64_e32 v[10:11], s[22:23], v[8:9]
	v_add_nc_u32_e32 v1, v8, v11
	s_delay_alu instid0(VALU_DEP_1) | instskip(NEXT) | instid1(VALU_DEP_1)
	v_lshrrev_b32_e32 v1, s1, v1
	v_mul_lo_u32 v1, v1, s11
	s_delay_alu instid0(VALU_DEP_1) | instskip(NEXT) | instid1(VALU_DEP_1)
	v_sub_nc_u32_e32 v1, v8, v1
	v_mad_u32 v2, v1, s14, v2
	v_mad_u32 v4, v1, s20, v4
	;; [unrolled: 1-line block ×3, first 2 shown]
.LBB87_418:
	s_and_b32 s24, s36, 0xff
	s_delay_alu instid0(SALU_CYCLE_1)
	s_cmp_lt_i32 s24, 23
	s_cbranch_scc1 .LBB87_422
; %bb.419:
	s_and_b32 s26, 0xffff, s24
	s_delay_alu instid0(SALU_CYCLE_1)
	s_cmp_gt_i32 s26, 43
	s_cbranch_scc0 .LBB87_423
; %bb.420:
	s_cmp_gt_i32 s26, 45
	s_cbranch_scc0 .LBB87_424
; %bb.421:
	s_cmp_eq_u32 s26, 46
	s_mov_b32 s27, 0
	s_cselect_b32 s0, -1, 0
	s_or_b32 s25, s45, exec_lo
	s_branch .LBB87_425
.LBB87_422:
	s_mov_b32 s0, 0
	s_mov_b32 s25, s45
	s_cbranch_execnz .LBB87_431
	s_branch .LBB87_435
.LBB87_423:
	s_mov_b32 s27, -1
	s_mov_b32 s0, 0
	s_mov_b32 s25, s45
	s_branch .LBB87_428
.LBB87_424:
	s_mov_b32 s27, -1
	s_mov_b32 s0, 0
	s_mov_b32 s25, s45
.LBB87_425:
	s_and_not1_b32 vcc_lo, exec_lo, s27
	s_cbranch_vccnz .LBB87_427
; %bb.426:
	s_cmp_eq_u32 s26, 44
	s_cselect_b32 s0, -1, 0
	s_cmp_lg_u32 s26, 44
	s_cselect_b32 s27, -1, 0
	s_and_not1_b32 s25, s25, exec_lo
	s_and_b32 s27, s27, exec_lo
	s_delay_alu instid0(SALU_CYCLE_1)
	s_or_b32 s25, s25, s27
.LBB87_427:
	s_mov_b32 s27, 0
.LBB87_428:
	s_delay_alu instid0(SALU_CYCLE_1)
	s_and_b32 vcc_lo, exec_lo, s27
	s_cbranch_vccz .LBB87_430
; %bb.429:
	s_cmp_lt_i32 s26, 30
	s_cselect_b32 s0, -1, 0
	s_cmp_gt_i32 s26, 29
	s_cselect_b32 s26, -1, 0
	s_and_not1_b32 s25, s25, exec_lo
	s_and_b32 s26, s26, exec_lo
	s_delay_alu instid0(SALU_CYCLE_1)
	s_or_b32 s25, s25, s26
.LBB87_430:
	s_branch .LBB87_435
.LBB87_431:
	s_and_b32 s24, 0xffff, s24
	s_mov_b32 s26, -1
	s_cmp_gt_i32 s24, 14
	s_cbranch_scc0 .LBB87_433
; %bb.432:
	s_cmp_eq_u32 s24, 15
	s_cselect_b32 s0, -1, 0
	s_cmp_lg_u32 s24, 15
	s_cselect_b32 s26, -1, 0
	s_and_not1_b32 s25, s25, exec_lo
	s_and_b32 s27, s26, exec_lo
	s_mov_b32 s26, 0
	s_or_b32 s25, s25, s27
.LBB87_433:
	s_and_not1_b32 vcc_lo, exec_lo, s26
	s_cbranch_vccnz .LBB87_435
; %bb.434:
	s_cmp_lt_i32 s24, 12
	s_cselect_b32 s0, -1, 0
	s_cmp_gt_i32 s24, 11
	s_cselect_b32 s24, -1, 0
	s_and_not1_b32 s25, s25, exec_lo
	s_and_b32 s24, s24, exec_lo
	s_delay_alu instid0(SALU_CYCLE_1)
	s_or_b32 s25, s25, s24
.LBB87_435:
	s_and_b32 vcc_lo, exec_lo, s0
	s_cbranch_vccz .LBB87_443
; %bb.436:
	s_wait_loadcnt 0x0
	v_mov_b32_e32 v5, 0
	s_and_b32 s0, s35, 0xff
	s_delay_alu instid0(SALU_CYCLE_1) | instskip(NEXT) | instid1(VALU_DEP_1)
	s_cmp_lt_i32 s0, 11
	v_add_nc_u64_e32 v[8:9], s[4:5], v[4:5]
	s_cbranch_scc1 .LBB87_445
; %bb.437:
	s_and_b32 s25, 0xffff, s0
	s_delay_alu instid0(SALU_CYCLE_1)
	s_cmp_gt_i32 s25, 25
	s_cbranch_scc0 .LBB87_446
; %bb.438:
	s_cmp_gt_i32 s25, 28
	s_cbranch_scc0 .LBB87_447
; %bb.439:
	;; [unrolled: 3-line block ×4, first 2 shown]
	s_cmp_eq_u32 s25, 46
	s_mov_b32 s27, 0
	s_cbranch_scc0 .LBB87_452
; %bb.442:
	global_load_b32 v1, v[8:9], off
	s_mov_b32 s26, -1
	s_mov_b32 s24, 0
	s_wait_loadcnt 0x0
	v_lshlrev_b32_e32 v1, 16, v1
	s_delay_alu instid0(VALU_DEP_1)
	v_cvt_i32_f32_e32 v4, v1
	s_branch .LBB87_454
.LBB87_443:
	s_mov_b32 s27, 0
	s_mov_b32 s0, s42
	;; [unrolled: 1-line block ×4, first 2 shown]
.LBB87_444:
                                        ; implicit-def: $vgpr0
	s_branch .LBB87_815
.LBB87_445:
	s_mov_b32 s25, -1
	s_mov_b32 s26, 0
	s_mov_b32 s24, s44
                                        ; implicit-def: $vgpr4
	s_branch .LBB87_515
.LBB87_446:
	s_mov_b32 s27, -1
	s_mov_b32 s26, 0
	s_mov_b32 s24, s44
                                        ; implicit-def: $vgpr4
	s_branch .LBB87_481
.LBB87_447:
	s_mov_b32 s27, -1
	s_mov_b32 s26, 0
	s_mov_b32 s24, s44
                                        ; implicit-def: $vgpr4
	s_branch .LBB87_464
.LBB87_448:
	s_mov_b32 s27, -1
	s_mov_b32 s26, 0
	s_mov_b32 s24, s44
                                        ; implicit-def: $vgpr4
	s_branch .LBB87_459
.LBB87_449:
	s_mov_b32 s27, -1
	s_mov_b32 s26, 0
	s_mov_b32 s24, s44
	s_branch .LBB87_453
.LBB87_450:
	s_and_not1_saveexec_b32 s45, s45
	s_cbranch_execz .LBB87_315
.LBB87_451:
	v_add_f32_e64 v5, 0x46000000, |v4|
	s_and_not1_b32 s44, s44, exec_lo
	s_delay_alu instid0(VALU_DEP_1) | instskip(NEXT) | instid1(VALU_DEP_1)
	v_and_b32_e32 v5, 0xff, v5
	v_cmp_ne_u32_e32 vcc_lo, 0, v5
	s_and_b32 s47, vcc_lo, exec_lo
	s_delay_alu instid0(SALU_CYCLE_1)
	s_or_b32 s44, s44, s47
	s_or_b32 exec_lo, exec_lo, s45
	v_mov_b32_e32 v6, 0
	s_and_saveexec_b32 s45, s44
	s_cbranch_execnz .LBB87_316
	s_branch .LBB87_317
.LBB87_452:
	s_mov_b32 s24, -1
	s_mov_b32 s26, 0
.LBB87_453:
                                        ; implicit-def: $vgpr4
.LBB87_454:
	s_and_b32 vcc_lo, exec_lo, s27
	s_cbranch_vccz .LBB87_458
; %bb.455:
	s_cmp_eq_u32 s25, 44
	s_cbranch_scc0 .LBB87_457
; %bb.456:
	global_load_u8 v1, v[8:9], off
	s_mov_b32 s24, 0
	s_mov_b32 s26, -1
	s_wait_loadcnt 0x0
	v_lshlrev_b32_e32 v3, 23, v1
	v_cmp_ne_u32_e32 vcc_lo, 0, v1
	s_delay_alu instid0(VALU_DEP_2) | instskip(NEXT) | instid1(VALU_DEP_1)
	v_cvt_i32_f32_e32 v3, v3
	v_cndmask_b32_e32 v4, 0, v3, vcc_lo
	s_branch .LBB87_458
.LBB87_457:
	s_mov_b32 s24, -1
                                        ; implicit-def: $vgpr4
.LBB87_458:
	s_mov_b32 s27, 0
.LBB87_459:
	s_delay_alu instid0(SALU_CYCLE_1)
	s_and_b32 vcc_lo, exec_lo, s27
	s_cbranch_vccz .LBB87_463
; %bb.460:
	s_cmp_eq_u32 s25, 29
	s_cbranch_scc0 .LBB87_462
; %bb.461:
	global_load_b64 v[4:5], v[8:9], off
	s_mov_b32 s26, -1
	s_mov_b32 s24, 0
	s_branch .LBB87_463
.LBB87_462:
	s_mov_b32 s24, -1
                                        ; implicit-def: $vgpr4
.LBB87_463:
	s_mov_b32 s27, 0
.LBB87_464:
	s_delay_alu instid0(SALU_CYCLE_1)
	s_and_b32 vcc_lo, exec_lo, s27
	s_cbranch_vccz .LBB87_480
; %bb.465:
	s_cmp_lt_i32 s25, 27
	s_cbranch_scc1 .LBB87_468
; %bb.466:
	s_cmp_gt_i32 s25, 27
	s_cbranch_scc0 .LBB87_469
; %bb.467:
	s_wait_loadcnt 0x0
	global_load_b32 v4, v[8:9], off
	s_mov_b32 s26, 0
	s_branch .LBB87_470
.LBB87_468:
	s_mov_b32 s26, -1
                                        ; implicit-def: $vgpr4
	s_branch .LBB87_473
.LBB87_469:
	s_mov_b32 s26, -1
                                        ; implicit-def: $vgpr4
.LBB87_470:
	s_delay_alu instid0(SALU_CYCLE_1)
	s_and_not1_b32 vcc_lo, exec_lo, s26
	s_cbranch_vccnz .LBB87_472
; %bb.471:
	s_wait_loadcnt 0x0
	global_load_u16 v4, v[8:9], off
.LBB87_472:
	s_mov_b32 s26, 0
.LBB87_473:
	s_delay_alu instid0(SALU_CYCLE_1)
	s_and_not1_b32 vcc_lo, exec_lo, s26
	s_cbranch_vccnz .LBB87_479
; %bb.474:
	global_load_u8 v1, v[8:9], off
	s_mov_b32 s27, 0
	s_mov_b32 s26, exec_lo
	s_wait_loadcnt 0x0
	v_cmpx_lt_i16_e32 0x7f, v1
	s_xor_b32 s26, exec_lo, s26
	s_cbranch_execz .LBB87_491
; %bb.475:
	v_cmp_ne_u16_e32 vcc_lo, 0x80, v1
	s_and_b32 s27, vcc_lo, exec_lo
	s_and_not1_saveexec_b32 s26, s26
	s_cbranch_execnz .LBB87_492
.LBB87_476:
	s_or_b32 exec_lo, exec_lo, s26
	v_mov_b32_e32 v4, 0
	s_and_saveexec_b32 s26, s27
	s_cbranch_execz .LBB87_478
.LBB87_477:
	v_and_b32_e32 v3, 0xffff, v1
	s_delay_alu instid0(VALU_DEP_1) | instskip(SKIP_1) | instid1(VALU_DEP_2)
	v_and_b32_e32 v4, 7, v3
	v_bfe_u32 v10, v3, 3, 4
	v_clz_i32_u32_e32 v5, v4
	s_delay_alu instid0(VALU_DEP_2) | instskip(NEXT) | instid1(VALU_DEP_2)
	v_cmp_eq_u32_e32 vcc_lo, 0, v10
	v_min_u32_e32 v5, 32, v5
	s_delay_alu instid0(VALU_DEP_1) | instskip(NEXT) | instid1(VALU_DEP_1)
	v_subrev_nc_u32_e32 v7, 28, v5
	v_dual_lshlrev_b32 v3, v7, v3 :: v_dual_sub_nc_u32 v5, 29, v5
	s_delay_alu instid0(VALU_DEP_1) | instskip(NEXT) | instid1(VALU_DEP_1)
	v_dual_lshlrev_b32 v1, 24, v1 :: v_dual_bitop2_b32 v3, 7, v3 bitop3:0x40
	v_dual_cndmask_b32 v3, v4, v3, vcc_lo :: v_dual_cndmask_b32 v5, v10, v5, vcc_lo
	s_delay_alu instid0(VALU_DEP_2) | instskip(NEXT) | instid1(VALU_DEP_2)
	v_and_b32_e32 v1, 0x80000000, v1
	v_lshlrev_b32_e32 v3, 20, v3
	s_delay_alu instid0(VALU_DEP_3) | instskip(NEXT) | instid1(VALU_DEP_1)
	v_lshl_add_u32 v4, v5, 23, 0x3b800000
	v_or3_b32 v1, v1, v4, v3
	s_delay_alu instid0(VALU_DEP_1)
	v_cvt_i32_f32_e32 v4, v1
.LBB87_478:
	s_or_b32 exec_lo, exec_lo, s26
.LBB87_479:
	s_mov_b32 s26, -1
.LBB87_480:
	s_mov_b32 s27, 0
.LBB87_481:
	s_delay_alu instid0(SALU_CYCLE_1)
	s_and_b32 vcc_lo, exec_lo, s27
	s_cbranch_vccz .LBB87_514
; %bb.482:
	s_cmp_gt_i32 s25, 22
	s_cbranch_scc0 .LBB87_490
; %bb.483:
	s_cmp_lt_i32 s25, 24
	s_cbranch_scc1 .LBB87_493
; %bb.484:
	s_cmp_gt_i32 s25, 24
	s_cbranch_scc0 .LBB87_494
; %bb.485:
	global_load_u8 v1, v[8:9], off
	s_mov_b32 s27, 0
	s_mov_b32 s26, exec_lo
	s_wait_loadcnt 0x0
	v_cmpx_lt_i16_e32 0x7f, v1
	s_xor_b32 s26, exec_lo, s26
	s_cbranch_execz .LBB87_506
; %bb.486:
	v_cmp_ne_u16_e32 vcc_lo, 0x80, v1
	s_and_b32 s27, vcc_lo, exec_lo
	s_and_not1_saveexec_b32 s26, s26
	s_cbranch_execnz .LBB87_507
.LBB87_487:
	s_or_b32 exec_lo, exec_lo, s26
	v_mov_b32_e32 v4, 0
	s_and_saveexec_b32 s26, s27
	s_cbranch_execz .LBB87_489
.LBB87_488:
	v_and_b32_e32 v3, 0xffff, v1
	s_delay_alu instid0(VALU_DEP_1) | instskip(SKIP_1) | instid1(VALU_DEP_2)
	v_and_b32_e32 v4, 3, v3
	v_bfe_u32 v10, v3, 2, 5
	v_clz_i32_u32_e32 v5, v4
	s_delay_alu instid0(VALU_DEP_2) | instskip(NEXT) | instid1(VALU_DEP_2)
	v_cmp_eq_u32_e32 vcc_lo, 0, v10
	v_min_u32_e32 v5, 32, v5
	s_delay_alu instid0(VALU_DEP_1) | instskip(NEXT) | instid1(VALU_DEP_1)
	v_subrev_nc_u32_e32 v7, 29, v5
	v_dual_lshlrev_b32 v3, v7, v3 :: v_dual_sub_nc_u32 v5, 30, v5
	s_delay_alu instid0(VALU_DEP_1) | instskip(NEXT) | instid1(VALU_DEP_1)
	v_dual_lshlrev_b32 v1, 24, v1 :: v_dual_bitop2_b32 v3, 3, v3 bitop3:0x40
	v_dual_cndmask_b32 v3, v4, v3, vcc_lo :: v_dual_cndmask_b32 v5, v10, v5, vcc_lo
	s_delay_alu instid0(VALU_DEP_2) | instskip(NEXT) | instid1(VALU_DEP_2)
	v_and_b32_e32 v1, 0x80000000, v1
	v_lshlrev_b32_e32 v3, 21, v3
	s_delay_alu instid0(VALU_DEP_3) | instskip(NEXT) | instid1(VALU_DEP_1)
	v_lshl_add_u32 v4, v5, 23, 0x37800000
	v_or3_b32 v1, v1, v4, v3
	s_delay_alu instid0(VALU_DEP_1)
	v_cvt_i32_f32_e32 v4, v1
.LBB87_489:
	s_or_b32 exec_lo, exec_lo, s26
	s_mov_b32 s26, 0
	s_branch .LBB87_495
.LBB87_490:
	s_mov_b32 s27, -1
                                        ; implicit-def: $vgpr4
	s_branch .LBB87_501
.LBB87_491:
	s_and_not1_saveexec_b32 s26, s26
	s_cbranch_execz .LBB87_476
.LBB87_492:
	v_cmp_ne_u16_e32 vcc_lo, 0, v1
	s_and_not1_b32 s27, s27, exec_lo
	s_and_b32 s47, vcc_lo, exec_lo
	s_delay_alu instid0(SALU_CYCLE_1)
	s_or_b32 s27, s27, s47
	s_or_b32 exec_lo, exec_lo, s26
	v_mov_b32_e32 v4, 0
	s_and_saveexec_b32 s26, s27
	s_cbranch_execnz .LBB87_477
	s_branch .LBB87_478
.LBB87_493:
	s_mov_b32 s26, -1
                                        ; implicit-def: $vgpr4
	s_branch .LBB87_498
.LBB87_494:
	s_mov_b32 s26, -1
                                        ; implicit-def: $vgpr4
.LBB87_495:
	s_delay_alu instid0(SALU_CYCLE_1)
	s_and_b32 vcc_lo, exec_lo, s26
	s_cbranch_vccz .LBB87_497
; %bb.496:
	global_load_u8 v1, v[8:9], off
	s_wait_loadcnt 0x0
	v_lshlrev_b32_e32 v1, 24, v1
	s_delay_alu instid0(VALU_DEP_1) | instskip(NEXT) | instid1(VALU_DEP_1)
	v_and_b32_e32 v3, 0x7f000000, v1
	v_clz_i32_u32_e32 v4, v3
	v_add_nc_u32_e32 v7, 0x1000000, v3
	v_cmp_ne_u32_e32 vcc_lo, 0, v3
	s_delay_alu instid0(VALU_DEP_3) | instskip(NEXT) | instid1(VALU_DEP_1)
	v_min_u32_e32 v4, 32, v4
	v_sub_nc_u32_e64 v4, v4, 4 clamp
	s_delay_alu instid0(VALU_DEP_1) | instskip(NEXT) | instid1(VALU_DEP_1)
	v_dual_lshlrev_b32 v5, v4, v3 :: v_dual_lshlrev_b32 v4, 23, v4
	v_lshrrev_b32_e32 v5, 4, v5
	s_delay_alu instid0(VALU_DEP_1) | instskip(NEXT) | instid1(VALU_DEP_1)
	v_dual_sub_nc_u32 v4, v5, v4 :: v_dual_ashrrev_i32 v5, 8, v7
	v_add_nc_u32_e32 v4, 0x3c000000, v4
	s_delay_alu instid0(VALU_DEP_1) | instskip(NEXT) | instid1(VALU_DEP_1)
	v_and_or_b32 v4, 0x7f800000, v5, v4
	v_cndmask_b32_e32 v3, 0, v4, vcc_lo
	s_delay_alu instid0(VALU_DEP_1) | instskip(NEXT) | instid1(VALU_DEP_1)
	v_and_or_b32 v1, 0x80000000, v1, v3
	v_cvt_i32_f32_e32 v4, v1
.LBB87_497:
	s_mov_b32 s26, 0
.LBB87_498:
	s_delay_alu instid0(SALU_CYCLE_1)
	s_and_not1_b32 vcc_lo, exec_lo, s26
	s_cbranch_vccnz .LBB87_500
; %bb.499:
	global_load_u8 v1, v[8:9], off
	s_wait_loadcnt 0x0
	v_lshlrev_b32_e32 v3, 25, v1
	v_lshlrev_b16 v1, 8, v1
	s_delay_alu instid0(VALU_DEP_1) | instskip(NEXT) | instid1(VALU_DEP_3)
	v_and_or_b32 v5, 0x7f00, v1, 0.5
	v_lshrrev_b32_e32 v4, 4, v3
	v_bfe_i32 v1, v1, 0, 16
	s_delay_alu instid0(VALU_DEP_3) | instskip(NEXT) | instid1(VALU_DEP_3)
	v_add_f32_e32 v5, -0.5, v5
	v_or_b32_e32 v4, 0x70000000, v4
	s_delay_alu instid0(VALU_DEP_1) | instskip(SKIP_1) | instid1(VALU_DEP_2)
	v_mul_f32_e32 v4, 0x7800000, v4
	v_cmp_gt_u32_e32 vcc_lo, 0x8000000, v3
	v_cndmask_b32_e32 v3, v4, v5, vcc_lo
	s_delay_alu instid0(VALU_DEP_1) | instskip(NEXT) | instid1(VALU_DEP_1)
	v_and_or_b32 v1, 0x80000000, v1, v3
	v_cvt_i32_f32_e32 v4, v1
.LBB87_500:
	s_mov_b32 s27, 0
	s_mov_b32 s26, -1
.LBB87_501:
	s_and_not1_b32 vcc_lo, exec_lo, s27
	s_cbranch_vccnz .LBB87_514
; %bb.502:
	s_cmp_gt_i32 s25, 14
	s_cbranch_scc0 .LBB87_505
; %bb.503:
	s_cmp_eq_u32 s25, 15
	s_cbranch_scc0 .LBB87_508
; %bb.504:
	global_load_u16 v1, v[8:9], off
	s_mov_b32 s26, -1
	s_mov_b32 s24, 0
	s_wait_loadcnt 0x0
	v_lshlrev_b32_e32 v1, 16, v1
	s_delay_alu instid0(VALU_DEP_1)
	v_cvt_i32_f32_e32 v4, v1
	s_branch .LBB87_509
.LBB87_505:
	s_mov_b32 s27, -1
                                        ; implicit-def: $vgpr4
	s_branch .LBB87_510
.LBB87_506:
	s_and_not1_saveexec_b32 s26, s26
	s_cbranch_execz .LBB87_487
.LBB87_507:
	v_cmp_ne_u16_e32 vcc_lo, 0, v1
	s_and_not1_b32 s27, s27, exec_lo
	s_and_b32 s47, vcc_lo, exec_lo
	s_delay_alu instid0(SALU_CYCLE_1)
	s_or_b32 s27, s27, s47
	s_or_b32 exec_lo, exec_lo, s26
	v_mov_b32_e32 v4, 0
	s_and_saveexec_b32 s26, s27
	s_cbranch_execnz .LBB87_488
	s_branch .LBB87_489
.LBB87_508:
	s_mov_b32 s24, -1
                                        ; implicit-def: $vgpr4
.LBB87_509:
	s_mov_b32 s27, 0
.LBB87_510:
	s_delay_alu instid0(SALU_CYCLE_1)
	s_and_b32 vcc_lo, exec_lo, s27
	s_cbranch_vccz .LBB87_514
; %bb.511:
	s_cmp_eq_u32 s25, 11
	s_cbranch_scc0 .LBB87_513
; %bb.512:
	global_load_u8 v1, v[8:9], off
	s_mov_b32 s24, 0
	s_mov_b32 s26, -1
	s_wait_loadcnt 0x0
	v_cmp_ne_u16_e32 vcc_lo, 0, v1
	v_cndmask_b32_e64 v4, 0, 1, vcc_lo
	s_branch .LBB87_514
.LBB87_513:
	s_mov_b32 s24, -1
                                        ; implicit-def: $vgpr4
.LBB87_514:
	s_mov_b32 s25, 0
.LBB87_515:
	s_delay_alu instid0(SALU_CYCLE_1)
	s_and_b32 vcc_lo, exec_lo, s25
	s_cbranch_vccz .LBB87_564
; %bb.516:
	s_and_b32 s0, 0xffff, s0
	s_delay_alu instid0(SALU_CYCLE_1)
	s_cmp_lt_i32 s0, 5
	s_cbranch_scc1 .LBB87_521
; %bb.517:
	s_cmp_lt_i32 s0, 8
	s_cbranch_scc1 .LBB87_522
; %bb.518:
	s_cmp_lt_i32 s0, 9
	s_cbranch_scc1 .LBB87_523
; %bb.519:
	s_cmp_gt_i32 s0, 9
	s_cbranch_scc0 .LBB87_524
; %bb.520:
	s_wait_loadcnt 0x0
	global_load_b64 v[4:5], v[8:9], off
	s_mov_b32 s25, 0
	s_wait_loadcnt 0x0
	v_cvt_i32_f64_e32 v4, v[4:5]
	s_branch .LBB87_525
.LBB87_521:
	s_mov_b32 s25, -1
                                        ; implicit-def: $vgpr4
	s_branch .LBB87_543
.LBB87_522:
	s_mov_b32 s25, -1
                                        ; implicit-def: $vgpr4
	s_branch .LBB87_531
.LBB87_523:
	s_mov_b32 s25, -1
                                        ; implicit-def: $vgpr4
	s_branch .LBB87_528
.LBB87_524:
	s_mov_b32 s25, -1
                                        ; implicit-def: $vgpr4
.LBB87_525:
	s_delay_alu instid0(SALU_CYCLE_1)
	s_and_not1_b32 vcc_lo, exec_lo, s25
	s_cbranch_vccnz .LBB87_527
; %bb.526:
	global_load_b32 v1, v[8:9], off
	s_wait_loadcnt 0x0
	v_cvt_i32_f32_e32 v4, v1
.LBB87_527:
	s_mov_b32 s25, 0
.LBB87_528:
	s_delay_alu instid0(SALU_CYCLE_1)
	s_and_not1_b32 vcc_lo, exec_lo, s25
	s_cbranch_vccnz .LBB87_530
; %bb.529:
	global_load_b32 v1, v[8:9], off
	s_wait_loadcnt 0x0
	v_cvt_i16_f16_e32 v4, v1
.LBB87_530:
	s_mov_b32 s25, 0
.LBB87_531:
	s_delay_alu instid0(SALU_CYCLE_1)
	s_and_not1_b32 vcc_lo, exec_lo, s25
	s_cbranch_vccnz .LBB87_542
; %bb.532:
	s_cmp_lt_i32 s0, 6
	s_cbranch_scc1 .LBB87_535
; %bb.533:
	s_cmp_gt_i32 s0, 6
	s_cbranch_scc0 .LBB87_536
; %bb.534:
	s_wait_loadcnt 0x0
	global_load_b64 v[4:5], v[8:9], off
	s_mov_b32 s25, 0
	s_wait_loadcnt 0x0
	v_cvt_i32_f64_e32 v4, v[4:5]
	s_branch .LBB87_537
.LBB87_535:
	s_mov_b32 s25, -1
                                        ; implicit-def: $vgpr4
	s_branch .LBB87_540
.LBB87_536:
	s_mov_b32 s25, -1
                                        ; implicit-def: $vgpr4
.LBB87_537:
	s_delay_alu instid0(SALU_CYCLE_1)
	s_and_not1_b32 vcc_lo, exec_lo, s25
	s_cbranch_vccnz .LBB87_539
; %bb.538:
	global_load_b32 v1, v[8:9], off
	s_wait_loadcnt 0x0
	v_cvt_i32_f32_e32 v4, v1
.LBB87_539:
	s_mov_b32 s25, 0
.LBB87_540:
	s_delay_alu instid0(SALU_CYCLE_1)
	s_and_not1_b32 vcc_lo, exec_lo, s25
	s_cbranch_vccnz .LBB87_542
; %bb.541:
	global_load_u16 v1, v[8:9], off
	s_wait_loadcnt 0x0
	v_cvt_i16_f16_e32 v4, v1
.LBB87_542:
	s_mov_b32 s25, 0
.LBB87_543:
	s_delay_alu instid0(SALU_CYCLE_1)
	s_and_not1_b32 vcc_lo, exec_lo, s25
	s_cbranch_vccnz .LBB87_563
; %bb.544:
	s_cmp_lt_i32 s0, 2
	s_cbranch_scc1 .LBB87_548
; %bb.545:
	s_cmp_lt_i32 s0, 3
	s_cbranch_scc1 .LBB87_549
; %bb.546:
	s_cmp_gt_i32 s0, 3
	s_cbranch_scc0 .LBB87_550
; %bb.547:
	s_wait_loadcnt 0x0
	global_load_b64 v[4:5], v[8:9], off
	s_mov_b32 s25, 0
	s_branch .LBB87_551
.LBB87_548:
	s_mov_b32 s25, -1
                                        ; implicit-def: $vgpr4
	s_branch .LBB87_557
.LBB87_549:
	s_mov_b32 s25, -1
                                        ; implicit-def: $vgpr4
	s_branch .LBB87_554
.LBB87_550:
	s_mov_b32 s25, -1
                                        ; implicit-def: $vgpr4
.LBB87_551:
	s_delay_alu instid0(SALU_CYCLE_1)
	s_and_not1_b32 vcc_lo, exec_lo, s25
	s_cbranch_vccnz .LBB87_553
; %bb.552:
	s_wait_loadcnt 0x0
	global_load_b32 v4, v[8:9], off
.LBB87_553:
	s_mov_b32 s25, 0
.LBB87_554:
	s_delay_alu instid0(SALU_CYCLE_1)
	s_and_not1_b32 vcc_lo, exec_lo, s25
	s_cbranch_vccnz .LBB87_556
; %bb.555:
	s_wait_loadcnt 0x0
	global_load_u16 v4, v[8:9], off
.LBB87_556:
	s_mov_b32 s25, 0
.LBB87_557:
	s_delay_alu instid0(SALU_CYCLE_1)
	s_and_not1_b32 vcc_lo, exec_lo, s25
	s_cbranch_vccnz .LBB87_563
; %bb.558:
	s_cmp_gt_i32 s0, 0
	s_mov_b32 s0, 0
	s_cbranch_scc0 .LBB87_560
; %bb.559:
	s_wait_loadcnt 0x0
	global_load_i8 v4, v[8:9], off
	s_branch .LBB87_561
.LBB87_560:
	s_mov_b32 s0, -1
                                        ; implicit-def: $vgpr4
.LBB87_561:
	s_delay_alu instid0(SALU_CYCLE_1)
	s_and_not1_b32 vcc_lo, exec_lo, s0
	s_cbranch_vccnz .LBB87_563
; %bb.562:
	s_wait_loadcnt 0x0
	global_load_u8 v4, v[8:9], off
.LBB87_563:
	s_mov_b32 s26, -1
.LBB87_564:
	s_mov_b32 s25, 0
	s_mov_b32 s0, s42
	s_and_not1_b32 vcc_lo, exec_lo, s26
	s_mov_b32 s26, s43
	s_mov_b32 s27, 0
	s_cbranch_vccnz .LBB87_815
; %bb.565:
	v_mov_b32_e32 v7, 0
	s_and_b32 s0, 0xffff, s9
	s_delay_alu instid0(SALU_CYCLE_1) | instskip(NEXT) | instid1(VALU_DEP_1)
	s_cmp_lt_i32 s0, 11
	v_add_nc_u64_e32 v[6:7], s[6:7], v[6:7]
	s_cbranch_scc1 .LBB87_572
; %bb.566:
	s_cmp_gt_i32 s0, 25
	s_cbranch_scc0 .LBB87_573
; %bb.567:
	s_cmp_gt_i32 s0, 28
	s_cbranch_scc0 .LBB87_574
	;; [unrolled: 3-line block ×4, first 2 shown]
; %bb.570:
	s_cmp_eq_u32 s0, 46
	s_mov_b32 s47, 0
	s_cbranch_scc0 .LBB87_579
; %bb.571:
	global_load_b32 v1, v[6:7], off
	s_mov_b32 s27, -1
	s_mov_b32 s26, 0
	s_wait_loadcnt 0x0
	v_lshlrev_b32_e32 v1, 16, v1
	s_wait_xcnt 0x1
	s_delay_alu instid0(VALU_DEP_1)
	v_cvt_i32_f32_e32 v8, v1
	s_branch .LBB87_581
.LBB87_572:
	s_mov_b32 s47, -1
	s_mov_b32 s26, s43
                                        ; implicit-def: $vgpr8
	s_branch .LBB87_642
.LBB87_573:
	s_mov_b32 s47, -1
	s_mov_b32 s26, s43
                                        ; implicit-def: $vgpr8
	s_branch .LBB87_608
.LBB87_574:
	s_mov_b32 s47, -1
	s_mov_b32 s26, s43
                                        ; implicit-def: $vgpr8
	s_branch .LBB87_591
.LBB87_575:
	s_mov_b32 s47, -1
	s_mov_b32 s26, s43
                                        ; implicit-def: $vgpr8
	s_branch .LBB87_586
.LBB87_576:
	s_mov_b32 s47, -1
	s_mov_b32 s26, s43
	s_branch .LBB87_580
.LBB87_577:
	s_and_not1_saveexec_b32 s45, s45
	s_cbranch_execz .LBB87_328
.LBB87_578:
	v_add_f32_e64 v5, 0x42800000, |v4|
	s_and_not1_b32 s44, s44, exec_lo
	s_delay_alu instid0(VALU_DEP_1) | instskip(NEXT) | instid1(VALU_DEP_1)
	v_and_b32_e32 v5, 0xff, v5
	v_cmp_ne_u32_e32 vcc_lo, 0, v5
	s_and_b32 s47, vcc_lo, exec_lo
	s_delay_alu instid0(SALU_CYCLE_1)
	s_or_b32 s44, s44, s47
	s_or_b32 exec_lo, exec_lo, s45
	v_mov_b32_e32 v6, 0
	s_and_saveexec_b32 s45, s44
	s_cbranch_execnz .LBB87_329
	s_branch .LBB87_330
.LBB87_579:
	s_mov_b32 s26, -1
.LBB87_580:
                                        ; implicit-def: $vgpr8
.LBB87_581:
	s_and_b32 vcc_lo, exec_lo, s47
	s_cbranch_vccz .LBB87_585
; %bb.582:
	s_cmp_eq_u32 s0, 44
	s_cbranch_scc0 .LBB87_584
; %bb.583:
	global_load_u8 v1, v[6:7], off
	s_mov_b32 s26, 0
	s_mov_b32 s27, -1
	s_wait_loadcnt 0x0
	v_lshlrev_b32_e32 v3, 23, v1
	v_cmp_ne_u32_e32 vcc_lo, 0, v1
	s_delay_alu instid0(VALU_DEP_2) | instskip(SKIP_1) | instid1(VALU_DEP_1)
	v_cvt_i32_f32_e32 v3, v3
	s_wait_xcnt 0x1
	v_cndmask_b32_e32 v8, 0, v3, vcc_lo
	s_branch .LBB87_585
.LBB87_584:
	s_mov_b32 s26, -1
                                        ; implicit-def: $vgpr8
.LBB87_585:
	s_mov_b32 s47, 0
.LBB87_586:
	s_delay_alu instid0(SALU_CYCLE_1)
	s_and_b32 vcc_lo, exec_lo, s47
	s_cbranch_vccz .LBB87_590
; %bb.587:
	s_cmp_eq_u32 s0, 29
	s_cbranch_scc0 .LBB87_589
; %bb.588:
	global_load_b64 v[8:9], v[6:7], off
	s_mov_b32 s27, -1
	s_mov_b32 s26, 0
	s_branch .LBB87_590
.LBB87_589:
	s_mov_b32 s26, -1
                                        ; implicit-def: $vgpr8
.LBB87_590:
	s_mov_b32 s47, 0
.LBB87_591:
	s_delay_alu instid0(SALU_CYCLE_1)
	s_and_b32 vcc_lo, exec_lo, s47
	s_cbranch_vccz .LBB87_607
; %bb.592:
	s_cmp_lt_i32 s0, 27
	s_cbranch_scc1 .LBB87_595
; %bb.593:
	s_cmp_gt_i32 s0, 27
	s_cbranch_scc0 .LBB87_596
; %bb.594:
	s_wait_loadcnt 0x0
	global_load_b32 v8, v[6:7], off
	s_mov_b32 s27, 0
	s_branch .LBB87_597
.LBB87_595:
	s_mov_b32 s27, -1
                                        ; implicit-def: $vgpr8
	s_branch .LBB87_600
.LBB87_596:
	s_mov_b32 s27, -1
                                        ; implicit-def: $vgpr8
.LBB87_597:
	s_delay_alu instid0(SALU_CYCLE_1)
	s_and_not1_b32 vcc_lo, exec_lo, s27
	s_cbranch_vccnz .LBB87_599
; %bb.598:
	s_wait_loadcnt 0x0
	global_load_u16 v8, v[6:7], off
.LBB87_599:
	s_mov_b32 s27, 0
.LBB87_600:
	s_delay_alu instid0(SALU_CYCLE_1)
	s_and_not1_b32 vcc_lo, exec_lo, s27
	s_cbranch_vccnz .LBB87_606
; %bb.601:
	global_load_u8 v1, v[6:7], off
	s_mov_b32 s47, 0
	s_mov_b32 s27, exec_lo
	s_wait_loadcnt 0x0
	v_cmpx_lt_i16_e32 0x7f, v1
	s_xor_b32 s27, exec_lo, s27
	s_cbranch_execz .LBB87_618
; %bb.602:
	v_cmp_ne_u16_e32 vcc_lo, 0x80, v1
	s_and_b32 s47, vcc_lo, exec_lo
	s_and_not1_saveexec_b32 s27, s27
	s_cbranch_execnz .LBB87_619
.LBB87_603:
	s_or_b32 exec_lo, exec_lo, s27
	v_mov_b32_e32 v8, 0
	s_and_saveexec_b32 s27, s47
	s_cbranch_execz .LBB87_605
.LBB87_604:
	v_and_b32_e32 v3, 0xffff, v1
	s_delay_alu instid0(VALU_DEP_1) | instskip(SKIP_1) | instid1(VALU_DEP_2)
	v_and_b32_e32 v5, 7, v3
	v_bfe_u32 v10, v3, 3, 4
	v_clz_i32_u32_e32 v8, v5
	s_delay_alu instid0(VALU_DEP_2) | instskip(NEXT) | instid1(VALU_DEP_2)
	v_cmp_eq_u32_e32 vcc_lo, 0, v10
	v_min_u32_e32 v8, 32, v8
	s_delay_alu instid0(VALU_DEP_1) | instskip(NEXT) | instid1(VALU_DEP_1)
	v_subrev_nc_u32_e32 v9, 28, v8
	v_dual_lshlrev_b32 v3, v9, v3 :: v_dual_sub_nc_u32 v8, 29, v8
	s_delay_alu instid0(VALU_DEP_1) | instskip(NEXT) | instid1(VALU_DEP_1)
	v_dual_lshlrev_b32 v1, 24, v1 :: v_dual_bitop2_b32 v3, 7, v3 bitop3:0x40
	v_dual_cndmask_b32 v8, v10, v8 :: v_dual_cndmask_b32 v3, v5, v3
	s_delay_alu instid0(VALU_DEP_2) | instskip(NEXT) | instid1(VALU_DEP_2)
	v_and_b32_e32 v1, 0x80000000, v1
	v_lshl_add_u32 v5, v8, 23, 0x3b800000
	s_delay_alu instid0(VALU_DEP_3) | instskip(NEXT) | instid1(VALU_DEP_1)
	v_lshlrev_b32_e32 v3, 20, v3
	v_or3_b32 v1, v1, v5, v3
	s_delay_alu instid0(VALU_DEP_1)
	v_cvt_i32_f32_e32 v8, v1
.LBB87_605:
	s_or_b32 exec_lo, exec_lo, s27
.LBB87_606:
	s_mov_b32 s27, -1
.LBB87_607:
	s_mov_b32 s47, 0
.LBB87_608:
	s_delay_alu instid0(SALU_CYCLE_1)
	s_and_b32 vcc_lo, exec_lo, s47
	s_cbranch_vccz .LBB87_641
; %bb.609:
	s_cmp_gt_i32 s0, 22
	s_cbranch_scc0 .LBB87_617
; %bb.610:
	s_cmp_lt_i32 s0, 24
	s_cbranch_scc1 .LBB87_620
; %bb.611:
	s_cmp_gt_i32 s0, 24
	s_cbranch_scc0 .LBB87_621
; %bb.612:
	global_load_u8 v1, v[6:7], off
	s_mov_b32 s47, 0
	s_mov_b32 s27, exec_lo
	s_wait_loadcnt 0x0
	v_cmpx_lt_i16_e32 0x7f, v1
	s_xor_b32 s27, exec_lo, s27
	s_cbranch_execz .LBB87_633
; %bb.613:
	v_cmp_ne_u16_e32 vcc_lo, 0x80, v1
	s_and_b32 s47, vcc_lo, exec_lo
	s_and_not1_saveexec_b32 s27, s27
	s_cbranch_execnz .LBB87_634
.LBB87_614:
	s_or_b32 exec_lo, exec_lo, s27
	v_mov_b32_e32 v8, 0
	s_and_saveexec_b32 s27, s47
	s_cbranch_execz .LBB87_616
.LBB87_615:
	v_and_b32_e32 v3, 0xffff, v1
	s_delay_alu instid0(VALU_DEP_1) | instskip(SKIP_1) | instid1(VALU_DEP_2)
	v_and_b32_e32 v5, 3, v3
	v_bfe_u32 v10, v3, 2, 5
	v_clz_i32_u32_e32 v8, v5
	s_delay_alu instid0(VALU_DEP_2) | instskip(NEXT) | instid1(VALU_DEP_2)
	v_cmp_eq_u32_e32 vcc_lo, 0, v10
	v_min_u32_e32 v8, 32, v8
	s_delay_alu instid0(VALU_DEP_1) | instskip(NEXT) | instid1(VALU_DEP_1)
	v_subrev_nc_u32_e32 v9, 29, v8
	v_dual_lshlrev_b32 v3, v9, v3 :: v_dual_sub_nc_u32 v8, 30, v8
	s_delay_alu instid0(VALU_DEP_1) | instskip(NEXT) | instid1(VALU_DEP_1)
	v_dual_lshlrev_b32 v1, 24, v1 :: v_dual_bitop2_b32 v3, 3, v3 bitop3:0x40
	v_dual_cndmask_b32 v8, v10, v8 :: v_dual_cndmask_b32 v3, v5, v3
	s_delay_alu instid0(VALU_DEP_2) | instskip(NEXT) | instid1(VALU_DEP_2)
	v_and_b32_e32 v1, 0x80000000, v1
	v_lshl_add_u32 v5, v8, 23, 0x37800000
	s_delay_alu instid0(VALU_DEP_3) | instskip(NEXT) | instid1(VALU_DEP_1)
	v_lshlrev_b32_e32 v3, 21, v3
	v_or3_b32 v1, v1, v5, v3
	s_delay_alu instid0(VALU_DEP_1)
	v_cvt_i32_f32_e32 v8, v1
.LBB87_616:
	s_or_b32 exec_lo, exec_lo, s27
	s_mov_b32 s27, 0
	s_branch .LBB87_622
.LBB87_617:
	s_mov_b32 s47, -1
                                        ; implicit-def: $vgpr8
	s_branch .LBB87_628
.LBB87_618:
	s_and_not1_saveexec_b32 s27, s27
	s_cbranch_execz .LBB87_603
.LBB87_619:
	v_cmp_ne_u16_e32 vcc_lo, 0, v1
	s_and_not1_b32 s47, s47, exec_lo
	s_and_b32 s48, vcc_lo, exec_lo
	s_delay_alu instid0(SALU_CYCLE_1)
	s_or_b32 s47, s47, s48
	s_or_b32 exec_lo, exec_lo, s27
	v_mov_b32_e32 v8, 0
	s_and_saveexec_b32 s27, s47
	s_cbranch_execnz .LBB87_604
	s_branch .LBB87_605
.LBB87_620:
	s_mov_b32 s27, -1
                                        ; implicit-def: $vgpr8
	s_branch .LBB87_625
.LBB87_621:
	s_mov_b32 s27, -1
                                        ; implicit-def: $vgpr8
.LBB87_622:
	s_delay_alu instid0(SALU_CYCLE_1)
	s_and_b32 vcc_lo, exec_lo, s27
	s_cbranch_vccz .LBB87_624
; %bb.623:
	global_load_u8 v1, v[6:7], off
	s_wait_loadcnt 0x0
	v_lshlrev_b32_e32 v1, 24, v1
	s_delay_alu instid0(VALU_DEP_1) | instskip(NEXT) | instid1(VALU_DEP_1)
	v_and_b32_e32 v3, 0x7f000000, v1
	v_clz_i32_u32_e32 v5, v3
	s_wait_xcnt 0x1
	v_add_nc_u32_e32 v9, 0x1000000, v3
	v_cmp_ne_u32_e32 vcc_lo, 0, v3
	s_delay_alu instid0(VALU_DEP_3) | instskip(NEXT) | instid1(VALU_DEP_1)
	v_min_u32_e32 v5, 32, v5
	v_sub_nc_u32_e64 v5, v5, 4 clamp
	s_delay_alu instid0(VALU_DEP_1) | instskip(NEXT) | instid1(VALU_DEP_1)
	v_dual_lshlrev_b32 v8, v5, v3 :: v_dual_lshlrev_b32 v5, 23, v5
	v_lshrrev_b32_e32 v8, 4, v8
	s_delay_alu instid0(VALU_DEP_1) | instskip(SKIP_1) | instid1(VALU_DEP_2)
	v_sub_nc_u32_e32 v5, v8, v5
	v_ashrrev_i32_e32 v8, 8, v9
	v_add_nc_u32_e32 v5, 0x3c000000, v5
	s_delay_alu instid0(VALU_DEP_1) | instskip(NEXT) | instid1(VALU_DEP_1)
	v_and_or_b32 v5, 0x7f800000, v8, v5
	v_cndmask_b32_e32 v3, 0, v5, vcc_lo
	s_delay_alu instid0(VALU_DEP_1) | instskip(NEXT) | instid1(VALU_DEP_1)
	v_and_or_b32 v1, 0x80000000, v1, v3
	v_cvt_i32_f32_e32 v8, v1
.LBB87_624:
	s_mov_b32 s27, 0
.LBB87_625:
	s_delay_alu instid0(SALU_CYCLE_1)
	s_and_not1_b32 vcc_lo, exec_lo, s27
	s_cbranch_vccnz .LBB87_627
; %bb.626:
	global_load_u8 v1, v[6:7], off
	s_wait_loadcnt 0x0
	v_lshlrev_b32_e32 v3, 25, v1
	v_lshlrev_b16 v1, 8, v1
	s_wait_xcnt 0x1
	s_delay_alu instid0(VALU_DEP_1) | instskip(SKIP_1) | instid1(VALU_DEP_2)
	v_and_or_b32 v8, 0x7f00, v1, 0.5
	v_bfe_i32 v1, v1, 0, 16
	v_dual_add_f32 v8, -0.5, v8 :: v_dual_lshrrev_b32 v5, 4, v3
	v_cmp_gt_u32_e32 vcc_lo, 0x8000000, v3
	s_delay_alu instid0(VALU_DEP_2) | instskip(NEXT) | instid1(VALU_DEP_1)
	v_or_b32_e32 v5, 0x70000000, v5
	v_mul_f32_e32 v5, 0x7800000, v5
	s_delay_alu instid0(VALU_DEP_1) | instskip(NEXT) | instid1(VALU_DEP_1)
	v_cndmask_b32_e32 v3, v5, v8, vcc_lo
	v_and_or_b32 v1, 0x80000000, v1, v3
	s_delay_alu instid0(VALU_DEP_1)
	v_cvt_i32_f32_e32 v8, v1
.LBB87_627:
	s_mov_b32 s47, 0
	s_mov_b32 s27, -1
.LBB87_628:
	s_and_not1_b32 vcc_lo, exec_lo, s47
	s_cbranch_vccnz .LBB87_641
; %bb.629:
	s_cmp_gt_i32 s0, 14
	s_cbranch_scc0 .LBB87_632
; %bb.630:
	s_cmp_eq_u32 s0, 15
	s_cbranch_scc0 .LBB87_635
; %bb.631:
	global_load_u16 v1, v[6:7], off
	s_mov_b32 s27, -1
	s_mov_b32 s26, 0
	s_wait_loadcnt 0x0
	v_lshlrev_b32_e32 v1, 16, v1
	s_wait_xcnt 0x1
	s_delay_alu instid0(VALU_DEP_1)
	v_cvt_i32_f32_e32 v8, v1
	s_branch .LBB87_636
.LBB87_632:
	s_mov_b32 s47, -1
                                        ; implicit-def: $vgpr8
	s_branch .LBB87_637
.LBB87_633:
	s_and_not1_saveexec_b32 s27, s27
	s_cbranch_execz .LBB87_614
.LBB87_634:
	v_cmp_ne_u16_e32 vcc_lo, 0, v1
	s_and_not1_b32 s47, s47, exec_lo
	s_and_b32 s48, vcc_lo, exec_lo
	s_delay_alu instid0(SALU_CYCLE_1)
	s_or_b32 s47, s47, s48
	s_or_b32 exec_lo, exec_lo, s27
	v_mov_b32_e32 v8, 0
	s_and_saveexec_b32 s27, s47
	s_cbranch_execnz .LBB87_615
	s_branch .LBB87_616
.LBB87_635:
	s_mov_b32 s26, -1
                                        ; implicit-def: $vgpr8
.LBB87_636:
	s_mov_b32 s47, 0
.LBB87_637:
	s_delay_alu instid0(SALU_CYCLE_1)
	s_and_b32 vcc_lo, exec_lo, s47
	s_cbranch_vccz .LBB87_641
; %bb.638:
	s_cmp_eq_u32 s0, 11
	s_cbranch_scc0 .LBB87_640
; %bb.639:
	global_load_u8 v1, v[6:7], off
	s_mov_b32 s26, 0
	s_mov_b32 s27, -1
	s_wait_loadcnt 0x0
	v_cmp_ne_u16_e32 vcc_lo, 0, v1
	s_wait_xcnt 0x1
	v_cndmask_b32_e64 v8, 0, 1, vcc_lo
	s_branch .LBB87_641
.LBB87_640:
	s_mov_b32 s26, -1
                                        ; implicit-def: $vgpr8
.LBB87_641:
	s_mov_b32 s47, 0
.LBB87_642:
	s_delay_alu instid0(SALU_CYCLE_1)
	s_and_b32 vcc_lo, exec_lo, s47
	s_cbranch_vccz .LBB87_691
; %bb.643:
	s_cmp_lt_i32 s0, 5
	s_cbranch_scc1 .LBB87_648
; %bb.644:
	s_cmp_lt_i32 s0, 8
	s_cbranch_scc1 .LBB87_649
	;; [unrolled: 3-line block ×3, first 2 shown]
; %bb.646:
	s_cmp_gt_i32 s0, 9
	s_cbranch_scc0 .LBB87_651
; %bb.647:
	s_wait_loadcnt 0x0
	global_load_b64 v[8:9], v[6:7], off
	s_mov_b32 s27, 0
	s_wait_loadcnt 0x0
	v_cvt_i32_f64_e32 v8, v[8:9]
	s_branch .LBB87_652
.LBB87_648:
	s_mov_b32 s27, -1
                                        ; implicit-def: $vgpr8
	s_branch .LBB87_670
.LBB87_649:
	s_mov_b32 s27, -1
                                        ; implicit-def: $vgpr8
	s_branch .LBB87_658
.LBB87_650:
	s_mov_b32 s27, -1
                                        ; implicit-def: $vgpr8
	s_branch .LBB87_655
.LBB87_651:
	s_mov_b32 s27, -1
                                        ; implicit-def: $vgpr8
.LBB87_652:
	s_delay_alu instid0(SALU_CYCLE_1)
	s_and_not1_b32 vcc_lo, exec_lo, s27
	s_cbranch_vccnz .LBB87_654
; %bb.653:
	global_load_b32 v1, v[6:7], off
	s_wait_loadcnt 0x0
	s_wait_xcnt 0x1
	v_cvt_i32_f32_e32 v8, v1
.LBB87_654:
	s_mov_b32 s27, 0
.LBB87_655:
	s_delay_alu instid0(SALU_CYCLE_1)
	s_and_not1_b32 vcc_lo, exec_lo, s27
	s_cbranch_vccnz .LBB87_657
; %bb.656:
	global_load_b32 v1, v[6:7], off
	s_wait_loadcnt 0x0
	s_wait_xcnt 0x1
	v_cvt_i16_f16_e32 v8, v1
.LBB87_657:
	s_mov_b32 s27, 0
.LBB87_658:
	s_delay_alu instid0(SALU_CYCLE_1)
	s_and_not1_b32 vcc_lo, exec_lo, s27
	s_cbranch_vccnz .LBB87_669
; %bb.659:
	s_cmp_lt_i32 s0, 6
	s_cbranch_scc1 .LBB87_662
; %bb.660:
	s_cmp_gt_i32 s0, 6
	s_cbranch_scc0 .LBB87_663
; %bb.661:
	s_wait_loadcnt 0x0
	global_load_b64 v[8:9], v[6:7], off
	s_mov_b32 s27, 0
	s_wait_loadcnt 0x0
	v_cvt_i32_f64_e32 v8, v[8:9]
	s_branch .LBB87_664
.LBB87_662:
	s_mov_b32 s27, -1
                                        ; implicit-def: $vgpr8
	s_branch .LBB87_667
.LBB87_663:
	s_mov_b32 s27, -1
                                        ; implicit-def: $vgpr8
.LBB87_664:
	s_delay_alu instid0(SALU_CYCLE_1)
	s_and_not1_b32 vcc_lo, exec_lo, s27
	s_cbranch_vccnz .LBB87_666
; %bb.665:
	global_load_b32 v1, v[6:7], off
	s_wait_loadcnt 0x0
	s_wait_xcnt 0x1
	v_cvt_i32_f32_e32 v8, v1
.LBB87_666:
	s_mov_b32 s27, 0
.LBB87_667:
	s_delay_alu instid0(SALU_CYCLE_1)
	s_and_not1_b32 vcc_lo, exec_lo, s27
	s_cbranch_vccnz .LBB87_669
; %bb.668:
	global_load_u16 v1, v[6:7], off
	s_wait_loadcnt 0x0
	s_wait_xcnt 0x1
	v_cvt_i16_f16_e32 v8, v1
.LBB87_669:
	s_mov_b32 s27, 0
.LBB87_670:
	s_delay_alu instid0(SALU_CYCLE_1)
	s_and_not1_b32 vcc_lo, exec_lo, s27
	s_cbranch_vccnz .LBB87_690
; %bb.671:
	s_cmp_lt_i32 s0, 2
	s_cbranch_scc1 .LBB87_675
; %bb.672:
	s_cmp_lt_i32 s0, 3
	s_cbranch_scc1 .LBB87_676
; %bb.673:
	s_cmp_gt_i32 s0, 3
	s_cbranch_scc0 .LBB87_677
; %bb.674:
	s_wait_loadcnt 0x0
	global_load_b64 v[8:9], v[6:7], off
	s_mov_b32 s27, 0
	s_branch .LBB87_678
.LBB87_675:
	s_mov_b32 s27, -1
                                        ; implicit-def: $vgpr8
	s_branch .LBB87_684
.LBB87_676:
	s_mov_b32 s27, -1
                                        ; implicit-def: $vgpr8
	s_branch .LBB87_681
.LBB87_677:
	s_mov_b32 s27, -1
                                        ; implicit-def: $vgpr8
.LBB87_678:
	s_delay_alu instid0(SALU_CYCLE_1)
	s_and_not1_b32 vcc_lo, exec_lo, s27
	s_cbranch_vccnz .LBB87_680
; %bb.679:
	s_wait_loadcnt 0x0
	global_load_b32 v8, v[6:7], off
.LBB87_680:
	s_mov_b32 s27, 0
.LBB87_681:
	s_delay_alu instid0(SALU_CYCLE_1)
	s_and_not1_b32 vcc_lo, exec_lo, s27
	s_cbranch_vccnz .LBB87_683
; %bb.682:
	s_wait_loadcnt 0x0
	global_load_u16 v8, v[6:7], off
.LBB87_683:
	s_mov_b32 s27, 0
.LBB87_684:
	s_delay_alu instid0(SALU_CYCLE_1)
	s_and_not1_b32 vcc_lo, exec_lo, s27
	s_cbranch_vccnz .LBB87_690
; %bb.685:
	s_cmp_gt_i32 s0, 0
	s_mov_b32 s0, 0
	s_cbranch_scc0 .LBB87_687
; %bb.686:
	s_wait_loadcnt 0x0
	global_load_i8 v8, v[6:7], off
	s_branch .LBB87_688
.LBB87_687:
	s_mov_b32 s0, -1
                                        ; implicit-def: $vgpr8
.LBB87_688:
	s_delay_alu instid0(SALU_CYCLE_1)
	s_and_not1_b32 vcc_lo, exec_lo, s0
	s_cbranch_vccnz .LBB87_690
; %bb.689:
	s_wait_loadcnt 0x0
	global_load_u8 v8, v[6:7], off
.LBB87_690:
	s_mov_b32 s27, -1
.LBB87_691:
	s_delay_alu instid0(SALU_CYCLE_1)
	s_and_not1_b32 vcc_lo, exec_lo, s27
	s_cbranch_vccnz .LBB87_699
; %bb.692:
	v_mov_b32_e32 v3, 0
	s_wait_loadcnt 0x0
	s_delay_alu instid0(VALU_DEP_4) | instskip(SKIP_1) | instid1(SALU_CYCLE_1)
	v_mul_lo_u16 v1, v4, s33
	s_and_b32 s27, s34, 0xff
	s_cmp_lt_i32 s27, 11
	v_add_nc_u64_e32 v[2:3], s[16:17], v[2:3]
	s_delay_alu instid0(VALU_DEP_2)
	v_mul_lo_u16 v1, v1, v8
	s_cbranch_scc1 .LBB87_700
; %bb.693:
	s_and_b32 s47, 0xffff, s27
	s_delay_alu instid0(SALU_CYCLE_1)
	s_cmp_gt_i32 s47, 25
	s_cbranch_scc0 .LBB87_701
; %bb.694:
	s_cmp_gt_i32 s47, 28
	s_cbranch_scc0 .LBB87_702
; %bb.695:
	;; [unrolled: 3-line block ×4, first 2 shown]
	s_mov_b32 s49, 0
	s_mov_b32 s0, -1
	s_cmp_eq_u32 s47, 46
	s_mov_b32 s48, 0
	s_cbranch_scc0 .LBB87_705
; %bb.698:
	v_bfe_i32 v4, v1, 0, 16
	s_mov_b32 s48, -1
	s_mov_b32 s0, 0
	s_delay_alu instid0(VALU_DEP_1) | instskip(NEXT) | instid1(VALU_DEP_1)
	v_cvt_f32_i32_e32 v4, v4
	v_bfe_u32 v5, v4, 16, 1
	s_delay_alu instid0(VALU_DEP_1) | instskip(NEXT) | instid1(VALU_DEP_1)
	v_add3_u32 v4, v4, v5, 0x7fff
	v_lshrrev_b32_e32 v4, 16, v4
	global_store_b32 v[2:3], v4, off
	s_branch .LBB87_705
.LBB87_699:
	s_mov_b32 s27, 0
	s_mov_b32 s0, s42
	s_branch .LBB87_444
.LBB87_700:
	s_mov_b32 s47, -1
	s_mov_b32 s48, 0
	s_mov_b32 s0, s42
	s_branch .LBB87_774
.LBB87_701:
	s_mov_b32 s49, -1
	s_mov_b32 s48, 0
	s_mov_b32 s0, s42
	s_branch .LBB87_732
.LBB87_702:
	s_mov_b32 s49, -1
	s_mov_b32 s48, 0
	s_mov_b32 s0, s42
	s_branch .LBB87_715
.LBB87_703:
	s_mov_b32 s49, -1
	s_mov_b32 s48, 0
	s_mov_b32 s0, s42
	s_branch .LBB87_711
.LBB87_704:
	s_mov_b32 s49, -1
	s_mov_b32 s48, 0
	s_mov_b32 s0, s42
.LBB87_705:
	s_and_b32 vcc_lo, exec_lo, s49
	s_cbranch_vccz .LBB87_710
; %bb.706:
	s_cmp_eq_u32 s47, 44
	s_mov_b32 s0, -1
	s_cbranch_scc0 .LBB87_710
; %bb.707:
	s_wait_xcnt 0x0
	v_bfe_i32 v4, v1, 0, 16
	v_mov_b32_e32 v5, 0xff
	s_mov_b32 s48, exec_lo
	s_delay_alu instid0(VALU_DEP_2) | instskip(NEXT) | instid1(VALU_DEP_1)
	v_cvt_f32_i32_e32 v4, v4
	v_bfe_u32 v6, v4, 23, 8
	s_delay_alu instid0(VALU_DEP_1)
	v_cmpx_ne_u32_e32 0xff, v6
	s_cbranch_execz .LBB87_709
; %bb.708:
	v_and_b32_e32 v5, 0x400000, v4
	v_and_or_b32 v6, 0x3fffff, v4, v6
	v_lshrrev_b32_e32 v4, 23, v4
	s_delay_alu instid0(VALU_DEP_3) | instskip(NEXT) | instid1(VALU_DEP_3)
	v_cmp_ne_u32_e32 vcc_lo, 0, v5
	v_cmp_ne_u32_e64 s0, 0, v6
	s_and_b32 s0, vcc_lo, s0
	s_delay_alu instid0(SALU_CYCLE_1) | instskip(NEXT) | instid1(VALU_DEP_1)
	v_cndmask_b32_e64 v5, 0, 1, s0
	v_add_nc_u32_e32 v5, v4, v5
.LBB87_709:
	s_or_b32 exec_lo, exec_lo, s48
	s_mov_b32 s48, -1
	s_mov_b32 s0, 0
	global_store_b8 v[2:3], v5, off
.LBB87_710:
	s_mov_b32 s49, 0
.LBB87_711:
	s_delay_alu instid0(SALU_CYCLE_1)
	s_and_b32 vcc_lo, exec_lo, s49
	s_cbranch_vccz .LBB87_714
; %bb.712:
	s_cmp_eq_u32 s47, 29
	s_mov_b32 s0, -1
	s_cbranch_scc0 .LBB87_714
; %bb.713:
	s_wait_xcnt 0x0
	v_bfe_i32 v4, v1, 0, 16
	s_mov_b32 s0, 0
	s_mov_b32 s48, -1
	s_mov_b32 s49, 0
	s_delay_alu instid0(VALU_DEP_1)
	v_ashrrev_i32_e32 v5, 31, v4
	global_store_b64 v[2:3], v[4:5], off
	s_branch .LBB87_715
.LBB87_714:
	s_mov_b32 s49, 0
.LBB87_715:
	s_delay_alu instid0(SALU_CYCLE_1)
	s_and_b32 vcc_lo, exec_lo, s49
	s_cbranch_vccz .LBB87_731
; %bb.716:
	s_cmp_lt_i32 s47, 27
	s_mov_b32 s48, -1
	s_cbranch_scc1 .LBB87_722
; %bb.717:
	s_cmp_gt_i32 s47, 27
	s_cbranch_scc0 .LBB87_719
; %bb.718:
	s_wait_xcnt 0x0
	v_bfe_i32 v4, v1, 0, 16
	s_mov_b32 s48, 0
	global_store_b32 v[2:3], v4, off
.LBB87_719:
	s_and_not1_b32 vcc_lo, exec_lo, s48
	s_cbranch_vccnz .LBB87_721
; %bb.720:
	global_store_b16 v[2:3], v1, off
.LBB87_721:
	s_mov_b32 s48, 0
.LBB87_722:
	s_delay_alu instid0(SALU_CYCLE_1)
	s_and_not1_b32 vcc_lo, exec_lo, s48
	s_cbranch_vccnz .LBB87_730
; %bb.723:
	s_wait_xcnt 0x0
	v_bfe_i32 v4, v1, 0, 16
	v_mov_b32_e32 v6, 0x80
	s_mov_b32 s48, exec_lo
	s_delay_alu instid0(VALU_DEP_2) | instskip(NEXT) | instid1(VALU_DEP_1)
	v_cvt_f32_i32_e32 v4, v4
	v_and_b32_e32 v5, 0x7fffffff, v4
	s_delay_alu instid0(VALU_DEP_1)
	v_cmpx_gt_u32_e32 0x43800000, v5
	s_cbranch_execz .LBB87_729
; %bb.724:
	v_cmp_lt_u32_e32 vcc_lo, 0x3bffffff, v5
	s_mov_b32 s49, 0
                                        ; implicit-def: $vgpr5
	s_and_saveexec_b32 s50, vcc_lo
	s_delay_alu instid0(SALU_CYCLE_1)
	s_xor_b32 s50, exec_lo, s50
	s_cbranch_execz .LBB87_864
; %bb.725:
	v_bfe_u32 v5, v4, 20, 1
	s_mov_b32 s49, exec_lo
	s_delay_alu instid0(VALU_DEP_1) | instskip(NEXT) | instid1(VALU_DEP_1)
	v_add3_u32 v5, v4, v5, 0x487ffff
	v_lshrrev_b32_e32 v5, 20, v5
	s_and_not1_saveexec_b32 s50, s50
	s_cbranch_execnz .LBB87_865
.LBB87_726:
	s_or_b32 exec_lo, exec_lo, s50
	v_mov_b32_e32 v6, 0
	s_and_saveexec_b32 s50, s49
.LBB87_727:
	v_lshrrev_b32_e32 v4, 24, v4
	s_delay_alu instid0(VALU_DEP_1)
	v_and_or_b32 v6, 0x80, v4, v5
.LBB87_728:
	s_or_b32 exec_lo, exec_lo, s50
.LBB87_729:
	s_delay_alu instid0(SALU_CYCLE_1)
	s_or_b32 exec_lo, exec_lo, s48
	global_store_b8 v[2:3], v6, off
.LBB87_730:
	s_mov_b32 s48, -1
.LBB87_731:
	s_mov_b32 s49, 0
.LBB87_732:
	s_delay_alu instid0(SALU_CYCLE_1)
	s_and_b32 vcc_lo, exec_lo, s49
	s_cbranch_vccz .LBB87_773
; %bb.733:
	s_cmp_gt_i32 s47, 22
	s_mov_b32 s49, -1
	s_cbranch_scc0 .LBB87_765
; %bb.734:
	s_cmp_lt_i32 s47, 24
	s_mov_b32 s48, -1
	s_cbranch_scc1 .LBB87_754
; %bb.735:
	s_cmp_gt_i32 s47, 24
	s_cbranch_scc0 .LBB87_743
; %bb.736:
	s_wait_xcnt 0x0
	v_bfe_i32 v4, v1, 0, 16
	v_mov_b32_e32 v6, 0x80
	s_mov_b32 s48, exec_lo
	s_delay_alu instid0(VALU_DEP_2) | instskip(NEXT) | instid1(VALU_DEP_1)
	v_cvt_f32_i32_e32 v4, v4
	v_and_b32_e32 v5, 0x7fffffff, v4
	s_delay_alu instid0(VALU_DEP_1)
	v_cmpx_gt_u32_e32 0x47800000, v5
	s_cbranch_execz .LBB87_742
; %bb.737:
	v_cmp_lt_u32_e32 vcc_lo, 0x37ffffff, v5
	s_mov_b32 s49, 0
                                        ; implicit-def: $vgpr5
	s_and_saveexec_b32 s50, vcc_lo
	s_delay_alu instid0(SALU_CYCLE_1)
	s_xor_b32 s50, exec_lo, s50
	s_cbranch_execz .LBB87_991
; %bb.738:
	v_bfe_u32 v5, v4, 21, 1
	s_mov_b32 s49, exec_lo
	s_delay_alu instid0(VALU_DEP_1) | instskip(NEXT) | instid1(VALU_DEP_1)
	v_add3_u32 v5, v4, v5, 0x88fffff
	v_lshrrev_b32_e32 v5, 21, v5
	s_and_not1_saveexec_b32 s50, s50
	s_cbranch_execnz .LBB87_992
.LBB87_739:
	s_or_b32 exec_lo, exec_lo, s50
	v_mov_b32_e32 v6, 0
	s_and_saveexec_b32 s50, s49
.LBB87_740:
	v_lshrrev_b32_e32 v4, 24, v4
	s_delay_alu instid0(VALU_DEP_1)
	v_and_or_b32 v6, 0x80, v4, v5
.LBB87_741:
	s_or_b32 exec_lo, exec_lo, s50
.LBB87_742:
	s_delay_alu instid0(SALU_CYCLE_1)
	s_or_b32 exec_lo, exec_lo, s48
	s_mov_b32 s48, 0
	global_store_b8 v[2:3], v6, off
.LBB87_743:
	s_and_b32 vcc_lo, exec_lo, s48
	s_cbranch_vccz .LBB87_753
; %bb.744:
	s_wait_xcnt 0x0
	v_bfe_i32 v4, v1, 0, 16
	s_mov_b32 s48, exec_lo
                                        ; implicit-def: $vgpr5
	s_delay_alu instid0(VALU_DEP_1) | instskip(NEXT) | instid1(VALU_DEP_1)
	v_cvt_f32_i32_e32 v4, v4
	v_and_b32_e32 v6, 0x7fffffff, v4
	s_delay_alu instid0(VALU_DEP_1)
	v_cmpx_gt_u32_e32 0x43f00000, v6
	s_xor_b32 s48, exec_lo, s48
	s_cbranch_execz .LBB87_750
; %bb.745:
	s_mov_b32 s49, exec_lo
                                        ; implicit-def: $vgpr5
	v_cmpx_lt_u32_e32 0x3c7fffff, v6
	s_xor_b32 s49, exec_lo, s49
; %bb.746:
	v_bfe_u32 v5, v4, 20, 1
	s_delay_alu instid0(VALU_DEP_1) | instskip(NEXT) | instid1(VALU_DEP_1)
	v_add3_u32 v5, v4, v5, 0x407ffff
	v_and_b32_e32 v6, 0xff00000, v5
	v_lshrrev_b32_e32 v5, 20, v5
	s_delay_alu instid0(VALU_DEP_2) | instskip(NEXT) | instid1(VALU_DEP_2)
	v_cmp_ne_u32_e32 vcc_lo, 0x7f00000, v6
	v_cndmask_b32_e32 v5, 0x7e, v5, vcc_lo
; %bb.747:
	s_and_not1_saveexec_b32 s49, s49
; %bb.748:
	v_add_f32_e64 v5, 0x46800000, |v4|
; %bb.749:
	s_or_b32 exec_lo, exec_lo, s49
                                        ; implicit-def: $vgpr6
.LBB87_750:
	s_and_not1_saveexec_b32 s48, s48
; %bb.751:
	v_mov_b32_e32 v5, 0x7f
	v_cmp_lt_u32_e32 vcc_lo, 0x7f800000, v6
	s_delay_alu instid0(VALU_DEP_2)
	v_cndmask_b32_e32 v5, 0x7e, v5, vcc_lo
; %bb.752:
	s_or_b32 exec_lo, exec_lo, s48
	v_lshrrev_b32_e32 v4, 24, v4
	s_delay_alu instid0(VALU_DEP_1)
	v_and_or_b32 v4, 0x80, v4, v5
	global_store_b8 v[2:3], v4, off
.LBB87_753:
	s_mov_b32 s48, 0
.LBB87_754:
	s_delay_alu instid0(SALU_CYCLE_1)
	s_and_not1_b32 vcc_lo, exec_lo, s48
	s_cbranch_vccnz .LBB87_764
; %bb.755:
	s_wait_xcnt 0x0
	v_bfe_i32 v4, v1, 0, 16
	s_mov_b32 s48, exec_lo
                                        ; implicit-def: $vgpr5
	s_delay_alu instid0(VALU_DEP_1) | instskip(NEXT) | instid1(VALU_DEP_1)
	v_cvt_f32_i32_e32 v4, v4
	v_and_b32_e32 v6, 0x7fffffff, v4
	s_delay_alu instid0(VALU_DEP_1)
	v_cmpx_gt_u32_e32 0x47800000, v6
	s_xor_b32 s48, exec_lo, s48
	s_cbranch_execz .LBB87_761
; %bb.756:
	s_mov_b32 s49, exec_lo
                                        ; implicit-def: $vgpr5
	v_cmpx_lt_u32_e32 0x387fffff, v6
	s_xor_b32 s49, exec_lo, s49
; %bb.757:
	v_bfe_u32 v5, v4, 21, 1
	s_delay_alu instid0(VALU_DEP_1) | instskip(NEXT) | instid1(VALU_DEP_1)
	v_add3_u32 v5, v4, v5, 0x80fffff
	v_lshrrev_b32_e32 v5, 21, v5
; %bb.758:
	s_and_not1_saveexec_b32 s49, s49
; %bb.759:
	v_add_f32_e64 v5, 0x43000000, |v4|
; %bb.760:
	s_or_b32 exec_lo, exec_lo, s49
                                        ; implicit-def: $vgpr6
.LBB87_761:
	s_and_not1_saveexec_b32 s48, s48
; %bb.762:
	v_mov_b32_e32 v5, 0x7f
	v_cmp_lt_u32_e32 vcc_lo, 0x7f800000, v6
	s_delay_alu instid0(VALU_DEP_2)
	v_cndmask_b32_e32 v5, 0x7c, v5, vcc_lo
; %bb.763:
	s_or_b32 exec_lo, exec_lo, s48
	v_lshrrev_b32_e32 v4, 24, v4
	s_delay_alu instid0(VALU_DEP_1)
	v_and_or_b32 v4, 0x80, v4, v5
	global_store_b8 v[2:3], v4, off
.LBB87_764:
	s_mov_b32 s49, 0
	s_mov_b32 s48, -1
.LBB87_765:
	s_and_not1_b32 vcc_lo, exec_lo, s49
	s_cbranch_vccnz .LBB87_773
; %bb.766:
	s_cmp_gt_i32 s47, 14
	s_mov_b32 s49, -1
	s_cbranch_scc0 .LBB87_770
; %bb.767:
	s_cmp_eq_u32 s47, 15
	s_mov_b32 s0, -1
	s_cbranch_scc0 .LBB87_769
; %bb.768:
	s_wait_xcnt 0x0
	v_bfe_i32 v4, v1, 0, 16
	s_mov_b32 s48, -1
	s_mov_b32 s0, 0
	s_delay_alu instid0(VALU_DEP_1) | instskip(NEXT) | instid1(VALU_DEP_1)
	v_cvt_f32_i32_e32 v4, v4
	v_bfe_u32 v5, v4, 16, 1
	s_delay_alu instid0(VALU_DEP_1)
	v_add3_u32 v4, v4, v5, 0x7fff
	global_store_d16_hi_b16 v[2:3], v4, off
.LBB87_769:
	s_mov_b32 s49, 0
.LBB87_770:
	s_delay_alu instid0(SALU_CYCLE_1)
	s_and_b32 vcc_lo, exec_lo, s49
	s_cbranch_vccz .LBB87_773
; %bb.771:
	s_cmp_eq_u32 s47, 11
	s_mov_b32 s0, -1
	s_cbranch_scc0 .LBB87_773
; %bb.772:
	v_cmp_ne_u16_e32 vcc_lo, 0, v1
	s_mov_b32 s0, 0
	s_mov_b32 s48, -1
	s_wait_xcnt 0x0
	v_cndmask_b32_e64 v4, 0, 1, vcc_lo
	global_store_b8 v[2:3], v4, off
.LBB87_773:
	s_mov_b32 s47, 0
.LBB87_774:
	s_delay_alu instid0(SALU_CYCLE_1)
	s_and_b32 vcc_lo, exec_lo, s47
	s_cbranch_vccz .LBB87_813
; %bb.775:
	s_and_b32 s27, 0xffff, s27
	s_mov_b32 s47, -1
	s_cmp_lt_i32 s27, 5
	s_cbranch_scc1 .LBB87_796
; %bb.776:
	s_cmp_lt_i32 s27, 8
	s_cbranch_scc1 .LBB87_786
; %bb.777:
	;; [unrolled: 3-line block ×3, first 2 shown]
	s_cmp_gt_i32 s27, 9
	s_cbranch_scc0 .LBB87_780
; %bb.779:
	s_wait_xcnt 0x0
	v_bfe_i32 v4, v1, 0, 16
	v_mov_b32_e32 v6, 0
	s_mov_b32 s47, 0
	s_delay_alu instid0(VALU_DEP_2) | instskip(NEXT) | instid1(VALU_DEP_2)
	v_cvt_f64_i32_e32 v[4:5], v4
	v_mov_b32_e32 v7, v6
	global_store_b128 v[2:3], v[4:7], off
.LBB87_780:
	s_and_not1_b32 vcc_lo, exec_lo, s47
	s_cbranch_vccnz .LBB87_782
; %bb.781:
	s_wait_xcnt 0x0
	v_bfe_i32 v4, v1, 0, 16
	v_mov_b32_e32 v5, 0
	s_delay_alu instid0(VALU_DEP_2)
	v_cvt_f32_i32_e32 v4, v4
	global_store_b64 v[2:3], v[4:5], off
.LBB87_782:
	s_mov_b32 s47, 0
.LBB87_783:
	s_delay_alu instid0(SALU_CYCLE_1)
	s_and_not1_b32 vcc_lo, exec_lo, s47
	s_cbranch_vccnz .LBB87_785
; %bb.784:
	s_wait_xcnt 0x0
	v_cvt_f16_i16_e32 v4, v1
	s_delay_alu instid0(VALU_DEP_1)
	v_and_b32_e32 v4, 0xffff, v4
	global_store_b32 v[2:3], v4, off
.LBB87_785:
	s_mov_b32 s47, 0
.LBB87_786:
	s_delay_alu instid0(SALU_CYCLE_1)
	s_and_not1_b32 vcc_lo, exec_lo, s47
	s_cbranch_vccnz .LBB87_795
; %bb.787:
	s_cmp_lt_i32 s27, 6
	s_mov_b32 s47, -1
	s_cbranch_scc1 .LBB87_793
; %bb.788:
	s_cmp_gt_i32 s27, 6
	s_cbranch_scc0 .LBB87_790
; %bb.789:
	s_wait_xcnt 0x0
	v_bfe_i32 v4, v1, 0, 16
	s_mov_b32 s47, 0
	s_delay_alu instid0(VALU_DEP_1)
	v_cvt_f64_i32_e32 v[4:5], v4
	global_store_b64 v[2:3], v[4:5], off
.LBB87_790:
	s_and_not1_b32 vcc_lo, exec_lo, s47
	s_cbranch_vccnz .LBB87_792
; %bb.791:
	s_wait_xcnt 0x0
	v_bfe_i32 v4, v1, 0, 16
	s_delay_alu instid0(VALU_DEP_1)
	v_cvt_f32_i32_e32 v4, v4
	global_store_b32 v[2:3], v4, off
.LBB87_792:
	s_mov_b32 s47, 0
.LBB87_793:
	s_delay_alu instid0(SALU_CYCLE_1)
	s_and_not1_b32 vcc_lo, exec_lo, s47
	s_cbranch_vccnz .LBB87_795
; %bb.794:
	s_wait_xcnt 0x0
	v_cvt_f16_i16_e32 v4, v1
	global_store_b16 v[2:3], v4, off
.LBB87_795:
	s_mov_b32 s47, 0
.LBB87_796:
	s_delay_alu instid0(SALU_CYCLE_1)
	s_and_not1_b32 vcc_lo, exec_lo, s47
	s_cbranch_vccnz .LBB87_812
; %bb.797:
	s_cmp_lt_i32 s27, 2
	s_mov_b32 s47, -1
	s_cbranch_scc1 .LBB87_807
; %bb.798:
	s_cmp_lt_i32 s27, 3
	s_cbranch_scc1 .LBB87_804
; %bb.799:
	s_cmp_gt_i32 s27, 3
	s_cbranch_scc0 .LBB87_801
; %bb.800:
	s_wait_xcnt 0x0
	v_bfe_i32 v4, v1, 0, 16
	s_mov_b32 s47, 0
	s_delay_alu instid0(VALU_DEP_1)
	v_ashrrev_i32_e32 v5, 31, v4
	global_store_b64 v[2:3], v[4:5], off
.LBB87_801:
	s_and_not1_b32 vcc_lo, exec_lo, s47
	s_cbranch_vccnz .LBB87_803
; %bb.802:
	s_wait_xcnt 0x0
	v_bfe_i32 v4, v1, 0, 16
	global_store_b32 v[2:3], v4, off
.LBB87_803:
	s_mov_b32 s47, 0
.LBB87_804:
	s_delay_alu instid0(SALU_CYCLE_1)
	s_and_not1_b32 vcc_lo, exec_lo, s47
	s_cbranch_vccnz .LBB87_806
; %bb.805:
	global_store_b16 v[2:3], v1, off
.LBB87_806:
	s_mov_b32 s47, 0
.LBB87_807:
	s_delay_alu instid0(SALU_CYCLE_1)
	s_and_not1_b32 vcc_lo, exec_lo, s47
	s_cbranch_vccnz .LBB87_812
; %bb.808:
	s_cmp_gt_i32 s27, 0
	s_mov_b32 s27, -1
	s_cbranch_scc0 .LBB87_810
; %bb.809:
	s_mov_b32 s27, 0
	global_store_b8 v[2:3], v1, off
.LBB87_810:
	s_and_not1_b32 vcc_lo, exec_lo, s27
	s_cbranch_vccnz .LBB87_812
; %bb.811:
	global_store_b8 v[2:3], v1, off
.LBB87_812:
	s_mov_b32 s48, -1
.LBB87_813:
	s_delay_alu instid0(SALU_CYCLE_1)
	s_and_not1_b32 vcc_lo, exec_lo, s48
	s_cbranch_vccnz .LBB87_836
; %bb.814:
	v_add_nc_u32_e32 v0, 0x80, v0
	s_mov_b32 s27, -1
.LBB87_815:
	s_and_not1_b32 s47, s42, exec_lo
	s_and_b32 s0, s0, exec_lo
	s_and_not1_b32 s49, s43, exec_lo
	s_and_b32 s26, s26, exec_lo
	s_or_b32 s48, s47, s0
	s_or_b32 s49, s49, s26
	s_and_not1_b32 s0, s44, exec_lo
	s_and_b32 s24, s24, exec_lo
	s_and_not1_b32 s26, s45, exec_lo
	s_and_b32 s25, s25, exec_lo
	s_or_b32 s50, s0, s24
	s_or_b32 s47, s26, s25
	s_or_not1_b32 s24, s27, exec_lo
.LBB87_816:
	s_wait_xcnt 0x0
	s_or_b32 exec_lo, exec_lo, s51
	s_mov_b32 s0, 0
                                        ; implicit-def: $vgpr4
                                        ; implicit-def: $vgpr8
                                        ; implicit-def: $vgpr2
	s_and_saveexec_b32 s51, s24
	s_cbranch_execz .LBB87_1266
; %bb.817:
	s_mov_b32 s25, -1
	s_mov_b32 s0, s47
	s_mov_b32 s54, s50
	;; [unrolled: 1-line block ×4, first 2 shown]
	s_mov_b32 s52, exec_lo
	v_cmpx_gt_i32_e64 s40, v0
	s_cbranch_execz .LBB87_1230
; %bb.818:
	s_and_not1_b32 vcc_lo, exec_lo, s30
	s_cbranch_vccnz .LBB87_824
; %bb.819:
	s_and_not1_b32 vcc_lo, exec_lo, s41
	s_cbranch_vccnz .LBB87_825
; %bb.820:
	v_dual_mov_b32 v2, 0 :: v_dual_mov_b32 v1, v0
	s_wait_loadcnt 0x0
	v_dual_mov_b32 v4, 0 :: v_dual_mov_b32 v6, 0
	s_add_co_i32 s0, s39, 1
	s_mov_b64 s[24:25], 0xffffffffffffffe0
	s_and_b32 s0, s0, 30
	s_add_nc_u64 s[24:25], s[2:3], s[24:25]
	s_mov_b64 s[26:27], s[2:3]
.LBB87_821:                             ; =>This Inner Loop Header: Depth=1
	s_clause 0x1
	s_load_b128 s[56:59], s[26:27], 0x4
	s_load_b64 s[54:55], s[26:27], 0x14
	s_load_b32 s53, s[24:25], 0xe4
	s_add_co_i32 s0, s0, -2
	s_wait_xcnt 0x0
	s_add_nc_u64 s[26:27], s[26:27], 24
	s_cmp_eq_u32 s0, 0
	s_wait_kmcnt 0x0
	v_mul_hi_u32 v3, s57, v1
	s_delay_alu instid0(VALU_DEP_1) | instskip(NEXT) | instid1(VALU_DEP_1)
	v_add_nc_u32_e32 v3, v1, v3
	v_lshrrev_b32_e32 v3, s58, v3
	s_delay_alu instid0(VALU_DEP_1) | instskip(SKIP_2) | instid1(VALU_DEP_1)
	v_mul_hi_u32 v5, s54, v3
	v_mul_lo_u32 v7, v3, s56
	s_load_b96 s[56:58], s[24:25], 0xec
	v_dual_add_nc_u32 v5, v3, v5 :: v_dual_sub_nc_u32 v7, v1, v7
	s_delay_alu instid0(VALU_DEP_1) | instskip(SKIP_1) | instid1(VALU_DEP_2)
	v_lshrrev_b32_e32 v1, s55, v5
	s_load_b64 s[54:55], s[24:25], 0xfc
	v_mad_u32 v2, v7, s53, v2
	s_wait_xcnt 0x0
	s_add_nc_u64 s[24:25], s[24:25], 32
	v_mul_lo_u32 v5, v1, s59
	s_wait_kmcnt 0x0
	v_mad_u32 v6, v7, s57, v6
	v_mad_u32 v4, v7, s56, v4
	s_delay_alu instid0(VALU_DEP_3) | instskip(NEXT) | instid1(VALU_DEP_1)
	v_sub_nc_u32_e32 v3, v3, v5
	v_mad_u32 v2, v3, s58, v2
	s_delay_alu instid0(VALU_DEP_4) | instskip(NEXT) | instid1(VALU_DEP_4)
	v_mad_u32 v6, v3, s55, v6
	v_mad_u32 v4, v3, s54, v4
	s_cbranch_scc0 .LBB87_821
; %bb.822:
	s_bitcmp1_b32 s39, 0
	s_cselect_b32 s0, -1, 0
	s_delay_alu instid0(SALU_CYCLE_1)
	s_and_b32 vcc_lo, exec_lo, s0
	s_cbranch_vccnz .LBB87_826
; %bb.823:
	s_load_b96 s[56:58], s[26:27], 0x4
	s_load_b32 s0, s[24:25], 0xe4
	s_wait_xcnt 0x0
	s_load_b64 s[26:27], s[24:25], 0xec
	s_wait_kmcnt 0x0
	v_mul_hi_u32 v3, s57, v1
	s_delay_alu instid0(VALU_DEP_1) | instskip(NEXT) | instid1(VALU_DEP_1)
	v_add_nc_u32_e32 v3, v1, v3
	v_lshrrev_b32_e32 v3, s58, v3
	s_delay_alu instid0(VALU_DEP_1) | instskip(NEXT) | instid1(VALU_DEP_1)
	v_mul_lo_u32 v3, v3, s56
	v_sub_nc_u32_e32 v1, v1, v3
	s_delay_alu instid0(VALU_DEP_1)
	v_mad_u32 v2, v1, s0, v2
	v_mad_u32 v4, v1, s26, v4
	;; [unrolled: 1-line block ×3, first 2 shown]
	s_branch .LBB87_826
.LBB87_824:
	s_mov_b32 s0, -1
                                        ; implicit-def: $vgpr6
                                        ; implicit-def: $vgpr4
                                        ; implicit-def: $vgpr2
	s_branch .LBB87_827
.LBB87_825:
	s_wait_loadcnt 0x0
	v_dual_mov_b32 v6, 0 :: v_dual_mov_b32 v4, 0
	v_mov_b32_e32 v2, 0
.LBB87_826:
	s_mov_b32 s0, 0
.LBB87_827:
	s_delay_alu instid0(SALU_CYCLE_1)
	s_and_not1_b32 vcc_lo, exec_lo, s0
	s_cbranch_vccnz .LBB87_830
; %bb.828:
	v_mov_b32_e32 v1, 0
	s_and_not1_b32 vcc_lo, exec_lo, s38
	s_delay_alu instid0(VALU_DEP_1) | instskip(NEXT) | instid1(VALU_DEP_1)
	v_mul_u64_e32 v[2:3], s[18:19], v[0:1]
	v_add_nc_u32_e32 v2, v0, v3
	s_wait_loadcnt 0x0
	s_delay_alu instid0(VALU_DEP_1) | instskip(NEXT) | instid1(VALU_DEP_1)
	v_lshrrev_b32_e32 v8, s10, v2
	v_mul_lo_u32 v2, v8, s8
	s_delay_alu instid0(VALU_DEP_1) | instskip(NEXT) | instid1(VALU_DEP_1)
	v_sub_nc_u32_e32 v3, v0, v2
	v_mul_lo_u32 v2, v3, s37
	v_mul_lo_u32 v6, v3, s13
	;; [unrolled: 1-line block ×3, first 2 shown]
	s_cbranch_vccnz .LBB87_830
; %bb.829:
	v_mov_b32_e32 v9, v1
	s_delay_alu instid0(VALU_DEP_1) | instskip(NEXT) | instid1(VALU_DEP_1)
	v_mul_u64_e32 v[10:11], s[22:23], v[8:9]
	v_add_nc_u32_e32 v1, v8, v11
	s_delay_alu instid0(VALU_DEP_1) | instskip(NEXT) | instid1(VALU_DEP_1)
	v_lshrrev_b32_e32 v1, s1, v1
	v_mul_lo_u32 v1, v1, s11
	s_delay_alu instid0(VALU_DEP_1) | instskip(NEXT) | instid1(VALU_DEP_1)
	v_sub_nc_u32_e32 v1, v8, v1
	v_mad_u32 v2, v1, s14, v2
	v_mad_u32 v4, v1, s20, v4
	;; [unrolled: 1-line block ×3, first 2 shown]
.LBB87_830:
	s_and_b32 s24, s36, 0xff
	s_delay_alu instid0(SALU_CYCLE_1)
	s_cmp_lt_i32 s24, 23
	s_cbranch_scc1 .LBB87_834
; %bb.831:
	s_and_b32 s26, 0xffff, s24
	s_delay_alu instid0(SALU_CYCLE_1)
	s_cmp_gt_i32 s26, 43
	s_cbranch_scc0 .LBB87_835
; %bb.832:
	s_cmp_gt_i32 s26, 45
	s_cbranch_scc0 .LBB87_837
; %bb.833:
	s_cmp_eq_u32 s26, 46
	s_mov_b32 s27, 0
	s_cselect_b32 s0, -1, 0
	s_or_b32 s25, s47, exec_lo
	s_branch .LBB87_838
.LBB87_834:
	s_mov_b32 s26, -1
	s_mov_b32 s0, 0
	s_mov_b32 s25, s47
	s_branch .LBB87_844
.LBB87_835:
	s_mov_b32 s27, -1
	s_mov_b32 s0, 0
	s_mov_b32 s25, s47
	s_branch .LBB87_841
.LBB87_836:
	s_mov_b32 s27, 0
	s_branch .LBB87_444
.LBB87_837:
	s_mov_b32 s27, -1
	s_mov_b32 s0, 0
	s_mov_b32 s25, s47
.LBB87_838:
	s_and_not1_b32 vcc_lo, exec_lo, s27
	s_cbranch_vccnz .LBB87_840
; %bb.839:
	s_cmp_eq_u32 s26, 44
	s_cselect_b32 s0, -1, 0
	s_cmp_lg_u32 s26, 44
	s_cselect_b32 s27, -1, 0
	s_and_not1_b32 s25, s25, exec_lo
	s_and_b32 s27, s27, exec_lo
	s_delay_alu instid0(SALU_CYCLE_1)
	s_or_b32 s25, s25, s27
.LBB87_840:
	s_mov_b32 s27, 0
.LBB87_841:
	s_delay_alu instid0(SALU_CYCLE_1)
	s_and_b32 vcc_lo, exec_lo, s27
	s_cbranch_vccz .LBB87_843
; %bb.842:
	s_cmp_lt_i32 s26, 30
	s_cselect_b32 s0, -1, 0
	s_cmp_gt_i32 s26, 29
	s_cselect_b32 s26, -1, 0
	s_and_not1_b32 s25, s25, exec_lo
	s_and_b32 s26, s26, exec_lo
	s_delay_alu instid0(SALU_CYCLE_1)
	s_or_b32 s25, s25, s26
.LBB87_843:
	s_mov_b32 s26, 0
.LBB87_844:
	s_delay_alu instid0(SALU_CYCLE_1)
	s_and_b32 vcc_lo, exec_lo, s26
	s_cbranch_vccz .LBB87_849
; %bb.845:
	s_and_b32 s24, 0xffff, s24
	s_mov_b32 s26, -1
	s_cmp_gt_i32 s24, 14
	s_cbranch_scc0 .LBB87_847
; %bb.846:
	s_cmp_eq_u32 s24, 15
	s_cselect_b32 s0, -1, 0
	s_cmp_lg_u32 s24, 15
	s_cselect_b32 s26, -1, 0
	s_and_not1_b32 s25, s25, exec_lo
	s_and_b32 s27, s26, exec_lo
	s_mov_b32 s26, 0
	s_or_b32 s25, s25, s27
.LBB87_847:
	s_and_not1_b32 vcc_lo, exec_lo, s26
	s_cbranch_vccnz .LBB87_849
; %bb.848:
	s_cmp_lt_i32 s24, 12
	s_cselect_b32 s0, -1, 0
	s_cmp_gt_i32 s24, 11
	s_cselect_b32 s24, -1, 0
	s_and_not1_b32 s25, s25, exec_lo
	s_and_b32 s24, s24, exec_lo
	s_delay_alu instid0(SALU_CYCLE_1)
	s_or_b32 s25, s25, s24
.LBB87_849:
	s_and_b32 vcc_lo, exec_lo, s0
	s_cbranch_vccz .LBB87_857
; %bb.850:
	s_wait_loadcnt 0x0
	v_mov_b32_e32 v5, 0
	s_and_b32 s0, s35, 0xff
	s_delay_alu instid0(SALU_CYCLE_1) | instskip(NEXT) | instid1(VALU_DEP_1)
	s_cmp_lt_i32 s0, 11
	v_add_nc_u64_e32 v[8:9], s[4:5], v[4:5]
	s_cbranch_scc1 .LBB87_859
; %bb.851:
	s_and_b32 s25, 0xffff, s0
	s_delay_alu instid0(SALU_CYCLE_1)
	s_cmp_gt_i32 s25, 25
	s_cbranch_scc0 .LBB87_860
; %bb.852:
	s_cmp_gt_i32 s25, 28
	s_cbranch_scc0 .LBB87_861
; %bb.853:
	;; [unrolled: 3-line block ×4, first 2 shown]
	s_cmp_eq_u32 s25, 46
	s_mov_b32 s27, 0
	s_cbranch_scc0 .LBB87_866
; %bb.856:
	global_load_b32 v1, v[8:9], off
	s_mov_b32 s26, -1
	s_mov_b32 s24, 0
	s_wait_loadcnt 0x0
	v_lshlrev_b32_e32 v1, 16, v1
	s_delay_alu instid0(VALU_DEP_1)
	v_cvt_i32_f32_e32 v4, v1
	s_branch .LBB87_868
.LBB87_857:
	s_mov_b32 s27, 0
	s_mov_b32 s0, s48
	;; [unrolled: 1-line block ×4, first 2 shown]
.LBB87_858:
                                        ; implicit-def: $vgpr0
	s_branch .LBB87_1229
.LBB87_859:
	s_mov_b32 s25, -1
	s_mov_b32 s26, 0
	s_mov_b32 s24, s50
                                        ; implicit-def: $vgpr4
	s_branch .LBB87_929
.LBB87_860:
	s_mov_b32 s27, -1
	s_mov_b32 s26, 0
	s_mov_b32 s24, s50
                                        ; implicit-def: $vgpr4
	s_branch .LBB87_895
.LBB87_861:
	s_mov_b32 s27, -1
	s_mov_b32 s26, 0
	s_mov_b32 s24, s50
                                        ; implicit-def: $vgpr4
	s_branch .LBB87_878
.LBB87_862:
	s_mov_b32 s27, -1
	s_mov_b32 s26, 0
	s_mov_b32 s24, s50
                                        ; implicit-def: $vgpr4
	s_branch .LBB87_873
.LBB87_863:
	s_mov_b32 s27, -1
	s_mov_b32 s26, 0
	s_mov_b32 s24, s50
	s_branch .LBB87_867
.LBB87_864:
	s_and_not1_saveexec_b32 s50, s50
	s_cbranch_execz .LBB87_726
.LBB87_865:
	v_add_f32_e64 v5, 0x46000000, |v4|
	s_and_not1_b32 s49, s49, exec_lo
	s_delay_alu instid0(VALU_DEP_1) | instskip(NEXT) | instid1(VALU_DEP_1)
	v_and_b32_e32 v5, 0xff, v5
	v_cmp_ne_u32_e32 vcc_lo, 0, v5
	s_and_b32 s52, vcc_lo, exec_lo
	s_delay_alu instid0(SALU_CYCLE_1)
	s_or_b32 s49, s49, s52
	s_or_b32 exec_lo, exec_lo, s50
	v_mov_b32_e32 v6, 0
	s_and_saveexec_b32 s50, s49
	s_cbranch_execnz .LBB87_727
	s_branch .LBB87_728
.LBB87_866:
	s_mov_b32 s24, -1
	s_mov_b32 s26, 0
.LBB87_867:
                                        ; implicit-def: $vgpr4
.LBB87_868:
	s_and_b32 vcc_lo, exec_lo, s27
	s_cbranch_vccz .LBB87_872
; %bb.869:
	s_cmp_eq_u32 s25, 44
	s_cbranch_scc0 .LBB87_871
; %bb.870:
	global_load_u8 v1, v[8:9], off
	s_mov_b32 s24, 0
	s_mov_b32 s26, -1
	s_wait_loadcnt 0x0
	v_lshlrev_b32_e32 v3, 23, v1
	v_cmp_ne_u32_e32 vcc_lo, 0, v1
	s_delay_alu instid0(VALU_DEP_2) | instskip(NEXT) | instid1(VALU_DEP_1)
	v_cvt_i32_f32_e32 v3, v3
	v_cndmask_b32_e32 v4, 0, v3, vcc_lo
	s_branch .LBB87_872
.LBB87_871:
	s_mov_b32 s24, -1
                                        ; implicit-def: $vgpr4
.LBB87_872:
	s_mov_b32 s27, 0
.LBB87_873:
	s_delay_alu instid0(SALU_CYCLE_1)
	s_and_b32 vcc_lo, exec_lo, s27
	s_cbranch_vccz .LBB87_877
; %bb.874:
	s_cmp_eq_u32 s25, 29
	s_cbranch_scc0 .LBB87_876
; %bb.875:
	global_load_b64 v[4:5], v[8:9], off
	s_mov_b32 s26, -1
	s_mov_b32 s24, 0
	s_branch .LBB87_877
.LBB87_876:
	s_mov_b32 s24, -1
                                        ; implicit-def: $vgpr4
.LBB87_877:
	s_mov_b32 s27, 0
.LBB87_878:
	s_delay_alu instid0(SALU_CYCLE_1)
	s_and_b32 vcc_lo, exec_lo, s27
	s_cbranch_vccz .LBB87_894
; %bb.879:
	s_cmp_lt_i32 s25, 27
	s_cbranch_scc1 .LBB87_882
; %bb.880:
	s_cmp_gt_i32 s25, 27
	s_cbranch_scc0 .LBB87_883
; %bb.881:
	s_wait_loadcnt 0x0
	global_load_b32 v4, v[8:9], off
	s_mov_b32 s26, 0
	s_branch .LBB87_884
.LBB87_882:
	s_mov_b32 s26, -1
                                        ; implicit-def: $vgpr4
	s_branch .LBB87_887
.LBB87_883:
	s_mov_b32 s26, -1
                                        ; implicit-def: $vgpr4
.LBB87_884:
	s_delay_alu instid0(SALU_CYCLE_1)
	s_and_not1_b32 vcc_lo, exec_lo, s26
	s_cbranch_vccnz .LBB87_886
; %bb.885:
	s_wait_loadcnt 0x0
	global_load_u16 v4, v[8:9], off
.LBB87_886:
	s_mov_b32 s26, 0
.LBB87_887:
	s_delay_alu instid0(SALU_CYCLE_1)
	s_and_not1_b32 vcc_lo, exec_lo, s26
	s_cbranch_vccnz .LBB87_893
; %bb.888:
	global_load_u8 v1, v[8:9], off
	s_mov_b32 s27, 0
	s_mov_b32 s26, exec_lo
	s_wait_loadcnt 0x0
	v_cmpx_lt_i16_e32 0x7f, v1
	s_xor_b32 s26, exec_lo, s26
	s_cbranch_execz .LBB87_905
; %bb.889:
	v_cmp_ne_u16_e32 vcc_lo, 0x80, v1
	s_and_b32 s27, vcc_lo, exec_lo
	s_and_not1_saveexec_b32 s26, s26
	s_cbranch_execnz .LBB87_906
.LBB87_890:
	s_or_b32 exec_lo, exec_lo, s26
	v_mov_b32_e32 v4, 0
	s_and_saveexec_b32 s26, s27
	s_cbranch_execz .LBB87_892
.LBB87_891:
	v_and_b32_e32 v3, 0xffff, v1
	s_delay_alu instid0(VALU_DEP_1) | instskip(SKIP_1) | instid1(VALU_DEP_2)
	v_and_b32_e32 v4, 7, v3
	v_bfe_u32 v10, v3, 3, 4
	v_clz_i32_u32_e32 v5, v4
	s_delay_alu instid0(VALU_DEP_2) | instskip(NEXT) | instid1(VALU_DEP_2)
	v_cmp_eq_u32_e32 vcc_lo, 0, v10
	v_min_u32_e32 v5, 32, v5
	s_delay_alu instid0(VALU_DEP_1) | instskip(NEXT) | instid1(VALU_DEP_1)
	v_subrev_nc_u32_e32 v7, 28, v5
	v_dual_lshlrev_b32 v3, v7, v3 :: v_dual_sub_nc_u32 v5, 29, v5
	s_delay_alu instid0(VALU_DEP_1) | instskip(NEXT) | instid1(VALU_DEP_1)
	v_dual_lshlrev_b32 v1, 24, v1 :: v_dual_bitop2_b32 v3, 7, v3 bitop3:0x40
	v_dual_cndmask_b32 v3, v4, v3, vcc_lo :: v_dual_cndmask_b32 v5, v10, v5, vcc_lo
	s_delay_alu instid0(VALU_DEP_2) | instskip(NEXT) | instid1(VALU_DEP_2)
	v_and_b32_e32 v1, 0x80000000, v1
	v_lshlrev_b32_e32 v3, 20, v3
	s_delay_alu instid0(VALU_DEP_3) | instskip(NEXT) | instid1(VALU_DEP_1)
	v_lshl_add_u32 v4, v5, 23, 0x3b800000
	v_or3_b32 v1, v1, v4, v3
	s_delay_alu instid0(VALU_DEP_1)
	v_cvt_i32_f32_e32 v4, v1
.LBB87_892:
	s_or_b32 exec_lo, exec_lo, s26
.LBB87_893:
	s_mov_b32 s26, -1
.LBB87_894:
	s_mov_b32 s27, 0
.LBB87_895:
	s_delay_alu instid0(SALU_CYCLE_1)
	s_and_b32 vcc_lo, exec_lo, s27
	s_cbranch_vccz .LBB87_928
; %bb.896:
	s_cmp_gt_i32 s25, 22
	s_cbranch_scc0 .LBB87_904
; %bb.897:
	s_cmp_lt_i32 s25, 24
	s_cbranch_scc1 .LBB87_907
; %bb.898:
	s_cmp_gt_i32 s25, 24
	s_cbranch_scc0 .LBB87_908
; %bb.899:
	global_load_u8 v1, v[8:9], off
	s_mov_b32 s27, 0
	s_mov_b32 s26, exec_lo
	s_wait_loadcnt 0x0
	v_cmpx_lt_i16_e32 0x7f, v1
	s_xor_b32 s26, exec_lo, s26
	s_cbranch_execz .LBB87_920
; %bb.900:
	v_cmp_ne_u16_e32 vcc_lo, 0x80, v1
	s_and_b32 s27, vcc_lo, exec_lo
	s_and_not1_saveexec_b32 s26, s26
	s_cbranch_execnz .LBB87_921
.LBB87_901:
	s_or_b32 exec_lo, exec_lo, s26
	v_mov_b32_e32 v4, 0
	s_and_saveexec_b32 s26, s27
	s_cbranch_execz .LBB87_903
.LBB87_902:
	v_and_b32_e32 v3, 0xffff, v1
	s_delay_alu instid0(VALU_DEP_1) | instskip(SKIP_1) | instid1(VALU_DEP_2)
	v_and_b32_e32 v4, 3, v3
	v_bfe_u32 v10, v3, 2, 5
	v_clz_i32_u32_e32 v5, v4
	s_delay_alu instid0(VALU_DEP_2) | instskip(NEXT) | instid1(VALU_DEP_2)
	v_cmp_eq_u32_e32 vcc_lo, 0, v10
	v_min_u32_e32 v5, 32, v5
	s_delay_alu instid0(VALU_DEP_1) | instskip(NEXT) | instid1(VALU_DEP_1)
	v_subrev_nc_u32_e32 v7, 29, v5
	v_dual_lshlrev_b32 v3, v7, v3 :: v_dual_sub_nc_u32 v5, 30, v5
	s_delay_alu instid0(VALU_DEP_1) | instskip(NEXT) | instid1(VALU_DEP_1)
	v_dual_lshlrev_b32 v1, 24, v1 :: v_dual_bitop2_b32 v3, 3, v3 bitop3:0x40
	v_dual_cndmask_b32 v3, v4, v3, vcc_lo :: v_dual_cndmask_b32 v5, v10, v5, vcc_lo
	s_delay_alu instid0(VALU_DEP_2) | instskip(NEXT) | instid1(VALU_DEP_2)
	v_and_b32_e32 v1, 0x80000000, v1
	v_lshlrev_b32_e32 v3, 21, v3
	s_delay_alu instid0(VALU_DEP_3) | instskip(NEXT) | instid1(VALU_DEP_1)
	v_lshl_add_u32 v4, v5, 23, 0x37800000
	v_or3_b32 v1, v1, v4, v3
	s_delay_alu instid0(VALU_DEP_1)
	v_cvt_i32_f32_e32 v4, v1
.LBB87_903:
	s_or_b32 exec_lo, exec_lo, s26
	s_mov_b32 s26, 0
	s_branch .LBB87_909
.LBB87_904:
	s_mov_b32 s27, -1
                                        ; implicit-def: $vgpr4
	s_branch .LBB87_915
.LBB87_905:
	s_and_not1_saveexec_b32 s26, s26
	s_cbranch_execz .LBB87_890
.LBB87_906:
	v_cmp_ne_u16_e32 vcc_lo, 0, v1
	s_and_not1_b32 s27, s27, exec_lo
	s_and_b32 s53, vcc_lo, exec_lo
	s_delay_alu instid0(SALU_CYCLE_1)
	s_or_b32 s27, s27, s53
	s_or_b32 exec_lo, exec_lo, s26
	v_mov_b32_e32 v4, 0
	s_and_saveexec_b32 s26, s27
	s_cbranch_execnz .LBB87_891
	s_branch .LBB87_892
.LBB87_907:
	s_mov_b32 s26, -1
                                        ; implicit-def: $vgpr4
	s_branch .LBB87_912
.LBB87_908:
	s_mov_b32 s26, -1
                                        ; implicit-def: $vgpr4
.LBB87_909:
	s_delay_alu instid0(SALU_CYCLE_1)
	s_and_b32 vcc_lo, exec_lo, s26
	s_cbranch_vccz .LBB87_911
; %bb.910:
	global_load_u8 v1, v[8:9], off
	s_wait_loadcnt 0x0
	v_lshlrev_b32_e32 v1, 24, v1
	s_delay_alu instid0(VALU_DEP_1) | instskip(NEXT) | instid1(VALU_DEP_1)
	v_and_b32_e32 v3, 0x7f000000, v1
	v_clz_i32_u32_e32 v4, v3
	v_add_nc_u32_e32 v7, 0x1000000, v3
	v_cmp_ne_u32_e32 vcc_lo, 0, v3
	s_delay_alu instid0(VALU_DEP_3) | instskip(NEXT) | instid1(VALU_DEP_1)
	v_min_u32_e32 v4, 32, v4
	v_sub_nc_u32_e64 v4, v4, 4 clamp
	s_delay_alu instid0(VALU_DEP_1) | instskip(NEXT) | instid1(VALU_DEP_1)
	v_dual_lshlrev_b32 v5, v4, v3 :: v_dual_lshlrev_b32 v4, 23, v4
	v_lshrrev_b32_e32 v5, 4, v5
	s_delay_alu instid0(VALU_DEP_1) | instskip(NEXT) | instid1(VALU_DEP_1)
	v_dual_sub_nc_u32 v4, v5, v4 :: v_dual_ashrrev_i32 v5, 8, v7
	v_add_nc_u32_e32 v4, 0x3c000000, v4
	s_delay_alu instid0(VALU_DEP_1) | instskip(NEXT) | instid1(VALU_DEP_1)
	v_and_or_b32 v4, 0x7f800000, v5, v4
	v_cndmask_b32_e32 v3, 0, v4, vcc_lo
	s_delay_alu instid0(VALU_DEP_1) | instskip(NEXT) | instid1(VALU_DEP_1)
	v_and_or_b32 v1, 0x80000000, v1, v3
	v_cvt_i32_f32_e32 v4, v1
.LBB87_911:
	s_mov_b32 s26, 0
.LBB87_912:
	s_delay_alu instid0(SALU_CYCLE_1)
	s_and_not1_b32 vcc_lo, exec_lo, s26
	s_cbranch_vccnz .LBB87_914
; %bb.913:
	global_load_u8 v1, v[8:9], off
	s_wait_loadcnt 0x0
	v_lshlrev_b32_e32 v3, 25, v1
	v_lshlrev_b16 v1, 8, v1
	s_delay_alu instid0(VALU_DEP_1) | instskip(NEXT) | instid1(VALU_DEP_3)
	v_and_or_b32 v5, 0x7f00, v1, 0.5
	v_lshrrev_b32_e32 v4, 4, v3
	v_bfe_i32 v1, v1, 0, 16
	s_delay_alu instid0(VALU_DEP_3) | instskip(NEXT) | instid1(VALU_DEP_3)
	v_add_f32_e32 v5, -0.5, v5
	v_or_b32_e32 v4, 0x70000000, v4
	s_delay_alu instid0(VALU_DEP_1) | instskip(SKIP_1) | instid1(VALU_DEP_2)
	v_mul_f32_e32 v4, 0x7800000, v4
	v_cmp_gt_u32_e32 vcc_lo, 0x8000000, v3
	v_cndmask_b32_e32 v3, v4, v5, vcc_lo
	s_delay_alu instid0(VALU_DEP_1) | instskip(NEXT) | instid1(VALU_DEP_1)
	v_and_or_b32 v1, 0x80000000, v1, v3
	v_cvt_i32_f32_e32 v4, v1
.LBB87_914:
	s_mov_b32 s27, 0
	s_mov_b32 s26, -1
.LBB87_915:
	s_and_not1_b32 vcc_lo, exec_lo, s27
	s_cbranch_vccnz .LBB87_928
; %bb.916:
	s_cmp_gt_i32 s25, 14
	s_cbranch_scc0 .LBB87_919
; %bb.917:
	s_cmp_eq_u32 s25, 15
	s_cbranch_scc0 .LBB87_922
; %bb.918:
	global_load_u16 v1, v[8:9], off
	s_mov_b32 s26, -1
	s_mov_b32 s24, 0
	s_wait_loadcnt 0x0
	v_lshlrev_b32_e32 v1, 16, v1
	s_delay_alu instid0(VALU_DEP_1)
	v_cvt_i32_f32_e32 v4, v1
	s_branch .LBB87_923
.LBB87_919:
	s_mov_b32 s27, -1
                                        ; implicit-def: $vgpr4
	s_branch .LBB87_924
.LBB87_920:
	s_and_not1_saveexec_b32 s26, s26
	s_cbranch_execz .LBB87_901
.LBB87_921:
	v_cmp_ne_u16_e32 vcc_lo, 0, v1
	s_and_not1_b32 s27, s27, exec_lo
	s_and_b32 s53, vcc_lo, exec_lo
	s_delay_alu instid0(SALU_CYCLE_1)
	s_or_b32 s27, s27, s53
	s_or_b32 exec_lo, exec_lo, s26
	v_mov_b32_e32 v4, 0
	s_and_saveexec_b32 s26, s27
	s_cbranch_execnz .LBB87_902
	s_branch .LBB87_903
.LBB87_922:
	s_mov_b32 s24, -1
                                        ; implicit-def: $vgpr4
.LBB87_923:
	s_mov_b32 s27, 0
.LBB87_924:
	s_delay_alu instid0(SALU_CYCLE_1)
	s_and_b32 vcc_lo, exec_lo, s27
	s_cbranch_vccz .LBB87_928
; %bb.925:
	s_cmp_eq_u32 s25, 11
	s_cbranch_scc0 .LBB87_927
; %bb.926:
	global_load_u8 v1, v[8:9], off
	s_mov_b32 s24, 0
	s_mov_b32 s26, -1
	s_wait_loadcnt 0x0
	v_cmp_ne_u16_e32 vcc_lo, 0, v1
	v_cndmask_b32_e64 v4, 0, 1, vcc_lo
	s_branch .LBB87_928
.LBB87_927:
	s_mov_b32 s24, -1
                                        ; implicit-def: $vgpr4
.LBB87_928:
	s_mov_b32 s25, 0
.LBB87_929:
	s_delay_alu instid0(SALU_CYCLE_1)
	s_and_b32 vcc_lo, exec_lo, s25
	s_cbranch_vccz .LBB87_978
; %bb.930:
	s_and_b32 s0, 0xffff, s0
	s_delay_alu instid0(SALU_CYCLE_1)
	s_cmp_lt_i32 s0, 5
	s_cbranch_scc1 .LBB87_935
; %bb.931:
	s_cmp_lt_i32 s0, 8
	s_cbranch_scc1 .LBB87_936
; %bb.932:
	;; [unrolled: 3-line block ×3, first 2 shown]
	s_cmp_gt_i32 s0, 9
	s_cbranch_scc0 .LBB87_938
; %bb.934:
	s_wait_loadcnt 0x0
	global_load_b64 v[4:5], v[8:9], off
	s_mov_b32 s25, 0
	s_wait_loadcnt 0x0
	v_cvt_i32_f64_e32 v4, v[4:5]
	s_branch .LBB87_939
.LBB87_935:
	s_mov_b32 s25, -1
                                        ; implicit-def: $vgpr4
	s_branch .LBB87_957
.LBB87_936:
	s_mov_b32 s25, -1
                                        ; implicit-def: $vgpr4
	s_branch .LBB87_945
.LBB87_937:
	s_mov_b32 s25, -1
                                        ; implicit-def: $vgpr4
	s_branch .LBB87_942
.LBB87_938:
	s_mov_b32 s25, -1
                                        ; implicit-def: $vgpr4
.LBB87_939:
	s_delay_alu instid0(SALU_CYCLE_1)
	s_and_not1_b32 vcc_lo, exec_lo, s25
	s_cbranch_vccnz .LBB87_941
; %bb.940:
	global_load_b32 v1, v[8:9], off
	s_wait_loadcnt 0x0
	v_cvt_i32_f32_e32 v4, v1
.LBB87_941:
	s_mov_b32 s25, 0
.LBB87_942:
	s_delay_alu instid0(SALU_CYCLE_1)
	s_and_not1_b32 vcc_lo, exec_lo, s25
	s_cbranch_vccnz .LBB87_944
; %bb.943:
	global_load_b32 v1, v[8:9], off
	s_wait_loadcnt 0x0
	v_cvt_i16_f16_e32 v4, v1
.LBB87_944:
	s_mov_b32 s25, 0
.LBB87_945:
	s_delay_alu instid0(SALU_CYCLE_1)
	s_and_not1_b32 vcc_lo, exec_lo, s25
	s_cbranch_vccnz .LBB87_956
; %bb.946:
	s_cmp_lt_i32 s0, 6
	s_cbranch_scc1 .LBB87_949
; %bb.947:
	s_cmp_gt_i32 s0, 6
	s_cbranch_scc0 .LBB87_950
; %bb.948:
	s_wait_loadcnt 0x0
	global_load_b64 v[4:5], v[8:9], off
	s_mov_b32 s25, 0
	s_wait_loadcnt 0x0
	v_cvt_i32_f64_e32 v4, v[4:5]
	s_branch .LBB87_951
.LBB87_949:
	s_mov_b32 s25, -1
                                        ; implicit-def: $vgpr4
	s_branch .LBB87_954
.LBB87_950:
	s_mov_b32 s25, -1
                                        ; implicit-def: $vgpr4
.LBB87_951:
	s_delay_alu instid0(SALU_CYCLE_1)
	s_and_not1_b32 vcc_lo, exec_lo, s25
	s_cbranch_vccnz .LBB87_953
; %bb.952:
	global_load_b32 v1, v[8:9], off
	s_wait_loadcnt 0x0
	v_cvt_i32_f32_e32 v4, v1
.LBB87_953:
	s_mov_b32 s25, 0
.LBB87_954:
	s_delay_alu instid0(SALU_CYCLE_1)
	s_and_not1_b32 vcc_lo, exec_lo, s25
	s_cbranch_vccnz .LBB87_956
; %bb.955:
	global_load_u16 v1, v[8:9], off
	s_wait_loadcnt 0x0
	v_cvt_i16_f16_e32 v4, v1
.LBB87_956:
	s_mov_b32 s25, 0
.LBB87_957:
	s_delay_alu instid0(SALU_CYCLE_1)
	s_and_not1_b32 vcc_lo, exec_lo, s25
	s_cbranch_vccnz .LBB87_977
; %bb.958:
	s_cmp_lt_i32 s0, 2
	s_cbranch_scc1 .LBB87_962
; %bb.959:
	s_cmp_lt_i32 s0, 3
	s_cbranch_scc1 .LBB87_963
; %bb.960:
	s_cmp_gt_i32 s0, 3
	s_cbranch_scc0 .LBB87_964
; %bb.961:
	s_wait_loadcnt 0x0
	global_load_b64 v[4:5], v[8:9], off
	s_mov_b32 s25, 0
	s_branch .LBB87_965
.LBB87_962:
	s_mov_b32 s25, -1
                                        ; implicit-def: $vgpr4
	s_branch .LBB87_971
.LBB87_963:
	s_mov_b32 s25, -1
                                        ; implicit-def: $vgpr4
	s_branch .LBB87_968
.LBB87_964:
	s_mov_b32 s25, -1
                                        ; implicit-def: $vgpr4
.LBB87_965:
	s_delay_alu instid0(SALU_CYCLE_1)
	s_and_not1_b32 vcc_lo, exec_lo, s25
	s_cbranch_vccnz .LBB87_967
; %bb.966:
	s_wait_loadcnt 0x0
	global_load_b32 v4, v[8:9], off
.LBB87_967:
	s_mov_b32 s25, 0
.LBB87_968:
	s_delay_alu instid0(SALU_CYCLE_1)
	s_and_not1_b32 vcc_lo, exec_lo, s25
	s_cbranch_vccnz .LBB87_970
; %bb.969:
	s_wait_loadcnt 0x0
	global_load_u16 v4, v[8:9], off
.LBB87_970:
	s_mov_b32 s25, 0
.LBB87_971:
	s_delay_alu instid0(SALU_CYCLE_1)
	s_and_not1_b32 vcc_lo, exec_lo, s25
	s_cbranch_vccnz .LBB87_977
; %bb.972:
	s_cmp_gt_i32 s0, 0
	s_mov_b32 s0, 0
	s_cbranch_scc0 .LBB87_974
; %bb.973:
	s_wait_loadcnt 0x0
	global_load_i8 v4, v[8:9], off
	s_branch .LBB87_975
.LBB87_974:
	s_mov_b32 s0, -1
                                        ; implicit-def: $vgpr4
.LBB87_975:
	s_delay_alu instid0(SALU_CYCLE_1)
	s_and_not1_b32 vcc_lo, exec_lo, s0
	s_cbranch_vccnz .LBB87_977
; %bb.976:
	s_wait_loadcnt 0x0
	global_load_u8 v4, v[8:9], off
.LBB87_977:
	s_mov_b32 s26, -1
.LBB87_978:
	s_mov_b32 s25, 0
	s_mov_b32 s0, s48
	s_and_not1_b32 vcc_lo, exec_lo, s26
	s_mov_b32 s26, s49
	s_mov_b32 s27, 0
	s_cbranch_vccnz .LBB87_1229
; %bb.979:
	v_mov_b32_e32 v7, 0
	s_and_b32 s0, 0xffff, s9
	s_delay_alu instid0(SALU_CYCLE_1) | instskip(NEXT) | instid1(VALU_DEP_1)
	s_cmp_lt_i32 s0, 11
	v_add_nc_u64_e32 v[6:7], s[6:7], v[6:7]
	s_cbranch_scc1 .LBB87_986
; %bb.980:
	s_cmp_gt_i32 s0, 25
	s_cbranch_scc0 .LBB87_987
; %bb.981:
	s_cmp_gt_i32 s0, 28
	s_cbranch_scc0 .LBB87_988
	;; [unrolled: 3-line block ×4, first 2 shown]
; %bb.984:
	s_cmp_eq_u32 s0, 46
	s_mov_b32 s53, 0
	s_cbranch_scc0 .LBB87_993
; %bb.985:
	global_load_b32 v1, v[6:7], off
	s_mov_b32 s27, -1
	s_mov_b32 s26, 0
	s_wait_loadcnt 0x0
	v_lshlrev_b32_e32 v1, 16, v1
	s_wait_xcnt 0x1
	s_delay_alu instid0(VALU_DEP_1)
	v_cvt_i32_f32_e32 v8, v1
	s_branch .LBB87_995
.LBB87_986:
	s_mov_b32 s53, -1
	s_mov_b32 s26, s49
                                        ; implicit-def: $vgpr8
	s_branch .LBB87_1056
.LBB87_987:
	s_mov_b32 s53, -1
	s_mov_b32 s26, s49
                                        ; implicit-def: $vgpr8
	s_branch .LBB87_1022
.LBB87_988:
	s_mov_b32 s53, -1
	s_mov_b32 s26, s49
                                        ; implicit-def: $vgpr8
	s_branch .LBB87_1005
.LBB87_989:
	s_mov_b32 s53, -1
	s_mov_b32 s26, s49
                                        ; implicit-def: $vgpr8
	s_branch .LBB87_1000
.LBB87_990:
	s_mov_b32 s53, -1
	s_mov_b32 s26, s49
	s_branch .LBB87_994
.LBB87_991:
	s_and_not1_saveexec_b32 s50, s50
	s_cbranch_execz .LBB87_739
.LBB87_992:
	v_add_f32_e64 v5, 0x42800000, |v4|
	s_and_not1_b32 s49, s49, exec_lo
	s_delay_alu instid0(VALU_DEP_1) | instskip(NEXT) | instid1(VALU_DEP_1)
	v_and_b32_e32 v5, 0xff, v5
	v_cmp_ne_u32_e32 vcc_lo, 0, v5
	s_and_b32 s52, vcc_lo, exec_lo
	s_delay_alu instid0(SALU_CYCLE_1)
	s_or_b32 s49, s49, s52
	s_or_b32 exec_lo, exec_lo, s50
	v_mov_b32_e32 v6, 0
	s_and_saveexec_b32 s50, s49
	s_cbranch_execnz .LBB87_740
	s_branch .LBB87_741
.LBB87_993:
	s_mov_b32 s26, -1
.LBB87_994:
                                        ; implicit-def: $vgpr8
.LBB87_995:
	s_and_b32 vcc_lo, exec_lo, s53
	s_cbranch_vccz .LBB87_999
; %bb.996:
	s_cmp_eq_u32 s0, 44
	s_cbranch_scc0 .LBB87_998
; %bb.997:
	global_load_u8 v1, v[6:7], off
	s_mov_b32 s26, 0
	s_mov_b32 s27, -1
	s_wait_loadcnt 0x0
	v_lshlrev_b32_e32 v3, 23, v1
	v_cmp_ne_u32_e32 vcc_lo, 0, v1
	s_delay_alu instid0(VALU_DEP_2) | instskip(SKIP_1) | instid1(VALU_DEP_1)
	v_cvt_i32_f32_e32 v3, v3
	s_wait_xcnt 0x1
	v_cndmask_b32_e32 v8, 0, v3, vcc_lo
	s_branch .LBB87_999
.LBB87_998:
	s_mov_b32 s26, -1
                                        ; implicit-def: $vgpr8
.LBB87_999:
	s_mov_b32 s53, 0
.LBB87_1000:
	s_delay_alu instid0(SALU_CYCLE_1)
	s_and_b32 vcc_lo, exec_lo, s53
	s_cbranch_vccz .LBB87_1004
; %bb.1001:
	s_cmp_eq_u32 s0, 29
	s_cbranch_scc0 .LBB87_1003
; %bb.1002:
	global_load_b64 v[8:9], v[6:7], off
	s_mov_b32 s27, -1
	s_mov_b32 s26, 0
	s_branch .LBB87_1004
.LBB87_1003:
	s_mov_b32 s26, -1
                                        ; implicit-def: $vgpr8
.LBB87_1004:
	s_mov_b32 s53, 0
.LBB87_1005:
	s_delay_alu instid0(SALU_CYCLE_1)
	s_and_b32 vcc_lo, exec_lo, s53
	s_cbranch_vccz .LBB87_1021
; %bb.1006:
	s_cmp_lt_i32 s0, 27
	s_cbranch_scc1 .LBB87_1009
; %bb.1007:
	s_cmp_gt_i32 s0, 27
	s_cbranch_scc0 .LBB87_1010
; %bb.1008:
	s_wait_loadcnt 0x0
	global_load_b32 v8, v[6:7], off
	s_mov_b32 s27, 0
	s_branch .LBB87_1011
.LBB87_1009:
	s_mov_b32 s27, -1
                                        ; implicit-def: $vgpr8
	s_branch .LBB87_1014
.LBB87_1010:
	s_mov_b32 s27, -1
                                        ; implicit-def: $vgpr8
.LBB87_1011:
	s_delay_alu instid0(SALU_CYCLE_1)
	s_and_not1_b32 vcc_lo, exec_lo, s27
	s_cbranch_vccnz .LBB87_1013
; %bb.1012:
	s_wait_loadcnt 0x0
	global_load_u16 v8, v[6:7], off
.LBB87_1013:
	s_mov_b32 s27, 0
.LBB87_1014:
	s_delay_alu instid0(SALU_CYCLE_1)
	s_and_not1_b32 vcc_lo, exec_lo, s27
	s_cbranch_vccnz .LBB87_1020
; %bb.1015:
	global_load_u8 v1, v[6:7], off
	s_mov_b32 s53, 0
	s_mov_b32 s27, exec_lo
	s_wait_loadcnt 0x0
	v_cmpx_lt_i16_e32 0x7f, v1
	s_xor_b32 s27, exec_lo, s27
	s_cbranch_execz .LBB87_1032
; %bb.1016:
	v_cmp_ne_u16_e32 vcc_lo, 0x80, v1
	s_and_b32 s53, vcc_lo, exec_lo
	s_and_not1_saveexec_b32 s27, s27
	s_cbranch_execnz .LBB87_1033
.LBB87_1017:
	s_or_b32 exec_lo, exec_lo, s27
	v_mov_b32_e32 v8, 0
	s_and_saveexec_b32 s27, s53
	s_cbranch_execz .LBB87_1019
.LBB87_1018:
	v_and_b32_e32 v3, 0xffff, v1
	s_delay_alu instid0(VALU_DEP_1) | instskip(SKIP_1) | instid1(VALU_DEP_2)
	v_and_b32_e32 v5, 7, v3
	v_bfe_u32 v10, v3, 3, 4
	v_clz_i32_u32_e32 v8, v5
	s_delay_alu instid0(VALU_DEP_2) | instskip(NEXT) | instid1(VALU_DEP_2)
	v_cmp_eq_u32_e32 vcc_lo, 0, v10
	v_min_u32_e32 v8, 32, v8
	s_delay_alu instid0(VALU_DEP_1) | instskip(NEXT) | instid1(VALU_DEP_1)
	v_subrev_nc_u32_e32 v9, 28, v8
	v_dual_lshlrev_b32 v3, v9, v3 :: v_dual_sub_nc_u32 v8, 29, v8
	s_delay_alu instid0(VALU_DEP_1) | instskip(NEXT) | instid1(VALU_DEP_1)
	v_dual_lshlrev_b32 v1, 24, v1 :: v_dual_bitop2_b32 v3, 7, v3 bitop3:0x40
	v_dual_cndmask_b32 v8, v10, v8 :: v_dual_cndmask_b32 v3, v5, v3
	s_delay_alu instid0(VALU_DEP_2) | instskip(NEXT) | instid1(VALU_DEP_2)
	v_and_b32_e32 v1, 0x80000000, v1
	v_lshl_add_u32 v5, v8, 23, 0x3b800000
	s_delay_alu instid0(VALU_DEP_3) | instskip(NEXT) | instid1(VALU_DEP_1)
	v_lshlrev_b32_e32 v3, 20, v3
	v_or3_b32 v1, v1, v5, v3
	s_delay_alu instid0(VALU_DEP_1)
	v_cvt_i32_f32_e32 v8, v1
.LBB87_1019:
	s_or_b32 exec_lo, exec_lo, s27
.LBB87_1020:
	s_mov_b32 s27, -1
.LBB87_1021:
	s_mov_b32 s53, 0
.LBB87_1022:
	s_delay_alu instid0(SALU_CYCLE_1)
	s_and_b32 vcc_lo, exec_lo, s53
	s_cbranch_vccz .LBB87_1055
; %bb.1023:
	s_cmp_gt_i32 s0, 22
	s_cbranch_scc0 .LBB87_1031
; %bb.1024:
	s_cmp_lt_i32 s0, 24
	s_cbranch_scc1 .LBB87_1034
; %bb.1025:
	s_cmp_gt_i32 s0, 24
	s_cbranch_scc0 .LBB87_1035
; %bb.1026:
	global_load_u8 v1, v[6:7], off
	s_mov_b32 s53, 0
	s_mov_b32 s27, exec_lo
	s_wait_loadcnt 0x0
	v_cmpx_lt_i16_e32 0x7f, v1
	s_xor_b32 s27, exec_lo, s27
	s_cbranch_execz .LBB87_1047
; %bb.1027:
	v_cmp_ne_u16_e32 vcc_lo, 0x80, v1
	s_and_b32 s53, vcc_lo, exec_lo
	s_and_not1_saveexec_b32 s27, s27
	s_cbranch_execnz .LBB87_1048
.LBB87_1028:
	s_or_b32 exec_lo, exec_lo, s27
	v_mov_b32_e32 v8, 0
	s_and_saveexec_b32 s27, s53
	s_cbranch_execz .LBB87_1030
.LBB87_1029:
	v_and_b32_e32 v3, 0xffff, v1
	s_delay_alu instid0(VALU_DEP_1) | instskip(SKIP_1) | instid1(VALU_DEP_2)
	v_and_b32_e32 v5, 3, v3
	v_bfe_u32 v10, v3, 2, 5
	v_clz_i32_u32_e32 v8, v5
	s_delay_alu instid0(VALU_DEP_2) | instskip(NEXT) | instid1(VALU_DEP_2)
	v_cmp_eq_u32_e32 vcc_lo, 0, v10
	v_min_u32_e32 v8, 32, v8
	s_delay_alu instid0(VALU_DEP_1) | instskip(NEXT) | instid1(VALU_DEP_1)
	v_subrev_nc_u32_e32 v9, 29, v8
	v_dual_lshlrev_b32 v3, v9, v3 :: v_dual_sub_nc_u32 v8, 30, v8
	s_delay_alu instid0(VALU_DEP_1) | instskip(NEXT) | instid1(VALU_DEP_1)
	v_dual_lshlrev_b32 v1, 24, v1 :: v_dual_bitop2_b32 v3, 3, v3 bitop3:0x40
	v_dual_cndmask_b32 v8, v10, v8 :: v_dual_cndmask_b32 v3, v5, v3
	s_delay_alu instid0(VALU_DEP_2) | instskip(NEXT) | instid1(VALU_DEP_2)
	v_and_b32_e32 v1, 0x80000000, v1
	v_lshl_add_u32 v5, v8, 23, 0x37800000
	s_delay_alu instid0(VALU_DEP_3) | instskip(NEXT) | instid1(VALU_DEP_1)
	v_lshlrev_b32_e32 v3, 21, v3
	v_or3_b32 v1, v1, v5, v3
	s_delay_alu instid0(VALU_DEP_1)
	v_cvt_i32_f32_e32 v8, v1
.LBB87_1030:
	s_or_b32 exec_lo, exec_lo, s27
	s_mov_b32 s27, 0
	s_branch .LBB87_1036
.LBB87_1031:
	s_mov_b32 s53, -1
                                        ; implicit-def: $vgpr8
	s_branch .LBB87_1042
.LBB87_1032:
	s_and_not1_saveexec_b32 s27, s27
	s_cbranch_execz .LBB87_1017
.LBB87_1033:
	v_cmp_ne_u16_e32 vcc_lo, 0, v1
	s_and_not1_b32 s53, s53, exec_lo
	s_and_b32 s54, vcc_lo, exec_lo
	s_delay_alu instid0(SALU_CYCLE_1)
	s_or_b32 s53, s53, s54
	s_or_b32 exec_lo, exec_lo, s27
	v_mov_b32_e32 v8, 0
	s_and_saveexec_b32 s27, s53
	s_cbranch_execnz .LBB87_1018
	s_branch .LBB87_1019
.LBB87_1034:
	s_mov_b32 s27, -1
                                        ; implicit-def: $vgpr8
	s_branch .LBB87_1039
.LBB87_1035:
	s_mov_b32 s27, -1
                                        ; implicit-def: $vgpr8
.LBB87_1036:
	s_delay_alu instid0(SALU_CYCLE_1)
	s_and_b32 vcc_lo, exec_lo, s27
	s_cbranch_vccz .LBB87_1038
; %bb.1037:
	global_load_u8 v1, v[6:7], off
	s_wait_loadcnt 0x0
	v_lshlrev_b32_e32 v1, 24, v1
	s_delay_alu instid0(VALU_DEP_1) | instskip(NEXT) | instid1(VALU_DEP_1)
	v_and_b32_e32 v3, 0x7f000000, v1
	v_clz_i32_u32_e32 v5, v3
	s_wait_xcnt 0x1
	v_add_nc_u32_e32 v9, 0x1000000, v3
	v_cmp_ne_u32_e32 vcc_lo, 0, v3
	s_delay_alu instid0(VALU_DEP_3) | instskip(NEXT) | instid1(VALU_DEP_1)
	v_min_u32_e32 v5, 32, v5
	v_sub_nc_u32_e64 v5, v5, 4 clamp
	s_delay_alu instid0(VALU_DEP_1) | instskip(NEXT) | instid1(VALU_DEP_1)
	v_dual_lshlrev_b32 v8, v5, v3 :: v_dual_lshlrev_b32 v5, 23, v5
	v_lshrrev_b32_e32 v8, 4, v8
	s_delay_alu instid0(VALU_DEP_1) | instskip(SKIP_1) | instid1(VALU_DEP_2)
	v_sub_nc_u32_e32 v5, v8, v5
	v_ashrrev_i32_e32 v8, 8, v9
	v_add_nc_u32_e32 v5, 0x3c000000, v5
	s_delay_alu instid0(VALU_DEP_1) | instskip(NEXT) | instid1(VALU_DEP_1)
	v_and_or_b32 v5, 0x7f800000, v8, v5
	v_cndmask_b32_e32 v3, 0, v5, vcc_lo
	s_delay_alu instid0(VALU_DEP_1) | instskip(NEXT) | instid1(VALU_DEP_1)
	v_and_or_b32 v1, 0x80000000, v1, v3
	v_cvt_i32_f32_e32 v8, v1
.LBB87_1038:
	s_mov_b32 s27, 0
.LBB87_1039:
	s_delay_alu instid0(SALU_CYCLE_1)
	s_and_not1_b32 vcc_lo, exec_lo, s27
	s_cbranch_vccnz .LBB87_1041
; %bb.1040:
	global_load_u8 v1, v[6:7], off
	s_wait_loadcnt 0x0
	v_lshlrev_b32_e32 v3, 25, v1
	v_lshlrev_b16 v1, 8, v1
	s_wait_xcnt 0x1
	s_delay_alu instid0(VALU_DEP_1) | instskip(SKIP_1) | instid1(VALU_DEP_2)
	v_and_or_b32 v8, 0x7f00, v1, 0.5
	v_bfe_i32 v1, v1, 0, 16
	v_dual_add_f32 v8, -0.5, v8 :: v_dual_lshrrev_b32 v5, 4, v3
	v_cmp_gt_u32_e32 vcc_lo, 0x8000000, v3
	s_delay_alu instid0(VALU_DEP_2) | instskip(NEXT) | instid1(VALU_DEP_1)
	v_or_b32_e32 v5, 0x70000000, v5
	v_mul_f32_e32 v5, 0x7800000, v5
	s_delay_alu instid0(VALU_DEP_1) | instskip(NEXT) | instid1(VALU_DEP_1)
	v_cndmask_b32_e32 v3, v5, v8, vcc_lo
	v_and_or_b32 v1, 0x80000000, v1, v3
	s_delay_alu instid0(VALU_DEP_1)
	v_cvt_i32_f32_e32 v8, v1
.LBB87_1041:
	s_mov_b32 s53, 0
	s_mov_b32 s27, -1
.LBB87_1042:
	s_and_not1_b32 vcc_lo, exec_lo, s53
	s_cbranch_vccnz .LBB87_1055
; %bb.1043:
	s_cmp_gt_i32 s0, 14
	s_cbranch_scc0 .LBB87_1046
; %bb.1044:
	s_cmp_eq_u32 s0, 15
	s_cbranch_scc0 .LBB87_1049
; %bb.1045:
	global_load_u16 v1, v[6:7], off
	s_mov_b32 s27, -1
	s_mov_b32 s26, 0
	s_wait_loadcnt 0x0
	v_lshlrev_b32_e32 v1, 16, v1
	s_wait_xcnt 0x1
	s_delay_alu instid0(VALU_DEP_1)
	v_cvt_i32_f32_e32 v8, v1
	s_branch .LBB87_1050
.LBB87_1046:
	s_mov_b32 s53, -1
                                        ; implicit-def: $vgpr8
	s_branch .LBB87_1051
.LBB87_1047:
	s_and_not1_saveexec_b32 s27, s27
	s_cbranch_execz .LBB87_1028
.LBB87_1048:
	v_cmp_ne_u16_e32 vcc_lo, 0, v1
	s_and_not1_b32 s53, s53, exec_lo
	s_and_b32 s54, vcc_lo, exec_lo
	s_delay_alu instid0(SALU_CYCLE_1)
	s_or_b32 s53, s53, s54
	s_or_b32 exec_lo, exec_lo, s27
	v_mov_b32_e32 v8, 0
	s_and_saveexec_b32 s27, s53
	s_cbranch_execnz .LBB87_1029
	s_branch .LBB87_1030
.LBB87_1049:
	s_mov_b32 s26, -1
                                        ; implicit-def: $vgpr8
.LBB87_1050:
	s_mov_b32 s53, 0
.LBB87_1051:
	s_delay_alu instid0(SALU_CYCLE_1)
	s_and_b32 vcc_lo, exec_lo, s53
	s_cbranch_vccz .LBB87_1055
; %bb.1052:
	s_cmp_eq_u32 s0, 11
	s_cbranch_scc0 .LBB87_1054
; %bb.1053:
	global_load_u8 v1, v[6:7], off
	s_mov_b32 s26, 0
	s_mov_b32 s27, -1
	s_wait_loadcnt 0x0
	v_cmp_ne_u16_e32 vcc_lo, 0, v1
	s_wait_xcnt 0x1
	v_cndmask_b32_e64 v8, 0, 1, vcc_lo
	s_branch .LBB87_1055
.LBB87_1054:
	s_mov_b32 s26, -1
                                        ; implicit-def: $vgpr8
.LBB87_1055:
	s_mov_b32 s53, 0
.LBB87_1056:
	s_delay_alu instid0(SALU_CYCLE_1)
	s_and_b32 vcc_lo, exec_lo, s53
	s_cbranch_vccz .LBB87_1105
; %bb.1057:
	s_cmp_lt_i32 s0, 5
	s_cbranch_scc1 .LBB87_1062
; %bb.1058:
	s_cmp_lt_i32 s0, 8
	s_cbranch_scc1 .LBB87_1063
	;; [unrolled: 3-line block ×3, first 2 shown]
; %bb.1060:
	s_cmp_gt_i32 s0, 9
	s_cbranch_scc0 .LBB87_1065
; %bb.1061:
	s_wait_loadcnt 0x0
	global_load_b64 v[8:9], v[6:7], off
	s_mov_b32 s27, 0
	s_wait_loadcnt 0x0
	v_cvt_i32_f64_e32 v8, v[8:9]
	s_branch .LBB87_1066
.LBB87_1062:
	s_mov_b32 s27, -1
                                        ; implicit-def: $vgpr8
	s_branch .LBB87_1084
.LBB87_1063:
	s_mov_b32 s27, -1
                                        ; implicit-def: $vgpr8
	s_branch .LBB87_1072
.LBB87_1064:
	s_mov_b32 s27, -1
                                        ; implicit-def: $vgpr8
	s_branch .LBB87_1069
.LBB87_1065:
	s_mov_b32 s27, -1
                                        ; implicit-def: $vgpr8
.LBB87_1066:
	s_delay_alu instid0(SALU_CYCLE_1)
	s_and_not1_b32 vcc_lo, exec_lo, s27
	s_cbranch_vccnz .LBB87_1068
; %bb.1067:
	global_load_b32 v1, v[6:7], off
	s_wait_loadcnt 0x0
	s_wait_xcnt 0x1
	v_cvt_i32_f32_e32 v8, v1
.LBB87_1068:
	s_mov_b32 s27, 0
.LBB87_1069:
	s_delay_alu instid0(SALU_CYCLE_1)
	s_and_not1_b32 vcc_lo, exec_lo, s27
	s_cbranch_vccnz .LBB87_1071
; %bb.1070:
	global_load_b32 v1, v[6:7], off
	s_wait_loadcnt 0x0
	s_wait_xcnt 0x1
	v_cvt_i16_f16_e32 v8, v1
.LBB87_1071:
	s_mov_b32 s27, 0
.LBB87_1072:
	s_delay_alu instid0(SALU_CYCLE_1)
	s_and_not1_b32 vcc_lo, exec_lo, s27
	s_cbranch_vccnz .LBB87_1083
; %bb.1073:
	s_cmp_lt_i32 s0, 6
	s_cbranch_scc1 .LBB87_1076
; %bb.1074:
	s_cmp_gt_i32 s0, 6
	s_cbranch_scc0 .LBB87_1077
; %bb.1075:
	s_wait_loadcnt 0x0
	global_load_b64 v[8:9], v[6:7], off
	s_mov_b32 s27, 0
	s_wait_loadcnt 0x0
	v_cvt_i32_f64_e32 v8, v[8:9]
	s_branch .LBB87_1078
.LBB87_1076:
	s_mov_b32 s27, -1
                                        ; implicit-def: $vgpr8
	s_branch .LBB87_1081
.LBB87_1077:
	s_mov_b32 s27, -1
                                        ; implicit-def: $vgpr8
.LBB87_1078:
	s_delay_alu instid0(SALU_CYCLE_1)
	s_and_not1_b32 vcc_lo, exec_lo, s27
	s_cbranch_vccnz .LBB87_1080
; %bb.1079:
	global_load_b32 v1, v[6:7], off
	s_wait_loadcnt 0x0
	s_wait_xcnt 0x1
	v_cvt_i32_f32_e32 v8, v1
.LBB87_1080:
	s_mov_b32 s27, 0
.LBB87_1081:
	s_delay_alu instid0(SALU_CYCLE_1)
	s_and_not1_b32 vcc_lo, exec_lo, s27
	s_cbranch_vccnz .LBB87_1083
; %bb.1082:
	global_load_u16 v1, v[6:7], off
	s_wait_loadcnt 0x0
	s_wait_xcnt 0x1
	v_cvt_i16_f16_e32 v8, v1
.LBB87_1083:
	s_mov_b32 s27, 0
.LBB87_1084:
	s_delay_alu instid0(SALU_CYCLE_1)
	s_and_not1_b32 vcc_lo, exec_lo, s27
	s_cbranch_vccnz .LBB87_1104
; %bb.1085:
	s_cmp_lt_i32 s0, 2
	s_cbranch_scc1 .LBB87_1089
; %bb.1086:
	s_cmp_lt_i32 s0, 3
	s_cbranch_scc1 .LBB87_1090
; %bb.1087:
	s_cmp_gt_i32 s0, 3
	s_cbranch_scc0 .LBB87_1091
; %bb.1088:
	s_wait_loadcnt 0x0
	global_load_b64 v[8:9], v[6:7], off
	s_mov_b32 s27, 0
	s_branch .LBB87_1092
.LBB87_1089:
	s_mov_b32 s27, -1
                                        ; implicit-def: $vgpr8
	s_branch .LBB87_1098
.LBB87_1090:
	s_mov_b32 s27, -1
                                        ; implicit-def: $vgpr8
	s_branch .LBB87_1095
.LBB87_1091:
	s_mov_b32 s27, -1
                                        ; implicit-def: $vgpr8
.LBB87_1092:
	s_delay_alu instid0(SALU_CYCLE_1)
	s_and_not1_b32 vcc_lo, exec_lo, s27
	s_cbranch_vccnz .LBB87_1094
; %bb.1093:
	s_wait_loadcnt 0x0
	global_load_b32 v8, v[6:7], off
.LBB87_1094:
	s_mov_b32 s27, 0
.LBB87_1095:
	s_delay_alu instid0(SALU_CYCLE_1)
	s_and_not1_b32 vcc_lo, exec_lo, s27
	s_cbranch_vccnz .LBB87_1097
; %bb.1096:
	s_wait_loadcnt 0x0
	global_load_u16 v8, v[6:7], off
.LBB87_1097:
	s_mov_b32 s27, 0
.LBB87_1098:
	s_delay_alu instid0(SALU_CYCLE_1)
	s_and_not1_b32 vcc_lo, exec_lo, s27
	s_cbranch_vccnz .LBB87_1104
; %bb.1099:
	s_cmp_gt_i32 s0, 0
	s_mov_b32 s0, 0
	s_cbranch_scc0 .LBB87_1101
; %bb.1100:
	s_wait_loadcnt 0x0
	global_load_i8 v8, v[6:7], off
	s_branch .LBB87_1102
.LBB87_1101:
	s_mov_b32 s0, -1
                                        ; implicit-def: $vgpr8
.LBB87_1102:
	s_delay_alu instid0(SALU_CYCLE_1)
	s_and_not1_b32 vcc_lo, exec_lo, s0
	s_cbranch_vccnz .LBB87_1104
; %bb.1103:
	s_wait_loadcnt 0x0
	global_load_u8 v8, v[6:7], off
.LBB87_1104:
	s_mov_b32 s27, -1
.LBB87_1105:
	s_delay_alu instid0(SALU_CYCLE_1)
	s_and_not1_b32 vcc_lo, exec_lo, s27
	s_cbranch_vccnz .LBB87_1113
; %bb.1106:
	v_mov_b32_e32 v3, 0
	s_wait_loadcnt 0x0
	s_delay_alu instid0(VALU_DEP_4) | instskip(SKIP_1) | instid1(SALU_CYCLE_1)
	v_mul_lo_u16 v1, v4, s33
	s_and_b32 s27, s34, 0xff
	s_cmp_lt_i32 s27, 11
	v_add_nc_u64_e32 v[2:3], s[16:17], v[2:3]
	s_delay_alu instid0(VALU_DEP_2)
	v_mul_lo_u16 v1, v1, v8
	s_cbranch_scc1 .LBB87_1114
; %bb.1107:
	s_and_b32 s53, 0xffff, s27
	s_delay_alu instid0(SALU_CYCLE_1)
	s_cmp_gt_i32 s53, 25
	s_cbranch_scc0 .LBB87_1115
; %bb.1108:
	s_cmp_gt_i32 s53, 28
	s_cbranch_scc0 .LBB87_1116
; %bb.1109:
	;; [unrolled: 3-line block ×4, first 2 shown]
	s_mov_b32 s55, 0
	s_mov_b32 s0, -1
	s_cmp_eq_u32 s53, 46
	s_mov_b32 s54, 0
	s_cbranch_scc0 .LBB87_1119
; %bb.1112:
	v_bfe_i32 v4, v1, 0, 16
	s_mov_b32 s54, -1
	s_mov_b32 s0, 0
	s_delay_alu instid0(VALU_DEP_1) | instskip(NEXT) | instid1(VALU_DEP_1)
	v_cvt_f32_i32_e32 v4, v4
	v_bfe_u32 v5, v4, 16, 1
	s_delay_alu instid0(VALU_DEP_1) | instskip(NEXT) | instid1(VALU_DEP_1)
	v_add3_u32 v4, v4, v5, 0x7fff
	v_lshrrev_b32_e32 v4, 16, v4
	global_store_b32 v[2:3], v4, off
	s_branch .LBB87_1119
.LBB87_1113:
	s_mov_b32 s27, 0
	s_mov_b32 s0, s48
	s_branch .LBB87_858
.LBB87_1114:
	s_mov_b32 s53, -1
	s_mov_b32 s54, 0
	s_mov_b32 s0, s48
	s_branch .LBB87_1188
.LBB87_1115:
	s_mov_b32 s55, -1
	s_mov_b32 s54, 0
	s_mov_b32 s0, s48
	s_branch .LBB87_1146
.LBB87_1116:
	s_mov_b32 s55, -1
	s_mov_b32 s54, 0
	s_mov_b32 s0, s48
	s_branch .LBB87_1129
.LBB87_1117:
	s_mov_b32 s55, -1
	s_mov_b32 s54, 0
	s_mov_b32 s0, s48
	s_branch .LBB87_1125
.LBB87_1118:
	s_mov_b32 s55, -1
	s_mov_b32 s54, 0
	s_mov_b32 s0, s48
.LBB87_1119:
	s_and_b32 vcc_lo, exec_lo, s55
	s_cbranch_vccz .LBB87_1124
; %bb.1120:
	s_cmp_eq_u32 s53, 44
	s_mov_b32 s0, -1
	s_cbranch_scc0 .LBB87_1124
; %bb.1121:
	s_wait_xcnt 0x0
	v_bfe_i32 v4, v1, 0, 16
	v_mov_b32_e32 v5, 0xff
	s_mov_b32 s54, exec_lo
	s_delay_alu instid0(VALU_DEP_2) | instskip(NEXT) | instid1(VALU_DEP_1)
	v_cvt_f32_i32_e32 v4, v4
	v_bfe_u32 v6, v4, 23, 8
	s_delay_alu instid0(VALU_DEP_1)
	v_cmpx_ne_u32_e32 0xff, v6
	s_cbranch_execz .LBB87_1123
; %bb.1122:
	v_and_b32_e32 v5, 0x400000, v4
	v_and_or_b32 v6, 0x3fffff, v4, v6
	v_lshrrev_b32_e32 v4, 23, v4
	s_delay_alu instid0(VALU_DEP_3) | instskip(NEXT) | instid1(VALU_DEP_3)
	v_cmp_ne_u32_e32 vcc_lo, 0, v5
	v_cmp_ne_u32_e64 s0, 0, v6
	s_and_b32 s0, vcc_lo, s0
	s_delay_alu instid0(SALU_CYCLE_1) | instskip(NEXT) | instid1(VALU_DEP_1)
	v_cndmask_b32_e64 v5, 0, 1, s0
	v_add_nc_u32_e32 v5, v4, v5
.LBB87_1123:
	s_or_b32 exec_lo, exec_lo, s54
	s_mov_b32 s54, -1
	s_mov_b32 s0, 0
	global_store_b8 v[2:3], v5, off
.LBB87_1124:
	s_mov_b32 s55, 0
.LBB87_1125:
	s_delay_alu instid0(SALU_CYCLE_1)
	s_and_b32 vcc_lo, exec_lo, s55
	s_cbranch_vccz .LBB87_1128
; %bb.1126:
	s_cmp_eq_u32 s53, 29
	s_mov_b32 s0, -1
	s_cbranch_scc0 .LBB87_1128
; %bb.1127:
	s_wait_xcnt 0x0
	v_bfe_i32 v4, v1, 0, 16
	s_mov_b32 s0, 0
	s_mov_b32 s54, -1
	s_mov_b32 s55, 0
	s_delay_alu instid0(VALU_DEP_1)
	v_ashrrev_i32_e32 v5, 31, v4
	global_store_b64 v[2:3], v[4:5], off
	s_branch .LBB87_1129
.LBB87_1128:
	s_mov_b32 s55, 0
.LBB87_1129:
	s_delay_alu instid0(SALU_CYCLE_1)
	s_and_b32 vcc_lo, exec_lo, s55
	s_cbranch_vccz .LBB87_1145
; %bb.1130:
	s_cmp_lt_i32 s53, 27
	s_mov_b32 s54, -1
	s_cbranch_scc1 .LBB87_1136
; %bb.1131:
	s_cmp_gt_i32 s53, 27
	s_cbranch_scc0 .LBB87_1133
; %bb.1132:
	s_wait_xcnt 0x0
	v_bfe_i32 v4, v1, 0, 16
	s_mov_b32 s54, 0
	global_store_b32 v[2:3], v4, off
.LBB87_1133:
	s_and_not1_b32 vcc_lo, exec_lo, s54
	s_cbranch_vccnz .LBB87_1135
; %bb.1134:
	global_store_b16 v[2:3], v1, off
.LBB87_1135:
	s_mov_b32 s54, 0
.LBB87_1136:
	s_delay_alu instid0(SALU_CYCLE_1)
	s_and_not1_b32 vcc_lo, exec_lo, s54
	s_cbranch_vccnz .LBB87_1144
; %bb.1137:
	s_wait_xcnt 0x0
	v_bfe_i32 v4, v1, 0, 16
	v_mov_b32_e32 v6, 0x80
	s_mov_b32 s54, exec_lo
	s_delay_alu instid0(VALU_DEP_2) | instskip(NEXT) | instid1(VALU_DEP_1)
	v_cvt_f32_i32_e32 v4, v4
	v_and_b32_e32 v5, 0x7fffffff, v4
	s_delay_alu instid0(VALU_DEP_1)
	v_cmpx_gt_u32_e32 0x43800000, v5
	s_cbranch_execz .LBB87_1143
; %bb.1138:
	v_cmp_lt_u32_e32 vcc_lo, 0x3bffffff, v5
	s_mov_b32 s55, 0
                                        ; implicit-def: $vgpr5
	s_and_saveexec_b32 s56, vcc_lo
	s_delay_alu instid0(SALU_CYCLE_1)
	s_xor_b32 s56, exec_lo, s56
	s_cbranch_execz .LBB87_2115
; %bb.1139:
	v_bfe_u32 v5, v4, 20, 1
	s_mov_b32 s55, exec_lo
	s_delay_alu instid0(VALU_DEP_1) | instskip(NEXT) | instid1(VALU_DEP_1)
	v_add3_u32 v5, v4, v5, 0x487ffff
	v_lshrrev_b32_e32 v5, 20, v5
	s_and_not1_saveexec_b32 s56, s56
	s_cbranch_execnz .LBB87_2116
.LBB87_1140:
	s_or_b32 exec_lo, exec_lo, s56
	v_mov_b32_e32 v6, 0
	s_and_saveexec_b32 s56, s55
.LBB87_1141:
	v_lshrrev_b32_e32 v4, 24, v4
	s_delay_alu instid0(VALU_DEP_1)
	v_and_or_b32 v6, 0x80, v4, v5
.LBB87_1142:
	s_or_b32 exec_lo, exec_lo, s56
.LBB87_1143:
	s_delay_alu instid0(SALU_CYCLE_1)
	s_or_b32 exec_lo, exec_lo, s54
	global_store_b8 v[2:3], v6, off
.LBB87_1144:
	s_mov_b32 s54, -1
.LBB87_1145:
	s_mov_b32 s55, 0
.LBB87_1146:
	s_delay_alu instid0(SALU_CYCLE_1)
	s_and_b32 vcc_lo, exec_lo, s55
	s_cbranch_vccz .LBB87_1187
; %bb.1147:
	s_cmp_gt_i32 s53, 22
	s_mov_b32 s55, -1
	s_cbranch_scc0 .LBB87_1179
; %bb.1148:
	s_cmp_lt_i32 s53, 24
	s_mov_b32 s54, -1
	s_cbranch_scc1 .LBB87_1168
; %bb.1149:
	s_cmp_gt_i32 s53, 24
	s_cbranch_scc0 .LBB87_1157
; %bb.1150:
	s_wait_xcnt 0x0
	v_bfe_i32 v4, v1, 0, 16
	v_mov_b32_e32 v6, 0x80
	s_mov_b32 s54, exec_lo
	s_delay_alu instid0(VALU_DEP_2) | instskip(NEXT) | instid1(VALU_DEP_1)
	v_cvt_f32_i32_e32 v4, v4
	v_and_b32_e32 v5, 0x7fffffff, v4
	s_delay_alu instid0(VALU_DEP_1)
	v_cmpx_gt_u32_e32 0x47800000, v5
	s_cbranch_execz .LBB87_1156
; %bb.1151:
	v_cmp_lt_u32_e32 vcc_lo, 0x37ffffff, v5
	s_mov_b32 s55, 0
                                        ; implicit-def: $vgpr5
	s_and_saveexec_b32 s56, vcc_lo
	s_delay_alu instid0(SALU_CYCLE_1)
	s_xor_b32 s56, exec_lo, s56
	s_cbranch_execz .LBB87_2264
; %bb.1152:
	v_bfe_u32 v5, v4, 21, 1
	s_mov_b32 s55, exec_lo
	s_delay_alu instid0(VALU_DEP_1) | instskip(NEXT) | instid1(VALU_DEP_1)
	v_add3_u32 v5, v4, v5, 0x88fffff
	v_lshrrev_b32_e32 v5, 21, v5
	s_and_not1_saveexec_b32 s56, s56
	s_cbranch_execnz .LBB87_2265
.LBB87_1153:
	s_or_b32 exec_lo, exec_lo, s56
	v_mov_b32_e32 v6, 0
	s_and_saveexec_b32 s56, s55
.LBB87_1154:
	v_lshrrev_b32_e32 v4, 24, v4
	s_delay_alu instid0(VALU_DEP_1)
	v_and_or_b32 v6, 0x80, v4, v5
.LBB87_1155:
	s_or_b32 exec_lo, exec_lo, s56
.LBB87_1156:
	s_delay_alu instid0(SALU_CYCLE_1)
	s_or_b32 exec_lo, exec_lo, s54
	s_mov_b32 s54, 0
	global_store_b8 v[2:3], v6, off
.LBB87_1157:
	s_and_b32 vcc_lo, exec_lo, s54
	s_cbranch_vccz .LBB87_1167
; %bb.1158:
	s_wait_xcnt 0x0
	v_bfe_i32 v4, v1, 0, 16
	s_mov_b32 s54, exec_lo
                                        ; implicit-def: $vgpr5
	s_delay_alu instid0(VALU_DEP_1) | instskip(NEXT) | instid1(VALU_DEP_1)
	v_cvt_f32_i32_e32 v4, v4
	v_and_b32_e32 v6, 0x7fffffff, v4
	s_delay_alu instid0(VALU_DEP_1)
	v_cmpx_gt_u32_e32 0x43f00000, v6
	s_xor_b32 s54, exec_lo, s54
	s_cbranch_execz .LBB87_1164
; %bb.1159:
	s_mov_b32 s55, exec_lo
                                        ; implicit-def: $vgpr5
	v_cmpx_lt_u32_e32 0x3c7fffff, v6
	s_xor_b32 s55, exec_lo, s55
; %bb.1160:
	v_bfe_u32 v5, v4, 20, 1
	s_delay_alu instid0(VALU_DEP_1) | instskip(NEXT) | instid1(VALU_DEP_1)
	v_add3_u32 v5, v4, v5, 0x407ffff
	v_and_b32_e32 v6, 0xff00000, v5
	v_lshrrev_b32_e32 v5, 20, v5
	s_delay_alu instid0(VALU_DEP_2) | instskip(NEXT) | instid1(VALU_DEP_2)
	v_cmp_ne_u32_e32 vcc_lo, 0x7f00000, v6
	v_cndmask_b32_e32 v5, 0x7e, v5, vcc_lo
; %bb.1161:
	s_and_not1_saveexec_b32 s55, s55
; %bb.1162:
	v_add_f32_e64 v5, 0x46800000, |v4|
; %bb.1163:
	s_or_b32 exec_lo, exec_lo, s55
                                        ; implicit-def: $vgpr6
.LBB87_1164:
	s_and_not1_saveexec_b32 s54, s54
; %bb.1165:
	v_mov_b32_e32 v5, 0x7f
	v_cmp_lt_u32_e32 vcc_lo, 0x7f800000, v6
	s_delay_alu instid0(VALU_DEP_2)
	v_cndmask_b32_e32 v5, 0x7e, v5, vcc_lo
; %bb.1166:
	s_or_b32 exec_lo, exec_lo, s54
	v_lshrrev_b32_e32 v4, 24, v4
	s_delay_alu instid0(VALU_DEP_1)
	v_and_or_b32 v4, 0x80, v4, v5
	global_store_b8 v[2:3], v4, off
.LBB87_1167:
	s_mov_b32 s54, 0
.LBB87_1168:
	s_delay_alu instid0(SALU_CYCLE_1)
	s_and_not1_b32 vcc_lo, exec_lo, s54
	s_cbranch_vccnz .LBB87_1178
; %bb.1169:
	s_wait_xcnt 0x0
	v_bfe_i32 v4, v1, 0, 16
	s_mov_b32 s54, exec_lo
                                        ; implicit-def: $vgpr5
	s_delay_alu instid0(VALU_DEP_1) | instskip(NEXT) | instid1(VALU_DEP_1)
	v_cvt_f32_i32_e32 v4, v4
	v_and_b32_e32 v6, 0x7fffffff, v4
	s_delay_alu instid0(VALU_DEP_1)
	v_cmpx_gt_u32_e32 0x47800000, v6
	s_xor_b32 s54, exec_lo, s54
	s_cbranch_execz .LBB87_1175
; %bb.1170:
	s_mov_b32 s55, exec_lo
                                        ; implicit-def: $vgpr5
	v_cmpx_lt_u32_e32 0x387fffff, v6
	s_xor_b32 s55, exec_lo, s55
; %bb.1171:
	v_bfe_u32 v5, v4, 21, 1
	s_delay_alu instid0(VALU_DEP_1) | instskip(NEXT) | instid1(VALU_DEP_1)
	v_add3_u32 v5, v4, v5, 0x80fffff
	v_lshrrev_b32_e32 v5, 21, v5
; %bb.1172:
	s_and_not1_saveexec_b32 s55, s55
; %bb.1173:
	v_add_f32_e64 v5, 0x43000000, |v4|
; %bb.1174:
	s_or_b32 exec_lo, exec_lo, s55
                                        ; implicit-def: $vgpr6
.LBB87_1175:
	s_and_not1_saveexec_b32 s54, s54
; %bb.1176:
	v_mov_b32_e32 v5, 0x7f
	v_cmp_lt_u32_e32 vcc_lo, 0x7f800000, v6
	s_delay_alu instid0(VALU_DEP_2)
	v_cndmask_b32_e32 v5, 0x7c, v5, vcc_lo
; %bb.1177:
	s_or_b32 exec_lo, exec_lo, s54
	v_lshrrev_b32_e32 v4, 24, v4
	s_delay_alu instid0(VALU_DEP_1)
	v_and_or_b32 v4, 0x80, v4, v5
	global_store_b8 v[2:3], v4, off
.LBB87_1178:
	s_mov_b32 s55, 0
	s_mov_b32 s54, -1
.LBB87_1179:
	s_and_not1_b32 vcc_lo, exec_lo, s55
	s_cbranch_vccnz .LBB87_1187
; %bb.1180:
	s_cmp_gt_i32 s53, 14
	s_mov_b32 s55, -1
	s_cbranch_scc0 .LBB87_1184
; %bb.1181:
	s_cmp_eq_u32 s53, 15
	s_mov_b32 s0, -1
	s_cbranch_scc0 .LBB87_1183
; %bb.1182:
	s_wait_xcnt 0x0
	v_bfe_i32 v4, v1, 0, 16
	s_mov_b32 s54, -1
	s_mov_b32 s0, 0
	s_delay_alu instid0(VALU_DEP_1) | instskip(NEXT) | instid1(VALU_DEP_1)
	v_cvt_f32_i32_e32 v4, v4
	v_bfe_u32 v5, v4, 16, 1
	s_delay_alu instid0(VALU_DEP_1)
	v_add3_u32 v4, v4, v5, 0x7fff
	global_store_d16_hi_b16 v[2:3], v4, off
.LBB87_1183:
	s_mov_b32 s55, 0
.LBB87_1184:
	s_delay_alu instid0(SALU_CYCLE_1)
	s_and_b32 vcc_lo, exec_lo, s55
	s_cbranch_vccz .LBB87_1187
; %bb.1185:
	s_cmp_eq_u32 s53, 11
	s_mov_b32 s0, -1
	s_cbranch_scc0 .LBB87_1187
; %bb.1186:
	v_cmp_ne_u16_e32 vcc_lo, 0, v1
	s_mov_b32 s0, 0
	s_mov_b32 s54, -1
	s_wait_xcnt 0x0
	v_cndmask_b32_e64 v4, 0, 1, vcc_lo
	global_store_b8 v[2:3], v4, off
.LBB87_1187:
	s_mov_b32 s53, 0
.LBB87_1188:
	s_delay_alu instid0(SALU_CYCLE_1)
	s_and_b32 vcc_lo, exec_lo, s53
	s_cbranch_vccz .LBB87_1227
; %bb.1189:
	s_and_b32 s27, 0xffff, s27
	s_mov_b32 s53, -1
	s_cmp_lt_i32 s27, 5
	s_cbranch_scc1 .LBB87_1210
; %bb.1190:
	s_cmp_lt_i32 s27, 8
	s_cbranch_scc1 .LBB87_1200
; %bb.1191:
	;; [unrolled: 3-line block ×3, first 2 shown]
	s_cmp_gt_i32 s27, 9
	s_cbranch_scc0 .LBB87_1194
; %bb.1193:
	s_wait_xcnt 0x0
	v_bfe_i32 v4, v1, 0, 16
	v_mov_b32_e32 v6, 0
	s_mov_b32 s53, 0
	s_delay_alu instid0(VALU_DEP_2) | instskip(NEXT) | instid1(VALU_DEP_2)
	v_cvt_f64_i32_e32 v[4:5], v4
	v_mov_b32_e32 v7, v6
	global_store_b128 v[2:3], v[4:7], off
.LBB87_1194:
	s_and_not1_b32 vcc_lo, exec_lo, s53
	s_cbranch_vccnz .LBB87_1196
; %bb.1195:
	s_wait_xcnt 0x0
	v_bfe_i32 v4, v1, 0, 16
	v_mov_b32_e32 v5, 0
	s_delay_alu instid0(VALU_DEP_2)
	v_cvt_f32_i32_e32 v4, v4
	global_store_b64 v[2:3], v[4:5], off
.LBB87_1196:
	s_mov_b32 s53, 0
.LBB87_1197:
	s_delay_alu instid0(SALU_CYCLE_1)
	s_and_not1_b32 vcc_lo, exec_lo, s53
	s_cbranch_vccnz .LBB87_1199
; %bb.1198:
	s_wait_xcnt 0x0
	v_cvt_f16_i16_e32 v4, v1
	s_delay_alu instid0(VALU_DEP_1)
	v_and_b32_e32 v4, 0xffff, v4
	global_store_b32 v[2:3], v4, off
.LBB87_1199:
	s_mov_b32 s53, 0
.LBB87_1200:
	s_delay_alu instid0(SALU_CYCLE_1)
	s_and_not1_b32 vcc_lo, exec_lo, s53
	s_cbranch_vccnz .LBB87_1209
; %bb.1201:
	s_cmp_lt_i32 s27, 6
	s_mov_b32 s53, -1
	s_cbranch_scc1 .LBB87_1207
; %bb.1202:
	s_cmp_gt_i32 s27, 6
	s_cbranch_scc0 .LBB87_1204
; %bb.1203:
	s_wait_xcnt 0x0
	v_bfe_i32 v4, v1, 0, 16
	s_mov_b32 s53, 0
	s_delay_alu instid0(VALU_DEP_1)
	v_cvt_f64_i32_e32 v[4:5], v4
	global_store_b64 v[2:3], v[4:5], off
.LBB87_1204:
	s_and_not1_b32 vcc_lo, exec_lo, s53
	s_cbranch_vccnz .LBB87_1206
; %bb.1205:
	s_wait_xcnt 0x0
	v_bfe_i32 v4, v1, 0, 16
	s_delay_alu instid0(VALU_DEP_1)
	v_cvt_f32_i32_e32 v4, v4
	global_store_b32 v[2:3], v4, off
.LBB87_1206:
	s_mov_b32 s53, 0
.LBB87_1207:
	s_delay_alu instid0(SALU_CYCLE_1)
	s_and_not1_b32 vcc_lo, exec_lo, s53
	s_cbranch_vccnz .LBB87_1209
; %bb.1208:
	s_wait_xcnt 0x0
	v_cvt_f16_i16_e32 v4, v1
	global_store_b16 v[2:3], v4, off
.LBB87_1209:
	s_mov_b32 s53, 0
.LBB87_1210:
	s_delay_alu instid0(SALU_CYCLE_1)
	s_and_not1_b32 vcc_lo, exec_lo, s53
	s_cbranch_vccnz .LBB87_1226
; %bb.1211:
	s_cmp_lt_i32 s27, 2
	s_mov_b32 s53, -1
	s_cbranch_scc1 .LBB87_1221
; %bb.1212:
	s_cmp_lt_i32 s27, 3
	s_cbranch_scc1 .LBB87_1218
; %bb.1213:
	s_cmp_gt_i32 s27, 3
	s_cbranch_scc0 .LBB87_1215
; %bb.1214:
	s_wait_xcnt 0x0
	v_bfe_i32 v4, v1, 0, 16
	s_mov_b32 s53, 0
	s_delay_alu instid0(VALU_DEP_1)
	v_ashrrev_i32_e32 v5, 31, v4
	global_store_b64 v[2:3], v[4:5], off
.LBB87_1215:
	s_and_not1_b32 vcc_lo, exec_lo, s53
	s_cbranch_vccnz .LBB87_1217
; %bb.1216:
	s_wait_xcnt 0x0
	v_bfe_i32 v4, v1, 0, 16
	global_store_b32 v[2:3], v4, off
.LBB87_1217:
	s_mov_b32 s53, 0
.LBB87_1218:
	s_delay_alu instid0(SALU_CYCLE_1)
	s_and_not1_b32 vcc_lo, exec_lo, s53
	s_cbranch_vccnz .LBB87_1220
; %bb.1219:
	global_store_b16 v[2:3], v1, off
.LBB87_1220:
	s_mov_b32 s53, 0
.LBB87_1221:
	s_delay_alu instid0(SALU_CYCLE_1)
	s_and_not1_b32 vcc_lo, exec_lo, s53
	s_cbranch_vccnz .LBB87_1226
; %bb.1222:
	s_cmp_gt_i32 s27, 0
	s_mov_b32 s27, -1
	s_cbranch_scc0 .LBB87_1224
; %bb.1223:
	s_mov_b32 s27, 0
	global_store_b8 v[2:3], v1, off
.LBB87_1224:
	s_and_not1_b32 vcc_lo, exec_lo, s27
	s_cbranch_vccnz .LBB87_1226
; %bb.1225:
	global_store_b8 v[2:3], v1, off
.LBB87_1226:
	s_mov_b32 s54, -1
.LBB87_1227:
	s_delay_alu instid0(SALU_CYCLE_1)
	s_and_not1_b32 vcc_lo, exec_lo, s54
	s_cbranch_vccnz .LBB87_1250
; %bb.1228:
	v_add_nc_u32_e32 v0, 0x80, v0
	s_mov_b32 s27, -1
.LBB87_1229:
	s_and_not1_b32 s53, s48, exec_lo
	s_and_b32 s0, s0, exec_lo
	s_and_not1_b32 s54, s49, exec_lo
	s_and_b32 s26, s26, exec_lo
	s_or_b32 s55, s53, s0
	s_or_b32 s53, s54, s26
	s_and_not1_b32 s0, s50, exec_lo
	s_and_b32 s24, s24, exec_lo
	s_and_not1_b32 s26, s47, exec_lo
	s_and_b32 s25, s25, exec_lo
	s_or_b32 s54, s0, s24
	s_or_b32 s0, s26, s25
	s_or_not1_b32 s25, s27, exec_lo
.LBB87_1230:
	s_wait_xcnt 0x0
	s_or_b32 exec_lo, exec_lo, s52
	s_mov_b32 s24, 0
                                        ; implicit-def: $vgpr4
                                        ; implicit-def: $vgpr8
                                        ; implicit-def: $vgpr2
	s_and_saveexec_b32 s52, s25
	s_cbranch_execz .LBB87_1265
; %bb.1231:
	v_cmp_gt_i32_e32 vcc_lo, s40, v0
	s_mov_b32 s25, s0
                                        ; implicit-def: $vgpr4
                                        ; implicit-def: $vgpr8
                                        ; implicit-def: $vgpr2
	s_and_saveexec_b32 s40, vcc_lo
	s_cbranch_execz .LBB87_1264
; %bb.1232:
	s_and_not1_b32 vcc_lo, exec_lo, s30
	s_cbranch_vccnz .LBB87_1238
; %bb.1233:
	s_and_not1_b32 vcc_lo, exec_lo, s41
	s_cbranch_vccnz .LBB87_1239
; %bb.1234:
	v_dual_mov_b32 v2, 0 :: v_dual_mov_b32 v1, v0
	s_wait_loadcnt 0x0
	v_dual_mov_b32 v8, 0 :: v_dual_mov_b32 v4, 0
	s_add_co_i32 s26, s39, 1
	s_mov_b64 s[24:25], 0xffffffffffffffe0
	s_and_b32 s41, s26, 30
	s_add_nc_u64 s[24:25], s[2:3], s[24:25]
	s_mov_b64 s[26:27], s[2:3]
.LBB87_1235:                            ; =>This Inner Loop Header: Depth=1
	s_clause 0x1
	s_load_b128 s[56:59], s[26:27], 0x4
	s_load_b64 s[60:61], s[26:27], 0x14
	s_load_b32 s62, s[24:25], 0xe4
	s_add_co_i32 s41, s41, -2
	s_wait_xcnt 0x0
	s_add_nc_u64 s[26:27], s[26:27], 24
	s_cmp_eq_u32 s41, 0
	s_wait_kmcnt 0x0
	v_mul_hi_u32 v3, s57, v1
	s_delay_alu instid0(VALU_DEP_1) | instskip(NEXT) | instid1(VALU_DEP_1)
	v_add_nc_u32_e32 v3, v1, v3
	v_lshrrev_b32_e32 v3, s58, v3
	s_delay_alu instid0(VALU_DEP_1) | instskip(SKIP_2) | instid1(VALU_DEP_1)
	v_mul_hi_u32 v5, s60, v3
	v_mul_lo_u32 v6, v3, s56
	s_load_b96 s[56:58], s[24:25], 0xec
	v_dual_add_nc_u32 v5, v3, v5 :: v_dual_sub_nc_u32 v6, v1, v6
	s_delay_alu instid0(VALU_DEP_1) | instskip(SKIP_1) | instid1(VALU_DEP_2)
	v_lshrrev_b32_e32 v1, s61, v5
	s_load_b64 s[60:61], s[24:25], 0xfc
	v_mad_u32 v2, v6, s62, v2
	s_wait_xcnt 0x0
	s_add_nc_u64 s[24:25], s[24:25], 32
	v_mul_lo_u32 v5, v1, s59
	s_wait_kmcnt 0x0
	v_mad_u32 v4, v6, s57, v4
	v_mad_u32 v6, v6, s56, v8
	s_delay_alu instid0(VALU_DEP_3) | instskip(NEXT) | instid1(VALU_DEP_1)
	v_sub_nc_u32_e32 v3, v3, v5
	v_mad_u32 v2, v3, s58, v2
	s_delay_alu instid0(VALU_DEP_4) | instskip(NEXT) | instid1(VALU_DEP_4)
	v_mad_u32 v4, v3, s61, v4
	v_mad_u32 v8, v3, s60, v6
	s_cbranch_scc0 .LBB87_1235
; %bb.1236:
	s_bitcmp1_b32 s39, 0
	s_cselect_b32 s39, -1, 0
	s_delay_alu instid0(SALU_CYCLE_1)
	s_and_b32 vcc_lo, exec_lo, s39
	s_cbranch_vccnz .LBB87_1240
; %bb.1237:
	s_load_b96 s[56:58], s[26:27], 0x4
	s_load_b32 s39, s[24:25], 0xe4
	s_wait_xcnt 0x0
	s_load_b64 s[26:27], s[24:25], 0xec
	s_wait_kmcnt 0x0
	v_mul_hi_u32 v3, s57, v1
	s_delay_alu instid0(VALU_DEP_1) | instskip(NEXT) | instid1(VALU_DEP_1)
	v_add_nc_u32_e32 v3, v1, v3
	v_lshrrev_b32_e32 v3, s58, v3
	s_delay_alu instid0(VALU_DEP_1) | instskip(NEXT) | instid1(VALU_DEP_1)
	v_mul_lo_u32 v3, v3, s56
	v_sub_nc_u32_e32 v1, v1, v3
	s_delay_alu instid0(VALU_DEP_1)
	v_mad_u32 v2, v1, s39, v2
	v_mad_u32 v8, v1, s26, v8
	;; [unrolled: 1-line block ×3, first 2 shown]
	s_branch .LBB87_1240
.LBB87_1238:
	s_mov_b32 s24, -1
                                        ; implicit-def: $vgpr4
                                        ; implicit-def: $vgpr8
                                        ; implicit-def: $vgpr2
	s_branch .LBB87_1241
.LBB87_1239:
	s_wait_loadcnt 0x0
	v_dual_mov_b32 v4, 0 :: v_dual_mov_b32 v8, 0
	v_mov_b32_e32 v2, 0
.LBB87_1240:
	s_mov_b32 s24, 0
.LBB87_1241:
	s_delay_alu instid0(SALU_CYCLE_1)
	s_and_not1_b32 vcc_lo, exec_lo, s24
	s_cbranch_vccnz .LBB87_1244
; %bb.1242:
	v_mov_b32_e32 v1, 0
	s_and_not1_b32 vcc_lo, exec_lo, s38
	s_delay_alu instid0(VALU_DEP_1) | instskip(NEXT) | instid1(VALU_DEP_1)
	v_mul_u64_e32 v[2:3], s[18:19], v[0:1]
	v_add_nc_u32_e32 v2, v0, v3
	s_delay_alu instid0(VALU_DEP_1) | instskip(NEXT) | instid1(VALU_DEP_1)
	v_lshrrev_b32_e32 v6, s10, v2
	v_mul_lo_u32 v2, v6, s8
	s_delay_alu instid0(VALU_DEP_1) | instskip(NEXT) | instid1(VALU_DEP_1)
	v_sub_nc_u32_e32 v0, v0, v2
	v_mul_lo_u32 v2, v0, s37
	s_wait_loadcnt 0x0
	v_mul_lo_u32 v4, v0, s13
	v_mul_lo_u32 v8, v0, s12
	s_cbranch_vccnz .LBB87_1244
; %bb.1243:
	v_mov_b32_e32 v7, v1
	s_delay_alu instid0(VALU_DEP_1) | instskip(NEXT) | instid1(VALU_DEP_1)
	v_mul_u64_e32 v[0:1], s[22:23], v[6:7]
	v_add_nc_u32_e32 v0, v6, v1
	s_delay_alu instid0(VALU_DEP_1) | instskip(NEXT) | instid1(VALU_DEP_1)
	v_lshrrev_b32_e32 v0, s1, v0
	v_mul_lo_u32 v0, v0, s11
	s_delay_alu instid0(VALU_DEP_1) | instskip(NEXT) | instid1(VALU_DEP_1)
	v_sub_nc_u32_e32 v0, v6, v0
	v_mad_u32 v2, v0, s14, v2
	v_mad_u32 v8, v0, s20, v8
	;; [unrolled: 1-line block ×3, first 2 shown]
.LBB87_1244:
	s_and_b32 s10, s36, 0xff
	s_delay_alu instid0(SALU_CYCLE_1)
	s_cmp_lt_i32 s10, 23
	s_cbranch_scc1 .LBB87_1248
; %bb.1245:
	s_and_b32 s11, 0xffff, s10
	s_delay_alu instid0(SALU_CYCLE_1)
	s_cmp_gt_i32 s11, 43
	s_cbranch_scc0 .LBB87_1249
; %bb.1246:
	s_cmp_gt_i32 s11, 45
	s_cbranch_scc0 .LBB87_1251
; %bb.1247:
	s_cmp_lg_u32 s11, 46
	s_mov_b32 s12, 0
	s_cselect_b32 s1, -1, 0
	s_and_not1_b32 s8, s0, exec_lo
	s_and_b32 s13, s1, exec_lo
	s_mov_b32 s1, -1
	s_or_b32 s8, s8, s13
	s_branch .LBB87_1252
.LBB87_1248:
	s_mov_b32 s11, -1
	s_mov_b32 s1, 0
	s_mov_b32 s8, s0
	s_branch .LBB87_1258
.LBB87_1249:
	s_mov_b32 s12, -1
	s_mov_b32 s1, 0
	s_mov_b32 s8, s0
	s_branch .LBB87_1255
.LBB87_1250:
	s_mov_b32 s27, 0
	s_branch .LBB87_858
.LBB87_1251:
	s_mov_b32 s12, -1
	s_mov_b32 s1, 0
	s_mov_b32 s8, s0
.LBB87_1252:
	s_and_not1_b32 vcc_lo, exec_lo, s12
	s_cbranch_vccnz .LBB87_1254
; %bb.1253:
	s_cmp_eq_u32 s11, 44
	s_cselect_b32 s1, -1, 0
	s_cmp_lg_u32 s11, 44
	s_cselect_b32 s12, -1, 0
	s_and_not1_b32 s8, s8, exec_lo
	s_and_b32 s12, s12, exec_lo
	s_delay_alu instid0(SALU_CYCLE_1)
	s_or_b32 s8, s8, s12
.LBB87_1254:
	s_mov_b32 s12, 0
.LBB87_1255:
	s_delay_alu instid0(SALU_CYCLE_1)
	s_and_b32 vcc_lo, exec_lo, s12
	s_cbranch_vccz .LBB87_1257
; %bb.1256:
	s_cmp_lt_i32 s11, 30
	s_cselect_b32 s1, -1, 0
	s_cmp_gt_i32 s11, 29
	s_cselect_b32 s11, -1, 0
	s_and_not1_b32 s8, s8, exec_lo
	s_and_b32 s11, s11, exec_lo
	s_delay_alu instid0(SALU_CYCLE_1)
	s_or_b32 s8, s8, s11
.LBB87_1257:
	s_mov_b32 s11, 0
.LBB87_1258:
	s_delay_alu instid0(SALU_CYCLE_1)
	s_and_b32 vcc_lo, exec_lo, s11
	s_cbranch_vccz .LBB87_1263
; %bb.1259:
	s_and_b32 s10, 0xffff, s10
	s_mov_b32 s11, -1
	s_cmp_gt_i32 s10, 14
	s_cbranch_scc0 .LBB87_1261
; %bb.1260:
	s_cmp_eq_u32 s10, 15
	s_cselect_b32 s1, -1, 0
	s_cmp_lg_u32 s10, 15
	s_cselect_b32 s11, -1, 0
	s_and_not1_b32 s8, s8, exec_lo
	s_and_b32 s12, s11, exec_lo
	s_mov_b32 s11, 0
	s_or_b32 s8, s8, s12
.LBB87_1261:
	s_and_not1_b32 vcc_lo, exec_lo, s11
	s_cbranch_vccnz .LBB87_1263
; %bb.1262:
	s_cmp_lt_i32 s10, 12
	s_cselect_b32 s1, -1, 0
	s_cmp_gt_i32 s10, 11
	s_cselect_b32 s10, -1, 0
	s_and_not1_b32 s8, s8, exec_lo
	s_and_b32 s10, s10, exec_lo
	s_delay_alu instid0(SALU_CYCLE_1)
	s_or_b32 s8, s8, s10
.LBB87_1263:
	s_and_not1_b32 s10, s0, exec_lo
	s_and_b32 s8, s8, exec_lo
	s_and_b32 s24, s1, exec_lo
	s_or_b32 s25, s10, s8
.LBB87_1264:
	s_or_b32 exec_lo, exec_lo, s40
	s_delay_alu instid0(SALU_CYCLE_1)
	s_and_not1_b32 s0, s0, exec_lo
	s_and_b32 s1, s25, exec_lo
	s_and_b32 s24, s24, exec_lo
	s_or_b32 s0, s0, s1
.LBB87_1265:
	s_or_b32 exec_lo, exec_lo, s52
	s_delay_alu instid0(SALU_CYCLE_1)
	s_and_not1_b32 s1, s48, exec_lo
	s_and_b32 s8, s55, exec_lo
	s_and_not1_b32 s10, s50, exec_lo
	s_or_b32 s48, s1, s8
	s_and_not1_b32 s1, s49, exec_lo
	s_and_b32 s8, s53, exec_lo
	s_and_b32 s11, s54, exec_lo
	s_or_b32 s49, s1, s8
	s_and_not1_b32 s1, s47, exec_lo
	s_and_b32 s8, s0, exec_lo
	s_or_b32 s50, s10, s11
	s_and_b32 s0, s24, exec_lo
	s_or_b32 s47, s1, s8
.LBB87_1266:
	s_or_b32 exec_lo, exec_lo, s51
	s_delay_alu instid0(SALU_CYCLE_1)
	s_and_not1_b32 s1, s42, exec_lo
	s_and_b32 s8, s48, exec_lo
	s_and_not1_b32 s10, s44, exec_lo
	s_or_b32 s42, s1, s8
	s_and_not1_b32 s1, s43, exec_lo
	s_and_b32 s8, s49, exec_lo
	s_and_b32 s11, s50, exec_lo
	s_or_b32 s43, s1, s8
	s_and_not1_b32 s1, s45, exec_lo
	s_and_b32 s8, s47, exec_lo
	s_or_b32 s44, s10, s11
	s_and_b32 s19, s0, exec_lo
	s_or_b32 s45, s1, s8
.LBB87_1267:
	s_or_b32 exec_lo, exec_lo, s46
	s_mov_b32 s11, 0
	s_mov_b32 s1, 0
	s_and_saveexec_b32 s0, s45
	s_cbranch_execnz .LBB87_1282
.LBB87_1268:
	s_or_b32 exec_lo, exec_lo, s0
	s_mov_b32 s12, 0
	s_mov_b32 s10, 0
                                        ; implicit-def: $sgpr0
                                        ; implicit-def: $vgpr6_vgpr7
                                        ; implicit-def: $vgpr0
	s_and_saveexec_b32 s8, s19
	s_cbranch_execz .LBB87_1276
; %bb.1269:
	s_wait_loadcnt 0x0
	v_mov_b32_e32 v9, 0
	s_and_b32 s0, s35, 0xff
	s_delay_alu instid0(SALU_CYCLE_1) | instskip(NEXT) | instid1(VALU_DEP_1)
	s_cmp_lt_i32 s0, 11
	v_add_nc_u64_e32 v[6:7], s[4:5], v[8:9]
	s_cbranch_scc1 .LBB87_1279
; %bb.1270:
	s_and_b32 s4, 0xffff, s0
	s_delay_alu instid0(SALU_CYCLE_1)
	s_cmp_gt_i32 s4, 25
	s_cbranch_scc0 .LBB87_1280
; %bb.1271:
	s_cmp_gt_i32 s4, 28
	s_cbranch_scc0 .LBB87_1281
; %bb.1272:
	;; [unrolled: 3-line block ×4, first 2 shown]
	s_cmp_eq_u32 s4, 46
	s_cbranch_scc0 .LBB87_1285
; %bb.1275:
	global_load_b32 v0, v[6:7], off
	s_mov_b32 s5, 0
	s_mov_b32 s10, -1
	s_wait_loadcnt 0x0
	v_lshlrev_b32_e32 v0, 16, v0
	s_delay_alu instid0(VALU_DEP_1)
	v_cvt_i32_f32_e32 v0, v0
	s_branch .LBB87_1287
.LBB87_1276:
	s_or_b32 exec_lo, exec_lo, s8
	s_and_saveexec_b32 s4, s44
	s_cbranch_execnz .LBB87_1346
.LBB87_1277:
	s_or_b32 exec_lo, exec_lo, s4
	s_and_saveexec_b32 s4, s11
	s_delay_alu instid0(SALU_CYCLE_1)
	s_xor_b32 s4, exec_lo, s4
	s_cbranch_execz .LBB87_1347
.LBB87_1278:
	s_wait_loadcnt 0x0
	global_load_u8 v0, v[6:7], off
	s_or_b32 s10, s10, exec_lo
	s_wait_loadcnt 0x0
	v_cmp_ne_u16_e32 vcc_lo, 0, v0
	v_cndmask_b32_e64 v0, 0, 1, vcc_lo
	s_wait_xcnt 0x0
	s_or_b32 exec_lo, exec_lo, s4
	s_and_saveexec_b32 s4, s12
	s_cbranch_execz .LBB87_1393
	s_branch .LBB87_1348
.LBB87_1279:
	s_mov_b32 s4, -1
	s_mov_b32 s5, s44
                                        ; implicit-def: $vgpr0
	s_branch .LBB87_1345
.LBB87_1280:
	s_mov_b32 s5, s44
                                        ; implicit-def: $vgpr0
	s_cbranch_execnz .LBB87_1314
	s_branch .LBB87_1344
.LBB87_1281:
	s_mov_b32 s12, -1
	s_mov_b32 s5, s44
                                        ; implicit-def: $vgpr0
	s_branch .LBB87_1297
.LBB87_1282:
	s_mov_b32 s1, exec_lo
	s_and_not1_b32 s19, s19, exec_lo
	s_trap 2
	s_branch .LBB87_1268
.LBB87_1283:
	s_mov_b32 s12, -1
	s_mov_b32 s5, s44
                                        ; implicit-def: $vgpr0
	s_branch .LBB87_1292
.LBB87_1284:
	s_mov_b32 s12, -1
	s_mov_b32 s5, s44
	s_branch .LBB87_1286
.LBB87_1285:
	s_mov_b32 s5, -1
.LBB87_1286:
                                        ; implicit-def: $vgpr0
.LBB87_1287:
	s_and_b32 vcc_lo, exec_lo, s12
	s_cbranch_vccz .LBB87_1291
; %bb.1288:
	s_cmp_eq_u32 s4, 44
	s_cbranch_scc0 .LBB87_1290
; %bb.1289:
	global_load_u8 v0, v[6:7], off
	s_mov_b32 s5, 0
	s_mov_b32 s10, -1
	s_wait_loadcnt 0x0
	v_lshlrev_b32_e32 v1, 23, v0
	v_cmp_ne_u32_e32 vcc_lo, 0, v0
	s_delay_alu instid0(VALU_DEP_2) | instskip(NEXT) | instid1(VALU_DEP_1)
	v_cvt_i32_f32_e32 v1, v1
	v_cndmask_b32_e32 v0, 0, v1, vcc_lo
	s_branch .LBB87_1291
.LBB87_1290:
	s_mov_b32 s5, -1
                                        ; implicit-def: $vgpr0
.LBB87_1291:
	s_mov_b32 s12, 0
.LBB87_1292:
	s_delay_alu instid0(SALU_CYCLE_1)
	s_and_b32 vcc_lo, exec_lo, s12
	s_cbranch_vccz .LBB87_1296
; %bb.1293:
	s_cmp_eq_u32 s4, 29
	s_cbranch_scc0 .LBB87_1295
; %bb.1294:
	global_load_b64 v[0:1], v[6:7], off
	s_mov_b32 s5, 0
	s_mov_b32 s10, -1
	s_branch .LBB87_1296
.LBB87_1295:
	s_mov_b32 s5, -1
                                        ; implicit-def: $vgpr0
.LBB87_1296:
	s_mov_b32 s12, 0
.LBB87_1297:
	s_delay_alu instid0(SALU_CYCLE_1)
	s_and_b32 vcc_lo, exec_lo, s12
	s_cbranch_vccz .LBB87_1313
; %bb.1298:
	s_cmp_lt_i32 s4, 27
	s_cbranch_scc1 .LBB87_1301
; %bb.1299:
	s_cmp_gt_i32 s4, 27
	s_cbranch_scc0 .LBB87_1302
; %bb.1300:
	s_wait_loadcnt 0x0
	global_load_b32 v0, v[6:7], off
	s_mov_b32 s10, 0
	s_branch .LBB87_1303
.LBB87_1301:
	s_mov_b32 s10, -1
                                        ; implicit-def: $vgpr0
	s_branch .LBB87_1306
.LBB87_1302:
	s_mov_b32 s10, -1
                                        ; implicit-def: $vgpr0
.LBB87_1303:
	s_delay_alu instid0(SALU_CYCLE_1)
	s_and_not1_b32 vcc_lo, exec_lo, s10
	s_cbranch_vccnz .LBB87_1305
; %bb.1304:
	s_wait_loadcnt 0x0
	global_load_u16 v0, v[6:7], off
.LBB87_1305:
	s_mov_b32 s10, 0
.LBB87_1306:
	s_delay_alu instid0(SALU_CYCLE_1)
	s_and_not1_b32 vcc_lo, exec_lo, s10
	s_cbranch_vccnz .LBB87_1312
; %bb.1307:
	s_wait_loadcnt 0x0
	global_load_u8 v1, v[6:7], off
	s_mov_b32 s12, 0
	s_mov_b32 s10, exec_lo
	s_wait_loadcnt 0x0
	v_cmpx_lt_i16_e32 0x7f, v1
	s_xor_b32 s10, exec_lo, s10
	s_cbranch_execz .LBB87_1323
; %bb.1308:
	v_cmp_ne_u16_e32 vcc_lo, 0x80, v1
	s_and_b32 s12, vcc_lo, exec_lo
	s_and_not1_saveexec_b32 s10, s10
	s_cbranch_execnz .LBB87_1324
.LBB87_1309:
	s_or_b32 exec_lo, exec_lo, s10
	v_mov_b32_e32 v0, 0
	s_and_saveexec_b32 s10, s12
	s_cbranch_execz .LBB87_1311
.LBB87_1310:
	v_and_b32_e32 v0, 0xffff, v1
	s_delay_alu instid0(VALU_DEP_1) | instskip(SKIP_1) | instid1(VALU_DEP_2)
	v_and_b32_e32 v3, 7, v0
	v_bfe_u32 v9, v0, 3, 4
	v_clz_i32_u32_e32 v5, v3
	s_delay_alu instid0(VALU_DEP_2) | instskip(NEXT) | instid1(VALU_DEP_2)
	v_cmp_eq_u32_e32 vcc_lo, 0, v9
	v_min_u32_e32 v5, 32, v5
	s_delay_alu instid0(VALU_DEP_1) | instskip(NEXT) | instid1(VALU_DEP_1)
	v_subrev_nc_u32_e32 v8, 28, v5
	v_dual_lshlrev_b32 v0, v8, v0 :: v_dual_sub_nc_u32 v5, 29, v5
	s_delay_alu instid0(VALU_DEP_1) | instskip(NEXT) | instid1(VALU_DEP_1)
	v_dual_lshlrev_b32 v1, 24, v1 :: v_dual_bitop2_b32 v0, 7, v0 bitop3:0x40
	v_dual_cndmask_b32 v0, v3, v0 :: v_dual_cndmask_b32 v5, v9, v5
	s_delay_alu instid0(VALU_DEP_2) | instskip(NEXT) | instid1(VALU_DEP_2)
	v_and_b32_e32 v1, 0x80000000, v1
	v_lshlrev_b32_e32 v0, 20, v0
	s_delay_alu instid0(VALU_DEP_3) | instskip(NEXT) | instid1(VALU_DEP_1)
	v_lshl_add_u32 v3, v5, 23, 0x3b800000
	v_or3_b32 v0, v1, v3, v0
	s_delay_alu instid0(VALU_DEP_1)
	v_cvt_i32_f32_e32 v0, v0
.LBB87_1311:
	s_or_b32 exec_lo, exec_lo, s10
.LBB87_1312:
	s_mov_b32 s10, -1
.LBB87_1313:
	s_branch .LBB87_1344
.LBB87_1314:
	s_cmp_gt_i32 s4, 22
	s_cbranch_scc0 .LBB87_1322
; %bb.1315:
	s_cmp_lt_i32 s4, 24
	s_cbranch_scc1 .LBB87_1325
; %bb.1316:
	s_cmp_gt_i32 s4, 24
	s_cbranch_scc0 .LBB87_1326
; %bb.1317:
	s_wait_loadcnt 0x0
	global_load_u8 v1, v[6:7], off
	s_mov_b32 s10, exec_lo
	s_wait_loadcnt 0x0
	v_cmpx_lt_i16_e32 0x7f, v1
	s_xor_b32 s10, exec_lo, s10
	s_cbranch_execz .LBB87_1338
; %bb.1318:
	v_cmp_ne_u16_e32 vcc_lo, 0x80, v1
	s_and_b32 s11, vcc_lo, exec_lo
	s_and_not1_saveexec_b32 s10, s10
	s_cbranch_execnz .LBB87_1339
.LBB87_1319:
	s_or_b32 exec_lo, exec_lo, s10
	v_mov_b32_e32 v0, 0
	s_and_saveexec_b32 s10, s11
	s_cbranch_execz .LBB87_1321
.LBB87_1320:
	v_and_b32_e32 v0, 0xffff, v1
	s_delay_alu instid0(VALU_DEP_1) | instskip(SKIP_1) | instid1(VALU_DEP_2)
	v_and_b32_e32 v3, 3, v0
	v_bfe_u32 v9, v0, 2, 5
	v_clz_i32_u32_e32 v5, v3
	s_delay_alu instid0(VALU_DEP_2) | instskip(NEXT) | instid1(VALU_DEP_2)
	v_cmp_eq_u32_e32 vcc_lo, 0, v9
	v_min_u32_e32 v5, 32, v5
	s_delay_alu instid0(VALU_DEP_1) | instskip(NEXT) | instid1(VALU_DEP_1)
	v_subrev_nc_u32_e32 v8, 29, v5
	v_dual_lshlrev_b32 v0, v8, v0 :: v_dual_sub_nc_u32 v5, 30, v5
	s_delay_alu instid0(VALU_DEP_1) | instskip(NEXT) | instid1(VALU_DEP_1)
	v_dual_lshlrev_b32 v1, 24, v1 :: v_dual_bitop2_b32 v0, 3, v0 bitop3:0x40
	v_dual_cndmask_b32 v0, v3, v0 :: v_dual_cndmask_b32 v5, v9, v5
	s_delay_alu instid0(VALU_DEP_2) | instskip(NEXT) | instid1(VALU_DEP_2)
	v_and_b32_e32 v1, 0x80000000, v1
	v_lshlrev_b32_e32 v0, 21, v0
	s_delay_alu instid0(VALU_DEP_3) | instskip(NEXT) | instid1(VALU_DEP_1)
	v_lshl_add_u32 v3, v5, 23, 0x37800000
	v_or3_b32 v0, v1, v3, v0
	s_delay_alu instid0(VALU_DEP_1)
	v_cvt_i32_f32_e32 v0, v0
.LBB87_1321:
	s_or_b32 exec_lo, exec_lo, s10
	s_mov_b32 s10, 0
	s_branch .LBB87_1327
.LBB87_1322:
	s_mov_b32 s11, -1
                                        ; implicit-def: $vgpr0
	s_branch .LBB87_1333
.LBB87_1323:
	s_and_not1_saveexec_b32 s10, s10
	s_cbranch_execz .LBB87_1309
.LBB87_1324:
	v_cmp_ne_u16_e32 vcc_lo, 0, v1
	s_and_not1_b32 s12, s12, exec_lo
	s_and_b32 s13, vcc_lo, exec_lo
	s_delay_alu instid0(SALU_CYCLE_1)
	s_or_b32 s12, s12, s13
	s_or_b32 exec_lo, exec_lo, s10
	v_mov_b32_e32 v0, 0
	s_and_saveexec_b32 s10, s12
	s_cbranch_execnz .LBB87_1310
	s_branch .LBB87_1311
.LBB87_1325:
	s_mov_b32 s10, -1
                                        ; implicit-def: $vgpr0
	s_branch .LBB87_1330
.LBB87_1326:
	s_mov_b32 s10, -1
                                        ; implicit-def: $vgpr0
.LBB87_1327:
	s_delay_alu instid0(SALU_CYCLE_1)
	s_and_b32 vcc_lo, exec_lo, s10
	s_cbranch_vccz .LBB87_1329
; %bb.1328:
	s_wait_loadcnt 0x0
	global_load_u8 v0, v[6:7], off
	s_wait_loadcnt 0x0
	v_lshlrev_b32_e32 v0, 24, v0
	s_delay_alu instid0(VALU_DEP_1) | instskip(NEXT) | instid1(VALU_DEP_1)
	v_and_b32_e32 v1, 0x7f000000, v0
	v_clz_i32_u32_e32 v3, v1
	v_cmp_ne_u32_e32 vcc_lo, 0, v1
	v_add_nc_u32_e32 v8, 0x1000000, v1
	s_delay_alu instid0(VALU_DEP_3) | instskip(NEXT) | instid1(VALU_DEP_1)
	v_min_u32_e32 v3, 32, v3
	v_sub_nc_u32_e64 v3, v3, 4 clamp
	s_delay_alu instid0(VALU_DEP_1) | instskip(NEXT) | instid1(VALU_DEP_1)
	v_dual_lshlrev_b32 v5, v3, v1 :: v_dual_lshlrev_b32 v3, 23, v3
	v_lshrrev_b32_e32 v5, 4, v5
	s_delay_alu instid0(VALU_DEP_1) | instskip(NEXT) | instid1(VALU_DEP_1)
	v_dual_sub_nc_u32 v3, v5, v3 :: v_dual_ashrrev_i32 v5, 8, v8
	v_add_nc_u32_e32 v3, 0x3c000000, v3
	s_delay_alu instid0(VALU_DEP_1) | instskip(NEXT) | instid1(VALU_DEP_1)
	v_and_or_b32 v3, 0x7f800000, v5, v3
	v_cndmask_b32_e32 v1, 0, v3, vcc_lo
	s_delay_alu instid0(VALU_DEP_1) | instskip(NEXT) | instid1(VALU_DEP_1)
	v_and_or_b32 v0, 0x80000000, v0, v1
	v_cvt_i32_f32_e32 v0, v0
.LBB87_1329:
	s_mov_b32 s10, 0
.LBB87_1330:
	s_delay_alu instid0(SALU_CYCLE_1)
	s_and_not1_b32 vcc_lo, exec_lo, s10
	s_cbranch_vccnz .LBB87_1332
; %bb.1331:
	s_wait_loadcnt 0x0
	global_load_u8 v0, v[6:7], off
	s_wait_loadcnt 0x0
	v_lshlrev_b32_e32 v1, 25, v0
	v_lshlrev_b16 v0, 8, v0
	s_delay_alu instid0(VALU_DEP_1) | instskip(SKIP_1) | instid1(VALU_DEP_2)
	v_and_or_b32 v5, 0x7f00, v0, 0.5
	v_bfe_i32 v0, v0, 0, 16
	v_add_f32_e32 v5, -0.5, v5
	v_lshrrev_b32_e32 v3, 4, v1
	v_cmp_gt_u32_e32 vcc_lo, 0x8000000, v1
	s_delay_alu instid0(VALU_DEP_2) | instskip(NEXT) | instid1(VALU_DEP_1)
	v_or_b32_e32 v3, 0x70000000, v3
	v_mul_f32_e32 v3, 0x7800000, v3
	s_delay_alu instid0(VALU_DEP_1) | instskip(NEXT) | instid1(VALU_DEP_1)
	v_cndmask_b32_e32 v1, v3, v5, vcc_lo
	v_and_or_b32 v0, 0x80000000, v0, v1
	s_delay_alu instid0(VALU_DEP_1)
	v_cvt_i32_f32_e32 v0, v0
.LBB87_1332:
	s_mov_b32 s11, 0
	s_mov_b32 s10, -1
.LBB87_1333:
	s_and_not1_b32 vcc_lo, exec_lo, s11
	s_mov_b32 s11, 0
	s_cbranch_vccnz .LBB87_1344
; %bb.1334:
	s_cmp_gt_i32 s4, 14
	s_cbranch_scc0 .LBB87_1337
; %bb.1335:
	s_cmp_eq_u32 s4, 15
	s_cbranch_scc0 .LBB87_1340
; %bb.1336:
	s_wait_loadcnt 0x0
	global_load_u16 v0, v[6:7], off
	s_mov_b32 s5, 0
	s_mov_b32 s10, -1
	s_wait_loadcnt 0x0
	v_lshlrev_b32_e32 v0, 16, v0
	s_delay_alu instid0(VALU_DEP_1)
	v_cvt_i32_f32_e32 v0, v0
	s_branch .LBB87_1342
.LBB87_1337:
	s_mov_b32 s11, -1
	s_branch .LBB87_1341
.LBB87_1338:
	s_and_not1_saveexec_b32 s10, s10
	s_cbranch_execz .LBB87_1319
.LBB87_1339:
	v_cmp_ne_u16_e32 vcc_lo, 0, v1
	s_and_not1_b32 s11, s11, exec_lo
	s_and_b32 s12, vcc_lo, exec_lo
	s_delay_alu instid0(SALU_CYCLE_1)
	s_or_b32 s11, s11, s12
	s_or_b32 exec_lo, exec_lo, s10
	v_mov_b32_e32 v0, 0
	s_and_saveexec_b32 s10, s11
	s_cbranch_execnz .LBB87_1320
	s_branch .LBB87_1321
.LBB87_1340:
	s_mov_b32 s5, -1
.LBB87_1341:
                                        ; implicit-def: $vgpr0
.LBB87_1342:
	s_and_b32 vcc_lo, exec_lo, s11
	s_mov_b32 s11, 0
	s_cbranch_vccz .LBB87_1344
; %bb.1343:
	s_cmp_lg_u32 s4, 11
	s_mov_b32 s11, -1
	s_cselect_b32 s4, -1, 0
	s_and_not1_b32 s5, s5, exec_lo
	s_and_b32 s4, s4, exec_lo
	s_delay_alu instid0(SALU_CYCLE_1)
	s_or_b32 s5, s5, s4
.LBB87_1344:
	s_mov_b32 s4, 0
.LBB87_1345:
	s_delay_alu instid0(SALU_CYCLE_1)
	s_and_b32 s12, s4, exec_lo
	s_and_not1_b32 s4, s44, exec_lo
	s_and_b32 s5, s5, exec_lo
	s_and_b32 s10, s10, exec_lo
	;; [unrolled: 1-line block ×3, first 2 shown]
	s_or_b32 s44, s4, s5
	s_wait_xcnt 0x0
	s_or_b32 exec_lo, exec_lo, s8
	s_and_saveexec_b32 s4, s44
	s_cbranch_execz .LBB87_1277
.LBB87_1346:
	s_or_b32 s1, s1, exec_lo
	s_and_not1_b32 s11, s11, exec_lo
	s_trap 2
	s_or_b32 exec_lo, exec_lo, s4
	s_and_saveexec_b32 s4, s11
	s_delay_alu instid0(SALU_CYCLE_1)
	s_xor_b32 s4, exec_lo, s4
	s_cbranch_execnz .LBB87_1278
.LBB87_1347:
	s_or_b32 exec_lo, exec_lo, s4
	s_and_saveexec_b32 s4, s12
	s_cbranch_execz .LBB87_1393
.LBB87_1348:
	s_sext_i32_i16 s5, s0
	s_delay_alu instid0(SALU_CYCLE_1)
	s_cmp_lt_i32 s5, 5
	s_cbranch_scc1 .LBB87_1353
; %bb.1349:
	s_cmp_lt_i32 s5, 8
	s_cbranch_scc1 .LBB87_1354
; %bb.1350:
	;; [unrolled: 3-line block ×3, first 2 shown]
	s_cmp_gt_i32 s5, 9
	s_cbranch_scc0 .LBB87_1356
; %bb.1352:
	s_wait_loadcnt 0x0
	global_load_b64 v[0:1], v[6:7], off
	s_mov_b32 s5, 0
	s_wait_loadcnt 0x0
	v_cvt_i32_f64_e32 v0, v[0:1]
	s_branch .LBB87_1357
.LBB87_1353:
                                        ; implicit-def: $vgpr0
	s_branch .LBB87_1374
.LBB87_1354:
                                        ; implicit-def: $vgpr0
	s_branch .LBB87_1363
.LBB87_1355:
	s_mov_b32 s5, -1
                                        ; implicit-def: $vgpr0
	s_branch .LBB87_1360
.LBB87_1356:
	s_mov_b32 s5, -1
                                        ; implicit-def: $vgpr0
.LBB87_1357:
	s_delay_alu instid0(SALU_CYCLE_1)
	s_and_not1_b32 vcc_lo, exec_lo, s5
	s_cbranch_vccnz .LBB87_1359
; %bb.1358:
	s_wait_loadcnt 0x0
	global_load_b32 v0, v[6:7], off
	s_wait_loadcnt 0x0
	v_cvt_i32_f32_e32 v0, v0
.LBB87_1359:
	s_mov_b32 s5, 0
.LBB87_1360:
	s_delay_alu instid0(SALU_CYCLE_1)
	s_and_not1_b32 vcc_lo, exec_lo, s5
	s_cbranch_vccnz .LBB87_1362
; %bb.1361:
	s_wait_loadcnt 0x0
	global_load_b32 v0, v[6:7], off
	s_wait_loadcnt 0x0
	v_cvt_i16_f16_e32 v0, v0
.LBB87_1362:
	s_cbranch_execnz .LBB87_1373
.LBB87_1363:
	s_sext_i32_i16 s5, s0
	s_delay_alu instid0(SALU_CYCLE_1)
	s_cmp_lt_i32 s5, 6
	s_cbranch_scc1 .LBB87_1366
; %bb.1364:
	s_cmp_gt_i32 s5, 6
	s_cbranch_scc0 .LBB87_1367
; %bb.1365:
	s_wait_loadcnt 0x0
	global_load_b64 v[0:1], v[6:7], off
	s_mov_b32 s5, 0
	s_wait_loadcnt 0x0
	v_cvt_i32_f64_e32 v0, v[0:1]
	s_branch .LBB87_1368
.LBB87_1366:
	s_mov_b32 s5, -1
                                        ; implicit-def: $vgpr0
	s_branch .LBB87_1371
.LBB87_1367:
	s_mov_b32 s5, -1
                                        ; implicit-def: $vgpr0
.LBB87_1368:
	s_delay_alu instid0(SALU_CYCLE_1)
	s_and_not1_b32 vcc_lo, exec_lo, s5
	s_cbranch_vccnz .LBB87_1370
; %bb.1369:
	s_wait_loadcnt 0x0
	global_load_b32 v0, v[6:7], off
	s_wait_loadcnt 0x0
	v_cvt_i32_f32_e32 v0, v0
.LBB87_1370:
	s_mov_b32 s5, 0
.LBB87_1371:
	s_delay_alu instid0(SALU_CYCLE_1)
	s_and_not1_b32 vcc_lo, exec_lo, s5
	s_cbranch_vccnz .LBB87_1373
; %bb.1372:
	s_wait_loadcnt 0x0
	global_load_u16 v0, v[6:7], off
	s_wait_loadcnt 0x0
	v_cvt_i16_f16_e32 v0, v0
.LBB87_1373:
	s_cbranch_execnz .LBB87_1392
.LBB87_1374:
	s_sext_i32_i16 s5, s0
	s_delay_alu instid0(SALU_CYCLE_1)
	s_cmp_lt_i32 s5, 2
	s_cbranch_scc1 .LBB87_1378
; %bb.1375:
	s_cmp_lt_i32 s5, 3
	s_cbranch_scc1 .LBB87_1379
; %bb.1376:
	s_cmp_gt_i32 s5, 3
	s_cbranch_scc0 .LBB87_1380
; %bb.1377:
	s_wait_loadcnt 0x0
	global_load_b64 v[0:1], v[6:7], off
	s_mov_b32 s5, 0
	s_branch .LBB87_1381
.LBB87_1378:
                                        ; implicit-def: $vgpr0
	s_branch .LBB87_1387
.LBB87_1379:
	s_mov_b32 s5, -1
                                        ; implicit-def: $vgpr0
	s_branch .LBB87_1384
.LBB87_1380:
	s_mov_b32 s5, -1
                                        ; implicit-def: $vgpr0
.LBB87_1381:
	s_delay_alu instid0(SALU_CYCLE_1)
	s_and_not1_b32 vcc_lo, exec_lo, s5
	s_cbranch_vccnz .LBB87_1383
; %bb.1382:
	s_wait_loadcnt 0x0
	global_load_b32 v0, v[6:7], off
.LBB87_1383:
	s_mov_b32 s5, 0
.LBB87_1384:
	s_delay_alu instid0(SALU_CYCLE_1)
	s_and_not1_b32 vcc_lo, exec_lo, s5
	s_cbranch_vccnz .LBB87_1386
; %bb.1385:
	s_wait_loadcnt 0x0
	global_load_u16 v0, v[6:7], off
.LBB87_1386:
	s_cbranch_execnz .LBB87_1392
.LBB87_1387:
	s_sext_i32_i16 s0, s0
	s_delay_alu instid0(SALU_CYCLE_1)
	s_cmp_gt_i32 s0, 0
	s_mov_b32 s0, 0
	s_cbranch_scc0 .LBB87_1389
; %bb.1388:
	s_wait_loadcnt 0x0
	global_load_i8 v0, v[6:7], off
	s_branch .LBB87_1390
.LBB87_1389:
	s_mov_b32 s0, -1
                                        ; implicit-def: $vgpr0
.LBB87_1390:
	s_delay_alu instid0(SALU_CYCLE_1)
	s_and_not1_b32 vcc_lo, exec_lo, s0
	s_cbranch_vccnz .LBB87_1392
; %bb.1391:
	s_wait_loadcnt 0x0
	global_load_u8 v0, v[6:7], off
.LBB87_1392:
	s_or_b32 s10, s10, exec_lo
.LBB87_1393:
	s_wait_xcnt 0x0
	s_or_b32 exec_lo, exec_lo, s4
	s_mov_b32 s5, 0
	s_mov_b32 s4, 0
	;; [unrolled: 1-line block ×3, first 2 shown]
                                        ; implicit-def: $vgpr6_vgpr7
                                        ; implicit-def: $vgpr8
	s_and_saveexec_b32 s0, s10
	s_cbranch_execz .LBB87_1401
; %bb.1394:
	s_wait_loadcnt 0x0
	v_mov_b32_e32 v5, 0
	s_and_b32 s4, 0xffff, s9
	s_delay_alu instid0(SALU_CYCLE_1) | instskip(NEXT) | instid1(VALU_DEP_1)
	s_cmp_lt_i32 s4, 11
	v_add_nc_u64_e32 v[6:7], s[6:7], v[4:5]
	s_cbranch_scc1 .LBB87_1404
; %bb.1395:
	s_cmp_gt_i32 s4, 25
	s_mov_b32 s6, 0
	s_cbranch_scc0 .LBB87_1405
; %bb.1396:
	s_cmp_gt_i32 s4, 28
	s_cbranch_scc0 .LBB87_1406
; %bb.1397:
	s_cmp_gt_i32 s4, 43
	;; [unrolled: 3-line block ×3, first 2 shown]
	s_cbranch_scc0 .LBB87_1408
; %bb.1399:
	s_cmp_eq_u32 s4, 46
	s_cbranch_scc0 .LBB87_1409
; %bb.1400:
	global_load_b32 v1, v[6:7], off
	s_mov_b32 s7, -1
	s_wait_loadcnt 0x0
	v_lshlrev_b32_e32 v1, 16, v1
	s_delay_alu instid0(VALU_DEP_1)
	v_cvt_i32_f32_e32 v8, v1
	s_branch .LBB87_1411
.LBB87_1401:
	s_or_b32 exec_lo, exec_lo, s0
	s_and_saveexec_b32 s0, s43
	s_cbranch_execnz .LBB87_1470
.LBB87_1402:
	s_or_b32 exec_lo, exec_lo, s0
	s_and_saveexec_b32 s0, s5
	s_delay_alu instid0(SALU_CYCLE_1)
	s_xor_b32 s0, exec_lo, s0
	s_cbranch_execz .LBB87_1471
.LBB87_1403:
	s_wait_loadcnt 0x0
	global_load_u8 v1, v[6:7], off
	s_or_b32 s8, s8, exec_lo
	s_wait_loadcnt 0x0
	v_cmp_ne_u16_e32 vcc_lo, 0, v1
	v_cndmask_b32_e64 v8, 0, 1, vcc_lo
	s_wait_xcnt 0x0
	s_or_b32 exec_lo, exec_lo, s0
	s_and_saveexec_b32 s0, s4
	s_cbranch_execz .LBB87_1517
	s_branch .LBB87_1472
.LBB87_1404:
	s_mov_b32 s4, -1
	s_mov_b32 s7, 0
	s_mov_b32 s6, 0
	;; [unrolled: 1-line block ×3, first 2 shown]
                                        ; implicit-def: $vgpr8
	s_branch .LBB87_1469
.LBB87_1405:
	s_mov_b32 s7, 0
	s_mov_b32 s5, s43
                                        ; implicit-def: $vgpr8
	s_cbranch_execnz .LBB87_1438
	s_branch .LBB87_1468
.LBB87_1406:
	s_mov_b32 s8, -1
	s_mov_b32 s7, 0
	s_mov_b32 s5, s43
                                        ; implicit-def: $vgpr8
	s_branch .LBB87_1421
.LBB87_1407:
	s_mov_b32 s8, -1
	s_mov_b32 s7, 0
	s_mov_b32 s5, s43
                                        ; implicit-def: $vgpr8
	s_branch .LBB87_1416
.LBB87_1408:
	s_mov_b32 s8, -1
	s_mov_b32 s7, 0
	s_mov_b32 s5, s43
	s_branch .LBB87_1410
.LBB87_1409:
	s_mov_b32 s5, -1
	s_mov_b32 s7, 0
.LBB87_1410:
                                        ; implicit-def: $vgpr8
.LBB87_1411:
	s_and_b32 vcc_lo, exec_lo, s8
	s_cbranch_vccz .LBB87_1415
; %bb.1412:
	s_cmp_eq_u32 s4, 44
	s_cbranch_scc0 .LBB87_1414
; %bb.1413:
	global_load_u8 v1, v[6:7], off
	s_mov_b32 s5, 0
	s_mov_b32 s7, -1
	s_wait_loadcnt 0x0
	v_lshlrev_b32_e32 v3, 23, v1
	v_cmp_ne_u32_e32 vcc_lo, 0, v1
	s_delay_alu instid0(VALU_DEP_2) | instskip(NEXT) | instid1(VALU_DEP_1)
	v_cvt_i32_f32_e32 v3, v3
	v_cndmask_b32_e32 v8, 0, v3, vcc_lo
	s_branch .LBB87_1415
.LBB87_1414:
	s_mov_b32 s5, -1
                                        ; implicit-def: $vgpr8
.LBB87_1415:
	s_mov_b32 s8, 0
.LBB87_1416:
	s_delay_alu instid0(SALU_CYCLE_1)
	s_and_b32 vcc_lo, exec_lo, s8
	s_cbranch_vccz .LBB87_1420
; %bb.1417:
	s_cmp_eq_u32 s4, 29
	s_cbranch_scc0 .LBB87_1419
; %bb.1418:
	global_load_b64 v[8:9], v[6:7], off
	s_mov_b32 s5, 0
	s_mov_b32 s7, -1
	s_branch .LBB87_1420
.LBB87_1419:
	s_mov_b32 s5, -1
                                        ; implicit-def: $vgpr8
.LBB87_1420:
	s_mov_b32 s8, 0
.LBB87_1421:
	s_delay_alu instid0(SALU_CYCLE_1)
	s_and_b32 vcc_lo, exec_lo, s8
	s_cbranch_vccz .LBB87_1437
; %bb.1422:
	s_cmp_lt_i32 s4, 27
	s_cbranch_scc1 .LBB87_1425
; %bb.1423:
	s_cmp_gt_i32 s4, 27
	s_cbranch_scc0 .LBB87_1426
; %bb.1424:
	s_wait_loadcnt 0x0
	global_load_b32 v8, v[6:7], off
	s_mov_b32 s7, 0
	s_branch .LBB87_1427
.LBB87_1425:
	s_mov_b32 s7, -1
                                        ; implicit-def: $vgpr8
	s_branch .LBB87_1430
.LBB87_1426:
	s_mov_b32 s7, -1
                                        ; implicit-def: $vgpr8
.LBB87_1427:
	s_delay_alu instid0(SALU_CYCLE_1)
	s_and_not1_b32 vcc_lo, exec_lo, s7
	s_cbranch_vccnz .LBB87_1429
; %bb.1428:
	s_wait_loadcnt 0x0
	global_load_u16 v8, v[6:7], off
.LBB87_1429:
	s_mov_b32 s7, 0
.LBB87_1430:
	s_delay_alu instid0(SALU_CYCLE_1)
	s_and_not1_b32 vcc_lo, exec_lo, s7
	s_cbranch_vccnz .LBB87_1436
; %bb.1431:
	global_load_u8 v1, v[6:7], off
	s_mov_b32 s8, 0
	s_mov_b32 s7, exec_lo
	s_wait_loadcnt 0x0
	v_cmpx_lt_i16_e32 0x7f, v1
	s_xor_b32 s7, exec_lo, s7
	s_cbranch_execz .LBB87_1447
; %bb.1432:
	v_cmp_ne_u16_e32 vcc_lo, 0x80, v1
	s_and_b32 s8, vcc_lo, exec_lo
	s_and_not1_saveexec_b32 s7, s7
	s_cbranch_execnz .LBB87_1448
.LBB87_1433:
	s_or_b32 exec_lo, exec_lo, s7
	v_mov_b32_e32 v8, 0
	s_and_saveexec_b32 s7, s8
	s_cbranch_execz .LBB87_1435
.LBB87_1434:
	v_and_b32_e32 v3, 0xffff, v1
	s_delay_alu instid0(VALU_DEP_1) | instskip(SKIP_1) | instid1(VALU_DEP_2)
	v_and_b32_e32 v4, 7, v3
	v_bfe_u32 v9, v3, 3, 4
	v_clz_i32_u32_e32 v5, v4
	s_delay_alu instid0(VALU_DEP_2) | instskip(NEXT) | instid1(VALU_DEP_2)
	v_cmp_eq_u32_e32 vcc_lo, 0, v9
	v_min_u32_e32 v5, 32, v5
	s_delay_alu instid0(VALU_DEP_1) | instskip(NEXT) | instid1(VALU_DEP_1)
	v_subrev_nc_u32_e32 v8, 28, v5
	v_dual_lshlrev_b32 v3, v8, v3 :: v_dual_sub_nc_u32 v5, 29, v5
	s_delay_alu instid0(VALU_DEP_1) | instskip(NEXT) | instid1(VALU_DEP_1)
	v_dual_lshlrev_b32 v1, 24, v1 :: v_dual_bitop2_b32 v3, 7, v3 bitop3:0x40
	v_dual_cndmask_b32 v3, v4, v3, vcc_lo :: v_dual_cndmask_b32 v5, v9, v5, vcc_lo
	s_delay_alu instid0(VALU_DEP_2) | instskip(NEXT) | instid1(VALU_DEP_2)
	v_and_b32_e32 v1, 0x80000000, v1
	v_lshlrev_b32_e32 v3, 20, v3
	s_delay_alu instid0(VALU_DEP_3) | instskip(NEXT) | instid1(VALU_DEP_1)
	v_lshl_add_u32 v4, v5, 23, 0x3b800000
	v_or3_b32 v1, v1, v4, v3
	s_delay_alu instid0(VALU_DEP_1)
	v_cvt_i32_f32_e32 v8, v1
.LBB87_1435:
	s_or_b32 exec_lo, exec_lo, s7
.LBB87_1436:
	s_mov_b32 s7, -1
.LBB87_1437:
	s_branch .LBB87_1468
.LBB87_1438:
	s_cmp_gt_i32 s4, 22
	s_cbranch_scc0 .LBB87_1446
; %bb.1439:
	s_cmp_lt_i32 s4, 24
	s_cbranch_scc1 .LBB87_1449
; %bb.1440:
	s_cmp_gt_i32 s4, 24
	s_cbranch_scc0 .LBB87_1450
; %bb.1441:
	global_load_u8 v1, v[6:7], off
	s_mov_b32 s7, 0
	s_mov_b32 s6, exec_lo
	s_wait_loadcnt 0x0
	v_cmpx_lt_i16_e32 0x7f, v1
	s_xor_b32 s6, exec_lo, s6
	s_cbranch_execz .LBB87_1462
; %bb.1442:
	v_cmp_ne_u16_e32 vcc_lo, 0x80, v1
	s_and_b32 s7, vcc_lo, exec_lo
	s_and_not1_saveexec_b32 s6, s6
	s_cbranch_execnz .LBB87_1463
.LBB87_1443:
	s_or_b32 exec_lo, exec_lo, s6
	v_mov_b32_e32 v8, 0
	s_and_saveexec_b32 s6, s7
	s_cbranch_execz .LBB87_1445
.LBB87_1444:
	v_and_b32_e32 v3, 0xffff, v1
	s_delay_alu instid0(VALU_DEP_1) | instskip(SKIP_1) | instid1(VALU_DEP_2)
	v_and_b32_e32 v4, 3, v3
	v_bfe_u32 v9, v3, 2, 5
	v_clz_i32_u32_e32 v5, v4
	s_delay_alu instid0(VALU_DEP_2) | instskip(NEXT) | instid1(VALU_DEP_2)
	v_cmp_eq_u32_e32 vcc_lo, 0, v9
	v_min_u32_e32 v5, 32, v5
	s_delay_alu instid0(VALU_DEP_1) | instskip(NEXT) | instid1(VALU_DEP_1)
	v_subrev_nc_u32_e32 v8, 29, v5
	v_dual_lshlrev_b32 v3, v8, v3 :: v_dual_sub_nc_u32 v5, 30, v5
	s_delay_alu instid0(VALU_DEP_1) | instskip(NEXT) | instid1(VALU_DEP_1)
	v_dual_lshlrev_b32 v1, 24, v1 :: v_dual_bitop2_b32 v3, 3, v3 bitop3:0x40
	v_dual_cndmask_b32 v3, v4, v3, vcc_lo :: v_dual_cndmask_b32 v5, v9, v5, vcc_lo
	s_delay_alu instid0(VALU_DEP_2) | instskip(NEXT) | instid1(VALU_DEP_2)
	v_and_b32_e32 v1, 0x80000000, v1
	v_lshlrev_b32_e32 v3, 21, v3
	s_delay_alu instid0(VALU_DEP_3) | instskip(NEXT) | instid1(VALU_DEP_1)
	v_lshl_add_u32 v4, v5, 23, 0x37800000
	v_or3_b32 v1, v1, v4, v3
	s_delay_alu instid0(VALU_DEP_1)
	v_cvt_i32_f32_e32 v8, v1
.LBB87_1445:
	s_or_b32 exec_lo, exec_lo, s6
	s_mov_b32 s6, 0
	s_branch .LBB87_1451
.LBB87_1446:
	s_mov_b32 s6, -1
                                        ; implicit-def: $vgpr8
	s_branch .LBB87_1457
.LBB87_1447:
	s_and_not1_saveexec_b32 s7, s7
	s_cbranch_execz .LBB87_1433
.LBB87_1448:
	v_cmp_ne_u16_e32 vcc_lo, 0, v1
	s_and_not1_b32 s8, s8, exec_lo
	s_and_b32 s10, vcc_lo, exec_lo
	s_delay_alu instid0(SALU_CYCLE_1)
	s_or_b32 s8, s8, s10
	s_or_b32 exec_lo, exec_lo, s7
	v_mov_b32_e32 v8, 0
	s_and_saveexec_b32 s7, s8
	s_cbranch_execnz .LBB87_1434
	s_branch .LBB87_1435
.LBB87_1449:
	s_mov_b32 s6, -1
                                        ; implicit-def: $vgpr8
	s_branch .LBB87_1454
.LBB87_1450:
	s_mov_b32 s6, -1
                                        ; implicit-def: $vgpr8
.LBB87_1451:
	s_delay_alu instid0(SALU_CYCLE_1)
	s_and_b32 vcc_lo, exec_lo, s6
	s_cbranch_vccz .LBB87_1453
; %bb.1452:
	global_load_u8 v1, v[6:7], off
	s_wait_loadcnt 0x0
	v_lshlrev_b32_e32 v1, 24, v1
	s_delay_alu instid0(VALU_DEP_1) | instskip(NEXT) | instid1(VALU_DEP_1)
	v_and_b32_e32 v3, 0x7f000000, v1
	v_clz_i32_u32_e32 v4, v3
	v_cmp_ne_u32_e32 vcc_lo, 0, v3
	v_add_nc_u32_e32 v8, 0x1000000, v3
	s_delay_alu instid0(VALU_DEP_3) | instskip(NEXT) | instid1(VALU_DEP_1)
	v_min_u32_e32 v4, 32, v4
	v_sub_nc_u32_e64 v4, v4, 4 clamp
	s_delay_alu instid0(VALU_DEP_1) | instskip(NEXT) | instid1(VALU_DEP_1)
	v_dual_lshlrev_b32 v5, v4, v3 :: v_dual_lshlrev_b32 v4, 23, v4
	v_lshrrev_b32_e32 v5, 4, v5
	s_delay_alu instid0(VALU_DEP_1) | instskip(SKIP_1) | instid1(VALU_DEP_2)
	v_sub_nc_u32_e32 v4, v5, v4
	v_ashrrev_i32_e32 v5, 8, v8
	v_add_nc_u32_e32 v4, 0x3c000000, v4
	s_delay_alu instid0(VALU_DEP_1) | instskip(NEXT) | instid1(VALU_DEP_1)
	v_and_or_b32 v4, 0x7f800000, v5, v4
	v_cndmask_b32_e32 v3, 0, v4, vcc_lo
	s_delay_alu instid0(VALU_DEP_1) | instskip(NEXT) | instid1(VALU_DEP_1)
	v_and_or_b32 v1, 0x80000000, v1, v3
	v_cvt_i32_f32_e32 v8, v1
.LBB87_1453:
	s_mov_b32 s6, 0
.LBB87_1454:
	s_delay_alu instid0(SALU_CYCLE_1)
	s_and_not1_b32 vcc_lo, exec_lo, s6
	s_cbranch_vccnz .LBB87_1456
; %bb.1455:
	global_load_u8 v1, v[6:7], off
	s_wait_loadcnt 0x0
	v_lshlrev_b32_e32 v3, 25, v1
	v_lshlrev_b16 v1, 8, v1
	s_delay_alu instid0(VALU_DEP_1) | instskip(NEXT) | instid1(VALU_DEP_3)
	v_and_or_b32 v5, 0x7f00, v1, 0.5
	v_lshrrev_b32_e32 v4, 4, v3
	v_bfe_i32 v1, v1, 0, 16
	s_delay_alu instid0(VALU_DEP_3) | instskip(NEXT) | instid1(VALU_DEP_3)
	v_add_f32_e32 v5, -0.5, v5
	v_or_b32_e32 v4, 0x70000000, v4
	s_delay_alu instid0(VALU_DEP_1) | instskip(SKIP_1) | instid1(VALU_DEP_2)
	v_mul_f32_e32 v4, 0x7800000, v4
	v_cmp_gt_u32_e32 vcc_lo, 0x8000000, v3
	v_cndmask_b32_e32 v3, v4, v5, vcc_lo
	s_delay_alu instid0(VALU_DEP_1) | instskip(NEXT) | instid1(VALU_DEP_1)
	v_and_or_b32 v1, 0x80000000, v1, v3
	v_cvt_i32_f32_e32 v8, v1
.LBB87_1456:
	s_mov_b32 s6, 0
	s_mov_b32 s7, -1
.LBB87_1457:
	s_and_not1_b32 vcc_lo, exec_lo, s6
	s_mov_b32 s6, 0
	s_cbranch_vccnz .LBB87_1468
; %bb.1458:
	s_cmp_gt_i32 s4, 14
	s_cbranch_scc0 .LBB87_1461
; %bb.1459:
	s_cmp_eq_u32 s4, 15
	s_cbranch_scc0 .LBB87_1464
; %bb.1460:
	global_load_u16 v1, v[6:7], off
	s_mov_b32 s5, 0
	s_mov_b32 s7, -1
	s_wait_loadcnt 0x0
	v_lshlrev_b32_e32 v1, 16, v1
	s_delay_alu instid0(VALU_DEP_1)
	v_cvt_i32_f32_e32 v8, v1
	s_branch .LBB87_1466
.LBB87_1461:
	s_mov_b32 s6, -1
	s_branch .LBB87_1465
.LBB87_1462:
	s_and_not1_saveexec_b32 s6, s6
	s_cbranch_execz .LBB87_1443
.LBB87_1463:
	v_cmp_ne_u16_e32 vcc_lo, 0, v1
	s_and_not1_b32 s7, s7, exec_lo
	s_and_b32 s8, vcc_lo, exec_lo
	s_delay_alu instid0(SALU_CYCLE_1)
	s_or_b32 s7, s7, s8
	s_or_b32 exec_lo, exec_lo, s6
	v_mov_b32_e32 v8, 0
	s_and_saveexec_b32 s6, s7
	s_cbranch_execnz .LBB87_1444
	s_branch .LBB87_1445
.LBB87_1464:
	s_mov_b32 s5, -1
.LBB87_1465:
                                        ; implicit-def: $vgpr8
.LBB87_1466:
	s_and_b32 vcc_lo, exec_lo, s6
	s_mov_b32 s6, 0
	s_cbranch_vccz .LBB87_1468
; %bb.1467:
	s_cmp_lg_u32 s4, 11
	s_mov_b32 s6, -1
	s_cselect_b32 s4, -1, 0
	s_and_not1_b32 s5, s5, exec_lo
	s_and_b32 s4, s4, exec_lo
	s_delay_alu instid0(SALU_CYCLE_1)
	s_or_b32 s5, s5, s4
.LBB87_1468:
	s_mov_b32 s4, 0
.LBB87_1469:
	s_and_b32 s8, s7, exec_lo
	s_and_not1_b32 s7, s43, exec_lo
	s_and_b32 s10, s5, exec_lo
	s_and_b32 s4, s4, exec_lo
	;; [unrolled: 1-line block ×3, first 2 shown]
	s_or_b32 s43, s7, s10
	s_wait_xcnt 0x0
	s_or_b32 exec_lo, exec_lo, s0
	s_and_saveexec_b32 s0, s43
	s_cbranch_execz .LBB87_1402
.LBB87_1470:
	s_or_b32 s1, s1, exec_lo
	s_and_not1_b32 s5, s5, exec_lo
	s_trap 2
	s_or_b32 exec_lo, exec_lo, s0
	s_and_saveexec_b32 s0, s5
	s_delay_alu instid0(SALU_CYCLE_1)
	s_xor_b32 s0, exec_lo, s0
	s_cbranch_execnz .LBB87_1403
.LBB87_1471:
	s_or_b32 exec_lo, exec_lo, s0
	s_and_saveexec_b32 s0, s4
	s_cbranch_execz .LBB87_1517
.LBB87_1472:
	s_sext_i32_i16 s4, s9
	s_delay_alu instid0(SALU_CYCLE_1)
	s_cmp_lt_i32 s4, 5
	s_cbranch_scc1 .LBB87_1477
; %bb.1473:
	s_cmp_lt_i32 s4, 8
	s_cbranch_scc1 .LBB87_1478
; %bb.1474:
	;; [unrolled: 3-line block ×3, first 2 shown]
	s_cmp_gt_i32 s4, 9
	s_cbranch_scc0 .LBB87_1480
; %bb.1476:
	s_wait_loadcnt 0x0
	global_load_b64 v[4:5], v[6:7], off
	s_mov_b32 s4, 0
	s_wait_loadcnt 0x0
	v_cvt_i32_f64_e32 v8, v[4:5]
	s_branch .LBB87_1481
.LBB87_1477:
                                        ; implicit-def: $vgpr8
	s_branch .LBB87_1498
.LBB87_1478:
                                        ; implicit-def: $vgpr8
	s_branch .LBB87_1487
.LBB87_1479:
	s_mov_b32 s4, -1
                                        ; implicit-def: $vgpr8
	s_branch .LBB87_1484
.LBB87_1480:
	s_mov_b32 s4, -1
                                        ; implicit-def: $vgpr8
.LBB87_1481:
	s_delay_alu instid0(SALU_CYCLE_1)
	s_and_not1_b32 vcc_lo, exec_lo, s4
	s_cbranch_vccnz .LBB87_1483
; %bb.1482:
	s_wait_loadcnt 0x0
	global_load_b32 v1, v[6:7], off
	s_wait_loadcnt 0x0
	v_cvt_i32_f32_e32 v8, v1
.LBB87_1483:
	s_mov_b32 s4, 0
.LBB87_1484:
	s_delay_alu instid0(SALU_CYCLE_1)
	s_and_not1_b32 vcc_lo, exec_lo, s4
	s_cbranch_vccnz .LBB87_1486
; %bb.1485:
	s_wait_loadcnt 0x0
	global_load_b32 v1, v[6:7], off
	s_wait_loadcnt 0x0
	v_cvt_i16_f16_e32 v8, v1
.LBB87_1486:
	s_cbranch_execnz .LBB87_1497
.LBB87_1487:
	s_sext_i32_i16 s4, s9
	s_delay_alu instid0(SALU_CYCLE_1)
	s_cmp_lt_i32 s4, 6
	s_cbranch_scc1 .LBB87_1490
; %bb.1488:
	s_cmp_gt_i32 s4, 6
	s_cbranch_scc0 .LBB87_1491
; %bb.1489:
	s_wait_loadcnt 0x0
	global_load_b64 v[4:5], v[6:7], off
	s_mov_b32 s4, 0
	s_wait_loadcnt 0x0
	v_cvt_i32_f64_e32 v8, v[4:5]
	s_branch .LBB87_1492
.LBB87_1490:
	s_mov_b32 s4, -1
                                        ; implicit-def: $vgpr8
	s_branch .LBB87_1495
.LBB87_1491:
	s_mov_b32 s4, -1
                                        ; implicit-def: $vgpr8
.LBB87_1492:
	s_delay_alu instid0(SALU_CYCLE_1)
	s_and_not1_b32 vcc_lo, exec_lo, s4
	s_cbranch_vccnz .LBB87_1494
; %bb.1493:
	s_wait_loadcnt 0x0
	global_load_b32 v1, v[6:7], off
	s_wait_loadcnt 0x0
	v_cvt_i32_f32_e32 v8, v1
.LBB87_1494:
	s_mov_b32 s4, 0
.LBB87_1495:
	s_delay_alu instid0(SALU_CYCLE_1)
	s_and_not1_b32 vcc_lo, exec_lo, s4
	s_cbranch_vccnz .LBB87_1497
; %bb.1496:
	s_wait_loadcnt 0x0
	global_load_u16 v1, v[6:7], off
	s_wait_loadcnt 0x0
	v_cvt_i16_f16_e32 v8, v1
.LBB87_1497:
	s_cbranch_execnz .LBB87_1516
.LBB87_1498:
	s_sext_i32_i16 s4, s9
	s_delay_alu instid0(SALU_CYCLE_1)
	s_cmp_lt_i32 s4, 2
	s_cbranch_scc1 .LBB87_1502
; %bb.1499:
	s_cmp_lt_i32 s4, 3
	s_cbranch_scc1 .LBB87_1503
; %bb.1500:
	s_cmp_gt_i32 s4, 3
	s_cbranch_scc0 .LBB87_1504
; %bb.1501:
	s_wait_loadcnt 0x0
	global_load_b64 v[8:9], v[6:7], off
	s_mov_b32 s4, 0
	s_branch .LBB87_1505
.LBB87_1502:
                                        ; implicit-def: $vgpr8
	s_branch .LBB87_1511
.LBB87_1503:
	s_mov_b32 s4, -1
                                        ; implicit-def: $vgpr8
	s_branch .LBB87_1508
.LBB87_1504:
	s_mov_b32 s4, -1
                                        ; implicit-def: $vgpr8
.LBB87_1505:
	s_delay_alu instid0(SALU_CYCLE_1)
	s_and_not1_b32 vcc_lo, exec_lo, s4
	s_cbranch_vccnz .LBB87_1507
; %bb.1506:
	s_wait_loadcnt 0x0
	global_load_b32 v8, v[6:7], off
.LBB87_1507:
	s_mov_b32 s4, 0
.LBB87_1508:
	s_delay_alu instid0(SALU_CYCLE_1)
	s_and_not1_b32 vcc_lo, exec_lo, s4
	s_cbranch_vccnz .LBB87_1510
; %bb.1509:
	s_wait_loadcnt 0x0
	global_load_u16 v8, v[6:7], off
.LBB87_1510:
	s_cbranch_execnz .LBB87_1516
.LBB87_1511:
	s_sext_i32_i16 s4, s9
	s_delay_alu instid0(SALU_CYCLE_1)
	s_cmp_gt_i32 s4, 0
	s_mov_b32 s4, 0
	s_cbranch_scc0 .LBB87_1513
; %bb.1512:
	s_wait_loadcnt 0x0
	global_load_i8 v8, v[6:7], off
	s_branch .LBB87_1514
.LBB87_1513:
	s_mov_b32 s4, -1
                                        ; implicit-def: $vgpr8
.LBB87_1514:
	s_delay_alu instid0(SALU_CYCLE_1)
	s_and_not1_b32 vcc_lo, exec_lo, s4
	s_cbranch_vccnz .LBB87_1516
; %bb.1515:
	s_wait_loadcnt 0x0
	global_load_u8 v8, v[6:7], off
.LBB87_1516:
	s_or_b32 s8, s8, exec_lo
.LBB87_1517:
	s_wait_xcnt 0x0
	s_or_b32 exec_lo, exec_lo, s0
	s_mov_b32 s0, 0
	s_mov_b32 s6, 0
                                        ; implicit-def: $sgpr4
                                        ; implicit-def: $vgpr4_vgpr5
                                        ; implicit-def: $vgpr3
	s_and_saveexec_b32 s5, s8
	s_cbranch_execz .LBB87_1525
; %bb.1518:
	v_mov_b32_e32 v3, 0
	s_wait_loadcnt 0x0
	v_mul_lo_u16 v0, v0, s33
	s_and_b32 s4, s34, 0xff
	s_delay_alu instid0(SALU_CYCLE_1) | instskip(SKIP_1) | instid1(VALU_DEP_2)
	s_cmp_lt_i32 s4, 11
	v_add_nc_u64_e32 v[4:5], s[16:17], v[2:3]
	v_mul_lo_u16 v3, v0, v8
	s_cbranch_scc1 .LBB87_1528
; %bb.1519:
	s_and_b32 s6, 0xffff, s4
	s_mov_b32 s7, -1
	s_cmp_gt_i32 s6, 25
	s_mov_b32 s0, s42
	s_cbranch_scc0 .LBB87_1556
; %bb.1520:
	s_cmp_gt_i32 s6, 28
	s_mov_b32 s0, s42
	s_cbranch_scc0 .LBB87_1540
; %bb.1521:
	;; [unrolled: 4-line block ×4, first 2 shown]
	s_cmp_eq_u32 s6, 46
	s_mov_b32 s0, -1
	s_cbranch_scc0 .LBB87_1529
; %bb.1524:
	v_bfe_i32 v0, v3, 0, 16
	s_mov_b32 s0, 0
	s_mov_b32 s7, 0
	s_delay_alu instid0(VALU_DEP_1) | instskip(NEXT) | instid1(VALU_DEP_1)
	v_cvt_f32_i32_e32 v0, v0
	v_bfe_u32 v1, v0, 16, 1
	s_delay_alu instid0(VALU_DEP_1) | instskip(NEXT) | instid1(VALU_DEP_1)
	v_add3_u32 v0, v0, v1, 0x7fff
	v_lshrrev_b32_e32 v0, 16, v0
	global_store_b32 v[4:5], v0, off
	s_branch .LBB87_1530
.LBB87_1525:
	s_or_b32 exec_lo, exec_lo, s5
	s_and_saveexec_b32 s5, s42
	s_cbranch_execnz .LBB87_1598
.LBB87_1526:
	s_or_b32 exec_lo, exec_lo, s5
	s_and_saveexec_b32 s5, s0
	s_delay_alu instid0(SALU_CYCLE_1)
	s_xor_b32 s0, exec_lo, s5
	s_cbranch_execz .LBB87_1599
.LBB87_1527:
	v_cmp_ne_u16_e32 vcc_lo, 0, v3
	s_wait_loadcnt 0x0
	v_cndmask_b32_e64 v0, 0, 1, vcc_lo
	global_store_b8 v[4:5], v0, off
	s_wait_xcnt 0x0
	s_or_b32 exec_lo, exec_lo, s0
	s_and_saveexec_b32 s0, s6
	s_delay_alu instid0(SALU_CYCLE_1)
	s_xor_b32 s0, exec_lo, s0
	s_cbranch_execz .LBB87_1637
	s_branch .LBB87_1600
.LBB87_1528:
	s_mov_b32 s8, 0
	s_mov_b32 s7, -1
	s_mov_b32 s0, s42
	s_branch .LBB87_1597
.LBB87_1529:
	s_mov_b32 s7, 0
.LBB87_1530:
	s_delay_alu instid0(SALU_CYCLE_1)
	s_and_b32 vcc_lo, exec_lo, s7
	s_cbranch_vccz .LBB87_1535
; %bb.1531:
	s_cmp_eq_u32 s6, 44
	s_mov_b32 s0, -1
	s_cbranch_scc0 .LBB87_1535
; %bb.1532:
	s_wait_xcnt 0x0
	v_bfe_i32 v0, v3, 0, 16
	v_mov_b32_e32 v1, 0xff
	s_mov_b32 s7, exec_lo
	s_delay_alu instid0(VALU_DEP_2) | instskip(NEXT) | instid1(VALU_DEP_1)
	v_cvt_f32_i32_e32 v0, v0
	v_bfe_u32 v2, v0, 23, 8
	s_delay_alu instid0(VALU_DEP_1)
	v_cmpx_ne_u32_e32 0xff, v2
	s_cbranch_execz .LBB87_1534
; %bb.1533:
	v_and_b32_e32 v1, 0x400000, v0
	v_and_or_b32 v2, 0x3fffff, v0, v2
	v_lshrrev_b32_e32 v0, 23, v0
	s_delay_alu instid0(VALU_DEP_3) | instskip(NEXT) | instid1(VALU_DEP_3)
	v_cmp_ne_u32_e32 vcc_lo, 0, v1
	v_cmp_ne_u32_e64 s0, 0, v2
	s_and_b32 s0, vcc_lo, s0
	s_delay_alu instid0(SALU_CYCLE_1) | instskip(NEXT) | instid1(VALU_DEP_1)
	v_cndmask_b32_e64 v1, 0, 1, s0
	v_add_nc_u32_e32 v1, v0, v1
.LBB87_1534:
	s_or_b32 exec_lo, exec_lo, s7
	s_mov_b32 s0, 0
	global_store_b8 v[4:5], v1, off
.LBB87_1535:
	s_mov_b32 s7, 0
.LBB87_1536:
	s_delay_alu instid0(SALU_CYCLE_1)
	s_and_b32 vcc_lo, exec_lo, s7
	s_cbranch_vccz .LBB87_1539
; %bb.1537:
	s_cmp_eq_u32 s6, 29
	s_mov_b32 s0, -1
	s_cbranch_scc0 .LBB87_1539
; %bb.1538:
	s_wait_xcnt 0x0
	v_bfe_i32 v0, v3, 0, 16
	s_mov_b32 s0, 0
	s_mov_b32 s7, 0
	s_delay_alu instid0(VALU_DEP_1)
	v_ashrrev_i32_e32 v1, 31, v0
	global_store_b64 v[4:5], v[0:1], off
	s_branch .LBB87_1540
.LBB87_1539:
	s_mov_b32 s7, 0
.LBB87_1540:
	s_delay_alu instid0(SALU_CYCLE_1)
	s_and_b32 vcc_lo, exec_lo, s7
	s_cbranch_vccz .LBB87_1555
; %bb.1541:
	s_cmp_lt_i32 s6, 27
	s_mov_b32 s7, -1
	s_cbranch_scc1 .LBB87_1547
; %bb.1542:
	s_cmp_gt_i32 s6, 27
	s_cbranch_scc0 .LBB87_1544
; %bb.1543:
	s_wait_xcnt 0x0
	v_bfe_i32 v0, v3, 0, 16
	s_mov_b32 s7, 0
	global_store_b32 v[4:5], v0, off
.LBB87_1544:
	s_and_not1_b32 vcc_lo, exec_lo, s7
	s_cbranch_vccnz .LBB87_1546
; %bb.1545:
	global_store_b16 v[4:5], v3, off
.LBB87_1546:
	s_mov_b32 s7, 0
.LBB87_1547:
	s_delay_alu instid0(SALU_CYCLE_1)
	s_and_not1_b32 vcc_lo, exec_lo, s7
	s_cbranch_vccnz .LBB87_1555
; %bb.1548:
	s_wait_xcnt 0x0
	v_bfe_i32 v0, v3, 0, 16
	v_mov_b32_e32 v2, 0x80
	s_mov_b32 s7, exec_lo
	s_delay_alu instid0(VALU_DEP_2) | instskip(NEXT) | instid1(VALU_DEP_1)
	v_cvt_f32_i32_e32 v0, v0
	v_and_b32_e32 v1, 0x7fffffff, v0
	s_delay_alu instid0(VALU_DEP_1)
	v_cmpx_gt_u32_e32 0x43800000, v1
	s_cbranch_execz .LBB87_1554
; %bb.1549:
	v_cmp_lt_u32_e32 vcc_lo, 0x3bffffff, v1
	s_mov_b32 s8, 0
                                        ; implicit-def: $vgpr1
	s_and_saveexec_b32 s9, vcc_lo
	s_delay_alu instid0(SALU_CYCLE_1)
	s_xor_b32 s9, exec_lo, s9
	s_cbranch_execz .LBB87_1713
; %bb.1550:
	v_bfe_u32 v1, v0, 20, 1
	s_mov_b32 s8, exec_lo
	s_delay_alu instid0(VALU_DEP_1) | instskip(NEXT) | instid1(VALU_DEP_1)
	v_add3_u32 v1, v0, v1, 0x487ffff
	v_lshrrev_b32_e32 v1, 20, v1
	s_and_not1_saveexec_b32 s9, s9
	s_cbranch_execnz .LBB87_1714
.LBB87_1551:
	s_or_b32 exec_lo, exec_lo, s9
	v_mov_b32_e32 v2, 0
	s_and_saveexec_b32 s9, s8
.LBB87_1552:
	v_lshrrev_b32_e32 v0, 24, v0
	s_delay_alu instid0(VALU_DEP_1)
	v_and_or_b32 v2, 0x80, v0, v1
.LBB87_1553:
	s_or_b32 exec_lo, exec_lo, s9
.LBB87_1554:
	s_delay_alu instid0(SALU_CYCLE_1)
	s_or_b32 exec_lo, exec_lo, s7
	global_store_b8 v[4:5], v2, off
.LBB87_1555:
	s_mov_b32 s7, 0
.LBB87_1556:
	s_delay_alu instid0(SALU_CYCLE_1)
	s_and_b32 vcc_lo, exec_lo, s7
	s_mov_b32 s7, 0
	s_cbranch_vccz .LBB87_1596
; %bb.1557:
	s_cmp_gt_i32 s6, 22
	s_mov_b32 s8, -1
	s_cbranch_scc0 .LBB87_1589
; %bb.1558:
	s_cmp_lt_i32 s6, 24
	s_cbranch_scc1 .LBB87_1578
; %bb.1559:
	s_cmp_gt_i32 s6, 24
	s_cbranch_scc0 .LBB87_1567
; %bb.1560:
	s_wait_xcnt 0x0
	v_bfe_i32 v0, v3, 0, 16
	v_mov_b32_e32 v2, 0x80
	s_mov_b32 s8, exec_lo
	s_delay_alu instid0(VALU_DEP_2) | instskip(NEXT) | instid1(VALU_DEP_1)
	v_cvt_f32_i32_e32 v0, v0
	v_and_b32_e32 v1, 0x7fffffff, v0
	s_delay_alu instid0(VALU_DEP_1)
	v_cmpx_gt_u32_e32 0x47800000, v1
	s_cbranch_execz .LBB87_1566
; %bb.1561:
	v_cmp_lt_u32_e32 vcc_lo, 0x37ffffff, v1
	s_mov_b32 s9, 0
                                        ; implicit-def: $vgpr1
	s_and_saveexec_b32 s10, vcc_lo
	s_delay_alu instid0(SALU_CYCLE_1)
	s_xor_b32 s10, exec_lo, s10
	s_cbranch_execz .LBB87_1716
; %bb.1562:
	v_bfe_u32 v1, v0, 21, 1
	s_mov_b32 s9, exec_lo
	s_delay_alu instid0(VALU_DEP_1) | instskip(NEXT) | instid1(VALU_DEP_1)
	v_add3_u32 v1, v0, v1, 0x88fffff
	v_lshrrev_b32_e32 v1, 21, v1
	s_and_not1_saveexec_b32 s10, s10
	s_cbranch_execnz .LBB87_1717
.LBB87_1563:
	s_or_b32 exec_lo, exec_lo, s10
	v_mov_b32_e32 v2, 0
	s_and_saveexec_b32 s10, s9
.LBB87_1564:
	v_lshrrev_b32_e32 v0, 24, v0
	s_delay_alu instid0(VALU_DEP_1)
	v_and_or_b32 v2, 0x80, v0, v1
.LBB87_1565:
	s_or_b32 exec_lo, exec_lo, s10
.LBB87_1566:
	s_delay_alu instid0(SALU_CYCLE_1)
	s_or_b32 exec_lo, exec_lo, s8
	s_mov_b32 s8, 0
	global_store_b8 v[4:5], v2, off
.LBB87_1567:
	s_and_b32 vcc_lo, exec_lo, s8
	s_cbranch_vccz .LBB87_1577
; %bb.1568:
	s_wait_xcnt 0x0
	v_bfe_i32 v0, v3, 0, 16
	s_mov_b32 s8, exec_lo
                                        ; implicit-def: $vgpr1
	s_delay_alu instid0(VALU_DEP_1) | instskip(NEXT) | instid1(VALU_DEP_1)
	v_cvt_f32_i32_e32 v0, v0
	v_and_b32_e32 v2, 0x7fffffff, v0
	s_delay_alu instid0(VALU_DEP_1)
	v_cmpx_gt_u32_e32 0x43f00000, v2
	s_xor_b32 s8, exec_lo, s8
	s_cbranch_execz .LBB87_1574
; %bb.1569:
	s_mov_b32 s9, exec_lo
                                        ; implicit-def: $vgpr1
	v_cmpx_lt_u32_e32 0x3c7fffff, v2
	s_xor_b32 s9, exec_lo, s9
; %bb.1570:
	v_bfe_u32 v1, v0, 20, 1
	s_delay_alu instid0(VALU_DEP_1) | instskip(NEXT) | instid1(VALU_DEP_1)
	v_add3_u32 v1, v0, v1, 0x407ffff
	v_and_b32_e32 v2, 0xff00000, v1
	v_lshrrev_b32_e32 v1, 20, v1
	s_delay_alu instid0(VALU_DEP_2) | instskip(NEXT) | instid1(VALU_DEP_2)
	v_cmp_ne_u32_e32 vcc_lo, 0x7f00000, v2
	v_cndmask_b32_e32 v1, 0x7e, v1, vcc_lo
; %bb.1571:
	s_and_not1_saveexec_b32 s9, s9
; %bb.1572:
	v_add_f32_e64 v1, 0x46800000, |v0|
; %bb.1573:
	s_or_b32 exec_lo, exec_lo, s9
                                        ; implicit-def: $vgpr2
.LBB87_1574:
	s_and_not1_saveexec_b32 s8, s8
; %bb.1575:
	v_mov_b32_e32 v1, 0x7f
	v_cmp_lt_u32_e32 vcc_lo, 0x7f800000, v2
	s_delay_alu instid0(VALU_DEP_2)
	v_cndmask_b32_e32 v1, 0x7e, v1, vcc_lo
; %bb.1576:
	s_or_b32 exec_lo, exec_lo, s8
	v_lshrrev_b32_e32 v0, 24, v0
	s_delay_alu instid0(VALU_DEP_1)
	v_and_or_b32 v0, 0x80, v0, v1
	global_store_b8 v[4:5], v0, off
.LBB87_1577:
	s_mov_b32 s8, 0
.LBB87_1578:
	s_delay_alu instid0(SALU_CYCLE_1)
	s_and_not1_b32 vcc_lo, exec_lo, s8
	s_cbranch_vccnz .LBB87_1588
; %bb.1579:
	s_wait_xcnt 0x0
	v_bfe_i32 v0, v3, 0, 16
	s_mov_b32 s8, exec_lo
                                        ; implicit-def: $vgpr1
	s_delay_alu instid0(VALU_DEP_1) | instskip(NEXT) | instid1(VALU_DEP_1)
	v_cvt_f32_i32_e32 v0, v0
	v_and_b32_e32 v2, 0x7fffffff, v0
	s_delay_alu instid0(VALU_DEP_1)
	v_cmpx_gt_u32_e32 0x47800000, v2
	s_xor_b32 s8, exec_lo, s8
	s_cbranch_execz .LBB87_1585
; %bb.1580:
	s_mov_b32 s9, exec_lo
                                        ; implicit-def: $vgpr1
	v_cmpx_lt_u32_e32 0x387fffff, v2
	s_xor_b32 s9, exec_lo, s9
; %bb.1581:
	v_bfe_u32 v1, v0, 21, 1
	s_delay_alu instid0(VALU_DEP_1) | instskip(NEXT) | instid1(VALU_DEP_1)
	v_add3_u32 v1, v0, v1, 0x80fffff
	v_lshrrev_b32_e32 v1, 21, v1
; %bb.1582:
	s_and_not1_saveexec_b32 s9, s9
; %bb.1583:
	v_add_f32_e64 v1, 0x43000000, |v0|
; %bb.1584:
	s_or_b32 exec_lo, exec_lo, s9
                                        ; implicit-def: $vgpr2
.LBB87_1585:
	s_and_not1_saveexec_b32 s8, s8
; %bb.1586:
	v_mov_b32_e32 v1, 0x7f
	v_cmp_lt_u32_e32 vcc_lo, 0x7f800000, v2
	s_delay_alu instid0(VALU_DEP_2)
	v_cndmask_b32_e32 v1, 0x7c, v1, vcc_lo
; %bb.1587:
	s_or_b32 exec_lo, exec_lo, s8
	v_lshrrev_b32_e32 v0, 24, v0
	s_delay_alu instid0(VALU_DEP_1)
	v_and_or_b32 v0, 0x80, v0, v1
	global_store_b8 v[4:5], v0, off
.LBB87_1588:
	s_mov_b32 s8, 0
.LBB87_1589:
	s_delay_alu instid0(SALU_CYCLE_1)
	s_and_not1_b32 vcc_lo, exec_lo, s8
	s_mov_b32 s8, 0
	s_cbranch_vccnz .LBB87_1597
; %bb.1590:
	s_cmp_gt_i32 s6, 14
	s_mov_b32 s8, -1
	s_cbranch_scc0 .LBB87_1594
; %bb.1591:
	s_cmp_eq_u32 s6, 15
	s_mov_b32 s0, -1
	s_cbranch_scc0 .LBB87_1593
; %bb.1592:
	s_wait_xcnt 0x0
	v_bfe_i32 v0, v3, 0, 16
	s_mov_b32 s0, 0
	s_delay_alu instid0(VALU_DEP_1) | instskip(NEXT) | instid1(VALU_DEP_1)
	v_cvt_f32_i32_e32 v0, v0
	v_bfe_u32 v1, v0, 16, 1
	s_delay_alu instid0(VALU_DEP_1)
	v_add3_u32 v0, v0, v1, 0x7fff
	global_store_d16_hi_b16 v[4:5], v0, off
.LBB87_1593:
	s_mov_b32 s8, 0
.LBB87_1594:
	s_delay_alu instid0(SALU_CYCLE_1)
	s_and_b32 vcc_lo, exec_lo, s8
	s_mov_b32 s8, 0
	s_cbranch_vccz .LBB87_1597
; %bb.1595:
	s_cmp_lg_u32 s6, 11
	s_mov_b32 s8, -1
	s_cselect_b32 s6, -1, 0
	s_and_not1_b32 s0, s0, exec_lo
	s_and_b32 s6, s6, exec_lo
	s_delay_alu instid0(SALU_CYCLE_1)
	s_or_b32 s0, s0, s6
	s_branch .LBB87_1597
.LBB87_1596:
	s_mov_b32 s8, 0
.LBB87_1597:
	s_and_b32 s6, s7, exec_lo
	s_and_not1_b32 s7, s42, exec_lo
	s_and_b32 s9, s0, exec_lo
	s_and_b32 s0, s8, exec_lo
	s_or_b32 s42, s7, s9
	s_wait_xcnt 0x0
	s_or_b32 exec_lo, exec_lo, s5
	s_and_saveexec_b32 s5, s42
	s_cbranch_execz .LBB87_1526
.LBB87_1598:
	s_or_b32 s1, s1, exec_lo
	s_and_not1_b32 s0, s0, exec_lo
	s_trap 2
	s_or_b32 exec_lo, exec_lo, s5
	s_and_saveexec_b32 s5, s0
	s_delay_alu instid0(SALU_CYCLE_1)
	s_xor_b32 s0, exec_lo, s5
	s_cbranch_execnz .LBB87_1527
.LBB87_1599:
	s_or_b32 exec_lo, exec_lo, s0
	s_and_saveexec_b32 s0, s6
	s_delay_alu instid0(SALU_CYCLE_1)
	s_xor_b32 s0, exec_lo, s0
	s_cbranch_execz .LBB87_1637
.LBB87_1600:
	s_sext_i32_i16 s6, s4
	s_mov_b32 s5, -1
	s_cmp_lt_i32 s6, 5
	s_cbranch_scc1 .LBB87_1621
; %bb.1601:
	s_cmp_lt_i32 s6, 8
	s_cbranch_scc1 .LBB87_1611
; %bb.1602:
	s_cmp_lt_i32 s6, 9
	s_cbranch_scc1 .LBB87_1608
; %bb.1603:
	s_cmp_gt_i32 s6, 9
	s_cbranch_scc0 .LBB87_1605
; %bb.1604:
	s_wait_loadcnt 0x0
	v_bfe_i32 v0, v3, 0, 16
	v_mov_b32_e32 v8, 0
	s_mov_b32 s5, 0
	s_delay_alu instid0(VALU_DEP_2) | instskip(NEXT) | instid1(VALU_DEP_2)
	v_cvt_f64_i32_e32 v[6:7], v0
	v_mov_b32_e32 v9, v8
	global_store_b128 v[4:5], v[6:9], off
.LBB87_1605:
	s_and_not1_b32 vcc_lo, exec_lo, s5
	s_cbranch_vccnz .LBB87_1607
; %bb.1606:
	s_wait_loadcnt 0x0
	v_bfe_i32 v0, v3, 0, 16
	v_mov_b32_e32 v1, 0
	s_delay_alu instid0(VALU_DEP_2)
	v_cvt_f32_i32_e32 v0, v0
	global_store_b64 v[4:5], v[0:1], off
.LBB87_1607:
	s_mov_b32 s5, 0
.LBB87_1608:
	s_delay_alu instid0(SALU_CYCLE_1)
	s_and_not1_b32 vcc_lo, exec_lo, s5
	s_cbranch_vccnz .LBB87_1610
; %bb.1609:
	s_wait_loadcnt 0x0
	v_cvt_f16_i16_e32 v0, v3
	s_delay_alu instid0(VALU_DEP_1)
	v_and_b32_e32 v0, 0xffff, v0
	global_store_b32 v[4:5], v0, off
.LBB87_1610:
	s_mov_b32 s5, 0
.LBB87_1611:
	s_delay_alu instid0(SALU_CYCLE_1)
	s_and_not1_b32 vcc_lo, exec_lo, s5
	s_cbranch_vccnz .LBB87_1620
; %bb.1612:
	s_sext_i32_i16 s6, s4
	s_mov_b32 s5, -1
	s_cmp_lt_i32 s6, 6
	s_cbranch_scc1 .LBB87_1618
; %bb.1613:
	s_cmp_gt_i32 s6, 6
	s_cbranch_scc0 .LBB87_1615
; %bb.1614:
	s_wait_loadcnt 0x0
	v_bfe_i32 v0, v3, 0, 16
	s_mov_b32 s5, 0
	s_delay_alu instid0(VALU_DEP_1)
	v_cvt_f64_i32_e32 v[0:1], v0
	global_store_b64 v[4:5], v[0:1], off
.LBB87_1615:
	s_and_not1_b32 vcc_lo, exec_lo, s5
	s_cbranch_vccnz .LBB87_1617
; %bb.1616:
	s_wait_loadcnt 0x0
	v_bfe_i32 v0, v3, 0, 16
	s_delay_alu instid0(VALU_DEP_1)
	v_cvt_f32_i32_e32 v0, v0
	global_store_b32 v[4:5], v0, off
.LBB87_1617:
	s_mov_b32 s5, 0
.LBB87_1618:
	s_delay_alu instid0(SALU_CYCLE_1)
	s_and_not1_b32 vcc_lo, exec_lo, s5
	s_cbranch_vccnz .LBB87_1620
; %bb.1619:
	s_wait_loadcnt 0x0
	v_cvt_f16_i16_e32 v0, v3
	global_store_b16 v[4:5], v0, off
.LBB87_1620:
	s_mov_b32 s5, 0
.LBB87_1621:
	s_delay_alu instid0(SALU_CYCLE_1)
	s_and_not1_b32 vcc_lo, exec_lo, s5
	s_cbranch_vccnz .LBB87_1637
; %bb.1622:
	s_sext_i32_i16 s6, s4
	s_mov_b32 s5, -1
	s_cmp_lt_i32 s6, 2
	s_cbranch_scc1 .LBB87_1632
; %bb.1623:
	s_cmp_lt_i32 s6, 3
	s_cbranch_scc1 .LBB87_1629
; %bb.1624:
	s_wait_loadcnt 0x0
	v_bfe_i32 v0, v3, 0, 16
	s_cmp_gt_i32 s6, 3
	s_cbranch_scc0 .LBB87_1626
; %bb.1625:
	s_delay_alu instid0(VALU_DEP_1)
	v_ashrrev_i32_e32 v1, 31, v0
	s_mov_b32 s5, 0
	global_store_b64 v[4:5], v[0:1], off
.LBB87_1626:
	s_and_not1_b32 vcc_lo, exec_lo, s5
	s_cbranch_vccnz .LBB87_1628
; %bb.1627:
	global_store_b32 v[4:5], v0, off
.LBB87_1628:
	s_mov_b32 s5, 0
.LBB87_1629:
	s_delay_alu instid0(SALU_CYCLE_1)
	s_and_not1_b32 vcc_lo, exec_lo, s5
	s_cbranch_vccnz .LBB87_1631
; %bb.1630:
	s_wait_loadcnt 0x0
	global_store_b16 v[4:5], v3, off
.LBB87_1631:
	s_mov_b32 s5, 0
.LBB87_1632:
	s_delay_alu instid0(SALU_CYCLE_1)
	s_and_not1_b32 vcc_lo, exec_lo, s5
	s_cbranch_vccnz .LBB87_1637
; %bb.1633:
	s_sext_i32_i16 s4, s4
	s_delay_alu instid0(SALU_CYCLE_1)
	s_cmp_gt_i32 s4, 0
	s_mov_b32 s4, -1
	s_cbranch_scc0 .LBB87_1635
; %bb.1634:
	s_mov_b32 s4, 0
	s_wait_loadcnt 0x0
	global_store_b8 v[4:5], v3, off
.LBB87_1635:
	s_and_not1_b32 vcc_lo, exec_lo, s4
	s_cbranch_vccnz .LBB87_1637
; %bb.1636:
	s_wait_loadcnt 0x0
	global_store_b8 v[4:5], v3, off
.LBB87_1637:
	s_wait_xcnt 0x0
	s_or_b32 exec_lo, exec_lo, s0
	s_delay_alu instid0(SALU_CYCLE_1)
	s_and_b32 s6, s1, exec_lo
                                        ; implicit-def: $vgpr1
                                        ; implicit-def: $vgpr0
.LBB87_1638:
	s_or_saveexec_b32 s7, s31
	s_mov_b32 s0, 0
                                        ; implicit-def: $vgpr2_vgpr3
                                        ; implicit-def: $sgpr1
                                        ; implicit-def: $vgpr4
	s_xor_b32 exec_lo, exec_lo, s7
	s_cbranch_execz .LBB87_3218
; %bb.1639:
	v_cndmask_b32_e64 v3, 0, 1, s30
	s_and_not1_b32 vcc_lo, exec_lo, s30
	s_cbranch_vccnz .LBB87_1645
; %bb.1640:
	s_cmp_lg_u32 s15, 0
	s_mov_b32 s8, 0
	s_cbranch_scc0 .LBB87_1649
; %bb.1641:
	s_min_u32 s9, s28, 15
	s_wait_loadcnt 0x0
	v_dual_mov_b32 v6, 0 :: v_dual_mov_b32 v2, v0
	v_dual_mov_b32 v8, 0 :: v_dual_mov_b32 v12, 0
	s_add_co_i32 s4, s9, 1
	s_mov_b64 s[0:1], 0xffffffffffffffe0
	s_and_b32 s10, s4, 30
	s_add_nc_u64 s[0:1], s[2:3], s[0:1]
	s_mov_b64 s[4:5], s[2:3]
.LBB87_1642:                            ; =>This Inner Loop Header: Depth=1
	s_clause 0x1
	s_load_b128 s[16:19], s[4:5], 0x4
	s_load_b64 s[20:21], s[4:5], 0x14
	s_clause 0x1
	s_load_b32 s11, s[0:1], 0xe4
	s_load_b96 s[12:14], s[0:1], 0xec
	s_add_co_i32 s10, s10, -2
	s_wait_xcnt 0x0
	s_add_nc_u64 s[4:5], s[4:5], 24
	s_cmp_lg_u32 s10, 0
	s_wait_kmcnt 0x0
	v_mul_hi_u32 v4, s17, v2
	s_delay_alu instid0(VALU_DEP_1) | instskip(NEXT) | instid1(VALU_DEP_1)
	v_add_nc_u32_e32 v4, v2, v4
	v_lshrrev_b32_e32 v4, s18, v4
	s_delay_alu instid0(VALU_DEP_1) | instskip(SKIP_4) | instid1(VALU_DEP_1)
	v_mul_hi_u32 v5, s20, v4
	v_mul_lo_u32 v7, v4, s16
	s_load_b64 s[16:17], s[0:1], 0xfc
	s_wait_xcnt 0x0
	s_add_nc_u64 s[0:1], s[0:1], 32
	v_dual_add_nc_u32 v5, v4, v5 :: v_dual_sub_nc_u32 v7, v2, v7
	s_delay_alu instid0(VALU_DEP_1) | instskip(NEXT) | instid1(VALU_DEP_2)
	v_lshrrev_b32_e32 v2, s21, v5
	v_mad_u32 v6, v7, s11, v6
	v_mad_u32 v9, v7, s13, v12
	;; [unrolled: 1-line block ×3, first 2 shown]
	s_delay_alu instid0(VALU_DEP_4) | instskip(NEXT) | instid1(VALU_DEP_1)
	v_mul_lo_u32 v5, v2, s19
	v_sub_nc_u32_e32 v4, v4, v5
	s_delay_alu instid0(VALU_DEP_1)
	v_mad_u32 v6, v4, s14, v6
	s_wait_kmcnt 0x0
	v_mad_u32 v12, v4, s17, v9
	v_mad_u32 v8, v4, s16, v7
	s_cbranch_scc1 .LBB87_1642
; %bb.1643:
	s_bitcmp1_b32 s9, 0
	s_cselect_b32 s9, -1, 0
	s_delay_alu instid0(SALU_CYCLE_1)
	s_and_b32 vcc_lo, exec_lo, s9
	s_cbranch_vccnz .LBB87_1646
; %bb.1644:
	s_load_b96 s[12:14], s[4:5], 0x4
	s_load_b32 s9, s[0:1], 0xe4
	s_wait_xcnt 0x0
	s_load_b64 s[4:5], s[0:1], 0xec
	s_wait_kmcnt 0x0
	v_mul_hi_u32 v4, s13, v2
	s_delay_alu instid0(VALU_DEP_1) | instskip(NEXT) | instid1(VALU_DEP_1)
	v_add_nc_u32_e32 v4, v2, v4
	v_lshrrev_b32_e32 v4, s14, v4
	s_delay_alu instid0(VALU_DEP_1) | instskip(NEXT) | instid1(VALU_DEP_1)
	v_mul_lo_u32 v4, v4, s12
	v_sub_nc_u32_e32 v2, v2, v4
	s_delay_alu instid0(VALU_DEP_1)
	v_mad_u32 v6, v2, s9, v6
	v_mad_u32 v8, v2, s4, v8
	;; [unrolled: 1-line block ×3, first 2 shown]
	s_and_not1_b32 vcc_lo, exec_lo, s8
	s_cbranch_vccz .LBB87_1647
	s_branch .LBB87_1650
.LBB87_1645:
	s_mov_b32 s8, -1
                                        ; implicit-def: $vgpr12
                                        ; implicit-def: $vgpr8
                                        ; implicit-def: $vgpr6
.LBB87_1646:
	s_delay_alu instid0(SALU_CYCLE_1)
	s_and_not1_b32 vcc_lo, exec_lo, s8
	s_cbranch_vccnz .LBB87_1650
.LBB87_1647:
	s_clause 0x2
	s_load_b96 s[8:10], s[2:3], 0x4
	s_load_b32 s4, s[2:3], 0xc4
	s_load_b64 s[0:1], s[2:3], 0xcc
	s_cmp_lt_u32 s15, 2
	s_wait_loadcnt 0x0
	s_wait_kmcnt 0x0
	v_mul_hi_u32 v2, s9, v0
	s_delay_alu instid0(VALU_DEP_1) | instskip(NEXT) | instid1(VALU_DEP_1)
	v_add_nc_u32_e32 v2, v0, v2
	v_lshrrev_b32_e32 v2, s10, v2
	s_delay_alu instid0(VALU_DEP_1) | instskip(NEXT) | instid1(VALU_DEP_1)
	v_mul_lo_u32 v4, v2, s8
	v_sub_nc_u32_e32 v4, v0, v4
	s_delay_alu instid0(VALU_DEP_1)
	v_mul_lo_u32 v6, v4, s4
	v_mul_lo_u32 v12, v4, s1
	;; [unrolled: 1-line block ×3, first 2 shown]
	s_cbranch_scc1 .LBB87_1650
; %bb.1648:
	s_clause 0x2
	s_load_b96 s[8:10], s[2:3], 0x10
	s_load_b32 s4, s[2:3], 0xd4
	s_load_b64 s[0:1], s[2:3], 0xdc
	s_wait_kmcnt 0x0
	v_mul_hi_u32 v4, s9, v2
	s_delay_alu instid0(VALU_DEP_1) | instskip(NEXT) | instid1(VALU_DEP_1)
	v_add_nc_u32_e32 v4, v2, v4
	v_lshrrev_b32_e32 v4, s10, v4
	s_delay_alu instid0(VALU_DEP_1) | instskip(NEXT) | instid1(VALU_DEP_1)
	v_mul_lo_u32 v4, v4, s8
	v_sub_nc_u32_e32 v2, v2, v4
	s_delay_alu instid0(VALU_DEP_1)
	v_mad_u32 v6, v2, s4, v6
	v_mad_u32 v8, v2, s0, v8
	;; [unrolled: 1-line block ×3, first 2 shown]
	s_branch .LBB87_1650
.LBB87_1649:
	s_wait_loadcnt 0x0
	v_dual_mov_b32 v12, 0 :: v_dual_mov_b32 v8, 0
	v_mov_b32_e32 v6, 0
	s_and_not1_b32 vcc_lo, exec_lo, s8
	s_cbranch_vccz .LBB87_1647
.LBB87_1650:
	v_cmp_ne_u32_e32 vcc_lo, 1, v3
	s_wait_loadcnt 0x0
	v_add_nc_u32_e32 v2, 0x80, v0
	s_cbranch_vccnz .LBB87_1656
; %bb.1651:
	s_cmp_lg_u32 s15, 0
	s_mov_b32 s8, 0
	s_cbranch_scc0 .LBB87_1660
; %bb.1652:
	s_min_u32 s9, s28, 15
	v_dual_mov_b32 v4, 0 :: v_dual_mov_b32 v5, v2
	v_dual_mov_b32 v14, 0 :: v_dual_mov_b32 v18, 0
	s_add_co_i32 s4, s9, 1
	s_mov_b64 s[0:1], 0xffffffffffffffe0
	s_and_b32 s10, s4, 30
	s_add_nc_u64 s[0:1], s[2:3], s[0:1]
	s_mov_b64 s[4:5], s[2:3]
.LBB87_1653:                            ; =>This Inner Loop Header: Depth=1
	s_clause 0x1
	s_load_b128 s[16:19], s[4:5], 0x4
	s_load_b64 s[20:21], s[4:5], 0x14
	s_clause 0x1
	s_load_b32 s11, s[0:1], 0xe4
	s_load_b96 s[12:14], s[0:1], 0xec
	s_add_co_i32 s10, s10, -2
	s_wait_xcnt 0x0
	s_add_nc_u64 s[4:5], s[4:5], 24
	s_cmp_lg_u32 s10, 0
	s_wait_kmcnt 0x0
	v_mul_hi_u32 v7, s17, v5
	s_delay_alu instid0(VALU_DEP_1) | instskip(NEXT) | instid1(VALU_DEP_1)
	v_add_nc_u32_e32 v7, v5, v7
	v_lshrrev_b32_e32 v7, s18, v7
	s_delay_alu instid0(VALU_DEP_1) | instskip(SKIP_4) | instid1(VALU_DEP_1)
	v_mul_hi_u32 v9, s20, v7
	v_mul_lo_u32 v10, v7, s16
	s_load_b64 s[16:17], s[0:1], 0xfc
	s_wait_xcnt 0x0
	s_add_nc_u64 s[0:1], s[0:1], 32
	v_dual_add_nc_u32 v9, v7, v9 :: v_dual_sub_nc_u32 v10, v5, v10
	s_delay_alu instid0(VALU_DEP_1) | instskip(NEXT) | instid1(VALU_DEP_2)
	v_lshrrev_b32_e32 v5, s21, v9
	v_mad_u32 v4, v10, s11, v4
	v_mad_u32 v11, v10, s13, v18
	;; [unrolled: 1-line block ×3, first 2 shown]
	s_delay_alu instid0(VALU_DEP_4) | instskip(NEXT) | instid1(VALU_DEP_1)
	v_mul_lo_u32 v9, v5, s19
	v_sub_nc_u32_e32 v7, v7, v9
	s_delay_alu instid0(VALU_DEP_1)
	v_mad_u32 v4, v7, s14, v4
	s_wait_kmcnt 0x0
	v_mad_u32 v18, v7, s17, v11
	v_mad_u32 v14, v7, s16, v10
	s_cbranch_scc1 .LBB87_1653
; %bb.1654:
	s_bitcmp1_b32 s9, 0
	s_cselect_b32 s9, -1, 0
	s_delay_alu instid0(SALU_CYCLE_1)
	s_and_b32 vcc_lo, exec_lo, s9
	s_cbranch_vccnz .LBB87_1657
; %bb.1655:
	s_load_b96 s[12:14], s[4:5], 0x4
	s_load_b32 s9, s[0:1], 0xe4
	s_wait_xcnt 0x0
	s_load_b64 s[4:5], s[0:1], 0xec
	s_wait_kmcnt 0x0
	v_mul_hi_u32 v7, s13, v5
	s_delay_alu instid0(VALU_DEP_1) | instskip(NEXT) | instid1(VALU_DEP_1)
	v_add_nc_u32_e32 v7, v5, v7
	v_lshrrev_b32_e32 v7, s14, v7
	s_delay_alu instid0(VALU_DEP_1) | instskip(NEXT) | instid1(VALU_DEP_1)
	v_mul_lo_u32 v7, v7, s12
	v_sub_nc_u32_e32 v5, v5, v7
	s_delay_alu instid0(VALU_DEP_1)
	v_mad_u32 v4, v5, s9, v4
	v_mad_u32 v14, v5, s4, v14
	;; [unrolled: 1-line block ×3, first 2 shown]
	s_and_not1_b32 vcc_lo, exec_lo, s8
	s_cbranch_vccz .LBB87_1658
	s_branch .LBB87_1661
.LBB87_1656:
	s_mov_b32 s8, -1
                                        ; implicit-def: $vgpr18
                                        ; implicit-def: $vgpr14
                                        ; implicit-def: $vgpr4
.LBB87_1657:
	s_delay_alu instid0(SALU_CYCLE_1)
	s_and_not1_b32 vcc_lo, exec_lo, s8
	s_cbranch_vccnz .LBB87_1661
.LBB87_1658:
	s_clause 0x2
	s_load_b96 s[8:10], s[2:3], 0x4
	s_load_b32 s4, s[2:3], 0xc4
	s_load_b64 s[0:1], s[2:3], 0xcc
	s_cmp_lt_u32 s15, 2
	s_wait_kmcnt 0x0
	v_mul_hi_u32 v4, s9, v2
	s_delay_alu instid0(VALU_DEP_1) | instskip(NEXT) | instid1(VALU_DEP_1)
	v_add_nc_u32_e32 v4, v2, v4
	v_lshrrev_b32_e32 v5, s10, v4
	s_delay_alu instid0(VALU_DEP_1) | instskip(NEXT) | instid1(VALU_DEP_1)
	v_mul_lo_u32 v4, v5, s8
	v_sub_nc_u32_e32 v2, v2, v4
	s_delay_alu instid0(VALU_DEP_1)
	v_mul_lo_u32 v4, v2, s4
	v_mul_lo_u32 v18, v2, s1
	v_mul_lo_u32 v14, v2, s0
	s_cbranch_scc1 .LBB87_1661
; %bb.1659:
	s_clause 0x2
	s_load_b96 s[8:10], s[2:3], 0x10
	s_load_b32 s4, s[2:3], 0xd4
	s_load_b64 s[0:1], s[2:3], 0xdc
	s_wait_kmcnt 0x0
	v_mul_hi_u32 v2, s9, v5
	s_delay_alu instid0(VALU_DEP_1) | instskip(NEXT) | instid1(VALU_DEP_1)
	v_add_nc_u32_e32 v2, v5, v2
	v_lshrrev_b32_e32 v2, s10, v2
	s_delay_alu instid0(VALU_DEP_1) | instskip(NEXT) | instid1(VALU_DEP_1)
	v_mul_lo_u32 v2, v2, s8
	v_sub_nc_u32_e32 v2, v5, v2
	s_delay_alu instid0(VALU_DEP_1)
	v_mad_u32 v4, v2, s4, v4
	v_mad_u32 v14, v2, s0, v14
	;; [unrolled: 1-line block ×3, first 2 shown]
	s_branch .LBB87_1661
.LBB87_1660:
	v_dual_mov_b32 v18, 0 :: v_dual_mov_b32 v14, 0
	v_mov_b32_e32 v4, 0
	s_and_not1_b32 vcc_lo, exec_lo, s8
	s_cbranch_vccz .LBB87_1658
.LBB87_1661:
	v_cmp_ne_u32_e32 vcc_lo, 1, v3
	v_add_nc_u32_e32 v0, 0x100, v0
	s_cbranch_vccnz .LBB87_1667
; %bb.1662:
	s_cmp_lg_u32 s15, 0
	s_mov_b32 s8, 0
	s_cbranch_scc0 .LBB87_1671
; %bb.1663:
	s_min_u32 s9, s28, 15
	v_dual_mov_b32 v2, 0 :: v_dual_mov_b32 v5, v0
	v_dual_mov_b32 v22, 0 :: v_dual_mov_b32 v20, 0
	s_add_co_i32 s4, s9, 1
	s_mov_b64 s[0:1], 0xffffffffffffffe0
	s_and_b32 s10, s4, 30
	s_add_nc_u64 s[0:1], s[2:3], s[0:1]
	s_mov_b64 s[4:5], s[2:3]
.LBB87_1664:                            ; =>This Inner Loop Header: Depth=1
	s_clause 0x1
	s_load_b128 s[16:19], s[4:5], 0x4
	s_load_b64 s[20:21], s[4:5], 0x14
	s_clause 0x1
	s_load_b32 s11, s[0:1], 0xe4
	s_load_b96 s[12:14], s[0:1], 0xec
	s_add_co_i32 s10, s10, -2
	s_wait_xcnt 0x0
	s_add_nc_u64 s[4:5], s[4:5], 24
	s_cmp_lg_u32 s10, 0
	s_wait_kmcnt 0x0
	v_mul_hi_u32 v7, s17, v5
	s_delay_alu instid0(VALU_DEP_1) | instskip(NEXT) | instid1(VALU_DEP_1)
	v_add_nc_u32_e32 v7, v5, v7
	v_lshrrev_b32_e32 v7, s18, v7
	s_delay_alu instid0(VALU_DEP_1) | instskip(SKIP_4) | instid1(VALU_DEP_1)
	v_mul_hi_u32 v9, s20, v7
	v_mul_lo_u32 v10, v7, s16
	s_load_b64 s[16:17], s[0:1], 0xfc
	s_wait_xcnt 0x0
	s_add_nc_u64 s[0:1], s[0:1], 32
	v_dual_add_nc_u32 v9, v7, v9 :: v_dual_sub_nc_u32 v10, v5, v10
	s_delay_alu instid0(VALU_DEP_1) | instskip(NEXT) | instid1(VALU_DEP_2)
	v_lshrrev_b32_e32 v5, s21, v9
	v_mad_u32 v2, v10, s11, v2
	v_mad_u32 v11, v10, s13, v20
	;; [unrolled: 1-line block ×3, first 2 shown]
	s_delay_alu instid0(VALU_DEP_4) | instskip(NEXT) | instid1(VALU_DEP_1)
	v_mul_lo_u32 v9, v5, s19
	v_sub_nc_u32_e32 v7, v7, v9
	s_delay_alu instid0(VALU_DEP_1)
	v_mad_u32 v2, v7, s14, v2
	s_wait_kmcnt 0x0
	v_mad_u32 v20, v7, s17, v11
	v_mad_u32 v22, v7, s16, v10
	s_cbranch_scc1 .LBB87_1664
; %bb.1665:
	s_bitcmp1_b32 s9, 0
	s_cselect_b32 s9, -1, 0
	s_delay_alu instid0(SALU_CYCLE_1)
	s_and_b32 vcc_lo, exec_lo, s9
	s_cbranch_vccnz .LBB87_1668
; %bb.1666:
	s_load_b96 s[12:14], s[4:5], 0x4
	s_load_b32 s9, s[0:1], 0xe4
	s_wait_xcnt 0x0
	s_load_b64 s[4:5], s[0:1], 0xec
	s_wait_kmcnt 0x0
	v_mul_hi_u32 v7, s13, v5
	s_delay_alu instid0(VALU_DEP_1) | instskip(NEXT) | instid1(VALU_DEP_1)
	v_add_nc_u32_e32 v7, v5, v7
	v_lshrrev_b32_e32 v7, s14, v7
	s_delay_alu instid0(VALU_DEP_1) | instskip(NEXT) | instid1(VALU_DEP_1)
	v_mul_lo_u32 v7, v7, s12
	v_sub_nc_u32_e32 v5, v5, v7
	s_delay_alu instid0(VALU_DEP_1)
	v_mad_u32 v2, v5, s9, v2
	v_mad_u32 v22, v5, s4, v22
	;; [unrolled: 1-line block ×3, first 2 shown]
	s_and_not1_b32 vcc_lo, exec_lo, s8
	s_cbranch_vccz .LBB87_1669
	s_branch .LBB87_1672
.LBB87_1667:
	s_mov_b32 s8, -1
                                        ; implicit-def: $vgpr20
                                        ; implicit-def: $vgpr22
                                        ; implicit-def: $vgpr2
.LBB87_1668:
	s_delay_alu instid0(SALU_CYCLE_1)
	s_and_not1_b32 vcc_lo, exec_lo, s8
	s_cbranch_vccnz .LBB87_1672
.LBB87_1669:
	s_clause 0x2
	s_load_b96 s[8:10], s[2:3], 0x4
	s_load_b32 s4, s[2:3], 0xc4
	s_load_b64 s[0:1], s[2:3], 0xcc
	s_cmp_lt_u32 s15, 2
	s_wait_kmcnt 0x0
	v_mul_hi_u32 v2, s9, v0
	s_delay_alu instid0(VALU_DEP_1) | instskip(NEXT) | instid1(VALU_DEP_1)
	v_add_nc_u32_e32 v2, v0, v2
	v_lshrrev_b32_e32 v5, s10, v2
	s_delay_alu instid0(VALU_DEP_1) | instskip(NEXT) | instid1(VALU_DEP_1)
	v_mul_lo_u32 v2, v5, s8
	v_sub_nc_u32_e32 v0, v0, v2
	s_delay_alu instid0(VALU_DEP_1)
	v_mul_lo_u32 v2, v0, s4
	v_mul_lo_u32 v20, v0, s1
	v_mul_lo_u32 v22, v0, s0
	s_cbranch_scc1 .LBB87_1672
; %bb.1670:
	s_clause 0x2
	s_load_b96 s[8:10], s[2:3], 0x10
	s_load_b32 s4, s[2:3], 0xd4
	s_load_b64 s[0:1], s[2:3], 0xdc
	s_wait_kmcnt 0x0
	v_mul_hi_u32 v0, s9, v5
	s_delay_alu instid0(VALU_DEP_1) | instskip(NEXT) | instid1(VALU_DEP_1)
	v_add_nc_u32_e32 v0, v5, v0
	v_lshrrev_b32_e32 v0, s10, v0
	s_delay_alu instid0(VALU_DEP_1) | instskip(NEXT) | instid1(VALU_DEP_1)
	v_mul_lo_u32 v0, v0, s8
	v_sub_nc_u32_e32 v0, v5, v0
	s_delay_alu instid0(VALU_DEP_1)
	v_mad_u32 v2, v0, s4, v2
	v_mad_u32 v22, v0, s0, v22
	;; [unrolled: 1-line block ×3, first 2 shown]
	s_branch .LBB87_1672
.LBB87_1671:
	v_dual_mov_b32 v20, 0 :: v_dual_mov_b32 v22, 0
	v_mov_b32_e32 v2, 0
	s_and_not1_b32 vcc_lo, exec_lo, s8
	s_cbranch_vccz .LBB87_1669
.LBB87_1672:
	v_cmp_ne_u32_e32 vcc_lo, 1, v3
	s_cbranch_vccnz .LBB87_1678
; %bb.1673:
	s_cmp_lg_u32 s15, 0
	s_mov_b32 s8, 0
	s_cbranch_scc0 .LBB87_1682
; %bb.1674:
	s_min_u32 s9, s28, 15
	v_dual_mov_b32 v0, 0 :: v_dual_mov_b32 v3, v1
	v_dual_mov_b32 v16, 0 :: v_dual_mov_b32 v10, 0
	s_add_co_i32 s4, s9, 1
	s_mov_b64 s[0:1], 0xffffffffffffffe0
	s_and_b32 s10, s4, 30
	s_add_nc_u64 s[0:1], s[2:3], s[0:1]
	s_mov_b64 s[4:5], s[2:3]
.LBB87_1675:                            ; =>This Inner Loop Header: Depth=1
	s_clause 0x1
	s_load_b128 s[16:19], s[4:5], 0x4
	s_load_b64 s[20:21], s[4:5], 0x14
	s_clause 0x1
	s_load_b32 s11, s[0:1], 0xe4
	s_load_b96 s[12:14], s[0:1], 0xec
	s_add_co_i32 s10, s10, -2
	s_wait_xcnt 0x0
	s_add_nc_u64 s[4:5], s[4:5], 24
	s_cmp_lg_u32 s10, 0
	s_wait_kmcnt 0x0
	v_mul_hi_u32 v5, s17, v3
	s_delay_alu instid0(VALU_DEP_1) | instskip(NEXT) | instid1(VALU_DEP_1)
	v_add_nc_u32_e32 v5, v3, v5
	v_lshrrev_b32_e32 v5, s18, v5
	s_delay_alu instid0(VALU_DEP_1) | instskip(SKIP_4) | instid1(VALU_DEP_1)
	v_mul_hi_u32 v7, s20, v5
	v_mul_lo_u32 v9, v5, s16
	s_load_b64 s[16:17], s[0:1], 0xfc
	s_wait_xcnt 0x0
	s_add_nc_u64 s[0:1], s[0:1], 32
	v_dual_add_nc_u32 v7, v5, v7 :: v_dual_sub_nc_u32 v9, v3, v9
	s_delay_alu instid0(VALU_DEP_1) | instskip(NEXT) | instid1(VALU_DEP_2)
	v_lshrrev_b32_e32 v3, s21, v7
	v_mad_u32 v0, v9, s11, v0
	v_mad_u32 v10, v9, s13, v10
	;; [unrolled: 1-line block ×3, first 2 shown]
	s_delay_alu instid0(VALU_DEP_4) | instskip(NEXT) | instid1(VALU_DEP_1)
	v_mul_lo_u32 v7, v3, s19
	v_sub_nc_u32_e32 v5, v5, v7
	s_delay_alu instid0(VALU_DEP_1)
	v_mad_u32 v0, v5, s14, v0
	s_wait_kmcnt 0x0
	v_mad_u32 v10, v5, s17, v10
	v_mad_u32 v16, v5, s16, v9
	s_cbranch_scc1 .LBB87_1675
; %bb.1676:
	s_bitcmp1_b32 s9, 0
	s_cselect_b32 s9, -1, 0
	s_delay_alu instid0(SALU_CYCLE_1)
	s_and_b32 vcc_lo, exec_lo, s9
	s_cbranch_vccnz .LBB87_1679
; %bb.1677:
	s_load_b96 s[12:14], s[4:5], 0x4
	s_load_b32 s9, s[0:1], 0xe4
	s_wait_xcnt 0x0
	s_load_b64 s[4:5], s[0:1], 0xec
	s_wait_kmcnt 0x0
	v_mul_hi_u32 v5, s13, v3
	s_delay_alu instid0(VALU_DEP_1) | instskip(NEXT) | instid1(VALU_DEP_1)
	v_add_nc_u32_e32 v5, v3, v5
	v_lshrrev_b32_e32 v5, s14, v5
	s_delay_alu instid0(VALU_DEP_1) | instskip(NEXT) | instid1(VALU_DEP_1)
	v_mul_lo_u32 v5, v5, s12
	v_sub_nc_u32_e32 v3, v3, v5
	s_delay_alu instid0(VALU_DEP_1)
	v_mad_u32 v0, v3, s9, v0
	v_mad_u32 v16, v3, s4, v16
	;; [unrolled: 1-line block ×3, first 2 shown]
	s_and_not1_b32 vcc_lo, exec_lo, s8
	s_cbranch_vccz .LBB87_1680
	s_branch .LBB87_1683
.LBB87_1678:
	s_mov_b32 s8, -1
                                        ; implicit-def: $vgpr10
                                        ; implicit-def: $vgpr16
                                        ; implicit-def: $vgpr0
.LBB87_1679:
	s_delay_alu instid0(SALU_CYCLE_1)
	s_and_not1_b32 vcc_lo, exec_lo, s8
	s_cbranch_vccnz .LBB87_1683
.LBB87_1680:
	s_clause 0x2
	s_load_b96 s[8:10], s[2:3], 0x4
	s_load_b32 s4, s[2:3], 0xc4
	s_load_b64 s[0:1], s[2:3], 0xcc
	s_cmp_lt_u32 s15, 2
	s_wait_kmcnt 0x0
	v_mul_hi_u32 v0, s9, v1
	s_delay_alu instid0(VALU_DEP_1) | instskip(NEXT) | instid1(VALU_DEP_1)
	v_add_nc_u32_e32 v0, v1, v0
	v_lshrrev_b32_e32 v3, s10, v0
	s_delay_alu instid0(VALU_DEP_1) | instskip(NEXT) | instid1(VALU_DEP_1)
	v_mul_lo_u32 v0, v3, s8
	v_sub_nc_u32_e32 v1, v1, v0
	s_delay_alu instid0(VALU_DEP_1)
	v_mul_lo_u32 v0, v1, s4
	v_mul_lo_u32 v10, v1, s1
	v_mul_lo_u32 v16, v1, s0
	s_cbranch_scc1 .LBB87_1683
; %bb.1681:
	s_clause 0x2
	s_load_b96 s[8:10], s[2:3], 0x10
	s_load_b32 s4, s[2:3], 0xd4
	s_load_b64 s[0:1], s[2:3], 0xdc
	s_wait_kmcnt 0x0
	v_mul_hi_u32 v1, s9, v3
	s_delay_alu instid0(VALU_DEP_1) | instskip(NEXT) | instid1(VALU_DEP_1)
	v_add_nc_u32_e32 v1, v3, v1
	v_lshrrev_b32_e32 v1, s10, v1
	s_delay_alu instid0(VALU_DEP_1) | instskip(NEXT) | instid1(VALU_DEP_1)
	v_mul_lo_u32 v1, v1, s8
	v_sub_nc_u32_e32 v1, v3, v1
	s_delay_alu instid0(VALU_DEP_1)
	v_mad_u32 v0, v1, s4, v0
	v_mad_u32 v16, v1, s0, v16
	v_mad_u32 v10, v1, s1, v10
	s_branch .LBB87_1683
.LBB87_1682:
	v_dual_mov_b32 v10, 0 :: v_dual_mov_b32 v16, 0
	v_mov_b32_e32 v0, 0
	s_and_not1_b32 vcc_lo, exec_lo, s8
	s_cbranch_vccz .LBB87_1680
.LBB87_1683:
	v_mov_b32_e32 v1, 0
	global_load_u8 v1, v1, s[2:3] offset:491
	s_wait_loadcnt 0x0
	v_and_b32_e32 v3, 0xffff, v1
	v_readfirstlane_b32 s9, v1
	s_delay_alu instid0(VALU_DEP_2)
	v_cmp_gt_i32_e32 vcc_lo, 23, v3
	s_cbranch_vccnz .LBB87_1687
; %bb.1684:
	s_and_b32 s4, 0xffff, s9
	s_delay_alu instid0(SALU_CYCLE_1)
	s_cmp_gt_i32 s4, 43
	s_cbranch_scc0 .LBB87_1688
; %bb.1685:
	s_cmp_gt_i32 s4, 45
	s_cbranch_scc0 .LBB87_1689
; %bb.1686:
	s_cmp_lg_u32 s4, 46
	s_mov_b32 s0, -1
	s_cselect_b32 s1, -1, 0
	s_cbranch_execz .LBB87_1690
	s_branch .LBB87_1691
.LBB87_1687:
	s_mov_b32 s0, 0
	s_mov_b32 s1, 0
	s_cbranch_execnz .LBB87_1694
	s_branch .LBB87_1698
.LBB87_1688:
	s_mov_b32 s0, 0
	s_mov_b32 s1, 0
	s_cbranch_execnz .LBB87_1692
	s_branch .LBB87_1693
.LBB87_1689:
	s_mov_b32 s0, 0
	s_mov_b32 s1, 0
.LBB87_1690:
	s_cmp_eq_u32 s4, 44
	s_cselect_b32 s0, -1, 0
	s_cmp_lg_u32 s4, 44
	s_cselect_b32 s1, -1, 0
.LBB87_1691:
	s_branch .LBB87_1693
.LBB87_1692:
	s_cmp_lt_i32 s4, 30
	s_cselect_b32 s0, -1, 0
	s_cmp_gt_i32 s4, 29
	s_cselect_b32 s1, -1, 0
.LBB87_1693:
	s_branch .LBB87_1698
.LBB87_1694:
	s_and_b32 s4, 0xffff, s9
	s_mov_b32 s5, -1
	s_cmp_gt_i32 s4, 14
	s_cbranch_scc0 .LBB87_1696
; %bb.1695:
	s_cmp_eq_u32 s4, 15
	s_mov_b32 s5, 0
	s_cselect_b32 s0, -1, 0
	s_cmp_lg_u32 s4, 15
	s_cselect_b32 s1, -1, 0
.LBB87_1696:
	s_and_not1_b32 vcc_lo, exec_lo, s5
	s_cbranch_vccnz .LBB87_1698
; %bb.1697:
	s_cmp_lt_i32 s4, 12
	s_cselect_b32 s0, -1, 0
	s_cmp_gt_i32 s4, 11
	s_cselect_b32 s1, -1, 0
.LBB87_1698:
	s_delay_alu instid0(SALU_CYCLE_1)
	s_and_b32 vcc_lo, exec_lo, s1
	s_mov_b32 s8, s6
	s_cbranch_vccnz .LBB87_1711
; %bb.1699:
	s_and_not1_b32 vcc_lo, exec_lo, s0
	s_cbranch_vccnz .LBB87_3216
.LBB87_1700:
	s_clause 0x1
	s_load_b64 s[0:1], s[2:3], 0x1d8
	s_load_b32 s4, s[2:3], 0x1ec
	v_mov_b32_e32 v9, 0
	s_wait_kmcnt 0x0
	s_delay_alu instid0(VALU_DEP_1) | instskip(SKIP_1) | instid1(SALU_CYCLE_1)
	v_add_nc_u64_e32 v[24:25], s[0:1], v[8:9]
	s_and_b32 s10, s4, 0xff
	s_cmp_lt_i32 s10, 11
	s_cbranch_scc1 .LBB87_1707
; %bb.1701:
	s_and_b32 s4, 0xffff, s10
	s_mov_b32 s11, 0
	s_cmp_gt_i32 s4, 25
	s_cbranch_scc0 .LBB87_1709
; %bb.1702:
	s_cmp_gt_i32 s4, 28
	s_cbranch_scc0 .LBB87_1710
; %bb.1703:
	;; [unrolled: 3-line block ×4, first 2 shown]
	s_cmp_eq_u32 s4, 46
	s_mov_b32 s13, 0
	s_cbranch_scc0 .LBB87_1718
; %bb.1706:
	global_load_b32 v1, v[24:25], off
	s_mov_b32 s5, 0
	s_mov_b32 s12, -1
	s_wait_loadcnt 0x0
	v_lshlrev_b32_e32 v1, 16, v1
	s_delay_alu instid0(VALU_DEP_1)
	v_cvt_i32_f32_e32 v8, v1
	s_branch .LBB87_1720
.LBB87_1707:
	s_mov_b32 s12, 0
                                        ; implicit-def: $vgpr8
	s_cbranch_execnz .LBB87_1781
.LBB87_1708:
	s_and_not1_b32 vcc_lo, exec_lo, s12
	s_cbranch_vccz .LBB87_1828
	s_branch .LBB87_3216
.LBB87_1709:
	s_mov_b32 s12, 0
	s_mov_b32 s5, 0
                                        ; implicit-def: $vgpr8
	s_cbranch_execnz .LBB87_1747
	s_branch .LBB87_1777
.LBB87_1710:
	s_mov_b32 s13, -1
	s_mov_b32 s12, 0
	s_mov_b32 s5, 0
                                        ; implicit-def: $vgpr8
	s_branch .LBB87_1730
.LBB87_1711:
	s_or_b32 s8, s6, exec_lo
	s_trap 2
	s_cbranch_execz .LBB87_1700
	s_branch .LBB87_3216
.LBB87_1712:
	s_mov_b32 s13, -1
	s_mov_b32 s12, 0
	s_mov_b32 s5, 0
                                        ; implicit-def: $vgpr8
	s_branch .LBB87_1725
.LBB87_1713:
	s_and_not1_saveexec_b32 s9, s9
	s_cbranch_execz .LBB87_1551
.LBB87_1714:
	v_add_f32_e64 v1, 0x46000000, |v0|
	s_and_not1_b32 s8, s8, exec_lo
	s_delay_alu instid0(VALU_DEP_1) | instskip(NEXT) | instid1(VALU_DEP_1)
	v_and_b32_e32 v1, 0xff, v1
	v_cmp_ne_u32_e32 vcc_lo, 0, v1
	s_and_b32 s10, vcc_lo, exec_lo
	s_delay_alu instid0(SALU_CYCLE_1)
	s_or_b32 s8, s8, s10
	s_or_b32 exec_lo, exec_lo, s9
	v_mov_b32_e32 v2, 0
	s_and_saveexec_b32 s9, s8
	s_cbranch_execnz .LBB87_1552
	s_branch .LBB87_1553
.LBB87_1715:
	s_mov_b32 s13, -1
	s_mov_b32 s12, 0
	s_mov_b32 s5, 0
	s_branch .LBB87_1719
.LBB87_1716:
	s_and_not1_saveexec_b32 s10, s10
	s_cbranch_execz .LBB87_1563
.LBB87_1717:
	v_add_f32_e64 v1, 0x42800000, |v0|
	s_and_not1_b32 s9, s9, exec_lo
	s_delay_alu instid0(VALU_DEP_1) | instskip(NEXT) | instid1(VALU_DEP_1)
	v_and_b32_e32 v1, 0xff, v1
	v_cmp_ne_u32_e32 vcc_lo, 0, v1
	s_and_b32 s11, vcc_lo, exec_lo
	s_delay_alu instid0(SALU_CYCLE_1)
	s_or_b32 s9, s9, s11
	s_or_b32 exec_lo, exec_lo, s10
	v_mov_b32_e32 v2, 0
	s_and_saveexec_b32 s10, s9
	s_cbranch_execnz .LBB87_1564
	s_branch .LBB87_1565
.LBB87_1718:
	s_mov_b32 s5, -1
	s_mov_b32 s12, 0
.LBB87_1719:
                                        ; implicit-def: $vgpr8
.LBB87_1720:
	s_and_b32 vcc_lo, exec_lo, s13
	s_cbranch_vccz .LBB87_1724
; %bb.1721:
	s_cmp_eq_u32 s4, 44
	s_cbranch_scc0 .LBB87_1723
; %bb.1722:
	global_load_u8 v1, v[24:25], off
	s_mov_b32 s5, 0
	s_mov_b32 s12, -1
	s_wait_loadcnt 0x0
	v_lshlrev_b32_e32 v3, 23, v1
	v_cmp_ne_u32_e32 vcc_lo, 0, v1
	s_delay_alu instid0(VALU_DEP_2) | instskip(NEXT) | instid1(VALU_DEP_1)
	v_cvt_i32_f32_e32 v3, v3
	v_cndmask_b32_e32 v8, 0, v3, vcc_lo
	s_branch .LBB87_1724
.LBB87_1723:
	s_mov_b32 s5, -1
                                        ; implicit-def: $vgpr8
.LBB87_1724:
	s_mov_b32 s13, 0
.LBB87_1725:
	s_delay_alu instid0(SALU_CYCLE_1)
	s_and_b32 vcc_lo, exec_lo, s13
	s_cbranch_vccz .LBB87_1729
; %bb.1726:
	s_cmp_eq_u32 s4, 29
	s_cbranch_scc0 .LBB87_1728
; %bb.1727:
	global_load_b64 v[8:9], v[24:25], off
	s_mov_b32 s5, 0
	s_mov_b32 s12, -1
	s_branch .LBB87_1729
.LBB87_1728:
	s_mov_b32 s5, -1
                                        ; implicit-def: $vgpr8
.LBB87_1729:
	s_mov_b32 s13, 0
.LBB87_1730:
	s_delay_alu instid0(SALU_CYCLE_1)
	s_and_b32 vcc_lo, exec_lo, s13
	s_cbranch_vccz .LBB87_1746
; %bb.1731:
	s_cmp_lt_i32 s4, 27
	s_cbranch_scc1 .LBB87_1734
; %bb.1732:
	s_cmp_gt_i32 s4, 27
	s_cbranch_scc0 .LBB87_1735
; %bb.1733:
	s_wait_loadcnt 0x0
	global_load_b32 v8, v[24:25], off
	s_mov_b32 s12, 0
	s_branch .LBB87_1736
.LBB87_1734:
	s_mov_b32 s12, -1
                                        ; implicit-def: $vgpr8
	s_branch .LBB87_1739
.LBB87_1735:
	s_mov_b32 s12, -1
                                        ; implicit-def: $vgpr8
.LBB87_1736:
	s_delay_alu instid0(SALU_CYCLE_1)
	s_and_not1_b32 vcc_lo, exec_lo, s12
	s_cbranch_vccnz .LBB87_1738
; %bb.1737:
	s_wait_loadcnt 0x0
	global_load_u16 v8, v[24:25], off
.LBB87_1738:
	s_mov_b32 s12, 0
.LBB87_1739:
	s_delay_alu instid0(SALU_CYCLE_1)
	s_and_not1_b32 vcc_lo, exec_lo, s12
	s_cbranch_vccnz .LBB87_1745
; %bb.1740:
	global_load_u8 v1, v[24:25], off
	s_mov_b32 s13, 0
	s_mov_b32 s12, exec_lo
	s_wait_loadcnt 0x0
	v_cmpx_lt_i16_e32 0x7f, v1
	s_xor_b32 s12, exec_lo, s12
	s_cbranch_execz .LBB87_1756
; %bb.1741:
	v_cmp_ne_u16_e32 vcc_lo, 0x80, v1
	s_and_b32 s13, vcc_lo, exec_lo
	s_and_not1_saveexec_b32 s12, s12
	s_cbranch_execnz .LBB87_1757
.LBB87_1742:
	s_or_b32 exec_lo, exec_lo, s12
	v_mov_b32_e32 v8, 0
	s_and_saveexec_b32 s12, s13
	s_cbranch_execz .LBB87_1744
.LBB87_1743:
	v_and_b32_e32 v3, 0xffff, v1
	s_delay_alu instid0(VALU_DEP_1) | instskip(SKIP_1) | instid1(VALU_DEP_2)
	v_dual_lshlrev_b32 v1, 24, v1 :: v_dual_bitop2_b32 v5, 7, v3 bitop3:0x40
	v_bfe_u32 v9, v3, 3, 4
	v_and_b32_e32 v1, 0x80000000, v1
	s_delay_alu instid0(VALU_DEP_3) | instskip(NEXT) | instid1(VALU_DEP_3)
	v_clz_i32_u32_e32 v7, v5
	v_cmp_eq_u32_e32 vcc_lo, 0, v9
	s_delay_alu instid0(VALU_DEP_2) | instskip(NEXT) | instid1(VALU_DEP_1)
	v_min_u32_e32 v7, 32, v7
	v_subrev_nc_u32_e32 v8, 28, v7
	v_sub_nc_u32_e32 v7, 29, v7
	s_delay_alu instid0(VALU_DEP_2) | instskip(NEXT) | instid1(VALU_DEP_2)
	v_lshlrev_b32_e32 v3, v8, v3
	v_cndmask_b32_e32 v7, v9, v7, vcc_lo
	s_delay_alu instid0(VALU_DEP_2) | instskip(NEXT) | instid1(VALU_DEP_1)
	v_and_b32_e32 v3, 7, v3
	v_cndmask_b32_e32 v3, v5, v3, vcc_lo
	s_delay_alu instid0(VALU_DEP_3) | instskip(NEXT) | instid1(VALU_DEP_2)
	v_lshl_add_u32 v5, v7, 23, 0x3b800000
	v_lshlrev_b32_e32 v3, 20, v3
	s_delay_alu instid0(VALU_DEP_1) | instskip(NEXT) | instid1(VALU_DEP_1)
	v_or3_b32 v1, v1, v5, v3
	v_cvt_i32_f32_e32 v8, v1
.LBB87_1744:
	s_or_b32 exec_lo, exec_lo, s12
.LBB87_1745:
	s_mov_b32 s12, -1
.LBB87_1746:
	s_branch .LBB87_1777
.LBB87_1747:
	s_cmp_gt_i32 s4, 22
	s_cbranch_scc0 .LBB87_1755
; %bb.1748:
	s_cmp_lt_i32 s4, 24
	s_cbranch_scc1 .LBB87_1758
; %bb.1749:
	s_cmp_gt_i32 s4, 24
	s_cbranch_scc0 .LBB87_1759
; %bb.1750:
	global_load_u8 v1, v[24:25], off
	s_mov_b32 s12, 0
	s_mov_b32 s11, exec_lo
	s_wait_loadcnt 0x0
	v_cmpx_lt_i16_e32 0x7f, v1
	s_xor_b32 s11, exec_lo, s11
	s_cbranch_execz .LBB87_1771
; %bb.1751:
	v_cmp_ne_u16_e32 vcc_lo, 0x80, v1
	s_and_b32 s12, vcc_lo, exec_lo
	s_and_not1_saveexec_b32 s11, s11
	s_cbranch_execnz .LBB87_1772
.LBB87_1752:
	s_or_b32 exec_lo, exec_lo, s11
	v_mov_b32_e32 v8, 0
	s_and_saveexec_b32 s11, s12
	s_cbranch_execz .LBB87_1754
.LBB87_1753:
	v_and_b32_e32 v3, 0xffff, v1
	s_delay_alu instid0(VALU_DEP_1) | instskip(SKIP_1) | instid1(VALU_DEP_2)
	v_dual_lshlrev_b32 v1, 24, v1 :: v_dual_bitop2_b32 v5, 3, v3 bitop3:0x40
	v_bfe_u32 v9, v3, 2, 5
	v_and_b32_e32 v1, 0x80000000, v1
	s_delay_alu instid0(VALU_DEP_3) | instskip(NEXT) | instid1(VALU_DEP_3)
	v_clz_i32_u32_e32 v7, v5
	v_cmp_eq_u32_e32 vcc_lo, 0, v9
	s_delay_alu instid0(VALU_DEP_2) | instskip(NEXT) | instid1(VALU_DEP_1)
	v_min_u32_e32 v7, 32, v7
	v_subrev_nc_u32_e32 v8, 29, v7
	v_sub_nc_u32_e32 v7, 30, v7
	s_delay_alu instid0(VALU_DEP_2) | instskip(NEXT) | instid1(VALU_DEP_2)
	v_lshlrev_b32_e32 v3, v8, v3
	v_cndmask_b32_e32 v7, v9, v7, vcc_lo
	s_delay_alu instid0(VALU_DEP_2) | instskip(NEXT) | instid1(VALU_DEP_1)
	v_and_b32_e32 v3, 3, v3
	v_cndmask_b32_e32 v3, v5, v3, vcc_lo
	s_delay_alu instid0(VALU_DEP_3) | instskip(NEXT) | instid1(VALU_DEP_2)
	v_lshl_add_u32 v5, v7, 23, 0x37800000
	v_lshlrev_b32_e32 v3, 21, v3
	s_delay_alu instid0(VALU_DEP_1) | instskip(NEXT) | instid1(VALU_DEP_1)
	v_or3_b32 v1, v1, v5, v3
	v_cvt_i32_f32_e32 v8, v1
.LBB87_1754:
	s_or_b32 exec_lo, exec_lo, s11
	s_mov_b32 s11, 0
	s_branch .LBB87_1760
.LBB87_1755:
	s_mov_b32 s11, -1
                                        ; implicit-def: $vgpr8
	s_branch .LBB87_1766
.LBB87_1756:
	s_and_not1_saveexec_b32 s12, s12
	s_cbranch_execz .LBB87_1742
.LBB87_1757:
	v_cmp_ne_u16_e32 vcc_lo, 0, v1
	s_and_not1_b32 s13, s13, exec_lo
	s_and_b32 s14, vcc_lo, exec_lo
	s_delay_alu instid0(SALU_CYCLE_1)
	s_or_b32 s13, s13, s14
	s_or_b32 exec_lo, exec_lo, s12
	v_mov_b32_e32 v8, 0
	s_and_saveexec_b32 s12, s13
	s_cbranch_execnz .LBB87_1743
	s_branch .LBB87_1744
.LBB87_1758:
	s_mov_b32 s11, -1
                                        ; implicit-def: $vgpr8
	s_branch .LBB87_1763
.LBB87_1759:
	s_mov_b32 s11, -1
                                        ; implicit-def: $vgpr8
.LBB87_1760:
	s_delay_alu instid0(SALU_CYCLE_1)
	s_and_b32 vcc_lo, exec_lo, s11
	s_cbranch_vccz .LBB87_1762
; %bb.1761:
	global_load_u8 v1, v[24:25], off
	s_wait_loadcnt 0x0
	v_lshlrev_b32_e32 v1, 24, v1
	s_delay_alu instid0(VALU_DEP_1) | instskip(NEXT) | instid1(VALU_DEP_1)
	v_and_b32_e32 v3, 0x7f000000, v1
	v_clz_i32_u32_e32 v5, v3
	v_cmp_ne_u32_e32 vcc_lo, 0, v3
	v_add_nc_u32_e32 v8, 0x1000000, v3
	s_delay_alu instid0(VALU_DEP_3) | instskip(NEXT) | instid1(VALU_DEP_1)
	v_min_u32_e32 v5, 32, v5
	v_sub_nc_u32_e64 v5, v5, 4 clamp
	s_delay_alu instid0(VALU_DEP_1) | instskip(NEXT) | instid1(VALU_DEP_1)
	v_dual_lshlrev_b32 v7, v5, v3 :: v_dual_lshlrev_b32 v5, 23, v5
	v_lshrrev_b32_e32 v7, 4, v7
	s_delay_alu instid0(VALU_DEP_1) | instskip(NEXT) | instid1(VALU_DEP_1)
	v_dual_sub_nc_u32 v5, v7, v5 :: v_dual_ashrrev_i32 v7, 8, v8
	v_add_nc_u32_e32 v5, 0x3c000000, v5
	s_delay_alu instid0(VALU_DEP_1) | instskip(NEXT) | instid1(VALU_DEP_1)
	v_and_or_b32 v5, 0x7f800000, v7, v5
	v_cndmask_b32_e32 v3, 0, v5, vcc_lo
	s_delay_alu instid0(VALU_DEP_1) | instskip(NEXT) | instid1(VALU_DEP_1)
	v_and_or_b32 v1, 0x80000000, v1, v3
	v_cvt_i32_f32_e32 v8, v1
.LBB87_1762:
	s_mov_b32 s11, 0
.LBB87_1763:
	s_delay_alu instid0(SALU_CYCLE_1)
	s_and_not1_b32 vcc_lo, exec_lo, s11
	s_cbranch_vccnz .LBB87_1765
; %bb.1764:
	global_load_u8 v1, v[24:25], off
	s_wait_loadcnt 0x0
	v_lshlrev_b32_e32 v3, 25, v1
	v_lshlrev_b16 v1, 8, v1
	s_delay_alu instid0(VALU_DEP_1) | instskip(SKIP_1) | instid1(VALU_DEP_2)
	v_and_or_b32 v7, 0x7f00, v1, 0.5
	v_bfe_i32 v1, v1, 0, 16
	v_add_f32_e32 v7, -0.5, v7
	v_lshrrev_b32_e32 v5, 4, v3
	v_cmp_gt_u32_e32 vcc_lo, 0x8000000, v3
	s_delay_alu instid0(VALU_DEP_2) | instskip(NEXT) | instid1(VALU_DEP_1)
	v_or_b32_e32 v5, 0x70000000, v5
	v_mul_f32_e32 v5, 0x7800000, v5
	s_delay_alu instid0(VALU_DEP_1) | instskip(NEXT) | instid1(VALU_DEP_1)
	v_cndmask_b32_e32 v3, v5, v7, vcc_lo
	v_and_or_b32 v1, 0x80000000, v1, v3
	s_delay_alu instid0(VALU_DEP_1)
	v_cvt_i32_f32_e32 v8, v1
.LBB87_1765:
	s_mov_b32 s11, 0
	s_mov_b32 s12, -1
.LBB87_1766:
	s_and_not1_b32 vcc_lo, exec_lo, s11
	s_mov_b32 s11, 0
	s_cbranch_vccnz .LBB87_1777
; %bb.1767:
	s_cmp_gt_i32 s4, 14
	s_cbranch_scc0 .LBB87_1770
; %bb.1768:
	s_cmp_eq_u32 s4, 15
	s_cbranch_scc0 .LBB87_1773
; %bb.1769:
	global_load_u16 v1, v[24:25], off
	s_mov_b32 s5, 0
	s_mov_b32 s12, -1
	s_wait_loadcnt 0x0
	v_lshlrev_b32_e32 v1, 16, v1
	s_delay_alu instid0(VALU_DEP_1)
	v_cvt_i32_f32_e32 v8, v1
	s_branch .LBB87_1775
.LBB87_1770:
	s_mov_b32 s11, -1
	s_branch .LBB87_1774
.LBB87_1771:
	s_and_not1_saveexec_b32 s11, s11
	s_cbranch_execz .LBB87_1752
.LBB87_1772:
	v_cmp_ne_u16_e32 vcc_lo, 0, v1
	s_and_not1_b32 s12, s12, exec_lo
	s_and_b32 s13, vcc_lo, exec_lo
	s_delay_alu instid0(SALU_CYCLE_1)
	s_or_b32 s12, s12, s13
	s_or_b32 exec_lo, exec_lo, s11
	v_mov_b32_e32 v8, 0
	s_and_saveexec_b32 s11, s12
	s_cbranch_execnz .LBB87_1753
	s_branch .LBB87_1754
.LBB87_1773:
	s_mov_b32 s5, -1
.LBB87_1774:
                                        ; implicit-def: $vgpr8
.LBB87_1775:
	s_and_b32 vcc_lo, exec_lo, s11
	s_mov_b32 s11, 0
	s_cbranch_vccz .LBB87_1777
; %bb.1776:
	s_cmp_lg_u32 s4, 11
	s_mov_b32 s11, -1
	s_cselect_b32 s5, -1, 0
.LBB87_1777:
	s_delay_alu instid0(SALU_CYCLE_1)
	s_and_b32 vcc_lo, exec_lo, s5
	s_cbranch_vccnz .LBB87_1840
; %bb.1778:
	s_and_not1_b32 vcc_lo, exec_lo, s11
	s_cbranch_vccnz .LBB87_1780
.LBB87_1779:
	global_load_u8 v1, v[24:25], off
	s_mov_b32 s12, -1
	s_wait_loadcnt 0x0
	v_cmp_ne_u16_e32 vcc_lo, 0, v1
	v_cndmask_b32_e64 v8, 0, 1, vcc_lo
.LBB87_1780:
	s_branch .LBB87_1708
.LBB87_1781:
	s_and_b32 s4, 0xffff, s10
	s_delay_alu instid0(SALU_CYCLE_1)
	s_cmp_lt_i32 s4, 5
	s_cbranch_scc1 .LBB87_1786
; %bb.1782:
	s_cmp_lt_i32 s4, 8
	s_cbranch_scc1 .LBB87_1787
; %bb.1783:
	;; [unrolled: 3-line block ×3, first 2 shown]
	s_cmp_gt_i32 s4, 9
	s_cbranch_scc0 .LBB87_1789
; %bb.1785:
	s_wait_loadcnt 0x0
	global_load_b64 v[8:9], v[24:25], off
	s_mov_b32 s5, 0
	s_wait_loadcnt 0x0
	v_cvt_i32_f64_e32 v8, v[8:9]
	s_branch .LBB87_1790
.LBB87_1786:
                                        ; implicit-def: $vgpr8
	s_branch .LBB87_1808
.LBB87_1787:
	s_mov_b32 s5, -1
                                        ; implicit-def: $vgpr8
	s_branch .LBB87_1796
.LBB87_1788:
	s_mov_b32 s5, -1
                                        ; implicit-def: $vgpr8
	s_branch .LBB87_1793
.LBB87_1789:
	s_mov_b32 s5, -1
                                        ; implicit-def: $vgpr8
.LBB87_1790:
	s_delay_alu instid0(SALU_CYCLE_1)
	s_and_not1_b32 vcc_lo, exec_lo, s5
	s_cbranch_vccnz .LBB87_1792
; %bb.1791:
	global_load_b32 v1, v[24:25], off
	s_wait_loadcnt 0x0
	v_cvt_i32_f32_e32 v8, v1
.LBB87_1792:
	s_mov_b32 s5, 0
.LBB87_1793:
	s_delay_alu instid0(SALU_CYCLE_1)
	s_and_not1_b32 vcc_lo, exec_lo, s5
	s_cbranch_vccnz .LBB87_1795
; %bb.1794:
	global_load_b32 v1, v[24:25], off
	s_wait_loadcnt 0x0
	v_cvt_i16_f16_e32 v8, v1
.LBB87_1795:
	s_mov_b32 s5, 0
.LBB87_1796:
	s_delay_alu instid0(SALU_CYCLE_1)
	s_and_not1_b32 vcc_lo, exec_lo, s5
	s_cbranch_vccnz .LBB87_1807
; %bb.1797:
	s_cmp_lt_i32 s4, 6
	s_cbranch_scc1 .LBB87_1800
; %bb.1798:
	s_cmp_gt_i32 s4, 6
	s_cbranch_scc0 .LBB87_1801
; %bb.1799:
	s_wait_loadcnt 0x0
	global_load_b64 v[8:9], v[24:25], off
	s_mov_b32 s5, 0
	s_wait_loadcnt 0x0
	v_cvt_i32_f64_e32 v8, v[8:9]
	s_branch .LBB87_1802
.LBB87_1800:
	s_mov_b32 s5, -1
                                        ; implicit-def: $vgpr8
	s_branch .LBB87_1805
.LBB87_1801:
	s_mov_b32 s5, -1
                                        ; implicit-def: $vgpr8
.LBB87_1802:
	s_delay_alu instid0(SALU_CYCLE_1)
	s_and_not1_b32 vcc_lo, exec_lo, s5
	s_cbranch_vccnz .LBB87_1804
; %bb.1803:
	global_load_b32 v1, v[24:25], off
	s_wait_loadcnt 0x0
	v_cvt_i32_f32_e32 v8, v1
.LBB87_1804:
	s_mov_b32 s5, 0
.LBB87_1805:
	s_delay_alu instid0(SALU_CYCLE_1)
	s_and_not1_b32 vcc_lo, exec_lo, s5
	s_cbranch_vccnz .LBB87_1807
; %bb.1806:
	global_load_u16 v1, v[24:25], off
	s_wait_loadcnt 0x0
	v_cvt_i16_f16_e32 v8, v1
.LBB87_1807:
	s_cbranch_execnz .LBB87_1827
.LBB87_1808:
	s_cmp_lt_i32 s4, 2
	s_cbranch_scc1 .LBB87_1812
; %bb.1809:
	s_cmp_lt_i32 s4, 3
	s_cbranch_scc1 .LBB87_1813
; %bb.1810:
	s_cmp_gt_i32 s4, 3
	s_cbranch_scc0 .LBB87_1814
; %bb.1811:
	s_wait_loadcnt 0x0
	global_load_b64 v[8:9], v[24:25], off
	s_mov_b32 s5, 0
	s_branch .LBB87_1815
.LBB87_1812:
	s_mov_b32 s5, -1
                                        ; implicit-def: $vgpr8
	s_branch .LBB87_1821
.LBB87_1813:
	s_mov_b32 s5, -1
                                        ; implicit-def: $vgpr8
	s_branch .LBB87_1818
.LBB87_1814:
	s_mov_b32 s5, -1
                                        ; implicit-def: $vgpr8
.LBB87_1815:
	s_delay_alu instid0(SALU_CYCLE_1)
	s_and_not1_b32 vcc_lo, exec_lo, s5
	s_cbranch_vccnz .LBB87_1817
; %bb.1816:
	s_wait_loadcnt 0x0
	global_load_b32 v8, v[24:25], off
.LBB87_1817:
	s_mov_b32 s5, 0
.LBB87_1818:
	s_delay_alu instid0(SALU_CYCLE_1)
	s_and_not1_b32 vcc_lo, exec_lo, s5
	s_cbranch_vccnz .LBB87_1820
; %bb.1819:
	s_wait_loadcnt 0x0
	global_load_u16 v8, v[24:25], off
.LBB87_1820:
	s_mov_b32 s5, 0
.LBB87_1821:
	s_delay_alu instid0(SALU_CYCLE_1)
	s_and_not1_b32 vcc_lo, exec_lo, s5
	s_cbranch_vccnz .LBB87_1827
; %bb.1822:
	s_cmp_gt_i32 s4, 0
	s_mov_b32 s4, 0
	s_cbranch_scc0 .LBB87_1824
; %bb.1823:
	s_wait_loadcnt 0x0
	global_load_i8 v8, v[24:25], off
	s_branch .LBB87_1825
.LBB87_1824:
	s_mov_b32 s4, -1
                                        ; implicit-def: $vgpr8
.LBB87_1825:
	s_delay_alu instid0(SALU_CYCLE_1)
	s_and_not1_b32 vcc_lo, exec_lo, s4
	s_cbranch_vccnz .LBB87_1827
; %bb.1826:
	s_wait_loadcnt 0x0
	global_load_u8 v8, v[24:25], off
.LBB87_1827:
.LBB87_1828:
	v_mov_b32_e32 v13, 0
	s_load_b64 s[4:5], s[2:3], 0x1e0
	global_load_u8 v1, v13, s[2:3] offset:493
	s_wait_kmcnt 0x0
	v_add_nc_u64_e32 v[24:25], s[4:5], v[12:13]
	s_wait_loadcnt 0x0
	v_and_b32_e32 v3, 0xffff, v1
	v_readfirstlane_b32 s12, v1
	s_delay_alu instid0(VALU_DEP_2)
	v_cmp_gt_i32_e32 vcc_lo, 11, v3
	s_cbranch_vccnz .LBB87_1835
; %bb.1829:
	s_and_b32 s11, 0xffff, s12
	s_mov_b32 s14, 0
	s_cmp_gt_i32 s11, 25
	s_cbranch_scc0 .LBB87_1837
; %bb.1830:
	s_cmp_gt_i32 s11, 28
	s_cbranch_scc0 .LBB87_1838
; %bb.1831:
	s_cmp_gt_i32 s11, 43
	s_cbranch_scc0 .LBB87_1839
; %bb.1832:
	s_cmp_gt_i32 s11, 45
	s_cbranch_scc0 .LBB87_1841
; %bb.1833:
	s_cmp_eq_u32 s11, 46
	s_mov_b32 s16, 0
	s_cbranch_scc0 .LBB87_1842
; %bb.1834:
	global_load_b32 v1, v[24:25], off
	s_mov_b32 s13, 0
	s_mov_b32 s15, -1
	s_wait_loadcnt 0x0
	v_lshlrev_b32_e32 v1, 16, v1
	s_delay_alu instid0(VALU_DEP_1)
	v_cvt_i32_f32_e32 v12, v1
	s_branch .LBB87_1844
.LBB87_1835:
	s_mov_b32 s15, 0
                                        ; implicit-def: $vgpr12
	s_cbranch_execnz .LBB87_1906
.LBB87_1836:
	s_and_not1_b32 vcc_lo, exec_lo, s15
	s_cbranch_vccz .LBB87_1954
	s_branch .LBB87_3216
.LBB87_1837:
	s_mov_b32 s16, -1
	s_mov_b32 s15, 0
	s_mov_b32 s13, 0
                                        ; implicit-def: $vgpr12
	s_branch .LBB87_1871
.LBB87_1838:
	s_mov_b32 s16, -1
	s_mov_b32 s15, 0
	s_mov_b32 s13, 0
                                        ; implicit-def: $vgpr12
	s_branch .LBB87_1854
.LBB87_1839:
	s_mov_b32 s16, -1
	s_mov_b32 s15, 0
	s_mov_b32 s13, 0
                                        ; implicit-def: $vgpr12
	s_branch .LBB87_1849
.LBB87_1840:
	s_or_b32 s8, s8, exec_lo
	s_trap 2
	s_cbranch_execz .LBB87_1779
	s_branch .LBB87_1780
.LBB87_1841:
	s_mov_b32 s16, -1
	s_mov_b32 s15, 0
	s_mov_b32 s13, 0
	s_branch .LBB87_1843
.LBB87_1842:
	s_mov_b32 s13, -1
	s_mov_b32 s15, 0
.LBB87_1843:
                                        ; implicit-def: $vgpr12
.LBB87_1844:
	s_and_b32 vcc_lo, exec_lo, s16
	s_cbranch_vccz .LBB87_1848
; %bb.1845:
	s_cmp_eq_u32 s11, 44
	s_cbranch_scc0 .LBB87_1847
; %bb.1846:
	global_load_u8 v1, v[24:25], off
	s_mov_b32 s13, 0
	s_mov_b32 s15, -1
	s_wait_loadcnt 0x0
	v_lshlrev_b32_e32 v3, 23, v1
	v_cmp_ne_u32_e32 vcc_lo, 0, v1
	s_delay_alu instid0(VALU_DEP_2) | instskip(NEXT) | instid1(VALU_DEP_1)
	v_cvt_i32_f32_e32 v3, v3
	v_cndmask_b32_e32 v12, 0, v3, vcc_lo
	s_branch .LBB87_1848
.LBB87_1847:
	s_mov_b32 s13, -1
                                        ; implicit-def: $vgpr12
.LBB87_1848:
	s_mov_b32 s16, 0
.LBB87_1849:
	s_delay_alu instid0(SALU_CYCLE_1)
	s_and_b32 vcc_lo, exec_lo, s16
	s_cbranch_vccz .LBB87_1853
; %bb.1850:
	s_cmp_eq_u32 s11, 29
	s_cbranch_scc0 .LBB87_1852
; %bb.1851:
	global_load_b64 v[12:13], v[24:25], off
	s_mov_b32 s13, 0
	s_mov_b32 s15, -1
	s_branch .LBB87_1853
.LBB87_1852:
	s_mov_b32 s13, -1
                                        ; implicit-def: $vgpr12
.LBB87_1853:
	s_mov_b32 s16, 0
.LBB87_1854:
	s_delay_alu instid0(SALU_CYCLE_1)
	s_and_b32 vcc_lo, exec_lo, s16
	s_cbranch_vccz .LBB87_1870
; %bb.1855:
	s_cmp_lt_i32 s11, 27
	s_cbranch_scc1 .LBB87_1858
; %bb.1856:
	s_cmp_gt_i32 s11, 27
	s_cbranch_scc0 .LBB87_1859
; %bb.1857:
	s_wait_loadcnt 0x0
	global_load_b32 v12, v[24:25], off
	s_mov_b32 s15, 0
	s_branch .LBB87_1860
.LBB87_1858:
	s_mov_b32 s15, -1
                                        ; implicit-def: $vgpr12
	s_branch .LBB87_1863
.LBB87_1859:
	s_mov_b32 s15, -1
                                        ; implicit-def: $vgpr12
.LBB87_1860:
	s_delay_alu instid0(SALU_CYCLE_1)
	s_and_not1_b32 vcc_lo, exec_lo, s15
	s_cbranch_vccnz .LBB87_1862
; %bb.1861:
	s_wait_loadcnt 0x0
	global_load_u16 v12, v[24:25], off
.LBB87_1862:
	s_mov_b32 s15, 0
.LBB87_1863:
	s_delay_alu instid0(SALU_CYCLE_1)
	s_and_not1_b32 vcc_lo, exec_lo, s15
	s_cbranch_vccnz .LBB87_1869
; %bb.1864:
	global_load_u8 v1, v[24:25], off
	s_mov_b32 s16, 0
	s_mov_b32 s15, exec_lo
	s_wait_loadcnt 0x0
	v_cmpx_lt_i16_e32 0x7f, v1
	s_xor_b32 s15, exec_lo, s15
	s_cbranch_execz .LBB87_1881
; %bb.1865:
	v_cmp_ne_u16_e32 vcc_lo, 0x80, v1
	s_and_b32 s16, vcc_lo, exec_lo
	s_and_not1_saveexec_b32 s15, s15
	s_cbranch_execnz .LBB87_1882
.LBB87_1866:
	s_or_b32 exec_lo, exec_lo, s15
	v_mov_b32_e32 v12, 0
	s_and_saveexec_b32 s15, s16
	s_cbranch_execz .LBB87_1868
.LBB87_1867:
	v_and_b32_e32 v3, 0xffff, v1
	s_delay_alu instid0(VALU_DEP_1) | instskip(SKIP_1) | instid1(VALU_DEP_2)
	v_dual_lshlrev_b32 v1, 24, v1 :: v_dual_bitop2_b32 v5, 7, v3 bitop3:0x40
	v_bfe_u32 v11, v3, 3, 4
	v_and_b32_e32 v1, 0x80000000, v1
	s_delay_alu instid0(VALU_DEP_3) | instskip(NEXT) | instid1(VALU_DEP_3)
	v_clz_i32_u32_e32 v7, v5
	v_cmp_eq_u32_e32 vcc_lo, 0, v11
	s_delay_alu instid0(VALU_DEP_2) | instskip(NEXT) | instid1(VALU_DEP_1)
	v_min_u32_e32 v7, 32, v7
	v_subrev_nc_u32_e32 v9, 28, v7
	v_sub_nc_u32_e32 v7, 29, v7
	s_delay_alu instid0(VALU_DEP_2) | instskip(NEXT) | instid1(VALU_DEP_2)
	v_lshlrev_b32_e32 v3, v9, v3
	v_cndmask_b32_e32 v7, v11, v7, vcc_lo
	s_delay_alu instid0(VALU_DEP_2) | instskip(NEXT) | instid1(VALU_DEP_1)
	v_and_b32_e32 v3, 7, v3
	v_cndmask_b32_e32 v3, v5, v3, vcc_lo
	s_delay_alu instid0(VALU_DEP_3) | instskip(NEXT) | instid1(VALU_DEP_2)
	v_lshl_add_u32 v5, v7, 23, 0x3b800000
	v_lshlrev_b32_e32 v3, 20, v3
	s_delay_alu instid0(VALU_DEP_1) | instskip(NEXT) | instid1(VALU_DEP_1)
	v_or3_b32 v1, v1, v5, v3
	v_cvt_i32_f32_e32 v12, v1
.LBB87_1868:
	s_or_b32 exec_lo, exec_lo, s15
.LBB87_1869:
	s_mov_b32 s15, -1
.LBB87_1870:
	s_mov_b32 s16, 0
.LBB87_1871:
	s_delay_alu instid0(SALU_CYCLE_1)
	s_and_b32 vcc_lo, exec_lo, s16
	s_cbranch_vccz .LBB87_1902
; %bb.1872:
	s_cmp_gt_i32 s11, 22
	s_cbranch_scc0 .LBB87_1880
; %bb.1873:
	s_cmp_lt_i32 s11, 24
	s_cbranch_scc1 .LBB87_1883
; %bb.1874:
	s_cmp_gt_i32 s11, 24
	s_cbranch_scc0 .LBB87_1884
; %bb.1875:
	global_load_u8 v1, v[24:25], off
	s_mov_b32 s15, 0
	s_mov_b32 s14, exec_lo
	s_wait_loadcnt 0x0
	v_cmpx_lt_i16_e32 0x7f, v1
	s_xor_b32 s14, exec_lo, s14
	s_cbranch_execz .LBB87_1896
; %bb.1876:
	v_cmp_ne_u16_e32 vcc_lo, 0x80, v1
	s_and_b32 s15, vcc_lo, exec_lo
	s_and_not1_saveexec_b32 s14, s14
	s_cbranch_execnz .LBB87_1897
.LBB87_1877:
	s_or_b32 exec_lo, exec_lo, s14
	v_mov_b32_e32 v12, 0
	s_and_saveexec_b32 s14, s15
	s_cbranch_execz .LBB87_1879
.LBB87_1878:
	v_and_b32_e32 v3, 0xffff, v1
	s_delay_alu instid0(VALU_DEP_1) | instskip(SKIP_1) | instid1(VALU_DEP_2)
	v_dual_lshlrev_b32 v1, 24, v1 :: v_dual_bitop2_b32 v5, 3, v3 bitop3:0x40
	v_bfe_u32 v11, v3, 2, 5
	v_and_b32_e32 v1, 0x80000000, v1
	s_delay_alu instid0(VALU_DEP_3) | instskip(NEXT) | instid1(VALU_DEP_3)
	v_clz_i32_u32_e32 v7, v5
	v_cmp_eq_u32_e32 vcc_lo, 0, v11
	s_delay_alu instid0(VALU_DEP_2) | instskip(NEXT) | instid1(VALU_DEP_1)
	v_min_u32_e32 v7, 32, v7
	v_subrev_nc_u32_e32 v9, 29, v7
	v_sub_nc_u32_e32 v7, 30, v7
	s_delay_alu instid0(VALU_DEP_2) | instskip(NEXT) | instid1(VALU_DEP_2)
	v_lshlrev_b32_e32 v3, v9, v3
	v_cndmask_b32_e32 v7, v11, v7, vcc_lo
	s_delay_alu instid0(VALU_DEP_2) | instskip(NEXT) | instid1(VALU_DEP_1)
	v_and_b32_e32 v3, 3, v3
	v_cndmask_b32_e32 v3, v5, v3, vcc_lo
	s_delay_alu instid0(VALU_DEP_3) | instskip(NEXT) | instid1(VALU_DEP_2)
	v_lshl_add_u32 v5, v7, 23, 0x37800000
	v_lshlrev_b32_e32 v3, 21, v3
	s_delay_alu instid0(VALU_DEP_1) | instskip(NEXT) | instid1(VALU_DEP_1)
	v_or3_b32 v1, v1, v5, v3
	v_cvt_i32_f32_e32 v12, v1
.LBB87_1879:
	s_or_b32 exec_lo, exec_lo, s14
	s_mov_b32 s14, 0
	s_branch .LBB87_1885
.LBB87_1880:
	s_mov_b32 s14, -1
                                        ; implicit-def: $vgpr12
	s_branch .LBB87_1891
.LBB87_1881:
	s_and_not1_saveexec_b32 s15, s15
	s_cbranch_execz .LBB87_1866
.LBB87_1882:
	v_cmp_ne_u16_e32 vcc_lo, 0, v1
	s_and_not1_b32 s16, s16, exec_lo
	s_and_b32 s17, vcc_lo, exec_lo
	s_delay_alu instid0(SALU_CYCLE_1)
	s_or_b32 s16, s16, s17
	s_or_b32 exec_lo, exec_lo, s15
	v_mov_b32_e32 v12, 0
	s_and_saveexec_b32 s15, s16
	s_cbranch_execnz .LBB87_1867
	s_branch .LBB87_1868
.LBB87_1883:
	s_mov_b32 s14, -1
                                        ; implicit-def: $vgpr12
	s_branch .LBB87_1888
.LBB87_1884:
	s_mov_b32 s14, -1
                                        ; implicit-def: $vgpr12
.LBB87_1885:
	s_delay_alu instid0(SALU_CYCLE_1)
	s_and_b32 vcc_lo, exec_lo, s14
	s_cbranch_vccz .LBB87_1887
; %bb.1886:
	global_load_u8 v1, v[24:25], off
	s_wait_loadcnt 0x0
	v_lshlrev_b32_e32 v1, 24, v1
	s_delay_alu instid0(VALU_DEP_1) | instskip(NEXT) | instid1(VALU_DEP_1)
	v_and_b32_e32 v3, 0x7f000000, v1
	v_clz_i32_u32_e32 v5, v3
	v_add_nc_u32_e32 v9, 0x1000000, v3
	v_cmp_ne_u32_e32 vcc_lo, 0, v3
	s_delay_alu instid0(VALU_DEP_3) | instskip(NEXT) | instid1(VALU_DEP_1)
	v_min_u32_e32 v5, 32, v5
	v_sub_nc_u32_e64 v5, v5, 4 clamp
	s_delay_alu instid0(VALU_DEP_1) | instskip(NEXT) | instid1(VALU_DEP_1)
	v_dual_lshlrev_b32 v7, v5, v3 :: v_dual_lshlrev_b32 v5, 23, v5
	v_lshrrev_b32_e32 v7, 4, v7
	s_delay_alu instid0(VALU_DEP_1) | instskip(SKIP_1) | instid1(VALU_DEP_2)
	v_sub_nc_u32_e32 v5, v7, v5
	v_ashrrev_i32_e32 v7, 8, v9
	v_add_nc_u32_e32 v5, 0x3c000000, v5
	s_delay_alu instid0(VALU_DEP_1) | instskip(NEXT) | instid1(VALU_DEP_1)
	v_and_or_b32 v5, 0x7f800000, v7, v5
	v_cndmask_b32_e32 v3, 0, v5, vcc_lo
	s_delay_alu instid0(VALU_DEP_1) | instskip(NEXT) | instid1(VALU_DEP_1)
	v_and_or_b32 v1, 0x80000000, v1, v3
	v_cvt_i32_f32_e32 v12, v1
.LBB87_1887:
	s_mov_b32 s14, 0
.LBB87_1888:
	s_delay_alu instid0(SALU_CYCLE_1)
	s_and_not1_b32 vcc_lo, exec_lo, s14
	s_cbranch_vccnz .LBB87_1890
; %bb.1889:
	global_load_u8 v1, v[24:25], off
	s_wait_loadcnt 0x0
	v_lshlrev_b32_e32 v3, 25, v1
	v_lshlrev_b16 v1, 8, v1
	s_delay_alu instid0(VALU_DEP_1) | instskip(SKIP_1) | instid1(VALU_DEP_2)
	v_and_or_b32 v7, 0x7f00, v1, 0.5
	v_bfe_i32 v1, v1, 0, 16
	v_add_f32_e32 v7, -0.5, v7
	v_lshrrev_b32_e32 v5, 4, v3
	v_cmp_gt_u32_e32 vcc_lo, 0x8000000, v3
	s_delay_alu instid0(VALU_DEP_2) | instskip(NEXT) | instid1(VALU_DEP_1)
	v_or_b32_e32 v5, 0x70000000, v5
	v_mul_f32_e32 v5, 0x7800000, v5
	s_delay_alu instid0(VALU_DEP_1) | instskip(NEXT) | instid1(VALU_DEP_1)
	v_cndmask_b32_e32 v3, v5, v7, vcc_lo
	v_and_or_b32 v1, 0x80000000, v1, v3
	s_delay_alu instid0(VALU_DEP_1)
	v_cvt_i32_f32_e32 v12, v1
.LBB87_1890:
	s_mov_b32 s14, 0
	s_mov_b32 s15, -1
.LBB87_1891:
	s_and_not1_b32 vcc_lo, exec_lo, s14
	s_mov_b32 s14, 0
	s_cbranch_vccnz .LBB87_1902
; %bb.1892:
	s_cmp_gt_i32 s11, 14
	s_cbranch_scc0 .LBB87_1895
; %bb.1893:
	s_cmp_eq_u32 s11, 15
	s_cbranch_scc0 .LBB87_1898
; %bb.1894:
	global_load_u16 v1, v[24:25], off
	s_mov_b32 s13, 0
	s_mov_b32 s15, -1
	s_wait_loadcnt 0x0
	v_lshlrev_b32_e32 v1, 16, v1
	s_delay_alu instid0(VALU_DEP_1)
	v_cvt_i32_f32_e32 v12, v1
	s_branch .LBB87_1900
.LBB87_1895:
	s_mov_b32 s14, -1
	s_branch .LBB87_1899
.LBB87_1896:
	s_and_not1_saveexec_b32 s14, s14
	s_cbranch_execz .LBB87_1877
.LBB87_1897:
	v_cmp_ne_u16_e32 vcc_lo, 0, v1
	s_and_not1_b32 s15, s15, exec_lo
	s_and_b32 s16, vcc_lo, exec_lo
	s_delay_alu instid0(SALU_CYCLE_1)
	s_or_b32 s15, s15, s16
	s_or_b32 exec_lo, exec_lo, s14
	v_mov_b32_e32 v12, 0
	s_and_saveexec_b32 s14, s15
	s_cbranch_execnz .LBB87_1878
	s_branch .LBB87_1879
.LBB87_1898:
	s_mov_b32 s13, -1
.LBB87_1899:
                                        ; implicit-def: $vgpr12
.LBB87_1900:
	s_and_b32 vcc_lo, exec_lo, s14
	s_mov_b32 s14, 0
	s_cbranch_vccz .LBB87_1902
; %bb.1901:
	s_cmp_lg_u32 s11, 11
	s_mov_b32 s14, -1
	s_cselect_b32 s13, -1, 0
.LBB87_1902:
	s_delay_alu instid0(SALU_CYCLE_1)
	s_and_b32 vcc_lo, exec_lo, s13
	s_cbranch_vccnz .LBB87_1984
; %bb.1903:
	s_and_not1_b32 vcc_lo, exec_lo, s14
	s_cbranch_vccnz .LBB87_1905
.LBB87_1904:
	global_load_u8 v1, v[24:25], off
	s_mov_b32 s15, -1
	s_wait_loadcnt 0x0
	v_cmp_ne_u16_e32 vcc_lo, 0, v1
	v_cndmask_b32_e64 v12, 0, 1, vcc_lo
.LBB87_1905:
	s_branch .LBB87_1836
.LBB87_1906:
	s_and_b32 s11, 0xffff, s12
	s_delay_alu instid0(SALU_CYCLE_1)
	s_cmp_lt_i32 s11, 5
	s_cbranch_scc1 .LBB87_1911
; %bb.1907:
	s_cmp_lt_i32 s11, 8
	s_cbranch_scc1 .LBB87_1912
; %bb.1908:
	;; [unrolled: 3-line block ×3, first 2 shown]
	s_cmp_gt_i32 s11, 9
	s_cbranch_scc0 .LBB87_1914
; %bb.1910:
	s_wait_loadcnt 0x0
	global_load_b64 v[12:13], v[24:25], off
	s_mov_b32 s13, 0
	s_wait_loadcnt 0x0
	v_cvt_i32_f64_e32 v12, v[12:13]
	s_branch .LBB87_1915
.LBB87_1911:
	s_mov_b32 s13, -1
                                        ; implicit-def: $vgpr12
	s_branch .LBB87_1933
.LBB87_1912:
	s_mov_b32 s13, -1
                                        ; implicit-def: $vgpr12
	s_branch .LBB87_1921
.LBB87_1913:
	s_mov_b32 s13, -1
                                        ; implicit-def: $vgpr12
	s_branch .LBB87_1918
.LBB87_1914:
	s_mov_b32 s13, -1
                                        ; implicit-def: $vgpr12
.LBB87_1915:
	s_delay_alu instid0(SALU_CYCLE_1)
	s_and_not1_b32 vcc_lo, exec_lo, s13
	s_cbranch_vccnz .LBB87_1917
; %bb.1916:
	global_load_b32 v1, v[24:25], off
	s_wait_loadcnt 0x0
	v_cvt_i32_f32_e32 v12, v1
.LBB87_1917:
	s_mov_b32 s13, 0
.LBB87_1918:
	s_delay_alu instid0(SALU_CYCLE_1)
	s_and_not1_b32 vcc_lo, exec_lo, s13
	s_cbranch_vccnz .LBB87_1920
; %bb.1919:
	global_load_b32 v1, v[24:25], off
	s_wait_loadcnt 0x0
	v_cvt_i16_f16_e32 v12, v1
.LBB87_1920:
	s_mov_b32 s13, 0
.LBB87_1921:
	s_delay_alu instid0(SALU_CYCLE_1)
	s_and_not1_b32 vcc_lo, exec_lo, s13
	s_cbranch_vccnz .LBB87_1932
; %bb.1922:
	s_cmp_lt_i32 s11, 6
	s_cbranch_scc1 .LBB87_1925
; %bb.1923:
	s_cmp_gt_i32 s11, 6
	s_cbranch_scc0 .LBB87_1926
; %bb.1924:
	s_wait_loadcnt 0x0
	global_load_b64 v[12:13], v[24:25], off
	s_mov_b32 s13, 0
	s_wait_loadcnt 0x0
	v_cvt_i32_f64_e32 v12, v[12:13]
	s_branch .LBB87_1927
.LBB87_1925:
	s_mov_b32 s13, -1
                                        ; implicit-def: $vgpr12
	s_branch .LBB87_1930
.LBB87_1926:
	s_mov_b32 s13, -1
                                        ; implicit-def: $vgpr12
.LBB87_1927:
	s_delay_alu instid0(SALU_CYCLE_1)
	s_and_not1_b32 vcc_lo, exec_lo, s13
	s_cbranch_vccnz .LBB87_1929
; %bb.1928:
	global_load_b32 v1, v[24:25], off
	s_wait_loadcnt 0x0
	v_cvt_i32_f32_e32 v12, v1
.LBB87_1929:
	s_mov_b32 s13, 0
.LBB87_1930:
	s_delay_alu instid0(SALU_CYCLE_1)
	s_and_not1_b32 vcc_lo, exec_lo, s13
	s_cbranch_vccnz .LBB87_1932
; %bb.1931:
	global_load_u16 v1, v[24:25], off
	s_wait_loadcnt 0x0
	v_cvt_i16_f16_e32 v12, v1
.LBB87_1932:
	s_mov_b32 s13, 0
.LBB87_1933:
	s_delay_alu instid0(SALU_CYCLE_1)
	s_and_not1_b32 vcc_lo, exec_lo, s13
	s_cbranch_vccnz .LBB87_1953
; %bb.1934:
	s_cmp_lt_i32 s11, 2
	s_cbranch_scc1 .LBB87_1938
; %bb.1935:
	s_cmp_lt_i32 s11, 3
	s_cbranch_scc1 .LBB87_1939
; %bb.1936:
	s_cmp_gt_i32 s11, 3
	s_cbranch_scc0 .LBB87_1940
; %bb.1937:
	s_wait_loadcnt 0x0
	global_load_b64 v[12:13], v[24:25], off
	s_mov_b32 s13, 0
	s_branch .LBB87_1941
.LBB87_1938:
	s_mov_b32 s13, -1
                                        ; implicit-def: $vgpr12
	s_branch .LBB87_1947
.LBB87_1939:
	s_mov_b32 s13, -1
                                        ; implicit-def: $vgpr12
	s_branch .LBB87_1944
.LBB87_1940:
	s_mov_b32 s13, -1
                                        ; implicit-def: $vgpr12
.LBB87_1941:
	s_delay_alu instid0(SALU_CYCLE_1)
	s_and_not1_b32 vcc_lo, exec_lo, s13
	s_cbranch_vccnz .LBB87_1943
; %bb.1942:
	s_wait_loadcnt 0x0
	global_load_b32 v12, v[24:25], off
.LBB87_1943:
	s_mov_b32 s13, 0
.LBB87_1944:
	s_delay_alu instid0(SALU_CYCLE_1)
	s_and_not1_b32 vcc_lo, exec_lo, s13
	s_cbranch_vccnz .LBB87_1946
; %bb.1945:
	s_wait_loadcnt 0x0
	global_load_u16 v12, v[24:25], off
.LBB87_1946:
	s_mov_b32 s13, 0
.LBB87_1947:
	s_delay_alu instid0(SALU_CYCLE_1)
	s_and_not1_b32 vcc_lo, exec_lo, s13
	s_cbranch_vccnz .LBB87_1953
; %bb.1948:
	s_cmp_gt_i32 s11, 0
	s_mov_b32 s11, 0
	s_cbranch_scc0 .LBB87_1950
; %bb.1949:
	s_wait_loadcnt 0x0
	global_load_i8 v12, v[24:25], off
	s_branch .LBB87_1951
.LBB87_1950:
	s_mov_b32 s11, -1
                                        ; implicit-def: $vgpr12
.LBB87_1951:
	s_delay_alu instid0(SALU_CYCLE_1)
	s_and_not1_b32 vcc_lo, exec_lo, s11
	s_cbranch_vccnz .LBB87_1953
; %bb.1952:
	s_wait_loadcnt 0x0
	global_load_u8 v12, v[24:25], off
.LBB87_1953:
.LBB87_1954:
	s_and_b32 s11, 0xffff, s9
	s_delay_alu instid0(SALU_CYCLE_1)
	s_cmp_lt_i32 s11, 23
	s_cbranch_scc1 .LBB87_1958
; %bb.1955:
	s_cmp_gt_i32 s11, 43
	s_cbranch_scc0 .LBB87_1959
; %bb.1956:
	s_cmp_gt_i32 s11, 45
	s_cbranch_scc0 .LBB87_1960
; %bb.1957:
	s_cmp_lg_u32 s11, 46
	s_mov_b32 s14, 0
	s_mov_b32 s9, -1
	s_cselect_b32 s13, -1, 0
	s_branch .LBB87_1961
.LBB87_1958:
	s_mov_b32 s14, -1
	s_mov_b32 s9, 0
	s_mov_b32 s13, 0
	s_branch .LBB87_1967
.LBB87_1959:
	s_mov_b32 s14, -1
	s_mov_b32 s9, 0
	s_mov_b32 s13, 0
	s_branch .LBB87_1964
.LBB87_1960:
	s_mov_b32 s14, -1
	s_mov_b32 s9, 0
	s_mov_b32 s13, 0
.LBB87_1961:
	s_and_not1_b32 vcc_lo, exec_lo, s14
	s_cbranch_vccnz .LBB87_1963
; %bb.1962:
	s_cmp_eq_u32 s11, 44
	s_cselect_b32 s9, -1, 0
	s_cmp_lg_u32 s11, 44
	s_cselect_b32 s13, -1, 0
.LBB87_1963:
	s_mov_b32 s14, 0
.LBB87_1964:
	s_delay_alu instid0(SALU_CYCLE_1)
	s_and_b32 vcc_lo, exec_lo, s14
	s_cbranch_vccz .LBB87_1966
; %bb.1965:
	s_cmp_lt_i32 s11, 30
	s_cselect_b32 s9, -1, 0
	s_cmp_gt_i32 s11, 29
	s_cselect_b32 s13, -1, 0
.LBB87_1966:
	s_mov_b32 s14, 0
.LBB87_1967:
	s_delay_alu instid0(SALU_CYCLE_1)
	s_and_b32 vcc_lo, exec_lo, s14
	s_cbranch_vccz .LBB87_1972
; %bb.1968:
	s_cmp_gt_i32 s11, 14
	s_mov_b32 s14, -1
	s_cbranch_scc0 .LBB87_1970
; %bb.1969:
	s_cmp_eq_u32 s11, 15
	s_mov_b32 s14, 0
	s_cselect_b32 s9, -1, 0
	s_cmp_lg_u32 s11, 15
	s_cselect_b32 s13, -1, 0
.LBB87_1970:
	s_and_not1_b32 vcc_lo, exec_lo, s14
	s_cbranch_vccnz .LBB87_1972
; %bb.1971:
	s_cmp_lt_i32 s11, 12
	s_cselect_b32 s9, -1, 0
	s_cmp_gt_i32 s11, 11
	s_cselect_b32 s13, -1, 0
.LBB87_1972:
	s_delay_alu instid0(SALU_CYCLE_1)
	s_and_b32 vcc_lo, exec_lo, s13
	s_cbranch_vccnz .LBB87_1985
; %bb.1973:
	s_and_not1_b32 vcc_lo, exec_lo, s9
	s_cbranch_vccnz .LBB87_3216
.LBB87_1974:
	v_mov_b32_e32 v15, 0
	s_and_b32 s9, 0xffff, s10
	s_delay_alu instid0(SALU_CYCLE_1) | instskip(SKIP_1) | instid1(VALU_DEP_1)
	s_cmp_lt_i32 s9, 11
	s_wait_xcnt 0x0
	v_add_nc_u64_e32 v[24:25], s[0:1], v[14:15]
	s_cbranch_scc1 .LBB87_1981
; %bb.1975:
	s_cmp_gt_i32 s9, 25
	s_mov_b32 s13, 0
	s_cbranch_scc0 .LBB87_1982
; %bb.1976:
	s_cmp_gt_i32 s9, 28
	s_cbranch_scc0 .LBB87_1983
; %bb.1977:
	s_cmp_gt_i32 s9, 43
	;; [unrolled: 3-line block ×3, first 2 shown]
	s_cbranch_scc0 .LBB87_1987
; %bb.1979:
	s_cmp_eq_u32 s9, 46
	s_mov_b32 s15, 0
	s_cbranch_scc0 .LBB87_1988
; %bb.1980:
	global_load_b32 v1, v[24:25], off
	s_mov_b32 s10, 0
	s_mov_b32 s14, -1
	s_wait_loadcnt 0x0
	v_lshlrev_b32_e32 v1, 16, v1
	s_delay_alu instid0(VALU_DEP_1)
	v_cvt_i32_f32_e32 v14, v1
	s_branch .LBB87_1990
.LBB87_1981:
	s_mov_b32 s10, -1
	s_mov_b32 s14, 0
                                        ; implicit-def: $vgpr14
	s_branch .LBB87_2052
.LBB87_1982:
	s_mov_b32 s15, -1
	s_mov_b32 s14, 0
	s_mov_b32 s10, 0
                                        ; implicit-def: $vgpr14
	s_branch .LBB87_2017
.LBB87_1983:
	s_mov_b32 s15, -1
	s_mov_b32 s14, 0
	s_mov_b32 s10, 0
                                        ; implicit-def: $vgpr14
	s_branch .LBB87_2000
.LBB87_1984:
	s_or_b32 s8, s8, exec_lo
	s_trap 2
	s_cbranch_execz .LBB87_1904
	s_branch .LBB87_1905
.LBB87_1985:
	s_or_b32 s8, s8, exec_lo
	s_trap 2
	s_cbranch_execz .LBB87_1974
	s_branch .LBB87_3216
.LBB87_1986:
	s_mov_b32 s15, -1
	s_mov_b32 s14, 0
	s_mov_b32 s10, 0
                                        ; implicit-def: $vgpr14
	s_branch .LBB87_1995
.LBB87_1987:
	s_mov_b32 s15, -1
	s_mov_b32 s14, 0
	s_mov_b32 s10, 0
	s_branch .LBB87_1989
.LBB87_1988:
	s_mov_b32 s10, -1
	s_mov_b32 s14, 0
.LBB87_1989:
                                        ; implicit-def: $vgpr14
.LBB87_1990:
	s_and_b32 vcc_lo, exec_lo, s15
	s_cbranch_vccz .LBB87_1994
; %bb.1991:
	s_cmp_eq_u32 s9, 44
	s_cbranch_scc0 .LBB87_1993
; %bb.1992:
	global_load_u8 v1, v[24:25], off
	s_mov_b32 s10, 0
	s_mov_b32 s14, -1
	s_wait_loadcnt 0x0
	v_lshlrev_b32_e32 v3, 23, v1
	v_cmp_ne_u32_e32 vcc_lo, 0, v1
	s_delay_alu instid0(VALU_DEP_2) | instskip(NEXT) | instid1(VALU_DEP_1)
	v_cvt_i32_f32_e32 v3, v3
	v_cndmask_b32_e32 v14, 0, v3, vcc_lo
	s_branch .LBB87_1994
.LBB87_1993:
	s_mov_b32 s10, -1
                                        ; implicit-def: $vgpr14
.LBB87_1994:
	s_mov_b32 s15, 0
.LBB87_1995:
	s_delay_alu instid0(SALU_CYCLE_1)
	s_and_b32 vcc_lo, exec_lo, s15
	s_cbranch_vccz .LBB87_1999
; %bb.1996:
	s_cmp_eq_u32 s9, 29
	s_cbranch_scc0 .LBB87_1998
; %bb.1997:
	global_load_b64 v[14:15], v[24:25], off
	s_mov_b32 s10, 0
	s_mov_b32 s14, -1
	s_branch .LBB87_1999
.LBB87_1998:
	s_mov_b32 s10, -1
                                        ; implicit-def: $vgpr14
.LBB87_1999:
	s_mov_b32 s15, 0
.LBB87_2000:
	s_delay_alu instid0(SALU_CYCLE_1)
	s_and_b32 vcc_lo, exec_lo, s15
	s_cbranch_vccz .LBB87_2016
; %bb.2001:
	s_cmp_lt_i32 s9, 27
	s_cbranch_scc1 .LBB87_2004
; %bb.2002:
	s_cmp_gt_i32 s9, 27
	s_cbranch_scc0 .LBB87_2005
; %bb.2003:
	s_wait_loadcnt 0x0
	global_load_b32 v14, v[24:25], off
	s_mov_b32 s14, 0
	s_branch .LBB87_2006
.LBB87_2004:
	s_mov_b32 s14, -1
                                        ; implicit-def: $vgpr14
	s_branch .LBB87_2009
.LBB87_2005:
	s_mov_b32 s14, -1
                                        ; implicit-def: $vgpr14
.LBB87_2006:
	s_delay_alu instid0(SALU_CYCLE_1)
	s_and_not1_b32 vcc_lo, exec_lo, s14
	s_cbranch_vccnz .LBB87_2008
; %bb.2007:
	s_wait_loadcnt 0x0
	global_load_u16 v14, v[24:25], off
.LBB87_2008:
	s_mov_b32 s14, 0
.LBB87_2009:
	s_delay_alu instid0(SALU_CYCLE_1)
	s_and_not1_b32 vcc_lo, exec_lo, s14
	s_cbranch_vccnz .LBB87_2015
; %bb.2010:
	global_load_u8 v1, v[24:25], off
	s_mov_b32 s15, 0
	s_mov_b32 s14, exec_lo
	s_wait_loadcnt 0x0
	v_cmpx_lt_i16_e32 0x7f, v1
	s_xor_b32 s14, exec_lo, s14
	s_cbranch_execz .LBB87_2027
; %bb.2011:
	v_cmp_ne_u16_e32 vcc_lo, 0x80, v1
	s_and_b32 s15, vcc_lo, exec_lo
	s_and_not1_saveexec_b32 s14, s14
	s_cbranch_execnz .LBB87_2028
.LBB87_2012:
	s_or_b32 exec_lo, exec_lo, s14
	v_mov_b32_e32 v14, 0
	s_and_saveexec_b32 s14, s15
	s_cbranch_execz .LBB87_2014
.LBB87_2013:
	v_and_b32_e32 v3, 0xffff, v1
	s_delay_alu instid0(VALU_DEP_1) | instskip(SKIP_1) | instid1(VALU_DEP_2)
	v_dual_lshlrev_b32 v1, 24, v1 :: v_dual_bitop2_b32 v5, 7, v3 bitop3:0x40
	v_bfe_u32 v11, v3, 3, 4
	v_and_b32_e32 v1, 0x80000000, v1
	s_delay_alu instid0(VALU_DEP_3) | instskip(NEXT) | instid1(VALU_DEP_3)
	v_clz_i32_u32_e32 v7, v5
	v_cmp_eq_u32_e32 vcc_lo, 0, v11
	s_delay_alu instid0(VALU_DEP_2) | instskip(NEXT) | instid1(VALU_DEP_1)
	v_min_u32_e32 v7, 32, v7
	v_subrev_nc_u32_e32 v9, 28, v7
	v_sub_nc_u32_e32 v7, 29, v7
	s_delay_alu instid0(VALU_DEP_2) | instskip(NEXT) | instid1(VALU_DEP_2)
	v_lshlrev_b32_e32 v3, v9, v3
	v_cndmask_b32_e32 v7, v11, v7, vcc_lo
	s_delay_alu instid0(VALU_DEP_2) | instskip(NEXT) | instid1(VALU_DEP_1)
	v_and_b32_e32 v3, 7, v3
	v_cndmask_b32_e32 v3, v5, v3, vcc_lo
	s_delay_alu instid0(VALU_DEP_3) | instskip(NEXT) | instid1(VALU_DEP_2)
	v_lshl_add_u32 v5, v7, 23, 0x3b800000
	v_lshlrev_b32_e32 v3, 20, v3
	s_delay_alu instid0(VALU_DEP_1) | instskip(NEXT) | instid1(VALU_DEP_1)
	v_or3_b32 v1, v1, v5, v3
	v_cvt_i32_f32_e32 v14, v1
.LBB87_2014:
	s_or_b32 exec_lo, exec_lo, s14
.LBB87_2015:
	s_mov_b32 s14, -1
.LBB87_2016:
	s_mov_b32 s15, 0
.LBB87_2017:
	s_delay_alu instid0(SALU_CYCLE_1)
	s_and_b32 vcc_lo, exec_lo, s15
	s_cbranch_vccz .LBB87_2048
; %bb.2018:
	s_cmp_gt_i32 s9, 22
	s_cbranch_scc0 .LBB87_2026
; %bb.2019:
	s_cmp_lt_i32 s9, 24
	s_cbranch_scc1 .LBB87_2029
; %bb.2020:
	s_cmp_gt_i32 s9, 24
	s_cbranch_scc0 .LBB87_2030
; %bb.2021:
	global_load_u8 v1, v[24:25], off
	s_mov_b32 s14, 0
	s_mov_b32 s13, exec_lo
	s_wait_loadcnt 0x0
	v_cmpx_lt_i16_e32 0x7f, v1
	s_xor_b32 s13, exec_lo, s13
	s_cbranch_execz .LBB87_2042
; %bb.2022:
	v_cmp_ne_u16_e32 vcc_lo, 0x80, v1
	s_and_b32 s14, vcc_lo, exec_lo
	s_and_not1_saveexec_b32 s13, s13
	s_cbranch_execnz .LBB87_2043
.LBB87_2023:
	s_or_b32 exec_lo, exec_lo, s13
	v_mov_b32_e32 v14, 0
	s_and_saveexec_b32 s13, s14
	s_cbranch_execz .LBB87_2025
.LBB87_2024:
	v_and_b32_e32 v3, 0xffff, v1
	s_delay_alu instid0(VALU_DEP_1) | instskip(SKIP_1) | instid1(VALU_DEP_2)
	v_dual_lshlrev_b32 v1, 24, v1 :: v_dual_bitop2_b32 v5, 3, v3 bitop3:0x40
	v_bfe_u32 v11, v3, 2, 5
	v_and_b32_e32 v1, 0x80000000, v1
	s_delay_alu instid0(VALU_DEP_3) | instskip(NEXT) | instid1(VALU_DEP_3)
	v_clz_i32_u32_e32 v7, v5
	v_cmp_eq_u32_e32 vcc_lo, 0, v11
	s_delay_alu instid0(VALU_DEP_2) | instskip(NEXT) | instid1(VALU_DEP_1)
	v_min_u32_e32 v7, 32, v7
	v_subrev_nc_u32_e32 v9, 29, v7
	v_sub_nc_u32_e32 v7, 30, v7
	s_delay_alu instid0(VALU_DEP_2) | instskip(NEXT) | instid1(VALU_DEP_2)
	v_lshlrev_b32_e32 v3, v9, v3
	v_cndmask_b32_e32 v7, v11, v7, vcc_lo
	s_delay_alu instid0(VALU_DEP_2) | instskip(NEXT) | instid1(VALU_DEP_1)
	v_and_b32_e32 v3, 3, v3
	v_cndmask_b32_e32 v3, v5, v3, vcc_lo
	s_delay_alu instid0(VALU_DEP_3) | instskip(NEXT) | instid1(VALU_DEP_2)
	v_lshl_add_u32 v5, v7, 23, 0x37800000
	v_lshlrev_b32_e32 v3, 21, v3
	s_delay_alu instid0(VALU_DEP_1) | instskip(NEXT) | instid1(VALU_DEP_1)
	v_or3_b32 v1, v1, v5, v3
	v_cvt_i32_f32_e32 v14, v1
.LBB87_2025:
	s_or_b32 exec_lo, exec_lo, s13
	s_mov_b32 s13, 0
	s_branch .LBB87_2031
.LBB87_2026:
	s_mov_b32 s13, -1
                                        ; implicit-def: $vgpr14
	s_branch .LBB87_2037
.LBB87_2027:
	s_and_not1_saveexec_b32 s14, s14
	s_cbranch_execz .LBB87_2012
.LBB87_2028:
	v_cmp_ne_u16_e32 vcc_lo, 0, v1
	s_and_not1_b32 s15, s15, exec_lo
	s_and_b32 s16, vcc_lo, exec_lo
	s_delay_alu instid0(SALU_CYCLE_1)
	s_or_b32 s15, s15, s16
	s_or_b32 exec_lo, exec_lo, s14
	v_mov_b32_e32 v14, 0
	s_and_saveexec_b32 s14, s15
	s_cbranch_execnz .LBB87_2013
	s_branch .LBB87_2014
.LBB87_2029:
	s_mov_b32 s13, -1
                                        ; implicit-def: $vgpr14
	s_branch .LBB87_2034
.LBB87_2030:
	s_mov_b32 s13, -1
                                        ; implicit-def: $vgpr14
.LBB87_2031:
	s_delay_alu instid0(SALU_CYCLE_1)
	s_and_b32 vcc_lo, exec_lo, s13
	s_cbranch_vccz .LBB87_2033
; %bb.2032:
	global_load_u8 v1, v[24:25], off
	s_wait_loadcnt 0x0
	v_lshlrev_b32_e32 v1, 24, v1
	s_delay_alu instid0(VALU_DEP_1) | instskip(NEXT) | instid1(VALU_DEP_1)
	v_and_b32_e32 v3, 0x7f000000, v1
	v_clz_i32_u32_e32 v5, v3
	v_add_nc_u32_e32 v9, 0x1000000, v3
	v_cmp_ne_u32_e32 vcc_lo, 0, v3
	s_delay_alu instid0(VALU_DEP_3) | instskip(NEXT) | instid1(VALU_DEP_1)
	v_min_u32_e32 v5, 32, v5
	v_sub_nc_u32_e64 v5, v5, 4 clamp
	s_delay_alu instid0(VALU_DEP_1) | instskip(NEXT) | instid1(VALU_DEP_1)
	v_dual_lshlrev_b32 v7, v5, v3 :: v_dual_lshlrev_b32 v5, 23, v5
	v_lshrrev_b32_e32 v7, 4, v7
	s_delay_alu instid0(VALU_DEP_1) | instskip(SKIP_1) | instid1(VALU_DEP_2)
	v_sub_nc_u32_e32 v5, v7, v5
	v_ashrrev_i32_e32 v7, 8, v9
	v_add_nc_u32_e32 v5, 0x3c000000, v5
	s_delay_alu instid0(VALU_DEP_1) | instskip(NEXT) | instid1(VALU_DEP_1)
	v_and_or_b32 v5, 0x7f800000, v7, v5
	v_cndmask_b32_e32 v3, 0, v5, vcc_lo
	s_delay_alu instid0(VALU_DEP_1) | instskip(NEXT) | instid1(VALU_DEP_1)
	v_and_or_b32 v1, 0x80000000, v1, v3
	v_cvt_i32_f32_e32 v14, v1
.LBB87_2033:
	s_mov_b32 s13, 0
.LBB87_2034:
	s_delay_alu instid0(SALU_CYCLE_1)
	s_and_not1_b32 vcc_lo, exec_lo, s13
	s_cbranch_vccnz .LBB87_2036
; %bb.2035:
	global_load_u8 v1, v[24:25], off
	s_wait_loadcnt 0x0
	v_lshlrev_b32_e32 v3, 25, v1
	v_lshlrev_b16 v1, 8, v1
	s_delay_alu instid0(VALU_DEP_1) | instskip(SKIP_1) | instid1(VALU_DEP_2)
	v_and_or_b32 v7, 0x7f00, v1, 0.5
	v_bfe_i32 v1, v1, 0, 16
	v_add_f32_e32 v7, -0.5, v7
	v_lshrrev_b32_e32 v5, 4, v3
	v_cmp_gt_u32_e32 vcc_lo, 0x8000000, v3
	s_delay_alu instid0(VALU_DEP_2) | instskip(NEXT) | instid1(VALU_DEP_1)
	v_or_b32_e32 v5, 0x70000000, v5
	v_mul_f32_e32 v5, 0x7800000, v5
	s_delay_alu instid0(VALU_DEP_1) | instskip(NEXT) | instid1(VALU_DEP_1)
	v_cndmask_b32_e32 v3, v5, v7, vcc_lo
	v_and_or_b32 v1, 0x80000000, v1, v3
	s_delay_alu instid0(VALU_DEP_1)
	v_cvt_i32_f32_e32 v14, v1
.LBB87_2036:
	s_mov_b32 s13, 0
	s_mov_b32 s14, -1
.LBB87_2037:
	s_and_not1_b32 vcc_lo, exec_lo, s13
	s_mov_b32 s13, 0
	s_cbranch_vccnz .LBB87_2048
; %bb.2038:
	s_cmp_gt_i32 s9, 14
	s_cbranch_scc0 .LBB87_2041
; %bb.2039:
	s_cmp_eq_u32 s9, 15
	s_cbranch_scc0 .LBB87_2044
; %bb.2040:
	global_load_u16 v1, v[24:25], off
	s_mov_b32 s10, 0
	s_mov_b32 s14, -1
	s_wait_loadcnt 0x0
	v_lshlrev_b32_e32 v1, 16, v1
	s_delay_alu instid0(VALU_DEP_1)
	v_cvt_i32_f32_e32 v14, v1
	s_branch .LBB87_2046
.LBB87_2041:
	s_mov_b32 s13, -1
	s_branch .LBB87_2045
.LBB87_2042:
	s_and_not1_saveexec_b32 s13, s13
	s_cbranch_execz .LBB87_2023
.LBB87_2043:
	v_cmp_ne_u16_e32 vcc_lo, 0, v1
	s_and_not1_b32 s14, s14, exec_lo
	s_and_b32 s15, vcc_lo, exec_lo
	s_delay_alu instid0(SALU_CYCLE_1)
	s_or_b32 s14, s14, s15
	s_or_b32 exec_lo, exec_lo, s13
	v_mov_b32_e32 v14, 0
	s_and_saveexec_b32 s13, s14
	s_cbranch_execnz .LBB87_2024
	s_branch .LBB87_2025
.LBB87_2044:
	s_mov_b32 s10, -1
.LBB87_2045:
                                        ; implicit-def: $vgpr14
.LBB87_2046:
	s_and_b32 vcc_lo, exec_lo, s13
	s_mov_b32 s13, 0
	s_cbranch_vccz .LBB87_2048
; %bb.2047:
	s_cmp_lg_u32 s9, 11
	s_mov_b32 s13, -1
	s_cselect_b32 s10, -1, 0
.LBB87_2048:
	s_delay_alu instid0(SALU_CYCLE_1)
	s_and_b32 vcc_lo, exec_lo, s10
	s_cbranch_vccnz .LBB87_2113
; %bb.2049:
	s_and_not1_b32 vcc_lo, exec_lo, s13
	s_cbranch_vccnz .LBB87_2051
.LBB87_2050:
	global_load_u8 v1, v[24:25], off
	s_mov_b32 s14, -1
	s_wait_loadcnt 0x0
	v_cmp_ne_u16_e32 vcc_lo, 0, v1
	v_cndmask_b32_e64 v14, 0, 1, vcc_lo
.LBB87_2051:
	s_mov_b32 s10, 0
.LBB87_2052:
	s_delay_alu instid0(SALU_CYCLE_1)
	s_and_b32 vcc_lo, exec_lo, s10
	s_cbranch_vccz .LBB87_2101
; %bb.2053:
	s_cmp_lt_i32 s9, 5
	s_cbranch_scc1 .LBB87_2058
; %bb.2054:
	s_cmp_lt_i32 s9, 8
	s_cbranch_scc1 .LBB87_2059
	;; [unrolled: 3-line block ×3, first 2 shown]
; %bb.2056:
	s_cmp_gt_i32 s9, 9
	s_cbranch_scc0 .LBB87_2061
; %bb.2057:
	s_wait_loadcnt 0x0
	global_load_b64 v[14:15], v[24:25], off
	s_mov_b32 s10, 0
	s_wait_loadcnt 0x0
	v_cvt_i32_f64_e32 v14, v[14:15]
	s_branch .LBB87_2062
.LBB87_2058:
	s_mov_b32 s10, -1
                                        ; implicit-def: $vgpr14
	s_branch .LBB87_2080
.LBB87_2059:
	s_mov_b32 s10, -1
                                        ; implicit-def: $vgpr14
	s_branch .LBB87_2068
.LBB87_2060:
	s_mov_b32 s10, -1
                                        ; implicit-def: $vgpr14
	s_branch .LBB87_2065
.LBB87_2061:
	s_mov_b32 s10, -1
                                        ; implicit-def: $vgpr14
.LBB87_2062:
	s_delay_alu instid0(SALU_CYCLE_1)
	s_and_not1_b32 vcc_lo, exec_lo, s10
	s_cbranch_vccnz .LBB87_2064
; %bb.2063:
	global_load_b32 v1, v[24:25], off
	s_wait_loadcnt 0x0
	v_cvt_i32_f32_e32 v14, v1
.LBB87_2064:
	s_mov_b32 s10, 0
.LBB87_2065:
	s_delay_alu instid0(SALU_CYCLE_1)
	s_and_not1_b32 vcc_lo, exec_lo, s10
	s_cbranch_vccnz .LBB87_2067
; %bb.2066:
	global_load_b32 v1, v[24:25], off
	s_wait_loadcnt 0x0
	v_cvt_i16_f16_e32 v14, v1
.LBB87_2067:
	s_mov_b32 s10, 0
.LBB87_2068:
	s_delay_alu instid0(SALU_CYCLE_1)
	s_and_not1_b32 vcc_lo, exec_lo, s10
	s_cbranch_vccnz .LBB87_2079
; %bb.2069:
	s_cmp_lt_i32 s9, 6
	s_cbranch_scc1 .LBB87_2072
; %bb.2070:
	s_cmp_gt_i32 s9, 6
	s_cbranch_scc0 .LBB87_2073
; %bb.2071:
	s_wait_loadcnt 0x0
	global_load_b64 v[14:15], v[24:25], off
	s_mov_b32 s10, 0
	s_wait_loadcnt 0x0
	v_cvt_i32_f64_e32 v14, v[14:15]
	s_branch .LBB87_2074
.LBB87_2072:
	s_mov_b32 s10, -1
                                        ; implicit-def: $vgpr14
	s_branch .LBB87_2077
.LBB87_2073:
	s_mov_b32 s10, -1
                                        ; implicit-def: $vgpr14
.LBB87_2074:
	s_delay_alu instid0(SALU_CYCLE_1)
	s_and_not1_b32 vcc_lo, exec_lo, s10
	s_cbranch_vccnz .LBB87_2076
; %bb.2075:
	global_load_b32 v1, v[24:25], off
	s_wait_loadcnt 0x0
	v_cvt_i32_f32_e32 v14, v1
.LBB87_2076:
	s_mov_b32 s10, 0
.LBB87_2077:
	s_delay_alu instid0(SALU_CYCLE_1)
	s_and_not1_b32 vcc_lo, exec_lo, s10
	s_cbranch_vccnz .LBB87_2079
; %bb.2078:
	global_load_u16 v1, v[24:25], off
	s_wait_loadcnt 0x0
	v_cvt_i16_f16_e32 v14, v1
.LBB87_2079:
	s_mov_b32 s10, 0
.LBB87_2080:
	s_delay_alu instid0(SALU_CYCLE_1)
	s_and_not1_b32 vcc_lo, exec_lo, s10
	s_cbranch_vccnz .LBB87_2100
; %bb.2081:
	s_cmp_lt_i32 s9, 2
	s_cbranch_scc1 .LBB87_2085
; %bb.2082:
	s_cmp_lt_i32 s9, 3
	s_cbranch_scc1 .LBB87_2086
; %bb.2083:
	s_cmp_gt_i32 s9, 3
	s_cbranch_scc0 .LBB87_2087
; %bb.2084:
	s_wait_loadcnt 0x0
	global_load_b64 v[14:15], v[24:25], off
	s_mov_b32 s10, 0
	s_branch .LBB87_2088
.LBB87_2085:
	s_mov_b32 s10, -1
                                        ; implicit-def: $vgpr14
	s_branch .LBB87_2094
.LBB87_2086:
	s_mov_b32 s10, -1
                                        ; implicit-def: $vgpr14
	s_branch .LBB87_2091
.LBB87_2087:
	s_mov_b32 s10, -1
                                        ; implicit-def: $vgpr14
.LBB87_2088:
	s_delay_alu instid0(SALU_CYCLE_1)
	s_and_not1_b32 vcc_lo, exec_lo, s10
	s_cbranch_vccnz .LBB87_2090
; %bb.2089:
	s_wait_loadcnt 0x0
	global_load_b32 v14, v[24:25], off
.LBB87_2090:
	s_mov_b32 s10, 0
.LBB87_2091:
	s_delay_alu instid0(SALU_CYCLE_1)
	s_and_not1_b32 vcc_lo, exec_lo, s10
	s_cbranch_vccnz .LBB87_2093
; %bb.2092:
	s_wait_loadcnt 0x0
	global_load_u16 v14, v[24:25], off
.LBB87_2093:
	s_mov_b32 s10, 0
.LBB87_2094:
	s_delay_alu instid0(SALU_CYCLE_1)
	s_and_not1_b32 vcc_lo, exec_lo, s10
	s_cbranch_vccnz .LBB87_2100
; %bb.2095:
	s_cmp_gt_i32 s9, 0
	s_mov_b32 s10, 0
	s_cbranch_scc0 .LBB87_2097
; %bb.2096:
	s_wait_loadcnt 0x0
	global_load_i8 v14, v[24:25], off
	s_branch .LBB87_2098
.LBB87_2097:
	s_mov_b32 s10, -1
                                        ; implicit-def: $vgpr14
.LBB87_2098:
	s_delay_alu instid0(SALU_CYCLE_1)
	s_and_not1_b32 vcc_lo, exec_lo, s10
	s_cbranch_vccnz .LBB87_2100
; %bb.2099:
	s_wait_loadcnt 0x0
	global_load_u8 v14, v[24:25], off
.LBB87_2100:
	s_mov_b32 s14, -1
.LBB87_2101:
	s_delay_alu instid0(SALU_CYCLE_1)
	s_and_not1_b32 vcc_lo, exec_lo, s14
	s_cbranch_vccnz .LBB87_3216
; %bb.2102:
	v_mov_b32_e32 v19, 0
	s_and_b32 s10, 0xffff, s12
	s_delay_alu instid0(SALU_CYCLE_1) | instskip(SKIP_1) | instid1(VALU_DEP_1)
	s_cmp_lt_i32 s10, 11
	s_wait_xcnt 0x0
	v_add_nc_u64_e32 v[24:25], s[4:5], v[18:19]
	s_cbranch_scc1 .LBB87_2109
; %bb.2103:
	s_cmp_gt_i32 s10, 25
	s_mov_b32 s13, 0
	s_cbranch_scc0 .LBB87_2110
; %bb.2104:
	s_cmp_gt_i32 s10, 28
	s_cbranch_scc0 .LBB87_2111
; %bb.2105:
	s_cmp_gt_i32 s10, 43
	;; [unrolled: 3-line block ×3, first 2 shown]
	s_cbranch_scc0 .LBB87_2114
; %bb.2107:
	s_cmp_eq_u32 s10, 46
	s_mov_b32 s15, 0
	s_cbranch_scc0 .LBB87_2117
; %bb.2108:
	global_load_b32 v1, v[24:25], off
	s_mov_b32 s12, 0
	s_mov_b32 s14, -1
	s_wait_loadcnt 0x0
	v_lshlrev_b32_e32 v1, 16, v1
	s_delay_alu instid0(VALU_DEP_1)
	v_cvt_i32_f32_e32 v18, v1
	s_branch .LBB87_2119
.LBB87_2109:
	s_mov_b32 s12, -1
	s_mov_b32 s14, 0
                                        ; implicit-def: $vgpr18
	s_branch .LBB87_2181
.LBB87_2110:
	s_mov_b32 s15, -1
	s_mov_b32 s14, 0
	s_mov_b32 s12, 0
                                        ; implicit-def: $vgpr18
	s_branch .LBB87_2146
.LBB87_2111:
	s_mov_b32 s15, -1
	s_mov_b32 s14, 0
	s_mov_b32 s12, 0
                                        ; implicit-def: $vgpr18
	s_branch .LBB87_2129
.LBB87_2112:
	s_mov_b32 s15, -1
	s_mov_b32 s14, 0
	s_mov_b32 s12, 0
                                        ; implicit-def: $vgpr18
	s_branch .LBB87_2124
.LBB87_2113:
	s_or_b32 s8, s8, exec_lo
	s_trap 2
	s_cbranch_execz .LBB87_2050
	s_branch .LBB87_2051
.LBB87_2114:
	s_mov_b32 s15, -1
	s_mov_b32 s14, 0
	s_mov_b32 s12, 0
	s_branch .LBB87_2118
.LBB87_2115:
	s_and_not1_saveexec_b32 s56, s56
	s_cbranch_execz .LBB87_1140
.LBB87_2116:
	v_add_f32_e64 v5, 0x46000000, |v4|
	s_and_not1_b32 s55, s55, exec_lo
	s_delay_alu instid0(VALU_DEP_1) | instskip(NEXT) | instid1(VALU_DEP_1)
	v_and_b32_e32 v5, 0xff, v5
	v_cmp_ne_u32_e32 vcc_lo, 0, v5
	s_and_b32 s57, vcc_lo, exec_lo
	s_delay_alu instid0(SALU_CYCLE_1)
	s_or_b32 s55, s55, s57
	s_or_b32 exec_lo, exec_lo, s56
	v_mov_b32_e32 v6, 0
	s_and_saveexec_b32 s56, s55
	s_cbranch_execnz .LBB87_1141
	s_branch .LBB87_1142
.LBB87_2117:
	s_mov_b32 s12, -1
	s_mov_b32 s14, 0
.LBB87_2118:
                                        ; implicit-def: $vgpr18
.LBB87_2119:
	s_and_b32 vcc_lo, exec_lo, s15
	s_cbranch_vccz .LBB87_2123
; %bb.2120:
	s_cmp_eq_u32 s10, 44
	s_cbranch_scc0 .LBB87_2122
; %bb.2121:
	global_load_u8 v1, v[24:25], off
	s_mov_b32 s12, 0
	s_mov_b32 s14, -1
	s_wait_loadcnt 0x0
	v_lshlrev_b32_e32 v3, 23, v1
	v_cmp_ne_u32_e32 vcc_lo, 0, v1
	s_delay_alu instid0(VALU_DEP_2) | instskip(NEXT) | instid1(VALU_DEP_1)
	v_cvt_i32_f32_e32 v3, v3
	v_cndmask_b32_e32 v18, 0, v3, vcc_lo
	s_branch .LBB87_2123
.LBB87_2122:
	s_mov_b32 s12, -1
                                        ; implicit-def: $vgpr18
.LBB87_2123:
	s_mov_b32 s15, 0
.LBB87_2124:
	s_delay_alu instid0(SALU_CYCLE_1)
	s_and_b32 vcc_lo, exec_lo, s15
	s_cbranch_vccz .LBB87_2128
; %bb.2125:
	s_cmp_eq_u32 s10, 29
	s_cbranch_scc0 .LBB87_2127
; %bb.2126:
	global_load_b64 v[18:19], v[24:25], off
	s_mov_b32 s12, 0
	s_mov_b32 s14, -1
	s_branch .LBB87_2128
.LBB87_2127:
	s_mov_b32 s12, -1
                                        ; implicit-def: $vgpr18
.LBB87_2128:
	s_mov_b32 s15, 0
.LBB87_2129:
	s_delay_alu instid0(SALU_CYCLE_1)
	s_and_b32 vcc_lo, exec_lo, s15
	s_cbranch_vccz .LBB87_2145
; %bb.2130:
	s_cmp_lt_i32 s10, 27
	s_cbranch_scc1 .LBB87_2133
; %bb.2131:
	s_cmp_gt_i32 s10, 27
	s_cbranch_scc0 .LBB87_2134
; %bb.2132:
	s_wait_loadcnt 0x0
	global_load_b32 v18, v[24:25], off
	s_mov_b32 s14, 0
	s_branch .LBB87_2135
.LBB87_2133:
	s_mov_b32 s14, -1
                                        ; implicit-def: $vgpr18
	s_branch .LBB87_2138
.LBB87_2134:
	s_mov_b32 s14, -1
                                        ; implicit-def: $vgpr18
.LBB87_2135:
	s_delay_alu instid0(SALU_CYCLE_1)
	s_and_not1_b32 vcc_lo, exec_lo, s14
	s_cbranch_vccnz .LBB87_2137
; %bb.2136:
	s_wait_loadcnt 0x0
	global_load_u16 v18, v[24:25], off
.LBB87_2137:
	s_mov_b32 s14, 0
.LBB87_2138:
	s_delay_alu instid0(SALU_CYCLE_1)
	s_and_not1_b32 vcc_lo, exec_lo, s14
	s_cbranch_vccnz .LBB87_2144
; %bb.2139:
	global_load_u8 v1, v[24:25], off
	s_mov_b32 s15, 0
	s_mov_b32 s14, exec_lo
	s_wait_loadcnt 0x0
	v_cmpx_lt_i16_e32 0x7f, v1
	s_xor_b32 s14, exec_lo, s14
	s_cbranch_execz .LBB87_2156
; %bb.2140:
	v_cmp_ne_u16_e32 vcc_lo, 0x80, v1
	s_and_b32 s15, vcc_lo, exec_lo
	s_and_not1_saveexec_b32 s14, s14
	s_cbranch_execnz .LBB87_2157
.LBB87_2141:
	s_or_b32 exec_lo, exec_lo, s14
	v_mov_b32_e32 v18, 0
	s_and_saveexec_b32 s14, s15
	s_cbranch_execz .LBB87_2143
.LBB87_2142:
	v_and_b32_e32 v3, 0xffff, v1
	s_delay_alu instid0(VALU_DEP_1) | instskip(SKIP_1) | instid1(VALU_DEP_2)
	v_dual_lshlrev_b32 v1, 24, v1 :: v_dual_bitop2_b32 v5, 7, v3 bitop3:0x40
	v_bfe_u32 v11, v3, 3, 4
	v_and_b32_e32 v1, 0x80000000, v1
	s_delay_alu instid0(VALU_DEP_3) | instskip(NEXT) | instid1(VALU_DEP_3)
	v_clz_i32_u32_e32 v7, v5
	v_cmp_eq_u32_e32 vcc_lo, 0, v11
	s_delay_alu instid0(VALU_DEP_2) | instskip(NEXT) | instid1(VALU_DEP_1)
	v_min_u32_e32 v7, 32, v7
	v_subrev_nc_u32_e32 v9, 28, v7
	v_sub_nc_u32_e32 v7, 29, v7
	s_delay_alu instid0(VALU_DEP_2) | instskip(NEXT) | instid1(VALU_DEP_2)
	v_lshlrev_b32_e32 v3, v9, v3
	v_cndmask_b32_e32 v7, v11, v7, vcc_lo
	s_delay_alu instid0(VALU_DEP_2) | instskip(NEXT) | instid1(VALU_DEP_1)
	v_and_b32_e32 v3, 7, v3
	v_cndmask_b32_e32 v3, v5, v3, vcc_lo
	s_delay_alu instid0(VALU_DEP_3) | instskip(NEXT) | instid1(VALU_DEP_2)
	v_lshl_add_u32 v5, v7, 23, 0x3b800000
	v_lshlrev_b32_e32 v3, 20, v3
	s_delay_alu instid0(VALU_DEP_1) | instskip(NEXT) | instid1(VALU_DEP_1)
	v_or3_b32 v1, v1, v5, v3
	v_cvt_i32_f32_e32 v18, v1
.LBB87_2143:
	s_or_b32 exec_lo, exec_lo, s14
.LBB87_2144:
	s_mov_b32 s14, -1
.LBB87_2145:
	s_mov_b32 s15, 0
.LBB87_2146:
	s_delay_alu instid0(SALU_CYCLE_1)
	s_and_b32 vcc_lo, exec_lo, s15
	s_cbranch_vccz .LBB87_2177
; %bb.2147:
	s_cmp_gt_i32 s10, 22
	s_cbranch_scc0 .LBB87_2155
; %bb.2148:
	s_cmp_lt_i32 s10, 24
	s_cbranch_scc1 .LBB87_2158
; %bb.2149:
	s_cmp_gt_i32 s10, 24
	s_cbranch_scc0 .LBB87_2159
; %bb.2150:
	global_load_u8 v1, v[24:25], off
	s_mov_b32 s14, 0
	s_mov_b32 s13, exec_lo
	s_wait_loadcnt 0x0
	v_cmpx_lt_i16_e32 0x7f, v1
	s_xor_b32 s13, exec_lo, s13
	s_cbranch_execz .LBB87_2171
; %bb.2151:
	v_cmp_ne_u16_e32 vcc_lo, 0x80, v1
	s_and_b32 s14, vcc_lo, exec_lo
	s_and_not1_saveexec_b32 s13, s13
	s_cbranch_execnz .LBB87_2172
.LBB87_2152:
	s_or_b32 exec_lo, exec_lo, s13
	v_mov_b32_e32 v18, 0
	s_and_saveexec_b32 s13, s14
	s_cbranch_execz .LBB87_2154
.LBB87_2153:
	v_and_b32_e32 v3, 0xffff, v1
	s_delay_alu instid0(VALU_DEP_1) | instskip(SKIP_1) | instid1(VALU_DEP_2)
	v_dual_lshlrev_b32 v1, 24, v1 :: v_dual_bitop2_b32 v5, 3, v3 bitop3:0x40
	v_bfe_u32 v11, v3, 2, 5
	v_and_b32_e32 v1, 0x80000000, v1
	s_delay_alu instid0(VALU_DEP_3) | instskip(NEXT) | instid1(VALU_DEP_3)
	v_clz_i32_u32_e32 v7, v5
	v_cmp_eq_u32_e32 vcc_lo, 0, v11
	s_delay_alu instid0(VALU_DEP_2) | instskip(NEXT) | instid1(VALU_DEP_1)
	v_min_u32_e32 v7, 32, v7
	v_subrev_nc_u32_e32 v9, 29, v7
	v_sub_nc_u32_e32 v7, 30, v7
	s_delay_alu instid0(VALU_DEP_2) | instskip(NEXT) | instid1(VALU_DEP_2)
	v_lshlrev_b32_e32 v3, v9, v3
	v_cndmask_b32_e32 v7, v11, v7, vcc_lo
	s_delay_alu instid0(VALU_DEP_2) | instskip(NEXT) | instid1(VALU_DEP_1)
	v_and_b32_e32 v3, 3, v3
	v_cndmask_b32_e32 v3, v5, v3, vcc_lo
	s_delay_alu instid0(VALU_DEP_3) | instskip(NEXT) | instid1(VALU_DEP_2)
	v_lshl_add_u32 v5, v7, 23, 0x37800000
	v_lshlrev_b32_e32 v3, 21, v3
	s_delay_alu instid0(VALU_DEP_1) | instskip(NEXT) | instid1(VALU_DEP_1)
	v_or3_b32 v1, v1, v5, v3
	v_cvt_i32_f32_e32 v18, v1
.LBB87_2154:
	s_or_b32 exec_lo, exec_lo, s13
	s_mov_b32 s13, 0
	s_branch .LBB87_2160
.LBB87_2155:
	s_mov_b32 s13, -1
                                        ; implicit-def: $vgpr18
	s_branch .LBB87_2166
.LBB87_2156:
	s_and_not1_saveexec_b32 s14, s14
	s_cbranch_execz .LBB87_2141
.LBB87_2157:
	v_cmp_ne_u16_e32 vcc_lo, 0, v1
	s_and_not1_b32 s15, s15, exec_lo
	s_and_b32 s16, vcc_lo, exec_lo
	s_delay_alu instid0(SALU_CYCLE_1)
	s_or_b32 s15, s15, s16
	s_or_b32 exec_lo, exec_lo, s14
	v_mov_b32_e32 v18, 0
	s_and_saveexec_b32 s14, s15
	s_cbranch_execnz .LBB87_2142
	s_branch .LBB87_2143
.LBB87_2158:
	s_mov_b32 s13, -1
                                        ; implicit-def: $vgpr18
	s_branch .LBB87_2163
.LBB87_2159:
	s_mov_b32 s13, -1
                                        ; implicit-def: $vgpr18
.LBB87_2160:
	s_delay_alu instid0(SALU_CYCLE_1)
	s_and_b32 vcc_lo, exec_lo, s13
	s_cbranch_vccz .LBB87_2162
; %bb.2161:
	global_load_u8 v1, v[24:25], off
	s_wait_loadcnt 0x0
	v_lshlrev_b32_e32 v1, 24, v1
	s_delay_alu instid0(VALU_DEP_1) | instskip(NEXT) | instid1(VALU_DEP_1)
	v_and_b32_e32 v3, 0x7f000000, v1
	v_clz_i32_u32_e32 v5, v3
	v_add_nc_u32_e32 v9, 0x1000000, v3
	v_cmp_ne_u32_e32 vcc_lo, 0, v3
	s_delay_alu instid0(VALU_DEP_3) | instskip(NEXT) | instid1(VALU_DEP_1)
	v_min_u32_e32 v5, 32, v5
	v_sub_nc_u32_e64 v5, v5, 4 clamp
	s_delay_alu instid0(VALU_DEP_1) | instskip(NEXT) | instid1(VALU_DEP_1)
	v_dual_lshlrev_b32 v7, v5, v3 :: v_dual_lshlrev_b32 v5, 23, v5
	v_lshrrev_b32_e32 v7, 4, v7
	s_delay_alu instid0(VALU_DEP_1) | instskip(SKIP_1) | instid1(VALU_DEP_2)
	v_sub_nc_u32_e32 v5, v7, v5
	v_ashrrev_i32_e32 v7, 8, v9
	v_add_nc_u32_e32 v5, 0x3c000000, v5
	s_delay_alu instid0(VALU_DEP_1) | instskip(NEXT) | instid1(VALU_DEP_1)
	v_and_or_b32 v5, 0x7f800000, v7, v5
	v_cndmask_b32_e32 v3, 0, v5, vcc_lo
	s_delay_alu instid0(VALU_DEP_1) | instskip(NEXT) | instid1(VALU_DEP_1)
	v_and_or_b32 v1, 0x80000000, v1, v3
	v_cvt_i32_f32_e32 v18, v1
.LBB87_2162:
	s_mov_b32 s13, 0
.LBB87_2163:
	s_delay_alu instid0(SALU_CYCLE_1)
	s_and_not1_b32 vcc_lo, exec_lo, s13
	s_cbranch_vccnz .LBB87_2165
; %bb.2164:
	global_load_u8 v1, v[24:25], off
	s_wait_loadcnt 0x0
	v_lshlrev_b32_e32 v3, 25, v1
	v_lshlrev_b16 v1, 8, v1
	s_delay_alu instid0(VALU_DEP_1) | instskip(SKIP_1) | instid1(VALU_DEP_2)
	v_and_or_b32 v7, 0x7f00, v1, 0.5
	v_bfe_i32 v1, v1, 0, 16
	v_add_f32_e32 v7, -0.5, v7
	v_lshrrev_b32_e32 v5, 4, v3
	v_cmp_gt_u32_e32 vcc_lo, 0x8000000, v3
	s_delay_alu instid0(VALU_DEP_2) | instskip(NEXT) | instid1(VALU_DEP_1)
	v_or_b32_e32 v5, 0x70000000, v5
	v_mul_f32_e32 v5, 0x7800000, v5
	s_delay_alu instid0(VALU_DEP_1) | instskip(NEXT) | instid1(VALU_DEP_1)
	v_cndmask_b32_e32 v3, v5, v7, vcc_lo
	v_and_or_b32 v1, 0x80000000, v1, v3
	s_delay_alu instid0(VALU_DEP_1)
	v_cvt_i32_f32_e32 v18, v1
.LBB87_2165:
	s_mov_b32 s13, 0
	s_mov_b32 s14, -1
.LBB87_2166:
	s_and_not1_b32 vcc_lo, exec_lo, s13
	s_mov_b32 s13, 0
	s_cbranch_vccnz .LBB87_2177
; %bb.2167:
	s_cmp_gt_i32 s10, 14
	s_cbranch_scc0 .LBB87_2170
; %bb.2168:
	s_cmp_eq_u32 s10, 15
	s_cbranch_scc0 .LBB87_2173
; %bb.2169:
	global_load_u16 v1, v[24:25], off
	s_mov_b32 s12, 0
	s_mov_b32 s14, -1
	s_wait_loadcnt 0x0
	v_lshlrev_b32_e32 v1, 16, v1
	s_delay_alu instid0(VALU_DEP_1)
	v_cvt_i32_f32_e32 v18, v1
	s_branch .LBB87_2175
.LBB87_2170:
	s_mov_b32 s13, -1
	s_branch .LBB87_2174
.LBB87_2171:
	s_and_not1_saveexec_b32 s13, s13
	s_cbranch_execz .LBB87_2152
.LBB87_2172:
	v_cmp_ne_u16_e32 vcc_lo, 0, v1
	s_and_not1_b32 s14, s14, exec_lo
	s_and_b32 s15, vcc_lo, exec_lo
	s_delay_alu instid0(SALU_CYCLE_1)
	s_or_b32 s14, s14, s15
	s_or_b32 exec_lo, exec_lo, s13
	v_mov_b32_e32 v18, 0
	s_and_saveexec_b32 s13, s14
	s_cbranch_execnz .LBB87_2153
	s_branch .LBB87_2154
.LBB87_2173:
	s_mov_b32 s12, -1
.LBB87_2174:
                                        ; implicit-def: $vgpr18
.LBB87_2175:
	s_and_b32 vcc_lo, exec_lo, s13
	s_mov_b32 s13, 0
	s_cbranch_vccz .LBB87_2177
; %bb.2176:
	s_cmp_lg_u32 s10, 11
	s_mov_b32 s13, -1
	s_cselect_b32 s12, -1, 0
.LBB87_2177:
	s_delay_alu instid0(SALU_CYCLE_1)
	s_and_b32 vcc_lo, exec_lo, s12
	s_cbranch_vccnz .LBB87_2261
; %bb.2178:
	s_and_not1_b32 vcc_lo, exec_lo, s13
	s_cbranch_vccnz .LBB87_2180
.LBB87_2179:
	global_load_u8 v1, v[24:25], off
	s_mov_b32 s14, -1
	s_wait_loadcnt 0x0
	v_cmp_ne_u16_e32 vcc_lo, 0, v1
	v_cndmask_b32_e64 v18, 0, 1, vcc_lo
.LBB87_2180:
	s_mov_b32 s12, 0
.LBB87_2181:
	s_delay_alu instid0(SALU_CYCLE_1)
	s_and_b32 vcc_lo, exec_lo, s12
	s_cbranch_vccz .LBB87_2230
; %bb.2182:
	s_cmp_lt_i32 s10, 5
	s_cbranch_scc1 .LBB87_2187
; %bb.2183:
	s_cmp_lt_i32 s10, 8
	s_cbranch_scc1 .LBB87_2188
	;; [unrolled: 3-line block ×3, first 2 shown]
; %bb.2185:
	s_cmp_gt_i32 s10, 9
	s_cbranch_scc0 .LBB87_2190
; %bb.2186:
	s_wait_loadcnt 0x0
	global_load_b64 v[18:19], v[24:25], off
	s_mov_b32 s12, 0
	s_wait_loadcnt 0x0
	v_cvt_i32_f64_e32 v18, v[18:19]
	s_branch .LBB87_2191
.LBB87_2187:
	s_mov_b32 s12, -1
                                        ; implicit-def: $vgpr18
	s_branch .LBB87_2209
.LBB87_2188:
	s_mov_b32 s12, -1
                                        ; implicit-def: $vgpr18
	s_branch .LBB87_2197
.LBB87_2189:
	s_mov_b32 s12, -1
                                        ; implicit-def: $vgpr18
	s_branch .LBB87_2194
.LBB87_2190:
	s_mov_b32 s12, -1
                                        ; implicit-def: $vgpr18
.LBB87_2191:
	s_delay_alu instid0(SALU_CYCLE_1)
	s_and_not1_b32 vcc_lo, exec_lo, s12
	s_cbranch_vccnz .LBB87_2193
; %bb.2192:
	global_load_b32 v1, v[24:25], off
	s_wait_loadcnt 0x0
	v_cvt_i32_f32_e32 v18, v1
.LBB87_2193:
	s_mov_b32 s12, 0
.LBB87_2194:
	s_delay_alu instid0(SALU_CYCLE_1)
	s_and_not1_b32 vcc_lo, exec_lo, s12
	s_cbranch_vccnz .LBB87_2196
; %bb.2195:
	global_load_b32 v1, v[24:25], off
	s_wait_loadcnt 0x0
	v_cvt_i16_f16_e32 v18, v1
.LBB87_2196:
	s_mov_b32 s12, 0
.LBB87_2197:
	s_delay_alu instid0(SALU_CYCLE_1)
	s_and_not1_b32 vcc_lo, exec_lo, s12
	s_cbranch_vccnz .LBB87_2208
; %bb.2198:
	s_cmp_lt_i32 s10, 6
	s_cbranch_scc1 .LBB87_2201
; %bb.2199:
	s_cmp_gt_i32 s10, 6
	s_cbranch_scc0 .LBB87_2202
; %bb.2200:
	s_wait_loadcnt 0x0
	global_load_b64 v[18:19], v[24:25], off
	s_mov_b32 s12, 0
	s_wait_loadcnt 0x0
	v_cvt_i32_f64_e32 v18, v[18:19]
	s_branch .LBB87_2203
.LBB87_2201:
	s_mov_b32 s12, -1
                                        ; implicit-def: $vgpr18
	s_branch .LBB87_2206
.LBB87_2202:
	s_mov_b32 s12, -1
                                        ; implicit-def: $vgpr18
.LBB87_2203:
	s_delay_alu instid0(SALU_CYCLE_1)
	s_and_not1_b32 vcc_lo, exec_lo, s12
	s_cbranch_vccnz .LBB87_2205
; %bb.2204:
	global_load_b32 v1, v[24:25], off
	s_wait_loadcnt 0x0
	v_cvt_i32_f32_e32 v18, v1
.LBB87_2205:
	s_mov_b32 s12, 0
.LBB87_2206:
	s_delay_alu instid0(SALU_CYCLE_1)
	s_and_not1_b32 vcc_lo, exec_lo, s12
	s_cbranch_vccnz .LBB87_2208
; %bb.2207:
	global_load_u16 v1, v[24:25], off
	s_wait_loadcnt 0x0
	v_cvt_i16_f16_e32 v18, v1
.LBB87_2208:
	s_mov_b32 s12, 0
.LBB87_2209:
	s_delay_alu instid0(SALU_CYCLE_1)
	s_and_not1_b32 vcc_lo, exec_lo, s12
	s_cbranch_vccnz .LBB87_2229
; %bb.2210:
	s_cmp_lt_i32 s10, 2
	s_cbranch_scc1 .LBB87_2214
; %bb.2211:
	s_cmp_lt_i32 s10, 3
	s_cbranch_scc1 .LBB87_2215
; %bb.2212:
	s_cmp_gt_i32 s10, 3
	s_cbranch_scc0 .LBB87_2216
; %bb.2213:
	s_wait_loadcnt 0x0
	global_load_b64 v[18:19], v[24:25], off
	s_mov_b32 s12, 0
	s_branch .LBB87_2217
.LBB87_2214:
	s_mov_b32 s12, -1
                                        ; implicit-def: $vgpr18
	s_branch .LBB87_2223
.LBB87_2215:
	s_mov_b32 s12, -1
                                        ; implicit-def: $vgpr18
	s_branch .LBB87_2220
.LBB87_2216:
	s_mov_b32 s12, -1
                                        ; implicit-def: $vgpr18
.LBB87_2217:
	s_delay_alu instid0(SALU_CYCLE_1)
	s_and_not1_b32 vcc_lo, exec_lo, s12
	s_cbranch_vccnz .LBB87_2219
; %bb.2218:
	s_wait_loadcnt 0x0
	global_load_b32 v18, v[24:25], off
.LBB87_2219:
	s_mov_b32 s12, 0
.LBB87_2220:
	s_delay_alu instid0(SALU_CYCLE_1)
	s_and_not1_b32 vcc_lo, exec_lo, s12
	s_cbranch_vccnz .LBB87_2222
; %bb.2221:
	s_wait_loadcnt 0x0
	global_load_u16 v18, v[24:25], off
.LBB87_2222:
	s_mov_b32 s12, 0
.LBB87_2223:
	s_delay_alu instid0(SALU_CYCLE_1)
	s_and_not1_b32 vcc_lo, exec_lo, s12
	s_cbranch_vccnz .LBB87_2229
; %bb.2224:
	s_cmp_gt_i32 s10, 0
	s_mov_b32 s12, 0
	s_cbranch_scc0 .LBB87_2226
; %bb.2225:
	s_wait_loadcnt 0x0
	global_load_i8 v18, v[24:25], off
	s_branch .LBB87_2227
.LBB87_2226:
	s_mov_b32 s12, -1
                                        ; implicit-def: $vgpr18
.LBB87_2227:
	s_delay_alu instid0(SALU_CYCLE_1)
	s_and_not1_b32 vcc_lo, exec_lo, s12
	s_cbranch_vccnz .LBB87_2229
; %bb.2228:
	s_wait_loadcnt 0x0
	global_load_u8 v18, v[24:25], off
.LBB87_2229:
	s_mov_b32 s14, -1
.LBB87_2230:
	s_delay_alu instid0(SALU_CYCLE_1)
	s_and_not1_b32 vcc_lo, exec_lo, s14
	s_cbranch_vccnz .LBB87_3216
; %bb.2231:
	s_cmp_lt_i32 s11, 23
	s_cbranch_scc1 .LBB87_2235
; %bb.2232:
	s_cmp_gt_i32 s11, 43
	s_cbranch_scc0 .LBB87_2236
; %bb.2233:
	s_cmp_gt_i32 s11, 45
	s_cbranch_scc0 .LBB87_2237
; %bb.2234:
	s_cmp_lg_u32 s11, 46
	s_mov_b32 s14, 0
	s_mov_b32 s12, -1
	s_cselect_b32 s13, -1, 0
	s_branch .LBB87_2238
.LBB87_2235:
	s_mov_b32 s14, -1
	s_mov_b32 s12, 0
	s_mov_b32 s13, 0
	s_branch .LBB87_2244
.LBB87_2236:
	s_mov_b32 s14, -1
	s_mov_b32 s12, 0
	s_mov_b32 s13, 0
	s_branch .LBB87_2241
.LBB87_2237:
	s_mov_b32 s14, -1
	s_mov_b32 s12, 0
	s_mov_b32 s13, 0
.LBB87_2238:
	s_and_not1_b32 vcc_lo, exec_lo, s14
	s_cbranch_vccnz .LBB87_2240
; %bb.2239:
	s_cmp_eq_u32 s11, 44
	s_cselect_b32 s12, -1, 0
	s_cmp_lg_u32 s11, 44
	s_cselect_b32 s13, -1, 0
.LBB87_2240:
	s_mov_b32 s14, 0
.LBB87_2241:
	s_delay_alu instid0(SALU_CYCLE_1)
	s_and_b32 vcc_lo, exec_lo, s14
	s_cbranch_vccz .LBB87_2243
; %bb.2242:
	s_cmp_lt_i32 s11, 30
	s_cselect_b32 s12, -1, 0
	s_cmp_gt_i32 s11, 29
	s_cselect_b32 s13, -1, 0
.LBB87_2243:
	s_mov_b32 s14, 0
.LBB87_2244:
	s_delay_alu instid0(SALU_CYCLE_1)
	s_and_b32 vcc_lo, exec_lo, s14
	s_cbranch_vccz .LBB87_2249
; %bb.2245:
	s_cmp_gt_i32 s11, 14
	s_mov_b32 s14, -1
	s_cbranch_scc0 .LBB87_2247
; %bb.2246:
	s_cmp_eq_u32 s11, 15
	s_mov_b32 s14, 0
	s_cselect_b32 s12, -1, 0
	s_cmp_lg_u32 s11, 15
	s_cselect_b32 s13, -1, 0
.LBB87_2247:
	s_and_not1_b32 vcc_lo, exec_lo, s14
	s_cbranch_vccnz .LBB87_2249
; %bb.2248:
	s_cmp_lt_i32 s11, 12
	s_cselect_b32 s12, -1, 0
	s_cmp_gt_i32 s11, 11
	s_cselect_b32 s13, -1, 0
.LBB87_2249:
	s_delay_alu instid0(SALU_CYCLE_1)
	s_and_b32 vcc_lo, exec_lo, s13
	s_cbranch_vccnz .LBB87_2262
; %bb.2250:
	s_and_not1_b32 vcc_lo, exec_lo, s12
	s_cbranch_vccnz .LBB87_3216
.LBB87_2251:
	v_mov_b32_e32 v23, 0
	s_cmp_lt_i32 s9, 11
	s_wait_xcnt 0x0
	s_delay_alu instid0(VALU_DEP_1)
	v_add_nc_u64_e32 v[24:25], s[0:1], v[22:23]
	s_cbranch_scc1 .LBB87_2258
; %bb.2252:
	s_cmp_gt_i32 s9, 25
	s_mov_b32 s13, 0
	s_cbranch_scc0 .LBB87_2259
; %bb.2253:
	s_cmp_gt_i32 s9, 28
	s_cbranch_scc0 .LBB87_2260
; %bb.2254:
	s_cmp_gt_i32 s9, 43
	s_cbranch_scc0 .LBB87_2263
; %bb.2255:
	s_cmp_gt_i32 s9, 45
	s_cbranch_scc0 .LBB87_2266
; %bb.2256:
	s_cmp_eq_u32 s9, 46
	s_mov_b32 s15, 0
	s_cbranch_scc0 .LBB87_2267
; %bb.2257:
	global_load_b32 v1, v[24:25], off
	s_mov_b32 s12, 0
	s_mov_b32 s14, -1
	s_wait_loadcnt 0x0
	v_lshlrev_b32_e32 v1, 16, v1
	s_delay_alu instid0(VALU_DEP_1)
	v_cvt_i32_f32_e32 v22, v1
	s_branch .LBB87_2269
.LBB87_2258:
	s_mov_b32 s12, -1
	s_mov_b32 s14, 0
                                        ; implicit-def: $vgpr22
	s_branch .LBB87_2331
.LBB87_2259:
	s_mov_b32 s15, -1
	s_mov_b32 s14, 0
	s_mov_b32 s12, 0
                                        ; implicit-def: $vgpr22
	s_branch .LBB87_2296
.LBB87_2260:
	s_mov_b32 s15, -1
	s_mov_b32 s14, 0
	s_mov_b32 s12, 0
                                        ; implicit-def: $vgpr22
	s_branch .LBB87_2279
.LBB87_2261:
	s_or_b32 s8, s8, exec_lo
	s_trap 2
	s_cbranch_execz .LBB87_2179
	s_branch .LBB87_2180
.LBB87_2262:
	s_or_b32 s8, s8, exec_lo
	s_trap 2
	s_cbranch_execz .LBB87_2251
	s_branch .LBB87_3216
.LBB87_2263:
	s_mov_b32 s15, -1
	s_mov_b32 s14, 0
	s_mov_b32 s12, 0
                                        ; implicit-def: $vgpr22
	s_branch .LBB87_2274
.LBB87_2264:
	s_and_not1_saveexec_b32 s56, s56
	s_cbranch_execz .LBB87_1153
.LBB87_2265:
	v_add_f32_e64 v5, 0x42800000, |v4|
	s_and_not1_b32 s55, s55, exec_lo
	s_delay_alu instid0(VALU_DEP_1) | instskip(NEXT) | instid1(VALU_DEP_1)
	v_and_b32_e32 v5, 0xff, v5
	v_cmp_ne_u32_e32 vcc_lo, 0, v5
	s_and_b32 s57, vcc_lo, exec_lo
	s_delay_alu instid0(SALU_CYCLE_1)
	s_or_b32 s55, s55, s57
	s_or_b32 exec_lo, exec_lo, s56
	v_mov_b32_e32 v6, 0
	s_and_saveexec_b32 s56, s55
	s_cbranch_execnz .LBB87_1154
	s_branch .LBB87_1155
.LBB87_2266:
	s_mov_b32 s15, -1
	s_mov_b32 s14, 0
	s_mov_b32 s12, 0
	s_branch .LBB87_2268
.LBB87_2267:
	s_mov_b32 s12, -1
	s_mov_b32 s14, 0
.LBB87_2268:
                                        ; implicit-def: $vgpr22
.LBB87_2269:
	s_and_b32 vcc_lo, exec_lo, s15
	s_cbranch_vccz .LBB87_2273
; %bb.2270:
	s_cmp_eq_u32 s9, 44
	s_cbranch_scc0 .LBB87_2272
; %bb.2271:
	global_load_u8 v1, v[24:25], off
	s_mov_b32 s12, 0
	s_mov_b32 s14, -1
	s_wait_loadcnt 0x0
	v_lshlrev_b32_e32 v3, 23, v1
	v_cmp_ne_u32_e32 vcc_lo, 0, v1
	s_delay_alu instid0(VALU_DEP_2) | instskip(NEXT) | instid1(VALU_DEP_1)
	v_cvt_i32_f32_e32 v3, v3
	v_cndmask_b32_e32 v22, 0, v3, vcc_lo
	s_branch .LBB87_2273
.LBB87_2272:
	s_mov_b32 s12, -1
                                        ; implicit-def: $vgpr22
.LBB87_2273:
	s_mov_b32 s15, 0
.LBB87_2274:
	s_delay_alu instid0(SALU_CYCLE_1)
	s_and_b32 vcc_lo, exec_lo, s15
	s_cbranch_vccz .LBB87_2278
; %bb.2275:
	s_cmp_eq_u32 s9, 29
	s_cbranch_scc0 .LBB87_2277
; %bb.2276:
	global_load_b64 v[22:23], v[24:25], off
	s_mov_b32 s12, 0
	s_mov_b32 s14, -1
	s_branch .LBB87_2278
.LBB87_2277:
	s_mov_b32 s12, -1
                                        ; implicit-def: $vgpr22
.LBB87_2278:
	s_mov_b32 s15, 0
.LBB87_2279:
	s_delay_alu instid0(SALU_CYCLE_1)
	s_and_b32 vcc_lo, exec_lo, s15
	s_cbranch_vccz .LBB87_2295
; %bb.2280:
	s_cmp_lt_i32 s9, 27
	s_cbranch_scc1 .LBB87_2283
; %bb.2281:
	s_cmp_gt_i32 s9, 27
	s_cbranch_scc0 .LBB87_2284
; %bb.2282:
	s_wait_loadcnt 0x0
	global_load_b32 v22, v[24:25], off
	s_mov_b32 s14, 0
	s_branch .LBB87_2285
.LBB87_2283:
	s_mov_b32 s14, -1
                                        ; implicit-def: $vgpr22
	s_branch .LBB87_2288
.LBB87_2284:
	s_mov_b32 s14, -1
                                        ; implicit-def: $vgpr22
.LBB87_2285:
	s_delay_alu instid0(SALU_CYCLE_1)
	s_and_not1_b32 vcc_lo, exec_lo, s14
	s_cbranch_vccnz .LBB87_2287
; %bb.2286:
	s_wait_loadcnt 0x0
	global_load_u16 v22, v[24:25], off
.LBB87_2287:
	s_mov_b32 s14, 0
.LBB87_2288:
	s_delay_alu instid0(SALU_CYCLE_1)
	s_and_not1_b32 vcc_lo, exec_lo, s14
	s_cbranch_vccnz .LBB87_2294
; %bb.2289:
	global_load_u8 v1, v[24:25], off
	s_mov_b32 s15, 0
	s_mov_b32 s14, exec_lo
	s_wait_loadcnt 0x0
	v_cmpx_lt_i16_e32 0x7f, v1
	s_xor_b32 s14, exec_lo, s14
	s_cbranch_execz .LBB87_2306
; %bb.2290:
	v_cmp_ne_u16_e32 vcc_lo, 0x80, v1
	s_and_b32 s15, vcc_lo, exec_lo
	s_and_not1_saveexec_b32 s14, s14
	s_cbranch_execnz .LBB87_2307
.LBB87_2291:
	s_or_b32 exec_lo, exec_lo, s14
	v_mov_b32_e32 v22, 0
	s_and_saveexec_b32 s14, s15
	s_cbranch_execz .LBB87_2293
.LBB87_2292:
	v_and_b32_e32 v3, 0xffff, v1
	s_delay_alu instid0(VALU_DEP_1) | instskip(SKIP_1) | instid1(VALU_DEP_2)
	v_dual_lshlrev_b32 v1, 24, v1 :: v_dual_bitop2_b32 v5, 7, v3 bitop3:0x40
	v_bfe_u32 v11, v3, 3, 4
	v_and_b32_e32 v1, 0x80000000, v1
	s_delay_alu instid0(VALU_DEP_3) | instskip(NEXT) | instid1(VALU_DEP_3)
	v_clz_i32_u32_e32 v7, v5
	v_cmp_eq_u32_e32 vcc_lo, 0, v11
	s_delay_alu instid0(VALU_DEP_2) | instskip(NEXT) | instid1(VALU_DEP_1)
	v_min_u32_e32 v7, 32, v7
	v_subrev_nc_u32_e32 v9, 28, v7
	v_sub_nc_u32_e32 v7, 29, v7
	s_delay_alu instid0(VALU_DEP_2) | instskip(NEXT) | instid1(VALU_DEP_2)
	v_lshlrev_b32_e32 v3, v9, v3
	v_cndmask_b32_e32 v7, v11, v7, vcc_lo
	s_delay_alu instid0(VALU_DEP_2) | instskip(NEXT) | instid1(VALU_DEP_1)
	v_and_b32_e32 v3, 7, v3
	v_cndmask_b32_e32 v3, v5, v3, vcc_lo
	s_delay_alu instid0(VALU_DEP_3) | instskip(NEXT) | instid1(VALU_DEP_2)
	v_lshl_add_u32 v5, v7, 23, 0x3b800000
	v_lshlrev_b32_e32 v3, 20, v3
	s_delay_alu instid0(VALU_DEP_1) | instskip(NEXT) | instid1(VALU_DEP_1)
	v_or3_b32 v1, v1, v5, v3
	v_cvt_i32_f32_e32 v22, v1
.LBB87_2293:
	s_or_b32 exec_lo, exec_lo, s14
.LBB87_2294:
	s_mov_b32 s14, -1
.LBB87_2295:
	s_mov_b32 s15, 0
.LBB87_2296:
	s_delay_alu instid0(SALU_CYCLE_1)
	s_and_b32 vcc_lo, exec_lo, s15
	s_cbranch_vccz .LBB87_2327
; %bb.2297:
	s_cmp_gt_i32 s9, 22
	s_cbranch_scc0 .LBB87_2305
; %bb.2298:
	s_cmp_lt_i32 s9, 24
	s_cbranch_scc1 .LBB87_2308
; %bb.2299:
	s_cmp_gt_i32 s9, 24
	s_cbranch_scc0 .LBB87_2309
; %bb.2300:
	global_load_u8 v1, v[24:25], off
	s_mov_b32 s14, 0
	s_mov_b32 s13, exec_lo
	s_wait_loadcnt 0x0
	v_cmpx_lt_i16_e32 0x7f, v1
	s_xor_b32 s13, exec_lo, s13
	s_cbranch_execz .LBB87_2321
; %bb.2301:
	v_cmp_ne_u16_e32 vcc_lo, 0x80, v1
	s_and_b32 s14, vcc_lo, exec_lo
	s_and_not1_saveexec_b32 s13, s13
	s_cbranch_execnz .LBB87_2322
.LBB87_2302:
	s_or_b32 exec_lo, exec_lo, s13
	v_mov_b32_e32 v22, 0
	s_and_saveexec_b32 s13, s14
	s_cbranch_execz .LBB87_2304
.LBB87_2303:
	v_and_b32_e32 v3, 0xffff, v1
	s_delay_alu instid0(VALU_DEP_1) | instskip(SKIP_1) | instid1(VALU_DEP_2)
	v_dual_lshlrev_b32 v1, 24, v1 :: v_dual_bitop2_b32 v5, 3, v3 bitop3:0x40
	v_bfe_u32 v11, v3, 2, 5
	v_and_b32_e32 v1, 0x80000000, v1
	s_delay_alu instid0(VALU_DEP_3) | instskip(NEXT) | instid1(VALU_DEP_3)
	v_clz_i32_u32_e32 v7, v5
	v_cmp_eq_u32_e32 vcc_lo, 0, v11
	s_delay_alu instid0(VALU_DEP_2) | instskip(NEXT) | instid1(VALU_DEP_1)
	v_min_u32_e32 v7, 32, v7
	v_subrev_nc_u32_e32 v9, 29, v7
	v_sub_nc_u32_e32 v7, 30, v7
	s_delay_alu instid0(VALU_DEP_2) | instskip(NEXT) | instid1(VALU_DEP_2)
	v_lshlrev_b32_e32 v3, v9, v3
	v_cndmask_b32_e32 v7, v11, v7, vcc_lo
	s_delay_alu instid0(VALU_DEP_2) | instskip(NEXT) | instid1(VALU_DEP_1)
	v_and_b32_e32 v3, 3, v3
	v_cndmask_b32_e32 v3, v5, v3, vcc_lo
	s_delay_alu instid0(VALU_DEP_3) | instskip(NEXT) | instid1(VALU_DEP_2)
	v_lshl_add_u32 v5, v7, 23, 0x37800000
	v_lshlrev_b32_e32 v3, 21, v3
	s_delay_alu instid0(VALU_DEP_1) | instskip(NEXT) | instid1(VALU_DEP_1)
	v_or3_b32 v1, v1, v5, v3
	v_cvt_i32_f32_e32 v22, v1
.LBB87_2304:
	s_or_b32 exec_lo, exec_lo, s13
	s_mov_b32 s13, 0
	s_branch .LBB87_2310
.LBB87_2305:
	s_mov_b32 s13, -1
                                        ; implicit-def: $vgpr22
	s_branch .LBB87_2316
.LBB87_2306:
	s_and_not1_saveexec_b32 s14, s14
	s_cbranch_execz .LBB87_2291
.LBB87_2307:
	v_cmp_ne_u16_e32 vcc_lo, 0, v1
	s_and_not1_b32 s15, s15, exec_lo
	s_and_b32 s16, vcc_lo, exec_lo
	s_delay_alu instid0(SALU_CYCLE_1)
	s_or_b32 s15, s15, s16
	s_or_b32 exec_lo, exec_lo, s14
	v_mov_b32_e32 v22, 0
	s_and_saveexec_b32 s14, s15
	s_cbranch_execnz .LBB87_2292
	s_branch .LBB87_2293
.LBB87_2308:
	s_mov_b32 s13, -1
                                        ; implicit-def: $vgpr22
	s_branch .LBB87_2313
.LBB87_2309:
	s_mov_b32 s13, -1
                                        ; implicit-def: $vgpr22
.LBB87_2310:
	s_delay_alu instid0(SALU_CYCLE_1)
	s_and_b32 vcc_lo, exec_lo, s13
	s_cbranch_vccz .LBB87_2312
; %bb.2311:
	global_load_u8 v1, v[24:25], off
	s_wait_loadcnt 0x0
	v_lshlrev_b32_e32 v1, 24, v1
	s_delay_alu instid0(VALU_DEP_1) | instskip(NEXT) | instid1(VALU_DEP_1)
	v_and_b32_e32 v3, 0x7f000000, v1
	v_clz_i32_u32_e32 v5, v3
	v_add_nc_u32_e32 v9, 0x1000000, v3
	v_cmp_ne_u32_e32 vcc_lo, 0, v3
	s_delay_alu instid0(VALU_DEP_3) | instskip(NEXT) | instid1(VALU_DEP_1)
	v_min_u32_e32 v5, 32, v5
	v_sub_nc_u32_e64 v5, v5, 4 clamp
	s_delay_alu instid0(VALU_DEP_1) | instskip(NEXT) | instid1(VALU_DEP_1)
	v_dual_lshlrev_b32 v7, v5, v3 :: v_dual_lshlrev_b32 v5, 23, v5
	v_lshrrev_b32_e32 v7, 4, v7
	s_delay_alu instid0(VALU_DEP_1) | instskip(SKIP_1) | instid1(VALU_DEP_2)
	v_sub_nc_u32_e32 v5, v7, v5
	v_ashrrev_i32_e32 v7, 8, v9
	v_add_nc_u32_e32 v5, 0x3c000000, v5
	s_delay_alu instid0(VALU_DEP_1) | instskip(NEXT) | instid1(VALU_DEP_1)
	v_and_or_b32 v5, 0x7f800000, v7, v5
	v_cndmask_b32_e32 v3, 0, v5, vcc_lo
	s_delay_alu instid0(VALU_DEP_1) | instskip(NEXT) | instid1(VALU_DEP_1)
	v_and_or_b32 v1, 0x80000000, v1, v3
	v_cvt_i32_f32_e32 v22, v1
.LBB87_2312:
	s_mov_b32 s13, 0
.LBB87_2313:
	s_delay_alu instid0(SALU_CYCLE_1)
	s_and_not1_b32 vcc_lo, exec_lo, s13
	s_cbranch_vccnz .LBB87_2315
; %bb.2314:
	global_load_u8 v1, v[24:25], off
	s_wait_loadcnt 0x0
	v_lshlrev_b32_e32 v3, 25, v1
	v_lshlrev_b16 v1, 8, v1
	s_delay_alu instid0(VALU_DEP_1) | instskip(SKIP_1) | instid1(VALU_DEP_2)
	v_and_or_b32 v7, 0x7f00, v1, 0.5
	v_bfe_i32 v1, v1, 0, 16
	v_add_f32_e32 v7, -0.5, v7
	v_lshrrev_b32_e32 v5, 4, v3
	v_cmp_gt_u32_e32 vcc_lo, 0x8000000, v3
	s_delay_alu instid0(VALU_DEP_2) | instskip(NEXT) | instid1(VALU_DEP_1)
	v_or_b32_e32 v5, 0x70000000, v5
	v_mul_f32_e32 v5, 0x7800000, v5
	s_delay_alu instid0(VALU_DEP_1) | instskip(NEXT) | instid1(VALU_DEP_1)
	v_cndmask_b32_e32 v3, v5, v7, vcc_lo
	v_and_or_b32 v1, 0x80000000, v1, v3
	s_delay_alu instid0(VALU_DEP_1)
	v_cvt_i32_f32_e32 v22, v1
.LBB87_2315:
	s_mov_b32 s13, 0
	s_mov_b32 s14, -1
.LBB87_2316:
	s_and_not1_b32 vcc_lo, exec_lo, s13
	s_mov_b32 s13, 0
	s_cbranch_vccnz .LBB87_2327
; %bb.2317:
	s_cmp_gt_i32 s9, 14
	s_cbranch_scc0 .LBB87_2320
; %bb.2318:
	s_cmp_eq_u32 s9, 15
	s_cbranch_scc0 .LBB87_2323
; %bb.2319:
	global_load_u16 v1, v[24:25], off
	s_mov_b32 s12, 0
	s_mov_b32 s14, -1
	s_wait_loadcnt 0x0
	v_lshlrev_b32_e32 v1, 16, v1
	s_delay_alu instid0(VALU_DEP_1)
	v_cvt_i32_f32_e32 v22, v1
	s_branch .LBB87_2325
.LBB87_2320:
	s_mov_b32 s13, -1
	s_branch .LBB87_2324
.LBB87_2321:
	s_and_not1_saveexec_b32 s13, s13
	s_cbranch_execz .LBB87_2302
.LBB87_2322:
	v_cmp_ne_u16_e32 vcc_lo, 0, v1
	s_and_not1_b32 s14, s14, exec_lo
	s_and_b32 s15, vcc_lo, exec_lo
	s_delay_alu instid0(SALU_CYCLE_1)
	s_or_b32 s14, s14, s15
	s_or_b32 exec_lo, exec_lo, s13
	v_mov_b32_e32 v22, 0
	s_and_saveexec_b32 s13, s14
	s_cbranch_execnz .LBB87_2303
	s_branch .LBB87_2304
.LBB87_2323:
	s_mov_b32 s12, -1
.LBB87_2324:
                                        ; implicit-def: $vgpr22
.LBB87_2325:
	s_and_b32 vcc_lo, exec_lo, s13
	s_mov_b32 s13, 0
	s_cbranch_vccz .LBB87_2327
; %bb.2326:
	s_cmp_lg_u32 s9, 11
	s_mov_b32 s13, -1
	s_cselect_b32 s12, -1, 0
.LBB87_2327:
	s_delay_alu instid0(SALU_CYCLE_1)
	s_and_b32 vcc_lo, exec_lo, s12
	s_cbranch_vccnz .LBB87_2392
; %bb.2328:
	s_and_not1_b32 vcc_lo, exec_lo, s13
	s_cbranch_vccnz .LBB87_2330
.LBB87_2329:
	global_load_u8 v1, v[24:25], off
	s_mov_b32 s14, -1
	s_wait_loadcnt 0x0
	v_cmp_ne_u16_e32 vcc_lo, 0, v1
	v_cndmask_b32_e64 v22, 0, 1, vcc_lo
.LBB87_2330:
	s_mov_b32 s12, 0
.LBB87_2331:
	s_delay_alu instid0(SALU_CYCLE_1)
	s_and_b32 vcc_lo, exec_lo, s12
	s_cbranch_vccz .LBB87_2380
; %bb.2332:
	s_cmp_lt_i32 s9, 5
	s_cbranch_scc1 .LBB87_2337
; %bb.2333:
	s_cmp_lt_i32 s9, 8
	s_cbranch_scc1 .LBB87_2338
	;; [unrolled: 3-line block ×3, first 2 shown]
; %bb.2335:
	s_cmp_gt_i32 s9, 9
	s_cbranch_scc0 .LBB87_2340
; %bb.2336:
	s_wait_loadcnt 0x0
	global_load_b64 v[22:23], v[24:25], off
	s_mov_b32 s12, 0
	s_wait_loadcnt 0x0
	v_cvt_i32_f64_e32 v22, v[22:23]
	s_branch .LBB87_2341
.LBB87_2337:
	s_mov_b32 s12, -1
                                        ; implicit-def: $vgpr22
	s_branch .LBB87_2359
.LBB87_2338:
	s_mov_b32 s12, -1
                                        ; implicit-def: $vgpr22
	s_branch .LBB87_2347
.LBB87_2339:
	s_mov_b32 s12, -1
                                        ; implicit-def: $vgpr22
	s_branch .LBB87_2344
.LBB87_2340:
	s_mov_b32 s12, -1
                                        ; implicit-def: $vgpr22
.LBB87_2341:
	s_delay_alu instid0(SALU_CYCLE_1)
	s_and_not1_b32 vcc_lo, exec_lo, s12
	s_cbranch_vccnz .LBB87_2343
; %bb.2342:
	global_load_b32 v1, v[24:25], off
	s_wait_loadcnt 0x0
	v_cvt_i32_f32_e32 v22, v1
.LBB87_2343:
	s_mov_b32 s12, 0
.LBB87_2344:
	s_delay_alu instid0(SALU_CYCLE_1)
	s_and_not1_b32 vcc_lo, exec_lo, s12
	s_cbranch_vccnz .LBB87_2346
; %bb.2345:
	global_load_b32 v1, v[24:25], off
	s_wait_loadcnt 0x0
	v_cvt_i16_f16_e32 v22, v1
.LBB87_2346:
	s_mov_b32 s12, 0
.LBB87_2347:
	s_delay_alu instid0(SALU_CYCLE_1)
	s_and_not1_b32 vcc_lo, exec_lo, s12
	s_cbranch_vccnz .LBB87_2358
; %bb.2348:
	s_cmp_lt_i32 s9, 6
	s_cbranch_scc1 .LBB87_2351
; %bb.2349:
	s_cmp_gt_i32 s9, 6
	s_cbranch_scc0 .LBB87_2352
; %bb.2350:
	s_wait_loadcnt 0x0
	global_load_b64 v[22:23], v[24:25], off
	s_mov_b32 s12, 0
	s_wait_loadcnt 0x0
	v_cvt_i32_f64_e32 v22, v[22:23]
	s_branch .LBB87_2353
.LBB87_2351:
	s_mov_b32 s12, -1
                                        ; implicit-def: $vgpr22
	s_branch .LBB87_2356
.LBB87_2352:
	s_mov_b32 s12, -1
                                        ; implicit-def: $vgpr22
.LBB87_2353:
	s_delay_alu instid0(SALU_CYCLE_1)
	s_and_not1_b32 vcc_lo, exec_lo, s12
	s_cbranch_vccnz .LBB87_2355
; %bb.2354:
	global_load_b32 v1, v[24:25], off
	s_wait_loadcnt 0x0
	v_cvt_i32_f32_e32 v22, v1
.LBB87_2355:
	s_mov_b32 s12, 0
.LBB87_2356:
	s_delay_alu instid0(SALU_CYCLE_1)
	s_and_not1_b32 vcc_lo, exec_lo, s12
	s_cbranch_vccnz .LBB87_2358
; %bb.2357:
	global_load_u16 v1, v[24:25], off
	s_wait_loadcnt 0x0
	v_cvt_i16_f16_e32 v22, v1
.LBB87_2358:
	s_mov_b32 s12, 0
.LBB87_2359:
	s_delay_alu instid0(SALU_CYCLE_1)
	s_and_not1_b32 vcc_lo, exec_lo, s12
	s_cbranch_vccnz .LBB87_2379
; %bb.2360:
	s_cmp_lt_i32 s9, 2
	s_cbranch_scc1 .LBB87_2364
; %bb.2361:
	s_cmp_lt_i32 s9, 3
	s_cbranch_scc1 .LBB87_2365
; %bb.2362:
	s_cmp_gt_i32 s9, 3
	s_cbranch_scc0 .LBB87_2366
; %bb.2363:
	s_wait_loadcnt 0x0
	global_load_b64 v[22:23], v[24:25], off
	s_mov_b32 s12, 0
	s_branch .LBB87_2367
.LBB87_2364:
	s_mov_b32 s12, -1
                                        ; implicit-def: $vgpr22
	s_branch .LBB87_2373
.LBB87_2365:
	s_mov_b32 s12, -1
                                        ; implicit-def: $vgpr22
	s_branch .LBB87_2370
.LBB87_2366:
	s_mov_b32 s12, -1
                                        ; implicit-def: $vgpr22
.LBB87_2367:
	s_delay_alu instid0(SALU_CYCLE_1)
	s_and_not1_b32 vcc_lo, exec_lo, s12
	s_cbranch_vccnz .LBB87_2369
; %bb.2368:
	s_wait_loadcnt 0x0
	global_load_b32 v22, v[24:25], off
.LBB87_2369:
	s_mov_b32 s12, 0
.LBB87_2370:
	s_delay_alu instid0(SALU_CYCLE_1)
	s_and_not1_b32 vcc_lo, exec_lo, s12
	s_cbranch_vccnz .LBB87_2372
; %bb.2371:
	s_wait_loadcnt 0x0
	global_load_u16 v22, v[24:25], off
.LBB87_2372:
	s_mov_b32 s12, 0
.LBB87_2373:
	s_delay_alu instid0(SALU_CYCLE_1)
	s_and_not1_b32 vcc_lo, exec_lo, s12
	s_cbranch_vccnz .LBB87_2379
; %bb.2374:
	s_cmp_gt_i32 s9, 0
	s_mov_b32 s12, 0
	s_cbranch_scc0 .LBB87_2376
; %bb.2375:
	s_wait_loadcnt 0x0
	global_load_i8 v22, v[24:25], off
	s_branch .LBB87_2377
.LBB87_2376:
	s_mov_b32 s12, -1
                                        ; implicit-def: $vgpr22
.LBB87_2377:
	s_delay_alu instid0(SALU_CYCLE_1)
	s_and_not1_b32 vcc_lo, exec_lo, s12
	s_cbranch_vccnz .LBB87_2379
; %bb.2378:
	s_wait_loadcnt 0x0
	global_load_u8 v22, v[24:25], off
.LBB87_2379:
	s_mov_b32 s14, -1
.LBB87_2380:
	s_delay_alu instid0(SALU_CYCLE_1)
	s_and_not1_b32 vcc_lo, exec_lo, s14
	s_cbranch_vccnz .LBB87_3216
; %bb.2381:
	v_mov_b32_e32 v21, 0
	s_cmp_lt_i32 s10, 11
	s_wait_xcnt 0x0
	s_delay_alu instid0(VALU_DEP_1)
	v_add_nc_u64_e32 v[24:25], s[4:5], v[20:21]
	s_cbranch_scc1 .LBB87_2388
; %bb.2382:
	s_cmp_gt_i32 s10, 25
	s_mov_b32 s13, 0
	s_cbranch_scc0 .LBB87_2389
; %bb.2383:
	s_cmp_gt_i32 s10, 28
	s_cbranch_scc0 .LBB87_2390
; %bb.2384:
	s_cmp_gt_i32 s10, 43
	;; [unrolled: 3-line block ×3, first 2 shown]
	s_cbranch_scc0 .LBB87_2393
; %bb.2386:
	s_cmp_eq_u32 s10, 46
	s_mov_b32 s15, 0
	s_cbranch_scc0 .LBB87_2394
; %bb.2387:
	global_load_b32 v1, v[24:25], off
	s_mov_b32 s12, 0
	s_mov_b32 s14, -1
	s_wait_loadcnt 0x0
	v_lshlrev_b32_e32 v1, 16, v1
	s_delay_alu instid0(VALU_DEP_1)
	v_cvt_i32_f32_e32 v20, v1
	s_branch .LBB87_2396
.LBB87_2388:
	s_mov_b32 s12, -1
	s_mov_b32 s14, 0
                                        ; implicit-def: $vgpr20
	s_branch .LBB87_2458
.LBB87_2389:
	s_mov_b32 s15, -1
	s_mov_b32 s14, 0
	s_mov_b32 s12, 0
                                        ; implicit-def: $vgpr20
	s_branch .LBB87_2423
.LBB87_2390:
	s_mov_b32 s15, -1
	s_mov_b32 s14, 0
	s_mov_b32 s12, 0
                                        ; implicit-def: $vgpr20
	s_branch .LBB87_2406
.LBB87_2391:
	s_mov_b32 s15, -1
	s_mov_b32 s14, 0
	s_mov_b32 s12, 0
                                        ; implicit-def: $vgpr20
	s_branch .LBB87_2401
.LBB87_2392:
	s_or_b32 s8, s8, exec_lo
	s_trap 2
	s_cbranch_execz .LBB87_2329
	s_branch .LBB87_2330
.LBB87_2393:
	s_mov_b32 s15, -1
	s_mov_b32 s14, 0
	s_mov_b32 s12, 0
	s_branch .LBB87_2395
.LBB87_2394:
	s_mov_b32 s12, -1
	s_mov_b32 s14, 0
.LBB87_2395:
                                        ; implicit-def: $vgpr20
.LBB87_2396:
	s_and_b32 vcc_lo, exec_lo, s15
	s_cbranch_vccz .LBB87_2400
; %bb.2397:
	s_cmp_eq_u32 s10, 44
	s_cbranch_scc0 .LBB87_2399
; %bb.2398:
	global_load_u8 v1, v[24:25], off
	s_mov_b32 s12, 0
	s_mov_b32 s14, -1
	s_wait_loadcnt 0x0
	v_lshlrev_b32_e32 v3, 23, v1
	v_cmp_ne_u32_e32 vcc_lo, 0, v1
	s_delay_alu instid0(VALU_DEP_2) | instskip(NEXT) | instid1(VALU_DEP_1)
	v_cvt_i32_f32_e32 v3, v3
	v_cndmask_b32_e32 v20, 0, v3, vcc_lo
	s_branch .LBB87_2400
.LBB87_2399:
	s_mov_b32 s12, -1
                                        ; implicit-def: $vgpr20
.LBB87_2400:
	s_mov_b32 s15, 0
.LBB87_2401:
	s_delay_alu instid0(SALU_CYCLE_1)
	s_and_b32 vcc_lo, exec_lo, s15
	s_cbranch_vccz .LBB87_2405
; %bb.2402:
	s_cmp_eq_u32 s10, 29
	s_cbranch_scc0 .LBB87_2404
; %bb.2403:
	global_load_b64 v[20:21], v[24:25], off
	s_mov_b32 s12, 0
	s_mov_b32 s14, -1
	s_branch .LBB87_2405
.LBB87_2404:
	s_mov_b32 s12, -1
                                        ; implicit-def: $vgpr20
.LBB87_2405:
	s_mov_b32 s15, 0
.LBB87_2406:
	s_delay_alu instid0(SALU_CYCLE_1)
	s_and_b32 vcc_lo, exec_lo, s15
	s_cbranch_vccz .LBB87_2422
; %bb.2407:
	s_cmp_lt_i32 s10, 27
	s_cbranch_scc1 .LBB87_2410
; %bb.2408:
	s_cmp_gt_i32 s10, 27
	s_cbranch_scc0 .LBB87_2411
; %bb.2409:
	s_wait_loadcnt 0x0
	global_load_b32 v20, v[24:25], off
	s_mov_b32 s14, 0
	s_branch .LBB87_2412
.LBB87_2410:
	s_mov_b32 s14, -1
                                        ; implicit-def: $vgpr20
	s_branch .LBB87_2415
.LBB87_2411:
	s_mov_b32 s14, -1
                                        ; implicit-def: $vgpr20
.LBB87_2412:
	s_delay_alu instid0(SALU_CYCLE_1)
	s_and_not1_b32 vcc_lo, exec_lo, s14
	s_cbranch_vccnz .LBB87_2414
; %bb.2413:
	s_wait_loadcnt 0x0
	global_load_u16 v20, v[24:25], off
.LBB87_2414:
	s_mov_b32 s14, 0
.LBB87_2415:
	s_delay_alu instid0(SALU_CYCLE_1)
	s_and_not1_b32 vcc_lo, exec_lo, s14
	s_cbranch_vccnz .LBB87_2421
; %bb.2416:
	global_load_u8 v1, v[24:25], off
	s_mov_b32 s15, 0
	s_mov_b32 s14, exec_lo
	s_wait_loadcnt 0x0
	v_cmpx_lt_i16_e32 0x7f, v1
	s_xor_b32 s14, exec_lo, s14
	s_cbranch_execz .LBB87_2433
; %bb.2417:
	v_cmp_ne_u16_e32 vcc_lo, 0x80, v1
	s_and_b32 s15, vcc_lo, exec_lo
	s_and_not1_saveexec_b32 s14, s14
	s_cbranch_execnz .LBB87_2434
.LBB87_2418:
	s_or_b32 exec_lo, exec_lo, s14
	v_mov_b32_e32 v20, 0
	s_and_saveexec_b32 s14, s15
	s_cbranch_execz .LBB87_2420
.LBB87_2419:
	v_and_b32_e32 v3, 0xffff, v1
	s_delay_alu instid0(VALU_DEP_1) | instskip(SKIP_1) | instid1(VALU_DEP_2)
	v_dual_lshlrev_b32 v1, 24, v1 :: v_dual_bitop2_b32 v5, 7, v3 bitop3:0x40
	v_bfe_u32 v11, v3, 3, 4
	v_and_b32_e32 v1, 0x80000000, v1
	s_delay_alu instid0(VALU_DEP_3) | instskip(NEXT) | instid1(VALU_DEP_3)
	v_clz_i32_u32_e32 v7, v5
	v_cmp_eq_u32_e32 vcc_lo, 0, v11
	s_delay_alu instid0(VALU_DEP_2) | instskip(NEXT) | instid1(VALU_DEP_1)
	v_min_u32_e32 v7, 32, v7
	v_subrev_nc_u32_e32 v9, 28, v7
	v_sub_nc_u32_e32 v7, 29, v7
	s_delay_alu instid0(VALU_DEP_2) | instskip(NEXT) | instid1(VALU_DEP_2)
	v_lshlrev_b32_e32 v3, v9, v3
	v_cndmask_b32_e32 v7, v11, v7, vcc_lo
	s_delay_alu instid0(VALU_DEP_2) | instskip(NEXT) | instid1(VALU_DEP_1)
	v_and_b32_e32 v3, 7, v3
	v_cndmask_b32_e32 v3, v5, v3, vcc_lo
	s_delay_alu instid0(VALU_DEP_3) | instskip(NEXT) | instid1(VALU_DEP_2)
	v_lshl_add_u32 v5, v7, 23, 0x3b800000
	v_lshlrev_b32_e32 v3, 20, v3
	s_delay_alu instid0(VALU_DEP_1) | instskip(NEXT) | instid1(VALU_DEP_1)
	v_or3_b32 v1, v1, v5, v3
	v_cvt_i32_f32_e32 v20, v1
.LBB87_2420:
	s_or_b32 exec_lo, exec_lo, s14
.LBB87_2421:
	s_mov_b32 s14, -1
.LBB87_2422:
	s_mov_b32 s15, 0
.LBB87_2423:
	s_delay_alu instid0(SALU_CYCLE_1)
	s_and_b32 vcc_lo, exec_lo, s15
	s_cbranch_vccz .LBB87_2454
; %bb.2424:
	s_cmp_gt_i32 s10, 22
	s_cbranch_scc0 .LBB87_2432
; %bb.2425:
	s_cmp_lt_i32 s10, 24
	s_cbranch_scc1 .LBB87_2435
; %bb.2426:
	s_cmp_gt_i32 s10, 24
	s_cbranch_scc0 .LBB87_2436
; %bb.2427:
	global_load_u8 v1, v[24:25], off
	s_mov_b32 s14, 0
	s_mov_b32 s13, exec_lo
	s_wait_loadcnt 0x0
	v_cmpx_lt_i16_e32 0x7f, v1
	s_xor_b32 s13, exec_lo, s13
	s_cbranch_execz .LBB87_2448
; %bb.2428:
	v_cmp_ne_u16_e32 vcc_lo, 0x80, v1
	s_and_b32 s14, vcc_lo, exec_lo
	s_and_not1_saveexec_b32 s13, s13
	s_cbranch_execnz .LBB87_2449
.LBB87_2429:
	s_or_b32 exec_lo, exec_lo, s13
	v_mov_b32_e32 v20, 0
	s_and_saveexec_b32 s13, s14
	s_cbranch_execz .LBB87_2431
.LBB87_2430:
	v_and_b32_e32 v3, 0xffff, v1
	s_delay_alu instid0(VALU_DEP_1) | instskip(SKIP_1) | instid1(VALU_DEP_2)
	v_dual_lshlrev_b32 v1, 24, v1 :: v_dual_bitop2_b32 v5, 3, v3 bitop3:0x40
	v_bfe_u32 v11, v3, 2, 5
	v_and_b32_e32 v1, 0x80000000, v1
	s_delay_alu instid0(VALU_DEP_3) | instskip(NEXT) | instid1(VALU_DEP_3)
	v_clz_i32_u32_e32 v7, v5
	v_cmp_eq_u32_e32 vcc_lo, 0, v11
	s_delay_alu instid0(VALU_DEP_2) | instskip(NEXT) | instid1(VALU_DEP_1)
	v_min_u32_e32 v7, 32, v7
	v_subrev_nc_u32_e32 v9, 29, v7
	v_sub_nc_u32_e32 v7, 30, v7
	s_delay_alu instid0(VALU_DEP_2) | instskip(NEXT) | instid1(VALU_DEP_2)
	v_lshlrev_b32_e32 v3, v9, v3
	v_cndmask_b32_e32 v7, v11, v7, vcc_lo
	s_delay_alu instid0(VALU_DEP_2) | instskip(NEXT) | instid1(VALU_DEP_1)
	v_and_b32_e32 v3, 3, v3
	v_cndmask_b32_e32 v3, v5, v3, vcc_lo
	s_delay_alu instid0(VALU_DEP_3) | instskip(NEXT) | instid1(VALU_DEP_2)
	v_lshl_add_u32 v5, v7, 23, 0x37800000
	v_lshlrev_b32_e32 v3, 21, v3
	s_delay_alu instid0(VALU_DEP_1) | instskip(NEXT) | instid1(VALU_DEP_1)
	v_or3_b32 v1, v1, v5, v3
	v_cvt_i32_f32_e32 v20, v1
.LBB87_2431:
	s_or_b32 exec_lo, exec_lo, s13
	s_mov_b32 s13, 0
	s_branch .LBB87_2437
.LBB87_2432:
	s_mov_b32 s13, -1
                                        ; implicit-def: $vgpr20
	s_branch .LBB87_2443
.LBB87_2433:
	s_and_not1_saveexec_b32 s14, s14
	s_cbranch_execz .LBB87_2418
.LBB87_2434:
	v_cmp_ne_u16_e32 vcc_lo, 0, v1
	s_and_not1_b32 s15, s15, exec_lo
	s_and_b32 s16, vcc_lo, exec_lo
	s_delay_alu instid0(SALU_CYCLE_1)
	s_or_b32 s15, s15, s16
	s_or_b32 exec_lo, exec_lo, s14
	v_mov_b32_e32 v20, 0
	s_and_saveexec_b32 s14, s15
	s_cbranch_execnz .LBB87_2419
	s_branch .LBB87_2420
.LBB87_2435:
	s_mov_b32 s13, -1
                                        ; implicit-def: $vgpr20
	s_branch .LBB87_2440
.LBB87_2436:
	s_mov_b32 s13, -1
                                        ; implicit-def: $vgpr20
.LBB87_2437:
	s_delay_alu instid0(SALU_CYCLE_1)
	s_and_b32 vcc_lo, exec_lo, s13
	s_cbranch_vccz .LBB87_2439
; %bb.2438:
	global_load_u8 v1, v[24:25], off
	s_wait_loadcnt 0x0
	v_lshlrev_b32_e32 v1, 24, v1
	s_delay_alu instid0(VALU_DEP_1) | instskip(NEXT) | instid1(VALU_DEP_1)
	v_and_b32_e32 v3, 0x7f000000, v1
	v_clz_i32_u32_e32 v5, v3
	v_add_nc_u32_e32 v9, 0x1000000, v3
	v_cmp_ne_u32_e32 vcc_lo, 0, v3
	s_delay_alu instid0(VALU_DEP_3) | instskip(NEXT) | instid1(VALU_DEP_1)
	v_min_u32_e32 v5, 32, v5
	v_sub_nc_u32_e64 v5, v5, 4 clamp
	s_delay_alu instid0(VALU_DEP_1) | instskip(NEXT) | instid1(VALU_DEP_1)
	v_dual_lshlrev_b32 v7, v5, v3 :: v_dual_lshlrev_b32 v5, 23, v5
	v_lshrrev_b32_e32 v7, 4, v7
	s_delay_alu instid0(VALU_DEP_1) | instskip(SKIP_1) | instid1(VALU_DEP_2)
	v_sub_nc_u32_e32 v5, v7, v5
	v_ashrrev_i32_e32 v7, 8, v9
	v_add_nc_u32_e32 v5, 0x3c000000, v5
	s_delay_alu instid0(VALU_DEP_1) | instskip(NEXT) | instid1(VALU_DEP_1)
	v_and_or_b32 v5, 0x7f800000, v7, v5
	v_cndmask_b32_e32 v3, 0, v5, vcc_lo
	s_delay_alu instid0(VALU_DEP_1) | instskip(NEXT) | instid1(VALU_DEP_1)
	v_and_or_b32 v1, 0x80000000, v1, v3
	v_cvt_i32_f32_e32 v20, v1
.LBB87_2439:
	s_mov_b32 s13, 0
.LBB87_2440:
	s_delay_alu instid0(SALU_CYCLE_1)
	s_and_not1_b32 vcc_lo, exec_lo, s13
	s_cbranch_vccnz .LBB87_2442
; %bb.2441:
	global_load_u8 v1, v[24:25], off
	s_wait_loadcnt 0x0
	v_lshlrev_b32_e32 v3, 25, v1
	v_lshlrev_b16 v1, 8, v1
	s_delay_alu instid0(VALU_DEP_1) | instskip(SKIP_1) | instid1(VALU_DEP_2)
	v_and_or_b32 v7, 0x7f00, v1, 0.5
	v_bfe_i32 v1, v1, 0, 16
	v_add_f32_e32 v7, -0.5, v7
	v_lshrrev_b32_e32 v5, 4, v3
	v_cmp_gt_u32_e32 vcc_lo, 0x8000000, v3
	s_delay_alu instid0(VALU_DEP_2) | instskip(NEXT) | instid1(VALU_DEP_1)
	v_or_b32_e32 v5, 0x70000000, v5
	v_mul_f32_e32 v5, 0x7800000, v5
	s_delay_alu instid0(VALU_DEP_1) | instskip(NEXT) | instid1(VALU_DEP_1)
	v_cndmask_b32_e32 v3, v5, v7, vcc_lo
	v_and_or_b32 v1, 0x80000000, v1, v3
	s_delay_alu instid0(VALU_DEP_1)
	v_cvt_i32_f32_e32 v20, v1
.LBB87_2442:
	s_mov_b32 s13, 0
	s_mov_b32 s14, -1
.LBB87_2443:
	s_and_not1_b32 vcc_lo, exec_lo, s13
	s_mov_b32 s13, 0
	s_cbranch_vccnz .LBB87_2454
; %bb.2444:
	s_cmp_gt_i32 s10, 14
	s_cbranch_scc0 .LBB87_2447
; %bb.2445:
	s_cmp_eq_u32 s10, 15
	s_cbranch_scc0 .LBB87_2450
; %bb.2446:
	global_load_u16 v1, v[24:25], off
	s_mov_b32 s12, 0
	s_mov_b32 s14, -1
	s_wait_loadcnt 0x0
	v_lshlrev_b32_e32 v1, 16, v1
	s_delay_alu instid0(VALU_DEP_1)
	v_cvt_i32_f32_e32 v20, v1
	s_branch .LBB87_2452
.LBB87_2447:
	s_mov_b32 s13, -1
	s_branch .LBB87_2451
.LBB87_2448:
	s_and_not1_saveexec_b32 s13, s13
	s_cbranch_execz .LBB87_2429
.LBB87_2449:
	v_cmp_ne_u16_e32 vcc_lo, 0, v1
	s_and_not1_b32 s14, s14, exec_lo
	s_and_b32 s15, vcc_lo, exec_lo
	s_delay_alu instid0(SALU_CYCLE_1)
	s_or_b32 s14, s14, s15
	s_or_b32 exec_lo, exec_lo, s13
	v_mov_b32_e32 v20, 0
	s_and_saveexec_b32 s13, s14
	s_cbranch_execnz .LBB87_2430
	s_branch .LBB87_2431
.LBB87_2450:
	s_mov_b32 s12, -1
.LBB87_2451:
                                        ; implicit-def: $vgpr20
.LBB87_2452:
	s_and_b32 vcc_lo, exec_lo, s13
	s_mov_b32 s13, 0
	s_cbranch_vccz .LBB87_2454
; %bb.2453:
	s_cmp_lg_u32 s10, 11
	s_mov_b32 s13, -1
	s_cselect_b32 s12, -1, 0
.LBB87_2454:
	s_delay_alu instid0(SALU_CYCLE_1)
	s_and_b32 vcc_lo, exec_lo, s12
	s_cbranch_vccnz .LBB87_2538
; %bb.2455:
	s_and_not1_b32 vcc_lo, exec_lo, s13
	s_cbranch_vccnz .LBB87_2457
.LBB87_2456:
	global_load_u8 v1, v[24:25], off
	s_mov_b32 s14, -1
	s_wait_loadcnt 0x0
	v_cmp_ne_u16_e32 vcc_lo, 0, v1
	v_cndmask_b32_e64 v20, 0, 1, vcc_lo
.LBB87_2457:
	s_mov_b32 s12, 0
.LBB87_2458:
	s_delay_alu instid0(SALU_CYCLE_1)
	s_and_b32 vcc_lo, exec_lo, s12
	s_cbranch_vccz .LBB87_2507
; %bb.2459:
	s_cmp_lt_i32 s10, 5
	s_cbranch_scc1 .LBB87_2464
; %bb.2460:
	s_cmp_lt_i32 s10, 8
	s_cbranch_scc1 .LBB87_2465
	;; [unrolled: 3-line block ×3, first 2 shown]
; %bb.2462:
	s_cmp_gt_i32 s10, 9
	s_cbranch_scc0 .LBB87_2467
; %bb.2463:
	s_wait_loadcnt 0x0
	global_load_b64 v[20:21], v[24:25], off
	s_mov_b32 s12, 0
	s_wait_loadcnt 0x0
	v_cvt_i32_f64_e32 v20, v[20:21]
	s_branch .LBB87_2468
.LBB87_2464:
	s_mov_b32 s12, -1
                                        ; implicit-def: $vgpr20
	s_branch .LBB87_2486
.LBB87_2465:
	s_mov_b32 s12, -1
                                        ; implicit-def: $vgpr20
	s_branch .LBB87_2474
.LBB87_2466:
	s_mov_b32 s12, -1
                                        ; implicit-def: $vgpr20
	s_branch .LBB87_2471
.LBB87_2467:
	s_mov_b32 s12, -1
                                        ; implicit-def: $vgpr20
.LBB87_2468:
	s_delay_alu instid0(SALU_CYCLE_1)
	s_and_not1_b32 vcc_lo, exec_lo, s12
	s_cbranch_vccnz .LBB87_2470
; %bb.2469:
	global_load_b32 v1, v[24:25], off
	s_wait_loadcnt 0x0
	v_cvt_i32_f32_e32 v20, v1
.LBB87_2470:
	s_mov_b32 s12, 0
.LBB87_2471:
	s_delay_alu instid0(SALU_CYCLE_1)
	s_and_not1_b32 vcc_lo, exec_lo, s12
	s_cbranch_vccnz .LBB87_2473
; %bb.2472:
	global_load_b32 v1, v[24:25], off
	s_wait_loadcnt 0x0
	v_cvt_i16_f16_e32 v20, v1
.LBB87_2473:
	s_mov_b32 s12, 0
.LBB87_2474:
	s_delay_alu instid0(SALU_CYCLE_1)
	s_and_not1_b32 vcc_lo, exec_lo, s12
	s_cbranch_vccnz .LBB87_2485
; %bb.2475:
	s_cmp_lt_i32 s10, 6
	s_cbranch_scc1 .LBB87_2478
; %bb.2476:
	s_cmp_gt_i32 s10, 6
	s_cbranch_scc0 .LBB87_2479
; %bb.2477:
	s_wait_loadcnt 0x0
	global_load_b64 v[20:21], v[24:25], off
	s_mov_b32 s12, 0
	s_wait_loadcnt 0x0
	v_cvt_i32_f64_e32 v20, v[20:21]
	s_branch .LBB87_2480
.LBB87_2478:
	s_mov_b32 s12, -1
                                        ; implicit-def: $vgpr20
	s_branch .LBB87_2483
.LBB87_2479:
	s_mov_b32 s12, -1
                                        ; implicit-def: $vgpr20
.LBB87_2480:
	s_delay_alu instid0(SALU_CYCLE_1)
	s_and_not1_b32 vcc_lo, exec_lo, s12
	s_cbranch_vccnz .LBB87_2482
; %bb.2481:
	global_load_b32 v1, v[24:25], off
	s_wait_loadcnt 0x0
	v_cvt_i32_f32_e32 v20, v1
.LBB87_2482:
	s_mov_b32 s12, 0
.LBB87_2483:
	s_delay_alu instid0(SALU_CYCLE_1)
	s_and_not1_b32 vcc_lo, exec_lo, s12
	s_cbranch_vccnz .LBB87_2485
; %bb.2484:
	global_load_u16 v1, v[24:25], off
	s_wait_loadcnt 0x0
	v_cvt_i16_f16_e32 v20, v1
.LBB87_2485:
	s_mov_b32 s12, 0
.LBB87_2486:
	s_delay_alu instid0(SALU_CYCLE_1)
	s_and_not1_b32 vcc_lo, exec_lo, s12
	s_cbranch_vccnz .LBB87_2506
; %bb.2487:
	s_cmp_lt_i32 s10, 2
	s_cbranch_scc1 .LBB87_2491
; %bb.2488:
	s_cmp_lt_i32 s10, 3
	s_cbranch_scc1 .LBB87_2492
; %bb.2489:
	s_cmp_gt_i32 s10, 3
	s_cbranch_scc0 .LBB87_2493
; %bb.2490:
	s_wait_loadcnt 0x0
	global_load_b64 v[20:21], v[24:25], off
	s_mov_b32 s12, 0
	s_branch .LBB87_2494
.LBB87_2491:
	s_mov_b32 s12, -1
                                        ; implicit-def: $vgpr20
	s_branch .LBB87_2500
.LBB87_2492:
	s_mov_b32 s12, -1
                                        ; implicit-def: $vgpr20
	s_branch .LBB87_2497
.LBB87_2493:
	s_mov_b32 s12, -1
                                        ; implicit-def: $vgpr20
.LBB87_2494:
	s_delay_alu instid0(SALU_CYCLE_1)
	s_and_not1_b32 vcc_lo, exec_lo, s12
	s_cbranch_vccnz .LBB87_2496
; %bb.2495:
	s_wait_loadcnt 0x0
	global_load_b32 v20, v[24:25], off
.LBB87_2496:
	s_mov_b32 s12, 0
.LBB87_2497:
	s_delay_alu instid0(SALU_CYCLE_1)
	s_and_not1_b32 vcc_lo, exec_lo, s12
	s_cbranch_vccnz .LBB87_2499
; %bb.2498:
	s_wait_loadcnt 0x0
	global_load_u16 v20, v[24:25], off
.LBB87_2499:
	s_mov_b32 s12, 0
.LBB87_2500:
	s_delay_alu instid0(SALU_CYCLE_1)
	s_and_not1_b32 vcc_lo, exec_lo, s12
	s_cbranch_vccnz .LBB87_2506
; %bb.2501:
	s_cmp_gt_i32 s10, 0
	s_mov_b32 s12, 0
	s_cbranch_scc0 .LBB87_2503
; %bb.2502:
	s_wait_loadcnt 0x0
	global_load_i8 v20, v[24:25], off
	s_branch .LBB87_2504
.LBB87_2503:
	s_mov_b32 s12, -1
                                        ; implicit-def: $vgpr20
.LBB87_2504:
	s_delay_alu instid0(SALU_CYCLE_1)
	s_and_not1_b32 vcc_lo, exec_lo, s12
	s_cbranch_vccnz .LBB87_2506
; %bb.2505:
	s_wait_loadcnt 0x0
	global_load_u8 v20, v[24:25], off
.LBB87_2506:
	s_mov_b32 s14, -1
.LBB87_2507:
	s_delay_alu instid0(SALU_CYCLE_1)
	s_and_not1_b32 vcc_lo, exec_lo, s14
	s_cbranch_vccnz .LBB87_3216
; %bb.2508:
	s_cmp_lt_i32 s11, 23
	s_cbranch_scc1 .LBB87_2512
; %bb.2509:
	s_cmp_gt_i32 s11, 43
	s_cbranch_scc0 .LBB87_2513
; %bb.2510:
	s_cmp_gt_i32 s11, 45
	s_cbranch_scc0 .LBB87_2514
; %bb.2511:
	s_cmp_lg_u32 s11, 46
	s_mov_b32 s14, 0
	s_mov_b32 s12, -1
	s_cselect_b32 s13, -1, 0
	s_branch .LBB87_2515
.LBB87_2512:
	s_mov_b32 s14, -1
	s_mov_b32 s12, 0
	s_mov_b32 s13, 0
	s_branch .LBB87_2521
.LBB87_2513:
	s_mov_b32 s14, -1
	s_mov_b32 s12, 0
	s_mov_b32 s13, 0
	s_branch .LBB87_2518
.LBB87_2514:
	s_mov_b32 s14, -1
	s_mov_b32 s12, 0
	s_mov_b32 s13, 0
.LBB87_2515:
	s_and_not1_b32 vcc_lo, exec_lo, s14
	s_cbranch_vccnz .LBB87_2517
; %bb.2516:
	s_cmp_eq_u32 s11, 44
	s_cselect_b32 s12, -1, 0
	s_cmp_lg_u32 s11, 44
	s_cselect_b32 s13, -1, 0
.LBB87_2517:
	s_mov_b32 s14, 0
.LBB87_2518:
	s_delay_alu instid0(SALU_CYCLE_1)
	s_and_b32 vcc_lo, exec_lo, s14
	s_cbranch_vccz .LBB87_2520
; %bb.2519:
	s_cmp_lt_i32 s11, 30
	s_cselect_b32 s12, -1, 0
	s_cmp_gt_i32 s11, 29
	s_cselect_b32 s13, -1, 0
.LBB87_2520:
	s_mov_b32 s14, 0
.LBB87_2521:
	s_delay_alu instid0(SALU_CYCLE_1)
	s_and_b32 vcc_lo, exec_lo, s14
	s_cbranch_vccz .LBB87_2526
; %bb.2522:
	s_cmp_gt_i32 s11, 14
	s_mov_b32 s14, -1
	s_cbranch_scc0 .LBB87_2524
; %bb.2523:
	s_cmp_eq_u32 s11, 15
	s_mov_b32 s14, 0
	s_cselect_b32 s12, -1, 0
	s_cmp_lg_u32 s11, 15
	s_cselect_b32 s13, -1, 0
.LBB87_2524:
	s_and_not1_b32 vcc_lo, exec_lo, s14
	s_cbranch_vccnz .LBB87_2526
; %bb.2525:
	s_cmp_lt_i32 s11, 12
	s_cselect_b32 s12, -1, 0
	s_cmp_gt_i32 s11, 11
	s_cselect_b32 s13, -1, 0
.LBB87_2526:
	s_delay_alu instid0(SALU_CYCLE_1)
	s_and_b32 vcc_lo, exec_lo, s13
	s_cbranch_vccnz .LBB87_2539
; %bb.2527:
	s_and_not1_b32 vcc_lo, exec_lo, s12
	s_cbranch_vccnz .LBB87_3216
.LBB87_2528:
	v_mov_b32_e32 v17, 0
	s_cmp_lt_i32 s9, 11
	s_wait_xcnt 0x0
	s_delay_alu instid0(VALU_DEP_1)
	v_add_nc_u64_e32 v[24:25], s[0:1], v[16:17]
	s_cbranch_scc1 .LBB87_2535
; %bb.2529:
	s_cmp_gt_i32 s9, 25
	s_mov_b32 s1, 0
	s_cbranch_scc0 .LBB87_2536
; %bb.2530:
	s_cmp_gt_i32 s9, 28
	s_cbranch_scc0 .LBB87_2537
; %bb.2531:
	s_cmp_gt_i32 s9, 43
	;; [unrolled: 3-line block ×3, first 2 shown]
	s_cbranch_scc0 .LBB87_2541
; %bb.2533:
	s_cmp_eq_u32 s9, 46
	s_mov_b32 s12, 0
	s_cbranch_scc0 .LBB87_2542
; %bb.2534:
	global_load_b32 v1, v[24:25], off
	s_mov_b32 s0, 0
	s_mov_b32 s11, -1
	s_wait_loadcnt 0x0
	v_lshlrev_b32_e32 v1, 16, v1
	s_delay_alu instid0(VALU_DEP_1)
	v_cvt_i32_f32_e32 v16, v1
	s_branch .LBB87_2544
.LBB87_2535:
	s_mov_b32 s0, -1
	s_mov_b32 s11, 0
                                        ; implicit-def: $vgpr16
	s_branch .LBB87_2606
.LBB87_2536:
	s_mov_b32 s12, -1
	s_mov_b32 s11, 0
	s_mov_b32 s0, 0
                                        ; implicit-def: $vgpr16
	s_branch .LBB87_2571
.LBB87_2537:
	s_mov_b32 s12, -1
	s_mov_b32 s11, 0
	s_mov_b32 s0, 0
                                        ; implicit-def: $vgpr16
	s_branch .LBB87_2554
.LBB87_2538:
	s_or_b32 s8, s8, exec_lo
	s_trap 2
	s_cbranch_execz .LBB87_2456
	s_branch .LBB87_2457
.LBB87_2539:
	s_or_b32 s8, s8, exec_lo
	s_trap 2
	s_cbranch_execz .LBB87_2528
	s_branch .LBB87_3216
.LBB87_2540:
	s_mov_b32 s12, -1
	s_mov_b32 s11, 0
	s_mov_b32 s0, 0
                                        ; implicit-def: $vgpr16
	s_branch .LBB87_2549
.LBB87_2541:
	s_mov_b32 s12, -1
	s_mov_b32 s11, 0
	s_mov_b32 s0, 0
	s_branch .LBB87_2543
.LBB87_2542:
	s_mov_b32 s0, -1
	s_mov_b32 s11, 0
.LBB87_2543:
                                        ; implicit-def: $vgpr16
.LBB87_2544:
	s_and_b32 vcc_lo, exec_lo, s12
	s_cbranch_vccz .LBB87_2548
; %bb.2545:
	s_cmp_eq_u32 s9, 44
	s_cbranch_scc0 .LBB87_2547
; %bb.2546:
	global_load_u8 v1, v[24:25], off
	s_mov_b32 s0, 0
	s_mov_b32 s11, -1
	s_wait_loadcnt 0x0
	v_lshlrev_b32_e32 v3, 23, v1
	v_cmp_ne_u32_e32 vcc_lo, 0, v1
	s_delay_alu instid0(VALU_DEP_2) | instskip(NEXT) | instid1(VALU_DEP_1)
	v_cvt_i32_f32_e32 v3, v3
	v_cndmask_b32_e32 v16, 0, v3, vcc_lo
	s_branch .LBB87_2548
.LBB87_2547:
	s_mov_b32 s0, -1
                                        ; implicit-def: $vgpr16
.LBB87_2548:
	s_mov_b32 s12, 0
.LBB87_2549:
	s_delay_alu instid0(SALU_CYCLE_1)
	s_and_b32 vcc_lo, exec_lo, s12
	s_cbranch_vccz .LBB87_2553
; %bb.2550:
	s_cmp_eq_u32 s9, 29
	s_cbranch_scc0 .LBB87_2552
; %bb.2551:
	global_load_b64 v[16:17], v[24:25], off
	s_mov_b32 s0, 0
	s_mov_b32 s11, -1
	s_branch .LBB87_2553
.LBB87_2552:
	s_mov_b32 s0, -1
                                        ; implicit-def: $vgpr16
.LBB87_2553:
	s_mov_b32 s12, 0
.LBB87_2554:
	s_delay_alu instid0(SALU_CYCLE_1)
	s_and_b32 vcc_lo, exec_lo, s12
	s_cbranch_vccz .LBB87_2570
; %bb.2555:
	s_cmp_lt_i32 s9, 27
	s_cbranch_scc1 .LBB87_2558
; %bb.2556:
	s_cmp_gt_i32 s9, 27
	s_cbranch_scc0 .LBB87_2559
; %bb.2557:
	s_wait_loadcnt 0x0
	global_load_b32 v16, v[24:25], off
	s_mov_b32 s11, 0
	s_branch .LBB87_2560
.LBB87_2558:
	s_mov_b32 s11, -1
                                        ; implicit-def: $vgpr16
	s_branch .LBB87_2563
.LBB87_2559:
	s_mov_b32 s11, -1
                                        ; implicit-def: $vgpr16
.LBB87_2560:
	s_delay_alu instid0(SALU_CYCLE_1)
	s_and_not1_b32 vcc_lo, exec_lo, s11
	s_cbranch_vccnz .LBB87_2562
; %bb.2561:
	s_wait_loadcnt 0x0
	global_load_u16 v16, v[24:25], off
.LBB87_2562:
	s_mov_b32 s11, 0
.LBB87_2563:
	s_delay_alu instid0(SALU_CYCLE_1)
	s_and_not1_b32 vcc_lo, exec_lo, s11
	s_cbranch_vccnz .LBB87_2569
; %bb.2564:
	global_load_u8 v1, v[24:25], off
	s_mov_b32 s12, 0
	s_mov_b32 s11, exec_lo
	s_wait_loadcnt 0x0
	v_cmpx_lt_i16_e32 0x7f, v1
	s_xor_b32 s11, exec_lo, s11
	s_cbranch_execz .LBB87_2581
; %bb.2565:
	v_cmp_ne_u16_e32 vcc_lo, 0x80, v1
	s_and_b32 s12, vcc_lo, exec_lo
	s_and_not1_saveexec_b32 s11, s11
	s_cbranch_execnz .LBB87_2582
.LBB87_2566:
	s_or_b32 exec_lo, exec_lo, s11
	v_mov_b32_e32 v16, 0
	s_and_saveexec_b32 s11, s12
	s_cbranch_execz .LBB87_2568
.LBB87_2567:
	v_and_b32_e32 v3, 0xffff, v1
	s_delay_alu instid0(VALU_DEP_1) | instskip(SKIP_1) | instid1(VALU_DEP_2)
	v_dual_lshlrev_b32 v1, 24, v1 :: v_dual_bitop2_b32 v5, 7, v3 bitop3:0x40
	v_bfe_u32 v11, v3, 3, 4
	v_and_b32_e32 v1, 0x80000000, v1
	s_delay_alu instid0(VALU_DEP_3) | instskip(NEXT) | instid1(VALU_DEP_3)
	v_clz_i32_u32_e32 v7, v5
	v_cmp_eq_u32_e32 vcc_lo, 0, v11
	s_delay_alu instid0(VALU_DEP_2) | instskip(NEXT) | instid1(VALU_DEP_1)
	v_min_u32_e32 v7, 32, v7
	v_subrev_nc_u32_e32 v9, 28, v7
	v_sub_nc_u32_e32 v7, 29, v7
	s_delay_alu instid0(VALU_DEP_2) | instskip(NEXT) | instid1(VALU_DEP_2)
	v_lshlrev_b32_e32 v3, v9, v3
	v_cndmask_b32_e32 v7, v11, v7, vcc_lo
	s_delay_alu instid0(VALU_DEP_2) | instskip(NEXT) | instid1(VALU_DEP_1)
	v_and_b32_e32 v3, 7, v3
	v_cndmask_b32_e32 v3, v5, v3, vcc_lo
	s_delay_alu instid0(VALU_DEP_3) | instskip(NEXT) | instid1(VALU_DEP_2)
	v_lshl_add_u32 v5, v7, 23, 0x3b800000
	v_lshlrev_b32_e32 v3, 20, v3
	s_delay_alu instid0(VALU_DEP_1) | instskip(NEXT) | instid1(VALU_DEP_1)
	v_or3_b32 v1, v1, v5, v3
	v_cvt_i32_f32_e32 v16, v1
.LBB87_2568:
	s_or_b32 exec_lo, exec_lo, s11
.LBB87_2569:
	s_mov_b32 s11, -1
.LBB87_2570:
	s_mov_b32 s12, 0
.LBB87_2571:
	s_delay_alu instid0(SALU_CYCLE_1)
	s_and_b32 vcc_lo, exec_lo, s12
	s_cbranch_vccz .LBB87_2602
; %bb.2572:
	s_cmp_gt_i32 s9, 22
	s_cbranch_scc0 .LBB87_2580
; %bb.2573:
	s_cmp_lt_i32 s9, 24
	s_cbranch_scc1 .LBB87_2583
; %bb.2574:
	s_cmp_gt_i32 s9, 24
	s_cbranch_scc0 .LBB87_2584
; %bb.2575:
	global_load_u8 v1, v[24:25], off
	s_mov_b32 s11, 0
	s_mov_b32 s1, exec_lo
	s_wait_loadcnt 0x0
	v_cmpx_lt_i16_e32 0x7f, v1
	s_xor_b32 s1, exec_lo, s1
	s_cbranch_execz .LBB87_2596
; %bb.2576:
	v_cmp_ne_u16_e32 vcc_lo, 0x80, v1
	s_and_b32 s11, vcc_lo, exec_lo
	s_and_not1_saveexec_b32 s1, s1
	s_cbranch_execnz .LBB87_2597
.LBB87_2577:
	s_or_b32 exec_lo, exec_lo, s1
	v_mov_b32_e32 v16, 0
	s_and_saveexec_b32 s1, s11
	s_cbranch_execz .LBB87_2579
.LBB87_2578:
	v_and_b32_e32 v3, 0xffff, v1
	s_delay_alu instid0(VALU_DEP_1) | instskip(SKIP_1) | instid1(VALU_DEP_2)
	v_dual_lshlrev_b32 v1, 24, v1 :: v_dual_bitop2_b32 v5, 3, v3 bitop3:0x40
	v_bfe_u32 v11, v3, 2, 5
	v_and_b32_e32 v1, 0x80000000, v1
	s_delay_alu instid0(VALU_DEP_3) | instskip(NEXT) | instid1(VALU_DEP_3)
	v_clz_i32_u32_e32 v7, v5
	v_cmp_eq_u32_e32 vcc_lo, 0, v11
	s_delay_alu instid0(VALU_DEP_2) | instskip(NEXT) | instid1(VALU_DEP_1)
	v_min_u32_e32 v7, 32, v7
	v_subrev_nc_u32_e32 v9, 29, v7
	v_sub_nc_u32_e32 v7, 30, v7
	s_delay_alu instid0(VALU_DEP_2) | instskip(NEXT) | instid1(VALU_DEP_2)
	v_lshlrev_b32_e32 v3, v9, v3
	v_cndmask_b32_e32 v7, v11, v7, vcc_lo
	s_delay_alu instid0(VALU_DEP_2) | instskip(NEXT) | instid1(VALU_DEP_1)
	v_and_b32_e32 v3, 3, v3
	v_cndmask_b32_e32 v3, v5, v3, vcc_lo
	s_delay_alu instid0(VALU_DEP_3) | instskip(NEXT) | instid1(VALU_DEP_2)
	v_lshl_add_u32 v5, v7, 23, 0x37800000
	v_lshlrev_b32_e32 v3, 21, v3
	s_delay_alu instid0(VALU_DEP_1) | instskip(NEXT) | instid1(VALU_DEP_1)
	v_or3_b32 v1, v1, v5, v3
	v_cvt_i32_f32_e32 v16, v1
.LBB87_2579:
	s_or_b32 exec_lo, exec_lo, s1
	s_mov_b32 s1, 0
	s_branch .LBB87_2585
.LBB87_2580:
	s_mov_b32 s1, -1
                                        ; implicit-def: $vgpr16
	s_branch .LBB87_2591
.LBB87_2581:
	s_and_not1_saveexec_b32 s11, s11
	s_cbranch_execz .LBB87_2566
.LBB87_2582:
	v_cmp_ne_u16_e32 vcc_lo, 0, v1
	s_and_not1_b32 s12, s12, exec_lo
	s_and_b32 s13, vcc_lo, exec_lo
	s_delay_alu instid0(SALU_CYCLE_1)
	s_or_b32 s12, s12, s13
	s_or_b32 exec_lo, exec_lo, s11
	v_mov_b32_e32 v16, 0
	s_and_saveexec_b32 s11, s12
	s_cbranch_execnz .LBB87_2567
	s_branch .LBB87_2568
.LBB87_2583:
	s_mov_b32 s1, -1
                                        ; implicit-def: $vgpr16
	s_branch .LBB87_2588
.LBB87_2584:
	s_mov_b32 s1, -1
                                        ; implicit-def: $vgpr16
.LBB87_2585:
	s_delay_alu instid0(SALU_CYCLE_1)
	s_and_b32 vcc_lo, exec_lo, s1
	s_cbranch_vccz .LBB87_2587
; %bb.2586:
	global_load_u8 v1, v[24:25], off
	s_wait_loadcnt 0x0
	v_lshlrev_b32_e32 v1, 24, v1
	s_delay_alu instid0(VALU_DEP_1) | instskip(NEXT) | instid1(VALU_DEP_1)
	v_and_b32_e32 v3, 0x7f000000, v1
	v_clz_i32_u32_e32 v5, v3
	v_add_nc_u32_e32 v9, 0x1000000, v3
	v_cmp_ne_u32_e32 vcc_lo, 0, v3
	s_delay_alu instid0(VALU_DEP_3) | instskip(NEXT) | instid1(VALU_DEP_1)
	v_min_u32_e32 v5, 32, v5
	v_sub_nc_u32_e64 v5, v5, 4 clamp
	s_delay_alu instid0(VALU_DEP_1) | instskip(NEXT) | instid1(VALU_DEP_1)
	v_dual_lshlrev_b32 v7, v5, v3 :: v_dual_lshlrev_b32 v5, 23, v5
	v_lshrrev_b32_e32 v7, 4, v7
	s_delay_alu instid0(VALU_DEP_1) | instskip(SKIP_1) | instid1(VALU_DEP_2)
	v_sub_nc_u32_e32 v5, v7, v5
	v_ashrrev_i32_e32 v7, 8, v9
	v_add_nc_u32_e32 v5, 0x3c000000, v5
	s_delay_alu instid0(VALU_DEP_1) | instskip(NEXT) | instid1(VALU_DEP_1)
	v_and_or_b32 v5, 0x7f800000, v7, v5
	v_cndmask_b32_e32 v3, 0, v5, vcc_lo
	s_delay_alu instid0(VALU_DEP_1) | instskip(NEXT) | instid1(VALU_DEP_1)
	v_and_or_b32 v1, 0x80000000, v1, v3
	v_cvt_i32_f32_e32 v16, v1
.LBB87_2587:
	s_mov_b32 s1, 0
.LBB87_2588:
	s_delay_alu instid0(SALU_CYCLE_1)
	s_and_not1_b32 vcc_lo, exec_lo, s1
	s_cbranch_vccnz .LBB87_2590
; %bb.2589:
	global_load_u8 v1, v[24:25], off
	s_wait_loadcnt 0x0
	v_lshlrev_b32_e32 v3, 25, v1
	v_lshlrev_b16 v1, 8, v1
	s_delay_alu instid0(VALU_DEP_1) | instskip(SKIP_1) | instid1(VALU_DEP_2)
	v_and_or_b32 v7, 0x7f00, v1, 0.5
	v_bfe_i32 v1, v1, 0, 16
	v_add_f32_e32 v7, -0.5, v7
	v_lshrrev_b32_e32 v5, 4, v3
	v_cmp_gt_u32_e32 vcc_lo, 0x8000000, v3
	s_delay_alu instid0(VALU_DEP_2) | instskip(NEXT) | instid1(VALU_DEP_1)
	v_or_b32_e32 v5, 0x70000000, v5
	v_mul_f32_e32 v5, 0x7800000, v5
	s_delay_alu instid0(VALU_DEP_1) | instskip(NEXT) | instid1(VALU_DEP_1)
	v_cndmask_b32_e32 v3, v5, v7, vcc_lo
	v_and_or_b32 v1, 0x80000000, v1, v3
	s_delay_alu instid0(VALU_DEP_1)
	v_cvt_i32_f32_e32 v16, v1
.LBB87_2590:
	s_mov_b32 s1, 0
	s_mov_b32 s11, -1
.LBB87_2591:
	s_and_not1_b32 vcc_lo, exec_lo, s1
	s_mov_b32 s1, 0
	s_cbranch_vccnz .LBB87_2602
; %bb.2592:
	s_cmp_gt_i32 s9, 14
	s_cbranch_scc0 .LBB87_2595
; %bb.2593:
	s_cmp_eq_u32 s9, 15
	s_cbranch_scc0 .LBB87_2598
; %bb.2594:
	global_load_u16 v1, v[24:25], off
	s_mov_b32 s0, 0
	s_mov_b32 s11, -1
	s_wait_loadcnt 0x0
	v_lshlrev_b32_e32 v1, 16, v1
	s_delay_alu instid0(VALU_DEP_1)
	v_cvt_i32_f32_e32 v16, v1
	s_branch .LBB87_2600
.LBB87_2595:
	s_mov_b32 s1, -1
	s_branch .LBB87_2599
.LBB87_2596:
	s_and_not1_saveexec_b32 s1, s1
	s_cbranch_execz .LBB87_2577
.LBB87_2597:
	v_cmp_ne_u16_e32 vcc_lo, 0, v1
	s_and_not1_b32 s11, s11, exec_lo
	s_and_b32 s12, vcc_lo, exec_lo
	s_delay_alu instid0(SALU_CYCLE_1)
	s_or_b32 s11, s11, s12
	s_or_b32 exec_lo, exec_lo, s1
	v_mov_b32_e32 v16, 0
	s_and_saveexec_b32 s1, s11
	s_cbranch_execnz .LBB87_2578
	s_branch .LBB87_2579
.LBB87_2598:
	s_mov_b32 s0, -1
.LBB87_2599:
                                        ; implicit-def: $vgpr16
.LBB87_2600:
	s_and_b32 vcc_lo, exec_lo, s1
	s_mov_b32 s1, 0
	s_cbranch_vccz .LBB87_2602
; %bb.2601:
	s_cmp_lg_u32 s9, 11
	s_mov_b32 s1, -1
	s_cselect_b32 s0, -1, 0
.LBB87_2602:
	s_delay_alu instid0(SALU_CYCLE_1)
	s_and_b32 vcc_lo, exec_lo, s0
	s_cbranch_vccnz .LBB87_2667
; %bb.2603:
	s_and_not1_b32 vcc_lo, exec_lo, s1
	s_cbranch_vccnz .LBB87_2605
.LBB87_2604:
	global_load_u8 v1, v[24:25], off
	s_mov_b32 s11, -1
	s_wait_loadcnt 0x0
	v_cmp_ne_u16_e32 vcc_lo, 0, v1
	v_cndmask_b32_e64 v16, 0, 1, vcc_lo
.LBB87_2605:
	s_mov_b32 s0, 0
.LBB87_2606:
	s_delay_alu instid0(SALU_CYCLE_1)
	s_and_b32 vcc_lo, exec_lo, s0
	s_cbranch_vccz .LBB87_2655
; %bb.2607:
	s_cmp_lt_i32 s9, 5
	s_cbranch_scc1 .LBB87_2612
; %bb.2608:
	s_cmp_lt_i32 s9, 8
	s_cbranch_scc1 .LBB87_2613
	;; [unrolled: 3-line block ×3, first 2 shown]
; %bb.2610:
	s_cmp_gt_i32 s9, 9
	s_cbranch_scc0 .LBB87_2615
; %bb.2611:
	s_wait_loadcnt 0x0
	global_load_b64 v[16:17], v[24:25], off
	s_mov_b32 s0, 0
	s_wait_loadcnt 0x0
	v_cvt_i32_f64_e32 v16, v[16:17]
	s_branch .LBB87_2616
.LBB87_2612:
	s_mov_b32 s0, -1
                                        ; implicit-def: $vgpr16
	s_branch .LBB87_2634
.LBB87_2613:
	s_mov_b32 s0, -1
                                        ; implicit-def: $vgpr16
	s_branch .LBB87_2622
.LBB87_2614:
	s_mov_b32 s0, -1
                                        ; implicit-def: $vgpr16
	s_branch .LBB87_2619
.LBB87_2615:
	s_mov_b32 s0, -1
                                        ; implicit-def: $vgpr16
.LBB87_2616:
	s_delay_alu instid0(SALU_CYCLE_1)
	s_and_not1_b32 vcc_lo, exec_lo, s0
	s_cbranch_vccnz .LBB87_2618
; %bb.2617:
	global_load_b32 v1, v[24:25], off
	s_wait_loadcnt 0x0
	v_cvt_i32_f32_e32 v16, v1
.LBB87_2618:
	s_mov_b32 s0, 0
.LBB87_2619:
	s_delay_alu instid0(SALU_CYCLE_1)
	s_and_not1_b32 vcc_lo, exec_lo, s0
	s_cbranch_vccnz .LBB87_2621
; %bb.2620:
	global_load_b32 v1, v[24:25], off
	s_wait_loadcnt 0x0
	v_cvt_i16_f16_e32 v16, v1
.LBB87_2621:
	s_mov_b32 s0, 0
.LBB87_2622:
	s_delay_alu instid0(SALU_CYCLE_1)
	s_and_not1_b32 vcc_lo, exec_lo, s0
	s_cbranch_vccnz .LBB87_2633
; %bb.2623:
	s_cmp_lt_i32 s9, 6
	s_cbranch_scc1 .LBB87_2626
; %bb.2624:
	s_cmp_gt_i32 s9, 6
	s_cbranch_scc0 .LBB87_2627
; %bb.2625:
	s_wait_loadcnt 0x0
	global_load_b64 v[16:17], v[24:25], off
	s_mov_b32 s0, 0
	s_wait_loadcnt 0x0
	v_cvt_i32_f64_e32 v16, v[16:17]
	s_branch .LBB87_2628
.LBB87_2626:
	s_mov_b32 s0, -1
                                        ; implicit-def: $vgpr16
	s_branch .LBB87_2631
.LBB87_2627:
	s_mov_b32 s0, -1
                                        ; implicit-def: $vgpr16
.LBB87_2628:
	s_delay_alu instid0(SALU_CYCLE_1)
	s_and_not1_b32 vcc_lo, exec_lo, s0
	s_cbranch_vccnz .LBB87_2630
; %bb.2629:
	global_load_b32 v1, v[24:25], off
	s_wait_loadcnt 0x0
	v_cvt_i32_f32_e32 v16, v1
.LBB87_2630:
	s_mov_b32 s0, 0
.LBB87_2631:
	s_delay_alu instid0(SALU_CYCLE_1)
	s_and_not1_b32 vcc_lo, exec_lo, s0
	s_cbranch_vccnz .LBB87_2633
; %bb.2632:
	global_load_u16 v1, v[24:25], off
	s_wait_loadcnt 0x0
	v_cvt_i16_f16_e32 v16, v1
.LBB87_2633:
	s_mov_b32 s0, 0
.LBB87_2634:
	s_delay_alu instid0(SALU_CYCLE_1)
	s_and_not1_b32 vcc_lo, exec_lo, s0
	s_cbranch_vccnz .LBB87_2654
; %bb.2635:
	s_cmp_lt_i32 s9, 2
	s_cbranch_scc1 .LBB87_2639
; %bb.2636:
	s_cmp_lt_i32 s9, 3
	s_cbranch_scc1 .LBB87_2640
; %bb.2637:
	s_cmp_gt_i32 s9, 3
	s_cbranch_scc0 .LBB87_2641
; %bb.2638:
	s_wait_loadcnt 0x0
	global_load_b64 v[16:17], v[24:25], off
	s_mov_b32 s0, 0
	s_branch .LBB87_2642
.LBB87_2639:
	s_mov_b32 s0, -1
                                        ; implicit-def: $vgpr16
	s_branch .LBB87_2648
.LBB87_2640:
	s_mov_b32 s0, -1
                                        ; implicit-def: $vgpr16
	s_branch .LBB87_2645
.LBB87_2641:
	s_mov_b32 s0, -1
                                        ; implicit-def: $vgpr16
.LBB87_2642:
	s_delay_alu instid0(SALU_CYCLE_1)
	s_and_not1_b32 vcc_lo, exec_lo, s0
	s_cbranch_vccnz .LBB87_2644
; %bb.2643:
	s_wait_loadcnt 0x0
	global_load_b32 v16, v[24:25], off
.LBB87_2644:
	s_mov_b32 s0, 0
.LBB87_2645:
	s_delay_alu instid0(SALU_CYCLE_1)
	s_and_not1_b32 vcc_lo, exec_lo, s0
	s_cbranch_vccnz .LBB87_2647
; %bb.2646:
	s_wait_loadcnt 0x0
	global_load_u16 v16, v[24:25], off
.LBB87_2647:
	s_mov_b32 s0, 0
.LBB87_2648:
	s_delay_alu instid0(SALU_CYCLE_1)
	s_and_not1_b32 vcc_lo, exec_lo, s0
	s_cbranch_vccnz .LBB87_2654
; %bb.2649:
	s_cmp_gt_i32 s9, 0
	s_mov_b32 s0, 0
	s_cbranch_scc0 .LBB87_2651
; %bb.2650:
	s_wait_loadcnt 0x0
	global_load_i8 v16, v[24:25], off
	s_branch .LBB87_2652
.LBB87_2651:
	s_mov_b32 s0, -1
                                        ; implicit-def: $vgpr16
.LBB87_2652:
	s_delay_alu instid0(SALU_CYCLE_1)
	s_and_not1_b32 vcc_lo, exec_lo, s0
	s_cbranch_vccnz .LBB87_2654
; %bb.2653:
	s_wait_loadcnt 0x0
	global_load_u8 v16, v[24:25], off
.LBB87_2654:
	s_mov_b32 s11, -1
.LBB87_2655:
	s_delay_alu instid0(SALU_CYCLE_1)
	s_and_not1_b32 vcc_lo, exec_lo, s11
	s_cbranch_vccnz .LBB87_3216
; %bb.2656:
	v_mov_b32_e32 v11, 0
	s_cmp_lt_i32 s10, 11
	s_wait_xcnt 0x0
	s_delay_alu instid0(VALU_DEP_1)
	v_add_nc_u64_e32 v[24:25], s[4:5], v[10:11]
	s_cbranch_scc1 .LBB87_2663
; %bb.2657:
	s_cmp_gt_i32 s10, 25
	s_mov_b32 s1, 0
	s_cbranch_scc0 .LBB87_2664
; %bb.2658:
	s_cmp_gt_i32 s10, 28
	s_cbranch_scc0 .LBB87_2665
; %bb.2659:
	s_cmp_gt_i32 s10, 43
	;; [unrolled: 3-line block ×3, first 2 shown]
	s_cbranch_scc0 .LBB87_2668
; %bb.2661:
	s_cmp_eq_u32 s10, 46
	s_mov_b32 s5, 0
	s_cbranch_scc0 .LBB87_2669
; %bb.2662:
	global_load_b32 v1, v[24:25], off
	s_mov_b32 s0, 0
	s_mov_b32 s4, -1
	s_wait_loadcnt 0x0
	v_lshlrev_b32_e32 v1, 16, v1
	s_delay_alu instid0(VALU_DEP_1)
	v_cvt_i32_f32_e32 v10, v1
	s_branch .LBB87_2671
.LBB87_2663:
	s_mov_b32 s0, -1
	s_mov_b32 s4, 0
                                        ; implicit-def: $vgpr10
	s_branch .LBB87_2733
.LBB87_2664:
	s_mov_b32 s5, -1
	s_mov_b32 s4, 0
	s_mov_b32 s0, 0
                                        ; implicit-def: $vgpr10
	s_branch .LBB87_2698
.LBB87_2665:
	s_mov_b32 s5, -1
	s_mov_b32 s4, 0
	s_mov_b32 s0, 0
                                        ; implicit-def: $vgpr10
	s_branch .LBB87_2681
.LBB87_2666:
	s_mov_b32 s5, -1
	s_mov_b32 s4, 0
	s_mov_b32 s0, 0
                                        ; implicit-def: $vgpr10
	s_branch .LBB87_2676
.LBB87_2667:
	s_or_b32 s8, s8, exec_lo
	s_trap 2
	s_cbranch_execz .LBB87_2604
	s_branch .LBB87_2605
.LBB87_2668:
	s_mov_b32 s5, -1
	s_mov_b32 s4, 0
	s_mov_b32 s0, 0
	s_branch .LBB87_2670
.LBB87_2669:
	s_mov_b32 s0, -1
	s_mov_b32 s4, 0
.LBB87_2670:
                                        ; implicit-def: $vgpr10
.LBB87_2671:
	s_and_b32 vcc_lo, exec_lo, s5
	s_cbranch_vccz .LBB87_2675
; %bb.2672:
	s_cmp_eq_u32 s10, 44
	s_cbranch_scc0 .LBB87_2674
; %bb.2673:
	global_load_u8 v1, v[24:25], off
	s_mov_b32 s0, 0
	s_mov_b32 s4, -1
	s_wait_loadcnt 0x0
	v_lshlrev_b32_e32 v3, 23, v1
	v_cmp_ne_u32_e32 vcc_lo, 0, v1
	s_delay_alu instid0(VALU_DEP_2) | instskip(NEXT) | instid1(VALU_DEP_1)
	v_cvt_i32_f32_e32 v3, v3
	v_cndmask_b32_e32 v10, 0, v3, vcc_lo
	s_branch .LBB87_2675
.LBB87_2674:
	s_mov_b32 s0, -1
                                        ; implicit-def: $vgpr10
.LBB87_2675:
	s_mov_b32 s5, 0
.LBB87_2676:
	s_delay_alu instid0(SALU_CYCLE_1)
	s_and_b32 vcc_lo, exec_lo, s5
	s_cbranch_vccz .LBB87_2680
; %bb.2677:
	s_cmp_eq_u32 s10, 29
	s_cbranch_scc0 .LBB87_2679
; %bb.2678:
	global_load_b64 v[10:11], v[24:25], off
	s_mov_b32 s0, 0
	s_mov_b32 s4, -1
	s_branch .LBB87_2680
.LBB87_2679:
	s_mov_b32 s0, -1
                                        ; implicit-def: $vgpr10
.LBB87_2680:
	s_mov_b32 s5, 0
.LBB87_2681:
	s_delay_alu instid0(SALU_CYCLE_1)
	s_and_b32 vcc_lo, exec_lo, s5
	s_cbranch_vccz .LBB87_2697
; %bb.2682:
	s_cmp_lt_i32 s10, 27
	s_cbranch_scc1 .LBB87_2685
; %bb.2683:
	s_cmp_gt_i32 s10, 27
	s_cbranch_scc0 .LBB87_2686
; %bb.2684:
	s_wait_loadcnt 0x0
	global_load_b32 v10, v[24:25], off
	s_mov_b32 s4, 0
	s_branch .LBB87_2687
.LBB87_2685:
	s_mov_b32 s4, -1
                                        ; implicit-def: $vgpr10
	s_branch .LBB87_2690
.LBB87_2686:
	s_mov_b32 s4, -1
                                        ; implicit-def: $vgpr10
.LBB87_2687:
	s_delay_alu instid0(SALU_CYCLE_1)
	s_and_not1_b32 vcc_lo, exec_lo, s4
	s_cbranch_vccnz .LBB87_2689
; %bb.2688:
	s_wait_loadcnt 0x0
	global_load_u16 v10, v[24:25], off
.LBB87_2689:
	s_mov_b32 s4, 0
.LBB87_2690:
	s_delay_alu instid0(SALU_CYCLE_1)
	s_and_not1_b32 vcc_lo, exec_lo, s4
	s_cbranch_vccnz .LBB87_2696
; %bb.2691:
	global_load_u8 v1, v[24:25], off
	s_mov_b32 s5, 0
	s_mov_b32 s4, exec_lo
	s_wait_loadcnt 0x0
	v_cmpx_lt_i16_e32 0x7f, v1
	s_xor_b32 s4, exec_lo, s4
	s_cbranch_execz .LBB87_2708
; %bb.2692:
	v_cmp_ne_u16_e32 vcc_lo, 0x80, v1
	s_and_b32 s5, vcc_lo, exec_lo
	s_and_not1_saveexec_b32 s4, s4
	s_cbranch_execnz .LBB87_2709
.LBB87_2693:
	s_or_b32 exec_lo, exec_lo, s4
	v_mov_b32_e32 v10, 0
	s_and_saveexec_b32 s4, s5
	s_cbranch_execz .LBB87_2695
.LBB87_2694:
	v_and_b32_e32 v3, 0xffff, v1
	s_delay_alu instid0(VALU_DEP_1) | instskip(SKIP_1) | instid1(VALU_DEP_2)
	v_dual_lshlrev_b32 v1, 24, v1 :: v_dual_bitop2_b32 v5, 7, v3 bitop3:0x40
	v_bfe_u32 v10, v3, 3, 4
	v_and_b32_e32 v1, 0x80000000, v1
	s_delay_alu instid0(VALU_DEP_3) | instskip(NEXT) | instid1(VALU_DEP_3)
	v_clz_i32_u32_e32 v7, v5
	v_cmp_eq_u32_e32 vcc_lo, 0, v10
	s_delay_alu instid0(VALU_DEP_2) | instskip(NEXT) | instid1(VALU_DEP_1)
	v_min_u32_e32 v7, 32, v7
	v_subrev_nc_u32_e32 v9, 28, v7
	v_sub_nc_u32_e32 v7, 29, v7
	s_delay_alu instid0(VALU_DEP_2) | instskip(NEXT) | instid1(VALU_DEP_2)
	v_lshlrev_b32_e32 v3, v9, v3
	v_cndmask_b32_e32 v7, v10, v7, vcc_lo
	s_delay_alu instid0(VALU_DEP_2) | instskip(NEXT) | instid1(VALU_DEP_1)
	v_and_b32_e32 v3, 7, v3
	v_cndmask_b32_e32 v3, v5, v3, vcc_lo
	s_delay_alu instid0(VALU_DEP_3) | instskip(NEXT) | instid1(VALU_DEP_2)
	v_lshl_add_u32 v5, v7, 23, 0x3b800000
	v_lshlrev_b32_e32 v3, 20, v3
	s_delay_alu instid0(VALU_DEP_1) | instskip(NEXT) | instid1(VALU_DEP_1)
	v_or3_b32 v1, v1, v5, v3
	v_cvt_i32_f32_e32 v10, v1
.LBB87_2695:
	s_or_b32 exec_lo, exec_lo, s4
.LBB87_2696:
	s_mov_b32 s4, -1
.LBB87_2697:
	s_mov_b32 s5, 0
.LBB87_2698:
	s_delay_alu instid0(SALU_CYCLE_1)
	s_and_b32 vcc_lo, exec_lo, s5
	s_cbranch_vccz .LBB87_2729
; %bb.2699:
	s_cmp_gt_i32 s10, 22
	s_cbranch_scc0 .LBB87_2707
; %bb.2700:
	s_cmp_lt_i32 s10, 24
	s_cbranch_scc1 .LBB87_2710
; %bb.2701:
	s_cmp_gt_i32 s10, 24
	s_cbranch_scc0 .LBB87_2711
; %bb.2702:
	global_load_u8 v1, v[24:25], off
	s_mov_b32 s4, 0
	s_mov_b32 s1, exec_lo
	s_wait_loadcnt 0x0
	v_cmpx_lt_i16_e32 0x7f, v1
	s_xor_b32 s1, exec_lo, s1
	s_cbranch_execz .LBB87_2723
; %bb.2703:
	v_cmp_ne_u16_e32 vcc_lo, 0x80, v1
	s_and_b32 s4, vcc_lo, exec_lo
	s_and_not1_saveexec_b32 s1, s1
	s_cbranch_execnz .LBB87_2724
.LBB87_2704:
	s_or_b32 exec_lo, exec_lo, s1
	v_mov_b32_e32 v10, 0
	s_and_saveexec_b32 s1, s4
	s_cbranch_execz .LBB87_2706
.LBB87_2705:
	v_and_b32_e32 v3, 0xffff, v1
	s_delay_alu instid0(VALU_DEP_1) | instskip(SKIP_1) | instid1(VALU_DEP_2)
	v_dual_lshlrev_b32 v1, 24, v1 :: v_dual_bitop2_b32 v5, 3, v3 bitop3:0x40
	v_bfe_u32 v10, v3, 2, 5
	v_and_b32_e32 v1, 0x80000000, v1
	s_delay_alu instid0(VALU_DEP_3) | instskip(NEXT) | instid1(VALU_DEP_3)
	v_clz_i32_u32_e32 v7, v5
	v_cmp_eq_u32_e32 vcc_lo, 0, v10
	s_delay_alu instid0(VALU_DEP_2) | instskip(NEXT) | instid1(VALU_DEP_1)
	v_min_u32_e32 v7, 32, v7
	v_subrev_nc_u32_e32 v9, 29, v7
	v_sub_nc_u32_e32 v7, 30, v7
	s_delay_alu instid0(VALU_DEP_2) | instskip(NEXT) | instid1(VALU_DEP_2)
	v_lshlrev_b32_e32 v3, v9, v3
	v_cndmask_b32_e32 v7, v10, v7, vcc_lo
	s_delay_alu instid0(VALU_DEP_2) | instskip(NEXT) | instid1(VALU_DEP_1)
	v_and_b32_e32 v3, 3, v3
	v_cndmask_b32_e32 v3, v5, v3, vcc_lo
	s_delay_alu instid0(VALU_DEP_3) | instskip(NEXT) | instid1(VALU_DEP_2)
	v_lshl_add_u32 v5, v7, 23, 0x37800000
	v_lshlrev_b32_e32 v3, 21, v3
	s_delay_alu instid0(VALU_DEP_1) | instskip(NEXT) | instid1(VALU_DEP_1)
	v_or3_b32 v1, v1, v5, v3
	v_cvt_i32_f32_e32 v10, v1
.LBB87_2706:
	s_or_b32 exec_lo, exec_lo, s1
	s_mov_b32 s1, 0
	s_branch .LBB87_2712
.LBB87_2707:
	s_mov_b32 s1, -1
                                        ; implicit-def: $vgpr10
	s_branch .LBB87_2718
.LBB87_2708:
	s_and_not1_saveexec_b32 s4, s4
	s_cbranch_execz .LBB87_2693
.LBB87_2709:
	v_cmp_ne_u16_e32 vcc_lo, 0, v1
	s_and_not1_b32 s5, s5, exec_lo
	s_and_b32 s9, vcc_lo, exec_lo
	s_delay_alu instid0(SALU_CYCLE_1)
	s_or_b32 s5, s5, s9
	s_or_b32 exec_lo, exec_lo, s4
	v_mov_b32_e32 v10, 0
	s_and_saveexec_b32 s4, s5
	s_cbranch_execnz .LBB87_2694
	s_branch .LBB87_2695
.LBB87_2710:
	s_mov_b32 s1, -1
                                        ; implicit-def: $vgpr10
	s_branch .LBB87_2715
.LBB87_2711:
	s_mov_b32 s1, -1
                                        ; implicit-def: $vgpr10
.LBB87_2712:
	s_delay_alu instid0(SALU_CYCLE_1)
	s_and_b32 vcc_lo, exec_lo, s1
	s_cbranch_vccz .LBB87_2714
; %bb.2713:
	global_load_u8 v1, v[24:25], off
	s_wait_loadcnt 0x0
	v_lshlrev_b32_e32 v1, 24, v1
	s_delay_alu instid0(VALU_DEP_1) | instskip(NEXT) | instid1(VALU_DEP_1)
	v_and_b32_e32 v3, 0x7f000000, v1
	v_clz_i32_u32_e32 v5, v3
	v_add_nc_u32_e32 v9, 0x1000000, v3
	v_cmp_ne_u32_e32 vcc_lo, 0, v3
	s_delay_alu instid0(VALU_DEP_3) | instskip(NEXT) | instid1(VALU_DEP_1)
	v_min_u32_e32 v5, 32, v5
	v_sub_nc_u32_e64 v5, v5, 4 clamp
	s_delay_alu instid0(VALU_DEP_1) | instskip(NEXT) | instid1(VALU_DEP_1)
	v_dual_lshlrev_b32 v7, v5, v3 :: v_dual_lshlrev_b32 v5, 23, v5
	v_lshrrev_b32_e32 v7, 4, v7
	s_delay_alu instid0(VALU_DEP_1) | instskip(SKIP_1) | instid1(VALU_DEP_2)
	v_sub_nc_u32_e32 v5, v7, v5
	v_ashrrev_i32_e32 v7, 8, v9
	v_add_nc_u32_e32 v5, 0x3c000000, v5
	s_delay_alu instid0(VALU_DEP_1) | instskip(NEXT) | instid1(VALU_DEP_1)
	v_and_or_b32 v5, 0x7f800000, v7, v5
	v_cndmask_b32_e32 v3, 0, v5, vcc_lo
	s_delay_alu instid0(VALU_DEP_1) | instskip(NEXT) | instid1(VALU_DEP_1)
	v_and_or_b32 v1, 0x80000000, v1, v3
	v_cvt_i32_f32_e32 v10, v1
.LBB87_2714:
	s_mov_b32 s1, 0
.LBB87_2715:
	s_delay_alu instid0(SALU_CYCLE_1)
	s_and_not1_b32 vcc_lo, exec_lo, s1
	s_cbranch_vccnz .LBB87_2717
; %bb.2716:
	global_load_u8 v1, v[24:25], off
	s_wait_loadcnt 0x0
	v_lshlrev_b32_e32 v3, 25, v1
	v_lshlrev_b16 v1, 8, v1
	s_delay_alu instid0(VALU_DEP_1) | instskip(SKIP_1) | instid1(VALU_DEP_2)
	v_and_or_b32 v7, 0x7f00, v1, 0.5
	v_bfe_i32 v1, v1, 0, 16
	v_add_f32_e32 v7, -0.5, v7
	v_lshrrev_b32_e32 v5, 4, v3
	v_cmp_gt_u32_e32 vcc_lo, 0x8000000, v3
	s_delay_alu instid0(VALU_DEP_2) | instskip(NEXT) | instid1(VALU_DEP_1)
	v_or_b32_e32 v5, 0x70000000, v5
	v_mul_f32_e32 v5, 0x7800000, v5
	s_delay_alu instid0(VALU_DEP_1) | instskip(NEXT) | instid1(VALU_DEP_1)
	v_cndmask_b32_e32 v3, v5, v7, vcc_lo
	v_and_or_b32 v1, 0x80000000, v1, v3
	s_delay_alu instid0(VALU_DEP_1)
	v_cvt_i32_f32_e32 v10, v1
.LBB87_2717:
	s_mov_b32 s1, 0
	s_mov_b32 s4, -1
.LBB87_2718:
	s_and_not1_b32 vcc_lo, exec_lo, s1
	s_mov_b32 s1, 0
	s_cbranch_vccnz .LBB87_2729
; %bb.2719:
	s_cmp_gt_i32 s10, 14
	s_cbranch_scc0 .LBB87_2722
; %bb.2720:
	s_cmp_eq_u32 s10, 15
	s_cbranch_scc0 .LBB87_2725
; %bb.2721:
	global_load_u16 v1, v[24:25], off
	s_mov_b32 s0, 0
	s_mov_b32 s4, -1
	s_wait_loadcnt 0x0
	v_lshlrev_b32_e32 v1, 16, v1
	s_delay_alu instid0(VALU_DEP_1)
	v_cvt_i32_f32_e32 v10, v1
	s_branch .LBB87_2727
.LBB87_2722:
	s_mov_b32 s1, -1
	s_branch .LBB87_2726
.LBB87_2723:
	s_and_not1_saveexec_b32 s1, s1
	s_cbranch_execz .LBB87_2704
.LBB87_2724:
	v_cmp_ne_u16_e32 vcc_lo, 0, v1
	s_and_not1_b32 s4, s4, exec_lo
	s_and_b32 s5, vcc_lo, exec_lo
	s_delay_alu instid0(SALU_CYCLE_1)
	s_or_b32 s4, s4, s5
	s_or_b32 exec_lo, exec_lo, s1
	v_mov_b32_e32 v10, 0
	s_and_saveexec_b32 s1, s4
	s_cbranch_execnz .LBB87_2705
	s_branch .LBB87_2706
.LBB87_2725:
	s_mov_b32 s0, -1
.LBB87_2726:
                                        ; implicit-def: $vgpr10
.LBB87_2727:
	s_and_b32 vcc_lo, exec_lo, s1
	s_mov_b32 s1, 0
	s_cbranch_vccz .LBB87_2729
; %bb.2728:
	s_cmp_lg_u32 s10, 11
	s_mov_b32 s1, -1
	s_cselect_b32 s0, -1, 0
.LBB87_2729:
	s_delay_alu instid0(SALU_CYCLE_1)
	s_and_b32 vcc_lo, exec_lo, s0
	s_cbranch_vccnz .LBB87_3262
; %bb.2730:
	s_and_not1_b32 vcc_lo, exec_lo, s1
	s_cbranch_vccnz .LBB87_2732
.LBB87_2731:
	global_load_u8 v1, v[24:25], off
	s_mov_b32 s4, -1
	s_wait_loadcnt 0x0
	v_cmp_ne_u16_e32 vcc_lo, 0, v1
	v_cndmask_b32_e64 v10, 0, 1, vcc_lo
.LBB87_2732:
	s_mov_b32 s0, 0
.LBB87_2733:
	s_delay_alu instid0(SALU_CYCLE_1)
	s_and_b32 vcc_lo, exec_lo, s0
	s_cbranch_vccz .LBB87_2782
; %bb.2734:
	s_cmp_lt_i32 s10, 5
	s_cbranch_scc1 .LBB87_2739
; %bb.2735:
	s_cmp_lt_i32 s10, 8
	s_cbranch_scc1 .LBB87_2740
	;; [unrolled: 3-line block ×3, first 2 shown]
; %bb.2737:
	s_cmp_gt_i32 s10, 9
	s_cbranch_scc0 .LBB87_2742
; %bb.2738:
	s_wait_loadcnt 0x0
	global_load_b64 v[10:11], v[24:25], off
	s_mov_b32 s0, 0
	s_wait_loadcnt 0x0
	v_cvt_i32_f64_e32 v10, v[10:11]
	s_branch .LBB87_2743
.LBB87_2739:
	s_mov_b32 s0, -1
                                        ; implicit-def: $vgpr10
	s_branch .LBB87_2761
.LBB87_2740:
	s_mov_b32 s0, -1
                                        ; implicit-def: $vgpr10
	s_branch .LBB87_2749
.LBB87_2741:
	s_mov_b32 s0, -1
                                        ; implicit-def: $vgpr10
	s_branch .LBB87_2746
.LBB87_2742:
	s_mov_b32 s0, -1
                                        ; implicit-def: $vgpr10
.LBB87_2743:
	s_delay_alu instid0(SALU_CYCLE_1)
	s_and_not1_b32 vcc_lo, exec_lo, s0
	s_cbranch_vccnz .LBB87_2745
; %bb.2744:
	global_load_b32 v1, v[24:25], off
	s_wait_loadcnt 0x0
	v_cvt_i32_f32_e32 v10, v1
.LBB87_2745:
	s_mov_b32 s0, 0
.LBB87_2746:
	s_delay_alu instid0(SALU_CYCLE_1)
	s_and_not1_b32 vcc_lo, exec_lo, s0
	s_cbranch_vccnz .LBB87_2748
; %bb.2747:
	global_load_b32 v1, v[24:25], off
	s_wait_loadcnt 0x0
	v_cvt_i16_f16_e32 v10, v1
.LBB87_2748:
	s_mov_b32 s0, 0
.LBB87_2749:
	s_delay_alu instid0(SALU_CYCLE_1)
	s_and_not1_b32 vcc_lo, exec_lo, s0
	s_cbranch_vccnz .LBB87_2760
; %bb.2750:
	s_cmp_lt_i32 s10, 6
	s_cbranch_scc1 .LBB87_2753
; %bb.2751:
	s_cmp_gt_i32 s10, 6
	s_cbranch_scc0 .LBB87_2754
; %bb.2752:
	s_wait_loadcnt 0x0
	global_load_b64 v[10:11], v[24:25], off
	s_mov_b32 s0, 0
	s_wait_loadcnt 0x0
	v_cvt_i32_f64_e32 v10, v[10:11]
	s_branch .LBB87_2755
.LBB87_2753:
	s_mov_b32 s0, -1
                                        ; implicit-def: $vgpr10
	s_branch .LBB87_2758
.LBB87_2754:
	s_mov_b32 s0, -1
                                        ; implicit-def: $vgpr10
.LBB87_2755:
	s_delay_alu instid0(SALU_CYCLE_1)
	s_and_not1_b32 vcc_lo, exec_lo, s0
	s_cbranch_vccnz .LBB87_2757
; %bb.2756:
	global_load_b32 v1, v[24:25], off
	s_wait_loadcnt 0x0
	v_cvt_i32_f32_e32 v10, v1
.LBB87_2757:
	s_mov_b32 s0, 0
.LBB87_2758:
	s_delay_alu instid0(SALU_CYCLE_1)
	s_and_not1_b32 vcc_lo, exec_lo, s0
	s_cbranch_vccnz .LBB87_2760
; %bb.2759:
	global_load_u16 v1, v[24:25], off
	s_wait_loadcnt 0x0
	v_cvt_i16_f16_e32 v10, v1
.LBB87_2760:
	s_mov_b32 s0, 0
.LBB87_2761:
	s_delay_alu instid0(SALU_CYCLE_1)
	s_and_not1_b32 vcc_lo, exec_lo, s0
	s_cbranch_vccnz .LBB87_2781
; %bb.2762:
	s_cmp_lt_i32 s10, 2
	s_cbranch_scc1 .LBB87_2766
; %bb.2763:
	s_cmp_lt_i32 s10, 3
	s_cbranch_scc1 .LBB87_2767
; %bb.2764:
	s_cmp_gt_i32 s10, 3
	s_cbranch_scc0 .LBB87_2768
; %bb.2765:
	s_wait_loadcnt 0x0
	global_load_b64 v[10:11], v[24:25], off
	s_mov_b32 s0, 0
	s_branch .LBB87_2769
.LBB87_2766:
	s_mov_b32 s0, -1
                                        ; implicit-def: $vgpr10
	s_branch .LBB87_2775
.LBB87_2767:
	s_mov_b32 s0, -1
                                        ; implicit-def: $vgpr10
	s_branch .LBB87_2772
.LBB87_2768:
	s_mov_b32 s0, -1
                                        ; implicit-def: $vgpr10
.LBB87_2769:
	s_delay_alu instid0(SALU_CYCLE_1)
	s_and_not1_b32 vcc_lo, exec_lo, s0
	s_cbranch_vccnz .LBB87_2771
; %bb.2770:
	s_wait_loadcnt 0x0
	global_load_b32 v10, v[24:25], off
.LBB87_2771:
	s_mov_b32 s0, 0
.LBB87_2772:
	s_delay_alu instid0(SALU_CYCLE_1)
	s_and_not1_b32 vcc_lo, exec_lo, s0
	s_cbranch_vccnz .LBB87_2774
; %bb.2773:
	s_wait_loadcnt 0x0
	global_load_u16 v10, v[24:25], off
.LBB87_2774:
	s_mov_b32 s0, 0
.LBB87_2775:
	s_delay_alu instid0(SALU_CYCLE_1)
	s_and_not1_b32 vcc_lo, exec_lo, s0
	s_cbranch_vccnz .LBB87_2781
; %bb.2776:
	s_cmp_gt_i32 s10, 0
	s_mov_b32 s0, 0
	s_cbranch_scc0 .LBB87_2778
; %bb.2777:
	s_wait_loadcnt 0x0
	global_load_i8 v10, v[24:25], off
	s_branch .LBB87_2779
.LBB87_2778:
	s_mov_b32 s0, -1
                                        ; implicit-def: $vgpr10
.LBB87_2779:
	s_delay_alu instid0(SALU_CYCLE_1)
	s_and_not1_b32 vcc_lo, exec_lo, s0
	s_cbranch_vccnz .LBB87_2781
; %bb.2780:
	s_wait_loadcnt 0x0
	global_load_u8 v10, v[24:25], off
.LBB87_2781:
	s_mov_b32 s4, -1
.LBB87_2782:
	s_delay_alu instid0(SALU_CYCLE_1)
	s_and_not1_b32 vcc_lo, exec_lo, s4
	s_cbranch_vccnz .LBB87_3216
; %bb.2783:
	v_mov_b32_e32 v7, 0
	s_clause 0x1
	s_load_b32 s9, s[2:3], 0x1e8
	s_load_b64 s[4:5], s[2:3], 0x1c8
	global_load_u8 v1, v7, s[2:3] offset:490
	s_wait_kmcnt 0x0
	v_mul_lo_u16 v5, v8, s9
	s_wait_xcnt 0x0
	v_add_nc_u64_e32 v[6:7], s[4:5], v[6:7]
	s_wait_loadcnt 0x0
	v_and_b32_e32 v3, 0xffff, v1
	v_readfirstlane_b32 s1, v1
	v_mul_lo_u16 v1, v5, v12
	s_delay_alu instid0(VALU_DEP_3)
	v_cmp_gt_i32_e32 vcc_lo, 11, v3
	s_cbranch_vccnz .LBB87_2861
; %bb.2784:
	s_and_b32 s2, 0xffff, s1
	s_mov_b32 s11, -1
	s_mov_b32 s3, 0
	s_cmp_gt_i32 s2, 25
	s_mov_b32 s10, 0
	s_mov_b32 s0, 0
	s_cbranch_scc0 .LBB87_2817
; %bb.2785:
	s_cmp_gt_i32 s2, 28
	s_cbranch_scc0 .LBB87_2800
; %bb.2786:
	s_cmp_gt_i32 s2, 43
	;; [unrolled: 3-line block ×3, first 2 shown]
	s_cbranch_scc0 .LBB87_2790
; %bb.2788:
	s_mov_b32 s0, -1
	s_mov_b32 s11, 0
	s_cmp_eq_u32 s2, 46
	s_cbranch_scc0 .LBB87_2790
; %bb.2789:
	v_bfe_i32 v3, v1, 0, 16
	s_mov_b32 s0, 0
	s_mov_b32 s10, -1
	s_delay_alu instid0(VALU_DEP_1) | instskip(NEXT) | instid1(VALU_DEP_1)
	v_cvt_f32_i32_e32 v3, v3
	v_bfe_u32 v5, v3, 16, 1
	s_delay_alu instid0(VALU_DEP_1) | instskip(NEXT) | instid1(VALU_DEP_1)
	v_add3_u32 v3, v3, v5, 0x7fff
	v_lshrrev_b32_e32 v3, 16, v3
	global_store_b32 v[6:7], v3, off
.LBB87_2790:
	s_and_b32 vcc_lo, exec_lo, s11
	s_cbranch_vccz .LBB87_2795
; %bb.2791:
	s_cmp_eq_u32 s2, 44
	s_mov_b32 s0, -1
	s_cbranch_scc0 .LBB87_2795
; %bb.2792:
	s_wait_xcnt 0x0
	v_bfe_i32 v3, v1, 0, 16
	v_mov_b32_e32 v5, 0xff
	s_mov_b32 s10, exec_lo
	s_delay_alu instid0(VALU_DEP_2) | instskip(NEXT) | instid1(VALU_DEP_1)
	v_cvt_f32_i32_e32 v3, v3
	v_bfe_u32 v8, v3, 23, 8
	s_delay_alu instid0(VALU_DEP_1)
	v_cmpx_ne_u32_e32 0xff, v8
	s_cbranch_execz .LBB87_2794
; %bb.2793:
	v_and_b32_e32 v5, 0x400000, v3
	v_and_or_b32 v8, 0x3fffff, v3, v8
	v_lshrrev_b32_e32 v3, 23, v3
	s_delay_alu instid0(VALU_DEP_3) | instskip(NEXT) | instid1(VALU_DEP_3)
	v_cmp_ne_u32_e32 vcc_lo, 0, v5
	v_cmp_ne_u32_e64 s0, 0, v8
	s_and_b32 s0, vcc_lo, s0
	s_delay_alu instid0(SALU_CYCLE_1) | instskip(NEXT) | instid1(VALU_DEP_1)
	v_cndmask_b32_e64 v5, 0, 1, s0
	v_add_nc_u32_e32 v5, v3, v5
.LBB87_2794:
	s_or_b32 exec_lo, exec_lo, s10
	s_mov_b32 s0, 0
	s_mov_b32 s10, -1
	global_store_b8 v[6:7], v5, off
.LBB87_2795:
	s_mov_b32 s11, 0
.LBB87_2796:
	s_delay_alu instid0(SALU_CYCLE_1)
	s_and_b32 vcc_lo, exec_lo, s11
	s_cbranch_vccz .LBB87_2799
; %bb.2797:
	s_cmp_eq_u32 s2, 29
	s_mov_b32 s0, -1
	s_cbranch_scc0 .LBB87_2799
; %bb.2798:
	v_bfe_i32 v8, v1, 0, 16
	s_mov_b32 s0, 0
	s_mov_b32 s10, -1
	s_delay_alu instid0(VALU_DEP_1)
	v_ashrrev_i32_e32 v9, 31, v8
	global_store_b64 v[6:7], v[8:9], off
.LBB87_2799:
	s_mov_b32 s11, 0
.LBB87_2800:
	s_delay_alu instid0(SALU_CYCLE_1)
	s_and_b32 vcc_lo, exec_lo, s11
	s_cbranch_vccz .LBB87_2816
; %bb.2801:
	s_cmp_lt_i32 s2, 27
	s_mov_b32 s10, -1
	s_cbranch_scc1 .LBB87_2807
; %bb.2802:
	s_cmp_gt_i32 s2, 27
	s_cbranch_scc0 .LBB87_2804
; %bb.2803:
	s_wait_xcnt 0x0
	v_bfe_i32 v3, v1, 0, 16
	s_mov_b32 s10, 0
	global_store_b32 v[6:7], v3, off
.LBB87_2804:
	s_and_not1_b32 vcc_lo, exec_lo, s10
	s_cbranch_vccnz .LBB87_2806
; %bb.2805:
	global_store_b16 v[6:7], v1, off
.LBB87_2806:
	s_mov_b32 s10, 0
.LBB87_2807:
	s_delay_alu instid0(SALU_CYCLE_1)
	s_and_not1_b32 vcc_lo, exec_lo, s10
	s_cbranch_vccnz .LBB87_2815
; %bb.2808:
	s_wait_xcnt 0x0
	v_bfe_i32 v3, v1, 0, 16
	v_mov_b32_e32 v8, 0x80
	s_mov_b32 s10, exec_lo
	s_delay_alu instid0(VALU_DEP_2) | instskip(NEXT) | instid1(VALU_DEP_1)
	v_cvt_f32_i32_e32 v3, v3
	v_and_b32_e32 v5, 0x7fffffff, v3
	s_delay_alu instid0(VALU_DEP_1)
	v_cmpx_gt_u32_e32 0x43800000, v5
	s_cbranch_execz .LBB87_2814
; %bb.2809:
	v_cmp_lt_u32_e32 vcc_lo, 0x3bffffff, v5
	s_mov_b32 s11, 0
                                        ; implicit-def: $vgpr5
	s_and_saveexec_b32 s12, vcc_lo
	s_delay_alu instid0(SALU_CYCLE_1)
	s_xor_b32 s12, exec_lo, s12
	s_cbranch_execz .LBB87_3263
; %bb.2810:
	v_bfe_u32 v5, v3, 20, 1
	s_mov_b32 s11, exec_lo
	s_delay_alu instid0(VALU_DEP_1) | instskip(NEXT) | instid1(VALU_DEP_1)
	v_add3_u32 v5, v3, v5, 0x487ffff
	v_lshrrev_b32_e32 v5, 20, v5
	s_and_not1_saveexec_b32 s12, s12
	s_cbranch_execnz .LBB87_3264
.LBB87_2811:
	s_or_b32 exec_lo, exec_lo, s12
	v_mov_b32_e32 v8, 0
	s_and_saveexec_b32 s12, s11
.LBB87_2812:
	v_lshrrev_b32_e32 v3, 24, v3
	s_delay_alu instid0(VALU_DEP_1)
	v_and_or_b32 v8, 0x80, v3, v5
.LBB87_2813:
	s_or_b32 exec_lo, exec_lo, s12
.LBB87_2814:
	s_delay_alu instid0(SALU_CYCLE_1)
	s_or_b32 exec_lo, exec_lo, s10
	global_store_b8 v[6:7], v8, off
.LBB87_2815:
	s_mov_b32 s10, -1
.LBB87_2816:
	s_mov_b32 s11, 0
.LBB87_2817:
	s_delay_alu instid0(SALU_CYCLE_1)
	s_and_b32 vcc_lo, exec_lo, s11
	s_cbranch_vccz .LBB87_2857
; %bb.2818:
	s_cmp_gt_i32 s2, 22
	s_mov_b32 s3, -1
	s_cbranch_scc0 .LBB87_2850
; %bb.2819:
	s_cmp_lt_i32 s2, 24
	s_cbranch_scc1 .LBB87_2839
; %bb.2820:
	s_cmp_gt_i32 s2, 24
	s_cbranch_scc0 .LBB87_2828
; %bb.2821:
	s_wait_xcnt 0x0
	v_bfe_i32 v3, v1, 0, 16
	v_mov_b32_e32 v8, 0x80
	s_mov_b32 s3, exec_lo
	s_delay_alu instid0(VALU_DEP_2) | instskip(NEXT) | instid1(VALU_DEP_1)
	v_cvt_f32_i32_e32 v3, v3
	v_and_b32_e32 v5, 0x7fffffff, v3
	s_delay_alu instid0(VALU_DEP_1)
	v_cmpx_gt_u32_e32 0x47800000, v5
	s_cbranch_execz .LBB87_2827
; %bb.2822:
	v_cmp_lt_u32_e32 vcc_lo, 0x37ffffff, v5
	s_mov_b32 s10, 0
                                        ; implicit-def: $vgpr5
	s_and_saveexec_b32 s11, vcc_lo
	s_delay_alu instid0(SALU_CYCLE_1)
	s_xor_b32 s11, exec_lo, s11
	s_cbranch_execz .LBB87_3266
; %bb.2823:
	v_bfe_u32 v5, v3, 21, 1
	s_mov_b32 s10, exec_lo
	s_delay_alu instid0(VALU_DEP_1) | instskip(NEXT) | instid1(VALU_DEP_1)
	v_add3_u32 v5, v3, v5, 0x88fffff
	v_lshrrev_b32_e32 v5, 21, v5
	s_and_not1_saveexec_b32 s11, s11
	s_cbranch_execnz .LBB87_3267
.LBB87_2824:
	s_or_b32 exec_lo, exec_lo, s11
	v_mov_b32_e32 v8, 0
	s_and_saveexec_b32 s11, s10
.LBB87_2825:
	v_lshrrev_b32_e32 v3, 24, v3
	s_delay_alu instid0(VALU_DEP_1)
	v_and_or_b32 v8, 0x80, v3, v5
.LBB87_2826:
	s_or_b32 exec_lo, exec_lo, s11
.LBB87_2827:
	s_delay_alu instid0(SALU_CYCLE_1)
	s_or_b32 exec_lo, exec_lo, s3
	s_mov_b32 s3, 0
	global_store_b8 v[6:7], v8, off
.LBB87_2828:
	s_and_b32 vcc_lo, exec_lo, s3
	s_cbranch_vccz .LBB87_2838
; %bb.2829:
	s_wait_xcnt 0x0
	v_bfe_i32 v3, v1, 0, 16
	s_mov_b32 s3, exec_lo
                                        ; implicit-def: $vgpr5
	s_delay_alu instid0(VALU_DEP_1) | instskip(NEXT) | instid1(VALU_DEP_1)
	v_cvt_f32_i32_e32 v3, v3
	v_and_b32_e32 v8, 0x7fffffff, v3
	s_delay_alu instid0(VALU_DEP_1)
	v_cmpx_gt_u32_e32 0x43f00000, v8
	s_xor_b32 s3, exec_lo, s3
	s_cbranch_execz .LBB87_2835
; %bb.2830:
	s_mov_b32 s10, exec_lo
                                        ; implicit-def: $vgpr5
	v_cmpx_lt_u32_e32 0x3c7fffff, v8
	s_xor_b32 s10, exec_lo, s10
; %bb.2831:
	v_bfe_u32 v5, v3, 20, 1
	s_delay_alu instid0(VALU_DEP_1) | instskip(NEXT) | instid1(VALU_DEP_1)
	v_add3_u32 v5, v3, v5, 0x407ffff
	v_and_b32_e32 v8, 0xff00000, v5
	v_lshrrev_b32_e32 v5, 20, v5
	s_delay_alu instid0(VALU_DEP_2) | instskip(NEXT) | instid1(VALU_DEP_2)
	v_cmp_ne_u32_e32 vcc_lo, 0x7f00000, v8
	v_cndmask_b32_e32 v5, 0x7e, v5, vcc_lo
; %bb.2832:
	s_and_not1_saveexec_b32 s10, s10
; %bb.2833:
	v_add_f32_e64 v5, 0x46800000, |v3|
; %bb.2834:
	s_or_b32 exec_lo, exec_lo, s10
                                        ; implicit-def: $vgpr8
.LBB87_2835:
	s_and_not1_saveexec_b32 s3, s3
; %bb.2836:
	v_mov_b32_e32 v5, 0x7f
	v_cmp_lt_u32_e32 vcc_lo, 0x7f800000, v8
	s_delay_alu instid0(VALU_DEP_2)
	v_cndmask_b32_e32 v5, 0x7e, v5, vcc_lo
; %bb.2837:
	s_or_b32 exec_lo, exec_lo, s3
	v_lshrrev_b32_e32 v3, 24, v3
	s_delay_alu instid0(VALU_DEP_1)
	v_and_or_b32 v3, 0x80, v3, v5
	global_store_b8 v[6:7], v3, off
.LBB87_2838:
	s_mov_b32 s3, 0
.LBB87_2839:
	s_delay_alu instid0(SALU_CYCLE_1)
	s_and_not1_b32 vcc_lo, exec_lo, s3
	s_cbranch_vccnz .LBB87_2849
; %bb.2840:
	s_wait_xcnt 0x0
	v_bfe_i32 v3, v1, 0, 16
	s_mov_b32 s3, exec_lo
                                        ; implicit-def: $vgpr5
	s_delay_alu instid0(VALU_DEP_1) | instskip(NEXT) | instid1(VALU_DEP_1)
	v_cvt_f32_i32_e32 v3, v3
	v_and_b32_e32 v8, 0x7fffffff, v3
	s_delay_alu instid0(VALU_DEP_1)
	v_cmpx_gt_u32_e32 0x47800000, v8
	s_xor_b32 s3, exec_lo, s3
	s_cbranch_execz .LBB87_2846
; %bb.2841:
	s_mov_b32 s10, exec_lo
                                        ; implicit-def: $vgpr5
	v_cmpx_lt_u32_e32 0x387fffff, v8
	s_xor_b32 s10, exec_lo, s10
; %bb.2842:
	v_bfe_u32 v5, v3, 21, 1
	s_delay_alu instid0(VALU_DEP_1) | instskip(NEXT) | instid1(VALU_DEP_1)
	v_add3_u32 v5, v3, v5, 0x80fffff
	v_lshrrev_b32_e32 v5, 21, v5
; %bb.2843:
	s_and_not1_saveexec_b32 s10, s10
; %bb.2844:
	v_add_f32_e64 v5, 0x43000000, |v3|
; %bb.2845:
	s_or_b32 exec_lo, exec_lo, s10
                                        ; implicit-def: $vgpr8
.LBB87_2846:
	s_and_not1_saveexec_b32 s3, s3
; %bb.2847:
	v_mov_b32_e32 v5, 0x7f
	v_cmp_lt_u32_e32 vcc_lo, 0x7f800000, v8
	s_delay_alu instid0(VALU_DEP_2)
	v_cndmask_b32_e32 v5, 0x7c, v5, vcc_lo
; %bb.2848:
	s_or_b32 exec_lo, exec_lo, s3
	v_lshrrev_b32_e32 v3, 24, v3
	s_delay_alu instid0(VALU_DEP_1)
	v_and_or_b32 v3, 0x80, v3, v5
	global_store_b8 v[6:7], v3, off
.LBB87_2849:
	s_mov_b32 s3, 0
	s_mov_b32 s10, -1
.LBB87_2850:
	s_and_not1_b32 vcc_lo, exec_lo, s3
	s_mov_b32 s3, 0
	s_cbranch_vccnz .LBB87_2857
; %bb.2851:
	s_cmp_gt_i32 s2, 14
	s_mov_b32 s3, -1
	s_cbranch_scc0 .LBB87_2855
; %bb.2852:
	s_cmp_eq_u32 s2, 15
	s_mov_b32 s0, -1
	s_cbranch_scc0 .LBB87_2854
; %bb.2853:
	s_wait_xcnt 0x0
	v_bfe_i32 v3, v1, 0, 16
	s_mov_b32 s0, 0
	s_mov_b32 s10, -1
	s_delay_alu instid0(VALU_DEP_1) | instskip(NEXT) | instid1(VALU_DEP_1)
	v_cvt_f32_i32_e32 v3, v3
	v_bfe_u32 v5, v3, 16, 1
	s_delay_alu instid0(VALU_DEP_1)
	v_add3_u32 v3, v3, v5, 0x7fff
	global_store_d16_hi_b16 v[6:7], v3, off
.LBB87_2854:
	s_mov_b32 s3, 0
.LBB87_2855:
	s_delay_alu instid0(SALU_CYCLE_1)
	s_and_b32 vcc_lo, exec_lo, s3
	s_mov_b32 s3, 0
	s_cbranch_vccz .LBB87_2857
; %bb.2856:
	s_cmp_lg_u32 s2, 11
	s_mov_b32 s3, -1
	s_cselect_b32 s0, -1, 0
.LBB87_2857:
	s_delay_alu instid0(SALU_CYCLE_1)
	s_and_b32 vcc_lo, exec_lo, s0
	s_cbranch_vccnz .LBB87_3265
; %bb.2858:
	s_and_not1_b32 vcc_lo, exec_lo, s3
	s_cbranch_vccnz .LBB87_2860
.LBB87_2859:
	v_cmp_ne_u16_e32 vcc_lo, 0, v1
	s_mov_b32 s10, -1
	s_wait_xcnt 0x0
	v_cndmask_b32_e64 v3, 0, 1, vcc_lo
	global_store_b8 v[6:7], v3, off
.LBB87_2860:
	s_mov_b32 s0, 0
	s_branch .LBB87_2862
.LBB87_2861:
	s_mov_b32 s0, -1
	s_mov_b32 s10, 0
.LBB87_2862:
	s_and_b32 vcc_lo, exec_lo, s0
	s_cbranch_vccz .LBB87_2901
; %bb.2863:
	s_and_b32 s0, 0xffff, s1
	s_mov_b32 s2, -1
	s_cmp_lt_i32 s0, 5
	s_cbranch_scc1 .LBB87_2884
; %bb.2864:
	s_cmp_lt_i32 s0, 8
	s_cbranch_scc1 .LBB87_2874
; %bb.2865:
	;; [unrolled: 3-line block ×3, first 2 shown]
	s_cmp_gt_i32 s0, 9
	s_cbranch_scc0 .LBB87_2868
; %bb.2867:
	s_wait_xcnt 0x0
	v_bfe_i32 v3, v1, 0, 16
	v_mov_b32_e32 v26, 0
	s_mov_b32 s2, 0
	s_delay_alu instid0(VALU_DEP_2) | instskip(NEXT) | instid1(VALU_DEP_2)
	v_cvt_f64_i32_e32 v[24:25], v3
	v_mov_b32_e32 v27, v26
	global_store_b128 v[6:7], v[24:27], off
.LBB87_2868:
	s_and_not1_b32 vcc_lo, exec_lo, s2
	s_cbranch_vccnz .LBB87_2870
; %bb.2869:
	s_wait_xcnt 0x0
	v_bfe_i32 v3, v1, 0, 16
	v_mov_b32_e32 v9, 0
	s_delay_alu instid0(VALU_DEP_2)
	v_cvt_f32_i32_e32 v8, v3
	global_store_b64 v[6:7], v[8:9], off
.LBB87_2870:
	s_mov_b32 s2, 0
.LBB87_2871:
	s_delay_alu instid0(SALU_CYCLE_1)
	s_and_not1_b32 vcc_lo, exec_lo, s2
	s_cbranch_vccnz .LBB87_2873
; %bb.2872:
	s_wait_xcnt 0x0
	v_cvt_f16_i16_e32 v3, v1
	s_delay_alu instid0(VALU_DEP_1)
	v_and_b32_e32 v3, 0xffff, v3
	global_store_b32 v[6:7], v3, off
.LBB87_2873:
	s_mov_b32 s2, 0
.LBB87_2874:
	s_delay_alu instid0(SALU_CYCLE_1)
	s_and_not1_b32 vcc_lo, exec_lo, s2
	s_cbranch_vccnz .LBB87_2883
; %bb.2875:
	s_cmp_lt_i32 s0, 6
	s_mov_b32 s2, -1
	s_cbranch_scc1 .LBB87_2881
; %bb.2876:
	s_cmp_gt_i32 s0, 6
	s_cbranch_scc0 .LBB87_2878
; %bb.2877:
	s_wait_xcnt 0x0
	v_bfe_i32 v3, v1, 0, 16
	s_mov_b32 s2, 0
	s_delay_alu instid0(VALU_DEP_1)
	v_cvt_f64_i32_e32 v[8:9], v3
	global_store_b64 v[6:7], v[8:9], off
.LBB87_2878:
	s_and_not1_b32 vcc_lo, exec_lo, s2
	s_cbranch_vccnz .LBB87_2880
; %bb.2879:
	s_wait_xcnt 0x0
	v_bfe_i32 v3, v1, 0, 16
	s_delay_alu instid0(VALU_DEP_1)
	v_cvt_f32_i32_e32 v3, v3
	global_store_b32 v[6:7], v3, off
.LBB87_2880:
	s_mov_b32 s2, 0
.LBB87_2881:
	s_delay_alu instid0(SALU_CYCLE_1)
	s_and_not1_b32 vcc_lo, exec_lo, s2
	s_cbranch_vccnz .LBB87_2883
; %bb.2882:
	s_wait_xcnt 0x0
	v_cvt_f16_i16_e32 v3, v1
	global_store_b16 v[6:7], v3, off
.LBB87_2883:
	s_mov_b32 s2, 0
.LBB87_2884:
	s_delay_alu instid0(SALU_CYCLE_1)
	s_and_not1_b32 vcc_lo, exec_lo, s2
	s_cbranch_vccnz .LBB87_2900
; %bb.2885:
	s_cmp_lt_i32 s0, 2
	s_mov_b32 s2, -1
	s_cbranch_scc1 .LBB87_2895
; %bb.2886:
	s_cmp_lt_i32 s0, 3
	s_cbranch_scc1 .LBB87_2892
; %bb.2887:
	s_wait_xcnt 0x0
	v_bfe_i32 v8, v1, 0, 16
	s_cmp_gt_i32 s0, 3
	s_cbranch_scc0 .LBB87_2889
; %bb.2888:
	s_delay_alu instid0(VALU_DEP_1)
	v_ashrrev_i32_e32 v9, 31, v8
	s_mov_b32 s2, 0
	global_store_b64 v[6:7], v[8:9], off
.LBB87_2889:
	s_and_not1_b32 vcc_lo, exec_lo, s2
	s_cbranch_vccnz .LBB87_2891
; %bb.2890:
	global_store_b32 v[6:7], v8, off
.LBB87_2891:
	s_mov_b32 s2, 0
.LBB87_2892:
	s_delay_alu instid0(SALU_CYCLE_1)
	s_and_not1_b32 vcc_lo, exec_lo, s2
	s_cbranch_vccnz .LBB87_2894
; %bb.2893:
	global_store_b16 v[6:7], v1, off
.LBB87_2894:
	s_mov_b32 s2, 0
.LBB87_2895:
	s_delay_alu instid0(SALU_CYCLE_1)
	s_and_not1_b32 vcc_lo, exec_lo, s2
	s_cbranch_vccnz .LBB87_2900
; %bb.2896:
	s_cmp_gt_i32 s0, 0
	s_mov_b32 s0, -1
	s_cbranch_scc0 .LBB87_2898
; %bb.2897:
	s_mov_b32 s0, 0
	global_store_b8 v[6:7], v1, off
.LBB87_2898:
	s_and_not1_b32 vcc_lo, exec_lo, s0
	s_cbranch_vccnz .LBB87_2900
; %bb.2899:
	global_store_b8 v[6:7], v1, off
.LBB87_2900:
	s_mov_b32 s10, -1
.LBB87_2901:
	s_delay_alu instid0(SALU_CYCLE_1)
	s_and_not1_b32 vcc_lo, exec_lo, s10
	s_cbranch_vccnz .LBB87_3216
; %bb.2902:
	s_wait_xcnt 0x0
	v_mov_b32_e32 v5, 0
	v_mul_lo_u16 v1, v14, s9
	s_and_b32 s2, 0xffff, s1
	s_delay_alu instid0(SALU_CYCLE_1) | instskip(NEXT) | instid1(VALU_DEP_2)
	s_cmp_lt_i32 s2, 11
	v_add_nc_u64_e32 v[4:5], s[4:5], v[4:5]
	s_delay_alu instid0(VALU_DEP_2)
	v_mul_lo_u16 v1, v1, v18
	s_cbranch_scc1 .LBB87_2980
; %bb.2903:
	s_mov_b32 s11, -1
	s_mov_b32 s3, 0
	s_cmp_gt_i32 s2, 25
	s_mov_b32 s10, 0
	s_mov_b32 s0, 0
	s_cbranch_scc0 .LBB87_2936
; %bb.2904:
	s_cmp_gt_i32 s2, 28
	s_cbranch_scc0 .LBB87_2919
; %bb.2905:
	s_cmp_gt_i32 s2, 43
	;; [unrolled: 3-line block ×3, first 2 shown]
	s_cbranch_scc0 .LBB87_2909
; %bb.2907:
	s_mov_b32 s0, -1
	s_mov_b32 s11, 0
	s_cmp_eq_u32 s2, 46
	s_cbranch_scc0 .LBB87_2909
; %bb.2908:
	v_bfe_i32 v3, v1, 0, 16
	s_mov_b32 s0, 0
	s_mov_b32 s10, -1
	s_delay_alu instid0(VALU_DEP_1) | instskip(NEXT) | instid1(VALU_DEP_1)
	v_cvt_f32_i32_e32 v3, v3
	v_bfe_u32 v6, v3, 16, 1
	s_delay_alu instid0(VALU_DEP_1) | instskip(NEXT) | instid1(VALU_DEP_1)
	v_add3_u32 v3, v3, v6, 0x7fff
	v_lshrrev_b32_e32 v3, 16, v3
	global_store_b32 v[4:5], v3, off
.LBB87_2909:
	s_and_b32 vcc_lo, exec_lo, s11
	s_cbranch_vccz .LBB87_2914
; %bb.2910:
	s_cmp_eq_u32 s2, 44
	s_mov_b32 s0, -1
	s_cbranch_scc0 .LBB87_2914
; %bb.2911:
	s_wait_xcnt 0x0
	v_bfe_i32 v3, v1, 0, 16
	v_mov_b32_e32 v6, 0xff
	s_mov_b32 s10, exec_lo
	s_delay_alu instid0(VALU_DEP_2) | instskip(NEXT) | instid1(VALU_DEP_1)
	v_cvt_f32_i32_e32 v3, v3
	v_bfe_u32 v7, v3, 23, 8
	s_delay_alu instid0(VALU_DEP_1)
	v_cmpx_ne_u32_e32 0xff, v7
	s_cbranch_execz .LBB87_2913
; %bb.2912:
	v_and_b32_e32 v6, 0x400000, v3
	v_and_or_b32 v7, 0x3fffff, v3, v7
	v_lshrrev_b32_e32 v3, 23, v3
	s_delay_alu instid0(VALU_DEP_3) | instskip(NEXT) | instid1(VALU_DEP_3)
	v_cmp_ne_u32_e32 vcc_lo, 0, v6
	v_cmp_ne_u32_e64 s0, 0, v7
	s_and_b32 s0, vcc_lo, s0
	s_delay_alu instid0(SALU_CYCLE_1) | instskip(NEXT) | instid1(VALU_DEP_1)
	v_cndmask_b32_e64 v6, 0, 1, s0
	v_add_nc_u32_e32 v6, v3, v6
.LBB87_2913:
	s_or_b32 exec_lo, exec_lo, s10
	s_mov_b32 s0, 0
	s_mov_b32 s10, -1
	global_store_b8 v[4:5], v6, off
.LBB87_2914:
	s_mov_b32 s11, 0
.LBB87_2915:
	s_delay_alu instid0(SALU_CYCLE_1)
	s_and_b32 vcc_lo, exec_lo, s11
	s_cbranch_vccz .LBB87_2918
; %bb.2916:
	s_cmp_eq_u32 s2, 29
	s_mov_b32 s0, -1
	s_cbranch_scc0 .LBB87_2918
; %bb.2917:
	s_wait_xcnt 0x0
	v_bfe_i32 v6, v1, 0, 16
	s_mov_b32 s0, 0
	s_mov_b32 s10, -1
	s_delay_alu instid0(VALU_DEP_1)
	v_ashrrev_i32_e32 v7, 31, v6
	global_store_b64 v[4:5], v[6:7], off
.LBB87_2918:
	s_mov_b32 s11, 0
.LBB87_2919:
	s_delay_alu instid0(SALU_CYCLE_1)
	s_and_b32 vcc_lo, exec_lo, s11
	s_cbranch_vccz .LBB87_2935
; %bb.2920:
	s_cmp_lt_i32 s2, 27
	s_mov_b32 s10, -1
	s_cbranch_scc1 .LBB87_2926
; %bb.2921:
	s_cmp_gt_i32 s2, 27
	s_cbranch_scc0 .LBB87_2923
; %bb.2922:
	s_wait_xcnt 0x0
	v_bfe_i32 v3, v1, 0, 16
	s_mov_b32 s10, 0
	global_store_b32 v[4:5], v3, off
.LBB87_2923:
	s_and_not1_b32 vcc_lo, exec_lo, s10
	s_cbranch_vccnz .LBB87_2925
; %bb.2924:
	global_store_b16 v[4:5], v1, off
.LBB87_2925:
	s_mov_b32 s10, 0
.LBB87_2926:
	s_delay_alu instid0(SALU_CYCLE_1)
	s_and_not1_b32 vcc_lo, exec_lo, s10
	s_cbranch_vccnz .LBB87_2934
; %bb.2927:
	s_wait_xcnt 0x0
	v_bfe_i32 v3, v1, 0, 16
	v_mov_b32_e32 v7, 0x80
	s_mov_b32 s10, exec_lo
	s_delay_alu instid0(VALU_DEP_2) | instskip(NEXT) | instid1(VALU_DEP_1)
	v_cvt_f32_i32_e32 v3, v3
	v_and_b32_e32 v6, 0x7fffffff, v3
	s_delay_alu instid0(VALU_DEP_1)
	v_cmpx_gt_u32_e32 0x43800000, v6
	s_cbranch_execz .LBB87_2933
; %bb.2928:
	v_cmp_lt_u32_e32 vcc_lo, 0x3bffffff, v6
	s_mov_b32 s11, 0
                                        ; implicit-def: $vgpr6
	s_and_saveexec_b32 s12, vcc_lo
	s_delay_alu instid0(SALU_CYCLE_1)
	s_xor_b32 s12, exec_lo, s12
	s_cbranch_execz .LBB87_3268
; %bb.2929:
	v_bfe_u32 v6, v3, 20, 1
	s_mov_b32 s11, exec_lo
	s_delay_alu instid0(VALU_DEP_1) | instskip(NEXT) | instid1(VALU_DEP_1)
	v_add3_u32 v6, v3, v6, 0x487ffff
	v_lshrrev_b32_e32 v6, 20, v6
	s_and_not1_saveexec_b32 s12, s12
	s_cbranch_execnz .LBB87_3269
.LBB87_2930:
	s_or_b32 exec_lo, exec_lo, s12
	v_mov_b32_e32 v7, 0
	s_and_saveexec_b32 s12, s11
.LBB87_2931:
	v_lshrrev_b32_e32 v3, 24, v3
	s_delay_alu instid0(VALU_DEP_1)
	v_and_or_b32 v7, 0x80, v3, v6
.LBB87_2932:
	s_or_b32 exec_lo, exec_lo, s12
.LBB87_2933:
	s_delay_alu instid0(SALU_CYCLE_1)
	s_or_b32 exec_lo, exec_lo, s10
	global_store_b8 v[4:5], v7, off
.LBB87_2934:
	s_mov_b32 s10, -1
.LBB87_2935:
	s_mov_b32 s11, 0
.LBB87_2936:
	s_delay_alu instid0(SALU_CYCLE_1)
	s_and_b32 vcc_lo, exec_lo, s11
	s_cbranch_vccz .LBB87_2976
; %bb.2937:
	s_cmp_gt_i32 s2, 22
	s_mov_b32 s3, -1
	s_cbranch_scc0 .LBB87_2969
; %bb.2938:
	s_cmp_lt_i32 s2, 24
	s_cbranch_scc1 .LBB87_2958
; %bb.2939:
	s_cmp_gt_i32 s2, 24
	s_cbranch_scc0 .LBB87_2947
; %bb.2940:
	s_wait_xcnt 0x0
	v_bfe_i32 v3, v1, 0, 16
	v_mov_b32_e32 v7, 0x80
	s_mov_b32 s3, exec_lo
	s_delay_alu instid0(VALU_DEP_2) | instskip(NEXT) | instid1(VALU_DEP_1)
	v_cvt_f32_i32_e32 v3, v3
	v_and_b32_e32 v6, 0x7fffffff, v3
	s_delay_alu instid0(VALU_DEP_1)
	v_cmpx_gt_u32_e32 0x47800000, v6
	s_cbranch_execz .LBB87_2946
; %bb.2941:
	v_cmp_lt_u32_e32 vcc_lo, 0x37ffffff, v6
	s_mov_b32 s10, 0
                                        ; implicit-def: $vgpr6
	s_and_saveexec_b32 s11, vcc_lo
	s_delay_alu instid0(SALU_CYCLE_1)
	s_xor_b32 s11, exec_lo, s11
	s_cbranch_execz .LBB87_3271
; %bb.2942:
	v_bfe_u32 v6, v3, 21, 1
	s_mov_b32 s10, exec_lo
	s_delay_alu instid0(VALU_DEP_1) | instskip(NEXT) | instid1(VALU_DEP_1)
	v_add3_u32 v6, v3, v6, 0x88fffff
	v_lshrrev_b32_e32 v6, 21, v6
	s_and_not1_saveexec_b32 s11, s11
	s_cbranch_execnz .LBB87_3272
.LBB87_2943:
	s_or_b32 exec_lo, exec_lo, s11
	v_mov_b32_e32 v7, 0
	s_and_saveexec_b32 s11, s10
.LBB87_2944:
	v_lshrrev_b32_e32 v3, 24, v3
	s_delay_alu instid0(VALU_DEP_1)
	v_and_or_b32 v7, 0x80, v3, v6
.LBB87_2945:
	s_or_b32 exec_lo, exec_lo, s11
.LBB87_2946:
	s_delay_alu instid0(SALU_CYCLE_1)
	s_or_b32 exec_lo, exec_lo, s3
	s_mov_b32 s3, 0
	global_store_b8 v[4:5], v7, off
.LBB87_2947:
	s_and_b32 vcc_lo, exec_lo, s3
	s_cbranch_vccz .LBB87_2957
; %bb.2948:
	s_wait_xcnt 0x0
	v_bfe_i32 v3, v1, 0, 16
	s_mov_b32 s3, exec_lo
                                        ; implicit-def: $vgpr6
	s_delay_alu instid0(VALU_DEP_1) | instskip(NEXT) | instid1(VALU_DEP_1)
	v_cvt_f32_i32_e32 v3, v3
	v_and_b32_e32 v7, 0x7fffffff, v3
	s_delay_alu instid0(VALU_DEP_1)
	v_cmpx_gt_u32_e32 0x43f00000, v7
	s_xor_b32 s3, exec_lo, s3
	s_cbranch_execz .LBB87_2954
; %bb.2949:
	s_mov_b32 s10, exec_lo
                                        ; implicit-def: $vgpr6
	v_cmpx_lt_u32_e32 0x3c7fffff, v7
	s_xor_b32 s10, exec_lo, s10
; %bb.2950:
	v_bfe_u32 v6, v3, 20, 1
	s_delay_alu instid0(VALU_DEP_1) | instskip(NEXT) | instid1(VALU_DEP_1)
	v_add3_u32 v6, v3, v6, 0x407ffff
	v_and_b32_e32 v7, 0xff00000, v6
	v_lshrrev_b32_e32 v6, 20, v6
	s_delay_alu instid0(VALU_DEP_2) | instskip(NEXT) | instid1(VALU_DEP_2)
	v_cmp_ne_u32_e32 vcc_lo, 0x7f00000, v7
	v_cndmask_b32_e32 v6, 0x7e, v6, vcc_lo
; %bb.2951:
	s_and_not1_saveexec_b32 s10, s10
; %bb.2952:
	v_add_f32_e64 v6, 0x46800000, |v3|
; %bb.2953:
	s_or_b32 exec_lo, exec_lo, s10
                                        ; implicit-def: $vgpr7
.LBB87_2954:
	s_and_not1_saveexec_b32 s3, s3
; %bb.2955:
	v_mov_b32_e32 v6, 0x7f
	v_cmp_lt_u32_e32 vcc_lo, 0x7f800000, v7
	s_delay_alu instid0(VALU_DEP_2)
	v_cndmask_b32_e32 v6, 0x7e, v6, vcc_lo
; %bb.2956:
	s_or_b32 exec_lo, exec_lo, s3
	v_lshrrev_b32_e32 v3, 24, v3
	s_delay_alu instid0(VALU_DEP_1)
	v_and_or_b32 v3, 0x80, v3, v6
	global_store_b8 v[4:5], v3, off
.LBB87_2957:
	s_mov_b32 s3, 0
.LBB87_2958:
	s_delay_alu instid0(SALU_CYCLE_1)
	s_and_not1_b32 vcc_lo, exec_lo, s3
	s_cbranch_vccnz .LBB87_2968
; %bb.2959:
	s_wait_xcnt 0x0
	v_bfe_i32 v3, v1, 0, 16
	s_mov_b32 s3, exec_lo
                                        ; implicit-def: $vgpr6
	s_delay_alu instid0(VALU_DEP_1) | instskip(NEXT) | instid1(VALU_DEP_1)
	v_cvt_f32_i32_e32 v3, v3
	v_and_b32_e32 v7, 0x7fffffff, v3
	s_delay_alu instid0(VALU_DEP_1)
	v_cmpx_gt_u32_e32 0x47800000, v7
	s_xor_b32 s3, exec_lo, s3
	s_cbranch_execz .LBB87_2965
; %bb.2960:
	s_mov_b32 s10, exec_lo
                                        ; implicit-def: $vgpr6
	v_cmpx_lt_u32_e32 0x387fffff, v7
	s_xor_b32 s10, exec_lo, s10
; %bb.2961:
	v_bfe_u32 v6, v3, 21, 1
	s_delay_alu instid0(VALU_DEP_1) | instskip(NEXT) | instid1(VALU_DEP_1)
	v_add3_u32 v6, v3, v6, 0x80fffff
	v_lshrrev_b32_e32 v6, 21, v6
; %bb.2962:
	s_and_not1_saveexec_b32 s10, s10
; %bb.2963:
	v_add_f32_e64 v6, 0x43000000, |v3|
; %bb.2964:
	s_or_b32 exec_lo, exec_lo, s10
                                        ; implicit-def: $vgpr7
.LBB87_2965:
	s_and_not1_saveexec_b32 s3, s3
; %bb.2966:
	v_mov_b32_e32 v6, 0x7f
	v_cmp_lt_u32_e32 vcc_lo, 0x7f800000, v7
	s_delay_alu instid0(VALU_DEP_2)
	v_cndmask_b32_e32 v6, 0x7c, v6, vcc_lo
; %bb.2967:
	s_or_b32 exec_lo, exec_lo, s3
	v_lshrrev_b32_e32 v3, 24, v3
	s_delay_alu instid0(VALU_DEP_1)
	v_and_or_b32 v3, 0x80, v3, v6
	global_store_b8 v[4:5], v3, off
.LBB87_2968:
	s_mov_b32 s3, 0
	s_mov_b32 s10, -1
.LBB87_2969:
	s_and_not1_b32 vcc_lo, exec_lo, s3
	s_mov_b32 s3, 0
	s_cbranch_vccnz .LBB87_2976
; %bb.2970:
	s_cmp_gt_i32 s2, 14
	s_mov_b32 s3, -1
	s_cbranch_scc0 .LBB87_2974
; %bb.2971:
	s_cmp_eq_u32 s2, 15
	s_mov_b32 s0, -1
	s_cbranch_scc0 .LBB87_2973
; %bb.2972:
	s_wait_xcnt 0x0
	v_bfe_i32 v3, v1, 0, 16
	s_mov_b32 s0, 0
	s_mov_b32 s10, -1
	s_delay_alu instid0(VALU_DEP_1) | instskip(NEXT) | instid1(VALU_DEP_1)
	v_cvt_f32_i32_e32 v3, v3
	v_bfe_u32 v6, v3, 16, 1
	s_delay_alu instid0(VALU_DEP_1)
	v_add3_u32 v3, v3, v6, 0x7fff
	global_store_d16_hi_b16 v[4:5], v3, off
.LBB87_2973:
	s_mov_b32 s3, 0
.LBB87_2974:
	s_delay_alu instid0(SALU_CYCLE_1)
	s_and_b32 vcc_lo, exec_lo, s3
	s_mov_b32 s3, 0
	s_cbranch_vccz .LBB87_2976
; %bb.2975:
	s_cmp_lg_u32 s2, 11
	s_mov_b32 s3, -1
	s_cselect_b32 s0, -1, 0
.LBB87_2976:
	s_delay_alu instid0(SALU_CYCLE_1)
	s_and_b32 vcc_lo, exec_lo, s0
	s_cbranch_vccnz .LBB87_3270
; %bb.2977:
	s_and_not1_b32 vcc_lo, exec_lo, s3
	s_cbranch_vccnz .LBB87_2979
.LBB87_2978:
	v_cmp_ne_u16_e32 vcc_lo, 0, v1
	s_mov_b32 s10, -1
	s_wait_xcnt 0x0
	v_cndmask_b32_e64 v3, 0, 1, vcc_lo
	global_store_b8 v[4:5], v3, off
.LBB87_2979:
	s_mov_b32 s0, 0
	s_branch .LBB87_2981
.LBB87_2980:
	s_mov_b32 s0, -1
	s_mov_b32 s10, 0
.LBB87_2981:
	s_and_b32 vcc_lo, exec_lo, s0
	s_cbranch_vccz .LBB87_3020
; %bb.2982:
	s_cmp_lt_i32 s2, 5
	s_mov_b32 s0, -1
	s_cbranch_scc1 .LBB87_3003
; %bb.2983:
	s_cmp_lt_i32 s2, 8
	s_cbranch_scc1 .LBB87_2993
; %bb.2984:
	s_cmp_lt_i32 s2, 9
	s_cbranch_scc1 .LBB87_2990
; %bb.2985:
	s_cmp_gt_i32 s2, 9
	s_cbranch_scc0 .LBB87_2987
; %bb.2986:
	s_wait_xcnt 0x0
	v_bfe_i32 v3, v1, 0, 16
	v_mov_b32_e32 v8, 0
	s_mov_b32 s0, 0
	s_delay_alu instid0(VALU_DEP_2) | instskip(NEXT) | instid1(VALU_DEP_2)
	v_cvt_f64_i32_e32 v[6:7], v3
	v_mov_b32_e32 v9, v8
	global_store_b128 v[4:5], v[6:9], off
.LBB87_2987:
	s_and_not1_b32 vcc_lo, exec_lo, s0
	s_cbranch_vccnz .LBB87_2989
; %bb.2988:
	s_wait_xcnt 0x0
	v_bfe_i32 v3, v1, 0, 16
	v_mov_b32_e32 v7, 0
	s_delay_alu instid0(VALU_DEP_2)
	v_cvt_f32_i32_e32 v6, v3
	global_store_b64 v[4:5], v[6:7], off
.LBB87_2989:
	s_mov_b32 s0, 0
.LBB87_2990:
	s_delay_alu instid0(SALU_CYCLE_1)
	s_and_not1_b32 vcc_lo, exec_lo, s0
	s_cbranch_vccnz .LBB87_2992
; %bb.2991:
	s_wait_xcnt 0x0
	v_cvt_f16_i16_e32 v3, v1
	s_delay_alu instid0(VALU_DEP_1)
	v_and_b32_e32 v3, 0xffff, v3
	global_store_b32 v[4:5], v3, off
.LBB87_2992:
	s_mov_b32 s0, 0
.LBB87_2993:
	s_delay_alu instid0(SALU_CYCLE_1)
	s_and_not1_b32 vcc_lo, exec_lo, s0
	s_cbranch_vccnz .LBB87_3002
; %bb.2994:
	s_cmp_lt_i32 s2, 6
	s_mov_b32 s0, -1
	s_cbranch_scc1 .LBB87_3000
; %bb.2995:
	s_cmp_gt_i32 s2, 6
	s_cbranch_scc0 .LBB87_2997
; %bb.2996:
	s_wait_xcnt 0x0
	v_bfe_i32 v3, v1, 0, 16
	s_mov_b32 s0, 0
	s_delay_alu instid0(VALU_DEP_1)
	v_cvt_f64_i32_e32 v[6:7], v3
	global_store_b64 v[4:5], v[6:7], off
.LBB87_2997:
	s_and_not1_b32 vcc_lo, exec_lo, s0
	s_cbranch_vccnz .LBB87_2999
; %bb.2998:
	s_wait_xcnt 0x0
	v_bfe_i32 v3, v1, 0, 16
	s_delay_alu instid0(VALU_DEP_1)
	v_cvt_f32_i32_e32 v3, v3
	global_store_b32 v[4:5], v3, off
.LBB87_2999:
	s_mov_b32 s0, 0
.LBB87_3000:
	s_delay_alu instid0(SALU_CYCLE_1)
	s_and_not1_b32 vcc_lo, exec_lo, s0
	s_cbranch_vccnz .LBB87_3002
; %bb.3001:
	s_wait_xcnt 0x0
	v_cvt_f16_i16_e32 v3, v1
	global_store_b16 v[4:5], v3, off
.LBB87_3002:
	s_mov_b32 s0, 0
.LBB87_3003:
	s_delay_alu instid0(SALU_CYCLE_1)
	s_and_not1_b32 vcc_lo, exec_lo, s0
	s_cbranch_vccnz .LBB87_3019
; %bb.3004:
	s_cmp_lt_i32 s2, 2
	s_mov_b32 s0, -1
	s_cbranch_scc1 .LBB87_3014
; %bb.3005:
	s_cmp_lt_i32 s2, 3
	s_cbranch_scc1 .LBB87_3011
; %bb.3006:
	s_cmp_gt_i32 s2, 3
	s_cbranch_scc0 .LBB87_3008
; %bb.3007:
	s_wait_xcnt 0x0
	v_bfe_i32 v6, v1, 0, 16
	s_mov_b32 s0, 0
	s_delay_alu instid0(VALU_DEP_1)
	v_ashrrev_i32_e32 v7, 31, v6
	global_store_b64 v[4:5], v[6:7], off
.LBB87_3008:
	s_and_not1_b32 vcc_lo, exec_lo, s0
	s_cbranch_vccnz .LBB87_3010
; %bb.3009:
	s_wait_xcnt 0x0
	v_bfe_i32 v3, v1, 0, 16
	global_store_b32 v[4:5], v3, off
.LBB87_3010:
	s_mov_b32 s0, 0
.LBB87_3011:
	s_delay_alu instid0(SALU_CYCLE_1)
	s_and_not1_b32 vcc_lo, exec_lo, s0
	s_cbranch_vccnz .LBB87_3013
; %bb.3012:
	global_store_b16 v[4:5], v1, off
.LBB87_3013:
	s_mov_b32 s0, 0
.LBB87_3014:
	s_delay_alu instid0(SALU_CYCLE_1)
	s_and_not1_b32 vcc_lo, exec_lo, s0
	s_cbranch_vccnz .LBB87_3019
; %bb.3015:
	s_cmp_gt_i32 s2, 0
	s_mov_b32 s0, -1
	s_cbranch_scc0 .LBB87_3017
; %bb.3016:
	s_mov_b32 s0, 0
	global_store_b8 v[4:5], v1, off
.LBB87_3017:
	s_and_not1_b32 vcc_lo, exec_lo, s0
	s_cbranch_vccnz .LBB87_3019
; %bb.3018:
	global_store_b8 v[4:5], v1, off
.LBB87_3019:
	s_mov_b32 s10, -1
.LBB87_3020:
	s_delay_alu instid0(SALU_CYCLE_1)
	s_and_not1_b32 vcc_lo, exec_lo, s10
	s_cbranch_vccnz .LBB87_3216
; %bb.3021:
	s_wait_xcnt 0x0
	v_mov_b32_e32 v3, 0
	v_mul_lo_u16 v1, v22, s9
	s_cmp_lt_i32 s2, 11
	s_delay_alu instid0(VALU_DEP_2) | instskip(NEXT) | instid1(VALU_DEP_2)
	v_add_nc_u64_e32 v[2:3], s[4:5], v[2:3]
	v_mul_lo_u16 v1, v1, v20
	s_cbranch_scc1 .LBB87_3099
; %bb.3022:
	s_mov_b32 s11, -1
	s_mov_b32 s3, 0
	s_cmp_gt_i32 s2, 25
	s_mov_b32 s10, 0
	s_mov_b32 s0, 0
	s_cbranch_scc0 .LBB87_3055
; %bb.3023:
	s_cmp_gt_i32 s2, 28
	s_cbranch_scc0 .LBB87_3038
; %bb.3024:
	s_cmp_gt_i32 s2, 43
	s_cbranch_scc0 .LBB87_3034
; %bb.3025:
	s_cmp_gt_i32 s2, 45
	s_cbranch_scc0 .LBB87_3028
; %bb.3026:
	s_mov_b32 s0, -1
	s_mov_b32 s11, 0
	s_cmp_eq_u32 s2, 46
	s_cbranch_scc0 .LBB87_3028
; %bb.3027:
	v_bfe_i32 v4, v1, 0, 16
	s_mov_b32 s0, 0
	s_mov_b32 s10, -1
	s_delay_alu instid0(VALU_DEP_1) | instskip(NEXT) | instid1(VALU_DEP_1)
	v_cvt_f32_i32_e32 v4, v4
	v_bfe_u32 v5, v4, 16, 1
	s_delay_alu instid0(VALU_DEP_1) | instskip(NEXT) | instid1(VALU_DEP_1)
	v_add3_u32 v4, v4, v5, 0x7fff
	v_lshrrev_b32_e32 v4, 16, v4
	global_store_b32 v[2:3], v4, off
.LBB87_3028:
	s_and_b32 vcc_lo, exec_lo, s11
	s_cbranch_vccz .LBB87_3033
; %bb.3029:
	s_cmp_eq_u32 s2, 44
	s_mov_b32 s0, -1
	s_cbranch_scc0 .LBB87_3033
; %bb.3030:
	s_wait_xcnt 0x0
	v_bfe_i32 v4, v1, 0, 16
	v_mov_b32_e32 v5, 0xff
	s_mov_b32 s10, exec_lo
	s_delay_alu instid0(VALU_DEP_2) | instskip(NEXT) | instid1(VALU_DEP_1)
	v_cvt_f32_i32_e32 v4, v4
	v_bfe_u32 v6, v4, 23, 8
	s_delay_alu instid0(VALU_DEP_1)
	v_cmpx_ne_u32_e32 0xff, v6
	s_cbranch_execz .LBB87_3032
; %bb.3031:
	v_and_b32_e32 v5, 0x400000, v4
	v_and_or_b32 v6, 0x3fffff, v4, v6
	v_lshrrev_b32_e32 v4, 23, v4
	s_delay_alu instid0(VALU_DEP_3) | instskip(NEXT) | instid1(VALU_DEP_3)
	v_cmp_ne_u32_e32 vcc_lo, 0, v5
	v_cmp_ne_u32_e64 s0, 0, v6
	s_and_b32 s0, vcc_lo, s0
	s_delay_alu instid0(SALU_CYCLE_1) | instskip(NEXT) | instid1(VALU_DEP_1)
	v_cndmask_b32_e64 v5, 0, 1, s0
	v_add_nc_u32_e32 v5, v4, v5
.LBB87_3032:
	s_or_b32 exec_lo, exec_lo, s10
	s_mov_b32 s0, 0
	s_mov_b32 s10, -1
	global_store_b8 v[2:3], v5, off
.LBB87_3033:
	s_mov_b32 s11, 0
.LBB87_3034:
	s_delay_alu instid0(SALU_CYCLE_1)
	s_and_b32 vcc_lo, exec_lo, s11
	s_cbranch_vccz .LBB87_3037
; %bb.3035:
	s_cmp_eq_u32 s2, 29
	s_mov_b32 s0, -1
	s_cbranch_scc0 .LBB87_3037
; %bb.3036:
	s_wait_xcnt 0x0
	v_bfe_i32 v4, v1, 0, 16
	s_mov_b32 s0, 0
	s_mov_b32 s10, -1
	s_delay_alu instid0(VALU_DEP_1)
	v_ashrrev_i32_e32 v5, 31, v4
	global_store_b64 v[2:3], v[4:5], off
.LBB87_3037:
	s_mov_b32 s11, 0
.LBB87_3038:
	s_delay_alu instid0(SALU_CYCLE_1)
	s_and_b32 vcc_lo, exec_lo, s11
	s_cbranch_vccz .LBB87_3054
; %bb.3039:
	s_cmp_lt_i32 s2, 27
	s_mov_b32 s10, -1
	s_cbranch_scc1 .LBB87_3045
; %bb.3040:
	s_cmp_gt_i32 s2, 27
	s_cbranch_scc0 .LBB87_3042
; %bb.3041:
	s_wait_xcnt 0x0
	v_bfe_i32 v4, v1, 0, 16
	s_mov_b32 s10, 0
	global_store_b32 v[2:3], v4, off
.LBB87_3042:
	s_and_not1_b32 vcc_lo, exec_lo, s10
	s_cbranch_vccnz .LBB87_3044
; %bb.3043:
	global_store_b16 v[2:3], v1, off
.LBB87_3044:
	s_mov_b32 s10, 0
.LBB87_3045:
	s_delay_alu instid0(SALU_CYCLE_1)
	s_and_not1_b32 vcc_lo, exec_lo, s10
	s_cbranch_vccnz .LBB87_3053
; %bb.3046:
	s_wait_xcnt 0x0
	v_bfe_i32 v4, v1, 0, 16
	v_mov_b32_e32 v6, 0x80
	s_mov_b32 s10, exec_lo
	s_delay_alu instid0(VALU_DEP_2) | instskip(NEXT) | instid1(VALU_DEP_1)
	v_cvt_f32_i32_e32 v4, v4
	v_and_b32_e32 v5, 0x7fffffff, v4
	s_delay_alu instid0(VALU_DEP_1)
	v_cmpx_gt_u32_e32 0x43800000, v5
	s_cbranch_execz .LBB87_3052
; %bb.3047:
	v_cmp_lt_u32_e32 vcc_lo, 0x3bffffff, v5
	s_mov_b32 s11, 0
                                        ; implicit-def: $vgpr5
	s_and_saveexec_b32 s12, vcc_lo
	s_delay_alu instid0(SALU_CYCLE_1)
	s_xor_b32 s12, exec_lo, s12
	s_cbranch_execz .LBB87_3273
; %bb.3048:
	v_bfe_u32 v5, v4, 20, 1
	s_mov_b32 s11, exec_lo
	s_delay_alu instid0(VALU_DEP_1) | instskip(NEXT) | instid1(VALU_DEP_1)
	v_add3_u32 v5, v4, v5, 0x487ffff
	v_lshrrev_b32_e32 v5, 20, v5
	s_and_not1_saveexec_b32 s12, s12
	s_cbranch_execnz .LBB87_3274
.LBB87_3049:
	s_or_b32 exec_lo, exec_lo, s12
	v_mov_b32_e32 v6, 0
	s_and_saveexec_b32 s12, s11
.LBB87_3050:
	v_lshrrev_b32_e32 v4, 24, v4
	s_delay_alu instid0(VALU_DEP_1)
	v_and_or_b32 v6, 0x80, v4, v5
.LBB87_3051:
	s_or_b32 exec_lo, exec_lo, s12
.LBB87_3052:
	s_delay_alu instid0(SALU_CYCLE_1)
	s_or_b32 exec_lo, exec_lo, s10
	global_store_b8 v[2:3], v6, off
.LBB87_3053:
	s_mov_b32 s10, -1
.LBB87_3054:
	s_mov_b32 s11, 0
.LBB87_3055:
	s_delay_alu instid0(SALU_CYCLE_1)
	s_and_b32 vcc_lo, exec_lo, s11
	s_cbranch_vccz .LBB87_3095
; %bb.3056:
	s_cmp_gt_i32 s2, 22
	s_mov_b32 s3, -1
	s_cbranch_scc0 .LBB87_3088
; %bb.3057:
	s_cmp_lt_i32 s2, 24
	s_cbranch_scc1 .LBB87_3077
; %bb.3058:
	s_cmp_gt_i32 s2, 24
	s_cbranch_scc0 .LBB87_3066
; %bb.3059:
	s_wait_xcnt 0x0
	v_bfe_i32 v4, v1, 0, 16
	v_mov_b32_e32 v6, 0x80
	s_mov_b32 s3, exec_lo
	s_delay_alu instid0(VALU_DEP_2) | instskip(NEXT) | instid1(VALU_DEP_1)
	v_cvt_f32_i32_e32 v4, v4
	v_and_b32_e32 v5, 0x7fffffff, v4
	s_delay_alu instid0(VALU_DEP_1)
	v_cmpx_gt_u32_e32 0x47800000, v5
	s_cbranch_execz .LBB87_3065
; %bb.3060:
	v_cmp_lt_u32_e32 vcc_lo, 0x37ffffff, v5
	s_mov_b32 s10, 0
                                        ; implicit-def: $vgpr5
	s_and_saveexec_b32 s11, vcc_lo
	s_delay_alu instid0(SALU_CYCLE_1)
	s_xor_b32 s11, exec_lo, s11
	s_cbranch_execz .LBB87_3276
; %bb.3061:
	v_bfe_u32 v5, v4, 21, 1
	s_mov_b32 s10, exec_lo
	s_delay_alu instid0(VALU_DEP_1) | instskip(NEXT) | instid1(VALU_DEP_1)
	v_add3_u32 v5, v4, v5, 0x88fffff
	v_lshrrev_b32_e32 v5, 21, v5
	s_and_not1_saveexec_b32 s11, s11
	s_cbranch_execnz .LBB87_3277
.LBB87_3062:
	s_or_b32 exec_lo, exec_lo, s11
	v_mov_b32_e32 v6, 0
	s_and_saveexec_b32 s11, s10
.LBB87_3063:
	v_lshrrev_b32_e32 v4, 24, v4
	s_delay_alu instid0(VALU_DEP_1)
	v_and_or_b32 v6, 0x80, v4, v5
.LBB87_3064:
	s_or_b32 exec_lo, exec_lo, s11
.LBB87_3065:
	s_delay_alu instid0(SALU_CYCLE_1)
	s_or_b32 exec_lo, exec_lo, s3
	s_mov_b32 s3, 0
	global_store_b8 v[2:3], v6, off
.LBB87_3066:
	s_and_b32 vcc_lo, exec_lo, s3
	s_cbranch_vccz .LBB87_3076
; %bb.3067:
	s_wait_xcnt 0x0
	v_bfe_i32 v4, v1, 0, 16
	s_mov_b32 s3, exec_lo
                                        ; implicit-def: $vgpr5
	s_delay_alu instid0(VALU_DEP_1) | instskip(NEXT) | instid1(VALU_DEP_1)
	v_cvt_f32_i32_e32 v4, v4
	v_and_b32_e32 v6, 0x7fffffff, v4
	s_delay_alu instid0(VALU_DEP_1)
	v_cmpx_gt_u32_e32 0x43f00000, v6
	s_xor_b32 s3, exec_lo, s3
	s_cbranch_execz .LBB87_3073
; %bb.3068:
	s_mov_b32 s10, exec_lo
                                        ; implicit-def: $vgpr5
	v_cmpx_lt_u32_e32 0x3c7fffff, v6
	s_xor_b32 s10, exec_lo, s10
; %bb.3069:
	v_bfe_u32 v5, v4, 20, 1
	s_delay_alu instid0(VALU_DEP_1) | instskip(NEXT) | instid1(VALU_DEP_1)
	v_add3_u32 v5, v4, v5, 0x407ffff
	v_and_b32_e32 v6, 0xff00000, v5
	v_lshrrev_b32_e32 v5, 20, v5
	s_delay_alu instid0(VALU_DEP_2) | instskip(NEXT) | instid1(VALU_DEP_2)
	v_cmp_ne_u32_e32 vcc_lo, 0x7f00000, v6
	v_cndmask_b32_e32 v5, 0x7e, v5, vcc_lo
; %bb.3070:
	s_and_not1_saveexec_b32 s10, s10
; %bb.3071:
	v_add_f32_e64 v5, 0x46800000, |v4|
; %bb.3072:
	s_or_b32 exec_lo, exec_lo, s10
                                        ; implicit-def: $vgpr6
.LBB87_3073:
	s_and_not1_saveexec_b32 s3, s3
; %bb.3074:
	v_mov_b32_e32 v5, 0x7f
	v_cmp_lt_u32_e32 vcc_lo, 0x7f800000, v6
	s_delay_alu instid0(VALU_DEP_2)
	v_cndmask_b32_e32 v5, 0x7e, v5, vcc_lo
; %bb.3075:
	s_or_b32 exec_lo, exec_lo, s3
	v_lshrrev_b32_e32 v4, 24, v4
	s_delay_alu instid0(VALU_DEP_1)
	v_and_or_b32 v4, 0x80, v4, v5
	global_store_b8 v[2:3], v4, off
.LBB87_3076:
	s_mov_b32 s3, 0
.LBB87_3077:
	s_delay_alu instid0(SALU_CYCLE_1)
	s_and_not1_b32 vcc_lo, exec_lo, s3
	s_cbranch_vccnz .LBB87_3087
; %bb.3078:
	s_wait_xcnt 0x0
	v_bfe_i32 v4, v1, 0, 16
	s_mov_b32 s3, exec_lo
                                        ; implicit-def: $vgpr5
	s_delay_alu instid0(VALU_DEP_1) | instskip(NEXT) | instid1(VALU_DEP_1)
	v_cvt_f32_i32_e32 v4, v4
	v_and_b32_e32 v6, 0x7fffffff, v4
	s_delay_alu instid0(VALU_DEP_1)
	v_cmpx_gt_u32_e32 0x47800000, v6
	s_xor_b32 s3, exec_lo, s3
	s_cbranch_execz .LBB87_3084
; %bb.3079:
	s_mov_b32 s10, exec_lo
                                        ; implicit-def: $vgpr5
	v_cmpx_lt_u32_e32 0x387fffff, v6
	s_xor_b32 s10, exec_lo, s10
; %bb.3080:
	v_bfe_u32 v5, v4, 21, 1
	s_delay_alu instid0(VALU_DEP_1) | instskip(NEXT) | instid1(VALU_DEP_1)
	v_add3_u32 v5, v4, v5, 0x80fffff
	v_lshrrev_b32_e32 v5, 21, v5
; %bb.3081:
	s_and_not1_saveexec_b32 s10, s10
; %bb.3082:
	v_add_f32_e64 v5, 0x43000000, |v4|
; %bb.3083:
	s_or_b32 exec_lo, exec_lo, s10
                                        ; implicit-def: $vgpr6
.LBB87_3084:
	s_and_not1_saveexec_b32 s3, s3
; %bb.3085:
	v_mov_b32_e32 v5, 0x7f
	v_cmp_lt_u32_e32 vcc_lo, 0x7f800000, v6
	s_delay_alu instid0(VALU_DEP_2)
	v_cndmask_b32_e32 v5, 0x7c, v5, vcc_lo
; %bb.3086:
	s_or_b32 exec_lo, exec_lo, s3
	v_lshrrev_b32_e32 v4, 24, v4
	s_delay_alu instid0(VALU_DEP_1)
	v_and_or_b32 v4, 0x80, v4, v5
	global_store_b8 v[2:3], v4, off
.LBB87_3087:
	s_mov_b32 s3, 0
	s_mov_b32 s10, -1
.LBB87_3088:
	s_and_not1_b32 vcc_lo, exec_lo, s3
	s_mov_b32 s3, 0
	s_cbranch_vccnz .LBB87_3095
; %bb.3089:
	s_cmp_gt_i32 s2, 14
	s_mov_b32 s3, -1
	s_cbranch_scc0 .LBB87_3093
; %bb.3090:
	s_cmp_eq_u32 s2, 15
	s_mov_b32 s0, -1
	s_cbranch_scc0 .LBB87_3092
; %bb.3091:
	s_wait_xcnt 0x0
	v_bfe_i32 v4, v1, 0, 16
	s_mov_b32 s0, 0
	s_mov_b32 s10, -1
	s_delay_alu instid0(VALU_DEP_1) | instskip(NEXT) | instid1(VALU_DEP_1)
	v_cvt_f32_i32_e32 v4, v4
	v_bfe_u32 v5, v4, 16, 1
	s_delay_alu instid0(VALU_DEP_1)
	v_add3_u32 v4, v4, v5, 0x7fff
	global_store_d16_hi_b16 v[2:3], v4, off
.LBB87_3092:
	s_mov_b32 s3, 0
.LBB87_3093:
	s_delay_alu instid0(SALU_CYCLE_1)
	s_and_b32 vcc_lo, exec_lo, s3
	s_mov_b32 s3, 0
	s_cbranch_vccz .LBB87_3095
; %bb.3094:
	s_cmp_lg_u32 s2, 11
	s_mov_b32 s3, -1
	s_cselect_b32 s0, -1, 0
.LBB87_3095:
	s_delay_alu instid0(SALU_CYCLE_1)
	s_and_b32 vcc_lo, exec_lo, s0
	s_cbranch_vccnz .LBB87_3275
; %bb.3096:
	s_and_not1_b32 vcc_lo, exec_lo, s3
	s_cbranch_vccnz .LBB87_3098
.LBB87_3097:
	v_cmp_ne_u16_e32 vcc_lo, 0, v1
	s_mov_b32 s10, -1
	s_wait_xcnt 0x0
	v_cndmask_b32_e64 v4, 0, 1, vcc_lo
	global_store_b8 v[2:3], v4, off
.LBB87_3098:
	s_mov_b32 s0, 0
	s_branch .LBB87_3100
.LBB87_3099:
	s_mov_b32 s0, -1
	s_mov_b32 s10, 0
.LBB87_3100:
	s_and_b32 vcc_lo, exec_lo, s0
	s_cbranch_vccz .LBB87_3139
; %bb.3101:
	s_cmp_lt_i32 s2, 5
	s_mov_b32 s0, -1
	s_cbranch_scc1 .LBB87_3122
; %bb.3102:
	s_cmp_lt_i32 s2, 8
	s_cbranch_scc1 .LBB87_3112
; %bb.3103:
	s_cmp_lt_i32 s2, 9
	s_cbranch_scc1 .LBB87_3109
; %bb.3104:
	s_cmp_gt_i32 s2, 9
	s_cbranch_scc0 .LBB87_3106
; %bb.3105:
	s_wait_xcnt 0x0
	v_bfe_i32 v4, v1, 0, 16
	v_mov_b32_e32 v6, 0
	s_mov_b32 s0, 0
	s_delay_alu instid0(VALU_DEP_2) | instskip(NEXT) | instid1(VALU_DEP_2)
	v_cvt_f64_i32_e32 v[4:5], v4
	v_mov_b32_e32 v7, v6
	global_store_b128 v[2:3], v[4:7], off
.LBB87_3106:
	s_and_not1_b32 vcc_lo, exec_lo, s0
	s_cbranch_vccnz .LBB87_3108
; %bb.3107:
	s_wait_xcnt 0x0
	v_bfe_i32 v4, v1, 0, 16
	v_mov_b32_e32 v5, 0
	s_delay_alu instid0(VALU_DEP_2)
	v_cvt_f32_i32_e32 v4, v4
	global_store_b64 v[2:3], v[4:5], off
.LBB87_3108:
	s_mov_b32 s0, 0
.LBB87_3109:
	s_delay_alu instid0(SALU_CYCLE_1)
	s_and_not1_b32 vcc_lo, exec_lo, s0
	s_cbranch_vccnz .LBB87_3111
; %bb.3110:
	s_wait_xcnt 0x0
	v_cvt_f16_i16_e32 v4, v1
	s_delay_alu instid0(VALU_DEP_1)
	v_and_b32_e32 v4, 0xffff, v4
	global_store_b32 v[2:3], v4, off
.LBB87_3111:
	s_mov_b32 s0, 0
.LBB87_3112:
	s_delay_alu instid0(SALU_CYCLE_1)
	s_and_not1_b32 vcc_lo, exec_lo, s0
	s_cbranch_vccnz .LBB87_3121
; %bb.3113:
	s_cmp_lt_i32 s2, 6
	s_mov_b32 s0, -1
	s_cbranch_scc1 .LBB87_3119
; %bb.3114:
	s_cmp_gt_i32 s2, 6
	s_cbranch_scc0 .LBB87_3116
; %bb.3115:
	s_wait_xcnt 0x0
	v_bfe_i32 v4, v1, 0, 16
	s_mov_b32 s0, 0
	s_delay_alu instid0(VALU_DEP_1)
	v_cvt_f64_i32_e32 v[4:5], v4
	global_store_b64 v[2:3], v[4:5], off
.LBB87_3116:
	s_and_not1_b32 vcc_lo, exec_lo, s0
	s_cbranch_vccnz .LBB87_3118
; %bb.3117:
	s_wait_xcnt 0x0
	v_bfe_i32 v4, v1, 0, 16
	s_delay_alu instid0(VALU_DEP_1)
	v_cvt_f32_i32_e32 v4, v4
	global_store_b32 v[2:3], v4, off
.LBB87_3118:
	s_mov_b32 s0, 0
.LBB87_3119:
	s_delay_alu instid0(SALU_CYCLE_1)
	s_and_not1_b32 vcc_lo, exec_lo, s0
	s_cbranch_vccnz .LBB87_3121
; %bb.3120:
	s_wait_xcnt 0x0
	v_cvt_f16_i16_e32 v4, v1
	global_store_b16 v[2:3], v4, off
.LBB87_3121:
	s_mov_b32 s0, 0
.LBB87_3122:
	s_delay_alu instid0(SALU_CYCLE_1)
	s_and_not1_b32 vcc_lo, exec_lo, s0
	s_cbranch_vccnz .LBB87_3138
; %bb.3123:
	s_cmp_lt_i32 s2, 2
	s_mov_b32 s0, -1
	s_cbranch_scc1 .LBB87_3133
; %bb.3124:
	s_cmp_lt_i32 s2, 3
	s_cbranch_scc1 .LBB87_3130
; %bb.3125:
	s_cmp_gt_i32 s2, 3
	s_cbranch_scc0 .LBB87_3127
; %bb.3126:
	s_wait_xcnt 0x0
	v_bfe_i32 v4, v1, 0, 16
	s_mov_b32 s0, 0
	s_delay_alu instid0(VALU_DEP_1)
	v_ashrrev_i32_e32 v5, 31, v4
	global_store_b64 v[2:3], v[4:5], off
.LBB87_3127:
	s_and_not1_b32 vcc_lo, exec_lo, s0
	s_cbranch_vccnz .LBB87_3129
; %bb.3128:
	s_wait_xcnt 0x0
	v_bfe_i32 v4, v1, 0, 16
	global_store_b32 v[2:3], v4, off
.LBB87_3129:
	s_mov_b32 s0, 0
.LBB87_3130:
	s_delay_alu instid0(SALU_CYCLE_1)
	s_and_not1_b32 vcc_lo, exec_lo, s0
	s_cbranch_vccnz .LBB87_3132
; %bb.3131:
	global_store_b16 v[2:3], v1, off
.LBB87_3132:
	s_mov_b32 s0, 0
.LBB87_3133:
	s_delay_alu instid0(SALU_CYCLE_1)
	s_and_not1_b32 vcc_lo, exec_lo, s0
	s_cbranch_vccnz .LBB87_3138
; %bb.3134:
	s_cmp_gt_i32 s2, 0
	s_mov_b32 s0, -1
	s_cbranch_scc0 .LBB87_3136
; %bb.3135:
	s_mov_b32 s0, 0
	global_store_b8 v[2:3], v1, off
.LBB87_3136:
	s_and_not1_b32 vcc_lo, exec_lo, s0
	s_cbranch_vccnz .LBB87_3138
; %bb.3137:
	global_store_b8 v[2:3], v1, off
.LBB87_3138:
	s_mov_b32 s10, -1
.LBB87_3139:
	s_delay_alu instid0(SALU_CYCLE_1)
	s_and_not1_b32 vcc_lo, exec_lo, s10
	s_cbranch_vccnz .LBB87_3216
; %bb.3140:
	s_wait_xcnt 0x0
	v_mov_b32_e32 v1, 0
	v_mul_lo_u16 v4, v16, s9
	s_cmp_lt_i32 s2, 11
	s_delay_alu instid0(VALU_DEP_2) | instskip(NEXT) | instid1(VALU_DEP_2)
	v_add_nc_u64_e32 v[2:3], s[4:5], v[0:1]
	v_mul_lo_u16 v4, v4, v10
	s_cbranch_scc1 .LBB87_3261
; %bb.3141:
	s_mov_b32 s4, -1
	s_mov_b32 s3, 0
	s_cmp_gt_i32 s2, 25
	s_mov_b32 s0, 0
	s_cbranch_scc0 .LBB87_3174
; %bb.3142:
	s_cmp_gt_i32 s2, 28
	s_cbranch_scc0 .LBB87_3158
; %bb.3143:
	s_cmp_gt_i32 s2, 43
	;; [unrolled: 3-line block ×3, first 2 shown]
	s_cbranch_scc0 .LBB87_3148
; %bb.3145:
	s_cmp_eq_u32 s2, 46
	s_mov_b32 s0, -1
	s_cbranch_scc0 .LBB87_3147
; %bb.3146:
	v_bfe_i32 v0, v4, 0, 16
	s_mov_b32 s0, 0
	s_delay_alu instid0(VALU_DEP_1) | instskip(NEXT) | instid1(VALU_DEP_1)
	v_cvt_f32_i32_e32 v0, v0
	v_bfe_u32 v1, v0, 16, 1
	s_delay_alu instid0(VALU_DEP_1) | instskip(NEXT) | instid1(VALU_DEP_1)
	v_add3_u32 v0, v0, v1, 0x7fff
	v_lshrrev_b32_e32 v0, 16, v0
	global_store_b32 v[2:3], v0, off
.LBB87_3147:
	s_mov_b32 s4, 0
.LBB87_3148:
	s_delay_alu instid0(SALU_CYCLE_1)
	s_and_b32 vcc_lo, exec_lo, s4
	s_cbranch_vccz .LBB87_3153
; %bb.3149:
	s_cmp_eq_u32 s2, 44
	s_mov_b32 s0, -1
	s_cbranch_scc0 .LBB87_3153
; %bb.3150:
	s_wait_xcnt 0x0
	v_bfe_i32 v0, v4, 0, 16
	v_mov_b32_e32 v1, 0xff
	s_mov_b32 s4, exec_lo
	s_delay_alu instid0(VALU_DEP_2) | instskip(NEXT) | instid1(VALU_DEP_1)
	v_cvt_f32_i32_e32 v0, v0
	v_bfe_u32 v5, v0, 23, 8
	s_delay_alu instid0(VALU_DEP_1)
	v_cmpx_ne_u32_e32 0xff, v5
	s_cbranch_execz .LBB87_3152
; %bb.3151:
	v_and_b32_e32 v1, 0x400000, v0
	v_and_or_b32 v5, 0x3fffff, v0, v5
	v_lshrrev_b32_e32 v0, 23, v0
	s_delay_alu instid0(VALU_DEP_3) | instskip(NEXT) | instid1(VALU_DEP_3)
	v_cmp_ne_u32_e32 vcc_lo, 0, v1
	v_cmp_ne_u32_e64 s0, 0, v5
	s_and_b32 s0, vcc_lo, s0
	s_delay_alu instid0(SALU_CYCLE_1) | instskip(NEXT) | instid1(VALU_DEP_1)
	v_cndmask_b32_e64 v1, 0, 1, s0
	v_add_nc_u32_e32 v1, v0, v1
.LBB87_3152:
	s_or_b32 exec_lo, exec_lo, s4
	s_mov_b32 s0, 0
	global_store_b8 v[2:3], v1, off
.LBB87_3153:
	s_mov_b32 s4, 0
.LBB87_3154:
	s_delay_alu instid0(SALU_CYCLE_1)
	s_and_b32 vcc_lo, exec_lo, s4
	s_cbranch_vccz .LBB87_3157
; %bb.3155:
	s_cmp_eq_u32 s2, 29
	s_mov_b32 s0, -1
	s_cbranch_scc0 .LBB87_3157
; %bb.3156:
	s_wait_xcnt 0x0
	v_bfe_i32 v0, v4, 0, 16
	s_mov_b32 s0, 0
	s_delay_alu instid0(VALU_DEP_1)
	v_ashrrev_i32_e32 v1, 31, v0
	global_store_b64 v[2:3], v[0:1], off
.LBB87_3157:
	s_mov_b32 s4, 0
.LBB87_3158:
	s_delay_alu instid0(SALU_CYCLE_1)
	s_and_b32 vcc_lo, exec_lo, s4
	s_cbranch_vccz .LBB87_3173
; %bb.3159:
	s_cmp_lt_i32 s2, 27
	s_mov_b32 s4, -1
	s_cbranch_scc1 .LBB87_3165
; %bb.3160:
	s_cmp_gt_i32 s2, 27
	s_cbranch_scc0 .LBB87_3162
; %bb.3161:
	s_wait_xcnt 0x0
	v_bfe_i32 v0, v4, 0, 16
	s_mov_b32 s4, 0
	global_store_b32 v[2:3], v0, off
.LBB87_3162:
	s_and_not1_b32 vcc_lo, exec_lo, s4
	s_cbranch_vccnz .LBB87_3164
; %bb.3163:
	global_store_b16 v[2:3], v4, off
.LBB87_3164:
	s_mov_b32 s4, 0
.LBB87_3165:
	s_delay_alu instid0(SALU_CYCLE_1)
	s_and_not1_b32 vcc_lo, exec_lo, s4
	s_cbranch_vccnz .LBB87_3173
; %bb.3166:
	s_wait_xcnt 0x0
	v_bfe_i32 v0, v4, 0, 16
	v_mov_b32_e32 v5, 0x80
	s_mov_b32 s4, exec_lo
	s_delay_alu instid0(VALU_DEP_2) | instskip(NEXT) | instid1(VALU_DEP_1)
	v_cvt_f32_i32_e32 v0, v0
	v_and_b32_e32 v1, 0x7fffffff, v0
	s_delay_alu instid0(VALU_DEP_1)
	v_cmpx_gt_u32_e32 0x43800000, v1
	s_cbranch_execz .LBB87_3172
; %bb.3167:
	v_cmp_lt_u32_e32 vcc_lo, 0x3bffffff, v1
	s_mov_b32 s5, 0
                                        ; implicit-def: $vgpr1
	s_and_saveexec_b32 s9, vcc_lo
	s_delay_alu instid0(SALU_CYCLE_1)
	s_xor_b32 s9, exec_lo, s9
	s_cbranch_execz .LBB87_3278
; %bb.3168:
	v_bfe_u32 v1, v0, 20, 1
	s_mov_b32 s5, exec_lo
	s_delay_alu instid0(VALU_DEP_1) | instskip(NEXT) | instid1(VALU_DEP_1)
	v_add3_u32 v1, v0, v1, 0x487ffff
	v_lshrrev_b32_e32 v1, 20, v1
	s_and_not1_saveexec_b32 s9, s9
	s_cbranch_execnz .LBB87_3279
.LBB87_3169:
	s_or_b32 exec_lo, exec_lo, s9
	v_mov_b32_e32 v5, 0
	s_and_saveexec_b32 s9, s5
.LBB87_3170:
	v_lshrrev_b32_e32 v0, 24, v0
	s_delay_alu instid0(VALU_DEP_1)
	v_and_or_b32 v5, 0x80, v0, v1
.LBB87_3171:
	s_or_b32 exec_lo, exec_lo, s9
.LBB87_3172:
	s_delay_alu instid0(SALU_CYCLE_1)
	s_or_b32 exec_lo, exec_lo, s4
	global_store_b8 v[2:3], v5, off
.LBB87_3173:
	s_mov_b32 s4, 0
.LBB87_3174:
	s_delay_alu instid0(SALU_CYCLE_1)
	s_and_b32 vcc_lo, exec_lo, s4
	s_cbranch_vccz .LBB87_3214
; %bb.3175:
	s_cmp_gt_i32 s2, 22
	s_mov_b32 s3, -1
	s_cbranch_scc0 .LBB87_3207
; %bb.3176:
	s_cmp_lt_i32 s2, 24
	s_cbranch_scc1 .LBB87_3196
; %bb.3177:
	s_cmp_gt_i32 s2, 24
	s_cbranch_scc0 .LBB87_3185
; %bb.3178:
	s_wait_xcnt 0x0
	v_bfe_i32 v0, v4, 0, 16
	v_mov_b32_e32 v5, 0x80
	s_mov_b32 s3, exec_lo
	s_delay_alu instid0(VALU_DEP_2) | instskip(NEXT) | instid1(VALU_DEP_1)
	v_cvt_f32_i32_e32 v0, v0
	v_and_b32_e32 v1, 0x7fffffff, v0
	s_delay_alu instid0(VALU_DEP_1)
	v_cmpx_gt_u32_e32 0x47800000, v1
	s_cbranch_execz .LBB87_3184
; %bb.3179:
	v_cmp_lt_u32_e32 vcc_lo, 0x37ffffff, v1
	s_mov_b32 s4, 0
                                        ; implicit-def: $vgpr1
	s_and_saveexec_b32 s5, vcc_lo
	s_delay_alu instid0(SALU_CYCLE_1)
	s_xor_b32 s5, exec_lo, s5
	s_cbranch_execz .LBB87_3281
; %bb.3180:
	v_bfe_u32 v1, v0, 21, 1
	s_mov_b32 s4, exec_lo
	s_delay_alu instid0(VALU_DEP_1) | instskip(NEXT) | instid1(VALU_DEP_1)
	v_add3_u32 v1, v0, v1, 0x88fffff
	v_lshrrev_b32_e32 v1, 21, v1
	s_and_not1_saveexec_b32 s5, s5
	s_cbranch_execnz .LBB87_3282
.LBB87_3181:
	s_or_b32 exec_lo, exec_lo, s5
	v_mov_b32_e32 v5, 0
	s_and_saveexec_b32 s5, s4
.LBB87_3182:
	v_lshrrev_b32_e32 v0, 24, v0
	s_delay_alu instid0(VALU_DEP_1)
	v_and_or_b32 v5, 0x80, v0, v1
.LBB87_3183:
	s_or_b32 exec_lo, exec_lo, s5
.LBB87_3184:
	s_delay_alu instid0(SALU_CYCLE_1)
	s_or_b32 exec_lo, exec_lo, s3
	s_mov_b32 s3, 0
	global_store_b8 v[2:3], v5, off
.LBB87_3185:
	s_and_b32 vcc_lo, exec_lo, s3
	s_cbranch_vccz .LBB87_3195
; %bb.3186:
	s_wait_xcnt 0x0
	v_bfe_i32 v0, v4, 0, 16
	s_mov_b32 s3, exec_lo
                                        ; implicit-def: $vgpr1
	s_delay_alu instid0(VALU_DEP_1) | instskip(NEXT) | instid1(VALU_DEP_1)
	v_cvt_f32_i32_e32 v0, v0
	v_and_b32_e32 v5, 0x7fffffff, v0
	s_delay_alu instid0(VALU_DEP_1)
	v_cmpx_gt_u32_e32 0x43f00000, v5
	s_xor_b32 s3, exec_lo, s3
	s_cbranch_execz .LBB87_3192
; %bb.3187:
	s_mov_b32 s4, exec_lo
                                        ; implicit-def: $vgpr1
	v_cmpx_lt_u32_e32 0x3c7fffff, v5
	s_xor_b32 s4, exec_lo, s4
; %bb.3188:
	v_bfe_u32 v1, v0, 20, 1
	s_delay_alu instid0(VALU_DEP_1) | instskip(NEXT) | instid1(VALU_DEP_1)
	v_add3_u32 v1, v0, v1, 0x407ffff
	v_and_b32_e32 v5, 0xff00000, v1
	v_lshrrev_b32_e32 v1, 20, v1
	s_delay_alu instid0(VALU_DEP_2) | instskip(NEXT) | instid1(VALU_DEP_2)
	v_cmp_ne_u32_e32 vcc_lo, 0x7f00000, v5
	v_cndmask_b32_e32 v1, 0x7e, v1, vcc_lo
; %bb.3189:
	s_and_not1_saveexec_b32 s4, s4
; %bb.3190:
	v_add_f32_e64 v1, 0x46800000, |v0|
; %bb.3191:
	s_or_b32 exec_lo, exec_lo, s4
                                        ; implicit-def: $vgpr5
.LBB87_3192:
	s_and_not1_saveexec_b32 s3, s3
; %bb.3193:
	v_mov_b32_e32 v1, 0x7f
	v_cmp_lt_u32_e32 vcc_lo, 0x7f800000, v5
	s_delay_alu instid0(VALU_DEP_2)
	v_cndmask_b32_e32 v1, 0x7e, v1, vcc_lo
; %bb.3194:
	s_or_b32 exec_lo, exec_lo, s3
	v_lshrrev_b32_e32 v0, 24, v0
	s_delay_alu instid0(VALU_DEP_1)
	v_and_or_b32 v0, 0x80, v0, v1
	global_store_b8 v[2:3], v0, off
.LBB87_3195:
	s_mov_b32 s3, 0
.LBB87_3196:
	s_delay_alu instid0(SALU_CYCLE_1)
	s_and_not1_b32 vcc_lo, exec_lo, s3
	s_cbranch_vccnz .LBB87_3206
; %bb.3197:
	s_wait_xcnt 0x0
	v_bfe_i32 v0, v4, 0, 16
	s_mov_b32 s3, exec_lo
                                        ; implicit-def: $vgpr1
	s_delay_alu instid0(VALU_DEP_1) | instskip(NEXT) | instid1(VALU_DEP_1)
	v_cvt_f32_i32_e32 v0, v0
	v_and_b32_e32 v5, 0x7fffffff, v0
	s_delay_alu instid0(VALU_DEP_1)
	v_cmpx_gt_u32_e32 0x47800000, v5
	s_xor_b32 s3, exec_lo, s3
	s_cbranch_execz .LBB87_3203
; %bb.3198:
	s_mov_b32 s4, exec_lo
                                        ; implicit-def: $vgpr1
	v_cmpx_lt_u32_e32 0x387fffff, v5
	s_xor_b32 s4, exec_lo, s4
; %bb.3199:
	v_bfe_u32 v1, v0, 21, 1
	s_delay_alu instid0(VALU_DEP_1) | instskip(NEXT) | instid1(VALU_DEP_1)
	v_add3_u32 v1, v0, v1, 0x80fffff
	v_lshrrev_b32_e32 v1, 21, v1
; %bb.3200:
	s_and_not1_saveexec_b32 s4, s4
; %bb.3201:
	v_add_f32_e64 v1, 0x43000000, |v0|
; %bb.3202:
	s_or_b32 exec_lo, exec_lo, s4
                                        ; implicit-def: $vgpr5
.LBB87_3203:
	s_and_not1_saveexec_b32 s3, s3
; %bb.3204:
	v_mov_b32_e32 v1, 0x7f
	v_cmp_lt_u32_e32 vcc_lo, 0x7f800000, v5
	s_delay_alu instid0(VALU_DEP_2)
	v_cndmask_b32_e32 v1, 0x7c, v1, vcc_lo
; %bb.3205:
	s_or_b32 exec_lo, exec_lo, s3
	v_lshrrev_b32_e32 v0, 24, v0
	s_delay_alu instid0(VALU_DEP_1)
	v_and_or_b32 v0, 0x80, v0, v1
	global_store_b8 v[2:3], v0, off
.LBB87_3206:
	s_mov_b32 s3, 0
.LBB87_3207:
	s_delay_alu instid0(SALU_CYCLE_1)
	s_and_not1_b32 vcc_lo, exec_lo, s3
	s_mov_b32 s3, 0
	s_cbranch_vccnz .LBB87_3214
; %bb.3208:
	s_cmp_gt_i32 s2, 14
	s_mov_b32 s3, -1
	s_cbranch_scc0 .LBB87_3212
; %bb.3209:
	s_cmp_eq_u32 s2, 15
	s_mov_b32 s0, -1
	s_cbranch_scc0 .LBB87_3211
; %bb.3210:
	s_wait_xcnt 0x0
	v_bfe_i32 v0, v4, 0, 16
	s_mov_b32 s0, 0
	s_delay_alu instid0(VALU_DEP_1) | instskip(NEXT) | instid1(VALU_DEP_1)
	v_cvt_f32_i32_e32 v0, v0
	v_bfe_u32 v1, v0, 16, 1
	s_delay_alu instid0(VALU_DEP_1)
	v_add3_u32 v0, v0, v1, 0x7fff
	global_store_d16_hi_b16 v[2:3], v0, off
.LBB87_3211:
	s_mov_b32 s3, 0
.LBB87_3212:
	s_delay_alu instid0(SALU_CYCLE_1)
	s_and_b32 vcc_lo, exec_lo, s3
	s_mov_b32 s3, 0
	s_cbranch_vccz .LBB87_3214
; %bb.3213:
	s_cmp_lg_u32 s2, 11
	s_mov_b32 s3, -1
	s_cselect_b32 s0, -1, 0
.LBB87_3214:
	s_delay_alu instid0(SALU_CYCLE_1)
	s_and_b32 vcc_lo, exec_lo, s0
	s_cbranch_vccnz .LBB87_3280
.LBB87_3215:
	s_mov_b32 s0, 0
	s_branch .LBB87_3217
.LBB87_3216:
	s_mov_b32 s0, 0
	s_wait_xcnt 0x0
	s_mov_b32 s3, 0
                                        ; implicit-def: $vgpr2_vgpr3
                                        ; implicit-def: $sgpr1
                                        ; implicit-def: $vgpr4
.LBB87_3217:
	s_and_not1_b32 s2, s6, exec_lo
	s_and_b32 s4, s8, exec_lo
	s_and_b32 s0, s0, exec_lo
	;; [unrolled: 1-line block ×3, first 2 shown]
	s_or_b32 s6, s2, s4
.LBB87_3218:
	s_wait_xcnt 0x0
	s_or_b32 exec_lo, exec_lo, s7
	s_and_saveexec_b32 s2, s6
	s_cbranch_execz .LBB87_3221
; %bb.3219:
	; divergent unreachable
	s_or_b32 exec_lo, exec_lo, s2
	s_and_saveexec_b32 s2, s29
	s_delay_alu instid0(SALU_CYCLE_1)
	s_xor_b32 s2, exec_lo, s2
	s_cbranch_execnz .LBB87_3222
.LBB87_3220:
	s_or_b32 exec_lo, exec_lo, s2
	s_and_saveexec_b32 s2, s0
	s_cbranch_execnz .LBB87_3223
	s_branch .LBB87_3260
.LBB87_3221:
	s_or_b32 exec_lo, exec_lo, s2
	s_and_saveexec_b32 s2, s29
	s_delay_alu instid0(SALU_CYCLE_1)
	s_xor_b32 s2, exec_lo, s2
	s_cbranch_execz .LBB87_3220
.LBB87_3222:
	s_wait_loadcnt 0x0
	v_cmp_ne_u16_e32 vcc_lo, 0, v4
	v_cndmask_b32_e64 v0, 0, 1, vcc_lo
	global_store_b8 v[2:3], v0, off
	s_wait_xcnt 0x0
	s_or_b32 exec_lo, exec_lo, s2
	s_and_saveexec_b32 s2, s0
	s_cbranch_execz .LBB87_3260
.LBB87_3223:
	s_sext_i32_i16 s2, s1
	s_mov_b32 s0, -1
	s_cmp_lt_i32 s2, 5
	s_cbranch_scc1 .LBB87_3244
; %bb.3224:
	s_cmp_lt_i32 s2, 8
	s_cbranch_scc1 .LBB87_3234
; %bb.3225:
	;; [unrolled: 3-line block ×3, first 2 shown]
	s_cmp_gt_i32 s2, 9
	s_cbranch_scc0 .LBB87_3228
; %bb.3227:
	s_wait_loadcnt 0x0
	v_bfe_i32 v0, v4, 0, 16
	v_mov_b32_e32 v8, 0
	s_mov_b32 s0, 0
	s_delay_alu instid0(VALU_DEP_2) | instskip(NEXT) | instid1(VALU_DEP_2)
	v_cvt_f64_i32_e32 v[6:7], v0
	v_mov_b32_e32 v9, v8
	global_store_b128 v[2:3], v[6:9], off
.LBB87_3228:
	s_and_not1_b32 vcc_lo, exec_lo, s0
	s_cbranch_vccnz .LBB87_3230
; %bb.3229:
	s_wait_loadcnt 0x0
	v_bfe_i32 v0, v4, 0, 16
	v_mov_b32_e32 v1, 0
	s_delay_alu instid0(VALU_DEP_2)
	v_cvt_f32_i32_e32 v0, v0
	global_store_b64 v[2:3], v[0:1], off
.LBB87_3230:
	s_mov_b32 s0, 0
.LBB87_3231:
	s_delay_alu instid0(SALU_CYCLE_1)
	s_and_not1_b32 vcc_lo, exec_lo, s0
	s_cbranch_vccnz .LBB87_3233
; %bb.3232:
	s_wait_loadcnt 0x0
	v_cvt_f16_i16_e32 v0, v4
	s_delay_alu instid0(VALU_DEP_1)
	v_and_b32_e32 v0, 0xffff, v0
	global_store_b32 v[2:3], v0, off
.LBB87_3233:
	s_mov_b32 s0, 0
.LBB87_3234:
	s_delay_alu instid0(SALU_CYCLE_1)
	s_and_not1_b32 vcc_lo, exec_lo, s0
	s_cbranch_vccnz .LBB87_3243
; %bb.3235:
	s_sext_i32_i16 s2, s1
	s_mov_b32 s0, -1
	s_cmp_lt_i32 s2, 6
	s_cbranch_scc1 .LBB87_3241
; %bb.3236:
	s_cmp_gt_i32 s2, 6
	s_cbranch_scc0 .LBB87_3238
; %bb.3237:
	s_wait_loadcnt 0x0
	v_bfe_i32 v0, v4, 0, 16
	s_mov_b32 s0, 0
	s_delay_alu instid0(VALU_DEP_1)
	v_cvt_f64_i32_e32 v[0:1], v0
	global_store_b64 v[2:3], v[0:1], off
.LBB87_3238:
	s_and_not1_b32 vcc_lo, exec_lo, s0
	s_cbranch_vccnz .LBB87_3240
; %bb.3239:
	s_wait_loadcnt 0x0
	v_bfe_i32 v0, v4, 0, 16
	s_delay_alu instid0(VALU_DEP_1)
	v_cvt_f32_i32_e32 v0, v0
	global_store_b32 v[2:3], v0, off
.LBB87_3240:
	s_mov_b32 s0, 0
.LBB87_3241:
	s_delay_alu instid0(SALU_CYCLE_1)
	s_and_not1_b32 vcc_lo, exec_lo, s0
	s_cbranch_vccnz .LBB87_3243
; %bb.3242:
	s_wait_loadcnt 0x0
	v_cvt_f16_i16_e32 v0, v4
	global_store_b16 v[2:3], v0, off
.LBB87_3243:
	s_mov_b32 s0, 0
.LBB87_3244:
	s_delay_alu instid0(SALU_CYCLE_1)
	s_and_not1_b32 vcc_lo, exec_lo, s0
	s_cbranch_vccnz .LBB87_3260
; %bb.3245:
	s_sext_i32_i16 s2, s1
	s_mov_b32 s0, -1
	s_cmp_lt_i32 s2, 2
	s_cbranch_scc1 .LBB87_3255
; %bb.3246:
	s_cmp_lt_i32 s2, 3
	s_cbranch_scc1 .LBB87_3252
; %bb.3247:
	s_wait_loadcnt 0x0
	v_bfe_i32 v0, v4, 0, 16
	s_cmp_gt_i32 s2, 3
	s_cbranch_scc0 .LBB87_3249
; %bb.3248:
	s_delay_alu instid0(VALU_DEP_1)
	v_ashrrev_i32_e32 v1, 31, v0
	s_mov_b32 s0, 0
	global_store_b64 v[2:3], v[0:1], off
.LBB87_3249:
	s_and_not1_b32 vcc_lo, exec_lo, s0
	s_cbranch_vccnz .LBB87_3251
; %bb.3250:
	global_store_b32 v[2:3], v0, off
.LBB87_3251:
	s_mov_b32 s0, 0
.LBB87_3252:
	s_delay_alu instid0(SALU_CYCLE_1)
	s_and_not1_b32 vcc_lo, exec_lo, s0
	s_cbranch_vccnz .LBB87_3254
; %bb.3253:
	s_wait_loadcnt 0x0
	global_store_b16 v[2:3], v4, off
.LBB87_3254:
	s_mov_b32 s0, 0
.LBB87_3255:
	s_delay_alu instid0(SALU_CYCLE_1)
	s_and_not1_b32 vcc_lo, exec_lo, s0
	s_cbranch_vccnz .LBB87_3260
; %bb.3256:
	s_sext_i32_i16 s0, s1
	s_delay_alu instid0(SALU_CYCLE_1)
	s_cmp_gt_i32 s0, 0
	s_mov_b32 s0, -1
	s_cbranch_scc0 .LBB87_3258
; %bb.3257:
	s_mov_b32 s0, 0
	s_wait_loadcnt 0x0
	global_store_b8 v[2:3], v4, off
.LBB87_3258:
	s_and_not1_b32 vcc_lo, exec_lo, s0
	s_cbranch_vccnz .LBB87_3260
; %bb.3259:
	s_wait_loadcnt 0x0
	global_store_b8 v[2:3], v4, off
	s_endpgm
.LBB87_3260:
	s_endpgm
.LBB87_3261:
	s_mov_b32 s3, 0
	s_mov_b32 s0, -1
	s_branch .LBB87_3217
.LBB87_3262:
	s_or_b32 s8, s8, exec_lo
	s_trap 2
	s_cbranch_execz .LBB87_2731
	s_branch .LBB87_2732
.LBB87_3263:
	s_and_not1_saveexec_b32 s12, s12
	s_cbranch_execz .LBB87_2811
.LBB87_3264:
	v_add_f32_e64 v5, 0x46000000, |v3|
	s_and_not1_b32 s11, s11, exec_lo
	s_delay_alu instid0(VALU_DEP_1) | instskip(NEXT) | instid1(VALU_DEP_1)
	v_and_b32_e32 v5, 0xff, v5
	v_cmp_ne_u32_e32 vcc_lo, 0, v5
	s_and_b32 s13, vcc_lo, exec_lo
	s_delay_alu instid0(SALU_CYCLE_1)
	s_or_b32 s11, s11, s13
	s_or_b32 exec_lo, exec_lo, s12
	v_mov_b32_e32 v8, 0
	s_and_saveexec_b32 s12, s11
	s_cbranch_execnz .LBB87_2812
	s_branch .LBB87_2813
.LBB87_3265:
	s_or_b32 s8, s8, exec_lo
	s_trap 2
	s_cbranch_execz .LBB87_2859
	s_branch .LBB87_2860
.LBB87_3266:
	s_and_not1_saveexec_b32 s11, s11
	s_cbranch_execz .LBB87_2824
.LBB87_3267:
	v_add_f32_e64 v5, 0x42800000, |v3|
	s_and_not1_b32 s10, s10, exec_lo
	s_delay_alu instid0(VALU_DEP_1) | instskip(NEXT) | instid1(VALU_DEP_1)
	v_and_b32_e32 v5, 0xff, v5
	v_cmp_ne_u32_e32 vcc_lo, 0, v5
	s_and_b32 s12, vcc_lo, exec_lo
	s_delay_alu instid0(SALU_CYCLE_1)
	s_or_b32 s10, s10, s12
	s_or_b32 exec_lo, exec_lo, s11
	v_mov_b32_e32 v8, 0
	s_and_saveexec_b32 s11, s10
	s_cbranch_execnz .LBB87_2825
	s_branch .LBB87_2826
.LBB87_3268:
	s_and_not1_saveexec_b32 s12, s12
	s_cbranch_execz .LBB87_2930
.LBB87_3269:
	v_add_f32_e64 v6, 0x46000000, |v3|
	s_and_not1_b32 s11, s11, exec_lo
	s_delay_alu instid0(VALU_DEP_1) | instskip(NEXT) | instid1(VALU_DEP_1)
	v_and_b32_e32 v6, 0xff, v6
	v_cmp_ne_u32_e32 vcc_lo, 0, v6
	s_and_b32 s13, vcc_lo, exec_lo
	s_delay_alu instid0(SALU_CYCLE_1)
	s_or_b32 s11, s11, s13
	s_or_b32 exec_lo, exec_lo, s12
	v_mov_b32_e32 v7, 0
	s_and_saveexec_b32 s12, s11
	s_cbranch_execnz .LBB87_2931
	s_branch .LBB87_2932
.LBB87_3270:
	s_or_b32 s8, s8, exec_lo
	s_trap 2
	s_cbranch_execz .LBB87_2978
	s_branch .LBB87_2979
.LBB87_3271:
	s_and_not1_saveexec_b32 s11, s11
	s_cbranch_execz .LBB87_2943
.LBB87_3272:
	v_add_f32_e64 v6, 0x42800000, |v3|
	s_and_not1_b32 s10, s10, exec_lo
	s_delay_alu instid0(VALU_DEP_1) | instskip(NEXT) | instid1(VALU_DEP_1)
	v_and_b32_e32 v6, 0xff, v6
	v_cmp_ne_u32_e32 vcc_lo, 0, v6
	s_and_b32 s12, vcc_lo, exec_lo
	s_delay_alu instid0(SALU_CYCLE_1)
	s_or_b32 s10, s10, s12
	s_or_b32 exec_lo, exec_lo, s11
	v_mov_b32_e32 v7, 0
	s_and_saveexec_b32 s11, s10
	s_cbranch_execnz .LBB87_2944
	s_branch .LBB87_2945
.LBB87_3273:
	s_and_not1_saveexec_b32 s12, s12
	s_cbranch_execz .LBB87_3049
.LBB87_3274:
	v_add_f32_e64 v5, 0x46000000, |v4|
	s_and_not1_b32 s11, s11, exec_lo
	s_delay_alu instid0(VALU_DEP_1) | instskip(NEXT) | instid1(VALU_DEP_1)
	v_and_b32_e32 v5, 0xff, v5
	v_cmp_ne_u32_e32 vcc_lo, 0, v5
	s_and_b32 s13, vcc_lo, exec_lo
	s_delay_alu instid0(SALU_CYCLE_1)
	s_or_b32 s11, s11, s13
	s_or_b32 exec_lo, exec_lo, s12
	v_mov_b32_e32 v6, 0
	s_and_saveexec_b32 s12, s11
	s_cbranch_execnz .LBB87_3050
	s_branch .LBB87_3051
.LBB87_3275:
	s_or_b32 s8, s8, exec_lo
	s_trap 2
	s_cbranch_execz .LBB87_3097
	s_branch .LBB87_3098
.LBB87_3276:
	s_and_not1_saveexec_b32 s11, s11
	s_cbranch_execz .LBB87_3062
.LBB87_3277:
	v_add_f32_e64 v5, 0x42800000, |v4|
	s_and_not1_b32 s10, s10, exec_lo
	s_delay_alu instid0(VALU_DEP_1) | instskip(NEXT) | instid1(VALU_DEP_1)
	v_and_b32_e32 v5, 0xff, v5
	v_cmp_ne_u32_e32 vcc_lo, 0, v5
	s_and_b32 s12, vcc_lo, exec_lo
	s_delay_alu instid0(SALU_CYCLE_1)
	s_or_b32 s10, s10, s12
	s_or_b32 exec_lo, exec_lo, s11
	v_mov_b32_e32 v6, 0
	s_and_saveexec_b32 s11, s10
	s_cbranch_execnz .LBB87_3063
	s_branch .LBB87_3064
.LBB87_3278:
	s_and_not1_saveexec_b32 s9, s9
	s_cbranch_execz .LBB87_3169
.LBB87_3279:
	v_add_f32_e64 v1, 0x46000000, |v0|
	s_and_not1_b32 s5, s5, exec_lo
	s_delay_alu instid0(VALU_DEP_1) | instskip(NEXT) | instid1(VALU_DEP_1)
	v_and_b32_e32 v1, 0xff, v1
	v_cmp_ne_u32_e32 vcc_lo, 0, v1
	s_and_b32 s10, vcc_lo, exec_lo
	s_delay_alu instid0(SALU_CYCLE_1)
	s_or_b32 s5, s5, s10
	s_or_b32 exec_lo, exec_lo, s9
	v_mov_b32_e32 v5, 0
	s_and_saveexec_b32 s9, s5
	s_cbranch_execnz .LBB87_3170
	s_branch .LBB87_3171
.LBB87_3280:
	s_mov_b32 s3, 0
	s_or_b32 s8, s8, exec_lo
	s_trap 2
	s_branch .LBB87_3215
.LBB87_3281:
	s_and_not1_saveexec_b32 s5, s5
	s_cbranch_execz .LBB87_3181
.LBB87_3282:
	v_add_f32_e64 v1, 0x42800000, |v0|
	s_and_not1_b32 s4, s4, exec_lo
	s_delay_alu instid0(VALU_DEP_1) | instskip(NEXT) | instid1(VALU_DEP_1)
	v_and_b32_e32 v1, 0xff, v1
	v_cmp_ne_u32_e32 vcc_lo, 0, v1
	s_and_b32 s9, vcc_lo, exec_lo
	s_delay_alu instid0(SALU_CYCLE_1)
	s_or_b32 s4, s4, s9
	s_or_b32 exec_lo, exec_lo, s5
	v_mov_b32_e32 v5, 0
	s_and_saveexec_b32 s5, s4
	s_cbranch_execnz .LBB87_3182
	s_branch .LBB87_3183
	.section	.rodata,"a",@progbits
	.p2align	6, 0x0
	.amdhsa_kernel _ZN2at6native32elementwise_kernel_manual_unrollILi128ELi4EZNS0_15gpu_kernel_implIZZZNS0_12_GLOBAL__N_116addr_kernel_cudaERNS_14TensorIteratorERKN3c106ScalarES9_ENKUlvE_clEvENKUlvE3_clEvEUlsssE_EEvRNS_18TensorIteratorBaseERKT_EUlibE0_EEviT1_
		.amdhsa_group_segment_fixed_size 0
		.amdhsa_private_segment_fixed_size 0
		.amdhsa_kernarg_size 504
		.amdhsa_user_sgpr_count 2
		.amdhsa_user_sgpr_dispatch_ptr 0
		.amdhsa_user_sgpr_queue_ptr 0
		.amdhsa_user_sgpr_kernarg_segment_ptr 1
		.amdhsa_user_sgpr_dispatch_id 0
		.amdhsa_user_sgpr_kernarg_preload_length 0
		.amdhsa_user_sgpr_kernarg_preload_offset 0
		.amdhsa_user_sgpr_private_segment_size 0
		.amdhsa_wavefront_size32 1
		.amdhsa_uses_dynamic_stack 0
		.amdhsa_enable_private_segment 0
		.amdhsa_system_sgpr_workgroup_id_x 1
		.amdhsa_system_sgpr_workgroup_id_y 0
		.amdhsa_system_sgpr_workgroup_id_z 0
		.amdhsa_system_sgpr_workgroup_info 0
		.amdhsa_system_vgpr_workitem_id 0
		.amdhsa_next_free_vgpr 28
		.amdhsa_next_free_sgpr 63
		.amdhsa_named_barrier_count 0
		.amdhsa_reserve_vcc 1
		.amdhsa_float_round_mode_32 0
		.amdhsa_float_round_mode_16_64 0
		.amdhsa_float_denorm_mode_32 3
		.amdhsa_float_denorm_mode_16_64 3
		.amdhsa_fp16_overflow 0
		.amdhsa_memory_ordered 1
		.amdhsa_forward_progress 1
		.amdhsa_inst_pref_size 255
		.amdhsa_round_robin_scheduling 0
		.amdhsa_exception_fp_ieee_invalid_op 0
		.amdhsa_exception_fp_denorm_src 0
		.amdhsa_exception_fp_ieee_div_zero 0
		.amdhsa_exception_fp_ieee_overflow 0
		.amdhsa_exception_fp_ieee_underflow 0
		.amdhsa_exception_fp_ieee_inexact 0
		.amdhsa_exception_int_div_zero 0
	.end_amdhsa_kernel
	.section	.text._ZN2at6native32elementwise_kernel_manual_unrollILi128ELi4EZNS0_15gpu_kernel_implIZZZNS0_12_GLOBAL__N_116addr_kernel_cudaERNS_14TensorIteratorERKN3c106ScalarES9_ENKUlvE_clEvENKUlvE3_clEvEUlsssE_EEvRNS_18TensorIteratorBaseERKT_EUlibE0_EEviT1_,"axG",@progbits,_ZN2at6native32elementwise_kernel_manual_unrollILi128ELi4EZNS0_15gpu_kernel_implIZZZNS0_12_GLOBAL__N_116addr_kernel_cudaERNS_14TensorIteratorERKN3c106ScalarES9_ENKUlvE_clEvENKUlvE3_clEvEUlsssE_EEvRNS_18TensorIteratorBaseERKT_EUlibE0_EEviT1_,comdat
.Lfunc_end87:
	.size	_ZN2at6native32elementwise_kernel_manual_unrollILi128ELi4EZNS0_15gpu_kernel_implIZZZNS0_12_GLOBAL__N_116addr_kernel_cudaERNS_14TensorIteratorERKN3c106ScalarES9_ENKUlvE_clEvENKUlvE3_clEvEUlsssE_EEvRNS_18TensorIteratorBaseERKT_EUlibE0_EEviT1_, .Lfunc_end87-_ZN2at6native32elementwise_kernel_manual_unrollILi128ELi4EZNS0_15gpu_kernel_implIZZZNS0_12_GLOBAL__N_116addr_kernel_cudaERNS_14TensorIteratorERKN3c106ScalarES9_ENKUlvE_clEvENKUlvE3_clEvEUlsssE_EEvRNS_18TensorIteratorBaseERKT_EUlibE0_EEviT1_
                                        ; -- End function
	.set _ZN2at6native32elementwise_kernel_manual_unrollILi128ELi4EZNS0_15gpu_kernel_implIZZZNS0_12_GLOBAL__N_116addr_kernel_cudaERNS_14TensorIteratorERKN3c106ScalarES9_ENKUlvE_clEvENKUlvE3_clEvEUlsssE_EEvRNS_18TensorIteratorBaseERKT_EUlibE0_EEviT1_.num_vgpr, 28
	.set _ZN2at6native32elementwise_kernel_manual_unrollILi128ELi4EZNS0_15gpu_kernel_implIZZZNS0_12_GLOBAL__N_116addr_kernel_cudaERNS_14TensorIteratorERKN3c106ScalarES9_ENKUlvE_clEvENKUlvE3_clEvEUlsssE_EEvRNS_18TensorIteratorBaseERKT_EUlibE0_EEviT1_.num_agpr, 0
	.set _ZN2at6native32elementwise_kernel_manual_unrollILi128ELi4EZNS0_15gpu_kernel_implIZZZNS0_12_GLOBAL__N_116addr_kernel_cudaERNS_14TensorIteratorERKN3c106ScalarES9_ENKUlvE_clEvENKUlvE3_clEvEUlsssE_EEvRNS_18TensorIteratorBaseERKT_EUlibE0_EEviT1_.numbered_sgpr, 63
	.set _ZN2at6native32elementwise_kernel_manual_unrollILi128ELi4EZNS0_15gpu_kernel_implIZZZNS0_12_GLOBAL__N_116addr_kernel_cudaERNS_14TensorIteratorERKN3c106ScalarES9_ENKUlvE_clEvENKUlvE3_clEvEUlsssE_EEvRNS_18TensorIteratorBaseERKT_EUlibE0_EEviT1_.num_named_barrier, 0
	.set _ZN2at6native32elementwise_kernel_manual_unrollILi128ELi4EZNS0_15gpu_kernel_implIZZZNS0_12_GLOBAL__N_116addr_kernel_cudaERNS_14TensorIteratorERKN3c106ScalarES9_ENKUlvE_clEvENKUlvE3_clEvEUlsssE_EEvRNS_18TensorIteratorBaseERKT_EUlibE0_EEviT1_.private_seg_size, 0
	.set _ZN2at6native32elementwise_kernel_manual_unrollILi128ELi4EZNS0_15gpu_kernel_implIZZZNS0_12_GLOBAL__N_116addr_kernel_cudaERNS_14TensorIteratorERKN3c106ScalarES9_ENKUlvE_clEvENKUlvE3_clEvEUlsssE_EEvRNS_18TensorIteratorBaseERKT_EUlibE0_EEviT1_.uses_vcc, 1
	.set _ZN2at6native32elementwise_kernel_manual_unrollILi128ELi4EZNS0_15gpu_kernel_implIZZZNS0_12_GLOBAL__N_116addr_kernel_cudaERNS_14TensorIteratorERKN3c106ScalarES9_ENKUlvE_clEvENKUlvE3_clEvEUlsssE_EEvRNS_18TensorIteratorBaseERKT_EUlibE0_EEviT1_.uses_flat_scratch, 0
	.set _ZN2at6native32elementwise_kernel_manual_unrollILi128ELi4EZNS0_15gpu_kernel_implIZZZNS0_12_GLOBAL__N_116addr_kernel_cudaERNS_14TensorIteratorERKN3c106ScalarES9_ENKUlvE_clEvENKUlvE3_clEvEUlsssE_EEvRNS_18TensorIteratorBaseERKT_EUlibE0_EEviT1_.has_dyn_sized_stack, 0
	.set _ZN2at6native32elementwise_kernel_manual_unrollILi128ELi4EZNS0_15gpu_kernel_implIZZZNS0_12_GLOBAL__N_116addr_kernel_cudaERNS_14TensorIteratorERKN3c106ScalarES9_ENKUlvE_clEvENKUlvE3_clEvEUlsssE_EEvRNS_18TensorIteratorBaseERKT_EUlibE0_EEviT1_.has_recursion, 0
	.set _ZN2at6native32elementwise_kernel_manual_unrollILi128ELi4EZNS0_15gpu_kernel_implIZZZNS0_12_GLOBAL__N_116addr_kernel_cudaERNS_14TensorIteratorERKN3c106ScalarES9_ENKUlvE_clEvENKUlvE3_clEvEUlsssE_EEvRNS_18TensorIteratorBaseERKT_EUlibE0_EEviT1_.has_indirect_call, 0
	.section	.AMDGPU.csdata,"",@progbits
; Kernel info:
; codeLenInByte = 59536
; TotalNumSgprs: 65
; NumVgprs: 28
; ScratchSize: 0
; MemoryBound: 1
; FloatMode: 240
; IeeeMode: 1
; LDSByteSize: 0 bytes/workgroup (compile time only)
; SGPRBlocks: 0
; VGPRBlocks: 1
; NumSGPRsForWavesPerEU: 65
; NumVGPRsForWavesPerEU: 28
; NamedBarCnt: 0
; Occupancy: 16
; WaveLimiterHint : 1
; COMPUTE_PGM_RSRC2:SCRATCH_EN: 0
; COMPUTE_PGM_RSRC2:USER_SGPR: 2
; COMPUTE_PGM_RSRC2:TRAP_HANDLER: 0
; COMPUTE_PGM_RSRC2:TGID_X_EN: 1
; COMPUTE_PGM_RSRC2:TGID_Y_EN: 0
; COMPUTE_PGM_RSRC2:TGID_Z_EN: 0
; COMPUTE_PGM_RSRC2:TIDIG_COMP_CNT: 0
	.section	.text._ZN2at6native29vectorized_elementwise_kernelILi16EZZZNS0_12_GLOBAL__N_116addr_kernel_cudaERNS_14TensorIteratorERKN3c106ScalarES8_ENKUlvE_clEvENKUlvE3_clEvEUlsssE0_St5arrayIPcLm4EEEEviT0_T1_,"axG",@progbits,_ZN2at6native29vectorized_elementwise_kernelILi16EZZZNS0_12_GLOBAL__N_116addr_kernel_cudaERNS_14TensorIteratorERKN3c106ScalarES8_ENKUlvE_clEvENKUlvE3_clEvEUlsssE0_St5arrayIPcLm4EEEEviT0_T1_,comdat
	.globl	_ZN2at6native29vectorized_elementwise_kernelILi16EZZZNS0_12_GLOBAL__N_116addr_kernel_cudaERNS_14TensorIteratorERKN3c106ScalarES8_ENKUlvE_clEvENKUlvE3_clEvEUlsssE0_St5arrayIPcLm4EEEEviT0_T1_ ; -- Begin function _ZN2at6native29vectorized_elementwise_kernelILi16EZZZNS0_12_GLOBAL__N_116addr_kernel_cudaERNS_14TensorIteratorERKN3c106ScalarES8_ENKUlvE_clEvENKUlvE3_clEvEUlsssE0_St5arrayIPcLm4EEEEviT0_T1_
	.p2align	8
	.type	_ZN2at6native29vectorized_elementwise_kernelILi16EZZZNS0_12_GLOBAL__N_116addr_kernel_cudaERNS_14TensorIteratorERKN3c106ScalarES8_ENKUlvE_clEvENKUlvE3_clEvEUlsssE0_St5arrayIPcLm4EEEEviT0_T1_,@function
_ZN2at6native29vectorized_elementwise_kernelILi16EZZZNS0_12_GLOBAL__N_116addr_kernel_cudaERNS_14TensorIteratorERKN3c106ScalarES8_ENKUlvE_clEvENKUlvE3_clEvEUlsssE0_St5arrayIPcLm4EEEEviT0_T1_: ; @_ZN2at6native29vectorized_elementwise_kernelILi16EZZZNS0_12_GLOBAL__N_116addr_kernel_cudaERNS_14TensorIteratorERKN3c106ScalarES8_ENKUlvE_clEvENKUlvE3_clEvEUlsssE0_St5arrayIPcLm4EEEEviT0_T1_
; %bb.0:
	s_clause 0x1
	s_load_b64 s[12:13], s[0:1], 0x0
	s_load_b256 s[4:11], s[0:1], 0x8
	s_wait_xcnt 0x0
	s_bfe_u32 s0, ttmp6, 0x4000c
	s_and_b32 s1, ttmp6, 15
	s_add_co_i32 s0, s0, 1
	s_getreg_b32 s2, hwreg(HW_REG_IB_STS2, 6, 4)
	s_mul_i32 s0, ttmp9, s0
	s_delay_alu instid0(SALU_CYCLE_1) | instskip(SKIP_2) | instid1(SALU_CYCLE_1)
	s_add_co_i32 s1, s1, s0
	s_cmp_eq_u32 s2, 0
	s_cselect_b32 s0, ttmp9, s1
	s_lshl_b32 s2, s0, 11
	s_mov_b32 s0, -1
	s_wait_kmcnt 0x0
	s_sub_co_i32 s1, s12, s2
	s_delay_alu instid0(SALU_CYCLE_1)
	s_cmp_gt_i32 s1, 0x7ff
	s_cbranch_scc0 .LBB88_2
; %bb.1:
	s_ashr_i32 s3, s2, 31
	s_mov_b32 s0, 0
	s_lshl_b64 s[14:15], s[2:3], 1
	s_delay_alu instid0(SALU_CYCLE_1)
	s_add_nc_u64 s[16:17], s[6:7], s[14:15]
	s_add_nc_u64 s[18:19], s[8:9], s[14:15]
	s_clause 0x1
	global_load_b128 v[2:5], v0, s[16:17] scale_offset
	global_load_b128 v[6:9], v0, s[18:19] scale_offset
	s_wait_xcnt 0x1
	s_add_nc_u64 s[16:17], s[10:11], s[14:15]
	s_add_nc_u64 s[14:15], s[4:5], s[14:15]
	global_load_b128 v[10:13], v0, s[16:17] scale_offset
	s_wait_loadcnt 0x2
	v_pk_mul_lo_u16 v1, v2, s13 op_sel_hi:[1,0]
	v_pk_mul_lo_u16 v2, v3, s13 op_sel_hi:[1,0]
	s_wait_loadcnt 0x1
	v_pk_mul_lo_u16 v6, v6, s13 op_sel:[0,1]
	v_pk_mul_lo_u16 v3, v7, s13 op_sel:[0,1]
	v_pk_mul_lo_u16 v4, v4, s13 op_sel_hi:[1,0]
	v_pk_mul_lo_u16 v5, v5, s13 op_sel_hi:[1,0]
	v_pk_mul_lo_u16 v7, v9, s13 op_sel:[0,1]
	v_pk_mul_lo_u16 v8, v8, s13 op_sel:[0,1]
	s_wait_loadcnt 0x0
	v_pk_mad_u16 v3, v3, v11, v2
	v_pk_mad_u16 v2, v6, v10, v1
	;; [unrolled: 1-line block ×4, first 2 shown]
	global_store_b128 v0, v[2:5], s[14:15] scale_offset
.LBB88_2:
	s_and_not1_b32 vcc_lo, exec_lo, s0
	s_cbranch_vccnz .LBB88_43
; %bb.3:
	v_cmp_gt_i32_e32 vcc_lo, s1, v0
	s_wait_xcnt 0x0
	v_dual_mov_b32 v3, 0 :: v_dual_bitop2_b32 v1, s2, v0 bitop3:0x54
	v_or_b32_e32 v2, 0x100, v0
	v_dual_mov_b32 v4, 0 :: v_dual_mov_b32 v5, 0
	v_dual_mov_b32 v6, 0 :: v_dual_mov_b32 v12, v0
	s_and_saveexec_b32 s0, vcc_lo
	s_cbranch_execz .LBB88_5
; %bb.4:
	s_clause 0x2
	global_load_u16 v4, v1, s[6:7] scale_offset
	global_load_u16 v5, v1, s[8:9] scale_offset
	;; [unrolled: 1-line block ×3, first 2 shown]
	v_or_b32_e32 v12, 0x100, v0
.LBB88_5:
	s_wait_xcnt 0x0
	s_or_b32 exec_lo, exec_lo, s0
	v_dual_mov_b32 v8, 0 :: v_dual_mov_b32 v9, 0
	s_mov_b32 s3, exec_lo
	v_cmpx_gt_i32_e64 s1, v12
	s_cbranch_execz .LBB88_7
; %bb.6:
	v_add_nc_u32_e32 v7, s2, v12
	v_add_nc_u32_e32 v12, 0x100, v12
	s_clause 0x2
	global_load_u16 v3, v7, s[6:7] scale_offset
	global_load_u16 v8, v7, s[8:9] scale_offset
	global_load_u16 v9, v7, s[10:11] scale_offset
.LBB88_7:
	s_wait_xcnt 0x0
	s_or_b32 exec_lo, exec_lo, s3
	v_dual_mov_b32 v7, 0 :: v_dual_mov_b32 v10, 0
	v_dual_mov_b32 v11, 0 :: v_dual_mov_b32 v13, 0
	s_mov_b32 s3, exec_lo
	v_cmpx_gt_i32_e64 s1, v12
	s_cbranch_execz .LBB88_9
; %bb.8:
	v_add_nc_u32_e32 v14, s2, v12
	v_add_nc_u32_e32 v12, 0x100, v12
	s_clause 0x2
	global_load_u16 v10, v14, s[6:7] scale_offset
	global_load_u16 v11, v14, s[8:9] scale_offset
	global_load_u16 v13, v14, s[10:11] scale_offset
.LBB88_9:
	s_wait_xcnt 0x0
	s_or_b32 exec_lo, exec_lo, s3
	v_dual_mov_b32 v15, 0 :: v_dual_mov_b32 v16, 0
	s_mov_b32 s3, exec_lo
	v_cmpx_gt_i32_e64 s1, v12
	s_cbranch_execz .LBB88_11
; %bb.10:
	v_add_nc_u32_e32 v14, s2, v12
	v_add_nc_u32_e32 v12, 0x100, v12
	s_clause 0x2
	global_load_u16 v7, v14, s[6:7] scale_offset
	global_load_u16 v15, v14, s[8:9] scale_offset
	global_load_u16 v16, v14, s[10:11] scale_offset
.LBB88_11:
	s_wait_xcnt 0x0
	s_or_b32 exec_lo, exec_lo, s3
	v_dual_mov_b32 v14, 0 :: v_dual_mov_b32 v17, 0
	v_dual_mov_b32 v18, 0 :: v_dual_mov_b32 v19, 0
	s_mov_b32 s3, exec_lo
	v_cmpx_gt_i32_e64 s1, v12
	s_cbranch_execz .LBB88_13
; %bb.12:
	v_add_nc_u32_e32 v20, s2, v12
	v_add_nc_u32_e32 v12, 0x100, v12
	s_clause 0x2
	global_load_u16 v17, v20, s[6:7] scale_offset
	global_load_u16 v18, v20, s[8:9] scale_offset
	global_load_u16 v19, v20, s[10:11] scale_offset
.LBB88_13:
	;; [unrolled: 29-line block ×3, first 2 shown]
	s_wait_xcnt 0x0
	s_or_b32 exec_lo, exec_lo, s3
	v_dual_mov_b32 v26, 0 :: v_dual_mov_b32 v27, 0
	s_mov_b32 s3, exec_lo
	v_cmpx_gt_i32_e64 s1, v12
	s_cbranch_execz .LBB88_19
; %bb.18:
	v_add_nc_u32_e32 v12, s2, v12
	s_clause 0x2
	global_load_u16 v20, v12, s[6:7] scale_offset
	global_load_u16 v26, v12, s[8:9] scale_offset
	;; [unrolled: 1-line block ×3, first 2 shown]
.LBB88_19:
	s_wait_xcnt 0x0
	s_or_b32 exec_lo, exec_lo, s3
	s_lshr_b32 s3, s13, 16
                                        ; implicit-def: $vgpr12
	s_and_saveexec_b32 s0, vcc_lo
	s_cbranch_execz .LBB88_21
; %bb.20:
	s_wait_loadcnt 0x2
	v_mul_lo_u16 v4, v4, s13
	s_wait_loadcnt 0x1
	v_mul_lo_u16 v5, v5, s3
	s_wait_loadcnt 0x0
	s_delay_alu instid0(VALU_DEP_1)
	v_mad_u16 v12, v5, v6, v4
.LBB88_21:
	s_or_b32 exec_lo, exec_lo, s0
	s_delay_alu instid0(SALU_CYCLE_1)
	s_mov_b32 s6, exec_lo
                                        ; implicit-def: $vgpr4
	v_cmpx_gt_i32_e64 s1, v2
	s_cbranch_execz .LBB88_23
; %bb.22:
	s_wait_loadcnt 0x2
	v_mul_lo_u16 v3, v3, s13
	s_wait_loadcnt 0x1
	v_mul_lo_u16 v4, v8, s3
	s_wait_loadcnt 0x0
	s_delay_alu instid0(VALU_DEP_1)
	v_mad_u16 v4, v4, v9, v3
.LBB88_23:
	s_or_b32 exec_lo, exec_lo, s6
	s_wait_loadcnt 0x2
	v_or_b32_e32 v3, 0x200, v0
	s_delay_alu instid0(VALU_DEP_1)
	v_cmp_gt_i32_e64 s0, s1, v3
                                        ; implicit-def: $vgpr3
	s_and_saveexec_b32 s6, s0
	s_cbranch_execz .LBB88_25
; %bb.24:
	v_mul_lo_u16 v3, v10, s13
	s_wait_loadcnt 0x1
	v_mul_lo_u16 v5, v11, s3
	s_wait_loadcnt 0x0
	s_delay_alu instid0(VALU_DEP_1)
	v_mad_u16 v3, v5, v13, v3
.LBB88_25:
	s_or_b32 exec_lo, exec_lo, s6
	s_wait_loadcnt 0x1
	v_or_b32_e32 v5, 0x300, v0
	s_delay_alu instid0(VALU_DEP_1)
	v_cmp_gt_i32_e64 s0, s1, v5
                                        ; implicit-def: $vgpr5
	s_and_saveexec_b32 s6, s0
	s_cbranch_execz .LBB88_27
; %bb.26:
	v_mul_lo_u16 v5, v7, s13
	s_wait_loadcnt 0x0
	v_mul_lo_u16 v6, v15, s3
	s_delay_alu instid0(VALU_DEP_1)
	v_mad_u16 v5, v6, v16, v5
.LBB88_27:
	s_or_b32 exec_lo, exec_lo, s6
	s_wait_loadcnt 0x0
	v_or_b32_e32 v6, 0x400, v0
	s_delay_alu instid0(VALU_DEP_1)
	v_cmp_gt_i32_e64 s0, s1, v6
                                        ; implicit-def: $vgpr6
	s_and_saveexec_b32 s6, s0
; %bb.28:
	v_mul_lo_u16 v6, v17, s13
	v_mul_lo_u16 v7, v18, s3
	s_delay_alu instid0(VALU_DEP_1)
	v_mad_u16 v6, v7, v19, v6
; %bb.29:
	s_or_b32 exec_lo, exec_lo, s6
	v_or_b32_e32 v7, 0x500, v0
	s_delay_alu instid0(VALU_DEP_1)
	v_cmp_gt_i32_e64 s0, s1, v7
                                        ; implicit-def: $vgpr7
	s_and_saveexec_b32 s6, s0
; %bb.30:
	v_mul_lo_u16 v7, v14, s13
	v_mul_lo_u16 v8, v21, s3
	s_delay_alu instid0(VALU_DEP_1)
	v_mad_u16 v7, v8, v22, v7
; %bb.31:
	s_or_b32 exec_lo, exec_lo, s6
	v_or_b32_e32 v8, 0x600, v0
	s_delay_alu instid0(VALU_DEP_1)
	v_cmp_gt_i32_e64 s0, s1, v8
                                        ; implicit-def: $vgpr8
	s_and_saveexec_b32 s6, s0
; %bb.32:
	v_mul_lo_u16 v8, v23, s13
	v_mul_lo_u16 v9, v24, s3
	s_delay_alu instid0(VALU_DEP_1)
	v_mad_u16 v8, v9, v25, v8
; %bb.33:
	s_or_b32 exec_lo, exec_lo, s6
	v_or_b32_e32 v9, 0x700, v0
	s_delay_alu instid0(VALU_DEP_1)
	v_cmp_gt_i32_e64 s0, s1, v9
                                        ; implicit-def: $vgpr9
	s_and_saveexec_b32 s6, s0
	s_cbranch_execz .LBB88_44
; %bb.34:
	v_mul_lo_u16 v9, v20, s13
	v_mul_lo_u16 v10, v26, s3
	s_delay_alu instid0(VALU_DEP_1) | instskip(SKIP_2) | instid1(SALU_CYCLE_1)
	v_mad_u16 v9, v10, v27, v9
	s_or_b32 exec_lo, exec_lo, s6
	s_and_saveexec_b32 s0, vcc_lo
	s_xor_b32 s0, exec_lo, s0
	s_cbranch_execnz .LBB88_45
.LBB88_35:
	s_or_b32 exec_lo, exec_lo, s0
	s_delay_alu instid0(SALU_CYCLE_1)
	s_mov_b32 s0, exec_lo
	v_cmpx_gt_i32_e64 s1, v0
	s_cbranch_execz .LBB88_46
.LBB88_36:
	v_add_nc_u32_e32 v1, s2, v0
	v_add_nc_u32_e32 v0, 0x100, v0
	global_store_b16 v1, v4, s[4:5] scale_offset
	s_wait_xcnt 0x0
	s_or_b32 exec_lo, exec_lo, s0
	s_delay_alu instid0(SALU_CYCLE_1)
	s_mov_b32 s0, exec_lo
	v_cmpx_gt_i32_e64 s1, v0
	s_cbranch_execnz .LBB88_47
.LBB88_37:
	s_or_b32 exec_lo, exec_lo, s0
	s_delay_alu instid0(SALU_CYCLE_1)
	s_mov_b32 s0, exec_lo
	v_cmpx_gt_i32_e64 s1, v0
	s_cbranch_execz .LBB88_48
.LBB88_38:
	v_add_nc_u32_e32 v1, s2, v0
	v_add_nc_u32_e32 v0, 0x100, v0
	global_store_b16 v1, v5, s[4:5] scale_offset
	s_wait_xcnt 0x0
	s_or_b32 exec_lo, exec_lo, s0
	s_delay_alu instid0(SALU_CYCLE_1)
	s_mov_b32 s0, exec_lo
	v_cmpx_gt_i32_e64 s1, v0
	s_cbranch_execnz .LBB88_49
.LBB88_39:
	s_or_b32 exec_lo, exec_lo, s0
	s_delay_alu instid0(SALU_CYCLE_1)
	s_mov_b32 s0, exec_lo
	v_cmpx_gt_i32_e64 s1, v0
	s_cbranch_execz .LBB88_50
.LBB88_40:
	v_add_nc_u32_e32 v1, s2, v0
	v_add_nc_u32_e32 v0, 0x100, v0
	global_store_b16 v1, v7, s[4:5] scale_offset
	s_wait_xcnt 0x0
	s_or_b32 exec_lo, exec_lo, s0
	s_delay_alu instid0(SALU_CYCLE_1)
	s_mov_b32 s0, exec_lo
	v_cmpx_gt_i32_e64 s1, v0
	s_cbranch_execnz .LBB88_51
.LBB88_41:
	s_or_b32 exec_lo, exec_lo, s0
	s_delay_alu instid0(SALU_CYCLE_1)
	s_mov_b32 s0, exec_lo
	v_cmpx_gt_i32_e64 s1, v0
	s_cbranch_execz .LBB88_43
.LBB88_42:
	v_add_nc_u32_e32 v0, s2, v0
	global_store_b16 v0, v9, s[4:5] scale_offset
.LBB88_43:
	s_endpgm
.LBB88_44:
	s_or_b32 exec_lo, exec_lo, s6
	s_and_saveexec_b32 s0, vcc_lo
	s_delay_alu instid0(SALU_CYCLE_1)
	s_xor_b32 s0, exec_lo, s0
	s_cbranch_execz .LBB88_35
.LBB88_45:
	v_mov_b32_e32 v0, v2
	global_store_b16 v1, v12, s[4:5] scale_offset
	s_wait_xcnt 0x0
	s_or_b32 exec_lo, exec_lo, s0
	s_delay_alu instid0(SALU_CYCLE_1)
	s_mov_b32 s0, exec_lo
	v_cmpx_gt_i32_e64 s1, v0
	s_cbranch_execnz .LBB88_36
.LBB88_46:
	s_or_b32 exec_lo, exec_lo, s0
	s_delay_alu instid0(SALU_CYCLE_1)
	s_mov_b32 s0, exec_lo
	v_cmpx_gt_i32_e64 s1, v0
	s_cbranch_execz .LBB88_37
.LBB88_47:
	v_add_nc_u32_e32 v1, s2, v0
	v_add_nc_u32_e32 v0, 0x100, v0
	global_store_b16 v1, v3, s[4:5] scale_offset
	s_wait_xcnt 0x0
	s_or_b32 exec_lo, exec_lo, s0
	s_delay_alu instid0(SALU_CYCLE_1)
	s_mov_b32 s0, exec_lo
	v_cmpx_gt_i32_e64 s1, v0
	s_cbranch_execnz .LBB88_38
.LBB88_48:
	s_or_b32 exec_lo, exec_lo, s0
	s_delay_alu instid0(SALU_CYCLE_1)
	s_mov_b32 s0, exec_lo
	v_cmpx_gt_i32_e64 s1, v0
	s_cbranch_execz .LBB88_39
.LBB88_49:
	v_add_nc_u32_e32 v1, s2, v0
	v_add_nc_u32_e32 v0, 0x100, v0
	global_store_b16 v1, v6, s[4:5] scale_offset
	s_wait_xcnt 0x0
	s_or_b32 exec_lo, exec_lo, s0
	s_delay_alu instid0(SALU_CYCLE_1)
	s_mov_b32 s0, exec_lo
	v_cmpx_gt_i32_e64 s1, v0
	s_cbranch_execnz .LBB88_40
.LBB88_50:
	s_or_b32 exec_lo, exec_lo, s0
	s_delay_alu instid0(SALU_CYCLE_1)
	s_mov_b32 s0, exec_lo
	v_cmpx_gt_i32_e64 s1, v0
	s_cbranch_execz .LBB88_41
.LBB88_51:
	v_add_nc_u32_e32 v1, s2, v0
	v_add_nc_u32_e32 v0, 0x100, v0
	global_store_b16 v1, v8, s[4:5] scale_offset
	s_wait_xcnt 0x0
	s_or_b32 exec_lo, exec_lo, s0
	s_delay_alu instid0(SALU_CYCLE_1)
	s_mov_b32 s0, exec_lo
	v_cmpx_gt_i32_e64 s1, v0
	s_cbranch_execnz .LBB88_42
	s_branch .LBB88_43
	.section	.rodata,"a",@progbits
	.p2align	6, 0x0
	.amdhsa_kernel _ZN2at6native29vectorized_elementwise_kernelILi16EZZZNS0_12_GLOBAL__N_116addr_kernel_cudaERNS_14TensorIteratorERKN3c106ScalarES8_ENKUlvE_clEvENKUlvE3_clEvEUlsssE0_St5arrayIPcLm4EEEEviT0_T1_
		.amdhsa_group_segment_fixed_size 0
		.amdhsa_private_segment_fixed_size 0
		.amdhsa_kernarg_size 40
		.amdhsa_user_sgpr_count 2
		.amdhsa_user_sgpr_dispatch_ptr 0
		.amdhsa_user_sgpr_queue_ptr 0
		.amdhsa_user_sgpr_kernarg_segment_ptr 1
		.amdhsa_user_sgpr_dispatch_id 0
		.amdhsa_user_sgpr_kernarg_preload_length 0
		.amdhsa_user_sgpr_kernarg_preload_offset 0
		.amdhsa_user_sgpr_private_segment_size 0
		.amdhsa_wavefront_size32 1
		.amdhsa_uses_dynamic_stack 0
		.amdhsa_enable_private_segment 0
		.amdhsa_system_sgpr_workgroup_id_x 1
		.amdhsa_system_sgpr_workgroup_id_y 0
		.amdhsa_system_sgpr_workgroup_id_z 0
		.amdhsa_system_sgpr_workgroup_info 0
		.amdhsa_system_vgpr_workitem_id 0
		.amdhsa_next_free_vgpr 28
		.amdhsa_next_free_sgpr 20
		.amdhsa_named_barrier_count 0
		.amdhsa_reserve_vcc 1
		.amdhsa_float_round_mode_32 0
		.amdhsa_float_round_mode_16_64 0
		.amdhsa_float_denorm_mode_32 3
		.amdhsa_float_denorm_mode_16_64 3
		.amdhsa_fp16_overflow 0
		.amdhsa_memory_ordered 1
		.amdhsa_forward_progress 1
		.amdhsa_inst_pref_size 17
		.amdhsa_round_robin_scheduling 0
		.amdhsa_exception_fp_ieee_invalid_op 0
		.amdhsa_exception_fp_denorm_src 0
		.amdhsa_exception_fp_ieee_div_zero 0
		.amdhsa_exception_fp_ieee_overflow 0
		.amdhsa_exception_fp_ieee_underflow 0
		.amdhsa_exception_fp_ieee_inexact 0
		.amdhsa_exception_int_div_zero 0
	.end_amdhsa_kernel
	.section	.text._ZN2at6native29vectorized_elementwise_kernelILi16EZZZNS0_12_GLOBAL__N_116addr_kernel_cudaERNS_14TensorIteratorERKN3c106ScalarES8_ENKUlvE_clEvENKUlvE3_clEvEUlsssE0_St5arrayIPcLm4EEEEviT0_T1_,"axG",@progbits,_ZN2at6native29vectorized_elementwise_kernelILi16EZZZNS0_12_GLOBAL__N_116addr_kernel_cudaERNS_14TensorIteratorERKN3c106ScalarES8_ENKUlvE_clEvENKUlvE3_clEvEUlsssE0_St5arrayIPcLm4EEEEviT0_T1_,comdat
.Lfunc_end88:
	.size	_ZN2at6native29vectorized_elementwise_kernelILi16EZZZNS0_12_GLOBAL__N_116addr_kernel_cudaERNS_14TensorIteratorERKN3c106ScalarES8_ENKUlvE_clEvENKUlvE3_clEvEUlsssE0_St5arrayIPcLm4EEEEviT0_T1_, .Lfunc_end88-_ZN2at6native29vectorized_elementwise_kernelILi16EZZZNS0_12_GLOBAL__N_116addr_kernel_cudaERNS_14TensorIteratorERKN3c106ScalarES8_ENKUlvE_clEvENKUlvE3_clEvEUlsssE0_St5arrayIPcLm4EEEEviT0_T1_
                                        ; -- End function
	.set _ZN2at6native29vectorized_elementwise_kernelILi16EZZZNS0_12_GLOBAL__N_116addr_kernel_cudaERNS_14TensorIteratorERKN3c106ScalarES8_ENKUlvE_clEvENKUlvE3_clEvEUlsssE0_St5arrayIPcLm4EEEEviT0_T1_.num_vgpr, 28
	.set _ZN2at6native29vectorized_elementwise_kernelILi16EZZZNS0_12_GLOBAL__N_116addr_kernel_cudaERNS_14TensorIteratorERKN3c106ScalarES8_ENKUlvE_clEvENKUlvE3_clEvEUlsssE0_St5arrayIPcLm4EEEEviT0_T1_.num_agpr, 0
	.set _ZN2at6native29vectorized_elementwise_kernelILi16EZZZNS0_12_GLOBAL__N_116addr_kernel_cudaERNS_14TensorIteratorERKN3c106ScalarES8_ENKUlvE_clEvENKUlvE3_clEvEUlsssE0_St5arrayIPcLm4EEEEviT0_T1_.numbered_sgpr, 20
	.set _ZN2at6native29vectorized_elementwise_kernelILi16EZZZNS0_12_GLOBAL__N_116addr_kernel_cudaERNS_14TensorIteratorERKN3c106ScalarES8_ENKUlvE_clEvENKUlvE3_clEvEUlsssE0_St5arrayIPcLm4EEEEviT0_T1_.num_named_barrier, 0
	.set _ZN2at6native29vectorized_elementwise_kernelILi16EZZZNS0_12_GLOBAL__N_116addr_kernel_cudaERNS_14TensorIteratorERKN3c106ScalarES8_ENKUlvE_clEvENKUlvE3_clEvEUlsssE0_St5arrayIPcLm4EEEEviT0_T1_.private_seg_size, 0
	.set _ZN2at6native29vectorized_elementwise_kernelILi16EZZZNS0_12_GLOBAL__N_116addr_kernel_cudaERNS_14TensorIteratorERKN3c106ScalarES8_ENKUlvE_clEvENKUlvE3_clEvEUlsssE0_St5arrayIPcLm4EEEEviT0_T1_.uses_vcc, 1
	.set _ZN2at6native29vectorized_elementwise_kernelILi16EZZZNS0_12_GLOBAL__N_116addr_kernel_cudaERNS_14TensorIteratorERKN3c106ScalarES8_ENKUlvE_clEvENKUlvE3_clEvEUlsssE0_St5arrayIPcLm4EEEEviT0_T1_.uses_flat_scratch, 0
	.set _ZN2at6native29vectorized_elementwise_kernelILi16EZZZNS0_12_GLOBAL__N_116addr_kernel_cudaERNS_14TensorIteratorERKN3c106ScalarES8_ENKUlvE_clEvENKUlvE3_clEvEUlsssE0_St5arrayIPcLm4EEEEviT0_T1_.has_dyn_sized_stack, 0
	.set _ZN2at6native29vectorized_elementwise_kernelILi16EZZZNS0_12_GLOBAL__N_116addr_kernel_cudaERNS_14TensorIteratorERKN3c106ScalarES8_ENKUlvE_clEvENKUlvE3_clEvEUlsssE0_St5arrayIPcLm4EEEEviT0_T1_.has_recursion, 0
	.set _ZN2at6native29vectorized_elementwise_kernelILi16EZZZNS0_12_GLOBAL__N_116addr_kernel_cudaERNS_14TensorIteratorERKN3c106ScalarES8_ENKUlvE_clEvENKUlvE3_clEvEUlsssE0_St5arrayIPcLm4EEEEviT0_T1_.has_indirect_call, 0
	.section	.AMDGPU.csdata,"",@progbits
; Kernel info:
; codeLenInByte = 2092
; TotalNumSgprs: 22
; NumVgprs: 28
; ScratchSize: 0
; MemoryBound: 0
; FloatMode: 240
; IeeeMode: 1
; LDSByteSize: 0 bytes/workgroup (compile time only)
; SGPRBlocks: 0
; VGPRBlocks: 1
; NumSGPRsForWavesPerEU: 22
; NumVGPRsForWavesPerEU: 28
; NamedBarCnt: 0
; Occupancy: 16
; WaveLimiterHint : 0
; COMPUTE_PGM_RSRC2:SCRATCH_EN: 0
; COMPUTE_PGM_RSRC2:USER_SGPR: 2
; COMPUTE_PGM_RSRC2:TRAP_HANDLER: 0
; COMPUTE_PGM_RSRC2:TGID_X_EN: 1
; COMPUTE_PGM_RSRC2:TGID_Y_EN: 0
; COMPUTE_PGM_RSRC2:TGID_Z_EN: 0
; COMPUTE_PGM_RSRC2:TIDIG_COMP_CNT: 0
	.section	.text._ZN2at6native29vectorized_elementwise_kernelILi8EZZZNS0_12_GLOBAL__N_116addr_kernel_cudaERNS_14TensorIteratorERKN3c106ScalarES8_ENKUlvE_clEvENKUlvE3_clEvEUlsssE0_St5arrayIPcLm4EEEEviT0_T1_,"axG",@progbits,_ZN2at6native29vectorized_elementwise_kernelILi8EZZZNS0_12_GLOBAL__N_116addr_kernel_cudaERNS_14TensorIteratorERKN3c106ScalarES8_ENKUlvE_clEvENKUlvE3_clEvEUlsssE0_St5arrayIPcLm4EEEEviT0_T1_,comdat
	.globl	_ZN2at6native29vectorized_elementwise_kernelILi8EZZZNS0_12_GLOBAL__N_116addr_kernel_cudaERNS_14TensorIteratorERKN3c106ScalarES8_ENKUlvE_clEvENKUlvE3_clEvEUlsssE0_St5arrayIPcLm4EEEEviT0_T1_ ; -- Begin function _ZN2at6native29vectorized_elementwise_kernelILi8EZZZNS0_12_GLOBAL__N_116addr_kernel_cudaERNS_14TensorIteratorERKN3c106ScalarES8_ENKUlvE_clEvENKUlvE3_clEvEUlsssE0_St5arrayIPcLm4EEEEviT0_T1_
	.p2align	8
	.type	_ZN2at6native29vectorized_elementwise_kernelILi8EZZZNS0_12_GLOBAL__N_116addr_kernel_cudaERNS_14TensorIteratorERKN3c106ScalarES8_ENKUlvE_clEvENKUlvE3_clEvEUlsssE0_St5arrayIPcLm4EEEEviT0_T1_,@function
_ZN2at6native29vectorized_elementwise_kernelILi8EZZZNS0_12_GLOBAL__N_116addr_kernel_cudaERNS_14TensorIteratorERKN3c106ScalarES8_ENKUlvE_clEvENKUlvE3_clEvEUlsssE0_St5arrayIPcLm4EEEEviT0_T1_: ; @_ZN2at6native29vectorized_elementwise_kernelILi8EZZZNS0_12_GLOBAL__N_116addr_kernel_cudaERNS_14TensorIteratorERKN3c106ScalarES8_ENKUlvE_clEvENKUlvE3_clEvEUlsssE0_St5arrayIPcLm4EEEEviT0_T1_
; %bb.0:
	s_clause 0x1
	s_load_b64 s[12:13], s[0:1], 0x0
	s_load_b256 s[4:11], s[0:1], 0x8
	s_wait_xcnt 0x0
	s_bfe_u32 s0, ttmp6, 0x4000c
	s_and_b32 s1, ttmp6, 15
	s_add_co_i32 s0, s0, 1
	s_getreg_b32 s2, hwreg(HW_REG_IB_STS2, 6, 4)
	s_mul_i32 s0, ttmp9, s0
	s_delay_alu instid0(SALU_CYCLE_1) | instskip(SKIP_2) | instid1(SALU_CYCLE_1)
	s_add_co_i32 s1, s1, s0
	s_cmp_eq_u32 s2, 0
	s_cselect_b32 s0, ttmp9, s1
	s_lshl_b32 s2, s0, 11
	s_mov_b32 s0, -1
	s_wait_kmcnt 0x0
	s_sub_co_i32 s1, s12, s2
	s_delay_alu instid0(SALU_CYCLE_1)
	s_cmp_gt_i32 s1, 0x7ff
	s_cbranch_scc0 .LBB89_2
; %bb.1:
	s_ashr_i32 s3, s2, 31
	s_mov_b32 s0, 0
	s_lshl_b64 s[14:15], s[2:3], 1
	s_delay_alu instid0(SALU_CYCLE_1)
	s_add_nc_u64 s[16:17], s[6:7], s[14:15]
	s_add_nc_u64 s[18:19], s[8:9], s[14:15]
	s_clause 0x1
	global_load_b128 v[2:5], v0, s[16:17] scale_offset
	global_load_b128 v[6:9], v0, s[18:19] scale_offset
	s_wait_xcnt 0x1
	s_add_nc_u64 s[16:17], s[10:11], s[14:15]
	s_add_nc_u64 s[14:15], s[4:5], s[14:15]
	global_load_b128 v[10:13], v0, s[16:17] scale_offset
	s_wait_loadcnt 0x2
	v_pk_mul_lo_u16 v1, v2, s13 op_sel_hi:[1,0]
	v_pk_mul_lo_u16 v2, v3, s13 op_sel_hi:[1,0]
	s_wait_loadcnt 0x1
	v_pk_mul_lo_u16 v6, v6, s13 op_sel:[0,1]
	v_pk_mul_lo_u16 v3, v7, s13 op_sel:[0,1]
	v_pk_mul_lo_u16 v4, v4, s13 op_sel_hi:[1,0]
	v_pk_mul_lo_u16 v5, v5, s13 op_sel_hi:[1,0]
	v_pk_mul_lo_u16 v7, v9, s13 op_sel:[0,1]
	v_pk_mul_lo_u16 v8, v8, s13 op_sel:[0,1]
	s_wait_loadcnt 0x0
	v_pk_mad_u16 v3, v3, v11, v2
	v_pk_mad_u16 v2, v6, v10, v1
	v_pk_mad_u16 v5, v7, v13, v5
	v_pk_mad_u16 v4, v8, v12, v4
	global_store_b128 v0, v[2:5], s[14:15] scale_offset
.LBB89_2:
	s_and_not1_b32 vcc_lo, exec_lo, s0
	s_cbranch_vccnz .LBB89_43
; %bb.3:
	v_cmp_gt_i32_e32 vcc_lo, s1, v0
	s_wait_xcnt 0x0
	v_dual_mov_b32 v3, 0 :: v_dual_bitop2_b32 v1, s2, v0 bitop3:0x54
	v_or_b32_e32 v2, 0x100, v0
	v_dual_mov_b32 v4, 0 :: v_dual_mov_b32 v5, 0
	v_dual_mov_b32 v6, 0 :: v_dual_mov_b32 v12, v0
	s_and_saveexec_b32 s0, vcc_lo
	s_cbranch_execz .LBB89_5
; %bb.4:
	s_clause 0x2
	global_load_u16 v4, v1, s[6:7] scale_offset
	global_load_u16 v5, v1, s[8:9] scale_offset
	;; [unrolled: 1-line block ×3, first 2 shown]
	v_or_b32_e32 v12, 0x100, v0
.LBB89_5:
	s_wait_xcnt 0x0
	s_or_b32 exec_lo, exec_lo, s0
	v_dual_mov_b32 v8, 0 :: v_dual_mov_b32 v9, 0
	s_mov_b32 s3, exec_lo
	v_cmpx_gt_i32_e64 s1, v12
	s_cbranch_execz .LBB89_7
; %bb.6:
	v_add_nc_u32_e32 v7, s2, v12
	v_add_nc_u32_e32 v12, 0x100, v12
	s_clause 0x2
	global_load_u16 v3, v7, s[6:7] scale_offset
	global_load_u16 v8, v7, s[8:9] scale_offset
	global_load_u16 v9, v7, s[10:11] scale_offset
.LBB89_7:
	s_wait_xcnt 0x0
	s_or_b32 exec_lo, exec_lo, s3
	v_dual_mov_b32 v7, 0 :: v_dual_mov_b32 v10, 0
	v_dual_mov_b32 v11, 0 :: v_dual_mov_b32 v13, 0
	s_mov_b32 s3, exec_lo
	v_cmpx_gt_i32_e64 s1, v12
	s_cbranch_execz .LBB89_9
; %bb.8:
	v_add_nc_u32_e32 v14, s2, v12
	v_add_nc_u32_e32 v12, 0x100, v12
	s_clause 0x2
	global_load_u16 v10, v14, s[6:7] scale_offset
	global_load_u16 v11, v14, s[8:9] scale_offset
	global_load_u16 v13, v14, s[10:11] scale_offset
.LBB89_9:
	s_wait_xcnt 0x0
	s_or_b32 exec_lo, exec_lo, s3
	v_dual_mov_b32 v15, 0 :: v_dual_mov_b32 v16, 0
	s_mov_b32 s3, exec_lo
	v_cmpx_gt_i32_e64 s1, v12
	s_cbranch_execz .LBB89_11
; %bb.10:
	v_add_nc_u32_e32 v14, s2, v12
	v_add_nc_u32_e32 v12, 0x100, v12
	s_clause 0x2
	global_load_u16 v7, v14, s[6:7] scale_offset
	global_load_u16 v15, v14, s[8:9] scale_offset
	global_load_u16 v16, v14, s[10:11] scale_offset
.LBB89_11:
	s_wait_xcnt 0x0
	s_or_b32 exec_lo, exec_lo, s3
	v_dual_mov_b32 v14, 0 :: v_dual_mov_b32 v17, 0
	v_dual_mov_b32 v18, 0 :: v_dual_mov_b32 v19, 0
	s_mov_b32 s3, exec_lo
	v_cmpx_gt_i32_e64 s1, v12
	s_cbranch_execz .LBB89_13
; %bb.12:
	v_add_nc_u32_e32 v20, s2, v12
	v_add_nc_u32_e32 v12, 0x100, v12
	s_clause 0x2
	global_load_u16 v17, v20, s[6:7] scale_offset
	global_load_u16 v18, v20, s[8:9] scale_offset
	global_load_u16 v19, v20, s[10:11] scale_offset
.LBB89_13:
	;; [unrolled: 29-line block ×3, first 2 shown]
	s_wait_xcnt 0x0
	s_or_b32 exec_lo, exec_lo, s3
	v_dual_mov_b32 v26, 0 :: v_dual_mov_b32 v27, 0
	s_mov_b32 s3, exec_lo
	v_cmpx_gt_i32_e64 s1, v12
	s_cbranch_execz .LBB89_19
; %bb.18:
	v_add_nc_u32_e32 v12, s2, v12
	s_clause 0x2
	global_load_u16 v20, v12, s[6:7] scale_offset
	global_load_u16 v26, v12, s[8:9] scale_offset
	;; [unrolled: 1-line block ×3, first 2 shown]
.LBB89_19:
	s_wait_xcnt 0x0
	s_or_b32 exec_lo, exec_lo, s3
	s_lshr_b32 s3, s13, 16
                                        ; implicit-def: $vgpr12
	s_and_saveexec_b32 s0, vcc_lo
	s_cbranch_execz .LBB89_21
; %bb.20:
	s_wait_loadcnt 0x2
	v_mul_lo_u16 v4, v4, s13
	s_wait_loadcnt 0x1
	v_mul_lo_u16 v5, v5, s3
	s_wait_loadcnt 0x0
	s_delay_alu instid0(VALU_DEP_1)
	v_mad_u16 v12, v5, v6, v4
.LBB89_21:
	s_or_b32 exec_lo, exec_lo, s0
	s_delay_alu instid0(SALU_CYCLE_1)
	s_mov_b32 s6, exec_lo
                                        ; implicit-def: $vgpr4
	v_cmpx_gt_i32_e64 s1, v2
	s_cbranch_execz .LBB89_23
; %bb.22:
	s_wait_loadcnt 0x2
	v_mul_lo_u16 v3, v3, s13
	s_wait_loadcnt 0x1
	v_mul_lo_u16 v4, v8, s3
	s_wait_loadcnt 0x0
	s_delay_alu instid0(VALU_DEP_1)
	v_mad_u16 v4, v4, v9, v3
.LBB89_23:
	s_or_b32 exec_lo, exec_lo, s6
	s_wait_loadcnt 0x2
	v_or_b32_e32 v3, 0x200, v0
	s_delay_alu instid0(VALU_DEP_1)
	v_cmp_gt_i32_e64 s0, s1, v3
                                        ; implicit-def: $vgpr3
	s_and_saveexec_b32 s6, s0
	s_cbranch_execz .LBB89_25
; %bb.24:
	v_mul_lo_u16 v3, v10, s13
	s_wait_loadcnt 0x1
	v_mul_lo_u16 v5, v11, s3
	s_wait_loadcnt 0x0
	s_delay_alu instid0(VALU_DEP_1)
	v_mad_u16 v3, v5, v13, v3
.LBB89_25:
	s_or_b32 exec_lo, exec_lo, s6
	s_wait_loadcnt 0x1
	v_or_b32_e32 v5, 0x300, v0
	s_delay_alu instid0(VALU_DEP_1)
	v_cmp_gt_i32_e64 s0, s1, v5
                                        ; implicit-def: $vgpr5
	s_and_saveexec_b32 s6, s0
	s_cbranch_execz .LBB89_27
; %bb.26:
	v_mul_lo_u16 v5, v7, s13
	s_wait_loadcnt 0x0
	v_mul_lo_u16 v6, v15, s3
	s_delay_alu instid0(VALU_DEP_1)
	v_mad_u16 v5, v6, v16, v5
.LBB89_27:
	s_or_b32 exec_lo, exec_lo, s6
	s_wait_loadcnt 0x0
	v_or_b32_e32 v6, 0x400, v0
	s_delay_alu instid0(VALU_DEP_1)
	v_cmp_gt_i32_e64 s0, s1, v6
                                        ; implicit-def: $vgpr6
	s_and_saveexec_b32 s6, s0
; %bb.28:
	v_mul_lo_u16 v6, v17, s13
	v_mul_lo_u16 v7, v18, s3
	s_delay_alu instid0(VALU_DEP_1)
	v_mad_u16 v6, v7, v19, v6
; %bb.29:
	s_or_b32 exec_lo, exec_lo, s6
	v_or_b32_e32 v7, 0x500, v0
	s_delay_alu instid0(VALU_DEP_1)
	v_cmp_gt_i32_e64 s0, s1, v7
                                        ; implicit-def: $vgpr7
	s_and_saveexec_b32 s6, s0
; %bb.30:
	v_mul_lo_u16 v7, v14, s13
	v_mul_lo_u16 v8, v21, s3
	s_delay_alu instid0(VALU_DEP_1)
	v_mad_u16 v7, v8, v22, v7
; %bb.31:
	s_or_b32 exec_lo, exec_lo, s6
	v_or_b32_e32 v8, 0x600, v0
	s_delay_alu instid0(VALU_DEP_1)
	v_cmp_gt_i32_e64 s0, s1, v8
                                        ; implicit-def: $vgpr8
	s_and_saveexec_b32 s6, s0
; %bb.32:
	v_mul_lo_u16 v8, v23, s13
	v_mul_lo_u16 v9, v24, s3
	s_delay_alu instid0(VALU_DEP_1)
	v_mad_u16 v8, v9, v25, v8
; %bb.33:
	s_or_b32 exec_lo, exec_lo, s6
	v_or_b32_e32 v9, 0x700, v0
	s_delay_alu instid0(VALU_DEP_1)
	v_cmp_gt_i32_e64 s0, s1, v9
                                        ; implicit-def: $vgpr9
	s_and_saveexec_b32 s6, s0
	s_cbranch_execz .LBB89_44
; %bb.34:
	v_mul_lo_u16 v9, v20, s13
	v_mul_lo_u16 v10, v26, s3
	s_delay_alu instid0(VALU_DEP_1) | instskip(SKIP_2) | instid1(SALU_CYCLE_1)
	v_mad_u16 v9, v10, v27, v9
	s_or_b32 exec_lo, exec_lo, s6
	s_and_saveexec_b32 s0, vcc_lo
	s_xor_b32 s0, exec_lo, s0
	s_cbranch_execnz .LBB89_45
.LBB89_35:
	s_or_b32 exec_lo, exec_lo, s0
	s_delay_alu instid0(SALU_CYCLE_1)
	s_mov_b32 s0, exec_lo
	v_cmpx_gt_i32_e64 s1, v0
	s_cbranch_execz .LBB89_46
.LBB89_36:
	v_add_nc_u32_e32 v1, s2, v0
	v_add_nc_u32_e32 v0, 0x100, v0
	global_store_b16 v1, v4, s[4:5] scale_offset
	s_wait_xcnt 0x0
	s_or_b32 exec_lo, exec_lo, s0
	s_delay_alu instid0(SALU_CYCLE_1)
	s_mov_b32 s0, exec_lo
	v_cmpx_gt_i32_e64 s1, v0
	s_cbranch_execnz .LBB89_47
.LBB89_37:
	s_or_b32 exec_lo, exec_lo, s0
	s_delay_alu instid0(SALU_CYCLE_1)
	s_mov_b32 s0, exec_lo
	v_cmpx_gt_i32_e64 s1, v0
	s_cbranch_execz .LBB89_48
.LBB89_38:
	v_add_nc_u32_e32 v1, s2, v0
	v_add_nc_u32_e32 v0, 0x100, v0
	global_store_b16 v1, v5, s[4:5] scale_offset
	s_wait_xcnt 0x0
	s_or_b32 exec_lo, exec_lo, s0
	s_delay_alu instid0(SALU_CYCLE_1)
	s_mov_b32 s0, exec_lo
	v_cmpx_gt_i32_e64 s1, v0
	s_cbranch_execnz .LBB89_49
.LBB89_39:
	s_or_b32 exec_lo, exec_lo, s0
	s_delay_alu instid0(SALU_CYCLE_1)
	s_mov_b32 s0, exec_lo
	v_cmpx_gt_i32_e64 s1, v0
	s_cbranch_execz .LBB89_50
.LBB89_40:
	v_add_nc_u32_e32 v1, s2, v0
	v_add_nc_u32_e32 v0, 0x100, v0
	global_store_b16 v1, v7, s[4:5] scale_offset
	s_wait_xcnt 0x0
	s_or_b32 exec_lo, exec_lo, s0
	s_delay_alu instid0(SALU_CYCLE_1)
	s_mov_b32 s0, exec_lo
	v_cmpx_gt_i32_e64 s1, v0
	s_cbranch_execnz .LBB89_51
.LBB89_41:
	s_or_b32 exec_lo, exec_lo, s0
	s_delay_alu instid0(SALU_CYCLE_1)
	s_mov_b32 s0, exec_lo
	v_cmpx_gt_i32_e64 s1, v0
	s_cbranch_execz .LBB89_43
.LBB89_42:
	v_add_nc_u32_e32 v0, s2, v0
	global_store_b16 v0, v9, s[4:5] scale_offset
.LBB89_43:
	s_endpgm
.LBB89_44:
	s_or_b32 exec_lo, exec_lo, s6
	s_and_saveexec_b32 s0, vcc_lo
	s_delay_alu instid0(SALU_CYCLE_1)
	s_xor_b32 s0, exec_lo, s0
	s_cbranch_execz .LBB89_35
.LBB89_45:
	v_mov_b32_e32 v0, v2
	global_store_b16 v1, v12, s[4:5] scale_offset
	s_wait_xcnt 0x0
	s_or_b32 exec_lo, exec_lo, s0
	s_delay_alu instid0(SALU_CYCLE_1)
	s_mov_b32 s0, exec_lo
	v_cmpx_gt_i32_e64 s1, v0
	s_cbranch_execnz .LBB89_36
.LBB89_46:
	s_or_b32 exec_lo, exec_lo, s0
	s_delay_alu instid0(SALU_CYCLE_1)
	s_mov_b32 s0, exec_lo
	v_cmpx_gt_i32_e64 s1, v0
	s_cbranch_execz .LBB89_37
.LBB89_47:
	v_add_nc_u32_e32 v1, s2, v0
	v_add_nc_u32_e32 v0, 0x100, v0
	global_store_b16 v1, v3, s[4:5] scale_offset
	s_wait_xcnt 0x0
	s_or_b32 exec_lo, exec_lo, s0
	s_delay_alu instid0(SALU_CYCLE_1)
	s_mov_b32 s0, exec_lo
	v_cmpx_gt_i32_e64 s1, v0
	s_cbranch_execnz .LBB89_38
.LBB89_48:
	s_or_b32 exec_lo, exec_lo, s0
	s_delay_alu instid0(SALU_CYCLE_1)
	s_mov_b32 s0, exec_lo
	v_cmpx_gt_i32_e64 s1, v0
	s_cbranch_execz .LBB89_39
.LBB89_49:
	v_add_nc_u32_e32 v1, s2, v0
	v_add_nc_u32_e32 v0, 0x100, v0
	global_store_b16 v1, v6, s[4:5] scale_offset
	s_wait_xcnt 0x0
	s_or_b32 exec_lo, exec_lo, s0
	s_delay_alu instid0(SALU_CYCLE_1)
	s_mov_b32 s0, exec_lo
	v_cmpx_gt_i32_e64 s1, v0
	s_cbranch_execnz .LBB89_40
.LBB89_50:
	s_or_b32 exec_lo, exec_lo, s0
	s_delay_alu instid0(SALU_CYCLE_1)
	s_mov_b32 s0, exec_lo
	v_cmpx_gt_i32_e64 s1, v0
	s_cbranch_execz .LBB89_41
.LBB89_51:
	v_add_nc_u32_e32 v1, s2, v0
	v_add_nc_u32_e32 v0, 0x100, v0
	global_store_b16 v1, v8, s[4:5] scale_offset
	s_wait_xcnt 0x0
	s_or_b32 exec_lo, exec_lo, s0
	s_delay_alu instid0(SALU_CYCLE_1)
	s_mov_b32 s0, exec_lo
	v_cmpx_gt_i32_e64 s1, v0
	s_cbranch_execnz .LBB89_42
	s_branch .LBB89_43
	.section	.rodata,"a",@progbits
	.p2align	6, 0x0
	.amdhsa_kernel _ZN2at6native29vectorized_elementwise_kernelILi8EZZZNS0_12_GLOBAL__N_116addr_kernel_cudaERNS_14TensorIteratorERKN3c106ScalarES8_ENKUlvE_clEvENKUlvE3_clEvEUlsssE0_St5arrayIPcLm4EEEEviT0_T1_
		.amdhsa_group_segment_fixed_size 0
		.amdhsa_private_segment_fixed_size 0
		.amdhsa_kernarg_size 40
		.amdhsa_user_sgpr_count 2
		.amdhsa_user_sgpr_dispatch_ptr 0
		.amdhsa_user_sgpr_queue_ptr 0
		.amdhsa_user_sgpr_kernarg_segment_ptr 1
		.amdhsa_user_sgpr_dispatch_id 0
		.amdhsa_user_sgpr_kernarg_preload_length 0
		.amdhsa_user_sgpr_kernarg_preload_offset 0
		.amdhsa_user_sgpr_private_segment_size 0
		.amdhsa_wavefront_size32 1
		.amdhsa_uses_dynamic_stack 0
		.amdhsa_enable_private_segment 0
		.amdhsa_system_sgpr_workgroup_id_x 1
		.amdhsa_system_sgpr_workgroup_id_y 0
		.amdhsa_system_sgpr_workgroup_id_z 0
		.amdhsa_system_sgpr_workgroup_info 0
		.amdhsa_system_vgpr_workitem_id 0
		.amdhsa_next_free_vgpr 28
		.amdhsa_next_free_sgpr 20
		.amdhsa_named_barrier_count 0
		.amdhsa_reserve_vcc 1
		.amdhsa_float_round_mode_32 0
		.amdhsa_float_round_mode_16_64 0
		.amdhsa_float_denorm_mode_32 3
		.amdhsa_float_denorm_mode_16_64 3
		.amdhsa_fp16_overflow 0
		.amdhsa_memory_ordered 1
		.amdhsa_forward_progress 1
		.amdhsa_inst_pref_size 17
		.amdhsa_round_robin_scheduling 0
		.amdhsa_exception_fp_ieee_invalid_op 0
		.amdhsa_exception_fp_denorm_src 0
		.amdhsa_exception_fp_ieee_div_zero 0
		.amdhsa_exception_fp_ieee_overflow 0
		.amdhsa_exception_fp_ieee_underflow 0
		.amdhsa_exception_fp_ieee_inexact 0
		.amdhsa_exception_int_div_zero 0
	.end_amdhsa_kernel
	.section	.text._ZN2at6native29vectorized_elementwise_kernelILi8EZZZNS0_12_GLOBAL__N_116addr_kernel_cudaERNS_14TensorIteratorERKN3c106ScalarES8_ENKUlvE_clEvENKUlvE3_clEvEUlsssE0_St5arrayIPcLm4EEEEviT0_T1_,"axG",@progbits,_ZN2at6native29vectorized_elementwise_kernelILi8EZZZNS0_12_GLOBAL__N_116addr_kernel_cudaERNS_14TensorIteratorERKN3c106ScalarES8_ENKUlvE_clEvENKUlvE3_clEvEUlsssE0_St5arrayIPcLm4EEEEviT0_T1_,comdat
.Lfunc_end89:
	.size	_ZN2at6native29vectorized_elementwise_kernelILi8EZZZNS0_12_GLOBAL__N_116addr_kernel_cudaERNS_14TensorIteratorERKN3c106ScalarES8_ENKUlvE_clEvENKUlvE3_clEvEUlsssE0_St5arrayIPcLm4EEEEviT0_T1_, .Lfunc_end89-_ZN2at6native29vectorized_elementwise_kernelILi8EZZZNS0_12_GLOBAL__N_116addr_kernel_cudaERNS_14TensorIteratorERKN3c106ScalarES8_ENKUlvE_clEvENKUlvE3_clEvEUlsssE0_St5arrayIPcLm4EEEEviT0_T1_
                                        ; -- End function
	.set _ZN2at6native29vectorized_elementwise_kernelILi8EZZZNS0_12_GLOBAL__N_116addr_kernel_cudaERNS_14TensorIteratorERKN3c106ScalarES8_ENKUlvE_clEvENKUlvE3_clEvEUlsssE0_St5arrayIPcLm4EEEEviT0_T1_.num_vgpr, 28
	.set _ZN2at6native29vectorized_elementwise_kernelILi8EZZZNS0_12_GLOBAL__N_116addr_kernel_cudaERNS_14TensorIteratorERKN3c106ScalarES8_ENKUlvE_clEvENKUlvE3_clEvEUlsssE0_St5arrayIPcLm4EEEEviT0_T1_.num_agpr, 0
	.set _ZN2at6native29vectorized_elementwise_kernelILi8EZZZNS0_12_GLOBAL__N_116addr_kernel_cudaERNS_14TensorIteratorERKN3c106ScalarES8_ENKUlvE_clEvENKUlvE3_clEvEUlsssE0_St5arrayIPcLm4EEEEviT0_T1_.numbered_sgpr, 20
	.set _ZN2at6native29vectorized_elementwise_kernelILi8EZZZNS0_12_GLOBAL__N_116addr_kernel_cudaERNS_14TensorIteratorERKN3c106ScalarES8_ENKUlvE_clEvENKUlvE3_clEvEUlsssE0_St5arrayIPcLm4EEEEviT0_T1_.num_named_barrier, 0
	.set _ZN2at6native29vectorized_elementwise_kernelILi8EZZZNS0_12_GLOBAL__N_116addr_kernel_cudaERNS_14TensorIteratorERKN3c106ScalarES8_ENKUlvE_clEvENKUlvE3_clEvEUlsssE0_St5arrayIPcLm4EEEEviT0_T1_.private_seg_size, 0
	.set _ZN2at6native29vectorized_elementwise_kernelILi8EZZZNS0_12_GLOBAL__N_116addr_kernel_cudaERNS_14TensorIteratorERKN3c106ScalarES8_ENKUlvE_clEvENKUlvE3_clEvEUlsssE0_St5arrayIPcLm4EEEEviT0_T1_.uses_vcc, 1
	.set _ZN2at6native29vectorized_elementwise_kernelILi8EZZZNS0_12_GLOBAL__N_116addr_kernel_cudaERNS_14TensorIteratorERKN3c106ScalarES8_ENKUlvE_clEvENKUlvE3_clEvEUlsssE0_St5arrayIPcLm4EEEEviT0_T1_.uses_flat_scratch, 0
	.set _ZN2at6native29vectorized_elementwise_kernelILi8EZZZNS0_12_GLOBAL__N_116addr_kernel_cudaERNS_14TensorIteratorERKN3c106ScalarES8_ENKUlvE_clEvENKUlvE3_clEvEUlsssE0_St5arrayIPcLm4EEEEviT0_T1_.has_dyn_sized_stack, 0
	.set _ZN2at6native29vectorized_elementwise_kernelILi8EZZZNS0_12_GLOBAL__N_116addr_kernel_cudaERNS_14TensorIteratorERKN3c106ScalarES8_ENKUlvE_clEvENKUlvE3_clEvEUlsssE0_St5arrayIPcLm4EEEEviT0_T1_.has_recursion, 0
	.set _ZN2at6native29vectorized_elementwise_kernelILi8EZZZNS0_12_GLOBAL__N_116addr_kernel_cudaERNS_14TensorIteratorERKN3c106ScalarES8_ENKUlvE_clEvENKUlvE3_clEvEUlsssE0_St5arrayIPcLm4EEEEviT0_T1_.has_indirect_call, 0
	.section	.AMDGPU.csdata,"",@progbits
; Kernel info:
; codeLenInByte = 2092
; TotalNumSgprs: 22
; NumVgprs: 28
; ScratchSize: 0
; MemoryBound: 0
; FloatMode: 240
; IeeeMode: 1
; LDSByteSize: 0 bytes/workgroup (compile time only)
; SGPRBlocks: 0
; VGPRBlocks: 1
; NumSGPRsForWavesPerEU: 22
; NumVGPRsForWavesPerEU: 28
; NamedBarCnt: 0
; Occupancy: 16
; WaveLimiterHint : 0
; COMPUTE_PGM_RSRC2:SCRATCH_EN: 0
; COMPUTE_PGM_RSRC2:USER_SGPR: 2
; COMPUTE_PGM_RSRC2:TRAP_HANDLER: 0
; COMPUTE_PGM_RSRC2:TGID_X_EN: 1
; COMPUTE_PGM_RSRC2:TGID_Y_EN: 0
; COMPUTE_PGM_RSRC2:TGID_Z_EN: 0
; COMPUTE_PGM_RSRC2:TIDIG_COMP_CNT: 0
	.section	.text._ZN2at6native29vectorized_elementwise_kernelILi4EZZZNS0_12_GLOBAL__N_116addr_kernel_cudaERNS_14TensorIteratorERKN3c106ScalarES8_ENKUlvE_clEvENKUlvE3_clEvEUlsssE0_St5arrayIPcLm4EEEEviT0_T1_,"axG",@progbits,_ZN2at6native29vectorized_elementwise_kernelILi4EZZZNS0_12_GLOBAL__N_116addr_kernel_cudaERNS_14TensorIteratorERKN3c106ScalarES8_ENKUlvE_clEvENKUlvE3_clEvEUlsssE0_St5arrayIPcLm4EEEEviT0_T1_,comdat
	.globl	_ZN2at6native29vectorized_elementwise_kernelILi4EZZZNS0_12_GLOBAL__N_116addr_kernel_cudaERNS_14TensorIteratorERKN3c106ScalarES8_ENKUlvE_clEvENKUlvE3_clEvEUlsssE0_St5arrayIPcLm4EEEEviT0_T1_ ; -- Begin function _ZN2at6native29vectorized_elementwise_kernelILi4EZZZNS0_12_GLOBAL__N_116addr_kernel_cudaERNS_14TensorIteratorERKN3c106ScalarES8_ENKUlvE_clEvENKUlvE3_clEvEUlsssE0_St5arrayIPcLm4EEEEviT0_T1_
	.p2align	8
	.type	_ZN2at6native29vectorized_elementwise_kernelILi4EZZZNS0_12_GLOBAL__N_116addr_kernel_cudaERNS_14TensorIteratorERKN3c106ScalarES8_ENKUlvE_clEvENKUlvE3_clEvEUlsssE0_St5arrayIPcLm4EEEEviT0_T1_,@function
_ZN2at6native29vectorized_elementwise_kernelILi4EZZZNS0_12_GLOBAL__N_116addr_kernel_cudaERNS_14TensorIteratorERKN3c106ScalarES8_ENKUlvE_clEvENKUlvE3_clEvEUlsssE0_St5arrayIPcLm4EEEEviT0_T1_: ; @_ZN2at6native29vectorized_elementwise_kernelILi4EZZZNS0_12_GLOBAL__N_116addr_kernel_cudaERNS_14TensorIteratorERKN3c106ScalarES8_ENKUlvE_clEvENKUlvE3_clEvEUlsssE0_St5arrayIPcLm4EEEEviT0_T1_
; %bb.0:
	s_clause 0x1
	s_load_b64 s[12:13], s[0:1], 0x0
	s_load_b256 s[4:11], s[0:1], 0x8
	s_wait_xcnt 0x0
	s_bfe_u32 s0, ttmp6, 0x4000c
	s_and_b32 s1, ttmp6, 15
	s_add_co_i32 s0, s0, 1
	s_getreg_b32 s2, hwreg(HW_REG_IB_STS2, 6, 4)
	s_mul_i32 s0, ttmp9, s0
	s_delay_alu instid0(SALU_CYCLE_1) | instskip(SKIP_2) | instid1(SALU_CYCLE_1)
	s_add_co_i32 s1, s1, s0
	s_cmp_eq_u32 s2, 0
	s_cselect_b32 s0, ttmp9, s1
	s_lshl_b32 s2, s0, 11
	s_mov_b32 s0, -1
	s_wait_kmcnt 0x0
	s_sub_co_i32 s1, s12, s2
	s_delay_alu instid0(SALU_CYCLE_1)
	s_cmp_gt_i32 s1, 0x7ff
	s_cbranch_scc0 .LBB90_2
; %bb.1:
	s_ashr_i32 s3, s2, 31
	s_lshr_b32 s0, s13, 16
	s_lshl_b64 s[14:15], s[2:3], 1
	s_delay_alu instid0(SALU_CYCLE_1)
	s_add_nc_u64 s[16:17], s[6:7], s[14:15]
	s_add_nc_u64 s[18:19], s[8:9], s[14:15]
	s_clause 0x2
	global_load_b64 v[2:3], v0, s[16:17] scale_offset
	global_load_b64 v[4:5], v0, s[16:17] offset:2048 scale_offset
	global_load_b64 v[6:7], v0, s[18:19] scale_offset
	s_wait_xcnt 0x1
	s_add_nc_u64 s[16:17], s[10:11], s[14:15]
	s_clause 0x2
	global_load_b64 v[8:9], v0, s[18:19] offset:2048 scale_offset
	global_load_b64 v[10:11], v0, s[16:17] scale_offset
	global_load_b64 v[12:13], v0, s[16:17] offset:2048 scale_offset
	s_add_nc_u64 s[14:15], s[4:5], s[14:15]
	s_wait_loadcnt 0x4
	v_dual_lshrrev_b32 v15, 16, v4 :: v_dual_lshrrev_b32 v16, 16, v5
	v_dual_lshrrev_b32 v1, 16, v2 :: v_dual_lshrrev_b32 v14, 16, v3
	s_wait_loadcnt 0x3
	v_dual_lshrrev_b32 v17, 16, v6 :: v_dual_lshrrev_b32 v18, 16, v7
	v_mul_lo_u16 v2, v2, s13
	v_mul_lo_u16 v6, v6, s0
	s_wait_loadcnt 0x2
	v_dual_lshrrev_b32 v19, 16, v8 :: v_dual_lshrrev_b32 v20, 16, v9
	v_mul_lo_u16 v3, v3, s13
	v_mul_lo_u16 v7, v7, s0
	;; [unrolled: 1-line block ×4, first 2 shown]
	s_wait_loadcnt 0x1
	v_dual_lshrrev_b32 v21, 16, v10 :: v_dual_lshrrev_b32 v22, 16, v11
	v_mad_u16 v2, v6, v10, v2
	v_mul_lo_u16 v1, v1, s13
	v_mul_lo_u16 v6, v17, s0
	s_wait_loadcnt 0x0
	v_dual_lshrrev_b32 v23, 16, v12 :: v_dual_lshrrev_b32 v24, 16, v13
	v_mul_lo_u16 v5, v5, s13
	v_mul_lo_u16 v9, v9, s0
	v_mad_u16 v3, v7, v11, v3
	v_mad_u16 v4, v8, v12, v4
	v_mul_lo_u16 v8, v15, s13
	v_mul_lo_u16 v11, v19, s0
	;; [unrolled: 1-line block ×4, first 2 shown]
	v_mad_u16 v1, v6, v21, v1
	v_mad_u16 v5, v9, v13, v5
	v_mul_lo_u16 v9, v16, s13
	v_mul_lo_u16 v12, v20, s0
	v_mad_u16 v6, v11, v23, v8
	v_and_b32_e32 v2, 0xffff, v2
	v_mad_u16 v7, v10, v22, v7
	v_lshlrev_b32_e32 v1, 16, v1
	v_and_b32_e32 v4, 0xffff, v4
	v_mad_u16 v8, v12, v24, v9
	v_lshlrev_b32_e32 v6, 16, v6
	v_and_b32_e32 v3, 0xffff, v3
	v_dual_lshlrev_b32 v7, 16, v7 :: v_dual_bitop2_b32 v1, v1, v2 bitop3:0x54
	v_and_b32_e32 v5, 0xffff, v5
	v_lshlrev_b32_e32 v8, 16, v8
	v_or_b32_e32 v4, v6, v4
	s_delay_alu instid0(VALU_DEP_4)
	v_or3_b32 v3, 0, v3, v7
	v_or3_b32 v2, v1, 0, 0
	s_mov_b32 s0, 0
	v_or3_b32 v5, 0, v5, v8
	v_or3_b32 v4, v4, 0, 0
	s_clause 0x1
	global_store_b64 v0, v[2:3], s[14:15] scale_offset
	global_store_b64 v0, v[4:5], s[14:15] offset:2048 scale_offset
.LBB90_2:
	s_and_not1_b32 vcc_lo, exec_lo, s0
	s_cbranch_vccnz .LBB90_43
; %bb.3:
	v_cmp_gt_i32_e32 vcc_lo, s1, v0
	s_wait_xcnt 0x1
	v_dual_mov_b32 v3, 0 :: v_dual_bitop2_b32 v1, s2, v0 bitop3:0x54
	v_or_b32_e32 v2, 0x100, v0
	s_wait_xcnt 0x0
	v_dual_mov_b32 v4, 0 :: v_dual_mov_b32 v5, 0
	v_dual_mov_b32 v6, 0 :: v_dual_mov_b32 v12, v0
	s_and_saveexec_b32 s0, vcc_lo
	s_cbranch_execz .LBB90_5
; %bb.4:
	s_clause 0x2
	global_load_u16 v4, v1, s[6:7] scale_offset
	global_load_u16 v5, v1, s[8:9] scale_offset
	;; [unrolled: 1-line block ×3, first 2 shown]
	v_or_b32_e32 v12, 0x100, v0
.LBB90_5:
	s_wait_xcnt 0x0
	s_or_b32 exec_lo, exec_lo, s0
	v_dual_mov_b32 v8, 0 :: v_dual_mov_b32 v9, 0
	s_mov_b32 s3, exec_lo
	v_cmpx_gt_i32_e64 s1, v12
	s_cbranch_execz .LBB90_7
; %bb.6:
	v_add_nc_u32_e32 v7, s2, v12
	v_add_nc_u32_e32 v12, 0x100, v12
	s_clause 0x2
	global_load_u16 v3, v7, s[6:7] scale_offset
	global_load_u16 v8, v7, s[8:9] scale_offset
	global_load_u16 v9, v7, s[10:11] scale_offset
.LBB90_7:
	s_wait_xcnt 0x0
	s_or_b32 exec_lo, exec_lo, s3
	v_dual_mov_b32 v7, 0 :: v_dual_mov_b32 v10, 0
	v_dual_mov_b32 v11, 0 :: v_dual_mov_b32 v13, 0
	s_mov_b32 s3, exec_lo
	v_cmpx_gt_i32_e64 s1, v12
	s_cbranch_execz .LBB90_9
; %bb.8:
	v_add_nc_u32_e32 v14, s2, v12
	v_add_nc_u32_e32 v12, 0x100, v12
	s_clause 0x2
	global_load_u16 v10, v14, s[6:7] scale_offset
	global_load_u16 v11, v14, s[8:9] scale_offset
	global_load_u16 v13, v14, s[10:11] scale_offset
.LBB90_9:
	s_wait_xcnt 0x0
	s_or_b32 exec_lo, exec_lo, s3
	v_dual_mov_b32 v15, 0 :: v_dual_mov_b32 v16, 0
	s_mov_b32 s3, exec_lo
	v_cmpx_gt_i32_e64 s1, v12
	s_cbranch_execz .LBB90_11
; %bb.10:
	v_add_nc_u32_e32 v14, s2, v12
	v_add_nc_u32_e32 v12, 0x100, v12
	s_clause 0x2
	global_load_u16 v7, v14, s[6:7] scale_offset
	global_load_u16 v15, v14, s[8:9] scale_offset
	global_load_u16 v16, v14, s[10:11] scale_offset
.LBB90_11:
	s_wait_xcnt 0x0
	s_or_b32 exec_lo, exec_lo, s3
	v_dual_mov_b32 v14, 0 :: v_dual_mov_b32 v17, 0
	v_dual_mov_b32 v18, 0 :: v_dual_mov_b32 v19, 0
	s_mov_b32 s3, exec_lo
	v_cmpx_gt_i32_e64 s1, v12
	s_cbranch_execz .LBB90_13
; %bb.12:
	v_add_nc_u32_e32 v20, s2, v12
	v_add_nc_u32_e32 v12, 0x100, v12
	s_clause 0x2
	global_load_u16 v17, v20, s[6:7] scale_offset
	global_load_u16 v18, v20, s[8:9] scale_offset
	global_load_u16 v19, v20, s[10:11] scale_offset
.LBB90_13:
	;; [unrolled: 29-line block ×3, first 2 shown]
	s_wait_xcnt 0x0
	s_or_b32 exec_lo, exec_lo, s3
	v_dual_mov_b32 v26, 0 :: v_dual_mov_b32 v27, 0
	s_mov_b32 s3, exec_lo
	v_cmpx_gt_i32_e64 s1, v12
	s_cbranch_execz .LBB90_19
; %bb.18:
	v_add_nc_u32_e32 v12, s2, v12
	s_clause 0x2
	global_load_u16 v20, v12, s[6:7] scale_offset
	global_load_u16 v26, v12, s[8:9] scale_offset
	;; [unrolled: 1-line block ×3, first 2 shown]
.LBB90_19:
	s_wait_xcnt 0x0
	s_or_b32 exec_lo, exec_lo, s3
	s_lshr_b32 s3, s13, 16
                                        ; implicit-def: $vgpr12
	s_and_saveexec_b32 s0, vcc_lo
	s_cbranch_execz .LBB90_21
; %bb.20:
	s_wait_loadcnt 0x2
	v_mul_lo_u16 v4, v4, s13
	s_wait_loadcnt 0x1
	v_mul_lo_u16 v5, v5, s3
	s_wait_loadcnt 0x0
	s_delay_alu instid0(VALU_DEP_1)
	v_mad_u16 v12, v5, v6, v4
.LBB90_21:
	s_or_b32 exec_lo, exec_lo, s0
	s_delay_alu instid0(SALU_CYCLE_1)
	s_mov_b32 s6, exec_lo
                                        ; implicit-def: $vgpr4
	v_cmpx_gt_i32_e64 s1, v2
	s_cbranch_execz .LBB90_23
; %bb.22:
	s_wait_loadcnt 0x2
	v_mul_lo_u16 v3, v3, s13
	s_wait_loadcnt 0x1
	v_mul_lo_u16 v4, v8, s3
	s_wait_loadcnt 0x0
	s_delay_alu instid0(VALU_DEP_1)
	v_mad_u16 v4, v4, v9, v3
.LBB90_23:
	s_or_b32 exec_lo, exec_lo, s6
	s_wait_loadcnt 0x2
	v_or_b32_e32 v3, 0x200, v0
	s_delay_alu instid0(VALU_DEP_1)
	v_cmp_gt_i32_e64 s0, s1, v3
                                        ; implicit-def: $vgpr3
	s_and_saveexec_b32 s6, s0
	s_cbranch_execz .LBB90_25
; %bb.24:
	v_mul_lo_u16 v3, v10, s13
	s_wait_loadcnt 0x1
	v_mul_lo_u16 v5, v11, s3
	s_wait_loadcnt 0x0
	s_delay_alu instid0(VALU_DEP_1)
	v_mad_u16 v3, v5, v13, v3
.LBB90_25:
	s_or_b32 exec_lo, exec_lo, s6
	s_wait_loadcnt 0x1
	v_or_b32_e32 v5, 0x300, v0
	s_delay_alu instid0(VALU_DEP_1)
	v_cmp_gt_i32_e64 s0, s1, v5
                                        ; implicit-def: $vgpr5
	s_and_saveexec_b32 s6, s0
	s_cbranch_execz .LBB90_27
; %bb.26:
	v_mul_lo_u16 v5, v7, s13
	s_wait_loadcnt 0x0
	v_mul_lo_u16 v6, v15, s3
	s_delay_alu instid0(VALU_DEP_1)
	v_mad_u16 v5, v6, v16, v5
.LBB90_27:
	s_or_b32 exec_lo, exec_lo, s6
	s_wait_loadcnt 0x0
	v_or_b32_e32 v6, 0x400, v0
	s_delay_alu instid0(VALU_DEP_1)
	v_cmp_gt_i32_e64 s0, s1, v6
                                        ; implicit-def: $vgpr6
	s_and_saveexec_b32 s6, s0
; %bb.28:
	v_mul_lo_u16 v6, v17, s13
	v_mul_lo_u16 v7, v18, s3
	s_delay_alu instid0(VALU_DEP_1)
	v_mad_u16 v6, v7, v19, v6
; %bb.29:
	s_or_b32 exec_lo, exec_lo, s6
	v_or_b32_e32 v7, 0x500, v0
	s_delay_alu instid0(VALU_DEP_1)
	v_cmp_gt_i32_e64 s0, s1, v7
                                        ; implicit-def: $vgpr7
	s_and_saveexec_b32 s6, s0
; %bb.30:
	v_mul_lo_u16 v7, v14, s13
	v_mul_lo_u16 v8, v21, s3
	s_delay_alu instid0(VALU_DEP_1)
	v_mad_u16 v7, v8, v22, v7
; %bb.31:
	s_or_b32 exec_lo, exec_lo, s6
	v_or_b32_e32 v8, 0x600, v0
	s_delay_alu instid0(VALU_DEP_1)
	v_cmp_gt_i32_e64 s0, s1, v8
                                        ; implicit-def: $vgpr8
	s_and_saveexec_b32 s6, s0
; %bb.32:
	v_mul_lo_u16 v8, v23, s13
	v_mul_lo_u16 v9, v24, s3
	s_delay_alu instid0(VALU_DEP_1)
	v_mad_u16 v8, v9, v25, v8
; %bb.33:
	s_or_b32 exec_lo, exec_lo, s6
	v_or_b32_e32 v9, 0x700, v0
	s_delay_alu instid0(VALU_DEP_1)
	v_cmp_gt_i32_e64 s0, s1, v9
                                        ; implicit-def: $vgpr9
	s_and_saveexec_b32 s6, s0
	s_cbranch_execz .LBB90_44
; %bb.34:
	v_mul_lo_u16 v9, v20, s13
	v_mul_lo_u16 v10, v26, s3
	s_delay_alu instid0(VALU_DEP_1) | instskip(SKIP_2) | instid1(SALU_CYCLE_1)
	v_mad_u16 v9, v10, v27, v9
	s_or_b32 exec_lo, exec_lo, s6
	s_and_saveexec_b32 s0, vcc_lo
	s_xor_b32 s0, exec_lo, s0
	s_cbranch_execnz .LBB90_45
.LBB90_35:
	s_or_b32 exec_lo, exec_lo, s0
	s_delay_alu instid0(SALU_CYCLE_1)
	s_mov_b32 s0, exec_lo
	v_cmpx_gt_i32_e64 s1, v0
	s_cbranch_execz .LBB90_46
.LBB90_36:
	v_add_nc_u32_e32 v1, s2, v0
	v_add_nc_u32_e32 v0, 0x100, v0
	global_store_b16 v1, v4, s[4:5] scale_offset
	s_wait_xcnt 0x0
	s_or_b32 exec_lo, exec_lo, s0
	s_delay_alu instid0(SALU_CYCLE_1)
	s_mov_b32 s0, exec_lo
	v_cmpx_gt_i32_e64 s1, v0
	s_cbranch_execnz .LBB90_47
.LBB90_37:
	s_or_b32 exec_lo, exec_lo, s0
	s_delay_alu instid0(SALU_CYCLE_1)
	s_mov_b32 s0, exec_lo
	v_cmpx_gt_i32_e64 s1, v0
	s_cbranch_execz .LBB90_48
.LBB90_38:
	v_add_nc_u32_e32 v1, s2, v0
	v_add_nc_u32_e32 v0, 0x100, v0
	global_store_b16 v1, v5, s[4:5] scale_offset
	s_wait_xcnt 0x0
	s_or_b32 exec_lo, exec_lo, s0
	s_delay_alu instid0(SALU_CYCLE_1)
	s_mov_b32 s0, exec_lo
	v_cmpx_gt_i32_e64 s1, v0
	s_cbranch_execnz .LBB90_49
.LBB90_39:
	s_or_b32 exec_lo, exec_lo, s0
	s_delay_alu instid0(SALU_CYCLE_1)
	s_mov_b32 s0, exec_lo
	v_cmpx_gt_i32_e64 s1, v0
	s_cbranch_execz .LBB90_50
.LBB90_40:
	v_add_nc_u32_e32 v1, s2, v0
	v_add_nc_u32_e32 v0, 0x100, v0
	global_store_b16 v1, v7, s[4:5] scale_offset
	s_wait_xcnt 0x0
	s_or_b32 exec_lo, exec_lo, s0
	s_delay_alu instid0(SALU_CYCLE_1)
	s_mov_b32 s0, exec_lo
	v_cmpx_gt_i32_e64 s1, v0
	s_cbranch_execnz .LBB90_51
.LBB90_41:
	s_or_b32 exec_lo, exec_lo, s0
	s_delay_alu instid0(SALU_CYCLE_1)
	s_mov_b32 s0, exec_lo
	v_cmpx_gt_i32_e64 s1, v0
	s_cbranch_execz .LBB90_43
.LBB90_42:
	v_add_nc_u32_e32 v0, s2, v0
	global_store_b16 v0, v9, s[4:5] scale_offset
.LBB90_43:
	s_endpgm
.LBB90_44:
	s_or_b32 exec_lo, exec_lo, s6
	s_and_saveexec_b32 s0, vcc_lo
	s_delay_alu instid0(SALU_CYCLE_1)
	s_xor_b32 s0, exec_lo, s0
	s_cbranch_execz .LBB90_35
.LBB90_45:
	v_mov_b32_e32 v0, v2
	global_store_b16 v1, v12, s[4:5] scale_offset
	s_wait_xcnt 0x0
	s_or_b32 exec_lo, exec_lo, s0
	s_delay_alu instid0(SALU_CYCLE_1)
	s_mov_b32 s0, exec_lo
	v_cmpx_gt_i32_e64 s1, v0
	s_cbranch_execnz .LBB90_36
.LBB90_46:
	s_or_b32 exec_lo, exec_lo, s0
	s_delay_alu instid0(SALU_CYCLE_1)
	s_mov_b32 s0, exec_lo
	v_cmpx_gt_i32_e64 s1, v0
	s_cbranch_execz .LBB90_37
.LBB90_47:
	v_add_nc_u32_e32 v1, s2, v0
	v_add_nc_u32_e32 v0, 0x100, v0
	global_store_b16 v1, v3, s[4:5] scale_offset
	s_wait_xcnt 0x0
	s_or_b32 exec_lo, exec_lo, s0
	s_delay_alu instid0(SALU_CYCLE_1)
	s_mov_b32 s0, exec_lo
	v_cmpx_gt_i32_e64 s1, v0
	s_cbranch_execnz .LBB90_38
.LBB90_48:
	s_or_b32 exec_lo, exec_lo, s0
	s_delay_alu instid0(SALU_CYCLE_1)
	s_mov_b32 s0, exec_lo
	v_cmpx_gt_i32_e64 s1, v0
	s_cbranch_execz .LBB90_39
.LBB90_49:
	v_add_nc_u32_e32 v1, s2, v0
	v_add_nc_u32_e32 v0, 0x100, v0
	global_store_b16 v1, v6, s[4:5] scale_offset
	s_wait_xcnt 0x0
	s_or_b32 exec_lo, exec_lo, s0
	s_delay_alu instid0(SALU_CYCLE_1)
	s_mov_b32 s0, exec_lo
	v_cmpx_gt_i32_e64 s1, v0
	s_cbranch_execnz .LBB90_40
.LBB90_50:
	s_or_b32 exec_lo, exec_lo, s0
	s_delay_alu instid0(SALU_CYCLE_1)
	s_mov_b32 s0, exec_lo
	v_cmpx_gt_i32_e64 s1, v0
	s_cbranch_execz .LBB90_41
.LBB90_51:
	v_add_nc_u32_e32 v1, s2, v0
	v_add_nc_u32_e32 v0, 0x100, v0
	global_store_b16 v1, v8, s[4:5] scale_offset
	s_wait_xcnt 0x0
	s_or_b32 exec_lo, exec_lo, s0
	s_delay_alu instid0(SALU_CYCLE_1)
	s_mov_b32 s0, exec_lo
	v_cmpx_gt_i32_e64 s1, v0
	s_cbranch_execnz .LBB90_42
	s_branch .LBB90_43
	.section	.rodata,"a",@progbits
	.p2align	6, 0x0
	.amdhsa_kernel _ZN2at6native29vectorized_elementwise_kernelILi4EZZZNS0_12_GLOBAL__N_116addr_kernel_cudaERNS_14TensorIteratorERKN3c106ScalarES8_ENKUlvE_clEvENKUlvE3_clEvEUlsssE0_St5arrayIPcLm4EEEEviT0_T1_
		.amdhsa_group_segment_fixed_size 0
		.amdhsa_private_segment_fixed_size 0
		.amdhsa_kernarg_size 40
		.amdhsa_user_sgpr_count 2
		.amdhsa_user_sgpr_dispatch_ptr 0
		.amdhsa_user_sgpr_queue_ptr 0
		.amdhsa_user_sgpr_kernarg_segment_ptr 1
		.amdhsa_user_sgpr_dispatch_id 0
		.amdhsa_user_sgpr_kernarg_preload_length 0
		.amdhsa_user_sgpr_kernarg_preload_offset 0
		.amdhsa_user_sgpr_private_segment_size 0
		.amdhsa_wavefront_size32 1
		.amdhsa_uses_dynamic_stack 0
		.amdhsa_enable_private_segment 0
		.amdhsa_system_sgpr_workgroup_id_x 1
		.amdhsa_system_sgpr_workgroup_id_y 0
		.amdhsa_system_sgpr_workgroup_id_z 0
		.amdhsa_system_sgpr_workgroup_info 0
		.amdhsa_system_vgpr_workitem_id 0
		.amdhsa_next_free_vgpr 28
		.amdhsa_next_free_sgpr 20
		.amdhsa_named_barrier_count 0
		.amdhsa_reserve_vcc 1
		.amdhsa_float_round_mode_32 0
		.amdhsa_float_round_mode_16_64 0
		.amdhsa_float_denorm_mode_32 3
		.amdhsa_float_denorm_mode_16_64 3
		.amdhsa_fp16_overflow 0
		.amdhsa_memory_ordered 1
		.amdhsa_forward_progress 1
		.amdhsa_inst_pref_size 19
		.amdhsa_round_robin_scheduling 0
		.amdhsa_exception_fp_ieee_invalid_op 0
		.amdhsa_exception_fp_denorm_src 0
		.amdhsa_exception_fp_ieee_div_zero 0
		.amdhsa_exception_fp_ieee_overflow 0
		.amdhsa_exception_fp_ieee_underflow 0
		.amdhsa_exception_fp_ieee_inexact 0
		.amdhsa_exception_int_div_zero 0
	.end_amdhsa_kernel
	.section	.text._ZN2at6native29vectorized_elementwise_kernelILi4EZZZNS0_12_GLOBAL__N_116addr_kernel_cudaERNS_14TensorIteratorERKN3c106ScalarES8_ENKUlvE_clEvENKUlvE3_clEvEUlsssE0_St5arrayIPcLm4EEEEviT0_T1_,"axG",@progbits,_ZN2at6native29vectorized_elementwise_kernelILi4EZZZNS0_12_GLOBAL__N_116addr_kernel_cudaERNS_14TensorIteratorERKN3c106ScalarES8_ENKUlvE_clEvENKUlvE3_clEvEUlsssE0_St5arrayIPcLm4EEEEviT0_T1_,comdat
.Lfunc_end90:
	.size	_ZN2at6native29vectorized_elementwise_kernelILi4EZZZNS0_12_GLOBAL__N_116addr_kernel_cudaERNS_14TensorIteratorERKN3c106ScalarES8_ENKUlvE_clEvENKUlvE3_clEvEUlsssE0_St5arrayIPcLm4EEEEviT0_T1_, .Lfunc_end90-_ZN2at6native29vectorized_elementwise_kernelILi4EZZZNS0_12_GLOBAL__N_116addr_kernel_cudaERNS_14TensorIteratorERKN3c106ScalarES8_ENKUlvE_clEvENKUlvE3_clEvEUlsssE0_St5arrayIPcLm4EEEEviT0_T1_
                                        ; -- End function
	.set _ZN2at6native29vectorized_elementwise_kernelILi4EZZZNS0_12_GLOBAL__N_116addr_kernel_cudaERNS_14TensorIteratorERKN3c106ScalarES8_ENKUlvE_clEvENKUlvE3_clEvEUlsssE0_St5arrayIPcLm4EEEEviT0_T1_.num_vgpr, 28
	.set _ZN2at6native29vectorized_elementwise_kernelILi4EZZZNS0_12_GLOBAL__N_116addr_kernel_cudaERNS_14TensorIteratorERKN3c106ScalarES8_ENKUlvE_clEvENKUlvE3_clEvEUlsssE0_St5arrayIPcLm4EEEEviT0_T1_.num_agpr, 0
	.set _ZN2at6native29vectorized_elementwise_kernelILi4EZZZNS0_12_GLOBAL__N_116addr_kernel_cudaERNS_14TensorIteratorERKN3c106ScalarES8_ENKUlvE_clEvENKUlvE3_clEvEUlsssE0_St5arrayIPcLm4EEEEviT0_T1_.numbered_sgpr, 20
	.set _ZN2at6native29vectorized_elementwise_kernelILi4EZZZNS0_12_GLOBAL__N_116addr_kernel_cudaERNS_14TensorIteratorERKN3c106ScalarES8_ENKUlvE_clEvENKUlvE3_clEvEUlsssE0_St5arrayIPcLm4EEEEviT0_T1_.num_named_barrier, 0
	.set _ZN2at6native29vectorized_elementwise_kernelILi4EZZZNS0_12_GLOBAL__N_116addr_kernel_cudaERNS_14TensorIteratorERKN3c106ScalarES8_ENKUlvE_clEvENKUlvE3_clEvEUlsssE0_St5arrayIPcLm4EEEEviT0_T1_.private_seg_size, 0
	.set _ZN2at6native29vectorized_elementwise_kernelILi4EZZZNS0_12_GLOBAL__N_116addr_kernel_cudaERNS_14TensorIteratorERKN3c106ScalarES8_ENKUlvE_clEvENKUlvE3_clEvEUlsssE0_St5arrayIPcLm4EEEEviT0_T1_.uses_vcc, 1
	.set _ZN2at6native29vectorized_elementwise_kernelILi4EZZZNS0_12_GLOBAL__N_116addr_kernel_cudaERNS_14TensorIteratorERKN3c106ScalarES8_ENKUlvE_clEvENKUlvE3_clEvEUlsssE0_St5arrayIPcLm4EEEEviT0_T1_.uses_flat_scratch, 0
	.set _ZN2at6native29vectorized_elementwise_kernelILi4EZZZNS0_12_GLOBAL__N_116addr_kernel_cudaERNS_14TensorIteratorERKN3c106ScalarES8_ENKUlvE_clEvENKUlvE3_clEvEUlsssE0_St5arrayIPcLm4EEEEviT0_T1_.has_dyn_sized_stack, 0
	.set _ZN2at6native29vectorized_elementwise_kernelILi4EZZZNS0_12_GLOBAL__N_116addr_kernel_cudaERNS_14TensorIteratorERKN3c106ScalarES8_ENKUlvE_clEvENKUlvE3_clEvEUlsssE0_St5arrayIPcLm4EEEEviT0_T1_.has_recursion, 0
	.set _ZN2at6native29vectorized_elementwise_kernelILi4EZZZNS0_12_GLOBAL__N_116addr_kernel_cudaERNS_14TensorIteratorERKN3c106ScalarES8_ENKUlvE_clEvENKUlvE3_clEvEUlsssE0_St5arrayIPcLm4EEEEviT0_T1_.has_indirect_call, 0
	.section	.AMDGPU.csdata,"",@progbits
; Kernel info:
; codeLenInByte = 2428
; TotalNumSgprs: 22
; NumVgprs: 28
; ScratchSize: 0
; MemoryBound: 0
; FloatMode: 240
; IeeeMode: 1
; LDSByteSize: 0 bytes/workgroup (compile time only)
; SGPRBlocks: 0
; VGPRBlocks: 1
; NumSGPRsForWavesPerEU: 22
; NumVGPRsForWavesPerEU: 28
; NamedBarCnt: 0
; Occupancy: 16
; WaveLimiterHint : 1
; COMPUTE_PGM_RSRC2:SCRATCH_EN: 0
; COMPUTE_PGM_RSRC2:USER_SGPR: 2
; COMPUTE_PGM_RSRC2:TRAP_HANDLER: 0
; COMPUTE_PGM_RSRC2:TGID_X_EN: 1
; COMPUTE_PGM_RSRC2:TGID_Y_EN: 0
; COMPUTE_PGM_RSRC2:TGID_Z_EN: 0
; COMPUTE_PGM_RSRC2:TIDIG_COMP_CNT: 0
	.section	.text._ZN2at6native29vectorized_elementwise_kernelILi2EZZZNS0_12_GLOBAL__N_116addr_kernel_cudaERNS_14TensorIteratorERKN3c106ScalarES8_ENKUlvE_clEvENKUlvE3_clEvEUlsssE0_St5arrayIPcLm4EEEEviT0_T1_,"axG",@progbits,_ZN2at6native29vectorized_elementwise_kernelILi2EZZZNS0_12_GLOBAL__N_116addr_kernel_cudaERNS_14TensorIteratorERKN3c106ScalarES8_ENKUlvE_clEvENKUlvE3_clEvEUlsssE0_St5arrayIPcLm4EEEEviT0_T1_,comdat
	.globl	_ZN2at6native29vectorized_elementwise_kernelILi2EZZZNS0_12_GLOBAL__N_116addr_kernel_cudaERNS_14TensorIteratorERKN3c106ScalarES8_ENKUlvE_clEvENKUlvE3_clEvEUlsssE0_St5arrayIPcLm4EEEEviT0_T1_ ; -- Begin function _ZN2at6native29vectorized_elementwise_kernelILi2EZZZNS0_12_GLOBAL__N_116addr_kernel_cudaERNS_14TensorIteratorERKN3c106ScalarES8_ENKUlvE_clEvENKUlvE3_clEvEUlsssE0_St5arrayIPcLm4EEEEviT0_T1_
	.p2align	8
	.type	_ZN2at6native29vectorized_elementwise_kernelILi2EZZZNS0_12_GLOBAL__N_116addr_kernel_cudaERNS_14TensorIteratorERKN3c106ScalarES8_ENKUlvE_clEvENKUlvE3_clEvEUlsssE0_St5arrayIPcLm4EEEEviT0_T1_,@function
_ZN2at6native29vectorized_elementwise_kernelILi2EZZZNS0_12_GLOBAL__N_116addr_kernel_cudaERNS_14TensorIteratorERKN3c106ScalarES8_ENKUlvE_clEvENKUlvE3_clEvEUlsssE0_St5arrayIPcLm4EEEEviT0_T1_: ; @_ZN2at6native29vectorized_elementwise_kernelILi2EZZZNS0_12_GLOBAL__N_116addr_kernel_cudaERNS_14TensorIteratorERKN3c106ScalarES8_ENKUlvE_clEvENKUlvE3_clEvEUlsssE0_St5arrayIPcLm4EEEEviT0_T1_
; %bb.0:
	s_clause 0x1
	s_load_b64 s[12:13], s[0:1], 0x0
	s_load_b256 s[4:11], s[0:1], 0x8
	s_wait_xcnt 0x0
	s_bfe_u32 s0, ttmp6, 0x4000c
	s_and_b32 s1, ttmp6, 15
	s_add_co_i32 s0, s0, 1
	s_getreg_b32 s2, hwreg(HW_REG_IB_STS2, 6, 4)
	s_mul_i32 s0, ttmp9, s0
	s_delay_alu instid0(SALU_CYCLE_1) | instskip(SKIP_2) | instid1(SALU_CYCLE_1)
	s_add_co_i32 s1, s1, s0
	s_cmp_eq_u32 s2, 0
	s_cselect_b32 s0, ttmp9, s1
	s_lshl_b32 s2, s0, 11
	s_mov_b32 s0, -1
	s_wait_kmcnt 0x0
	s_sub_co_i32 s1, s12, s2
	s_delay_alu instid0(SALU_CYCLE_1)
	s_cmp_gt_i32 s1, 0x7ff
	s_cbranch_scc0 .LBB91_2
; %bb.1:
	s_ashr_i32 s3, s2, 31
	s_lshr_b32 s0, s13, 16
	s_lshl_b64 s[14:15], s[2:3], 1
	s_delay_alu instid0(SALU_CYCLE_1)
	s_add_nc_u64 s[16:17], s[6:7], s[14:15]
	s_add_nc_u64 s[18:19], s[8:9], s[14:15]
	s_add_nc_u64 s[20:21], s[10:11], s[14:15]
	s_clause 0xb
	global_load_b32 v1, v0, s[16:17] scale_offset
	global_load_b32 v2, v0, s[16:17] offset:1024 scale_offset
	global_load_b32 v3, v0, s[16:17] offset:2048 scale_offset
	global_load_b32 v4, v0, s[16:17] offset:3072 scale_offset
	global_load_b32 v5, v0, s[18:19] scale_offset
	global_load_b32 v6, v0, s[18:19] offset:1024 scale_offset
	global_load_b32 v7, v0, s[18:19] offset:2048 scale_offset
	global_load_b32 v8, v0, s[18:19] offset:3072 scale_offset
	;; [unrolled: 4-line block ×3, first 2 shown]
	s_add_nc_u64 s[14:15], s[4:5], s[14:15]
	s_wait_loadcnt 0xa
	v_dual_lshrrev_b32 v13, 16, v1 :: v_dual_lshrrev_b32 v14, 16, v2
	v_mul_lo_u32 v1, v1, s13
	v_mul_lo_u32 v2, v2, s13
	s_wait_loadcnt 0x6
	v_dual_lshrrev_b32 v17, 16, v5 :: v_dual_lshrrev_b32 v18, 16, v6
	v_mul_lo_u32 v5, v5, s0
	v_mul_lo_u32 v6, v6, s0
	v_dual_lshrrev_b32 v15, 16, v3 :: v_dual_lshrrev_b32 v16, 16, v4
	s_wait_loadcnt 0x4
	v_dual_lshrrev_b32 v19, 16, v7 :: v_dual_lshrrev_b32 v20, 16, v8
	v_mul_lo_u32 v3, v3, s13
	v_mul_lo_u32 v7, v7, s0
	;; [unrolled: 1-line block ×8, first 2 shown]
	s_wait_loadcnt 0x2
	v_dual_lshrrev_b32 v21, 16, v9 :: v_dual_lshrrev_b32 v22, 16, v10
	v_mul_u32_u24_e32 v17, s0, v17
	v_mad_u32 v1, v5, v9, v1
	v_mul_u32_u24_e32 v18, s0, v18
	v_mad_u32 v2, v6, v10, v2
	s_wait_loadcnt 0x0
	v_dual_lshrrev_b32 v23, 16, v11 :: v_dual_lshrrev_b32 v24, 16, v12
	v_mul_u32_u24_e32 v19, s0, v19
	v_mad_u32 v3, v7, v11, v3
	v_mul_u32_u24_e32 v20, s0, v20
	v_mad_u32 v4, v8, v12, v4
	v_mad_u32 v5, v17, v21, v13
	;; [unrolled: 1-line block ×5, first 2 shown]
	v_and_b32_e32 v1, 0xffff, v1
	v_and_b32_e32 v2, 0xffff, v2
	s_mov_b32 s0, 0
	v_and_b32_e32 v3, 0xffff, v3
	v_and_b32_e32 v4, 0xffff, v4
	v_lshl_or_b32 v1, v5, 16, v1
	v_lshl_or_b32 v2, v6, 16, v2
	s_delay_alu instid0(VALU_DEP_4) | instskip(NEXT) | instid1(VALU_DEP_4)
	v_lshl_or_b32 v3, v7, 16, v3
	v_lshl_or_b32 v4, v8, 16, v4
	s_clause 0x3
	global_store_b32 v0, v1, s[14:15] scale_offset
	global_store_b32 v0, v2, s[14:15] offset:1024 scale_offset
	global_store_b32 v0, v3, s[14:15] offset:2048 scale_offset
	;; [unrolled: 1-line block ×3, first 2 shown]
.LBB91_2:
	s_and_not1_b32 vcc_lo, exec_lo, s0
	s_cbranch_vccnz .LBB91_43
; %bb.3:
	v_cmp_gt_i32_e32 vcc_lo, s1, v0
	s_wait_xcnt 0x1
	v_dual_mov_b32 v3, 0 :: v_dual_bitop2_b32 v1, s2, v0 bitop3:0x54
	v_or_b32_e32 v2, 0x100, v0
	s_wait_xcnt 0x0
	v_dual_mov_b32 v4, 0 :: v_dual_mov_b32 v5, 0
	v_dual_mov_b32 v6, 0 :: v_dual_mov_b32 v12, v0
	s_and_saveexec_b32 s0, vcc_lo
	s_cbranch_execz .LBB91_5
; %bb.4:
	s_clause 0x2
	global_load_u16 v4, v1, s[6:7] scale_offset
	global_load_u16 v5, v1, s[8:9] scale_offset
	;; [unrolled: 1-line block ×3, first 2 shown]
	v_or_b32_e32 v12, 0x100, v0
.LBB91_5:
	s_wait_xcnt 0x0
	s_or_b32 exec_lo, exec_lo, s0
	v_dual_mov_b32 v8, 0 :: v_dual_mov_b32 v9, 0
	s_mov_b32 s3, exec_lo
	v_cmpx_gt_i32_e64 s1, v12
	s_cbranch_execz .LBB91_7
; %bb.6:
	v_add_nc_u32_e32 v7, s2, v12
	v_add_nc_u32_e32 v12, 0x100, v12
	s_clause 0x2
	global_load_u16 v3, v7, s[6:7] scale_offset
	global_load_u16 v8, v7, s[8:9] scale_offset
	global_load_u16 v9, v7, s[10:11] scale_offset
.LBB91_7:
	s_wait_xcnt 0x0
	s_or_b32 exec_lo, exec_lo, s3
	v_dual_mov_b32 v7, 0 :: v_dual_mov_b32 v10, 0
	v_dual_mov_b32 v11, 0 :: v_dual_mov_b32 v13, 0
	s_mov_b32 s3, exec_lo
	v_cmpx_gt_i32_e64 s1, v12
	s_cbranch_execz .LBB91_9
; %bb.8:
	v_add_nc_u32_e32 v14, s2, v12
	v_add_nc_u32_e32 v12, 0x100, v12
	s_clause 0x2
	global_load_u16 v10, v14, s[6:7] scale_offset
	global_load_u16 v11, v14, s[8:9] scale_offset
	global_load_u16 v13, v14, s[10:11] scale_offset
.LBB91_9:
	s_wait_xcnt 0x0
	s_or_b32 exec_lo, exec_lo, s3
	v_dual_mov_b32 v15, 0 :: v_dual_mov_b32 v16, 0
	s_mov_b32 s3, exec_lo
	v_cmpx_gt_i32_e64 s1, v12
	s_cbranch_execz .LBB91_11
; %bb.10:
	v_add_nc_u32_e32 v14, s2, v12
	v_add_nc_u32_e32 v12, 0x100, v12
	s_clause 0x2
	global_load_u16 v7, v14, s[6:7] scale_offset
	global_load_u16 v15, v14, s[8:9] scale_offset
	global_load_u16 v16, v14, s[10:11] scale_offset
.LBB91_11:
	s_wait_xcnt 0x0
	s_or_b32 exec_lo, exec_lo, s3
	v_dual_mov_b32 v14, 0 :: v_dual_mov_b32 v17, 0
	v_dual_mov_b32 v18, 0 :: v_dual_mov_b32 v19, 0
	s_mov_b32 s3, exec_lo
	v_cmpx_gt_i32_e64 s1, v12
	s_cbranch_execz .LBB91_13
; %bb.12:
	v_add_nc_u32_e32 v20, s2, v12
	v_add_nc_u32_e32 v12, 0x100, v12
	s_clause 0x2
	global_load_u16 v17, v20, s[6:7] scale_offset
	global_load_u16 v18, v20, s[8:9] scale_offset
	global_load_u16 v19, v20, s[10:11] scale_offset
.LBB91_13:
	;; [unrolled: 29-line block ×3, first 2 shown]
	s_wait_xcnt 0x0
	s_or_b32 exec_lo, exec_lo, s3
	v_dual_mov_b32 v26, 0 :: v_dual_mov_b32 v27, 0
	s_mov_b32 s3, exec_lo
	v_cmpx_gt_i32_e64 s1, v12
	s_cbranch_execz .LBB91_19
; %bb.18:
	v_add_nc_u32_e32 v12, s2, v12
	s_clause 0x2
	global_load_u16 v20, v12, s[6:7] scale_offset
	global_load_u16 v26, v12, s[8:9] scale_offset
	;; [unrolled: 1-line block ×3, first 2 shown]
.LBB91_19:
	s_wait_xcnt 0x0
	s_or_b32 exec_lo, exec_lo, s3
	s_lshr_b32 s3, s13, 16
                                        ; implicit-def: $vgpr12
	s_and_saveexec_b32 s0, vcc_lo
	s_cbranch_execz .LBB91_21
; %bb.20:
	s_wait_loadcnt 0x2
	v_mul_lo_u16 v4, v4, s13
	s_wait_loadcnt 0x1
	v_mul_lo_u16 v5, v5, s3
	s_wait_loadcnt 0x0
	s_delay_alu instid0(VALU_DEP_1)
	v_mad_u16 v12, v5, v6, v4
.LBB91_21:
	s_or_b32 exec_lo, exec_lo, s0
	s_delay_alu instid0(SALU_CYCLE_1)
	s_mov_b32 s6, exec_lo
                                        ; implicit-def: $vgpr4
	v_cmpx_gt_i32_e64 s1, v2
	s_cbranch_execz .LBB91_23
; %bb.22:
	s_wait_loadcnt 0x2
	v_mul_lo_u16 v3, v3, s13
	s_wait_loadcnt 0x1
	v_mul_lo_u16 v4, v8, s3
	s_wait_loadcnt 0x0
	s_delay_alu instid0(VALU_DEP_1)
	v_mad_u16 v4, v4, v9, v3
.LBB91_23:
	s_or_b32 exec_lo, exec_lo, s6
	s_wait_loadcnt 0x2
	v_or_b32_e32 v3, 0x200, v0
	s_delay_alu instid0(VALU_DEP_1)
	v_cmp_gt_i32_e64 s0, s1, v3
                                        ; implicit-def: $vgpr3
	s_and_saveexec_b32 s6, s0
	s_cbranch_execz .LBB91_25
; %bb.24:
	v_mul_lo_u16 v3, v10, s13
	s_wait_loadcnt 0x1
	v_mul_lo_u16 v5, v11, s3
	s_wait_loadcnt 0x0
	s_delay_alu instid0(VALU_DEP_1)
	v_mad_u16 v3, v5, v13, v3
.LBB91_25:
	s_or_b32 exec_lo, exec_lo, s6
	s_wait_loadcnt 0x1
	v_or_b32_e32 v5, 0x300, v0
	s_delay_alu instid0(VALU_DEP_1)
	v_cmp_gt_i32_e64 s0, s1, v5
                                        ; implicit-def: $vgpr5
	s_and_saveexec_b32 s6, s0
	s_cbranch_execz .LBB91_27
; %bb.26:
	v_mul_lo_u16 v5, v7, s13
	s_wait_loadcnt 0x0
	v_mul_lo_u16 v6, v15, s3
	s_delay_alu instid0(VALU_DEP_1)
	v_mad_u16 v5, v6, v16, v5
.LBB91_27:
	s_or_b32 exec_lo, exec_lo, s6
	s_wait_loadcnt 0x0
	v_or_b32_e32 v6, 0x400, v0
	s_delay_alu instid0(VALU_DEP_1)
	v_cmp_gt_i32_e64 s0, s1, v6
                                        ; implicit-def: $vgpr6
	s_and_saveexec_b32 s6, s0
; %bb.28:
	v_mul_lo_u16 v6, v17, s13
	v_mul_lo_u16 v7, v18, s3
	s_delay_alu instid0(VALU_DEP_1)
	v_mad_u16 v6, v7, v19, v6
; %bb.29:
	s_or_b32 exec_lo, exec_lo, s6
	v_or_b32_e32 v7, 0x500, v0
	s_delay_alu instid0(VALU_DEP_1)
	v_cmp_gt_i32_e64 s0, s1, v7
                                        ; implicit-def: $vgpr7
	s_and_saveexec_b32 s6, s0
; %bb.30:
	v_mul_lo_u16 v7, v14, s13
	v_mul_lo_u16 v8, v21, s3
	s_delay_alu instid0(VALU_DEP_1)
	v_mad_u16 v7, v8, v22, v7
; %bb.31:
	s_or_b32 exec_lo, exec_lo, s6
	v_or_b32_e32 v8, 0x600, v0
	s_delay_alu instid0(VALU_DEP_1)
	v_cmp_gt_i32_e64 s0, s1, v8
                                        ; implicit-def: $vgpr8
	s_and_saveexec_b32 s6, s0
; %bb.32:
	v_mul_lo_u16 v8, v23, s13
	v_mul_lo_u16 v9, v24, s3
	s_delay_alu instid0(VALU_DEP_1)
	v_mad_u16 v8, v9, v25, v8
; %bb.33:
	s_or_b32 exec_lo, exec_lo, s6
	v_or_b32_e32 v9, 0x700, v0
	s_delay_alu instid0(VALU_DEP_1)
	v_cmp_gt_i32_e64 s0, s1, v9
                                        ; implicit-def: $vgpr9
	s_and_saveexec_b32 s6, s0
	s_cbranch_execz .LBB91_44
; %bb.34:
	v_mul_lo_u16 v9, v20, s13
	v_mul_lo_u16 v10, v26, s3
	s_delay_alu instid0(VALU_DEP_1) | instskip(SKIP_2) | instid1(SALU_CYCLE_1)
	v_mad_u16 v9, v10, v27, v9
	s_or_b32 exec_lo, exec_lo, s6
	s_and_saveexec_b32 s0, vcc_lo
	s_xor_b32 s0, exec_lo, s0
	s_cbranch_execnz .LBB91_45
.LBB91_35:
	s_or_b32 exec_lo, exec_lo, s0
	s_delay_alu instid0(SALU_CYCLE_1)
	s_mov_b32 s0, exec_lo
	v_cmpx_gt_i32_e64 s1, v0
	s_cbranch_execz .LBB91_46
.LBB91_36:
	v_add_nc_u32_e32 v1, s2, v0
	v_add_nc_u32_e32 v0, 0x100, v0
	global_store_b16 v1, v4, s[4:5] scale_offset
	s_wait_xcnt 0x0
	s_or_b32 exec_lo, exec_lo, s0
	s_delay_alu instid0(SALU_CYCLE_1)
	s_mov_b32 s0, exec_lo
	v_cmpx_gt_i32_e64 s1, v0
	s_cbranch_execnz .LBB91_47
.LBB91_37:
	s_or_b32 exec_lo, exec_lo, s0
	s_delay_alu instid0(SALU_CYCLE_1)
	s_mov_b32 s0, exec_lo
	v_cmpx_gt_i32_e64 s1, v0
	s_cbranch_execz .LBB91_48
.LBB91_38:
	v_add_nc_u32_e32 v1, s2, v0
	v_add_nc_u32_e32 v0, 0x100, v0
	global_store_b16 v1, v5, s[4:5] scale_offset
	s_wait_xcnt 0x0
	s_or_b32 exec_lo, exec_lo, s0
	s_delay_alu instid0(SALU_CYCLE_1)
	s_mov_b32 s0, exec_lo
	v_cmpx_gt_i32_e64 s1, v0
	s_cbranch_execnz .LBB91_49
.LBB91_39:
	s_or_b32 exec_lo, exec_lo, s0
	s_delay_alu instid0(SALU_CYCLE_1)
	s_mov_b32 s0, exec_lo
	v_cmpx_gt_i32_e64 s1, v0
	s_cbranch_execz .LBB91_50
.LBB91_40:
	v_add_nc_u32_e32 v1, s2, v0
	v_add_nc_u32_e32 v0, 0x100, v0
	global_store_b16 v1, v7, s[4:5] scale_offset
	s_wait_xcnt 0x0
	s_or_b32 exec_lo, exec_lo, s0
	s_delay_alu instid0(SALU_CYCLE_1)
	s_mov_b32 s0, exec_lo
	v_cmpx_gt_i32_e64 s1, v0
	s_cbranch_execnz .LBB91_51
.LBB91_41:
	s_or_b32 exec_lo, exec_lo, s0
	s_delay_alu instid0(SALU_CYCLE_1)
	s_mov_b32 s0, exec_lo
	v_cmpx_gt_i32_e64 s1, v0
	s_cbranch_execz .LBB91_43
.LBB91_42:
	v_add_nc_u32_e32 v0, s2, v0
	global_store_b16 v0, v9, s[4:5] scale_offset
.LBB91_43:
	s_endpgm
.LBB91_44:
	s_or_b32 exec_lo, exec_lo, s6
	s_and_saveexec_b32 s0, vcc_lo
	s_delay_alu instid0(SALU_CYCLE_1)
	s_xor_b32 s0, exec_lo, s0
	s_cbranch_execz .LBB91_35
.LBB91_45:
	v_mov_b32_e32 v0, v2
	global_store_b16 v1, v12, s[4:5] scale_offset
	s_wait_xcnt 0x0
	s_or_b32 exec_lo, exec_lo, s0
	s_delay_alu instid0(SALU_CYCLE_1)
	s_mov_b32 s0, exec_lo
	v_cmpx_gt_i32_e64 s1, v0
	s_cbranch_execnz .LBB91_36
.LBB91_46:
	s_or_b32 exec_lo, exec_lo, s0
	s_delay_alu instid0(SALU_CYCLE_1)
	s_mov_b32 s0, exec_lo
	v_cmpx_gt_i32_e64 s1, v0
	s_cbranch_execz .LBB91_37
.LBB91_47:
	v_add_nc_u32_e32 v1, s2, v0
	v_add_nc_u32_e32 v0, 0x100, v0
	global_store_b16 v1, v3, s[4:5] scale_offset
	s_wait_xcnt 0x0
	s_or_b32 exec_lo, exec_lo, s0
	s_delay_alu instid0(SALU_CYCLE_1)
	s_mov_b32 s0, exec_lo
	v_cmpx_gt_i32_e64 s1, v0
	s_cbranch_execnz .LBB91_38
.LBB91_48:
	s_or_b32 exec_lo, exec_lo, s0
	s_delay_alu instid0(SALU_CYCLE_1)
	s_mov_b32 s0, exec_lo
	v_cmpx_gt_i32_e64 s1, v0
	s_cbranch_execz .LBB91_39
.LBB91_49:
	v_add_nc_u32_e32 v1, s2, v0
	v_add_nc_u32_e32 v0, 0x100, v0
	global_store_b16 v1, v6, s[4:5] scale_offset
	s_wait_xcnt 0x0
	s_or_b32 exec_lo, exec_lo, s0
	s_delay_alu instid0(SALU_CYCLE_1)
	s_mov_b32 s0, exec_lo
	v_cmpx_gt_i32_e64 s1, v0
	s_cbranch_execnz .LBB91_40
.LBB91_50:
	s_or_b32 exec_lo, exec_lo, s0
	s_delay_alu instid0(SALU_CYCLE_1)
	s_mov_b32 s0, exec_lo
	v_cmpx_gt_i32_e64 s1, v0
	s_cbranch_execz .LBB91_41
.LBB91_51:
	v_add_nc_u32_e32 v1, s2, v0
	v_add_nc_u32_e32 v0, 0x100, v0
	global_store_b16 v1, v8, s[4:5] scale_offset
	s_wait_xcnt 0x0
	s_or_b32 exec_lo, exec_lo, s0
	s_delay_alu instid0(SALU_CYCLE_1)
	s_mov_b32 s0, exec_lo
	v_cmpx_gt_i32_e64 s1, v0
	s_cbranch_execnz .LBB91_42
	s_branch .LBB91_43
	.section	.rodata,"a",@progbits
	.p2align	6, 0x0
	.amdhsa_kernel _ZN2at6native29vectorized_elementwise_kernelILi2EZZZNS0_12_GLOBAL__N_116addr_kernel_cudaERNS_14TensorIteratorERKN3c106ScalarES8_ENKUlvE_clEvENKUlvE3_clEvEUlsssE0_St5arrayIPcLm4EEEEviT0_T1_
		.amdhsa_group_segment_fixed_size 0
		.amdhsa_private_segment_fixed_size 0
		.amdhsa_kernarg_size 40
		.amdhsa_user_sgpr_count 2
		.amdhsa_user_sgpr_dispatch_ptr 0
		.amdhsa_user_sgpr_queue_ptr 0
		.amdhsa_user_sgpr_kernarg_segment_ptr 1
		.amdhsa_user_sgpr_dispatch_id 0
		.amdhsa_user_sgpr_kernarg_preload_length 0
		.amdhsa_user_sgpr_kernarg_preload_offset 0
		.amdhsa_user_sgpr_private_segment_size 0
		.amdhsa_wavefront_size32 1
		.amdhsa_uses_dynamic_stack 0
		.amdhsa_enable_private_segment 0
		.amdhsa_system_sgpr_workgroup_id_x 1
		.amdhsa_system_sgpr_workgroup_id_y 0
		.amdhsa_system_sgpr_workgroup_id_z 0
		.amdhsa_system_sgpr_workgroup_info 0
		.amdhsa_system_vgpr_workitem_id 0
		.amdhsa_next_free_vgpr 28
		.amdhsa_next_free_sgpr 22
		.amdhsa_named_barrier_count 0
		.amdhsa_reserve_vcc 1
		.amdhsa_float_round_mode_32 0
		.amdhsa_float_round_mode_16_64 0
		.amdhsa_float_denorm_mode_32 3
		.amdhsa_float_denorm_mode_16_64 3
		.amdhsa_fp16_overflow 0
		.amdhsa_memory_ordered 1
		.amdhsa_forward_progress 1
		.amdhsa_inst_pref_size 20
		.amdhsa_round_robin_scheduling 0
		.amdhsa_exception_fp_ieee_invalid_op 0
		.amdhsa_exception_fp_denorm_src 0
		.amdhsa_exception_fp_ieee_div_zero 0
		.amdhsa_exception_fp_ieee_overflow 0
		.amdhsa_exception_fp_ieee_underflow 0
		.amdhsa_exception_fp_ieee_inexact 0
		.amdhsa_exception_int_div_zero 0
	.end_amdhsa_kernel
	.section	.text._ZN2at6native29vectorized_elementwise_kernelILi2EZZZNS0_12_GLOBAL__N_116addr_kernel_cudaERNS_14TensorIteratorERKN3c106ScalarES8_ENKUlvE_clEvENKUlvE3_clEvEUlsssE0_St5arrayIPcLm4EEEEviT0_T1_,"axG",@progbits,_ZN2at6native29vectorized_elementwise_kernelILi2EZZZNS0_12_GLOBAL__N_116addr_kernel_cudaERNS_14TensorIteratorERKN3c106ScalarES8_ENKUlvE_clEvENKUlvE3_clEvEUlsssE0_St5arrayIPcLm4EEEEviT0_T1_,comdat
.Lfunc_end91:
	.size	_ZN2at6native29vectorized_elementwise_kernelILi2EZZZNS0_12_GLOBAL__N_116addr_kernel_cudaERNS_14TensorIteratorERKN3c106ScalarES8_ENKUlvE_clEvENKUlvE3_clEvEUlsssE0_St5arrayIPcLm4EEEEviT0_T1_, .Lfunc_end91-_ZN2at6native29vectorized_elementwise_kernelILi2EZZZNS0_12_GLOBAL__N_116addr_kernel_cudaERNS_14TensorIteratorERKN3c106ScalarES8_ENKUlvE_clEvENKUlvE3_clEvEUlsssE0_St5arrayIPcLm4EEEEviT0_T1_
                                        ; -- End function
	.set _ZN2at6native29vectorized_elementwise_kernelILi2EZZZNS0_12_GLOBAL__N_116addr_kernel_cudaERNS_14TensorIteratorERKN3c106ScalarES8_ENKUlvE_clEvENKUlvE3_clEvEUlsssE0_St5arrayIPcLm4EEEEviT0_T1_.num_vgpr, 28
	.set _ZN2at6native29vectorized_elementwise_kernelILi2EZZZNS0_12_GLOBAL__N_116addr_kernel_cudaERNS_14TensorIteratorERKN3c106ScalarES8_ENKUlvE_clEvENKUlvE3_clEvEUlsssE0_St5arrayIPcLm4EEEEviT0_T1_.num_agpr, 0
	.set _ZN2at6native29vectorized_elementwise_kernelILi2EZZZNS0_12_GLOBAL__N_116addr_kernel_cudaERNS_14TensorIteratorERKN3c106ScalarES8_ENKUlvE_clEvENKUlvE3_clEvEUlsssE0_St5arrayIPcLm4EEEEviT0_T1_.numbered_sgpr, 22
	.set _ZN2at6native29vectorized_elementwise_kernelILi2EZZZNS0_12_GLOBAL__N_116addr_kernel_cudaERNS_14TensorIteratorERKN3c106ScalarES8_ENKUlvE_clEvENKUlvE3_clEvEUlsssE0_St5arrayIPcLm4EEEEviT0_T1_.num_named_barrier, 0
	.set _ZN2at6native29vectorized_elementwise_kernelILi2EZZZNS0_12_GLOBAL__N_116addr_kernel_cudaERNS_14TensorIteratorERKN3c106ScalarES8_ENKUlvE_clEvENKUlvE3_clEvEUlsssE0_St5arrayIPcLm4EEEEviT0_T1_.private_seg_size, 0
	.set _ZN2at6native29vectorized_elementwise_kernelILi2EZZZNS0_12_GLOBAL__N_116addr_kernel_cudaERNS_14TensorIteratorERKN3c106ScalarES8_ENKUlvE_clEvENKUlvE3_clEvEUlsssE0_St5arrayIPcLm4EEEEviT0_T1_.uses_vcc, 1
	.set _ZN2at6native29vectorized_elementwise_kernelILi2EZZZNS0_12_GLOBAL__N_116addr_kernel_cudaERNS_14TensorIteratorERKN3c106ScalarES8_ENKUlvE_clEvENKUlvE3_clEvEUlsssE0_St5arrayIPcLm4EEEEviT0_T1_.uses_flat_scratch, 0
	.set _ZN2at6native29vectorized_elementwise_kernelILi2EZZZNS0_12_GLOBAL__N_116addr_kernel_cudaERNS_14TensorIteratorERKN3c106ScalarES8_ENKUlvE_clEvENKUlvE3_clEvEUlsssE0_St5arrayIPcLm4EEEEviT0_T1_.has_dyn_sized_stack, 0
	.set _ZN2at6native29vectorized_elementwise_kernelILi2EZZZNS0_12_GLOBAL__N_116addr_kernel_cudaERNS_14TensorIteratorERKN3c106ScalarES8_ENKUlvE_clEvENKUlvE3_clEvEUlsssE0_St5arrayIPcLm4EEEEviT0_T1_.has_recursion, 0
	.set _ZN2at6native29vectorized_elementwise_kernelILi2EZZZNS0_12_GLOBAL__N_116addr_kernel_cudaERNS_14TensorIteratorERKN3c106ScalarES8_ENKUlvE_clEvENKUlvE3_clEvEUlsssE0_St5arrayIPcLm4EEEEviT0_T1_.has_indirect_call, 0
	.section	.AMDGPU.csdata,"",@progbits
; Kernel info:
; codeLenInByte = 2472
; TotalNumSgprs: 24
; NumVgprs: 28
; ScratchSize: 0
; MemoryBound: 0
; FloatMode: 240
; IeeeMode: 1
; LDSByteSize: 0 bytes/workgroup (compile time only)
; SGPRBlocks: 0
; VGPRBlocks: 1
; NumSGPRsForWavesPerEU: 24
; NumVGPRsForWavesPerEU: 28
; NamedBarCnt: 0
; Occupancy: 16
; WaveLimiterHint : 1
; COMPUTE_PGM_RSRC2:SCRATCH_EN: 0
; COMPUTE_PGM_RSRC2:USER_SGPR: 2
; COMPUTE_PGM_RSRC2:TRAP_HANDLER: 0
; COMPUTE_PGM_RSRC2:TGID_X_EN: 1
; COMPUTE_PGM_RSRC2:TGID_Y_EN: 0
; COMPUTE_PGM_RSRC2:TGID_Z_EN: 0
; COMPUTE_PGM_RSRC2:TIDIG_COMP_CNT: 0
	.section	.text._ZN2at6native27unrolled_elementwise_kernelIZZZNS0_12_GLOBAL__N_116addr_kernel_cudaERNS_14TensorIteratorERKN3c106ScalarES8_ENKUlvE_clEvENKUlvE3_clEvEUlsssE0_St5arrayIPcLm4EELi4E23TrivialOffsetCalculatorILi3EjESF_ILi1EjENS0_6memory15LoadWithoutCastENSI_16StoreWithoutCastEEEviT_T0_T2_T3_T4_T5_,"axG",@progbits,_ZN2at6native27unrolled_elementwise_kernelIZZZNS0_12_GLOBAL__N_116addr_kernel_cudaERNS_14TensorIteratorERKN3c106ScalarES8_ENKUlvE_clEvENKUlvE3_clEvEUlsssE0_St5arrayIPcLm4EELi4E23TrivialOffsetCalculatorILi3EjESF_ILi1EjENS0_6memory15LoadWithoutCastENSI_16StoreWithoutCastEEEviT_T0_T2_T3_T4_T5_,comdat
	.globl	_ZN2at6native27unrolled_elementwise_kernelIZZZNS0_12_GLOBAL__N_116addr_kernel_cudaERNS_14TensorIteratorERKN3c106ScalarES8_ENKUlvE_clEvENKUlvE3_clEvEUlsssE0_St5arrayIPcLm4EELi4E23TrivialOffsetCalculatorILi3EjESF_ILi1EjENS0_6memory15LoadWithoutCastENSI_16StoreWithoutCastEEEviT_T0_T2_T3_T4_T5_ ; -- Begin function _ZN2at6native27unrolled_elementwise_kernelIZZZNS0_12_GLOBAL__N_116addr_kernel_cudaERNS_14TensorIteratorERKN3c106ScalarES8_ENKUlvE_clEvENKUlvE3_clEvEUlsssE0_St5arrayIPcLm4EELi4E23TrivialOffsetCalculatorILi3EjESF_ILi1EjENS0_6memory15LoadWithoutCastENSI_16StoreWithoutCastEEEviT_T0_T2_T3_T4_T5_
	.p2align	8
	.type	_ZN2at6native27unrolled_elementwise_kernelIZZZNS0_12_GLOBAL__N_116addr_kernel_cudaERNS_14TensorIteratorERKN3c106ScalarES8_ENKUlvE_clEvENKUlvE3_clEvEUlsssE0_St5arrayIPcLm4EELi4E23TrivialOffsetCalculatorILi3EjESF_ILi1EjENS0_6memory15LoadWithoutCastENSI_16StoreWithoutCastEEEviT_T0_T2_T3_T4_T5_,@function
_ZN2at6native27unrolled_elementwise_kernelIZZZNS0_12_GLOBAL__N_116addr_kernel_cudaERNS_14TensorIteratorERKN3c106ScalarES8_ENKUlvE_clEvENKUlvE3_clEvEUlsssE0_St5arrayIPcLm4EELi4E23TrivialOffsetCalculatorILi3EjESF_ILi1EjENS0_6memory15LoadWithoutCastENSI_16StoreWithoutCastEEEviT_T0_T2_T3_T4_T5_: ; @_ZN2at6native27unrolled_elementwise_kernelIZZZNS0_12_GLOBAL__N_116addr_kernel_cudaERNS_14TensorIteratorERKN3c106ScalarES8_ENKUlvE_clEvENKUlvE3_clEvEUlsssE0_St5arrayIPcLm4EELi4E23TrivialOffsetCalculatorILi3EjESF_ILi1EjENS0_6memory15LoadWithoutCastENSI_16StoreWithoutCastEEEviT_T0_T2_T3_T4_T5_
; %bb.0:
	s_load_b64 s[2:3], s[0:1], 0x0
	s_bfe_u32 s13, ttmp6, 0x4000c
	s_load_b256 s[4:11], s[0:1], 0x8
	s_add_co_i32 s13, s13, 1
	s_and_b32 s12, ttmp6, 15
	s_wait_xcnt 0x0
	s_mul_i32 s0, ttmp9, s13
	s_getreg_b32 s14, hwreg(HW_REG_IB_STS2, 6, 4)
	s_add_co_i32 s12, s12, s0
	s_cmp_eq_u32 s14, 0
	v_dual_mov_b32 v3, 0 :: v_dual_mov_b32 v4, 0
	s_cselect_b32 s0, ttmp9, s12
	v_dual_mov_b32 v5, 0 :: v_dual_mov_b32 v6, 0
	s_lshl_b32 s1, s0, 10
	v_or_b32_e32 v1, 0x100, v0
	v_dual_mov_b32 v13, v0 :: v_dual_bitop2_b32 v2, s1, v0 bitop3:0x54
	s_wait_kmcnt 0x0
	s_sub_co_i32 s2, s2, s1
	s_delay_alu instid0(SALU_CYCLE_1)
	v_cmp_gt_i32_e32 vcc_lo, s2, v0
	s_and_saveexec_b32 s0, vcc_lo
	s_cbranch_execz .LBB92_2
; %bb.1:
	s_clause 0x2
	global_load_u16 v4, v2, s[6:7] scale_offset
	global_load_u16 v5, v2, s[8:9] scale_offset
	;; [unrolled: 1-line block ×3, first 2 shown]
	v_or_b32_e32 v13, 0x100, v0
.LBB92_2:
	s_wait_xcnt 0x0
	s_or_b32 exec_lo, exec_lo, s0
	v_dual_mov_b32 v8, 0 :: v_dual_mov_b32 v9, 0
	s_mov_b32 s12, exec_lo
	v_cmpx_gt_i32_e64 s2, v13
	s_cbranch_execz .LBB92_4
; %bb.3:
	v_add_nc_u32_e32 v7, s1, v13
	v_add_nc_u32_e32 v13, 0x100, v13
	s_clause 0x2
	global_load_u16 v3, v7, s[6:7] scale_offset
	global_load_u16 v8, v7, s[8:9] scale_offset
	global_load_u16 v9, v7, s[10:11] scale_offset
.LBB92_4:
	s_wait_xcnt 0x0
	s_or_b32 exec_lo, exec_lo, s12
	v_dual_mov_b32 v7, 0 :: v_dual_mov_b32 v10, 0
	v_dual_mov_b32 v11, 0 :: v_dual_mov_b32 v12, 0
	s_mov_b32 s12, exec_lo
	v_cmpx_gt_i32_e64 s2, v13
	s_cbranch_execz .LBB92_6
; %bb.5:
	v_add_nc_u32_e32 v14, s1, v13
	v_add_nc_u32_e32 v13, 0x100, v13
	s_clause 0x2
	global_load_u16 v10, v14, s[6:7] scale_offset
	global_load_u16 v11, v14, s[8:9] scale_offset
	;; [unrolled: 1-line block ×3, first 2 shown]
.LBB92_6:
	s_wait_xcnt 0x0
	s_or_b32 exec_lo, exec_lo, s12
	v_dual_mov_b32 v14, 0 :: v_dual_mov_b32 v15, 0
	s_mov_b32 s12, exec_lo
	v_cmpx_gt_i32_e64 s2, v13
	s_cbranch_execz .LBB92_8
; %bb.7:
	v_add_nc_u32_e32 v13, s1, v13
	s_clause 0x2
	global_load_u16 v7, v13, s[6:7] scale_offset
	global_load_u16 v14, v13, s[8:9] scale_offset
	;; [unrolled: 1-line block ×3, first 2 shown]
.LBB92_8:
	s_wait_xcnt 0x0
	s_or_b32 exec_lo, exec_lo, s12
	s_lshr_b32 s6, s3, 16
                                        ; implicit-def: $vgpr13
	s_and_saveexec_b32 s0, vcc_lo
	s_cbranch_execz .LBB92_10
; %bb.9:
	s_wait_loadcnt 0x2
	v_mul_lo_u16 v4, v4, s3
	s_wait_loadcnt 0x1
	v_mul_lo_u16 v5, v5, s6
	s_wait_loadcnt 0x0
	s_delay_alu instid0(VALU_DEP_1)
	v_mad_u16 v13, v5, v6, v4
.LBB92_10:
	s_or_b32 exec_lo, exec_lo, s0
	s_delay_alu instid0(SALU_CYCLE_1)
	s_mov_b32 s7, exec_lo
                                        ; implicit-def: $vgpr4
	v_cmpx_gt_i32_e64 s2, v1
	s_cbranch_execz .LBB92_12
; %bb.11:
	s_wait_loadcnt 0x2
	v_mul_lo_u16 v3, v3, s3
	s_wait_loadcnt 0x1
	v_mul_lo_u16 v4, v8, s6
	s_wait_loadcnt 0x0
	s_delay_alu instid0(VALU_DEP_1)
	v_mad_u16 v4, v4, v9, v3
.LBB92_12:
	s_or_b32 exec_lo, exec_lo, s7
	s_wait_loadcnt 0x2
	v_or_b32_e32 v3, 0x200, v0
	s_delay_alu instid0(VALU_DEP_1)
	v_cmp_gt_i32_e64 s0, s2, v3
                                        ; implicit-def: $vgpr3
	s_and_saveexec_b32 s7, s0
	s_cbranch_execz .LBB92_14
; %bb.13:
	v_mul_lo_u16 v3, v10, s3
	s_wait_loadcnt 0x1
	v_mul_lo_u16 v5, v11, s6
	s_wait_loadcnt 0x0
	s_delay_alu instid0(VALU_DEP_1)
	v_mad_u16 v3, v5, v12, v3
.LBB92_14:
	s_or_b32 exec_lo, exec_lo, s7
	s_wait_loadcnt 0x1
	v_or_b32_e32 v5, 0x300, v0
	s_delay_alu instid0(VALU_DEP_1)
	v_cmp_gt_i32_e64 s0, s2, v5
                                        ; implicit-def: $vgpr5
	s_and_saveexec_b32 s7, s0
	s_cbranch_execz .LBB92_20
; %bb.15:
	v_mul_lo_u16 v5, v7, s3
	s_wait_loadcnt 0x0
	v_mul_lo_u16 v6, v14, s6
	s_delay_alu instid0(VALU_DEP_1) | instskip(SKIP_2) | instid1(SALU_CYCLE_1)
	v_mad_u16 v5, v6, v15, v5
	s_or_b32 exec_lo, exec_lo, s7
	s_and_saveexec_b32 s0, vcc_lo
	s_xor_b32 s0, exec_lo, s0
	s_cbranch_execnz .LBB92_21
.LBB92_16:
	s_or_b32 exec_lo, exec_lo, s0
	s_delay_alu instid0(SALU_CYCLE_1)
	s_mov_b32 s0, exec_lo
	v_cmpx_gt_i32_e64 s2, v0
	s_cbranch_execz .LBB92_22
.LBB92_17:
	v_add_nc_u32_e32 v1, 0x100, v0
	s_delay_alu instid0(VALU_DEP_1) | instskip(SKIP_3) | instid1(SALU_CYCLE_1)
	v_dual_add_nc_u32 v2, s1, v0 :: v_dual_mov_b32 v0, v1
	global_store_b16 v2, v4, s[4:5] scale_offset
	s_wait_xcnt 0x0
	s_or_b32 exec_lo, exec_lo, s0
	s_mov_b32 s0, exec_lo
	v_cmpx_gt_i32_e64 s2, v0
	s_cbranch_execnz .LBB92_23
.LBB92_18:
	s_or_b32 exec_lo, exec_lo, s0
	s_delay_alu instid0(SALU_CYCLE_1)
	s_mov_b32 s0, exec_lo
	v_cmpx_gt_i32_e64 s2, v0
	s_cbranch_execz .LBB92_24
.LBB92_19:
	v_add_nc_u32_e32 v0, s1, v0
	global_store_b16 v0, v5, s[4:5] scale_offset
	s_endpgm
.LBB92_20:
	s_or_b32 exec_lo, exec_lo, s7
	s_and_saveexec_b32 s0, vcc_lo
	s_delay_alu instid0(SALU_CYCLE_1)
	s_xor_b32 s0, exec_lo, s0
	s_cbranch_execz .LBB92_16
.LBB92_21:
	v_mov_b32_e32 v0, v1
	global_store_b16 v2, v13, s[4:5] scale_offset
	s_wait_xcnt 0x0
	s_or_b32 exec_lo, exec_lo, s0
	s_delay_alu instid0(SALU_CYCLE_1)
	s_mov_b32 s0, exec_lo
	v_cmpx_gt_i32_e64 s2, v0
	s_cbranch_execnz .LBB92_17
.LBB92_22:
	s_or_b32 exec_lo, exec_lo, s0
	s_delay_alu instid0(SALU_CYCLE_1)
	s_mov_b32 s0, exec_lo
	v_cmpx_gt_i32_e64 s2, v0
	s_cbranch_execz .LBB92_18
.LBB92_23:
	v_add_nc_u32_e32 v1, 0x100, v0
	s_delay_alu instid0(VALU_DEP_1) | instskip(SKIP_3) | instid1(SALU_CYCLE_1)
	v_dual_add_nc_u32 v2, s1, v0 :: v_dual_mov_b32 v0, v1
	global_store_b16 v2, v3, s[4:5] scale_offset
	s_wait_xcnt 0x0
	s_or_b32 exec_lo, exec_lo, s0
	s_mov_b32 s0, exec_lo
	v_cmpx_gt_i32_e64 s2, v0
	s_cbranch_execnz .LBB92_19
.LBB92_24:
	s_endpgm
	.section	.rodata,"a",@progbits
	.p2align	6, 0x0
	.amdhsa_kernel _ZN2at6native27unrolled_elementwise_kernelIZZZNS0_12_GLOBAL__N_116addr_kernel_cudaERNS_14TensorIteratorERKN3c106ScalarES8_ENKUlvE_clEvENKUlvE3_clEvEUlsssE0_St5arrayIPcLm4EELi4E23TrivialOffsetCalculatorILi3EjESF_ILi1EjENS0_6memory15LoadWithoutCastENSI_16StoreWithoutCastEEEviT_T0_T2_T3_T4_T5_
		.amdhsa_group_segment_fixed_size 0
		.amdhsa_private_segment_fixed_size 0
		.amdhsa_kernarg_size 44
		.amdhsa_user_sgpr_count 2
		.amdhsa_user_sgpr_dispatch_ptr 0
		.amdhsa_user_sgpr_queue_ptr 0
		.amdhsa_user_sgpr_kernarg_segment_ptr 1
		.amdhsa_user_sgpr_dispatch_id 0
		.amdhsa_user_sgpr_kernarg_preload_length 0
		.amdhsa_user_sgpr_kernarg_preload_offset 0
		.amdhsa_user_sgpr_private_segment_size 0
		.amdhsa_wavefront_size32 1
		.amdhsa_uses_dynamic_stack 0
		.amdhsa_enable_private_segment 0
		.amdhsa_system_sgpr_workgroup_id_x 1
		.amdhsa_system_sgpr_workgroup_id_y 0
		.amdhsa_system_sgpr_workgroup_id_z 0
		.amdhsa_system_sgpr_workgroup_info 0
		.amdhsa_system_vgpr_workitem_id 0
		.amdhsa_next_free_vgpr 16
		.amdhsa_next_free_sgpr 15
		.amdhsa_named_barrier_count 0
		.amdhsa_reserve_vcc 1
		.amdhsa_float_round_mode_32 0
		.amdhsa_float_round_mode_16_64 0
		.amdhsa_float_denorm_mode_32 3
		.amdhsa_float_denorm_mode_16_64 3
		.amdhsa_fp16_overflow 0
		.amdhsa_memory_ordered 1
		.amdhsa_forward_progress 1
		.amdhsa_inst_pref_size 8
		.amdhsa_round_robin_scheduling 0
		.amdhsa_exception_fp_ieee_invalid_op 0
		.amdhsa_exception_fp_denorm_src 0
		.amdhsa_exception_fp_ieee_div_zero 0
		.amdhsa_exception_fp_ieee_overflow 0
		.amdhsa_exception_fp_ieee_underflow 0
		.amdhsa_exception_fp_ieee_inexact 0
		.amdhsa_exception_int_div_zero 0
	.end_amdhsa_kernel
	.section	.text._ZN2at6native27unrolled_elementwise_kernelIZZZNS0_12_GLOBAL__N_116addr_kernel_cudaERNS_14TensorIteratorERKN3c106ScalarES8_ENKUlvE_clEvENKUlvE3_clEvEUlsssE0_St5arrayIPcLm4EELi4E23TrivialOffsetCalculatorILi3EjESF_ILi1EjENS0_6memory15LoadWithoutCastENSI_16StoreWithoutCastEEEviT_T0_T2_T3_T4_T5_,"axG",@progbits,_ZN2at6native27unrolled_elementwise_kernelIZZZNS0_12_GLOBAL__N_116addr_kernel_cudaERNS_14TensorIteratorERKN3c106ScalarES8_ENKUlvE_clEvENKUlvE3_clEvEUlsssE0_St5arrayIPcLm4EELi4E23TrivialOffsetCalculatorILi3EjESF_ILi1EjENS0_6memory15LoadWithoutCastENSI_16StoreWithoutCastEEEviT_T0_T2_T3_T4_T5_,comdat
.Lfunc_end92:
	.size	_ZN2at6native27unrolled_elementwise_kernelIZZZNS0_12_GLOBAL__N_116addr_kernel_cudaERNS_14TensorIteratorERKN3c106ScalarES8_ENKUlvE_clEvENKUlvE3_clEvEUlsssE0_St5arrayIPcLm4EELi4E23TrivialOffsetCalculatorILi3EjESF_ILi1EjENS0_6memory15LoadWithoutCastENSI_16StoreWithoutCastEEEviT_T0_T2_T3_T4_T5_, .Lfunc_end92-_ZN2at6native27unrolled_elementwise_kernelIZZZNS0_12_GLOBAL__N_116addr_kernel_cudaERNS_14TensorIteratorERKN3c106ScalarES8_ENKUlvE_clEvENKUlvE3_clEvEUlsssE0_St5arrayIPcLm4EELi4E23TrivialOffsetCalculatorILi3EjESF_ILi1EjENS0_6memory15LoadWithoutCastENSI_16StoreWithoutCastEEEviT_T0_T2_T3_T4_T5_
                                        ; -- End function
	.set _ZN2at6native27unrolled_elementwise_kernelIZZZNS0_12_GLOBAL__N_116addr_kernel_cudaERNS_14TensorIteratorERKN3c106ScalarES8_ENKUlvE_clEvENKUlvE3_clEvEUlsssE0_St5arrayIPcLm4EELi4E23TrivialOffsetCalculatorILi3EjESF_ILi1EjENS0_6memory15LoadWithoutCastENSI_16StoreWithoutCastEEEviT_T0_T2_T3_T4_T5_.num_vgpr, 16
	.set _ZN2at6native27unrolled_elementwise_kernelIZZZNS0_12_GLOBAL__N_116addr_kernel_cudaERNS_14TensorIteratorERKN3c106ScalarES8_ENKUlvE_clEvENKUlvE3_clEvEUlsssE0_St5arrayIPcLm4EELi4E23TrivialOffsetCalculatorILi3EjESF_ILi1EjENS0_6memory15LoadWithoutCastENSI_16StoreWithoutCastEEEviT_T0_T2_T3_T4_T5_.num_agpr, 0
	.set _ZN2at6native27unrolled_elementwise_kernelIZZZNS0_12_GLOBAL__N_116addr_kernel_cudaERNS_14TensorIteratorERKN3c106ScalarES8_ENKUlvE_clEvENKUlvE3_clEvEUlsssE0_St5arrayIPcLm4EELi4E23TrivialOffsetCalculatorILi3EjESF_ILi1EjENS0_6memory15LoadWithoutCastENSI_16StoreWithoutCastEEEviT_T0_T2_T3_T4_T5_.numbered_sgpr, 15
	.set _ZN2at6native27unrolled_elementwise_kernelIZZZNS0_12_GLOBAL__N_116addr_kernel_cudaERNS_14TensorIteratorERKN3c106ScalarES8_ENKUlvE_clEvENKUlvE3_clEvEUlsssE0_St5arrayIPcLm4EELi4E23TrivialOffsetCalculatorILi3EjESF_ILi1EjENS0_6memory15LoadWithoutCastENSI_16StoreWithoutCastEEEviT_T0_T2_T3_T4_T5_.num_named_barrier, 0
	.set _ZN2at6native27unrolled_elementwise_kernelIZZZNS0_12_GLOBAL__N_116addr_kernel_cudaERNS_14TensorIteratorERKN3c106ScalarES8_ENKUlvE_clEvENKUlvE3_clEvEUlsssE0_St5arrayIPcLm4EELi4E23TrivialOffsetCalculatorILi3EjESF_ILi1EjENS0_6memory15LoadWithoutCastENSI_16StoreWithoutCastEEEviT_T0_T2_T3_T4_T5_.private_seg_size, 0
	.set _ZN2at6native27unrolled_elementwise_kernelIZZZNS0_12_GLOBAL__N_116addr_kernel_cudaERNS_14TensorIteratorERKN3c106ScalarES8_ENKUlvE_clEvENKUlvE3_clEvEUlsssE0_St5arrayIPcLm4EELi4E23TrivialOffsetCalculatorILi3EjESF_ILi1EjENS0_6memory15LoadWithoutCastENSI_16StoreWithoutCastEEEviT_T0_T2_T3_T4_T5_.uses_vcc, 1
	.set _ZN2at6native27unrolled_elementwise_kernelIZZZNS0_12_GLOBAL__N_116addr_kernel_cudaERNS_14TensorIteratorERKN3c106ScalarES8_ENKUlvE_clEvENKUlvE3_clEvEUlsssE0_St5arrayIPcLm4EELi4E23TrivialOffsetCalculatorILi3EjESF_ILi1EjENS0_6memory15LoadWithoutCastENSI_16StoreWithoutCastEEEviT_T0_T2_T3_T4_T5_.uses_flat_scratch, 0
	.set _ZN2at6native27unrolled_elementwise_kernelIZZZNS0_12_GLOBAL__N_116addr_kernel_cudaERNS_14TensorIteratorERKN3c106ScalarES8_ENKUlvE_clEvENKUlvE3_clEvEUlsssE0_St5arrayIPcLm4EELi4E23TrivialOffsetCalculatorILi3EjESF_ILi1EjENS0_6memory15LoadWithoutCastENSI_16StoreWithoutCastEEEviT_T0_T2_T3_T4_T5_.has_dyn_sized_stack, 0
	.set _ZN2at6native27unrolled_elementwise_kernelIZZZNS0_12_GLOBAL__N_116addr_kernel_cudaERNS_14TensorIteratorERKN3c106ScalarES8_ENKUlvE_clEvENKUlvE3_clEvEUlsssE0_St5arrayIPcLm4EELi4E23TrivialOffsetCalculatorILi3EjESF_ILi1EjENS0_6memory15LoadWithoutCastENSI_16StoreWithoutCastEEEviT_T0_T2_T3_T4_T5_.has_recursion, 0
	.set _ZN2at6native27unrolled_elementwise_kernelIZZZNS0_12_GLOBAL__N_116addr_kernel_cudaERNS_14TensorIteratorERKN3c106ScalarES8_ENKUlvE_clEvENKUlvE3_clEvEUlsssE0_St5arrayIPcLm4EELi4E23TrivialOffsetCalculatorILi3EjESF_ILi1EjENS0_6memory15LoadWithoutCastENSI_16StoreWithoutCastEEEviT_T0_T2_T3_T4_T5_.has_indirect_call, 0
	.section	.AMDGPU.csdata,"",@progbits
; Kernel info:
; codeLenInByte = 980
; TotalNumSgprs: 17
; NumVgprs: 16
; ScratchSize: 0
; MemoryBound: 0
; FloatMode: 240
; IeeeMode: 1
; LDSByteSize: 0 bytes/workgroup (compile time only)
; SGPRBlocks: 0
; VGPRBlocks: 0
; NumSGPRsForWavesPerEU: 17
; NumVGPRsForWavesPerEU: 16
; NamedBarCnt: 0
; Occupancy: 16
; WaveLimiterHint : 0
; COMPUTE_PGM_RSRC2:SCRATCH_EN: 0
; COMPUTE_PGM_RSRC2:USER_SGPR: 2
; COMPUTE_PGM_RSRC2:TRAP_HANDLER: 0
; COMPUTE_PGM_RSRC2:TGID_X_EN: 1
; COMPUTE_PGM_RSRC2:TGID_Y_EN: 0
; COMPUTE_PGM_RSRC2:TGID_Z_EN: 0
; COMPUTE_PGM_RSRC2:TIDIG_COMP_CNT: 0
	.section	.text._ZN2at6native32elementwise_kernel_manual_unrollILi128ELi8EZNS0_22gpu_kernel_impl_nocastIZZZNS0_12_GLOBAL__N_116addr_kernel_cudaERNS_14TensorIteratorERKN3c106ScalarES9_ENKUlvE_clEvENKUlvE3_clEvEUlsssE0_EEvRNS_18TensorIteratorBaseERKT_EUlibE_EEviT1_,"axG",@progbits,_ZN2at6native32elementwise_kernel_manual_unrollILi128ELi8EZNS0_22gpu_kernel_impl_nocastIZZZNS0_12_GLOBAL__N_116addr_kernel_cudaERNS_14TensorIteratorERKN3c106ScalarES9_ENKUlvE_clEvENKUlvE3_clEvEUlsssE0_EEvRNS_18TensorIteratorBaseERKT_EUlibE_EEviT1_,comdat
	.globl	_ZN2at6native32elementwise_kernel_manual_unrollILi128ELi8EZNS0_22gpu_kernel_impl_nocastIZZZNS0_12_GLOBAL__N_116addr_kernel_cudaERNS_14TensorIteratorERKN3c106ScalarES9_ENKUlvE_clEvENKUlvE3_clEvEUlsssE0_EEvRNS_18TensorIteratorBaseERKT_EUlibE_EEviT1_ ; -- Begin function _ZN2at6native32elementwise_kernel_manual_unrollILi128ELi8EZNS0_22gpu_kernel_impl_nocastIZZZNS0_12_GLOBAL__N_116addr_kernel_cudaERNS_14TensorIteratorERKN3c106ScalarES9_ENKUlvE_clEvENKUlvE3_clEvEUlsssE0_EEvRNS_18TensorIteratorBaseERKT_EUlibE_EEviT1_
	.p2align	8
	.type	_ZN2at6native32elementwise_kernel_manual_unrollILi128ELi8EZNS0_22gpu_kernel_impl_nocastIZZZNS0_12_GLOBAL__N_116addr_kernel_cudaERNS_14TensorIteratorERKN3c106ScalarES9_ENKUlvE_clEvENKUlvE3_clEvEUlsssE0_EEvRNS_18TensorIteratorBaseERKT_EUlibE_EEviT1_,@function
_ZN2at6native32elementwise_kernel_manual_unrollILi128ELi8EZNS0_22gpu_kernel_impl_nocastIZZZNS0_12_GLOBAL__N_116addr_kernel_cudaERNS_14TensorIteratorERKN3c106ScalarES9_ENKUlvE_clEvENKUlvE3_clEvEUlsssE0_EEvRNS_18TensorIteratorBaseERKT_EUlibE_EEviT1_: ; @_ZN2at6native32elementwise_kernel_manual_unrollILi128ELi8EZNS0_22gpu_kernel_impl_nocastIZZZNS0_12_GLOBAL__N_116addr_kernel_cudaERNS_14TensorIteratorERKN3c106ScalarES9_ENKUlvE_clEvENKUlvE3_clEvEUlsssE0_EEvRNS_18TensorIteratorBaseERKT_EUlibE_EEviT1_
; %bb.0:
	s_clause 0x1
	s_load_b32 s33, s[0:1], 0x8
	s_load_b32 s40, s[0:1], 0x0
	s_bfe_u32 s2, ttmp6, 0x4000c
	s_and_b32 s3, ttmp6, 15
	s_add_co_i32 s2, s2, 1
	s_getreg_b32 s4, hwreg(HW_REG_IB_STS2, 6, 4)
	s_mul_i32 s2, ttmp9, s2
	s_add_nc_u64 s[20:21], s[0:1], 8
	s_add_co_i32 s3, s3, s2
	s_cmp_eq_u32 s4, 0
	s_mov_b32 s25, 0
	s_cselect_b32 s2, ttmp9, s3
	s_wait_xcnt 0x0
	s_mov_b32 s0, exec_lo
	v_lshl_or_b32 v0, s2, 10, v0
	s_delay_alu instid0(VALU_DEP_1) | instskip(SKIP_2) | instid1(SALU_CYCLE_1)
	v_or_b32_e32 v5, 0x380, v0
	s_wait_kmcnt 0x0
	s_add_co_i32 s34, s33, -1
	s_cmp_gt_u32 s34, 1
	s_cselect_b32 s35, -1, 0
	v_cmpx_le_i32_e64 s40, v5
	s_xor_b32 s36, exec_lo, s0
	s_cbranch_execz .LBB93_106
; %bb.1:
	s_clause 0x4
	s_load_b128 s[16:19], s[20:21], 0x4
	s_load_b64 s[22:23], s[20:21], 0x14
	s_load_b256 s[8:15], s[20:21], 0xc4
	s_load_b256 s[0:7], s[20:21], 0x1c8
	s_load_b32 s37, s[20:21], 0x1e8
	s_cmp_lg_u32 s33, 0
	s_mov_b32 s27, s25
	s_cselect_b32 s41, -1, 0
	s_min_u32 s39, s34, 15
	s_cmp_gt_u32 s33, 1
	s_cselect_b32 s38, -1, 0
	s_wait_kmcnt 0x0
	s_mov_b32 s24, s17
	s_mov_b32 s26, s22
	s_mov_b32 s17, exec_lo
	v_cmpx_gt_i32_e64 s40, v0
	s_cbranch_execnz .LBB93_9
; %bb.2:
	s_or_b32 exec_lo, exec_lo, s17
	s_delay_alu instid0(SALU_CYCLE_1)
	s_mov_b32 s17, exec_lo
	v_cmpx_gt_i32_e64 s40, v0
	s_cbranch_execnz .LBB93_21
.LBB93_3:
	s_or_b32 exec_lo, exec_lo, s17
	s_delay_alu instid0(SALU_CYCLE_1)
	s_mov_b32 s17, exec_lo
	v_cmpx_gt_i32_e64 s40, v0
	s_cbranch_execnz .LBB93_33
.LBB93_4:
	s_or_b32 exec_lo, exec_lo, s17
	s_delay_alu instid0(SALU_CYCLE_1)
	s_mov_b32 s17, exec_lo
	v_cmpx_gt_i32_e64 s40, v0
	s_cbranch_execnz .LBB93_45
.LBB93_5:
	s_or_b32 exec_lo, exec_lo, s17
	s_delay_alu instid0(SALU_CYCLE_1)
	s_mov_b32 s17, exec_lo
	v_cmpx_gt_i32_e64 s40, v0
	s_cbranch_execnz .LBB93_57
.LBB93_6:
	s_or_b32 exec_lo, exec_lo, s17
	s_delay_alu instid0(SALU_CYCLE_1)
	s_mov_b32 s17, exec_lo
	v_cmpx_gt_i32_e64 s40, v0
	s_cbranch_execnz .LBB93_69
.LBB93_7:
	s_or_b32 exec_lo, exec_lo, s17
	s_delay_alu instid0(SALU_CYCLE_1)
	s_mov_b32 s17, exec_lo
	v_cmpx_gt_i32_e64 s40, v0
	s_cbranch_execnz .LBB93_81
.LBB93_8:
	s_or_b32 exec_lo, exec_lo, s17
	s_delay_alu instid0(SALU_CYCLE_1)
	s_mov_b32 s17, exec_lo
	v_cmpx_gt_i32_e64 s40, v0
	s_cbranch_execnz .LBB93_93
	s_branch .LBB93_105
.LBB93_9:
	s_and_not1_b32 vcc_lo, exec_lo, s35
	s_cbranch_vccnz .LBB93_15
; %bb.10:
	s_and_not1_b32 vcc_lo, exec_lo, s41
	s_cbranch_vccnz .LBB93_16
; %bb.11:
	v_dual_mov_b32 v6, 0 :: v_dual_mov_b32 v1, v0
	v_dual_mov_b32 v7, 0 :: v_dual_mov_b32 v4, 0
	v_mov_b32_e32 v5, 0
	s_add_co_i32 s22, s39, 1
	s_mov_b64 s[28:29], 0xffffffffffffffe0
	s_and_b32 s22, s22, 30
	s_add_nc_u64 s[28:29], s[20:21], s[28:29]
	s_mov_b64 s[30:31], s[20:21]
.LBB93_12:                              ; =>This Inner Loop Header: Depth=1
	s_clause 0x1
	s_load_b128 s[52:55], s[30:31], 0x4
	s_load_b64 s[42:43], s[30:31], 0x14
	s_load_b256 s[44:51], s[28:29], 0xe4
	s_add_co_i32 s22, s22, -2
	s_wait_xcnt 0x0
	s_add_nc_u64 s[30:31], s[30:31], 24
	s_cmp_lg_u32 s22, 0
	s_add_nc_u64 s[28:29], s[28:29], 32
	s_wait_kmcnt 0x0
	v_mul_hi_u32 v2, s53, v1
	s_delay_alu instid0(VALU_DEP_1) | instskip(NEXT) | instid1(VALU_DEP_1)
	v_add_nc_u32_e32 v2, v1, v2
	v_lshrrev_b32_e32 v2, s54, v2
	s_delay_alu instid0(VALU_DEP_1) | instskip(SKIP_1) | instid1(VALU_DEP_1)
	v_mul_hi_u32 v3, s42, v2
	v_mul_lo_u32 v8, v2, s52
	v_dual_add_nc_u32 v3, v2, v3 :: v_dual_sub_nc_u32 v8, v1, v8
	s_delay_alu instid0(VALU_DEP_1) | instskip(NEXT) | instid1(VALU_DEP_2)
	v_lshrrev_b32_e32 v1, s43, v3
	v_mad_u32 v5, v8, s45, v5
	v_mad_u32 v4, v8, s44, v4
	;; [unrolled: 1-line block ×4, first 2 shown]
	v_mul_lo_u32 v3, v1, s55
	s_delay_alu instid0(VALU_DEP_1) | instskip(NEXT) | instid1(VALU_DEP_1)
	v_sub_nc_u32_e32 v2, v2, v3
	v_mad_u32 v5, v2, s49, v5
	v_mad_u32 v4, v2, s48, v4
	;; [unrolled: 1-line block ×4, first 2 shown]
	s_cbranch_scc1 .LBB93_12
; %bb.13:
	s_bitcmp1_b32 s39, 0
	s_cselect_b32 s22, -1, 0
	s_delay_alu instid0(SALU_CYCLE_1)
	s_and_b32 vcc_lo, exec_lo, s22
	s_cbranch_vccnz .LBB93_17
; %bb.14:
	s_load_b96 s[48:50], s[30:31], 0x4
	s_load_b128 s[44:47], s[28:29], 0xe4
	s_wait_kmcnt 0x0
	v_mul_hi_u32 v2, s49, v1
	s_delay_alu instid0(VALU_DEP_1) | instskip(NEXT) | instid1(VALU_DEP_1)
	v_add_nc_u32_e32 v2, v1, v2
	v_lshrrev_b32_e32 v2, s50, v2
	s_delay_alu instid0(VALU_DEP_1) | instskip(NEXT) | instid1(VALU_DEP_1)
	v_mul_lo_u32 v2, v2, s48
	v_sub_nc_u32_e32 v1, v1, v2
	s_delay_alu instid0(VALU_DEP_1)
	v_mad_u32 v4, v1, s44, v4
	v_mad_u32 v5, v1, s45, v5
	;; [unrolled: 1-line block ×4, first 2 shown]
	s_cbranch_execz .LBB93_18
	s_branch .LBB93_20
.LBB93_15:
                                        ; implicit-def: $vgpr5
                                        ; implicit-def: $vgpr4
                                        ; implicit-def: $vgpr7
                                        ; implicit-def: $vgpr6
	s_branch .LBB93_18
.LBB93_16:
	v_dual_mov_b32 v5, 0 :: v_dual_mov_b32 v4, 0
	v_dual_mov_b32 v7, 0 :: v_dual_mov_b32 v6, 0
.LBB93_17:
	s_cbranch_execnz .LBB93_20
.LBB93_18:
	v_mov_b32_e32 v1, 0
	s_and_not1_b32 vcc_lo, exec_lo, s38
	s_delay_alu instid0(VALU_DEP_1) | instskip(NEXT) | instid1(VALU_DEP_1)
	v_mul_u64_e32 v[2:3], s[24:25], v[0:1]
	v_add_nc_u32_e32 v2, v0, v3
	s_delay_alu instid0(VALU_DEP_1) | instskip(NEXT) | instid1(VALU_DEP_1)
	v_lshrrev_b32_e32 v2, s18, v2
	v_mul_lo_u32 v3, v2, s16
	s_delay_alu instid0(VALU_DEP_1) | instskip(NEXT) | instid1(VALU_DEP_1)
	v_sub_nc_u32_e32 v3, v0, v3
	v_mul_lo_u32 v5, v3, s9
	v_mul_lo_u32 v4, v3, s8
	;; [unrolled: 1-line block ×4, first 2 shown]
	s_cbranch_vccnz .LBB93_20
; %bb.19:
	v_mov_b32_e32 v3, v1
	s_delay_alu instid0(VALU_DEP_1) | instskip(NEXT) | instid1(VALU_DEP_1)
	v_mul_u64_e32 v[8:9], s[26:27], v[2:3]
	v_add_nc_u32_e32 v1, v2, v9
	s_delay_alu instid0(VALU_DEP_1) | instskip(NEXT) | instid1(VALU_DEP_1)
	v_lshrrev_b32_e32 v1, s23, v1
	v_mul_lo_u32 v1, v1, s19
	s_delay_alu instid0(VALU_DEP_1) | instskip(NEXT) | instid1(VALU_DEP_1)
	v_sub_nc_u32_e32 v1, v2, v1
	v_mad_u32 v4, v1, s12, v4
	v_mad_u32 v5, v1, s13, v5
	;; [unrolled: 1-line block ×4, first 2 shown]
.LBB93_20:
	global_load_u16 v1, v5, s[2:3]
	global_load_u16 v2, v6, s[4:5]
	;; [unrolled: 1-line block ×3, first 2 shown]
	v_add_nc_u32_e32 v0, 0x80, v0
	s_wait_loadcnt 0x1
	v_perm_b32 v1, v2, v1, 0x5040100
	s_delay_alu instid0(VALU_DEP_1) | instskip(NEXT) | instid1(VALU_DEP_1)
	v_pk_mul_lo_u16 v1, v1, s37
	v_lshrrev_b32_e32 v2, 16, v1
	s_wait_loadcnt 0x0
	s_delay_alu instid0(VALU_DEP_1) | instskip(SKIP_3) | instid1(SALU_CYCLE_1)
	v_mad_u16 v1, v2, v3, v1
	global_store_b16 v4, v1, s[0:1]
	s_wait_xcnt 0x0
	s_or_b32 exec_lo, exec_lo, s17
	s_mov_b32 s17, exec_lo
	v_cmpx_gt_i32_e64 s40, v0
	s_cbranch_execz .LBB93_3
.LBB93_21:
	s_and_not1_b32 vcc_lo, exec_lo, s35
	s_cbranch_vccnz .LBB93_27
; %bb.22:
	s_and_not1_b32 vcc_lo, exec_lo, s41
	s_cbranch_vccnz .LBB93_28
; %bb.23:
	v_dual_mov_b32 v6, 0 :: v_dual_mov_b32 v1, v0
	v_dual_mov_b32 v7, 0 :: v_dual_mov_b32 v4, 0
	v_mov_b32_e32 v5, 0
	s_add_co_i32 s22, s39, 1
	s_mov_b64 s[28:29], 0xffffffffffffffe0
	s_and_b32 s22, s22, 30
	s_add_nc_u64 s[28:29], s[20:21], s[28:29]
	s_mov_b64 s[30:31], s[20:21]
.LBB93_24:                              ; =>This Inner Loop Header: Depth=1
	s_clause 0x1
	s_load_b128 s[52:55], s[30:31], 0x4
	s_load_b64 s[42:43], s[30:31], 0x14
	s_load_b256 s[44:51], s[28:29], 0xe4
	s_add_co_i32 s22, s22, -2
	s_wait_xcnt 0x0
	s_add_nc_u64 s[30:31], s[30:31], 24
	s_cmp_eq_u32 s22, 0
	s_add_nc_u64 s[28:29], s[28:29], 32
	s_wait_kmcnt 0x0
	v_mul_hi_u32 v2, s53, v1
	s_delay_alu instid0(VALU_DEP_1) | instskip(NEXT) | instid1(VALU_DEP_1)
	v_add_nc_u32_e32 v2, v1, v2
	v_lshrrev_b32_e32 v2, s54, v2
	s_delay_alu instid0(VALU_DEP_1) | instskip(SKIP_1) | instid1(VALU_DEP_1)
	v_mul_hi_u32 v3, s42, v2
	v_mul_lo_u32 v8, v2, s52
	v_dual_add_nc_u32 v3, v2, v3 :: v_dual_sub_nc_u32 v8, v1, v8
	s_delay_alu instid0(VALU_DEP_1) | instskip(NEXT) | instid1(VALU_DEP_2)
	v_lshrrev_b32_e32 v1, s43, v3
	v_mad_u32 v5, v8, s45, v5
	v_mad_u32 v4, v8, s44, v4
	;; [unrolled: 1-line block ×4, first 2 shown]
	v_mul_lo_u32 v3, v1, s55
	s_delay_alu instid0(VALU_DEP_1) | instskip(NEXT) | instid1(VALU_DEP_1)
	v_sub_nc_u32_e32 v2, v2, v3
	v_mad_u32 v5, v2, s49, v5
	v_mad_u32 v4, v2, s48, v4
	;; [unrolled: 1-line block ×4, first 2 shown]
	s_cbranch_scc0 .LBB93_24
; %bb.25:
	s_bitcmp1_b32 s39, 0
	s_cselect_b32 s22, -1, 0
	s_delay_alu instid0(SALU_CYCLE_1)
	s_and_b32 vcc_lo, exec_lo, s22
	s_cbranch_vccnz .LBB93_29
; %bb.26:
	s_load_b96 s[48:50], s[30:31], 0x4
	s_load_b128 s[44:47], s[28:29], 0xe4
	s_wait_kmcnt 0x0
	v_mul_hi_u32 v2, s49, v1
	s_delay_alu instid0(VALU_DEP_1) | instskip(NEXT) | instid1(VALU_DEP_1)
	v_add_nc_u32_e32 v2, v1, v2
	v_lshrrev_b32_e32 v2, s50, v2
	s_delay_alu instid0(VALU_DEP_1) | instskip(NEXT) | instid1(VALU_DEP_1)
	v_mul_lo_u32 v2, v2, s48
	v_sub_nc_u32_e32 v1, v1, v2
	s_delay_alu instid0(VALU_DEP_1)
	v_mad_u32 v4, v1, s44, v4
	v_mad_u32 v5, v1, s45, v5
	v_mad_u32 v6, v1, s46, v6
	v_mad_u32 v7, v1, s47, v7
	s_branch .LBB93_29
.LBB93_27:
                                        ; implicit-def: $vgpr5
                                        ; implicit-def: $vgpr4
                                        ; implicit-def: $vgpr7
                                        ; implicit-def: $vgpr6
	s_branch .LBB93_30
.LBB93_28:
	v_dual_mov_b32 v5, 0 :: v_dual_mov_b32 v4, 0
	v_dual_mov_b32 v7, 0 :: v_dual_mov_b32 v6, 0
.LBB93_29:
	s_cbranch_execnz .LBB93_32
.LBB93_30:
	v_mov_b32_e32 v1, 0
	s_and_not1_b32 vcc_lo, exec_lo, s38
	s_delay_alu instid0(VALU_DEP_1) | instskip(NEXT) | instid1(VALU_DEP_1)
	v_mul_u64_e32 v[2:3], s[24:25], v[0:1]
	v_add_nc_u32_e32 v2, v0, v3
	s_delay_alu instid0(VALU_DEP_1) | instskip(NEXT) | instid1(VALU_DEP_1)
	v_lshrrev_b32_e32 v2, s18, v2
	v_mul_lo_u32 v3, v2, s16
	s_delay_alu instid0(VALU_DEP_1) | instskip(NEXT) | instid1(VALU_DEP_1)
	v_sub_nc_u32_e32 v3, v0, v3
	v_mul_lo_u32 v5, v3, s9
	v_mul_lo_u32 v4, v3, s8
	;; [unrolled: 1-line block ×4, first 2 shown]
	s_cbranch_vccnz .LBB93_32
; %bb.31:
	v_mov_b32_e32 v3, v1
	s_delay_alu instid0(VALU_DEP_1) | instskip(NEXT) | instid1(VALU_DEP_1)
	v_mul_u64_e32 v[8:9], s[26:27], v[2:3]
	v_add_nc_u32_e32 v1, v2, v9
	s_delay_alu instid0(VALU_DEP_1) | instskip(NEXT) | instid1(VALU_DEP_1)
	v_lshrrev_b32_e32 v1, s23, v1
	v_mul_lo_u32 v1, v1, s19
	s_delay_alu instid0(VALU_DEP_1) | instskip(NEXT) | instid1(VALU_DEP_1)
	v_sub_nc_u32_e32 v1, v2, v1
	v_mad_u32 v4, v1, s12, v4
	v_mad_u32 v5, v1, s13, v5
	;; [unrolled: 1-line block ×4, first 2 shown]
.LBB93_32:
	global_load_u16 v1, v5, s[2:3]
	global_load_u16 v2, v6, s[4:5]
	;; [unrolled: 1-line block ×3, first 2 shown]
	v_add_nc_u32_e32 v0, 0x80, v0
	s_wait_loadcnt 0x1
	v_perm_b32 v1, v2, v1, 0x5040100
	s_delay_alu instid0(VALU_DEP_1) | instskip(NEXT) | instid1(VALU_DEP_1)
	v_pk_mul_lo_u16 v1, v1, s37
	v_lshrrev_b32_e32 v2, 16, v1
	s_wait_loadcnt 0x0
	s_delay_alu instid0(VALU_DEP_1) | instskip(SKIP_3) | instid1(SALU_CYCLE_1)
	v_mad_u16 v1, v2, v3, v1
	global_store_b16 v4, v1, s[0:1]
	s_wait_xcnt 0x0
	s_or_b32 exec_lo, exec_lo, s17
	s_mov_b32 s17, exec_lo
	v_cmpx_gt_i32_e64 s40, v0
	s_cbranch_execz .LBB93_4
.LBB93_33:
	s_and_not1_b32 vcc_lo, exec_lo, s35
	s_cbranch_vccnz .LBB93_39
; %bb.34:
	s_and_not1_b32 vcc_lo, exec_lo, s41
	s_cbranch_vccnz .LBB93_40
; %bb.35:
	v_dual_mov_b32 v6, 0 :: v_dual_mov_b32 v1, v0
	v_dual_mov_b32 v7, 0 :: v_dual_mov_b32 v4, 0
	v_mov_b32_e32 v5, 0
	s_add_co_i32 s22, s39, 1
	s_mov_b64 s[28:29], 0xffffffffffffffe0
	s_and_b32 s22, s22, 30
	s_add_nc_u64 s[28:29], s[20:21], s[28:29]
	s_mov_b64 s[30:31], s[20:21]
.LBB93_36:                              ; =>This Inner Loop Header: Depth=1
	s_clause 0x1
	s_load_b128 s[52:55], s[30:31], 0x4
	s_load_b64 s[42:43], s[30:31], 0x14
	s_load_b256 s[44:51], s[28:29], 0xe4
	s_add_co_i32 s22, s22, -2
	s_wait_xcnt 0x0
	s_add_nc_u64 s[30:31], s[30:31], 24
	s_cmp_eq_u32 s22, 0
	s_add_nc_u64 s[28:29], s[28:29], 32
	s_wait_kmcnt 0x0
	v_mul_hi_u32 v2, s53, v1
	s_delay_alu instid0(VALU_DEP_1) | instskip(NEXT) | instid1(VALU_DEP_1)
	v_add_nc_u32_e32 v2, v1, v2
	v_lshrrev_b32_e32 v2, s54, v2
	s_delay_alu instid0(VALU_DEP_1) | instskip(SKIP_1) | instid1(VALU_DEP_1)
	v_mul_hi_u32 v3, s42, v2
	v_mul_lo_u32 v8, v2, s52
	v_dual_add_nc_u32 v3, v2, v3 :: v_dual_sub_nc_u32 v8, v1, v8
	s_delay_alu instid0(VALU_DEP_1) | instskip(NEXT) | instid1(VALU_DEP_2)
	v_lshrrev_b32_e32 v1, s43, v3
	v_mad_u32 v5, v8, s45, v5
	v_mad_u32 v4, v8, s44, v4
	;; [unrolled: 1-line block ×4, first 2 shown]
	v_mul_lo_u32 v3, v1, s55
	s_delay_alu instid0(VALU_DEP_1) | instskip(NEXT) | instid1(VALU_DEP_1)
	v_sub_nc_u32_e32 v2, v2, v3
	v_mad_u32 v5, v2, s49, v5
	v_mad_u32 v4, v2, s48, v4
	;; [unrolled: 1-line block ×4, first 2 shown]
	s_cbranch_scc0 .LBB93_36
; %bb.37:
	s_bitcmp1_b32 s39, 0
	s_cselect_b32 s22, -1, 0
	s_delay_alu instid0(SALU_CYCLE_1)
	s_and_b32 vcc_lo, exec_lo, s22
	s_cbranch_vccnz .LBB93_41
; %bb.38:
	s_load_b96 s[48:50], s[30:31], 0x4
	s_load_b128 s[44:47], s[28:29], 0xe4
	s_wait_kmcnt 0x0
	v_mul_hi_u32 v2, s49, v1
	s_delay_alu instid0(VALU_DEP_1) | instskip(NEXT) | instid1(VALU_DEP_1)
	v_add_nc_u32_e32 v2, v1, v2
	v_lshrrev_b32_e32 v2, s50, v2
	s_delay_alu instid0(VALU_DEP_1) | instskip(NEXT) | instid1(VALU_DEP_1)
	v_mul_lo_u32 v2, v2, s48
	v_sub_nc_u32_e32 v1, v1, v2
	s_delay_alu instid0(VALU_DEP_1)
	v_mad_u32 v4, v1, s44, v4
	v_mad_u32 v5, v1, s45, v5
	;; [unrolled: 1-line block ×4, first 2 shown]
	s_branch .LBB93_41
.LBB93_39:
                                        ; implicit-def: $vgpr5
                                        ; implicit-def: $vgpr4
                                        ; implicit-def: $vgpr7
                                        ; implicit-def: $vgpr6
	s_branch .LBB93_42
.LBB93_40:
	v_dual_mov_b32 v5, 0 :: v_dual_mov_b32 v4, 0
	v_dual_mov_b32 v7, 0 :: v_dual_mov_b32 v6, 0
.LBB93_41:
	s_cbranch_execnz .LBB93_44
.LBB93_42:
	v_mov_b32_e32 v1, 0
	s_and_not1_b32 vcc_lo, exec_lo, s38
	s_delay_alu instid0(VALU_DEP_1) | instskip(NEXT) | instid1(VALU_DEP_1)
	v_mul_u64_e32 v[2:3], s[24:25], v[0:1]
	v_add_nc_u32_e32 v2, v0, v3
	s_delay_alu instid0(VALU_DEP_1) | instskip(NEXT) | instid1(VALU_DEP_1)
	v_lshrrev_b32_e32 v2, s18, v2
	v_mul_lo_u32 v3, v2, s16
	s_delay_alu instid0(VALU_DEP_1) | instskip(NEXT) | instid1(VALU_DEP_1)
	v_sub_nc_u32_e32 v3, v0, v3
	v_mul_lo_u32 v5, v3, s9
	v_mul_lo_u32 v4, v3, s8
	;; [unrolled: 1-line block ×4, first 2 shown]
	s_cbranch_vccnz .LBB93_44
; %bb.43:
	v_mov_b32_e32 v3, v1
	s_delay_alu instid0(VALU_DEP_1) | instskip(NEXT) | instid1(VALU_DEP_1)
	v_mul_u64_e32 v[8:9], s[26:27], v[2:3]
	v_add_nc_u32_e32 v1, v2, v9
	s_delay_alu instid0(VALU_DEP_1) | instskip(NEXT) | instid1(VALU_DEP_1)
	v_lshrrev_b32_e32 v1, s23, v1
	v_mul_lo_u32 v1, v1, s19
	s_delay_alu instid0(VALU_DEP_1) | instskip(NEXT) | instid1(VALU_DEP_1)
	v_sub_nc_u32_e32 v1, v2, v1
	v_mad_u32 v4, v1, s12, v4
	v_mad_u32 v5, v1, s13, v5
	;; [unrolled: 1-line block ×4, first 2 shown]
.LBB93_44:
	global_load_u16 v1, v5, s[2:3]
	global_load_u16 v2, v6, s[4:5]
	;; [unrolled: 1-line block ×3, first 2 shown]
	v_add_nc_u32_e32 v0, 0x80, v0
	s_wait_loadcnt 0x1
	v_perm_b32 v1, v2, v1, 0x5040100
	s_delay_alu instid0(VALU_DEP_1) | instskip(NEXT) | instid1(VALU_DEP_1)
	v_pk_mul_lo_u16 v1, v1, s37
	v_lshrrev_b32_e32 v2, 16, v1
	s_wait_loadcnt 0x0
	s_delay_alu instid0(VALU_DEP_1) | instskip(SKIP_3) | instid1(SALU_CYCLE_1)
	v_mad_u16 v1, v2, v3, v1
	global_store_b16 v4, v1, s[0:1]
	s_wait_xcnt 0x0
	s_or_b32 exec_lo, exec_lo, s17
	s_mov_b32 s17, exec_lo
	v_cmpx_gt_i32_e64 s40, v0
	s_cbranch_execz .LBB93_5
.LBB93_45:
	s_and_not1_b32 vcc_lo, exec_lo, s35
	s_cbranch_vccnz .LBB93_51
; %bb.46:
	s_and_not1_b32 vcc_lo, exec_lo, s41
	s_cbranch_vccnz .LBB93_52
; %bb.47:
	v_dual_mov_b32 v6, 0 :: v_dual_mov_b32 v1, v0
	v_dual_mov_b32 v7, 0 :: v_dual_mov_b32 v4, 0
	v_mov_b32_e32 v5, 0
	s_add_co_i32 s22, s39, 1
	s_mov_b64 s[28:29], 0xffffffffffffffe0
	s_and_b32 s22, s22, 30
	s_add_nc_u64 s[28:29], s[20:21], s[28:29]
	s_mov_b64 s[30:31], s[20:21]
.LBB93_48:                              ; =>This Inner Loop Header: Depth=1
	s_clause 0x1
	s_load_b128 s[52:55], s[30:31], 0x4
	s_load_b64 s[42:43], s[30:31], 0x14
	s_load_b256 s[44:51], s[28:29], 0xe4
	s_add_co_i32 s22, s22, -2
	s_wait_xcnt 0x0
	s_add_nc_u64 s[30:31], s[30:31], 24
	s_cmp_eq_u32 s22, 0
	s_add_nc_u64 s[28:29], s[28:29], 32
	s_wait_kmcnt 0x0
	v_mul_hi_u32 v2, s53, v1
	s_delay_alu instid0(VALU_DEP_1) | instskip(NEXT) | instid1(VALU_DEP_1)
	v_add_nc_u32_e32 v2, v1, v2
	v_lshrrev_b32_e32 v2, s54, v2
	s_delay_alu instid0(VALU_DEP_1) | instskip(SKIP_1) | instid1(VALU_DEP_1)
	v_mul_hi_u32 v3, s42, v2
	v_mul_lo_u32 v8, v2, s52
	v_dual_add_nc_u32 v3, v2, v3 :: v_dual_sub_nc_u32 v8, v1, v8
	s_delay_alu instid0(VALU_DEP_1) | instskip(NEXT) | instid1(VALU_DEP_2)
	v_lshrrev_b32_e32 v1, s43, v3
	v_mad_u32 v5, v8, s45, v5
	v_mad_u32 v4, v8, s44, v4
	;; [unrolled: 1-line block ×4, first 2 shown]
	v_mul_lo_u32 v3, v1, s55
	s_delay_alu instid0(VALU_DEP_1) | instskip(NEXT) | instid1(VALU_DEP_1)
	v_sub_nc_u32_e32 v2, v2, v3
	v_mad_u32 v5, v2, s49, v5
	v_mad_u32 v4, v2, s48, v4
	;; [unrolled: 1-line block ×4, first 2 shown]
	s_cbranch_scc0 .LBB93_48
; %bb.49:
	s_bitcmp1_b32 s39, 0
	s_cselect_b32 s22, -1, 0
	s_delay_alu instid0(SALU_CYCLE_1)
	s_and_b32 vcc_lo, exec_lo, s22
	s_cbranch_vccnz .LBB93_53
; %bb.50:
	s_load_b96 s[48:50], s[30:31], 0x4
	s_load_b128 s[44:47], s[28:29], 0xe4
	s_wait_kmcnt 0x0
	v_mul_hi_u32 v2, s49, v1
	s_delay_alu instid0(VALU_DEP_1) | instskip(NEXT) | instid1(VALU_DEP_1)
	v_add_nc_u32_e32 v2, v1, v2
	v_lshrrev_b32_e32 v2, s50, v2
	s_delay_alu instid0(VALU_DEP_1) | instskip(NEXT) | instid1(VALU_DEP_1)
	v_mul_lo_u32 v2, v2, s48
	v_sub_nc_u32_e32 v1, v1, v2
	s_delay_alu instid0(VALU_DEP_1)
	v_mad_u32 v4, v1, s44, v4
	v_mad_u32 v5, v1, s45, v5
	;; [unrolled: 1-line block ×4, first 2 shown]
	s_branch .LBB93_53
.LBB93_51:
                                        ; implicit-def: $vgpr5
                                        ; implicit-def: $vgpr4
                                        ; implicit-def: $vgpr7
                                        ; implicit-def: $vgpr6
	s_branch .LBB93_54
.LBB93_52:
	v_dual_mov_b32 v5, 0 :: v_dual_mov_b32 v4, 0
	v_dual_mov_b32 v7, 0 :: v_dual_mov_b32 v6, 0
.LBB93_53:
	s_cbranch_execnz .LBB93_56
.LBB93_54:
	v_mov_b32_e32 v1, 0
	s_and_not1_b32 vcc_lo, exec_lo, s38
	s_delay_alu instid0(VALU_DEP_1) | instskip(NEXT) | instid1(VALU_DEP_1)
	v_mul_u64_e32 v[2:3], s[24:25], v[0:1]
	v_add_nc_u32_e32 v2, v0, v3
	s_delay_alu instid0(VALU_DEP_1) | instskip(NEXT) | instid1(VALU_DEP_1)
	v_lshrrev_b32_e32 v2, s18, v2
	v_mul_lo_u32 v3, v2, s16
	s_delay_alu instid0(VALU_DEP_1) | instskip(NEXT) | instid1(VALU_DEP_1)
	v_sub_nc_u32_e32 v3, v0, v3
	v_mul_lo_u32 v5, v3, s9
	v_mul_lo_u32 v4, v3, s8
	;; [unrolled: 1-line block ×4, first 2 shown]
	s_cbranch_vccnz .LBB93_56
; %bb.55:
	v_mov_b32_e32 v3, v1
	s_delay_alu instid0(VALU_DEP_1) | instskip(NEXT) | instid1(VALU_DEP_1)
	v_mul_u64_e32 v[8:9], s[26:27], v[2:3]
	v_add_nc_u32_e32 v1, v2, v9
	s_delay_alu instid0(VALU_DEP_1) | instskip(NEXT) | instid1(VALU_DEP_1)
	v_lshrrev_b32_e32 v1, s23, v1
	v_mul_lo_u32 v1, v1, s19
	s_delay_alu instid0(VALU_DEP_1) | instskip(NEXT) | instid1(VALU_DEP_1)
	v_sub_nc_u32_e32 v1, v2, v1
	v_mad_u32 v4, v1, s12, v4
	v_mad_u32 v5, v1, s13, v5
	;; [unrolled: 1-line block ×4, first 2 shown]
.LBB93_56:
	global_load_u16 v1, v5, s[2:3]
	global_load_u16 v2, v6, s[4:5]
	;; [unrolled: 1-line block ×3, first 2 shown]
	v_add_nc_u32_e32 v0, 0x80, v0
	s_wait_loadcnt 0x1
	v_perm_b32 v1, v2, v1, 0x5040100
	s_delay_alu instid0(VALU_DEP_1) | instskip(NEXT) | instid1(VALU_DEP_1)
	v_pk_mul_lo_u16 v1, v1, s37
	v_lshrrev_b32_e32 v2, 16, v1
	s_wait_loadcnt 0x0
	s_delay_alu instid0(VALU_DEP_1) | instskip(SKIP_3) | instid1(SALU_CYCLE_1)
	v_mad_u16 v1, v2, v3, v1
	global_store_b16 v4, v1, s[0:1]
	s_wait_xcnt 0x0
	s_or_b32 exec_lo, exec_lo, s17
	s_mov_b32 s17, exec_lo
	v_cmpx_gt_i32_e64 s40, v0
	s_cbranch_execz .LBB93_6
.LBB93_57:
	s_and_not1_b32 vcc_lo, exec_lo, s35
	s_cbranch_vccnz .LBB93_63
; %bb.58:
	s_and_not1_b32 vcc_lo, exec_lo, s41
	s_cbranch_vccnz .LBB93_64
; %bb.59:
	v_dual_mov_b32 v6, 0 :: v_dual_mov_b32 v1, v0
	v_dual_mov_b32 v7, 0 :: v_dual_mov_b32 v4, 0
	v_mov_b32_e32 v5, 0
	s_add_co_i32 s22, s39, 1
	s_mov_b64 s[28:29], 0xffffffffffffffe0
	s_and_b32 s22, s22, 30
	s_add_nc_u64 s[28:29], s[20:21], s[28:29]
	s_mov_b64 s[30:31], s[20:21]
.LBB93_60:                              ; =>This Inner Loop Header: Depth=1
	s_clause 0x1
	s_load_b128 s[52:55], s[30:31], 0x4
	s_load_b64 s[42:43], s[30:31], 0x14
	s_load_b256 s[44:51], s[28:29], 0xe4
	s_add_co_i32 s22, s22, -2
	s_wait_xcnt 0x0
	s_add_nc_u64 s[30:31], s[30:31], 24
	s_cmp_eq_u32 s22, 0
	s_add_nc_u64 s[28:29], s[28:29], 32
	s_wait_kmcnt 0x0
	v_mul_hi_u32 v2, s53, v1
	s_delay_alu instid0(VALU_DEP_1) | instskip(NEXT) | instid1(VALU_DEP_1)
	v_add_nc_u32_e32 v2, v1, v2
	v_lshrrev_b32_e32 v2, s54, v2
	s_delay_alu instid0(VALU_DEP_1) | instskip(SKIP_1) | instid1(VALU_DEP_1)
	v_mul_hi_u32 v3, s42, v2
	v_mul_lo_u32 v8, v2, s52
	v_dual_add_nc_u32 v3, v2, v3 :: v_dual_sub_nc_u32 v8, v1, v8
	s_delay_alu instid0(VALU_DEP_1) | instskip(NEXT) | instid1(VALU_DEP_2)
	v_lshrrev_b32_e32 v1, s43, v3
	v_mad_u32 v5, v8, s45, v5
	v_mad_u32 v4, v8, s44, v4
	;; [unrolled: 1-line block ×4, first 2 shown]
	v_mul_lo_u32 v3, v1, s55
	s_delay_alu instid0(VALU_DEP_1) | instskip(NEXT) | instid1(VALU_DEP_1)
	v_sub_nc_u32_e32 v2, v2, v3
	v_mad_u32 v5, v2, s49, v5
	v_mad_u32 v4, v2, s48, v4
	;; [unrolled: 1-line block ×4, first 2 shown]
	s_cbranch_scc0 .LBB93_60
; %bb.61:
	s_bitcmp1_b32 s39, 0
	s_cselect_b32 s22, -1, 0
	s_delay_alu instid0(SALU_CYCLE_1)
	s_and_b32 vcc_lo, exec_lo, s22
	s_cbranch_vccnz .LBB93_65
; %bb.62:
	s_load_b96 s[48:50], s[30:31], 0x4
	s_load_b128 s[44:47], s[28:29], 0xe4
	s_wait_kmcnt 0x0
	v_mul_hi_u32 v2, s49, v1
	s_delay_alu instid0(VALU_DEP_1) | instskip(NEXT) | instid1(VALU_DEP_1)
	v_add_nc_u32_e32 v2, v1, v2
	v_lshrrev_b32_e32 v2, s50, v2
	s_delay_alu instid0(VALU_DEP_1) | instskip(NEXT) | instid1(VALU_DEP_1)
	v_mul_lo_u32 v2, v2, s48
	v_sub_nc_u32_e32 v1, v1, v2
	s_delay_alu instid0(VALU_DEP_1)
	v_mad_u32 v4, v1, s44, v4
	v_mad_u32 v5, v1, s45, v5
	;; [unrolled: 1-line block ×4, first 2 shown]
	s_branch .LBB93_65
.LBB93_63:
                                        ; implicit-def: $vgpr5
                                        ; implicit-def: $vgpr4
                                        ; implicit-def: $vgpr7
                                        ; implicit-def: $vgpr6
	s_branch .LBB93_66
.LBB93_64:
	v_dual_mov_b32 v5, 0 :: v_dual_mov_b32 v4, 0
	v_dual_mov_b32 v7, 0 :: v_dual_mov_b32 v6, 0
.LBB93_65:
	s_cbranch_execnz .LBB93_68
.LBB93_66:
	v_mov_b32_e32 v1, 0
	s_and_not1_b32 vcc_lo, exec_lo, s38
	s_delay_alu instid0(VALU_DEP_1) | instskip(NEXT) | instid1(VALU_DEP_1)
	v_mul_u64_e32 v[2:3], s[24:25], v[0:1]
	v_add_nc_u32_e32 v2, v0, v3
	s_delay_alu instid0(VALU_DEP_1) | instskip(NEXT) | instid1(VALU_DEP_1)
	v_lshrrev_b32_e32 v2, s18, v2
	v_mul_lo_u32 v3, v2, s16
	s_delay_alu instid0(VALU_DEP_1) | instskip(NEXT) | instid1(VALU_DEP_1)
	v_sub_nc_u32_e32 v3, v0, v3
	v_mul_lo_u32 v5, v3, s9
	v_mul_lo_u32 v4, v3, s8
	;; [unrolled: 1-line block ×4, first 2 shown]
	s_cbranch_vccnz .LBB93_68
; %bb.67:
	v_mov_b32_e32 v3, v1
	s_delay_alu instid0(VALU_DEP_1) | instskip(NEXT) | instid1(VALU_DEP_1)
	v_mul_u64_e32 v[8:9], s[26:27], v[2:3]
	v_add_nc_u32_e32 v1, v2, v9
	s_delay_alu instid0(VALU_DEP_1) | instskip(NEXT) | instid1(VALU_DEP_1)
	v_lshrrev_b32_e32 v1, s23, v1
	v_mul_lo_u32 v1, v1, s19
	s_delay_alu instid0(VALU_DEP_1) | instskip(NEXT) | instid1(VALU_DEP_1)
	v_sub_nc_u32_e32 v1, v2, v1
	v_mad_u32 v4, v1, s12, v4
	v_mad_u32 v5, v1, s13, v5
	v_mad_u32 v6, v1, s14, v6
	v_mad_u32 v7, v1, s15, v7
.LBB93_68:
	global_load_u16 v1, v5, s[2:3]
	global_load_u16 v2, v6, s[4:5]
	;; [unrolled: 1-line block ×3, first 2 shown]
	v_add_nc_u32_e32 v0, 0x80, v0
	s_wait_loadcnt 0x1
	v_perm_b32 v1, v2, v1, 0x5040100
	s_delay_alu instid0(VALU_DEP_1) | instskip(NEXT) | instid1(VALU_DEP_1)
	v_pk_mul_lo_u16 v1, v1, s37
	v_lshrrev_b32_e32 v2, 16, v1
	s_wait_loadcnt 0x0
	s_delay_alu instid0(VALU_DEP_1) | instskip(SKIP_3) | instid1(SALU_CYCLE_1)
	v_mad_u16 v1, v2, v3, v1
	global_store_b16 v4, v1, s[0:1]
	s_wait_xcnt 0x0
	s_or_b32 exec_lo, exec_lo, s17
	s_mov_b32 s17, exec_lo
	v_cmpx_gt_i32_e64 s40, v0
	s_cbranch_execz .LBB93_7
.LBB93_69:
	s_and_not1_b32 vcc_lo, exec_lo, s35
	s_cbranch_vccnz .LBB93_75
; %bb.70:
	s_and_not1_b32 vcc_lo, exec_lo, s41
	s_cbranch_vccnz .LBB93_76
; %bb.71:
	v_dual_mov_b32 v6, 0 :: v_dual_mov_b32 v1, v0
	v_dual_mov_b32 v7, 0 :: v_dual_mov_b32 v4, 0
	v_mov_b32_e32 v5, 0
	s_add_co_i32 s22, s39, 1
	s_mov_b64 s[28:29], 0xffffffffffffffe0
	s_and_b32 s22, s22, 30
	s_add_nc_u64 s[28:29], s[20:21], s[28:29]
	s_mov_b64 s[30:31], s[20:21]
.LBB93_72:                              ; =>This Inner Loop Header: Depth=1
	s_clause 0x1
	s_load_b128 s[52:55], s[30:31], 0x4
	s_load_b64 s[42:43], s[30:31], 0x14
	s_load_b256 s[44:51], s[28:29], 0xe4
	s_add_co_i32 s22, s22, -2
	s_wait_xcnt 0x0
	s_add_nc_u64 s[30:31], s[30:31], 24
	s_cmp_eq_u32 s22, 0
	s_add_nc_u64 s[28:29], s[28:29], 32
	s_wait_kmcnt 0x0
	v_mul_hi_u32 v2, s53, v1
	s_delay_alu instid0(VALU_DEP_1) | instskip(NEXT) | instid1(VALU_DEP_1)
	v_add_nc_u32_e32 v2, v1, v2
	v_lshrrev_b32_e32 v2, s54, v2
	s_delay_alu instid0(VALU_DEP_1) | instskip(SKIP_1) | instid1(VALU_DEP_1)
	v_mul_hi_u32 v3, s42, v2
	v_mul_lo_u32 v8, v2, s52
	v_dual_add_nc_u32 v3, v2, v3 :: v_dual_sub_nc_u32 v8, v1, v8
	s_delay_alu instid0(VALU_DEP_1) | instskip(NEXT) | instid1(VALU_DEP_2)
	v_lshrrev_b32_e32 v1, s43, v3
	v_mad_u32 v5, v8, s45, v5
	v_mad_u32 v4, v8, s44, v4
	;; [unrolled: 1-line block ×4, first 2 shown]
	v_mul_lo_u32 v3, v1, s55
	s_delay_alu instid0(VALU_DEP_1) | instskip(NEXT) | instid1(VALU_DEP_1)
	v_sub_nc_u32_e32 v2, v2, v3
	v_mad_u32 v5, v2, s49, v5
	v_mad_u32 v4, v2, s48, v4
	;; [unrolled: 1-line block ×4, first 2 shown]
	s_cbranch_scc0 .LBB93_72
; %bb.73:
	s_bitcmp1_b32 s39, 0
	s_cselect_b32 s22, -1, 0
	s_delay_alu instid0(SALU_CYCLE_1)
	s_and_b32 vcc_lo, exec_lo, s22
	s_cbranch_vccnz .LBB93_77
; %bb.74:
	s_load_b96 s[48:50], s[30:31], 0x4
	s_load_b128 s[44:47], s[28:29], 0xe4
	s_wait_kmcnt 0x0
	v_mul_hi_u32 v2, s49, v1
	s_delay_alu instid0(VALU_DEP_1) | instskip(NEXT) | instid1(VALU_DEP_1)
	v_add_nc_u32_e32 v2, v1, v2
	v_lshrrev_b32_e32 v2, s50, v2
	s_delay_alu instid0(VALU_DEP_1) | instskip(NEXT) | instid1(VALU_DEP_1)
	v_mul_lo_u32 v2, v2, s48
	v_sub_nc_u32_e32 v1, v1, v2
	s_delay_alu instid0(VALU_DEP_1)
	v_mad_u32 v4, v1, s44, v4
	v_mad_u32 v5, v1, s45, v5
	;; [unrolled: 1-line block ×4, first 2 shown]
	s_branch .LBB93_77
.LBB93_75:
                                        ; implicit-def: $vgpr5
                                        ; implicit-def: $vgpr4
                                        ; implicit-def: $vgpr7
                                        ; implicit-def: $vgpr6
	s_branch .LBB93_78
.LBB93_76:
	v_dual_mov_b32 v5, 0 :: v_dual_mov_b32 v4, 0
	v_dual_mov_b32 v7, 0 :: v_dual_mov_b32 v6, 0
.LBB93_77:
	s_cbranch_execnz .LBB93_80
.LBB93_78:
	v_mov_b32_e32 v1, 0
	s_and_not1_b32 vcc_lo, exec_lo, s38
	s_delay_alu instid0(VALU_DEP_1) | instskip(NEXT) | instid1(VALU_DEP_1)
	v_mul_u64_e32 v[2:3], s[24:25], v[0:1]
	v_add_nc_u32_e32 v2, v0, v3
	s_delay_alu instid0(VALU_DEP_1) | instskip(NEXT) | instid1(VALU_DEP_1)
	v_lshrrev_b32_e32 v2, s18, v2
	v_mul_lo_u32 v3, v2, s16
	s_delay_alu instid0(VALU_DEP_1) | instskip(NEXT) | instid1(VALU_DEP_1)
	v_sub_nc_u32_e32 v3, v0, v3
	v_mul_lo_u32 v5, v3, s9
	v_mul_lo_u32 v4, v3, s8
	;; [unrolled: 1-line block ×4, first 2 shown]
	s_cbranch_vccnz .LBB93_80
; %bb.79:
	v_mov_b32_e32 v3, v1
	s_delay_alu instid0(VALU_DEP_1) | instskip(NEXT) | instid1(VALU_DEP_1)
	v_mul_u64_e32 v[8:9], s[26:27], v[2:3]
	v_add_nc_u32_e32 v1, v2, v9
	s_delay_alu instid0(VALU_DEP_1) | instskip(NEXT) | instid1(VALU_DEP_1)
	v_lshrrev_b32_e32 v1, s23, v1
	v_mul_lo_u32 v1, v1, s19
	s_delay_alu instid0(VALU_DEP_1) | instskip(NEXT) | instid1(VALU_DEP_1)
	v_sub_nc_u32_e32 v1, v2, v1
	v_mad_u32 v4, v1, s12, v4
	v_mad_u32 v5, v1, s13, v5
	;; [unrolled: 1-line block ×4, first 2 shown]
.LBB93_80:
	global_load_u16 v1, v5, s[2:3]
	global_load_u16 v2, v6, s[4:5]
	;; [unrolled: 1-line block ×3, first 2 shown]
	v_add_nc_u32_e32 v0, 0x80, v0
	s_wait_loadcnt 0x1
	v_perm_b32 v1, v2, v1, 0x5040100
	s_delay_alu instid0(VALU_DEP_1) | instskip(NEXT) | instid1(VALU_DEP_1)
	v_pk_mul_lo_u16 v1, v1, s37
	v_lshrrev_b32_e32 v2, 16, v1
	s_wait_loadcnt 0x0
	s_delay_alu instid0(VALU_DEP_1) | instskip(SKIP_3) | instid1(SALU_CYCLE_1)
	v_mad_u16 v1, v2, v3, v1
	global_store_b16 v4, v1, s[0:1]
	s_wait_xcnt 0x0
	s_or_b32 exec_lo, exec_lo, s17
	s_mov_b32 s17, exec_lo
	v_cmpx_gt_i32_e64 s40, v0
	s_cbranch_execz .LBB93_8
.LBB93_81:
	s_and_not1_b32 vcc_lo, exec_lo, s35
	s_cbranch_vccnz .LBB93_87
; %bb.82:
	s_and_not1_b32 vcc_lo, exec_lo, s41
	s_cbranch_vccnz .LBB93_88
; %bb.83:
	v_dual_mov_b32 v6, 0 :: v_dual_mov_b32 v1, v0
	v_dual_mov_b32 v7, 0 :: v_dual_mov_b32 v4, 0
	v_mov_b32_e32 v5, 0
	s_add_co_i32 s22, s39, 1
	s_mov_b64 s[28:29], 0xffffffffffffffe0
	s_and_b32 s22, s22, 30
	s_add_nc_u64 s[28:29], s[20:21], s[28:29]
	s_mov_b64 s[30:31], s[20:21]
.LBB93_84:                              ; =>This Inner Loop Header: Depth=1
	s_clause 0x1
	s_load_b128 s[52:55], s[30:31], 0x4
	s_load_b64 s[42:43], s[30:31], 0x14
	s_load_b256 s[44:51], s[28:29], 0xe4
	s_add_co_i32 s22, s22, -2
	s_wait_xcnt 0x0
	s_add_nc_u64 s[30:31], s[30:31], 24
	s_cmp_eq_u32 s22, 0
	s_add_nc_u64 s[28:29], s[28:29], 32
	s_wait_kmcnt 0x0
	v_mul_hi_u32 v2, s53, v1
	s_delay_alu instid0(VALU_DEP_1) | instskip(NEXT) | instid1(VALU_DEP_1)
	v_add_nc_u32_e32 v2, v1, v2
	v_lshrrev_b32_e32 v2, s54, v2
	s_delay_alu instid0(VALU_DEP_1) | instskip(SKIP_1) | instid1(VALU_DEP_1)
	v_mul_hi_u32 v3, s42, v2
	v_mul_lo_u32 v8, v2, s52
	v_dual_add_nc_u32 v3, v2, v3 :: v_dual_sub_nc_u32 v8, v1, v8
	s_delay_alu instid0(VALU_DEP_1) | instskip(NEXT) | instid1(VALU_DEP_2)
	v_lshrrev_b32_e32 v1, s43, v3
	v_mad_u32 v5, v8, s45, v5
	v_mad_u32 v4, v8, s44, v4
	;; [unrolled: 1-line block ×4, first 2 shown]
	v_mul_lo_u32 v3, v1, s55
	s_delay_alu instid0(VALU_DEP_1) | instskip(NEXT) | instid1(VALU_DEP_1)
	v_sub_nc_u32_e32 v2, v2, v3
	v_mad_u32 v5, v2, s49, v5
	v_mad_u32 v4, v2, s48, v4
	;; [unrolled: 1-line block ×4, first 2 shown]
	s_cbranch_scc0 .LBB93_84
; %bb.85:
	s_bitcmp1_b32 s39, 0
	s_cselect_b32 s22, -1, 0
	s_delay_alu instid0(SALU_CYCLE_1)
	s_and_b32 vcc_lo, exec_lo, s22
	s_cbranch_vccnz .LBB93_89
; %bb.86:
	s_load_b96 s[48:50], s[30:31], 0x4
	s_load_b128 s[44:47], s[28:29], 0xe4
	s_wait_kmcnt 0x0
	v_mul_hi_u32 v2, s49, v1
	s_delay_alu instid0(VALU_DEP_1) | instskip(NEXT) | instid1(VALU_DEP_1)
	v_add_nc_u32_e32 v2, v1, v2
	v_lshrrev_b32_e32 v2, s50, v2
	s_delay_alu instid0(VALU_DEP_1) | instskip(NEXT) | instid1(VALU_DEP_1)
	v_mul_lo_u32 v2, v2, s48
	v_sub_nc_u32_e32 v1, v1, v2
	s_delay_alu instid0(VALU_DEP_1)
	v_mad_u32 v4, v1, s44, v4
	v_mad_u32 v5, v1, s45, v5
	;; [unrolled: 1-line block ×4, first 2 shown]
	s_branch .LBB93_89
.LBB93_87:
                                        ; implicit-def: $vgpr5
                                        ; implicit-def: $vgpr4
                                        ; implicit-def: $vgpr7
                                        ; implicit-def: $vgpr6
	s_branch .LBB93_90
.LBB93_88:
	v_dual_mov_b32 v5, 0 :: v_dual_mov_b32 v4, 0
	v_dual_mov_b32 v7, 0 :: v_dual_mov_b32 v6, 0
.LBB93_89:
	s_cbranch_execnz .LBB93_92
.LBB93_90:
	v_mov_b32_e32 v1, 0
	s_and_not1_b32 vcc_lo, exec_lo, s38
	s_delay_alu instid0(VALU_DEP_1) | instskip(NEXT) | instid1(VALU_DEP_1)
	v_mul_u64_e32 v[2:3], s[24:25], v[0:1]
	v_add_nc_u32_e32 v2, v0, v3
	s_delay_alu instid0(VALU_DEP_1) | instskip(NEXT) | instid1(VALU_DEP_1)
	v_lshrrev_b32_e32 v2, s18, v2
	v_mul_lo_u32 v3, v2, s16
	s_delay_alu instid0(VALU_DEP_1) | instskip(NEXT) | instid1(VALU_DEP_1)
	v_sub_nc_u32_e32 v3, v0, v3
	v_mul_lo_u32 v5, v3, s9
	v_mul_lo_u32 v4, v3, s8
	;; [unrolled: 1-line block ×4, first 2 shown]
	s_cbranch_vccnz .LBB93_92
; %bb.91:
	v_mov_b32_e32 v3, v1
	s_delay_alu instid0(VALU_DEP_1) | instskip(NEXT) | instid1(VALU_DEP_1)
	v_mul_u64_e32 v[8:9], s[26:27], v[2:3]
	v_add_nc_u32_e32 v1, v2, v9
	s_delay_alu instid0(VALU_DEP_1) | instskip(NEXT) | instid1(VALU_DEP_1)
	v_lshrrev_b32_e32 v1, s23, v1
	v_mul_lo_u32 v1, v1, s19
	s_delay_alu instid0(VALU_DEP_1) | instskip(NEXT) | instid1(VALU_DEP_1)
	v_sub_nc_u32_e32 v1, v2, v1
	v_mad_u32 v4, v1, s12, v4
	v_mad_u32 v5, v1, s13, v5
	;; [unrolled: 1-line block ×4, first 2 shown]
.LBB93_92:
	global_load_u16 v1, v5, s[2:3]
	global_load_u16 v2, v6, s[4:5]
	;; [unrolled: 1-line block ×3, first 2 shown]
	v_add_nc_u32_e32 v0, 0x80, v0
	s_wait_loadcnt 0x1
	v_perm_b32 v1, v2, v1, 0x5040100
	s_delay_alu instid0(VALU_DEP_1) | instskip(NEXT) | instid1(VALU_DEP_1)
	v_pk_mul_lo_u16 v1, v1, s37
	v_lshrrev_b32_e32 v2, 16, v1
	s_wait_loadcnt 0x0
	s_delay_alu instid0(VALU_DEP_1) | instskip(SKIP_3) | instid1(SALU_CYCLE_1)
	v_mad_u16 v1, v2, v3, v1
	global_store_b16 v4, v1, s[0:1]
	s_wait_xcnt 0x0
	s_or_b32 exec_lo, exec_lo, s17
	s_mov_b32 s17, exec_lo
	v_cmpx_gt_i32_e64 s40, v0
	s_cbranch_execz .LBB93_105
.LBB93_93:
	s_and_not1_b32 vcc_lo, exec_lo, s35
	s_cbranch_vccnz .LBB93_99
; %bb.94:
	s_and_not1_b32 vcc_lo, exec_lo, s41
	s_cbranch_vccnz .LBB93_100
; %bb.95:
	v_dual_mov_b32 v6, 0 :: v_dual_mov_b32 v1, v0
	v_dual_mov_b32 v7, 0 :: v_dual_mov_b32 v4, 0
	v_mov_b32_e32 v5, 0
	s_add_co_i32 s22, s39, 1
	s_mov_b64 s[28:29], 0xffffffffffffffe0
	s_and_b32 s22, s22, 30
	s_add_nc_u64 s[28:29], s[20:21], s[28:29]
	s_mov_b64 s[30:31], s[20:21]
.LBB93_96:                              ; =>This Inner Loop Header: Depth=1
	s_clause 0x1
	s_load_b128 s[48:51], s[30:31], 0x4
	s_load_b64 s[52:53], s[30:31], 0x14
	s_load_b256 s[40:47], s[28:29], 0xe4
	s_add_co_i32 s22, s22, -2
	s_wait_xcnt 0x0
	s_add_nc_u64 s[30:31], s[30:31], 24
	s_cmp_eq_u32 s22, 0
	s_add_nc_u64 s[28:29], s[28:29], 32
	s_wait_kmcnt 0x0
	v_mul_hi_u32 v2, s49, v1
	s_delay_alu instid0(VALU_DEP_1) | instskip(NEXT) | instid1(VALU_DEP_1)
	v_add_nc_u32_e32 v2, v1, v2
	v_lshrrev_b32_e32 v2, s50, v2
	s_delay_alu instid0(VALU_DEP_1) | instskip(SKIP_1) | instid1(VALU_DEP_1)
	v_mul_hi_u32 v3, s52, v2
	v_mul_lo_u32 v8, v2, s48
	v_dual_add_nc_u32 v3, v2, v3 :: v_dual_sub_nc_u32 v8, v1, v8
	s_delay_alu instid0(VALU_DEP_1) | instskip(NEXT) | instid1(VALU_DEP_2)
	v_lshrrev_b32_e32 v1, s53, v3
	v_mad_u32 v5, v8, s41, v5
	v_mad_u32 v4, v8, s40, v4
	;; [unrolled: 1-line block ×4, first 2 shown]
	v_mul_lo_u32 v3, v1, s51
	s_delay_alu instid0(VALU_DEP_1) | instskip(NEXT) | instid1(VALU_DEP_1)
	v_sub_nc_u32_e32 v2, v2, v3
	v_mad_u32 v5, v2, s45, v5
	v_mad_u32 v4, v2, s44, v4
	;; [unrolled: 1-line block ×4, first 2 shown]
	s_cbranch_scc0 .LBB93_96
; %bb.97:
	s_bitcmp1_b32 s39, 0
	s_cselect_b32 s22, -1, 0
	s_delay_alu instid0(SALU_CYCLE_1)
	s_and_b32 vcc_lo, exec_lo, s22
	s_cbranch_vccnz .LBB93_101
; %bb.98:
	s_load_b96 s[44:46], s[30:31], 0x4
	s_load_b128 s[40:43], s[28:29], 0xe4
	s_wait_kmcnt 0x0
	v_mul_hi_u32 v2, s45, v1
	s_delay_alu instid0(VALU_DEP_1) | instskip(NEXT) | instid1(VALU_DEP_1)
	v_add_nc_u32_e32 v2, v1, v2
	v_lshrrev_b32_e32 v2, s46, v2
	s_delay_alu instid0(VALU_DEP_1) | instskip(NEXT) | instid1(VALU_DEP_1)
	v_mul_lo_u32 v2, v2, s44
	v_sub_nc_u32_e32 v1, v1, v2
	s_delay_alu instid0(VALU_DEP_1)
	v_mad_u32 v4, v1, s40, v4
	v_mad_u32 v5, v1, s41, v5
	;; [unrolled: 1-line block ×4, first 2 shown]
	s_branch .LBB93_101
.LBB93_99:
                                        ; implicit-def: $vgpr5
                                        ; implicit-def: $vgpr4
                                        ; implicit-def: $vgpr7
                                        ; implicit-def: $vgpr6
	s_branch .LBB93_102
.LBB93_100:
	v_dual_mov_b32 v5, 0 :: v_dual_mov_b32 v4, 0
	v_dual_mov_b32 v7, 0 :: v_dual_mov_b32 v6, 0
.LBB93_101:
	s_cbranch_execnz .LBB93_104
.LBB93_102:
	v_mov_b32_e32 v1, 0
	s_and_not1_b32 vcc_lo, exec_lo, s38
	s_delay_alu instid0(VALU_DEP_1) | instskip(NEXT) | instid1(VALU_DEP_1)
	v_mul_u64_e32 v[2:3], s[24:25], v[0:1]
	v_add_nc_u32_e32 v2, v0, v3
	s_delay_alu instid0(VALU_DEP_1) | instskip(NEXT) | instid1(VALU_DEP_1)
	v_lshrrev_b32_e32 v2, s18, v2
	v_mul_lo_u32 v3, v2, s16
	s_delay_alu instid0(VALU_DEP_1) | instskip(NEXT) | instid1(VALU_DEP_1)
	v_sub_nc_u32_e32 v0, v0, v3
	v_mul_lo_u32 v5, v0, s9
	v_mul_lo_u32 v4, v0, s8
	;; [unrolled: 1-line block ×4, first 2 shown]
	s_cbranch_vccnz .LBB93_104
; %bb.103:
	v_mov_b32_e32 v3, v1
	s_delay_alu instid0(VALU_DEP_1) | instskip(NEXT) | instid1(VALU_DEP_1)
	v_mul_u64_e32 v[0:1], s[26:27], v[2:3]
	v_add_nc_u32_e32 v0, v2, v1
	s_delay_alu instid0(VALU_DEP_1) | instskip(NEXT) | instid1(VALU_DEP_1)
	v_lshrrev_b32_e32 v0, s23, v0
	v_mul_lo_u32 v0, v0, s19
	s_delay_alu instid0(VALU_DEP_1) | instskip(NEXT) | instid1(VALU_DEP_1)
	v_sub_nc_u32_e32 v0, v2, v0
	v_mad_u32 v4, v0, s12, v4
	v_mad_u32 v5, v0, s13, v5
	;; [unrolled: 1-line block ×4, first 2 shown]
.LBB93_104:
	global_load_u16 v0, v5, s[2:3]
	global_load_u16 v1, v6, s[4:5]
	;; [unrolled: 1-line block ×3, first 2 shown]
	s_wait_loadcnt 0x1
	v_perm_b32 v0, v1, v0, 0x5040100
	s_delay_alu instid0(VALU_DEP_1) | instskip(NEXT) | instid1(VALU_DEP_1)
	v_pk_mul_lo_u16 v0, v0, s37
	v_lshrrev_b32_e32 v1, 16, v0
	s_wait_loadcnt 0x0
	s_delay_alu instid0(VALU_DEP_1)
	v_mad_u16 v0, v1, v2, v0
	global_store_b16 v4, v0, s[0:1]
.LBB93_105:
	s_wait_xcnt 0x0
	s_or_b32 exec_lo, exec_lo, s17
                                        ; implicit-def: $vgpr5
                                        ; implicit-def: $vgpr0
.LBB93_106:
	s_and_not1_saveexec_b32 s0, s36
	s_cbranch_execz .LBB93_113
; %bb.107:
	v_cndmask_b32_e64 v10, 0, 1, s35
	s_and_not1_b32 vcc_lo, exec_lo, s35
	s_cbranch_vccnz .LBB93_114
; %bb.108:
	s_cmp_lg_u32 s33, 0
	s_mov_b32 s4, 0
	s_cbranch_scc0 .LBB93_118
; %bb.109:
	s_min_u32 s5, s34, 15
	v_dual_mov_b32 v4, 0 :: v_dual_mov_b32 v6, v0
	v_dual_mov_b32 v2, 0 :: v_dual_mov_b32 v1, 0
	v_mov_b32_e32 v3, 0
	s_add_co_i32 s2, s5, 1
	s_mov_b64 s[0:1], 0xffffffffffffffe0
	s_and_b32 s6, s2, 30
	s_add_nc_u64 s[0:1], s[20:21], s[0:1]
	s_mov_b64 s[2:3], s[20:21]
.LBB93_110:                             ; =>This Inner Loop Header: Depth=1
	s_clause 0x1
	s_load_b128 s[16:19], s[2:3], 0x4
	s_load_b64 s[22:23], s[2:3], 0x14
	s_load_b256 s[8:15], s[0:1], 0xe4
	s_add_co_i32 s6, s6, -2
	s_wait_xcnt 0x0
	s_add_nc_u64 s[2:3], s[2:3], 24
	s_cmp_lg_u32 s6, 0
	s_add_nc_u64 s[0:1], s[0:1], 32
	s_wait_kmcnt 0x0
	v_mul_hi_u32 v7, s17, v6
	s_delay_alu instid0(VALU_DEP_1) | instskip(NEXT) | instid1(VALU_DEP_1)
	v_add_nc_u32_e32 v7, v6, v7
	v_lshrrev_b32_e32 v7, s18, v7
	s_delay_alu instid0(VALU_DEP_1) | instskip(SKIP_1) | instid1(VALU_DEP_1)
	v_mul_hi_u32 v8, s22, v7
	v_mul_lo_u32 v9, v7, s16
	v_dual_add_nc_u32 v8, v7, v8 :: v_dual_sub_nc_u32 v9, v6, v9
	s_delay_alu instid0(VALU_DEP_1) | instskip(NEXT) | instid1(VALU_DEP_2)
	v_lshrrev_b32_e32 v6, s23, v8
	v_mad_u32 v3, v9, s9, v3
	v_mad_u32 v1, v9, s8, v1
	;; [unrolled: 1-line block ×4, first 2 shown]
	v_mul_lo_u32 v8, v6, s19
	s_delay_alu instid0(VALU_DEP_1) | instskip(NEXT) | instid1(VALU_DEP_1)
	v_sub_nc_u32_e32 v7, v7, v8
	v_mad_u32 v3, v7, s13, v3
	v_mad_u32 v1, v7, s12, v1
	;; [unrolled: 1-line block ×4, first 2 shown]
	s_cbranch_scc1 .LBB93_110
; %bb.111:
	s_bitcmp1_b32 s5, 0
	s_cselect_b32 s5, -1, 0
	s_delay_alu instid0(SALU_CYCLE_1)
	s_and_b32 vcc_lo, exec_lo, s5
	s_cbranch_vccnz .LBB93_115
; %bb.112:
	s_load_b96 s[12:14], s[2:3], 0x4
	s_load_b128 s[8:11], s[0:1], 0xe4
	s_wait_kmcnt 0x0
	v_mul_hi_u32 v7, s13, v6
	s_delay_alu instid0(VALU_DEP_1) | instskip(NEXT) | instid1(VALU_DEP_1)
	v_add_nc_u32_e32 v7, v6, v7
	v_lshrrev_b32_e32 v7, s14, v7
	s_delay_alu instid0(VALU_DEP_1) | instskip(NEXT) | instid1(VALU_DEP_1)
	v_mul_lo_u32 v7, v7, s12
	v_sub_nc_u32_e32 v6, v6, v7
	s_delay_alu instid0(VALU_DEP_1)
	v_mad_u32 v1, v6, s8, v1
	v_mad_u32 v3, v6, s9, v3
	;; [unrolled: 1-line block ×4, first 2 shown]
	s_and_not1_b32 vcc_lo, exec_lo, s4
	s_cbranch_vccz .LBB93_116
	s_branch .LBB93_119
.LBB93_113:
	s_endpgm
.LBB93_114:
	s_mov_b32 s4, -1
                                        ; implicit-def: $vgpr3
                                        ; implicit-def: $vgpr1
                                        ; implicit-def: $vgpr2
                                        ; implicit-def: $vgpr4
.LBB93_115:
	s_delay_alu instid0(SALU_CYCLE_1)
	s_and_not1_b32 vcc_lo, exec_lo, s4
	s_cbranch_vccnz .LBB93_119
.LBB93_116:
	s_clause 0x1
	s_load_b96 s[4:6], s[20:21], 0x4
	s_load_b128 s[0:3], s[20:21], 0xc4
	s_cmp_lt_u32 s33, 2
	s_wait_kmcnt 0x0
	v_mul_hi_u32 v1, s5, v0
	s_delay_alu instid0(VALU_DEP_1) | instskip(NEXT) | instid1(VALU_DEP_1)
	v_add_nc_u32_e32 v1, v0, v1
	v_lshrrev_b32_e32 v6, s6, v1
	s_delay_alu instid0(VALU_DEP_1) | instskip(NEXT) | instid1(VALU_DEP_1)
	v_mul_lo_u32 v1, v6, s4
	v_sub_nc_u32_e32 v4, v0, v1
	s_delay_alu instid0(VALU_DEP_1)
	v_mul_lo_u32 v3, v4, s1
	v_mul_lo_u32 v1, v4, s0
	;; [unrolled: 1-line block ×4, first 2 shown]
	s_cbranch_scc1 .LBB93_119
; %bb.117:
	s_clause 0x1
	s_load_b96 s[4:6], s[20:21], 0x10
	s_load_b128 s[0:3], s[20:21], 0xd4
	s_wait_kmcnt 0x0
	v_mul_hi_u32 v7, s5, v6
	s_delay_alu instid0(VALU_DEP_1) | instskip(NEXT) | instid1(VALU_DEP_1)
	v_add_nc_u32_e32 v7, v6, v7
	v_lshrrev_b32_e32 v7, s6, v7
	s_delay_alu instid0(VALU_DEP_1) | instskip(NEXT) | instid1(VALU_DEP_1)
	v_mul_lo_u32 v7, v7, s4
	v_sub_nc_u32_e32 v6, v6, v7
	s_delay_alu instid0(VALU_DEP_1)
	v_mad_u32 v1, v6, s0, v1
	v_mad_u32 v3, v6, s1, v3
	;; [unrolled: 1-line block ×4, first 2 shown]
	s_branch .LBB93_119
.LBB93_118:
	v_dual_mov_b32 v3, 0 :: v_dual_mov_b32 v1, 0
	v_dual_mov_b32 v2, 0 :: v_dual_mov_b32 v4, 0
	s_and_not1_b32 vcc_lo, exec_lo, s4
	s_cbranch_vccz .LBB93_116
.LBB93_119:
	v_cmp_ne_u32_e32 vcc_lo, 1, v10
	v_add_nc_u32_e32 v11, 0x80, v0
	s_cbranch_vccnz .LBB93_125
; %bb.120:
	s_cmp_lg_u32 s33, 0
	s_mov_b32 s4, 0
	s_cbranch_scc0 .LBB93_129
; %bb.121:
	s_min_u32 s5, s34, 15
	v_dual_mov_b32 v9, 0 :: v_dual_mov_b32 v12, v11
	v_dual_mov_b32 v7, 0 :: v_dual_mov_b32 v6, 0
	v_mov_b32_e32 v8, 0
	s_add_co_i32 s2, s5, 1
	s_mov_b64 s[0:1], 0xffffffffffffffe0
	s_and_b32 s6, s2, 30
	s_add_nc_u64 s[0:1], s[20:21], s[0:1]
	s_mov_b64 s[2:3], s[20:21]
.LBB93_122:                             ; =>This Inner Loop Header: Depth=1
	s_clause 0x1
	s_load_b128 s[16:19], s[2:3], 0x4
	s_load_b64 s[22:23], s[2:3], 0x14
	s_load_b256 s[8:15], s[0:1], 0xe4
	s_add_co_i32 s6, s6, -2
	s_wait_xcnt 0x0
	s_add_nc_u64 s[2:3], s[2:3], 24
	s_cmp_lg_u32 s6, 0
	s_add_nc_u64 s[0:1], s[0:1], 32
	s_wait_kmcnt 0x0
	v_mul_hi_u32 v13, s17, v12
	s_delay_alu instid0(VALU_DEP_1) | instskip(NEXT) | instid1(VALU_DEP_1)
	v_add_nc_u32_e32 v13, v12, v13
	v_lshrrev_b32_e32 v13, s18, v13
	s_delay_alu instid0(VALU_DEP_1) | instskip(SKIP_1) | instid1(VALU_DEP_1)
	v_mul_hi_u32 v14, s22, v13
	v_mul_lo_u32 v15, v13, s16
	v_dual_add_nc_u32 v14, v13, v14 :: v_dual_sub_nc_u32 v15, v12, v15
	s_delay_alu instid0(VALU_DEP_1) | instskip(NEXT) | instid1(VALU_DEP_2)
	v_lshrrev_b32_e32 v12, s23, v14
	v_mad_u32 v8, v15, s9, v8
	v_mad_u32 v6, v15, s8, v6
	;; [unrolled: 1-line block ×4, first 2 shown]
	v_mul_lo_u32 v14, v12, s19
	s_delay_alu instid0(VALU_DEP_1) | instskip(NEXT) | instid1(VALU_DEP_1)
	v_sub_nc_u32_e32 v13, v13, v14
	v_mad_u32 v8, v13, s13, v8
	v_mad_u32 v6, v13, s12, v6
	;; [unrolled: 1-line block ×4, first 2 shown]
	s_cbranch_scc1 .LBB93_122
; %bb.123:
	s_bitcmp1_b32 s5, 0
	s_cselect_b32 s5, -1, 0
	s_delay_alu instid0(SALU_CYCLE_1)
	s_and_b32 vcc_lo, exec_lo, s5
	s_cbranch_vccnz .LBB93_126
; %bb.124:
	s_load_b96 s[12:14], s[2:3], 0x4
	s_load_b128 s[8:11], s[0:1], 0xe4
	s_wait_kmcnt 0x0
	v_mul_hi_u32 v13, s13, v12
	s_delay_alu instid0(VALU_DEP_1) | instskip(NEXT) | instid1(VALU_DEP_1)
	v_add_nc_u32_e32 v13, v12, v13
	v_lshrrev_b32_e32 v13, s14, v13
	s_delay_alu instid0(VALU_DEP_1) | instskip(NEXT) | instid1(VALU_DEP_1)
	v_mul_lo_u32 v13, v13, s12
	v_sub_nc_u32_e32 v12, v12, v13
	s_delay_alu instid0(VALU_DEP_1)
	v_mad_u32 v6, v12, s8, v6
	v_mad_u32 v8, v12, s9, v8
	;; [unrolled: 1-line block ×4, first 2 shown]
	s_and_not1_b32 vcc_lo, exec_lo, s4
	s_cbranch_vccz .LBB93_127
	s_branch .LBB93_130
.LBB93_125:
	s_mov_b32 s4, -1
                                        ; implicit-def: $vgpr8
                                        ; implicit-def: $vgpr6
                                        ; implicit-def: $vgpr7
                                        ; implicit-def: $vgpr9
.LBB93_126:
	s_delay_alu instid0(SALU_CYCLE_1)
	s_and_not1_b32 vcc_lo, exec_lo, s4
	s_cbranch_vccnz .LBB93_130
.LBB93_127:
	s_clause 0x1
	s_load_b96 s[4:6], s[20:21], 0x4
	s_load_b128 s[0:3], s[20:21], 0xc4
	s_cmp_lt_u32 s33, 2
	s_wait_kmcnt 0x0
	v_mul_hi_u32 v6, s5, v11
	s_delay_alu instid0(VALU_DEP_1) | instskip(NEXT) | instid1(VALU_DEP_1)
	v_add_nc_u32_e32 v6, v11, v6
	v_lshrrev_b32_e32 v12, s6, v6
	s_delay_alu instid0(VALU_DEP_1) | instskip(NEXT) | instid1(VALU_DEP_1)
	v_mul_lo_u32 v6, v12, s4
	v_sub_nc_u32_e32 v9, v11, v6
	s_delay_alu instid0(VALU_DEP_1)
	v_mul_lo_u32 v8, v9, s1
	v_mul_lo_u32 v6, v9, s0
	;; [unrolled: 1-line block ×4, first 2 shown]
	s_cbranch_scc1 .LBB93_130
; %bb.128:
	s_clause 0x1
	s_load_b96 s[4:6], s[20:21], 0x10
	s_load_b128 s[0:3], s[20:21], 0xd4
	s_wait_kmcnt 0x0
	v_mul_hi_u32 v11, s5, v12
	s_delay_alu instid0(VALU_DEP_1) | instskip(NEXT) | instid1(VALU_DEP_1)
	v_add_nc_u32_e32 v11, v12, v11
	v_lshrrev_b32_e32 v11, s6, v11
	s_delay_alu instid0(VALU_DEP_1) | instskip(NEXT) | instid1(VALU_DEP_1)
	v_mul_lo_u32 v11, v11, s4
	v_sub_nc_u32_e32 v11, v12, v11
	s_delay_alu instid0(VALU_DEP_1)
	v_mad_u32 v6, v11, s0, v6
	v_mad_u32 v8, v11, s1, v8
	;; [unrolled: 1-line block ×4, first 2 shown]
	s_branch .LBB93_130
.LBB93_129:
	v_dual_mov_b32 v8, 0 :: v_dual_mov_b32 v6, 0
	v_dual_mov_b32 v7, 0 :: v_dual_mov_b32 v9, 0
	s_and_not1_b32 vcc_lo, exec_lo, s4
	s_cbranch_vccz .LBB93_127
.LBB93_130:
	v_cmp_ne_u32_e32 vcc_lo, 1, v10
	v_add_nc_u32_e32 v15, 0x100, v0
	s_cbranch_vccnz .LBB93_136
; %bb.131:
	s_cmp_lg_u32 s33, 0
	s_mov_b32 s4, 0
	s_cbranch_scc0 .LBB93_140
; %bb.132:
	s_min_u32 s5, s34, 15
	v_dual_mov_b32 v14, 0 :: v_dual_mov_b32 v16, v15
	v_dual_mov_b32 v12, 0 :: v_dual_mov_b32 v11, 0
	v_mov_b32_e32 v13, 0
	s_add_co_i32 s2, s5, 1
	s_mov_b64 s[0:1], 0xffffffffffffffe0
	s_and_b32 s6, s2, 30
	s_add_nc_u64 s[0:1], s[20:21], s[0:1]
	s_mov_b64 s[2:3], s[20:21]
.LBB93_133:                             ; =>This Inner Loop Header: Depth=1
	s_clause 0x1
	s_load_b128 s[16:19], s[2:3], 0x4
	s_load_b64 s[22:23], s[2:3], 0x14
	s_load_b256 s[8:15], s[0:1], 0xe4
	s_add_co_i32 s6, s6, -2
	s_wait_xcnt 0x0
	s_add_nc_u64 s[2:3], s[2:3], 24
	s_cmp_lg_u32 s6, 0
	s_add_nc_u64 s[0:1], s[0:1], 32
	s_wait_kmcnt 0x0
	v_mul_hi_u32 v17, s17, v16
	s_delay_alu instid0(VALU_DEP_1) | instskip(NEXT) | instid1(VALU_DEP_1)
	v_add_nc_u32_e32 v17, v16, v17
	v_lshrrev_b32_e32 v17, s18, v17
	s_delay_alu instid0(VALU_DEP_1) | instskip(SKIP_1) | instid1(VALU_DEP_1)
	v_mul_hi_u32 v18, s22, v17
	v_mul_lo_u32 v19, v17, s16
	v_dual_add_nc_u32 v18, v17, v18 :: v_dual_sub_nc_u32 v19, v16, v19
	s_delay_alu instid0(VALU_DEP_1) | instskip(NEXT) | instid1(VALU_DEP_2)
	v_lshrrev_b32_e32 v16, s23, v18
	v_mad_u32 v13, v19, s9, v13
	v_mad_u32 v11, v19, s8, v11
	v_mad_u32 v12, v19, s11, v12
	v_mad_u32 v14, v19, s10, v14
	v_mul_lo_u32 v18, v16, s19
	s_delay_alu instid0(VALU_DEP_1) | instskip(NEXT) | instid1(VALU_DEP_1)
	v_sub_nc_u32_e32 v17, v17, v18
	v_mad_u32 v13, v17, s13, v13
	v_mad_u32 v11, v17, s12, v11
	v_mad_u32 v12, v17, s15, v12
	v_mad_u32 v14, v17, s14, v14
	s_cbranch_scc1 .LBB93_133
; %bb.134:
	s_bitcmp1_b32 s5, 0
	s_cselect_b32 s5, -1, 0
	s_delay_alu instid0(SALU_CYCLE_1)
	s_and_b32 vcc_lo, exec_lo, s5
	s_cbranch_vccnz .LBB93_137
; %bb.135:
	s_load_b96 s[12:14], s[2:3], 0x4
	s_load_b128 s[8:11], s[0:1], 0xe4
	s_wait_kmcnt 0x0
	v_mul_hi_u32 v17, s13, v16
	s_delay_alu instid0(VALU_DEP_1) | instskip(NEXT) | instid1(VALU_DEP_1)
	v_add_nc_u32_e32 v17, v16, v17
	v_lshrrev_b32_e32 v17, s14, v17
	s_delay_alu instid0(VALU_DEP_1) | instskip(NEXT) | instid1(VALU_DEP_1)
	v_mul_lo_u32 v17, v17, s12
	v_sub_nc_u32_e32 v16, v16, v17
	s_delay_alu instid0(VALU_DEP_1)
	v_mad_u32 v11, v16, s8, v11
	v_mad_u32 v13, v16, s9, v13
	;; [unrolled: 1-line block ×4, first 2 shown]
	s_and_not1_b32 vcc_lo, exec_lo, s4
	s_cbranch_vccz .LBB93_138
	s_branch .LBB93_141
.LBB93_136:
	s_mov_b32 s4, -1
                                        ; implicit-def: $vgpr13
                                        ; implicit-def: $vgpr11
                                        ; implicit-def: $vgpr12
                                        ; implicit-def: $vgpr14
.LBB93_137:
	s_delay_alu instid0(SALU_CYCLE_1)
	s_and_not1_b32 vcc_lo, exec_lo, s4
	s_cbranch_vccnz .LBB93_141
.LBB93_138:
	s_clause 0x1
	s_load_b96 s[4:6], s[20:21], 0x4
	s_load_b128 s[0:3], s[20:21], 0xc4
	s_cmp_lt_u32 s33, 2
	s_wait_kmcnt 0x0
	v_mul_hi_u32 v11, s5, v15
	s_delay_alu instid0(VALU_DEP_1) | instskip(NEXT) | instid1(VALU_DEP_1)
	v_add_nc_u32_e32 v11, v15, v11
	v_lshrrev_b32_e32 v16, s6, v11
	s_delay_alu instid0(VALU_DEP_1) | instskip(NEXT) | instid1(VALU_DEP_1)
	v_mul_lo_u32 v11, v16, s4
	v_sub_nc_u32_e32 v14, v15, v11
	s_delay_alu instid0(VALU_DEP_1)
	v_mul_lo_u32 v13, v14, s1
	v_mul_lo_u32 v11, v14, s0
	;; [unrolled: 1-line block ×4, first 2 shown]
	s_cbranch_scc1 .LBB93_141
; %bb.139:
	s_clause 0x1
	s_load_b96 s[4:6], s[20:21], 0x10
	s_load_b128 s[0:3], s[20:21], 0xd4
	s_wait_kmcnt 0x0
	v_mul_hi_u32 v15, s5, v16
	s_delay_alu instid0(VALU_DEP_1) | instskip(NEXT) | instid1(VALU_DEP_1)
	v_add_nc_u32_e32 v15, v16, v15
	v_lshrrev_b32_e32 v15, s6, v15
	s_delay_alu instid0(VALU_DEP_1) | instskip(NEXT) | instid1(VALU_DEP_1)
	v_mul_lo_u32 v15, v15, s4
	v_sub_nc_u32_e32 v15, v16, v15
	s_delay_alu instid0(VALU_DEP_1)
	v_mad_u32 v11, v15, s0, v11
	v_mad_u32 v13, v15, s1, v13
	;; [unrolled: 1-line block ×4, first 2 shown]
	s_branch .LBB93_141
.LBB93_140:
	v_dual_mov_b32 v13, 0 :: v_dual_mov_b32 v11, 0
	v_dual_mov_b32 v12, 0 :: v_dual_mov_b32 v14, 0
	s_and_not1_b32 vcc_lo, exec_lo, s4
	s_cbranch_vccz .LBB93_138
.LBB93_141:
	v_cmp_ne_u32_e32 vcc_lo, 1, v10
	v_add_nc_u32_e32 v19, 0x180, v0
	s_cbranch_vccnz .LBB93_147
; %bb.142:
	s_cmp_lg_u32 s33, 0
	s_mov_b32 s4, 0
	s_cbranch_scc0 .LBB93_151
; %bb.143:
	s_min_u32 s5, s34, 15
	v_dual_mov_b32 v17, 0 :: v_dual_mov_b32 v20, v19
	v_dual_mov_b32 v16, 0 :: v_dual_mov_b32 v15, 0
	v_mov_b32_e32 v18, 0
	s_add_co_i32 s2, s5, 1
	s_mov_b64 s[0:1], 0xffffffffffffffe0
	s_and_b32 s6, s2, 30
	s_add_nc_u64 s[0:1], s[20:21], s[0:1]
	s_mov_b64 s[2:3], s[20:21]
.LBB93_144:                             ; =>This Inner Loop Header: Depth=1
	s_clause 0x1
	s_load_b128 s[16:19], s[2:3], 0x4
	s_load_b64 s[22:23], s[2:3], 0x14
	s_load_b256 s[8:15], s[0:1], 0xe4
	s_add_co_i32 s6, s6, -2
	s_wait_xcnt 0x0
	s_add_nc_u64 s[2:3], s[2:3], 24
	s_cmp_lg_u32 s6, 0
	s_add_nc_u64 s[0:1], s[0:1], 32
	s_wait_kmcnt 0x0
	v_mul_hi_u32 v21, s17, v20
	s_delay_alu instid0(VALU_DEP_1) | instskip(NEXT) | instid1(VALU_DEP_1)
	v_add_nc_u32_e32 v21, v20, v21
	v_lshrrev_b32_e32 v21, s18, v21
	s_delay_alu instid0(VALU_DEP_1) | instskip(SKIP_1) | instid1(VALU_DEP_1)
	v_mul_hi_u32 v22, s22, v21
	v_mul_lo_u32 v23, v21, s16
	v_dual_add_nc_u32 v22, v21, v22 :: v_dual_sub_nc_u32 v23, v20, v23
	s_delay_alu instid0(VALU_DEP_1) | instskip(NEXT) | instid1(VALU_DEP_2)
	v_lshrrev_b32_e32 v20, s23, v22
	v_mad_u32 v18, v23, s9, v18
	v_mad_u32 v15, v23, s8, v15
	;; [unrolled: 1-line block ×4, first 2 shown]
	v_mul_lo_u32 v22, v20, s19
	s_delay_alu instid0(VALU_DEP_1) | instskip(NEXT) | instid1(VALU_DEP_1)
	v_sub_nc_u32_e32 v21, v21, v22
	v_mad_u32 v18, v21, s13, v18
	v_mad_u32 v15, v21, s12, v15
	;; [unrolled: 1-line block ×4, first 2 shown]
	s_cbranch_scc1 .LBB93_144
; %bb.145:
	s_bitcmp1_b32 s5, 0
	s_cselect_b32 s5, -1, 0
	s_delay_alu instid0(SALU_CYCLE_1)
	s_and_b32 vcc_lo, exec_lo, s5
	s_cbranch_vccnz .LBB93_148
; %bb.146:
	s_load_b96 s[12:14], s[2:3], 0x4
	s_load_b128 s[8:11], s[0:1], 0xe4
	s_wait_kmcnt 0x0
	v_mul_hi_u32 v21, s13, v20
	s_delay_alu instid0(VALU_DEP_1) | instskip(NEXT) | instid1(VALU_DEP_1)
	v_add_nc_u32_e32 v21, v20, v21
	v_lshrrev_b32_e32 v21, s14, v21
	s_delay_alu instid0(VALU_DEP_1) | instskip(NEXT) | instid1(VALU_DEP_1)
	v_mul_lo_u32 v21, v21, s12
	v_sub_nc_u32_e32 v20, v20, v21
	s_delay_alu instid0(VALU_DEP_1)
	v_mad_u32 v15, v20, s8, v15
	v_mad_u32 v18, v20, s9, v18
	;; [unrolled: 1-line block ×4, first 2 shown]
	s_and_not1_b32 vcc_lo, exec_lo, s4
	s_cbranch_vccz .LBB93_149
	s_branch .LBB93_152
.LBB93_147:
	s_mov_b32 s4, -1
                                        ; implicit-def: $vgpr18
                                        ; implicit-def: $vgpr15
                                        ; implicit-def: $vgpr16
                                        ; implicit-def: $vgpr17
.LBB93_148:
	s_delay_alu instid0(SALU_CYCLE_1)
	s_and_not1_b32 vcc_lo, exec_lo, s4
	s_cbranch_vccnz .LBB93_152
.LBB93_149:
	s_clause 0x1
	s_load_b96 s[4:6], s[20:21], 0x4
	s_load_b128 s[0:3], s[20:21], 0xc4
	s_cmp_lt_u32 s33, 2
	s_wait_kmcnt 0x0
	v_mul_hi_u32 v15, s5, v19
	s_delay_alu instid0(VALU_DEP_1) | instskip(NEXT) | instid1(VALU_DEP_1)
	v_add_nc_u32_e32 v15, v19, v15
	v_lshrrev_b32_e32 v20, s6, v15
	s_delay_alu instid0(VALU_DEP_1) | instskip(NEXT) | instid1(VALU_DEP_1)
	v_mul_lo_u32 v15, v20, s4
	v_sub_nc_u32_e32 v17, v19, v15
	s_delay_alu instid0(VALU_DEP_1)
	v_mul_lo_u32 v18, v17, s1
	v_mul_lo_u32 v15, v17, s0
	;; [unrolled: 1-line block ×4, first 2 shown]
	s_cbranch_scc1 .LBB93_152
; %bb.150:
	s_clause 0x1
	s_load_b96 s[4:6], s[20:21], 0x10
	s_load_b128 s[0:3], s[20:21], 0xd4
	s_wait_kmcnt 0x0
	v_mul_hi_u32 v19, s5, v20
	s_delay_alu instid0(VALU_DEP_1) | instskip(NEXT) | instid1(VALU_DEP_1)
	v_add_nc_u32_e32 v19, v20, v19
	v_lshrrev_b32_e32 v19, s6, v19
	s_delay_alu instid0(VALU_DEP_1) | instskip(NEXT) | instid1(VALU_DEP_1)
	v_mul_lo_u32 v19, v19, s4
	v_sub_nc_u32_e32 v19, v20, v19
	s_delay_alu instid0(VALU_DEP_1)
	v_mad_u32 v15, v19, s0, v15
	v_mad_u32 v18, v19, s1, v18
	v_mad_u32 v17, v19, s2, v17
	v_mad_u32 v16, v19, s3, v16
	s_branch .LBB93_152
.LBB93_151:
	v_dual_mov_b32 v18, 0 :: v_dual_mov_b32 v15, 0
	v_dual_mov_b32 v16, 0 :: v_dual_mov_b32 v17, 0
	s_and_not1_b32 vcc_lo, exec_lo, s4
	s_cbranch_vccz .LBB93_149
.LBB93_152:
	v_cmp_ne_u32_e32 vcc_lo, 1, v10
	v_add_nc_u32_e32 v23, 0x200, v0
	s_cbranch_vccnz .LBB93_158
; %bb.153:
	s_cmp_lg_u32 s33, 0
	s_mov_b32 s4, 0
	s_cbranch_scc0 .LBB93_162
; %bb.154:
	s_min_u32 s5, s34, 15
	v_dual_mov_b32 v22, 0 :: v_dual_mov_b32 v24, v23
	v_dual_mov_b32 v20, 0 :: v_dual_mov_b32 v19, 0
	v_mov_b32_e32 v21, 0
	s_add_co_i32 s2, s5, 1
	s_mov_b64 s[0:1], 0xffffffffffffffe0
	s_and_b32 s6, s2, 30
	s_add_nc_u64 s[0:1], s[20:21], s[0:1]
	s_mov_b64 s[2:3], s[20:21]
.LBB93_155:                             ; =>This Inner Loop Header: Depth=1
	s_clause 0x1
	s_load_b128 s[16:19], s[2:3], 0x4
	s_load_b64 s[22:23], s[2:3], 0x14
	s_load_b256 s[8:15], s[0:1], 0xe4
	s_add_co_i32 s6, s6, -2
	s_wait_xcnt 0x0
	s_add_nc_u64 s[2:3], s[2:3], 24
	s_cmp_lg_u32 s6, 0
	s_add_nc_u64 s[0:1], s[0:1], 32
	s_wait_kmcnt 0x0
	v_mul_hi_u32 v25, s17, v24
	s_delay_alu instid0(VALU_DEP_1) | instskip(NEXT) | instid1(VALU_DEP_1)
	v_add_nc_u32_e32 v25, v24, v25
	v_lshrrev_b32_e32 v25, s18, v25
	s_delay_alu instid0(VALU_DEP_1) | instskip(SKIP_1) | instid1(VALU_DEP_1)
	v_mul_hi_u32 v26, s22, v25
	v_mul_lo_u32 v27, v25, s16
	v_dual_add_nc_u32 v26, v25, v26 :: v_dual_sub_nc_u32 v27, v24, v27
	s_delay_alu instid0(VALU_DEP_1) | instskip(NEXT) | instid1(VALU_DEP_2)
	v_lshrrev_b32_e32 v24, s23, v26
	v_mad_u32 v21, v27, s9, v21
	v_mad_u32 v19, v27, s8, v19
	;; [unrolled: 1-line block ×4, first 2 shown]
	v_mul_lo_u32 v26, v24, s19
	s_delay_alu instid0(VALU_DEP_1) | instskip(NEXT) | instid1(VALU_DEP_1)
	v_sub_nc_u32_e32 v25, v25, v26
	v_mad_u32 v21, v25, s13, v21
	v_mad_u32 v19, v25, s12, v19
	v_mad_u32 v20, v25, s15, v20
	v_mad_u32 v22, v25, s14, v22
	s_cbranch_scc1 .LBB93_155
; %bb.156:
	s_bitcmp1_b32 s5, 0
	s_cselect_b32 s5, -1, 0
	s_delay_alu instid0(SALU_CYCLE_1)
	s_and_b32 vcc_lo, exec_lo, s5
	s_cbranch_vccnz .LBB93_159
; %bb.157:
	s_load_b96 s[12:14], s[2:3], 0x4
	s_load_b128 s[8:11], s[0:1], 0xe4
	s_wait_kmcnt 0x0
	v_mul_hi_u32 v25, s13, v24
	s_delay_alu instid0(VALU_DEP_1) | instskip(NEXT) | instid1(VALU_DEP_1)
	v_add_nc_u32_e32 v25, v24, v25
	v_lshrrev_b32_e32 v25, s14, v25
	s_delay_alu instid0(VALU_DEP_1) | instskip(NEXT) | instid1(VALU_DEP_1)
	v_mul_lo_u32 v25, v25, s12
	v_sub_nc_u32_e32 v24, v24, v25
	s_delay_alu instid0(VALU_DEP_1)
	v_mad_u32 v19, v24, s8, v19
	v_mad_u32 v21, v24, s9, v21
	;; [unrolled: 1-line block ×4, first 2 shown]
	s_and_not1_b32 vcc_lo, exec_lo, s4
	s_cbranch_vccz .LBB93_160
	s_branch .LBB93_163
.LBB93_158:
	s_mov_b32 s4, -1
                                        ; implicit-def: $vgpr21
                                        ; implicit-def: $vgpr19
                                        ; implicit-def: $vgpr20
                                        ; implicit-def: $vgpr22
.LBB93_159:
	s_delay_alu instid0(SALU_CYCLE_1)
	s_and_not1_b32 vcc_lo, exec_lo, s4
	s_cbranch_vccnz .LBB93_163
.LBB93_160:
	s_clause 0x1
	s_load_b96 s[4:6], s[20:21], 0x4
	s_load_b128 s[0:3], s[20:21], 0xc4
	s_cmp_lt_u32 s33, 2
	s_wait_kmcnt 0x0
	v_mul_hi_u32 v19, s5, v23
	s_delay_alu instid0(VALU_DEP_1) | instskip(NEXT) | instid1(VALU_DEP_1)
	v_add_nc_u32_e32 v19, v23, v19
	v_lshrrev_b32_e32 v24, s6, v19
	s_delay_alu instid0(VALU_DEP_1) | instskip(NEXT) | instid1(VALU_DEP_1)
	v_mul_lo_u32 v19, v24, s4
	v_sub_nc_u32_e32 v22, v23, v19
	s_delay_alu instid0(VALU_DEP_1)
	v_mul_lo_u32 v21, v22, s1
	v_mul_lo_u32 v19, v22, s0
	;; [unrolled: 1-line block ×4, first 2 shown]
	s_cbranch_scc1 .LBB93_163
; %bb.161:
	s_clause 0x1
	s_load_b96 s[4:6], s[20:21], 0x10
	s_load_b128 s[0:3], s[20:21], 0xd4
	s_wait_kmcnt 0x0
	v_mul_hi_u32 v23, s5, v24
	s_delay_alu instid0(VALU_DEP_1) | instskip(NEXT) | instid1(VALU_DEP_1)
	v_add_nc_u32_e32 v23, v24, v23
	v_lshrrev_b32_e32 v23, s6, v23
	s_delay_alu instid0(VALU_DEP_1) | instskip(NEXT) | instid1(VALU_DEP_1)
	v_mul_lo_u32 v23, v23, s4
	v_sub_nc_u32_e32 v23, v24, v23
	s_delay_alu instid0(VALU_DEP_1)
	v_mad_u32 v19, v23, s0, v19
	v_mad_u32 v21, v23, s1, v21
	;; [unrolled: 1-line block ×4, first 2 shown]
	s_branch .LBB93_163
.LBB93_162:
	v_dual_mov_b32 v21, 0 :: v_dual_mov_b32 v19, 0
	v_dual_mov_b32 v20, 0 :: v_dual_mov_b32 v22, 0
	s_and_not1_b32 vcc_lo, exec_lo, s4
	s_cbranch_vccz .LBB93_160
.LBB93_163:
	v_cmp_ne_u32_e32 vcc_lo, 1, v10
	v_add_nc_u32_e32 v27, 0x280, v0
	s_cbranch_vccnz .LBB93_169
; %bb.164:
	s_cmp_lg_u32 s33, 0
	s_mov_b32 s4, 0
	s_cbranch_scc0 .LBB93_173
; %bb.165:
	s_min_u32 s5, s34, 15
	v_dual_mov_b32 v26, 0 :: v_dual_mov_b32 v28, v27
	v_dual_mov_b32 v24, 0 :: v_dual_mov_b32 v23, 0
	v_mov_b32_e32 v25, 0
	s_add_co_i32 s2, s5, 1
	s_mov_b64 s[0:1], 0xffffffffffffffe0
	s_and_b32 s6, s2, 30
	s_add_nc_u64 s[0:1], s[20:21], s[0:1]
	s_mov_b64 s[2:3], s[20:21]
.LBB93_166:                             ; =>This Inner Loop Header: Depth=1
	s_clause 0x1
	s_load_b128 s[16:19], s[2:3], 0x4
	s_load_b64 s[22:23], s[2:3], 0x14
	s_load_b256 s[8:15], s[0:1], 0xe4
	s_add_co_i32 s6, s6, -2
	s_wait_xcnt 0x0
	s_add_nc_u64 s[2:3], s[2:3], 24
	s_cmp_lg_u32 s6, 0
	s_add_nc_u64 s[0:1], s[0:1], 32
	s_wait_kmcnt 0x0
	v_mul_hi_u32 v29, s17, v28
	s_delay_alu instid0(VALU_DEP_1) | instskip(NEXT) | instid1(VALU_DEP_1)
	v_add_nc_u32_e32 v29, v28, v29
	v_lshrrev_b32_e32 v29, s18, v29
	s_delay_alu instid0(VALU_DEP_1) | instskip(SKIP_1) | instid1(VALU_DEP_1)
	v_mul_hi_u32 v30, s22, v29
	v_mul_lo_u32 v31, v29, s16
	v_dual_add_nc_u32 v30, v29, v30 :: v_dual_sub_nc_u32 v31, v28, v31
	s_delay_alu instid0(VALU_DEP_1) | instskip(NEXT) | instid1(VALU_DEP_2)
	v_lshrrev_b32_e32 v28, s23, v30
	v_mad_u32 v25, v31, s9, v25
	v_mad_u32 v23, v31, s8, v23
	;; [unrolled: 1-line block ×4, first 2 shown]
	v_mul_lo_u32 v30, v28, s19
	s_delay_alu instid0(VALU_DEP_1) | instskip(NEXT) | instid1(VALU_DEP_1)
	v_sub_nc_u32_e32 v29, v29, v30
	v_mad_u32 v25, v29, s13, v25
	v_mad_u32 v23, v29, s12, v23
	;; [unrolled: 1-line block ×4, first 2 shown]
	s_cbranch_scc1 .LBB93_166
; %bb.167:
	s_bitcmp1_b32 s5, 0
	s_cselect_b32 s5, -1, 0
	s_delay_alu instid0(SALU_CYCLE_1)
	s_and_b32 vcc_lo, exec_lo, s5
	s_cbranch_vccnz .LBB93_170
; %bb.168:
	s_load_b96 s[12:14], s[2:3], 0x4
	s_load_b128 s[8:11], s[0:1], 0xe4
	s_wait_kmcnt 0x0
	v_mul_hi_u32 v29, s13, v28
	s_delay_alu instid0(VALU_DEP_1) | instskip(NEXT) | instid1(VALU_DEP_1)
	v_add_nc_u32_e32 v29, v28, v29
	v_lshrrev_b32_e32 v29, s14, v29
	s_delay_alu instid0(VALU_DEP_1) | instskip(NEXT) | instid1(VALU_DEP_1)
	v_mul_lo_u32 v29, v29, s12
	v_sub_nc_u32_e32 v28, v28, v29
	s_delay_alu instid0(VALU_DEP_1)
	v_mad_u32 v23, v28, s8, v23
	v_mad_u32 v25, v28, s9, v25
	;; [unrolled: 1-line block ×4, first 2 shown]
	s_and_not1_b32 vcc_lo, exec_lo, s4
	s_cbranch_vccz .LBB93_171
	s_branch .LBB93_174
.LBB93_169:
	s_mov_b32 s4, -1
                                        ; implicit-def: $vgpr25
                                        ; implicit-def: $vgpr23
                                        ; implicit-def: $vgpr24
                                        ; implicit-def: $vgpr26
.LBB93_170:
	s_delay_alu instid0(SALU_CYCLE_1)
	s_and_not1_b32 vcc_lo, exec_lo, s4
	s_cbranch_vccnz .LBB93_174
.LBB93_171:
	s_clause 0x1
	s_load_b96 s[4:6], s[20:21], 0x4
	s_load_b128 s[0:3], s[20:21], 0xc4
	s_cmp_lt_u32 s33, 2
	s_wait_kmcnt 0x0
	v_mul_hi_u32 v23, s5, v27
	s_delay_alu instid0(VALU_DEP_1) | instskip(NEXT) | instid1(VALU_DEP_1)
	v_add_nc_u32_e32 v23, v27, v23
	v_lshrrev_b32_e32 v28, s6, v23
	s_delay_alu instid0(VALU_DEP_1) | instskip(NEXT) | instid1(VALU_DEP_1)
	v_mul_lo_u32 v23, v28, s4
	v_sub_nc_u32_e32 v26, v27, v23
	s_delay_alu instid0(VALU_DEP_1)
	v_mul_lo_u32 v25, v26, s1
	v_mul_lo_u32 v23, v26, s0
	;; [unrolled: 1-line block ×4, first 2 shown]
	s_cbranch_scc1 .LBB93_174
; %bb.172:
	s_clause 0x1
	s_load_b96 s[4:6], s[20:21], 0x10
	s_load_b128 s[0:3], s[20:21], 0xd4
	s_wait_kmcnt 0x0
	v_mul_hi_u32 v27, s5, v28
	s_delay_alu instid0(VALU_DEP_1) | instskip(NEXT) | instid1(VALU_DEP_1)
	v_add_nc_u32_e32 v27, v28, v27
	v_lshrrev_b32_e32 v27, s6, v27
	s_delay_alu instid0(VALU_DEP_1) | instskip(NEXT) | instid1(VALU_DEP_1)
	v_mul_lo_u32 v27, v27, s4
	v_sub_nc_u32_e32 v27, v28, v27
	s_delay_alu instid0(VALU_DEP_1)
	v_mad_u32 v23, v27, s0, v23
	v_mad_u32 v25, v27, s1, v25
	;; [unrolled: 1-line block ×4, first 2 shown]
	s_branch .LBB93_174
.LBB93_173:
	v_dual_mov_b32 v25, 0 :: v_dual_mov_b32 v23, 0
	v_dual_mov_b32 v24, 0 :: v_dual_mov_b32 v26, 0
	s_and_not1_b32 vcc_lo, exec_lo, s4
	s_cbranch_vccz .LBB93_171
.LBB93_174:
	v_cmp_ne_u32_e32 vcc_lo, 1, v10
	v_add_nc_u32_e32 v30, 0x300, v0
	s_cbranch_vccnz .LBB93_180
; %bb.175:
	s_cmp_lg_u32 s33, 0
	s_mov_b32 s4, 0
	s_cbranch_scc0 .LBB93_184
; %bb.176:
	s_min_u32 s5, s34, 15
	v_dual_mov_b32 v29, 0 :: v_dual_mov_b32 v31, v30
	v_dual_mov_b32 v27, 0 :: v_dual_mov_b32 v0, 0
	v_mov_b32_e32 v28, 0
	s_add_co_i32 s2, s5, 1
	s_mov_b64 s[0:1], 0xffffffffffffffe0
	s_and_b32 s6, s2, 30
	s_add_nc_u64 s[0:1], s[20:21], s[0:1]
	s_mov_b64 s[2:3], s[20:21]
.LBB93_177:                             ; =>This Inner Loop Header: Depth=1
	s_clause 0x1
	s_load_b128 s[16:19], s[2:3], 0x4
	s_load_b64 s[22:23], s[2:3], 0x14
	s_load_b256 s[8:15], s[0:1], 0xe4
	s_add_co_i32 s6, s6, -2
	s_wait_xcnt 0x0
	s_add_nc_u64 s[2:3], s[2:3], 24
	s_cmp_lg_u32 s6, 0
	s_add_nc_u64 s[0:1], s[0:1], 32
	s_wait_kmcnt 0x0
	v_mul_hi_u32 v32, s17, v31
	s_delay_alu instid0(VALU_DEP_1) | instskip(NEXT) | instid1(VALU_DEP_1)
	v_add_nc_u32_e32 v32, v31, v32
	v_lshrrev_b32_e32 v32, s18, v32
	s_delay_alu instid0(VALU_DEP_1) | instskip(SKIP_1) | instid1(VALU_DEP_1)
	v_mul_hi_u32 v33, s22, v32
	v_mul_lo_u32 v34, v32, s16
	v_dual_add_nc_u32 v33, v32, v33 :: v_dual_sub_nc_u32 v34, v31, v34
	s_delay_alu instid0(VALU_DEP_1) | instskip(NEXT) | instid1(VALU_DEP_2)
	v_lshrrev_b32_e32 v31, s23, v33
	v_mad_u32 v28, v34, s9, v28
	v_mad_u32 v0, v34, s8, v0
	;; [unrolled: 1-line block ×4, first 2 shown]
	v_mul_lo_u32 v33, v31, s19
	s_delay_alu instid0(VALU_DEP_1) | instskip(NEXT) | instid1(VALU_DEP_1)
	v_sub_nc_u32_e32 v32, v32, v33
	v_mad_u32 v28, v32, s13, v28
	v_mad_u32 v0, v32, s12, v0
	;; [unrolled: 1-line block ×4, first 2 shown]
	s_cbranch_scc1 .LBB93_177
; %bb.178:
	s_bitcmp1_b32 s5, 0
	s_cselect_b32 s5, -1, 0
	s_delay_alu instid0(SALU_CYCLE_1)
	s_and_b32 vcc_lo, exec_lo, s5
	s_cbranch_vccnz .LBB93_181
; %bb.179:
	s_load_b96 s[12:14], s[2:3], 0x4
	s_load_b128 s[8:11], s[0:1], 0xe4
	s_wait_kmcnt 0x0
	v_mul_hi_u32 v32, s13, v31
	s_delay_alu instid0(VALU_DEP_1) | instskip(NEXT) | instid1(VALU_DEP_1)
	v_add_nc_u32_e32 v32, v31, v32
	v_lshrrev_b32_e32 v32, s14, v32
	s_delay_alu instid0(VALU_DEP_1) | instskip(NEXT) | instid1(VALU_DEP_1)
	v_mul_lo_u32 v32, v32, s12
	v_sub_nc_u32_e32 v31, v31, v32
	s_delay_alu instid0(VALU_DEP_1)
	v_mad_u32 v0, v31, s8, v0
	v_mad_u32 v28, v31, s9, v28
	;; [unrolled: 1-line block ×4, first 2 shown]
	s_and_not1_b32 vcc_lo, exec_lo, s4
	s_cbranch_vccz .LBB93_182
	s_branch .LBB93_185
.LBB93_180:
	s_mov_b32 s4, -1
                                        ; implicit-def: $vgpr28
                                        ; implicit-def: $vgpr0
                                        ; implicit-def: $vgpr27
                                        ; implicit-def: $vgpr29
.LBB93_181:
	s_delay_alu instid0(SALU_CYCLE_1)
	s_and_not1_b32 vcc_lo, exec_lo, s4
	s_cbranch_vccnz .LBB93_185
.LBB93_182:
	s_clause 0x1
	s_load_b96 s[4:6], s[20:21], 0x4
	s_load_b128 s[0:3], s[20:21], 0xc4
	s_cmp_lt_u32 s33, 2
	s_wait_kmcnt 0x0
	v_mul_hi_u32 v0, s5, v30
	s_delay_alu instid0(VALU_DEP_1) | instskip(NEXT) | instid1(VALU_DEP_1)
	v_add_nc_u32_e32 v0, v30, v0
	v_lshrrev_b32_e32 v31, s6, v0
	s_delay_alu instid0(VALU_DEP_1) | instskip(NEXT) | instid1(VALU_DEP_1)
	v_mul_lo_u32 v0, v31, s4
	v_sub_nc_u32_e32 v29, v30, v0
	s_delay_alu instid0(VALU_DEP_1)
	v_mul_lo_u32 v28, v29, s1
	v_mul_lo_u32 v0, v29, s0
	;; [unrolled: 1-line block ×4, first 2 shown]
	s_cbranch_scc1 .LBB93_185
; %bb.183:
	s_clause 0x1
	s_load_b96 s[4:6], s[20:21], 0x10
	s_load_b128 s[0:3], s[20:21], 0xd4
	s_wait_kmcnt 0x0
	v_mul_hi_u32 v30, s5, v31
	s_delay_alu instid0(VALU_DEP_1) | instskip(NEXT) | instid1(VALU_DEP_1)
	v_add_nc_u32_e32 v30, v31, v30
	v_lshrrev_b32_e32 v30, s6, v30
	s_delay_alu instid0(VALU_DEP_1) | instskip(NEXT) | instid1(VALU_DEP_1)
	v_mul_lo_u32 v30, v30, s4
	v_sub_nc_u32_e32 v30, v31, v30
	s_delay_alu instid0(VALU_DEP_1)
	v_mad_u32 v0, v30, s0, v0
	v_mad_u32 v28, v30, s1, v28
	;; [unrolled: 1-line block ×4, first 2 shown]
	s_branch .LBB93_185
.LBB93_184:
	v_dual_mov_b32 v28, 0 :: v_dual_mov_b32 v0, 0
	v_dual_mov_b32 v27, 0 :: v_dual_mov_b32 v29, 0
	s_and_not1_b32 vcc_lo, exec_lo, s4
	s_cbranch_vccz .LBB93_182
.LBB93_185:
	v_cmp_ne_u32_e32 vcc_lo, 1, v10
	s_cbranch_vccnz .LBB93_191
; %bb.186:
	s_cmp_lg_u32 s33, 0
	s_mov_b32 s4, 0
	s_cbranch_scc0 .LBB93_195
; %bb.187:
	s_min_u32 s5, s34, 15
	v_dual_mov_b32 v30, 0 :: v_dual_mov_b32 v33, v5
	v_dual_mov_b32 v31, 0 :: v_dual_mov_b32 v10, 0
	v_mov_b32_e32 v32, 0
	s_add_co_i32 s2, s5, 1
	s_mov_b64 s[0:1], 0xffffffffffffffe0
	s_and_b32 s6, s2, 30
	s_add_nc_u64 s[0:1], s[20:21], s[0:1]
	s_mov_b64 s[2:3], s[20:21]
.LBB93_188:                             ; =>This Inner Loop Header: Depth=1
	s_clause 0x1
	s_load_b128 s[16:19], s[2:3], 0x4
	s_load_b64 s[22:23], s[2:3], 0x14
	s_load_b256 s[8:15], s[0:1], 0xe4
	s_add_co_i32 s6, s6, -2
	s_wait_xcnt 0x0
	s_add_nc_u64 s[2:3], s[2:3], 24
	s_cmp_lg_u32 s6, 0
	s_add_nc_u64 s[0:1], s[0:1], 32
	s_wait_kmcnt 0x0
	v_mul_hi_u32 v34, s17, v33
	s_delay_alu instid0(VALU_DEP_1) | instskip(NEXT) | instid1(VALU_DEP_1)
	v_add_nc_u32_e32 v34, v33, v34
	v_lshrrev_b32_e32 v34, s18, v34
	s_delay_alu instid0(VALU_DEP_1) | instskip(SKIP_1) | instid1(VALU_DEP_1)
	v_mul_hi_u32 v35, s22, v34
	v_mul_lo_u32 v36, v34, s16
	v_dual_add_nc_u32 v35, v34, v35 :: v_dual_sub_nc_u32 v36, v33, v36
	s_delay_alu instid0(VALU_DEP_1) | instskip(NEXT) | instid1(VALU_DEP_2)
	v_lshrrev_b32_e32 v33, s23, v35
	v_mad_u32 v32, v36, s9, v32
	v_mad_u32 v10, v36, s8, v10
	;; [unrolled: 1-line block ×4, first 2 shown]
	v_mul_lo_u32 v35, v33, s19
	s_delay_alu instid0(VALU_DEP_1) | instskip(NEXT) | instid1(VALU_DEP_1)
	v_sub_nc_u32_e32 v34, v34, v35
	v_mad_u32 v32, v34, s13, v32
	v_mad_u32 v10, v34, s12, v10
	;; [unrolled: 1-line block ×4, first 2 shown]
	s_cbranch_scc1 .LBB93_188
; %bb.189:
	s_bitcmp1_b32 s5, 0
	s_cselect_b32 s5, -1, 0
	s_delay_alu instid0(SALU_CYCLE_1)
	s_and_b32 vcc_lo, exec_lo, s5
	s_cbranch_vccnz .LBB93_192
; %bb.190:
	s_load_b96 s[12:14], s[2:3], 0x4
	s_load_b128 s[8:11], s[0:1], 0xe4
	s_wait_kmcnt 0x0
	v_mul_hi_u32 v34, s13, v33
	s_delay_alu instid0(VALU_DEP_1) | instskip(NEXT) | instid1(VALU_DEP_1)
	v_add_nc_u32_e32 v34, v33, v34
	v_lshrrev_b32_e32 v34, s14, v34
	s_delay_alu instid0(VALU_DEP_1) | instskip(NEXT) | instid1(VALU_DEP_1)
	v_mul_lo_u32 v34, v34, s12
	v_sub_nc_u32_e32 v33, v33, v34
	s_delay_alu instid0(VALU_DEP_1)
	v_mad_u32 v10, v33, s8, v10
	v_mad_u32 v32, v33, s9, v32
	;; [unrolled: 1-line block ×4, first 2 shown]
	s_and_not1_b32 vcc_lo, exec_lo, s4
	s_cbranch_vccz .LBB93_193
	s_branch .LBB93_196
.LBB93_191:
	s_mov_b32 s4, -1
                                        ; implicit-def: $vgpr32
                                        ; implicit-def: $vgpr10
                                        ; implicit-def: $vgpr31
                                        ; implicit-def: $vgpr30
.LBB93_192:
	s_delay_alu instid0(SALU_CYCLE_1)
	s_and_not1_b32 vcc_lo, exec_lo, s4
	s_cbranch_vccnz .LBB93_196
.LBB93_193:
	s_clause 0x1
	s_load_b96 s[4:6], s[20:21], 0x4
	s_load_b128 s[0:3], s[20:21], 0xc4
	s_cmp_lt_u32 s33, 2
	s_wait_kmcnt 0x0
	v_mul_hi_u32 v10, s5, v5
	s_delay_alu instid0(VALU_DEP_1) | instskip(NEXT) | instid1(VALU_DEP_1)
	v_add_nc_u32_e32 v10, v5, v10
	v_lshrrev_b32_e32 v33, s6, v10
	s_delay_alu instid0(VALU_DEP_1) | instskip(NEXT) | instid1(VALU_DEP_1)
	v_mul_lo_u32 v10, v33, s4
	v_sub_nc_u32_e32 v5, v5, v10
	s_delay_alu instid0(VALU_DEP_1)
	v_mul_lo_u32 v32, v5, s1
	v_mul_lo_u32 v10, v5, s0
	;; [unrolled: 1-line block ×4, first 2 shown]
	s_cbranch_scc1 .LBB93_196
; %bb.194:
	s_clause 0x1
	s_load_b96 s[4:6], s[20:21], 0x10
	s_load_b128 s[0:3], s[20:21], 0xd4
	s_wait_kmcnt 0x0
	v_mul_hi_u32 v5, s5, v33
	s_delay_alu instid0(VALU_DEP_1) | instskip(NEXT) | instid1(VALU_DEP_1)
	v_add_nc_u32_e32 v5, v33, v5
	v_lshrrev_b32_e32 v5, s6, v5
	s_delay_alu instid0(VALU_DEP_1) | instskip(NEXT) | instid1(VALU_DEP_1)
	v_mul_lo_u32 v5, v5, s4
	v_sub_nc_u32_e32 v5, v33, v5
	s_delay_alu instid0(VALU_DEP_1)
	v_mad_u32 v10, v5, s0, v10
	v_mad_u32 v32, v5, s1, v32
	;; [unrolled: 1-line block ×4, first 2 shown]
	s_branch .LBB93_196
.LBB93_195:
	v_dual_mov_b32 v32, 0 :: v_dual_mov_b32 v10, 0
	v_dual_mov_b32 v31, 0 :: v_dual_mov_b32 v30, 0
	s_and_not1_b32 vcc_lo, exec_lo, s4
	s_cbranch_vccz .LBB93_193
.LBB93_196:
	s_load_b256 s[0:7], s[20:21], 0x1c8
	s_wait_kmcnt 0x0
	global_load_u16 v5, v3, s[2:3]
	global_load_u16 v33, v4, s[4:5]
	;; [unrolled: 1-line block ×15, first 2 shown]
                                        ; kill: killed $vgpr32
                                        ; kill: killed $vgpr22
                                        ; kill: killed $vgpr18
                                        ; kill: killed $vgpr4
                                        ; kill: killed $vgpr26
                                        ; kill: killed $vgpr21
                                        ; kill: killed $vgpr9
                                        ; kill: killed $vgpr3
                                        ; kill: killed $vgpr29
                                        ; kill: killed $sgpr2_sgpr3
                                        ; kill: killed $vgpr25
                                        ; kill: killed $vgpr14
                                        ; kill: killed $vgpr8
                                        ; kill: killed $vgpr28
                                        ; kill: killed $vgpr17
                                        ; kill: killed $vgpr13
	global_load_u16 v3, v30, s[4:5]
	s_clause 0x7
	global_load_u16 v4, v2, s[6:7]
	global_load_u16 v8, v7, s[6:7]
	;; [unrolled: 1-line block ×8, first 2 shown]
	s_wait_xcnt 0x9
	s_load_b32 s2, s[20:21], 0x1e8
	s_wait_kmcnt 0x0
	s_lshr_b32 s3, s2, 16
	s_wait_loadcnt 0x17
	v_mul_lo_u16 v2, v5, s2
	s_wait_loadcnt 0x16
	v_mul_lo_u16 v5, v33, s3
	s_wait_loadcnt 0x15
	v_mul_lo_u16 v7, v34, s2
	s_wait_loadcnt 0x14
	v_mul_lo_u16 v12, v35, s3
	s_wait_loadcnt 0x13
	v_mul_lo_u16 v16, v36, s2
	s_wait_loadcnt 0x12
	v_mul_lo_u16 v20, v37, s3
	s_wait_loadcnt 0x11
	v_mul_lo_u16 v22, v38, s2
	s_wait_loadcnt 0x10
	v_mul_lo_u16 v24, v39, s3
	s_wait_loadcnt 0xf
	v_mul_lo_u16 v25, v40, s2
	s_wait_loadcnt 0xe
	v_mul_lo_u16 v26, v41, s3
	s_wait_loadcnt 0xd
	v_mul_lo_u16 v27, v42, s2
	s_wait_loadcnt 0xc
	v_mul_lo_u16 v28, v43, s3
	s_wait_loadcnt 0xb
	v_mul_lo_u16 v29, v44, s2
	s_wait_loadcnt 0xa
	v_mul_lo_u16 v30, v45, s3
	s_wait_loadcnt 0x9
	v_mul_lo_u16 v31, v46, s2
	s_wait_loadcnt 0x8
	v_mul_lo_u16 v3, v3, s3
	s_wait_loadcnt 0x7
	v_mad_u16 v2, v5, v4, v2
	s_wait_loadcnt 0x6
	v_mad_u16 v4, v12, v8, v7
	s_wait_loadcnt 0x5
	v_mad_u16 v5, v20, v9, v16
	s_wait_loadcnt 0x4
	v_mad_u16 v7, v24, v13, v22
	s_wait_loadcnt 0x3
	v_mad_u16 v8, v26, v14, v25
	s_wait_loadcnt 0x2
	v_mad_u16 v9, v28, v17, v27
	s_wait_loadcnt 0x1
	v_mad_u16 v12, v30, v18, v29
	s_wait_loadcnt 0x0
	v_mad_u16 v3, v3, v21, v31
	s_clause 0x7
	global_store_b16 v1, v2, s[0:1]
	global_store_b16 v6, v4, s[0:1]
	;; [unrolled: 1-line block ×8, first 2 shown]
	s_endpgm
	.section	.rodata,"a",@progbits
	.p2align	6, 0x0
	.amdhsa_kernel _ZN2at6native32elementwise_kernel_manual_unrollILi128ELi8EZNS0_22gpu_kernel_impl_nocastIZZZNS0_12_GLOBAL__N_116addr_kernel_cudaERNS_14TensorIteratorERKN3c106ScalarES9_ENKUlvE_clEvENKUlvE3_clEvEUlsssE0_EEvRNS_18TensorIteratorBaseERKT_EUlibE_EEviT1_
		.amdhsa_group_segment_fixed_size 0
		.amdhsa_private_segment_fixed_size 0
		.amdhsa_kernarg_size 504
		.amdhsa_user_sgpr_count 2
		.amdhsa_user_sgpr_dispatch_ptr 0
		.amdhsa_user_sgpr_queue_ptr 0
		.amdhsa_user_sgpr_kernarg_segment_ptr 1
		.amdhsa_user_sgpr_dispatch_id 0
		.amdhsa_user_sgpr_kernarg_preload_length 0
		.amdhsa_user_sgpr_kernarg_preload_offset 0
		.amdhsa_user_sgpr_private_segment_size 0
		.amdhsa_wavefront_size32 1
		.amdhsa_uses_dynamic_stack 0
		.amdhsa_enable_private_segment 0
		.amdhsa_system_sgpr_workgroup_id_x 1
		.amdhsa_system_sgpr_workgroup_id_y 0
		.amdhsa_system_sgpr_workgroup_id_z 0
		.amdhsa_system_sgpr_workgroup_info 0
		.amdhsa_system_vgpr_workitem_id 0
		.amdhsa_next_free_vgpr 47
		.amdhsa_next_free_sgpr 56
		.amdhsa_named_barrier_count 0
		.amdhsa_reserve_vcc 1
		.amdhsa_float_round_mode_32 0
		.amdhsa_float_round_mode_16_64 0
		.amdhsa_float_denorm_mode_32 3
		.amdhsa_float_denorm_mode_16_64 3
		.amdhsa_fp16_overflow 0
		.amdhsa_memory_ordered 1
		.amdhsa_forward_progress 1
		.amdhsa_inst_pref_size 92
		.amdhsa_round_robin_scheduling 0
		.amdhsa_exception_fp_ieee_invalid_op 0
		.amdhsa_exception_fp_denorm_src 0
		.amdhsa_exception_fp_ieee_div_zero 0
		.amdhsa_exception_fp_ieee_overflow 0
		.amdhsa_exception_fp_ieee_underflow 0
		.amdhsa_exception_fp_ieee_inexact 0
		.amdhsa_exception_int_div_zero 0
	.end_amdhsa_kernel
	.section	.text._ZN2at6native32elementwise_kernel_manual_unrollILi128ELi8EZNS0_22gpu_kernel_impl_nocastIZZZNS0_12_GLOBAL__N_116addr_kernel_cudaERNS_14TensorIteratorERKN3c106ScalarES9_ENKUlvE_clEvENKUlvE3_clEvEUlsssE0_EEvRNS_18TensorIteratorBaseERKT_EUlibE_EEviT1_,"axG",@progbits,_ZN2at6native32elementwise_kernel_manual_unrollILi128ELi8EZNS0_22gpu_kernel_impl_nocastIZZZNS0_12_GLOBAL__N_116addr_kernel_cudaERNS_14TensorIteratorERKN3c106ScalarES9_ENKUlvE_clEvENKUlvE3_clEvEUlsssE0_EEvRNS_18TensorIteratorBaseERKT_EUlibE_EEviT1_,comdat
.Lfunc_end93:
	.size	_ZN2at6native32elementwise_kernel_manual_unrollILi128ELi8EZNS0_22gpu_kernel_impl_nocastIZZZNS0_12_GLOBAL__N_116addr_kernel_cudaERNS_14TensorIteratorERKN3c106ScalarES9_ENKUlvE_clEvENKUlvE3_clEvEUlsssE0_EEvRNS_18TensorIteratorBaseERKT_EUlibE_EEviT1_, .Lfunc_end93-_ZN2at6native32elementwise_kernel_manual_unrollILi128ELi8EZNS0_22gpu_kernel_impl_nocastIZZZNS0_12_GLOBAL__N_116addr_kernel_cudaERNS_14TensorIteratorERKN3c106ScalarES9_ENKUlvE_clEvENKUlvE3_clEvEUlsssE0_EEvRNS_18TensorIteratorBaseERKT_EUlibE_EEviT1_
                                        ; -- End function
	.set _ZN2at6native32elementwise_kernel_manual_unrollILi128ELi8EZNS0_22gpu_kernel_impl_nocastIZZZNS0_12_GLOBAL__N_116addr_kernel_cudaERNS_14TensorIteratorERKN3c106ScalarES9_ENKUlvE_clEvENKUlvE3_clEvEUlsssE0_EEvRNS_18TensorIteratorBaseERKT_EUlibE_EEviT1_.num_vgpr, 47
	.set _ZN2at6native32elementwise_kernel_manual_unrollILi128ELi8EZNS0_22gpu_kernel_impl_nocastIZZZNS0_12_GLOBAL__N_116addr_kernel_cudaERNS_14TensorIteratorERKN3c106ScalarES9_ENKUlvE_clEvENKUlvE3_clEvEUlsssE0_EEvRNS_18TensorIteratorBaseERKT_EUlibE_EEviT1_.num_agpr, 0
	.set _ZN2at6native32elementwise_kernel_manual_unrollILi128ELi8EZNS0_22gpu_kernel_impl_nocastIZZZNS0_12_GLOBAL__N_116addr_kernel_cudaERNS_14TensorIteratorERKN3c106ScalarES9_ENKUlvE_clEvENKUlvE3_clEvEUlsssE0_EEvRNS_18TensorIteratorBaseERKT_EUlibE_EEviT1_.numbered_sgpr, 56
	.set _ZN2at6native32elementwise_kernel_manual_unrollILi128ELi8EZNS0_22gpu_kernel_impl_nocastIZZZNS0_12_GLOBAL__N_116addr_kernel_cudaERNS_14TensorIteratorERKN3c106ScalarES9_ENKUlvE_clEvENKUlvE3_clEvEUlsssE0_EEvRNS_18TensorIteratorBaseERKT_EUlibE_EEviT1_.num_named_barrier, 0
	.set _ZN2at6native32elementwise_kernel_manual_unrollILi128ELi8EZNS0_22gpu_kernel_impl_nocastIZZZNS0_12_GLOBAL__N_116addr_kernel_cudaERNS_14TensorIteratorERKN3c106ScalarES9_ENKUlvE_clEvENKUlvE3_clEvEUlsssE0_EEvRNS_18TensorIteratorBaseERKT_EUlibE_EEviT1_.private_seg_size, 0
	.set _ZN2at6native32elementwise_kernel_manual_unrollILi128ELi8EZNS0_22gpu_kernel_impl_nocastIZZZNS0_12_GLOBAL__N_116addr_kernel_cudaERNS_14TensorIteratorERKN3c106ScalarES9_ENKUlvE_clEvENKUlvE3_clEvEUlsssE0_EEvRNS_18TensorIteratorBaseERKT_EUlibE_EEviT1_.uses_vcc, 1
	.set _ZN2at6native32elementwise_kernel_manual_unrollILi128ELi8EZNS0_22gpu_kernel_impl_nocastIZZZNS0_12_GLOBAL__N_116addr_kernel_cudaERNS_14TensorIteratorERKN3c106ScalarES9_ENKUlvE_clEvENKUlvE3_clEvEUlsssE0_EEvRNS_18TensorIteratorBaseERKT_EUlibE_EEviT1_.uses_flat_scratch, 0
	.set _ZN2at6native32elementwise_kernel_manual_unrollILi128ELi8EZNS0_22gpu_kernel_impl_nocastIZZZNS0_12_GLOBAL__N_116addr_kernel_cudaERNS_14TensorIteratorERKN3c106ScalarES9_ENKUlvE_clEvENKUlvE3_clEvEUlsssE0_EEvRNS_18TensorIteratorBaseERKT_EUlibE_EEviT1_.has_dyn_sized_stack, 0
	.set _ZN2at6native32elementwise_kernel_manual_unrollILi128ELi8EZNS0_22gpu_kernel_impl_nocastIZZZNS0_12_GLOBAL__N_116addr_kernel_cudaERNS_14TensorIteratorERKN3c106ScalarES9_ENKUlvE_clEvENKUlvE3_clEvEUlsssE0_EEvRNS_18TensorIteratorBaseERKT_EUlibE_EEviT1_.has_recursion, 0
	.set _ZN2at6native32elementwise_kernel_manual_unrollILi128ELi8EZNS0_22gpu_kernel_impl_nocastIZZZNS0_12_GLOBAL__N_116addr_kernel_cudaERNS_14TensorIteratorERKN3c106ScalarES9_ENKUlvE_clEvENKUlvE3_clEvEUlsssE0_EEvRNS_18TensorIteratorBaseERKT_EUlibE_EEviT1_.has_indirect_call, 0
	.section	.AMDGPU.csdata,"",@progbits
; Kernel info:
; codeLenInByte = 11692
; TotalNumSgprs: 58
; NumVgprs: 47
; ScratchSize: 0
; MemoryBound: 0
; FloatMode: 240
; IeeeMode: 1
; LDSByteSize: 0 bytes/workgroup (compile time only)
; SGPRBlocks: 0
; VGPRBlocks: 2
; NumSGPRsForWavesPerEU: 58
; NumVGPRsForWavesPerEU: 47
; NamedBarCnt: 0
; Occupancy: 16
; WaveLimiterHint : 1
; COMPUTE_PGM_RSRC2:SCRATCH_EN: 0
; COMPUTE_PGM_RSRC2:USER_SGPR: 2
; COMPUTE_PGM_RSRC2:TRAP_HANDLER: 0
; COMPUTE_PGM_RSRC2:TGID_X_EN: 1
; COMPUTE_PGM_RSRC2:TGID_Y_EN: 0
; COMPUTE_PGM_RSRC2:TGID_Z_EN: 0
; COMPUTE_PGM_RSRC2:TIDIG_COMP_CNT: 0
	.section	.text._ZN2at6native32elementwise_kernel_manual_unrollILi128ELi4EZNS0_15gpu_kernel_implIZZZNS0_12_GLOBAL__N_116addr_kernel_cudaERNS_14TensorIteratorERKN3c106ScalarES9_ENKUlvE_clEvENKUlvE3_clEvEUlsssE0_EEvRNS_18TensorIteratorBaseERKT_EUlibE_EEviT1_,"axG",@progbits,_ZN2at6native32elementwise_kernel_manual_unrollILi128ELi4EZNS0_15gpu_kernel_implIZZZNS0_12_GLOBAL__N_116addr_kernel_cudaERNS_14TensorIteratorERKN3c106ScalarES9_ENKUlvE_clEvENKUlvE3_clEvEUlsssE0_EEvRNS_18TensorIteratorBaseERKT_EUlibE_EEviT1_,comdat
	.globl	_ZN2at6native32elementwise_kernel_manual_unrollILi128ELi4EZNS0_15gpu_kernel_implIZZZNS0_12_GLOBAL__N_116addr_kernel_cudaERNS_14TensorIteratorERKN3c106ScalarES9_ENKUlvE_clEvENKUlvE3_clEvEUlsssE0_EEvRNS_18TensorIteratorBaseERKT_EUlibE_EEviT1_ ; -- Begin function _ZN2at6native32elementwise_kernel_manual_unrollILi128ELi4EZNS0_15gpu_kernel_implIZZZNS0_12_GLOBAL__N_116addr_kernel_cudaERNS_14TensorIteratorERKN3c106ScalarES9_ENKUlvE_clEvENKUlvE3_clEvEUlsssE0_EEvRNS_18TensorIteratorBaseERKT_EUlibE_EEviT1_
	.p2align	8
	.type	_ZN2at6native32elementwise_kernel_manual_unrollILi128ELi4EZNS0_15gpu_kernel_implIZZZNS0_12_GLOBAL__N_116addr_kernel_cudaERNS_14TensorIteratorERKN3c106ScalarES9_ENKUlvE_clEvENKUlvE3_clEvEUlsssE0_EEvRNS_18TensorIteratorBaseERKT_EUlibE_EEviT1_,@function
_ZN2at6native32elementwise_kernel_manual_unrollILi128ELi4EZNS0_15gpu_kernel_implIZZZNS0_12_GLOBAL__N_116addr_kernel_cudaERNS_14TensorIteratorERKN3c106ScalarES9_ENKUlvE_clEvENKUlvE3_clEvEUlsssE0_EEvRNS_18TensorIteratorBaseERKT_EUlibE_EEviT1_: ; @_ZN2at6native32elementwise_kernel_manual_unrollILi128ELi4EZNS0_15gpu_kernel_implIZZZNS0_12_GLOBAL__N_116addr_kernel_cudaERNS_14TensorIteratorERKN3c106ScalarES9_ENKUlvE_clEvENKUlvE3_clEvEUlsssE0_EEvRNS_18TensorIteratorBaseERKT_EUlibE_EEviT1_
; %bb.0:
	s_clause 0x1
	s_load_b64 s[2:3], s[0:1], 0x38
	s_load_b128 s[12:15], s[0:1], 0x28
	s_bfe_u32 s4, ttmp6, 0x4000c
	s_load_b32 s22, s[0:1], 0x0
	s_add_co_i32 s16, s4, 1
	s_load_b256 s[4:11], s[0:1], 0x8
	s_and_b32 s18, ttmp6, 15
	s_wait_xcnt 0x0
	s_mul_i32 s0, ttmp9, s16
	s_getreg_b32 s20, hwreg(HW_REG_IB_STS2, 6, 4)
	s_add_co_i32 s18, s18, s0
	s_mov_b32 s21, 0
	s_wait_kmcnt 0x0
	s_lshr_b32 s1, s2, 16
	s_lshr_b32 s17, s3, 16
	;; [unrolled: 1-line block ×4, first 2 shown]
	s_cmp_eq_u32 s20, 0
	s_cselect_b32 s0, ttmp9, s18
	s_mov_b32 s18, 0
	v_lshl_or_b32 v26, s0, 9, v0
	s_mov_b32 s0, exec_lo
	s_delay_alu instid0(VALU_DEP_1) | instskip(NEXT) | instid1(VALU_DEP_1)
	v_or_b32_e32 v0, 0x180, v26
	v_cmpx_le_i32_e64 s22, v0
	s_xor_b32 s20, exec_lo, s0
	s_cbranch_execz .LBB94_2015
; %bb.1:
	s_mov_b32 s30, -1
	s_mov_b32 s27, 0
	s_mov_b32 s25, 0
	;; [unrolled: 1-line block ×4, first 2 shown]
	s_mov_b32 s26, exec_lo
	v_cmpx_gt_i32_e64 s22, v26
	s_cbranch_execz .LBB94_500
; %bb.2:
	v_mul_lo_u32 v0, v26, s13
	s_and_b32 s0, s19, 0xff
	s_delay_alu instid0(SALU_CYCLE_1) | instskip(NEXT) | instid1(VALU_DEP_1)
	s_cmp_lt_i32 s0, 11
	v_ashrrev_i32_e32 v1, 31, v0
	s_delay_alu instid0(VALU_DEP_1)
	v_add_nc_u64_e32 v[2:3], s[6:7], v[0:1]
	s_cbranch_scc1 .LBB94_9
; %bb.3:
	s_and_b32 s21, 0xffff, s0
	s_delay_alu instid0(SALU_CYCLE_1)
	s_cmp_gt_i32 s21, 25
	s_cbranch_scc0 .LBB94_18
; %bb.4:
	s_cmp_gt_i32 s21, 28
	s_cbranch_scc0 .LBB94_28
; %bb.5:
	;; [unrolled: 3-line block ×4, first 2 shown]
	s_cmp_eq_u32 s21, 46
	s_cbranch_scc0 .LBB94_37
; %bb.8:
	global_load_b32 v0, v[2:3], off
	s_mov_b32 s23, -1
	s_wait_loadcnt 0x0
	v_lshlrev_b32_e32 v0, 16, v0
	s_delay_alu instid0(VALU_DEP_1)
	v_cvt_i32_f32_e32 v0, v0
	s_branch .LBB94_39
.LBB94_9:
                                        ; implicit-def: $vgpr0
	s_cbranch_execnz .LBB94_101
.LBB94_10:
	s_and_not1_b32 vcc_lo, exec_lo, s23
	s_cbranch_vccnz .LBB94_148
.LBB94_11:
	s_wait_xcnt 0x0
	v_mul_lo_u32 v2, v26, s14
	s_and_b32 s0, s17, 0xff
	s_delay_alu instid0(SALU_CYCLE_1) | instskip(NEXT) | instid1(VALU_DEP_1)
	s_cmp_lt_i32 s0, 11
	v_ashrrev_i32_e32 v3, 31, v2
	s_delay_alu instid0(VALU_DEP_1)
	v_add_nc_u64_e32 v[4:5], s[8:9], v[2:3]
	s_cbranch_scc1 .LBB94_19
; %bb.12:
	s_and_b32 s21, 0xffff, s0
	s_delay_alu instid0(SALU_CYCLE_1)
	s_cmp_gt_i32 s21, 25
	s_cbranch_scc0 .LBB94_29
; %bb.13:
	s_cmp_gt_i32 s21, 28
	s_cbranch_scc0 .LBB94_32
; %bb.14:
	;; [unrolled: 3-line block ×4, first 2 shown]
	s_cmp_eq_u32 s21, 46
	s_mov_b32 s28, 0
	s_cbranch_scc0 .LBB94_149
; %bb.17:
	s_wait_loadcnt 0x0
	global_load_b32 v1, v[4:5], off
	s_mov_b32 s23, -1
	s_mov_b32 s24, 0
	s_wait_loadcnt 0x0
	v_lshlrev_b32_e32 v1, 16, v1
	s_delay_alu instid0(VALU_DEP_1)
	v_cvt_i32_f32_e32 v2, v1
	s_branch .LBB94_151
.LBB94_18:
                                        ; implicit-def: $vgpr0
	s_cbranch_execnz .LBB94_68
	s_branch .LBB94_100
.LBB94_19:
	s_mov_b32 s24, 0
	s_mov_b32 s23, 0
                                        ; implicit-def: $vgpr2
	s_cbranch_execnz .LBB94_213
.LBB94_20:
	s_and_not1_b32 vcc_lo, exec_lo, s23
	s_cbranch_vccnz .LBB94_261
.LBB94_21:
	s_wait_xcnt 0x0
	v_mul_lo_u32 v4, v26, s15
	s_and_b32 s0, 0xffff, s16
	s_delay_alu instid0(SALU_CYCLE_1) | instskip(NEXT) | instid1(VALU_DEP_1)
	s_cmp_lt_i32 s0, 11
	v_ashrrev_i32_e32 v5, 31, v4
	s_delay_alu instid0(VALU_DEP_1)
	v_add_nc_u64_e32 v[4:5], s[10:11], v[4:5]
	s_cbranch_scc1 .LBB94_30
; %bb.22:
	s_cmp_gt_i32 s0, 25
	s_cbranch_scc0 .LBB94_33
; %bb.23:
	s_cmp_gt_i32 s0, 28
	s_cbranch_scc0 .LBB94_36
	;; [unrolled: 3-line block ×4, first 2 shown]
; %bb.26:
	s_cmp_eq_u32 s0, 46
	s_mov_b32 s28, 0
	s_cbranch_scc0 .LBB94_262
; %bb.27:
	s_wait_loadcnt 0x0
	global_load_b32 v1, v[4:5], off
	s_mov_b32 s21, -1
	s_mov_b32 s23, 0
	s_wait_loadcnt 0x0
	v_lshlrev_b32_e32 v1, 16, v1
	s_delay_alu instid0(VALU_DEP_1)
	v_cvt_i32_f32_e32 v6, v1
	s_branch .LBB94_264
.LBB94_28:
	s_mov_b32 s24, -1
                                        ; implicit-def: $vgpr0
	s_branch .LBB94_51
.LBB94_29:
	s_mov_b32 s28, -1
	s_mov_b32 s24, 0
	s_mov_b32 s23, 0
                                        ; implicit-def: $vgpr2
	s_branch .LBB94_179
.LBB94_30:
	s_mov_b32 s28, -1
	s_mov_b32 s23, 0
	s_mov_b32 s21, 0
                                        ; implicit-def: $vgpr6
	s_branch .LBB94_325
.LBB94_31:
	s_mov_b32 s24, -1
                                        ; implicit-def: $vgpr0
	s_branch .LBB94_46
.LBB94_32:
	s_mov_b32 s28, -1
	s_mov_b32 s24, 0
	s_mov_b32 s23, 0
                                        ; implicit-def: $vgpr2
	s_branch .LBB94_162
.LBB94_33:
	s_mov_b32 s28, -1
	s_mov_b32 s23, 0
	s_mov_b32 s21, 0
                                        ; implicit-def: $vgpr6
	s_branch .LBB94_291
.LBB94_34:
	s_mov_b32 s24, -1
	s_branch .LBB94_38
.LBB94_35:
	s_mov_b32 s28, -1
	s_mov_b32 s24, 0
	s_mov_b32 s23, 0
                                        ; implicit-def: $vgpr2
	s_branch .LBB94_157
.LBB94_36:
	s_mov_b32 s28, -1
	s_mov_b32 s23, 0
	s_mov_b32 s21, 0
                                        ; implicit-def: $vgpr6
	s_branch .LBB94_274
.LBB94_37:
	s_mov_b32 s25, -1
.LBB94_38:
                                        ; implicit-def: $vgpr0
.LBB94_39:
	s_and_b32 vcc_lo, exec_lo, s24
	s_cbranch_vccz .LBB94_45
; %bb.40:
	s_cmp_eq_u32 s21, 44
	s_cbranch_scc0 .LBB94_44
; %bb.41:
	global_load_u8 v0, v[2:3], off
	s_mov_b32 s25, 0
	s_mov_b32 s23, -1
	s_wait_loadcnt 0x0
	v_lshlrev_b32_e32 v1, 23, v0
	v_cmp_ne_u32_e32 vcc_lo, 0, v0
	s_delay_alu instid0(VALU_DEP_2) | instskip(NEXT) | instid1(VALU_DEP_1)
	v_cvt_i32_f32_e32 v1, v1
	v_cndmask_b32_e32 v0, 0, v1, vcc_lo
	s_branch .LBB94_45
.LBB94_42:
	s_mov_b32 s28, -1
	s_mov_b32 s24, 0
	s_branch .LBB94_150
.LBB94_43:
	s_mov_b32 s28, -1
	s_mov_b32 s23, 0
	s_mov_b32 s21, 0
                                        ; implicit-def: $vgpr6
	s_branch .LBB94_269
.LBB94_44:
	s_mov_b32 s25, -1
                                        ; implicit-def: $vgpr0
.LBB94_45:
	s_mov_b32 s24, 0
.LBB94_46:
	s_delay_alu instid0(SALU_CYCLE_1)
	s_and_b32 vcc_lo, exec_lo, s24
	s_cbranch_vccz .LBB94_50
; %bb.47:
	s_cmp_eq_u32 s21, 29
	s_cbranch_scc0 .LBB94_49
; %bb.48:
	global_load_b64 v[0:1], v[2:3], off
	s_mov_b32 s23, -1
	s_mov_b32 s25, 0
	s_branch .LBB94_50
.LBB94_49:
	s_mov_b32 s25, -1
                                        ; implicit-def: $vgpr0
.LBB94_50:
	s_mov_b32 s24, 0
.LBB94_51:
	s_delay_alu instid0(SALU_CYCLE_1)
	s_and_b32 vcc_lo, exec_lo, s24
	s_cbranch_vccz .LBB94_67
; %bb.52:
	s_cmp_lt_i32 s21, 27
	s_cbranch_scc1 .LBB94_55
; %bb.53:
	s_cmp_gt_i32 s21, 27
	s_cbranch_scc0 .LBB94_56
; %bb.54:
	s_wait_loadcnt 0x0
	global_load_b32 v0, v[2:3], off
	s_mov_b32 s23, 0
	s_branch .LBB94_57
.LBB94_55:
	s_mov_b32 s23, -1
                                        ; implicit-def: $vgpr0
	s_branch .LBB94_60
.LBB94_56:
	s_mov_b32 s23, -1
                                        ; implicit-def: $vgpr0
.LBB94_57:
	s_delay_alu instid0(SALU_CYCLE_1)
	s_and_not1_b32 vcc_lo, exec_lo, s23
	s_cbranch_vccnz .LBB94_59
; %bb.58:
	s_wait_loadcnt 0x0
	global_load_u16 v0, v[2:3], off
.LBB94_59:
	s_mov_b32 s23, 0
.LBB94_60:
	s_delay_alu instid0(SALU_CYCLE_1)
	s_and_not1_b32 vcc_lo, exec_lo, s23
	s_cbranch_vccnz .LBB94_66
; %bb.61:
	s_wait_loadcnt 0x0
	global_load_u8 v1, v[2:3], off
	s_mov_b32 s24, 0
	s_mov_b32 s23, exec_lo
	s_wait_loadcnt 0x0
	v_cmpx_lt_i16_e32 0x7f, v1
	s_xor_b32 s23, exec_lo, s23
	s_cbranch_execz .LBB94_77
; %bb.62:
	v_cmp_ne_u16_e32 vcc_lo, 0x80, v1
	s_and_b32 s24, vcc_lo, exec_lo
	s_and_not1_saveexec_b32 s23, s23
	s_cbranch_execnz .LBB94_78
.LBB94_63:
	s_or_b32 exec_lo, exec_lo, s23
	v_mov_b32_e32 v0, 0
	s_and_saveexec_b32 s23, s24
	s_cbranch_execz .LBB94_65
.LBB94_64:
	v_and_b32_e32 v0, 0xffff, v1
	s_delay_alu instid0(VALU_DEP_1) | instskip(SKIP_1) | instid1(VALU_DEP_2)
	v_and_b32_e32 v4, 7, v0
	v_bfe_u32 v7, v0, 3, 4
	v_clz_i32_u32_e32 v5, v4
	s_delay_alu instid0(VALU_DEP_2) | instskip(NEXT) | instid1(VALU_DEP_2)
	v_cmp_eq_u32_e32 vcc_lo, 0, v7
	v_min_u32_e32 v5, 32, v5
	s_delay_alu instid0(VALU_DEP_1) | instskip(NEXT) | instid1(VALU_DEP_1)
	v_subrev_nc_u32_e32 v6, 28, v5
	v_dual_lshlrev_b32 v0, v6, v0 :: v_dual_sub_nc_u32 v5, 29, v5
	s_delay_alu instid0(VALU_DEP_1) | instskip(NEXT) | instid1(VALU_DEP_1)
	v_dual_lshlrev_b32 v1, 24, v1 :: v_dual_bitop2_b32 v0, 7, v0 bitop3:0x40
	v_dual_cndmask_b32 v0, v4, v0 :: v_dual_cndmask_b32 v5, v7, v5
	s_delay_alu instid0(VALU_DEP_2) | instskip(NEXT) | instid1(VALU_DEP_2)
	v_and_b32_e32 v1, 0x80000000, v1
	v_lshlrev_b32_e32 v0, 20, v0
	s_delay_alu instid0(VALU_DEP_3) | instskip(NEXT) | instid1(VALU_DEP_1)
	v_lshl_add_u32 v4, v5, 23, 0x3b800000
	v_or3_b32 v0, v1, v4, v0
	s_delay_alu instid0(VALU_DEP_1)
	v_cvt_i32_f32_e32 v0, v0
.LBB94_65:
	s_or_b32 exec_lo, exec_lo, s23
.LBB94_66:
	s_mov_b32 s23, -1
.LBB94_67:
	s_branch .LBB94_100
.LBB94_68:
	s_cmp_gt_i32 s21, 22
	s_cbranch_scc0 .LBB94_76
; %bb.69:
	s_cmp_lt_i32 s21, 24
	s_cbranch_scc1 .LBB94_79
; %bb.70:
	s_cmp_gt_i32 s21, 24
	s_cbranch_scc0 .LBB94_80
; %bb.71:
	s_wait_loadcnt 0x0
	global_load_u8 v1, v[2:3], off
	s_mov_b32 s24, 0
	s_mov_b32 s23, exec_lo
	s_wait_loadcnt 0x0
	v_cmpx_lt_i16_e32 0x7f, v1
	s_xor_b32 s23, exec_lo, s23
	s_cbranch_execz .LBB94_92
; %bb.72:
	v_cmp_ne_u16_e32 vcc_lo, 0x80, v1
	s_and_b32 s24, vcc_lo, exec_lo
	s_and_not1_saveexec_b32 s23, s23
	s_cbranch_execnz .LBB94_93
.LBB94_73:
	s_or_b32 exec_lo, exec_lo, s23
	v_mov_b32_e32 v0, 0
	s_and_saveexec_b32 s23, s24
	s_cbranch_execz .LBB94_75
.LBB94_74:
	v_and_b32_e32 v0, 0xffff, v1
	s_delay_alu instid0(VALU_DEP_1) | instskip(SKIP_1) | instid1(VALU_DEP_2)
	v_and_b32_e32 v4, 3, v0
	v_bfe_u32 v7, v0, 2, 5
	v_clz_i32_u32_e32 v5, v4
	s_delay_alu instid0(VALU_DEP_2) | instskip(NEXT) | instid1(VALU_DEP_2)
	v_cmp_eq_u32_e32 vcc_lo, 0, v7
	v_min_u32_e32 v5, 32, v5
	s_delay_alu instid0(VALU_DEP_1) | instskip(NEXT) | instid1(VALU_DEP_1)
	v_subrev_nc_u32_e32 v6, 29, v5
	v_dual_lshlrev_b32 v0, v6, v0 :: v_dual_sub_nc_u32 v5, 30, v5
	s_delay_alu instid0(VALU_DEP_1) | instskip(NEXT) | instid1(VALU_DEP_1)
	v_dual_lshlrev_b32 v1, 24, v1 :: v_dual_bitop2_b32 v0, 3, v0 bitop3:0x40
	v_dual_cndmask_b32 v0, v4, v0 :: v_dual_cndmask_b32 v5, v7, v5
	s_delay_alu instid0(VALU_DEP_2) | instskip(NEXT) | instid1(VALU_DEP_2)
	v_and_b32_e32 v1, 0x80000000, v1
	v_lshlrev_b32_e32 v0, 21, v0
	s_delay_alu instid0(VALU_DEP_3) | instskip(NEXT) | instid1(VALU_DEP_1)
	v_lshl_add_u32 v4, v5, 23, 0x37800000
	v_or3_b32 v0, v1, v4, v0
	s_delay_alu instid0(VALU_DEP_1)
	v_cvt_i32_f32_e32 v0, v0
.LBB94_75:
	s_or_b32 exec_lo, exec_lo, s23
	s_mov_b32 s23, 0
	s_branch .LBB94_81
.LBB94_76:
	s_mov_b32 s24, -1
                                        ; implicit-def: $vgpr0
	s_branch .LBB94_87
.LBB94_77:
	s_and_not1_saveexec_b32 s23, s23
	s_cbranch_execz .LBB94_63
.LBB94_78:
	v_cmp_ne_u16_e32 vcc_lo, 0, v1
	s_and_not1_b32 s24, s24, exec_lo
	s_and_b32 s28, vcc_lo, exec_lo
	s_delay_alu instid0(SALU_CYCLE_1)
	s_or_b32 s24, s24, s28
	s_or_b32 exec_lo, exec_lo, s23
	v_mov_b32_e32 v0, 0
	s_and_saveexec_b32 s23, s24
	s_cbranch_execnz .LBB94_64
	s_branch .LBB94_65
.LBB94_79:
	s_mov_b32 s23, -1
                                        ; implicit-def: $vgpr0
	s_branch .LBB94_84
.LBB94_80:
	s_mov_b32 s23, -1
                                        ; implicit-def: $vgpr0
.LBB94_81:
	s_delay_alu instid0(SALU_CYCLE_1)
	s_and_b32 vcc_lo, exec_lo, s23
	s_cbranch_vccz .LBB94_83
; %bb.82:
	s_wait_loadcnt 0x0
	global_load_u8 v0, v[2:3], off
	s_wait_loadcnt 0x0
	v_lshlrev_b32_e32 v0, 24, v0
	s_delay_alu instid0(VALU_DEP_1) | instskip(NEXT) | instid1(VALU_DEP_1)
	v_and_b32_e32 v1, 0x7f000000, v0
	v_clz_i32_u32_e32 v4, v1
	v_cmp_ne_u32_e32 vcc_lo, 0, v1
	v_add_nc_u32_e32 v6, 0x1000000, v1
	s_delay_alu instid0(VALU_DEP_3) | instskip(NEXT) | instid1(VALU_DEP_1)
	v_min_u32_e32 v4, 32, v4
	v_sub_nc_u32_e64 v4, v4, 4 clamp
	s_delay_alu instid0(VALU_DEP_1) | instskip(NEXT) | instid1(VALU_DEP_1)
	v_dual_lshlrev_b32 v5, v4, v1 :: v_dual_lshlrev_b32 v4, 23, v4
	v_lshrrev_b32_e32 v5, 4, v5
	s_delay_alu instid0(VALU_DEP_1) | instskip(NEXT) | instid1(VALU_DEP_1)
	v_dual_sub_nc_u32 v4, v5, v4 :: v_dual_ashrrev_i32 v5, 8, v6
	v_add_nc_u32_e32 v4, 0x3c000000, v4
	s_delay_alu instid0(VALU_DEP_1) | instskip(NEXT) | instid1(VALU_DEP_1)
	v_and_or_b32 v4, 0x7f800000, v5, v4
	v_cndmask_b32_e32 v1, 0, v4, vcc_lo
	s_delay_alu instid0(VALU_DEP_1) | instskip(NEXT) | instid1(VALU_DEP_1)
	v_and_or_b32 v0, 0x80000000, v0, v1
	v_cvt_i32_f32_e32 v0, v0
.LBB94_83:
	s_mov_b32 s23, 0
.LBB94_84:
	s_delay_alu instid0(SALU_CYCLE_1)
	s_and_not1_b32 vcc_lo, exec_lo, s23
	s_cbranch_vccnz .LBB94_86
; %bb.85:
	s_wait_loadcnt 0x0
	global_load_u8 v0, v[2:3], off
	s_wait_loadcnt 0x0
	v_lshlrev_b32_e32 v1, 25, v0
	v_lshlrev_b16 v0, 8, v0
	s_delay_alu instid0(VALU_DEP_1) | instskip(SKIP_1) | instid1(VALU_DEP_2)
	v_and_or_b32 v5, 0x7f00, v0, 0.5
	v_bfe_i32 v0, v0, 0, 16
	v_add_f32_e32 v5, -0.5, v5
	v_lshrrev_b32_e32 v4, 4, v1
	v_cmp_gt_u32_e32 vcc_lo, 0x8000000, v1
	s_delay_alu instid0(VALU_DEP_2) | instskip(NEXT) | instid1(VALU_DEP_1)
	v_or_b32_e32 v4, 0x70000000, v4
	v_mul_f32_e32 v4, 0x7800000, v4
	s_delay_alu instid0(VALU_DEP_1) | instskip(NEXT) | instid1(VALU_DEP_1)
	v_cndmask_b32_e32 v1, v4, v5, vcc_lo
	v_and_or_b32 v0, 0x80000000, v0, v1
	s_delay_alu instid0(VALU_DEP_1)
	v_cvt_i32_f32_e32 v0, v0
.LBB94_86:
	s_mov_b32 s24, 0
	s_mov_b32 s23, -1
.LBB94_87:
	s_and_not1_b32 vcc_lo, exec_lo, s24
	s_cbranch_vccnz .LBB94_100
; %bb.88:
	s_cmp_gt_i32 s21, 14
	s_cbranch_scc0 .LBB94_91
; %bb.89:
	s_cmp_eq_u32 s21, 15
	s_cbranch_scc0 .LBB94_94
; %bb.90:
	s_wait_loadcnt 0x0
	global_load_u16 v0, v[2:3], off
	s_mov_b32 s23, -1
	s_mov_b32 s25, 0
	s_wait_loadcnt 0x0
	v_lshlrev_b32_e32 v0, 16, v0
	s_delay_alu instid0(VALU_DEP_1)
	v_cvt_i32_f32_e32 v0, v0
	s_branch .LBB94_95
.LBB94_91:
	s_mov_b32 s24, -1
                                        ; implicit-def: $vgpr0
	s_branch .LBB94_96
.LBB94_92:
	s_and_not1_saveexec_b32 s23, s23
	s_cbranch_execz .LBB94_73
.LBB94_93:
	v_cmp_ne_u16_e32 vcc_lo, 0, v1
	s_and_not1_b32 s24, s24, exec_lo
	s_and_b32 s28, vcc_lo, exec_lo
	s_delay_alu instid0(SALU_CYCLE_1)
	s_or_b32 s24, s24, s28
	s_or_b32 exec_lo, exec_lo, s23
	v_mov_b32_e32 v0, 0
	s_and_saveexec_b32 s23, s24
	s_cbranch_execnz .LBB94_74
	s_branch .LBB94_75
.LBB94_94:
	s_mov_b32 s25, -1
                                        ; implicit-def: $vgpr0
.LBB94_95:
	s_mov_b32 s24, 0
.LBB94_96:
	s_delay_alu instid0(SALU_CYCLE_1)
	s_and_b32 vcc_lo, exec_lo, s24
	s_cbranch_vccz .LBB94_100
; %bb.97:
	s_cmp_eq_u32 s21, 11
	s_cbranch_scc0 .LBB94_99
; %bb.98:
	s_wait_loadcnt 0x0
	global_load_u8 v0, v[2:3], off
	s_mov_b32 s25, 0
	s_mov_b32 s23, -1
	s_wait_loadcnt 0x0
	v_cmp_ne_u16_e32 vcc_lo, 0, v0
	v_cndmask_b32_e64 v0, 0, 1, vcc_lo
	s_branch .LBB94_100
.LBB94_99:
	s_mov_b32 s25, -1
                                        ; implicit-def: $vgpr0
.LBB94_100:
	s_branch .LBB94_10
.LBB94_101:
	s_and_b32 s0, 0xffff, s0
	s_delay_alu instid0(SALU_CYCLE_1)
	s_cmp_lt_i32 s0, 5
	s_cbranch_scc1 .LBB94_106
; %bb.102:
	s_cmp_lt_i32 s0, 8
	s_cbranch_scc1 .LBB94_107
; %bb.103:
	s_cmp_lt_i32 s0, 9
	s_cbranch_scc1 .LBB94_108
; %bb.104:
	s_cmp_gt_i32 s0, 9
	s_cbranch_scc0 .LBB94_109
; %bb.105:
	s_wait_loadcnt 0x0
	global_load_b64 v[0:1], v[2:3], off
	s_mov_b32 s21, 0
	s_wait_loadcnt 0x0
	v_cvt_i32_f64_e32 v0, v[0:1]
	s_branch .LBB94_110
.LBB94_106:
                                        ; implicit-def: $vgpr0
	s_branch .LBB94_128
.LBB94_107:
	s_mov_b32 s21, -1
                                        ; implicit-def: $vgpr0
	s_branch .LBB94_116
.LBB94_108:
	s_mov_b32 s21, -1
                                        ; implicit-def: $vgpr0
	s_branch .LBB94_113
.LBB94_109:
	s_mov_b32 s21, -1
                                        ; implicit-def: $vgpr0
.LBB94_110:
	s_delay_alu instid0(SALU_CYCLE_1)
	s_and_not1_b32 vcc_lo, exec_lo, s21
	s_cbranch_vccnz .LBB94_112
; %bb.111:
	s_wait_loadcnt 0x0
	global_load_b32 v0, v[2:3], off
	s_wait_loadcnt 0x0
	v_cvt_i32_f32_e32 v0, v0
.LBB94_112:
	s_mov_b32 s21, 0
.LBB94_113:
	s_delay_alu instid0(SALU_CYCLE_1)
	s_and_not1_b32 vcc_lo, exec_lo, s21
	s_cbranch_vccnz .LBB94_115
; %bb.114:
	s_wait_loadcnt 0x0
	global_load_b32 v0, v[2:3], off
	s_wait_loadcnt 0x0
	v_cvt_i16_f16_e32 v0, v0
.LBB94_115:
	s_mov_b32 s21, 0
.LBB94_116:
	s_delay_alu instid0(SALU_CYCLE_1)
	s_and_not1_b32 vcc_lo, exec_lo, s21
	s_cbranch_vccnz .LBB94_127
; %bb.117:
	s_cmp_lt_i32 s0, 6
	s_cbranch_scc1 .LBB94_120
; %bb.118:
	s_cmp_gt_i32 s0, 6
	s_cbranch_scc0 .LBB94_121
; %bb.119:
	s_wait_loadcnt 0x0
	global_load_b64 v[0:1], v[2:3], off
	s_mov_b32 s21, 0
	s_wait_loadcnt 0x0
	v_cvt_i32_f64_e32 v0, v[0:1]
	s_branch .LBB94_122
.LBB94_120:
	s_mov_b32 s21, -1
                                        ; implicit-def: $vgpr0
	s_branch .LBB94_125
.LBB94_121:
	s_mov_b32 s21, -1
                                        ; implicit-def: $vgpr0
.LBB94_122:
	s_delay_alu instid0(SALU_CYCLE_1)
	s_and_not1_b32 vcc_lo, exec_lo, s21
	s_cbranch_vccnz .LBB94_124
; %bb.123:
	s_wait_loadcnt 0x0
	global_load_b32 v0, v[2:3], off
	s_wait_loadcnt 0x0
	v_cvt_i32_f32_e32 v0, v0
.LBB94_124:
	s_mov_b32 s21, 0
.LBB94_125:
	s_delay_alu instid0(SALU_CYCLE_1)
	s_and_not1_b32 vcc_lo, exec_lo, s21
	s_cbranch_vccnz .LBB94_127
; %bb.126:
	s_wait_loadcnt 0x0
	global_load_u16 v0, v[2:3], off
	s_wait_loadcnt 0x0
	v_cvt_i16_f16_e32 v0, v0
.LBB94_127:
	s_cbranch_execnz .LBB94_147
.LBB94_128:
	s_cmp_lt_i32 s0, 2
	s_cbranch_scc1 .LBB94_132
; %bb.129:
	s_cmp_lt_i32 s0, 3
	s_cbranch_scc1 .LBB94_133
; %bb.130:
	s_cmp_gt_i32 s0, 3
	s_cbranch_scc0 .LBB94_134
; %bb.131:
	s_wait_loadcnt 0x0
	global_load_b64 v[0:1], v[2:3], off
	s_mov_b32 s21, 0
	s_branch .LBB94_135
.LBB94_132:
	s_mov_b32 s21, -1
                                        ; implicit-def: $vgpr0
	s_branch .LBB94_141
.LBB94_133:
	s_mov_b32 s21, -1
                                        ; implicit-def: $vgpr0
	s_branch .LBB94_138
.LBB94_134:
	s_mov_b32 s21, -1
                                        ; implicit-def: $vgpr0
.LBB94_135:
	s_delay_alu instid0(SALU_CYCLE_1)
	s_and_not1_b32 vcc_lo, exec_lo, s21
	s_cbranch_vccnz .LBB94_137
; %bb.136:
	s_wait_loadcnt 0x0
	global_load_b32 v0, v[2:3], off
.LBB94_137:
	s_mov_b32 s21, 0
.LBB94_138:
	s_delay_alu instid0(SALU_CYCLE_1)
	s_and_not1_b32 vcc_lo, exec_lo, s21
	s_cbranch_vccnz .LBB94_140
; %bb.139:
	s_wait_loadcnt 0x0
	global_load_u16 v0, v[2:3], off
.LBB94_140:
	s_mov_b32 s21, 0
.LBB94_141:
	s_delay_alu instid0(SALU_CYCLE_1)
	s_and_not1_b32 vcc_lo, exec_lo, s21
	s_cbranch_vccnz .LBB94_147
; %bb.142:
	s_cmp_gt_i32 s0, 0
	s_mov_b32 s0, 0
	s_cbranch_scc0 .LBB94_144
; %bb.143:
	s_wait_loadcnt 0x0
	global_load_i8 v0, v[2:3], off
	s_branch .LBB94_145
.LBB94_144:
	s_mov_b32 s0, -1
                                        ; implicit-def: $vgpr0
.LBB94_145:
	s_delay_alu instid0(SALU_CYCLE_1)
	s_and_not1_b32 vcc_lo, exec_lo, s0
	s_cbranch_vccnz .LBB94_147
; %bb.146:
	s_wait_loadcnt 0x0
	global_load_u8 v0, v[2:3], off
.LBB94_147:
	s_branch .LBB94_11
.LBB94_148:
	s_mov_b32 s0, 0
	s_mov_b32 s23, 0
	;; [unrolled: 1-line block ×3, first 2 shown]
	s_branch .LBB94_498
.LBB94_149:
	s_mov_b32 s24, -1
.LBB94_150:
	s_mov_b32 s23, 0
                                        ; implicit-def: $vgpr2
.LBB94_151:
	s_and_b32 vcc_lo, exec_lo, s28
	s_cbranch_vccz .LBB94_156
; %bb.152:
	s_cmp_eq_u32 s21, 44
	s_cbranch_scc0 .LBB94_155
; %bb.153:
	s_wait_loadcnt 0x0
	global_load_u8 v1, v[4:5], off
	s_mov_b32 s24, 0
	s_mov_b32 s23, -1
	s_wait_loadcnt 0x0
	v_lshlrev_b32_e32 v2, 23, v1
	v_cmp_ne_u32_e32 vcc_lo, 0, v1
	s_delay_alu instid0(VALU_DEP_2) | instskip(NEXT) | instid1(VALU_DEP_1)
	v_cvt_i32_f32_e32 v2, v2
	v_cndmask_b32_e32 v2, 0, v2, vcc_lo
	s_branch .LBB94_156
.LBB94_154:
	s_mov_b32 s28, -1
	s_mov_b32 s23, 0
	s_branch .LBB94_263
.LBB94_155:
	s_mov_b32 s24, -1
                                        ; implicit-def: $vgpr2
.LBB94_156:
	s_mov_b32 s28, 0
.LBB94_157:
	s_delay_alu instid0(SALU_CYCLE_1)
	s_and_b32 vcc_lo, exec_lo, s28
	s_cbranch_vccz .LBB94_161
; %bb.158:
	s_cmp_eq_u32 s21, 29
	s_cbranch_scc0 .LBB94_160
; %bb.159:
	global_load_b64 v[2:3], v[4:5], off
	s_mov_b32 s23, -1
	s_mov_b32 s24, 0
	s_branch .LBB94_161
.LBB94_160:
	s_mov_b32 s24, -1
                                        ; implicit-def: $vgpr2
.LBB94_161:
	s_mov_b32 s28, 0
.LBB94_162:
	s_delay_alu instid0(SALU_CYCLE_1)
	s_and_b32 vcc_lo, exec_lo, s28
	s_cbranch_vccz .LBB94_178
; %bb.163:
	s_cmp_lt_i32 s21, 27
	s_cbranch_scc1 .LBB94_166
; %bb.164:
	s_cmp_gt_i32 s21, 27
	s_cbranch_scc0 .LBB94_167
; %bb.165:
	s_wait_loadcnt 0x0
	global_load_b32 v2, v[4:5], off
	s_mov_b32 s23, 0
	s_branch .LBB94_168
.LBB94_166:
	s_mov_b32 s23, -1
                                        ; implicit-def: $vgpr2
	s_branch .LBB94_171
.LBB94_167:
	s_mov_b32 s23, -1
                                        ; implicit-def: $vgpr2
.LBB94_168:
	s_delay_alu instid0(SALU_CYCLE_1)
	s_and_not1_b32 vcc_lo, exec_lo, s23
	s_cbranch_vccnz .LBB94_170
; %bb.169:
	s_wait_loadcnt 0x0
	global_load_u16 v2, v[4:5], off
.LBB94_170:
	s_mov_b32 s23, 0
.LBB94_171:
	s_delay_alu instid0(SALU_CYCLE_1)
	s_and_not1_b32 vcc_lo, exec_lo, s23
	s_cbranch_vccnz .LBB94_177
; %bb.172:
	s_wait_loadcnt 0x0
	global_load_u8 v1, v[4:5], off
	s_mov_b32 s28, 0
	s_mov_b32 s23, exec_lo
	s_wait_loadcnt 0x0
	v_cmpx_lt_i16_e32 0x7f, v1
	s_xor_b32 s23, exec_lo, s23
	s_cbranch_execz .LBB94_189
; %bb.173:
	v_cmp_ne_u16_e32 vcc_lo, 0x80, v1
	s_and_b32 s28, vcc_lo, exec_lo
	s_and_not1_saveexec_b32 s23, s23
	s_cbranch_execnz .LBB94_190
.LBB94_174:
	s_or_b32 exec_lo, exec_lo, s23
	v_mov_b32_e32 v2, 0
	s_and_saveexec_b32 s23, s28
	s_cbranch_execz .LBB94_176
.LBB94_175:
	v_and_b32_e32 v2, 0xffff, v1
	s_delay_alu instid0(VALU_DEP_1) | instskip(SKIP_1) | instid1(VALU_DEP_2)
	v_dual_lshlrev_b32 v1, 24, v1 :: v_dual_bitop2_b32 v3, 7, v2 bitop3:0x40
	v_bfe_u32 v8, v2, 3, 4
	v_and_b32_e32 v1, 0x80000000, v1
	s_delay_alu instid0(VALU_DEP_3) | instskip(NEXT) | instid1(VALU_DEP_3)
	v_clz_i32_u32_e32 v6, v3
	v_cmp_eq_u32_e32 vcc_lo, 0, v8
	s_delay_alu instid0(VALU_DEP_2) | instskip(NEXT) | instid1(VALU_DEP_1)
	v_min_u32_e32 v6, 32, v6
	v_subrev_nc_u32_e32 v7, 28, v6
	v_sub_nc_u32_e32 v6, 29, v6
	s_delay_alu instid0(VALU_DEP_2) | instskip(NEXT) | instid1(VALU_DEP_2)
	v_lshlrev_b32_e32 v2, v7, v2
	v_cndmask_b32_e32 v6, v8, v6, vcc_lo
	s_delay_alu instid0(VALU_DEP_2) | instskip(NEXT) | instid1(VALU_DEP_1)
	v_and_b32_e32 v2, 7, v2
	v_cndmask_b32_e32 v2, v3, v2, vcc_lo
	s_delay_alu instid0(VALU_DEP_3) | instskip(NEXT) | instid1(VALU_DEP_2)
	v_lshl_add_u32 v3, v6, 23, 0x3b800000
	v_lshlrev_b32_e32 v2, 20, v2
	s_delay_alu instid0(VALU_DEP_1) | instskip(NEXT) | instid1(VALU_DEP_1)
	v_or3_b32 v1, v1, v3, v2
	v_cvt_i32_f32_e32 v2, v1
.LBB94_176:
	s_or_b32 exec_lo, exec_lo, s23
.LBB94_177:
	s_mov_b32 s23, -1
.LBB94_178:
	s_mov_b32 s28, 0
.LBB94_179:
	s_delay_alu instid0(SALU_CYCLE_1)
	s_and_b32 vcc_lo, exec_lo, s28
	s_cbranch_vccz .LBB94_212
; %bb.180:
	s_cmp_gt_i32 s21, 22
	s_cbranch_scc0 .LBB94_188
; %bb.181:
	s_cmp_lt_i32 s21, 24
	s_cbranch_scc1 .LBB94_191
; %bb.182:
	s_cmp_gt_i32 s21, 24
	s_cbranch_scc0 .LBB94_192
; %bb.183:
	s_wait_loadcnt 0x0
	global_load_u8 v1, v[4:5], off
	s_mov_b32 s28, 0
	s_mov_b32 s23, exec_lo
	s_wait_loadcnt 0x0
	v_cmpx_lt_i16_e32 0x7f, v1
	s_xor_b32 s23, exec_lo, s23
	s_cbranch_execz .LBB94_204
; %bb.184:
	v_cmp_ne_u16_e32 vcc_lo, 0x80, v1
	s_and_b32 s28, vcc_lo, exec_lo
	s_and_not1_saveexec_b32 s23, s23
	s_cbranch_execnz .LBB94_205
.LBB94_185:
	s_or_b32 exec_lo, exec_lo, s23
	v_mov_b32_e32 v2, 0
	s_and_saveexec_b32 s23, s28
	s_cbranch_execz .LBB94_187
.LBB94_186:
	v_and_b32_e32 v2, 0xffff, v1
	s_delay_alu instid0(VALU_DEP_1) | instskip(SKIP_1) | instid1(VALU_DEP_2)
	v_dual_lshlrev_b32 v1, 24, v1 :: v_dual_bitop2_b32 v3, 3, v2 bitop3:0x40
	v_bfe_u32 v8, v2, 2, 5
	v_and_b32_e32 v1, 0x80000000, v1
	s_delay_alu instid0(VALU_DEP_3) | instskip(NEXT) | instid1(VALU_DEP_3)
	v_clz_i32_u32_e32 v6, v3
	v_cmp_eq_u32_e32 vcc_lo, 0, v8
	s_delay_alu instid0(VALU_DEP_2) | instskip(NEXT) | instid1(VALU_DEP_1)
	v_min_u32_e32 v6, 32, v6
	v_subrev_nc_u32_e32 v7, 29, v6
	v_sub_nc_u32_e32 v6, 30, v6
	s_delay_alu instid0(VALU_DEP_2) | instskip(NEXT) | instid1(VALU_DEP_2)
	v_lshlrev_b32_e32 v2, v7, v2
	v_cndmask_b32_e32 v6, v8, v6, vcc_lo
	s_delay_alu instid0(VALU_DEP_2) | instskip(NEXT) | instid1(VALU_DEP_1)
	v_and_b32_e32 v2, 3, v2
	v_cndmask_b32_e32 v2, v3, v2, vcc_lo
	s_delay_alu instid0(VALU_DEP_3) | instskip(NEXT) | instid1(VALU_DEP_2)
	v_lshl_add_u32 v3, v6, 23, 0x37800000
	v_lshlrev_b32_e32 v2, 21, v2
	s_delay_alu instid0(VALU_DEP_1) | instskip(NEXT) | instid1(VALU_DEP_1)
	v_or3_b32 v1, v1, v3, v2
	v_cvt_i32_f32_e32 v2, v1
.LBB94_187:
	s_or_b32 exec_lo, exec_lo, s23
	s_mov_b32 s23, 0
	s_branch .LBB94_193
.LBB94_188:
	s_mov_b32 s28, -1
                                        ; implicit-def: $vgpr2
	s_branch .LBB94_199
.LBB94_189:
	s_and_not1_saveexec_b32 s23, s23
	s_cbranch_execz .LBB94_174
.LBB94_190:
	v_cmp_ne_u16_e32 vcc_lo, 0, v1
	s_and_not1_b32 s28, s28, exec_lo
	s_and_b32 s29, vcc_lo, exec_lo
	s_delay_alu instid0(SALU_CYCLE_1)
	s_or_b32 s28, s28, s29
	s_or_b32 exec_lo, exec_lo, s23
	v_mov_b32_e32 v2, 0
	s_and_saveexec_b32 s23, s28
	s_cbranch_execnz .LBB94_175
	s_branch .LBB94_176
.LBB94_191:
	s_mov_b32 s23, -1
                                        ; implicit-def: $vgpr2
	s_branch .LBB94_196
.LBB94_192:
	s_mov_b32 s23, -1
                                        ; implicit-def: $vgpr2
.LBB94_193:
	s_delay_alu instid0(SALU_CYCLE_1)
	s_and_b32 vcc_lo, exec_lo, s23
	s_cbranch_vccz .LBB94_195
; %bb.194:
	s_wait_loadcnt 0x0
	global_load_u8 v1, v[4:5], off
	s_wait_loadcnt 0x0
	v_lshlrev_b32_e32 v1, 24, v1
	s_delay_alu instid0(VALU_DEP_1) | instskip(NEXT) | instid1(VALU_DEP_1)
	v_and_b32_e32 v2, 0x7f000000, v1
	v_clz_i32_u32_e32 v3, v2
	v_cmp_ne_u32_e32 vcc_lo, 0, v2
	v_add_nc_u32_e32 v7, 0x1000000, v2
	s_delay_alu instid0(VALU_DEP_3) | instskip(NEXT) | instid1(VALU_DEP_1)
	v_min_u32_e32 v3, 32, v3
	v_sub_nc_u32_e64 v3, v3, 4 clamp
	s_delay_alu instid0(VALU_DEP_1) | instskip(NEXT) | instid1(VALU_DEP_1)
	v_dual_lshlrev_b32 v6, v3, v2 :: v_dual_lshlrev_b32 v3, 23, v3
	v_lshrrev_b32_e32 v6, 4, v6
	s_delay_alu instid0(VALU_DEP_1) | instskip(SKIP_1) | instid1(VALU_DEP_2)
	v_sub_nc_u32_e32 v3, v6, v3
	v_ashrrev_i32_e32 v6, 8, v7
	v_add_nc_u32_e32 v3, 0x3c000000, v3
	s_delay_alu instid0(VALU_DEP_1) | instskip(NEXT) | instid1(VALU_DEP_1)
	v_and_or_b32 v3, 0x7f800000, v6, v3
	v_cndmask_b32_e32 v2, 0, v3, vcc_lo
	s_delay_alu instid0(VALU_DEP_1) | instskip(NEXT) | instid1(VALU_DEP_1)
	v_and_or_b32 v1, 0x80000000, v1, v2
	v_cvt_i32_f32_e32 v2, v1
.LBB94_195:
	s_mov_b32 s23, 0
.LBB94_196:
	s_delay_alu instid0(SALU_CYCLE_1)
	s_and_not1_b32 vcc_lo, exec_lo, s23
	s_cbranch_vccnz .LBB94_198
; %bb.197:
	s_wait_loadcnt 0x0
	global_load_u8 v1, v[4:5], off
	s_wait_loadcnt 0x0
	v_lshlrev_b32_e32 v2, 25, v1
	v_lshlrev_b16 v1, 8, v1
	s_delay_alu instid0(VALU_DEP_1) | instskip(SKIP_1) | instid1(VALU_DEP_2)
	v_and_or_b32 v6, 0x7f00, v1, 0.5
	v_bfe_i32 v1, v1, 0, 16
	v_add_f32_e32 v6, -0.5, v6
	v_lshrrev_b32_e32 v3, 4, v2
	v_cmp_gt_u32_e32 vcc_lo, 0x8000000, v2
	s_delay_alu instid0(VALU_DEP_2) | instskip(NEXT) | instid1(VALU_DEP_1)
	v_or_b32_e32 v3, 0x70000000, v3
	v_mul_f32_e32 v3, 0x7800000, v3
	s_delay_alu instid0(VALU_DEP_1) | instskip(NEXT) | instid1(VALU_DEP_1)
	v_cndmask_b32_e32 v2, v3, v6, vcc_lo
	v_and_or_b32 v1, 0x80000000, v1, v2
	s_delay_alu instid0(VALU_DEP_1)
	v_cvt_i32_f32_e32 v2, v1
.LBB94_198:
	s_mov_b32 s28, 0
	s_mov_b32 s23, -1
.LBB94_199:
	s_and_not1_b32 vcc_lo, exec_lo, s28
	s_cbranch_vccnz .LBB94_212
; %bb.200:
	s_cmp_gt_i32 s21, 14
	s_cbranch_scc0 .LBB94_203
; %bb.201:
	s_cmp_eq_u32 s21, 15
	s_cbranch_scc0 .LBB94_206
; %bb.202:
	s_wait_loadcnt 0x0
	global_load_u16 v1, v[4:5], off
	s_mov_b32 s23, -1
	s_mov_b32 s24, 0
	s_wait_loadcnt 0x0
	v_lshlrev_b32_e32 v1, 16, v1
	s_delay_alu instid0(VALU_DEP_1)
	v_cvt_i32_f32_e32 v2, v1
	s_branch .LBB94_207
.LBB94_203:
	s_mov_b32 s28, -1
                                        ; implicit-def: $vgpr2
	s_branch .LBB94_208
.LBB94_204:
	s_and_not1_saveexec_b32 s23, s23
	s_cbranch_execz .LBB94_185
.LBB94_205:
	v_cmp_ne_u16_e32 vcc_lo, 0, v1
	s_and_not1_b32 s28, s28, exec_lo
	s_and_b32 s29, vcc_lo, exec_lo
	s_delay_alu instid0(SALU_CYCLE_1)
	s_or_b32 s28, s28, s29
	s_or_b32 exec_lo, exec_lo, s23
	v_mov_b32_e32 v2, 0
	s_and_saveexec_b32 s23, s28
	s_cbranch_execnz .LBB94_186
	s_branch .LBB94_187
.LBB94_206:
	s_mov_b32 s24, -1
                                        ; implicit-def: $vgpr2
.LBB94_207:
	s_mov_b32 s28, 0
.LBB94_208:
	s_delay_alu instid0(SALU_CYCLE_1)
	s_and_b32 vcc_lo, exec_lo, s28
	s_cbranch_vccz .LBB94_212
; %bb.209:
	s_cmp_eq_u32 s21, 11
	s_cbranch_scc0 .LBB94_211
; %bb.210:
	s_wait_loadcnt 0x0
	global_load_u8 v1, v[4:5], off
	s_mov_b32 s24, 0
	s_mov_b32 s23, -1
	s_wait_loadcnt 0x0
	v_cmp_ne_u16_e32 vcc_lo, 0, v1
	v_cndmask_b32_e64 v2, 0, 1, vcc_lo
	s_branch .LBB94_212
.LBB94_211:
	s_mov_b32 s24, -1
                                        ; implicit-def: $vgpr2
.LBB94_212:
	s_branch .LBB94_20
.LBB94_213:
	s_and_b32 s0, 0xffff, s0
	s_delay_alu instid0(SALU_CYCLE_1)
	s_cmp_lt_i32 s0, 5
	s_cbranch_scc1 .LBB94_218
; %bb.214:
	s_cmp_lt_i32 s0, 8
	s_cbranch_scc1 .LBB94_219
; %bb.215:
	;; [unrolled: 3-line block ×3, first 2 shown]
	s_cmp_gt_i32 s0, 9
	s_cbranch_scc0 .LBB94_221
; %bb.217:
	s_wait_loadcnt 0x0
	global_load_b64 v[2:3], v[4:5], off
	s_mov_b32 s21, 0
	s_wait_loadcnt 0x0
	v_cvt_i32_f64_e32 v2, v[2:3]
	s_branch .LBB94_222
.LBB94_218:
	s_mov_b32 s21, -1
                                        ; implicit-def: $vgpr2
	s_branch .LBB94_240
.LBB94_219:
	s_mov_b32 s21, -1
                                        ; implicit-def: $vgpr2
	s_branch .LBB94_228
.LBB94_220:
	s_mov_b32 s21, -1
                                        ; implicit-def: $vgpr2
	s_branch .LBB94_225
.LBB94_221:
	s_mov_b32 s21, -1
                                        ; implicit-def: $vgpr2
.LBB94_222:
	s_delay_alu instid0(SALU_CYCLE_1)
	s_and_not1_b32 vcc_lo, exec_lo, s21
	s_cbranch_vccnz .LBB94_224
; %bb.223:
	s_wait_loadcnt 0x0
	global_load_b32 v1, v[4:5], off
	s_wait_loadcnt 0x0
	v_cvt_i32_f32_e32 v2, v1
.LBB94_224:
	s_mov_b32 s21, 0
.LBB94_225:
	s_delay_alu instid0(SALU_CYCLE_1)
	s_and_not1_b32 vcc_lo, exec_lo, s21
	s_cbranch_vccnz .LBB94_227
; %bb.226:
	s_wait_loadcnt 0x0
	global_load_b32 v1, v[4:5], off
	s_wait_loadcnt 0x0
	v_cvt_i16_f16_e32 v2, v1
.LBB94_227:
	s_mov_b32 s21, 0
.LBB94_228:
	s_delay_alu instid0(SALU_CYCLE_1)
	s_and_not1_b32 vcc_lo, exec_lo, s21
	s_cbranch_vccnz .LBB94_239
; %bb.229:
	s_cmp_lt_i32 s0, 6
	s_cbranch_scc1 .LBB94_232
; %bb.230:
	s_cmp_gt_i32 s0, 6
	s_cbranch_scc0 .LBB94_233
; %bb.231:
	s_wait_loadcnt 0x0
	global_load_b64 v[2:3], v[4:5], off
	s_mov_b32 s21, 0
	s_wait_loadcnt 0x0
	v_cvt_i32_f64_e32 v2, v[2:3]
	s_branch .LBB94_234
.LBB94_232:
	s_mov_b32 s21, -1
                                        ; implicit-def: $vgpr2
	s_branch .LBB94_237
.LBB94_233:
	s_mov_b32 s21, -1
                                        ; implicit-def: $vgpr2
.LBB94_234:
	s_delay_alu instid0(SALU_CYCLE_1)
	s_and_not1_b32 vcc_lo, exec_lo, s21
	s_cbranch_vccnz .LBB94_236
; %bb.235:
	s_wait_loadcnt 0x0
	global_load_b32 v1, v[4:5], off
	s_wait_loadcnt 0x0
	v_cvt_i32_f32_e32 v2, v1
.LBB94_236:
	s_mov_b32 s21, 0
.LBB94_237:
	s_delay_alu instid0(SALU_CYCLE_1)
	s_and_not1_b32 vcc_lo, exec_lo, s21
	s_cbranch_vccnz .LBB94_239
; %bb.238:
	s_wait_loadcnt 0x0
	global_load_u16 v1, v[4:5], off
	s_wait_loadcnt 0x0
	v_cvt_i16_f16_e32 v2, v1
.LBB94_239:
	s_mov_b32 s21, 0
.LBB94_240:
	s_delay_alu instid0(SALU_CYCLE_1)
	s_and_not1_b32 vcc_lo, exec_lo, s21
	s_cbranch_vccnz .LBB94_260
; %bb.241:
	s_cmp_lt_i32 s0, 2
	s_cbranch_scc1 .LBB94_245
; %bb.242:
	s_cmp_lt_i32 s0, 3
	s_cbranch_scc1 .LBB94_246
; %bb.243:
	s_cmp_gt_i32 s0, 3
	s_cbranch_scc0 .LBB94_247
; %bb.244:
	s_wait_loadcnt 0x0
	global_load_b64 v[2:3], v[4:5], off
	s_mov_b32 s21, 0
	s_branch .LBB94_248
.LBB94_245:
	s_mov_b32 s21, -1
                                        ; implicit-def: $vgpr2
	s_branch .LBB94_254
.LBB94_246:
	s_mov_b32 s21, -1
                                        ; implicit-def: $vgpr2
	s_branch .LBB94_251
.LBB94_247:
	s_mov_b32 s21, -1
                                        ; implicit-def: $vgpr2
.LBB94_248:
	s_delay_alu instid0(SALU_CYCLE_1)
	s_and_not1_b32 vcc_lo, exec_lo, s21
	s_cbranch_vccnz .LBB94_250
; %bb.249:
	s_wait_loadcnt 0x0
	global_load_b32 v2, v[4:5], off
.LBB94_250:
	s_mov_b32 s21, 0
.LBB94_251:
	s_delay_alu instid0(SALU_CYCLE_1)
	s_and_not1_b32 vcc_lo, exec_lo, s21
	s_cbranch_vccnz .LBB94_253
; %bb.252:
	s_wait_loadcnt 0x0
	global_load_u16 v2, v[4:5], off
.LBB94_253:
	s_mov_b32 s21, 0
.LBB94_254:
	s_delay_alu instid0(SALU_CYCLE_1)
	s_and_not1_b32 vcc_lo, exec_lo, s21
	s_cbranch_vccnz .LBB94_260
; %bb.255:
	s_cmp_gt_i32 s0, 0
	s_mov_b32 s0, 0
	s_cbranch_scc0 .LBB94_257
; %bb.256:
	s_wait_loadcnt 0x0
	global_load_i8 v2, v[4:5], off
	s_branch .LBB94_258
.LBB94_257:
	s_mov_b32 s0, -1
                                        ; implicit-def: $vgpr2
.LBB94_258:
	s_delay_alu instid0(SALU_CYCLE_1)
	s_and_not1_b32 vcc_lo, exec_lo, s0
	s_cbranch_vccnz .LBB94_260
; %bb.259:
	s_wait_loadcnt 0x0
	global_load_u8 v2, v[4:5], off
.LBB94_260:
	s_branch .LBB94_21
.LBB94_261:
	s_mov_b32 s0, 0
	s_mov_b32 s23, 0
	s_branch .LBB94_498
.LBB94_262:
	s_mov_b32 s23, -1
.LBB94_263:
	s_mov_b32 s21, 0
                                        ; implicit-def: $vgpr6
.LBB94_264:
	s_and_b32 vcc_lo, exec_lo, s28
	s_cbranch_vccz .LBB94_268
; %bb.265:
	s_cmp_eq_u32 s0, 44
	s_cbranch_scc0 .LBB94_267
; %bb.266:
	s_wait_loadcnt 0x0
	global_load_u8 v1, v[4:5], off
	s_mov_b32 s23, 0
	s_mov_b32 s21, -1
	s_wait_loadcnt 0x0
	v_lshlrev_b32_e32 v3, 23, v1
	v_cmp_ne_u32_e32 vcc_lo, 0, v1
	s_delay_alu instid0(VALU_DEP_2) | instskip(NEXT) | instid1(VALU_DEP_1)
	v_cvt_i32_f32_e32 v3, v3
	v_cndmask_b32_e32 v6, 0, v3, vcc_lo
	s_branch .LBB94_268
.LBB94_267:
	s_mov_b32 s23, -1
                                        ; implicit-def: $vgpr6
.LBB94_268:
	s_mov_b32 s28, 0
.LBB94_269:
	s_delay_alu instid0(SALU_CYCLE_1)
	s_and_b32 vcc_lo, exec_lo, s28
	s_cbranch_vccz .LBB94_273
; %bb.270:
	s_cmp_eq_u32 s0, 29
	s_cbranch_scc0 .LBB94_272
; %bb.271:
	global_load_b64 v[6:7], v[4:5], off
	s_mov_b32 s21, -1
	s_mov_b32 s23, 0
	s_branch .LBB94_273
.LBB94_272:
	s_mov_b32 s23, -1
                                        ; implicit-def: $vgpr6
.LBB94_273:
	s_mov_b32 s28, 0
.LBB94_274:
	s_delay_alu instid0(SALU_CYCLE_1)
	s_and_b32 vcc_lo, exec_lo, s28
	s_cbranch_vccz .LBB94_290
; %bb.275:
	s_cmp_lt_i32 s0, 27
	s_cbranch_scc1 .LBB94_278
; %bb.276:
	s_cmp_gt_i32 s0, 27
	s_cbranch_scc0 .LBB94_279
; %bb.277:
	s_wait_loadcnt 0x0
	global_load_b32 v6, v[4:5], off
	s_mov_b32 s21, 0
	s_branch .LBB94_280
.LBB94_278:
	s_mov_b32 s21, -1
                                        ; implicit-def: $vgpr6
	s_branch .LBB94_283
.LBB94_279:
	s_mov_b32 s21, -1
                                        ; implicit-def: $vgpr6
.LBB94_280:
	s_delay_alu instid0(SALU_CYCLE_1)
	s_and_not1_b32 vcc_lo, exec_lo, s21
	s_cbranch_vccnz .LBB94_282
; %bb.281:
	s_wait_loadcnt 0x0
	global_load_u16 v6, v[4:5], off
.LBB94_282:
	s_mov_b32 s21, 0
.LBB94_283:
	s_delay_alu instid0(SALU_CYCLE_1)
	s_and_not1_b32 vcc_lo, exec_lo, s21
	s_cbranch_vccnz .LBB94_289
; %bb.284:
	s_wait_loadcnt 0x0
	global_load_u8 v1, v[4:5], off
	s_mov_b32 s28, 0
	s_mov_b32 s21, exec_lo
	s_wait_loadcnt 0x0
	v_cmpx_lt_i16_e32 0x7f, v1
	s_xor_b32 s21, exec_lo, s21
	s_cbranch_execz .LBB94_301
; %bb.285:
	v_cmp_ne_u16_e32 vcc_lo, 0x80, v1
	s_and_b32 s28, vcc_lo, exec_lo
	s_and_not1_saveexec_b32 s21, s21
	s_cbranch_execnz .LBB94_302
.LBB94_286:
	s_or_b32 exec_lo, exec_lo, s21
	v_mov_b32_e32 v6, 0
	s_and_saveexec_b32 s21, s28
	s_cbranch_execz .LBB94_288
.LBB94_287:
	v_and_b32_e32 v3, 0xffff, v1
	s_delay_alu instid0(VALU_DEP_1) | instskip(SKIP_1) | instid1(VALU_DEP_2)
	v_dual_lshlrev_b32 v1, 24, v1 :: v_dual_bitop2_b32 v6, 7, v3 bitop3:0x40
	v_bfe_u32 v9, v3, 3, 4
	v_and_b32_e32 v1, 0x80000000, v1
	s_delay_alu instid0(VALU_DEP_3) | instskip(NEXT) | instid1(VALU_DEP_3)
	v_clz_i32_u32_e32 v7, v6
	v_cmp_eq_u32_e32 vcc_lo, 0, v9
	s_delay_alu instid0(VALU_DEP_2) | instskip(NEXT) | instid1(VALU_DEP_1)
	v_min_u32_e32 v7, 32, v7
	v_subrev_nc_u32_e32 v8, 28, v7
	v_sub_nc_u32_e32 v7, 29, v7
	s_delay_alu instid0(VALU_DEP_2) | instskip(NEXT) | instid1(VALU_DEP_2)
	v_lshlrev_b32_e32 v3, v8, v3
	v_cndmask_b32_e32 v7, v9, v7, vcc_lo
	s_delay_alu instid0(VALU_DEP_2) | instskip(NEXT) | instid1(VALU_DEP_1)
	v_and_b32_e32 v3, 7, v3
	v_cndmask_b32_e32 v3, v6, v3, vcc_lo
	s_delay_alu instid0(VALU_DEP_3) | instskip(NEXT) | instid1(VALU_DEP_2)
	v_lshl_add_u32 v6, v7, 23, 0x3b800000
	v_lshlrev_b32_e32 v3, 20, v3
	s_delay_alu instid0(VALU_DEP_1) | instskip(NEXT) | instid1(VALU_DEP_1)
	v_or3_b32 v1, v1, v6, v3
	v_cvt_i32_f32_e32 v6, v1
.LBB94_288:
	s_or_b32 exec_lo, exec_lo, s21
.LBB94_289:
	s_mov_b32 s21, -1
.LBB94_290:
	s_mov_b32 s28, 0
.LBB94_291:
	s_delay_alu instid0(SALU_CYCLE_1)
	s_and_b32 vcc_lo, exec_lo, s28
	s_cbranch_vccz .LBB94_324
; %bb.292:
	s_cmp_gt_i32 s0, 22
	s_cbranch_scc0 .LBB94_300
; %bb.293:
	s_cmp_lt_i32 s0, 24
	s_cbranch_scc1 .LBB94_303
; %bb.294:
	s_cmp_gt_i32 s0, 24
	s_cbranch_scc0 .LBB94_304
; %bb.295:
	s_wait_loadcnt 0x0
	global_load_u8 v1, v[4:5], off
	s_mov_b32 s28, 0
	s_mov_b32 s21, exec_lo
	s_wait_loadcnt 0x0
	v_cmpx_lt_i16_e32 0x7f, v1
	s_xor_b32 s21, exec_lo, s21
	s_cbranch_execz .LBB94_316
; %bb.296:
	v_cmp_ne_u16_e32 vcc_lo, 0x80, v1
	s_and_b32 s28, vcc_lo, exec_lo
	s_and_not1_saveexec_b32 s21, s21
	s_cbranch_execnz .LBB94_317
.LBB94_297:
	s_or_b32 exec_lo, exec_lo, s21
	v_mov_b32_e32 v6, 0
	s_and_saveexec_b32 s21, s28
	s_cbranch_execz .LBB94_299
.LBB94_298:
	v_and_b32_e32 v3, 0xffff, v1
	s_delay_alu instid0(VALU_DEP_1) | instskip(SKIP_1) | instid1(VALU_DEP_2)
	v_dual_lshlrev_b32 v1, 24, v1 :: v_dual_bitop2_b32 v6, 3, v3 bitop3:0x40
	v_bfe_u32 v9, v3, 2, 5
	v_and_b32_e32 v1, 0x80000000, v1
	s_delay_alu instid0(VALU_DEP_3) | instskip(NEXT) | instid1(VALU_DEP_3)
	v_clz_i32_u32_e32 v7, v6
	v_cmp_eq_u32_e32 vcc_lo, 0, v9
	s_delay_alu instid0(VALU_DEP_2) | instskip(NEXT) | instid1(VALU_DEP_1)
	v_min_u32_e32 v7, 32, v7
	v_subrev_nc_u32_e32 v8, 29, v7
	v_sub_nc_u32_e32 v7, 30, v7
	s_delay_alu instid0(VALU_DEP_2) | instskip(NEXT) | instid1(VALU_DEP_2)
	v_lshlrev_b32_e32 v3, v8, v3
	v_cndmask_b32_e32 v7, v9, v7, vcc_lo
	s_delay_alu instid0(VALU_DEP_2) | instskip(NEXT) | instid1(VALU_DEP_1)
	v_and_b32_e32 v3, 3, v3
	v_cndmask_b32_e32 v3, v6, v3, vcc_lo
	s_delay_alu instid0(VALU_DEP_3) | instskip(NEXT) | instid1(VALU_DEP_2)
	v_lshl_add_u32 v6, v7, 23, 0x37800000
	v_lshlrev_b32_e32 v3, 21, v3
	s_delay_alu instid0(VALU_DEP_1) | instskip(NEXT) | instid1(VALU_DEP_1)
	v_or3_b32 v1, v1, v6, v3
	v_cvt_i32_f32_e32 v6, v1
.LBB94_299:
	s_or_b32 exec_lo, exec_lo, s21
	s_mov_b32 s21, 0
	s_branch .LBB94_305
.LBB94_300:
	s_mov_b32 s28, -1
                                        ; implicit-def: $vgpr6
	s_branch .LBB94_311
.LBB94_301:
	s_and_not1_saveexec_b32 s21, s21
	s_cbranch_execz .LBB94_286
.LBB94_302:
	v_cmp_ne_u16_e32 vcc_lo, 0, v1
	s_and_not1_b32 s28, s28, exec_lo
	s_and_b32 s29, vcc_lo, exec_lo
	s_delay_alu instid0(SALU_CYCLE_1)
	s_or_b32 s28, s28, s29
	s_or_b32 exec_lo, exec_lo, s21
	v_mov_b32_e32 v6, 0
	s_and_saveexec_b32 s21, s28
	s_cbranch_execnz .LBB94_287
	s_branch .LBB94_288
.LBB94_303:
	s_mov_b32 s21, -1
                                        ; implicit-def: $vgpr6
	s_branch .LBB94_308
.LBB94_304:
	s_mov_b32 s21, -1
                                        ; implicit-def: $vgpr6
.LBB94_305:
	s_delay_alu instid0(SALU_CYCLE_1)
	s_and_b32 vcc_lo, exec_lo, s21
	s_cbranch_vccz .LBB94_307
; %bb.306:
	s_wait_loadcnt 0x0
	global_load_u8 v1, v[4:5], off
	s_wait_loadcnt 0x0
	v_lshlrev_b32_e32 v1, 24, v1
	s_delay_alu instid0(VALU_DEP_1) | instskip(NEXT) | instid1(VALU_DEP_1)
	v_and_b32_e32 v3, 0x7f000000, v1
	v_clz_i32_u32_e32 v6, v3
	v_cmp_ne_u32_e32 vcc_lo, 0, v3
	v_add_nc_u32_e32 v8, 0x1000000, v3
	s_delay_alu instid0(VALU_DEP_3) | instskip(NEXT) | instid1(VALU_DEP_1)
	v_min_u32_e32 v6, 32, v6
	v_sub_nc_u32_e64 v6, v6, 4 clamp
	s_delay_alu instid0(VALU_DEP_1) | instskip(NEXT) | instid1(VALU_DEP_1)
	v_dual_lshlrev_b32 v7, v6, v3 :: v_dual_lshlrev_b32 v6, 23, v6
	v_lshrrev_b32_e32 v7, 4, v7
	s_delay_alu instid0(VALU_DEP_1) | instskip(NEXT) | instid1(VALU_DEP_1)
	v_dual_sub_nc_u32 v6, v7, v6 :: v_dual_ashrrev_i32 v7, 8, v8
	v_add_nc_u32_e32 v6, 0x3c000000, v6
	s_delay_alu instid0(VALU_DEP_1) | instskip(NEXT) | instid1(VALU_DEP_1)
	v_and_or_b32 v6, 0x7f800000, v7, v6
	v_cndmask_b32_e32 v3, 0, v6, vcc_lo
	s_delay_alu instid0(VALU_DEP_1) | instskip(NEXT) | instid1(VALU_DEP_1)
	v_and_or_b32 v1, 0x80000000, v1, v3
	v_cvt_i32_f32_e32 v6, v1
.LBB94_307:
	s_mov_b32 s21, 0
.LBB94_308:
	s_delay_alu instid0(SALU_CYCLE_1)
	s_and_not1_b32 vcc_lo, exec_lo, s21
	s_cbranch_vccnz .LBB94_310
; %bb.309:
	s_wait_loadcnt 0x0
	global_load_u8 v1, v[4:5], off
	s_wait_loadcnt 0x0
	v_lshlrev_b32_e32 v3, 25, v1
	v_lshlrev_b16 v1, 8, v1
	s_delay_alu instid0(VALU_DEP_1) | instskip(SKIP_1) | instid1(VALU_DEP_2)
	v_and_or_b32 v7, 0x7f00, v1, 0.5
	v_bfe_i32 v1, v1, 0, 16
	v_add_f32_e32 v7, -0.5, v7
	v_lshrrev_b32_e32 v6, 4, v3
	v_cmp_gt_u32_e32 vcc_lo, 0x8000000, v3
	s_delay_alu instid0(VALU_DEP_2) | instskip(NEXT) | instid1(VALU_DEP_1)
	v_or_b32_e32 v6, 0x70000000, v6
	v_mul_f32_e32 v6, 0x7800000, v6
	s_delay_alu instid0(VALU_DEP_1) | instskip(NEXT) | instid1(VALU_DEP_1)
	v_cndmask_b32_e32 v3, v6, v7, vcc_lo
	v_and_or_b32 v1, 0x80000000, v1, v3
	s_delay_alu instid0(VALU_DEP_1)
	v_cvt_i32_f32_e32 v6, v1
.LBB94_310:
	s_mov_b32 s28, 0
	s_mov_b32 s21, -1
.LBB94_311:
	s_and_not1_b32 vcc_lo, exec_lo, s28
	s_cbranch_vccnz .LBB94_324
; %bb.312:
	s_cmp_gt_i32 s0, 14
	s_cbranch_scc0 .LBB94_315
; %bb.313:
	s_cmp_eq_u32 s0, 15
	s_cbranch_scc0 .LBB94_318
; %bb.314:
	s_wait_loadcnt 0x0
	global_load_u16 v1, v[4:5], off
	s_mov_b32 s21, -1
	s_mov_b32 s23, 0
	s_wait_loadcnt 0x0
	v_lshlrev_b32_e32 v1, 16, v1
	s_delay_alu instid0(VALU_DEP_1)
	v_cvt_i32_f32_e32 v6, v1
	s_branch .LBB94_319
.LBB94_315:
	s_mov_b32 s28, -1
                                        ; implicit-def: $vgpr6
	s_branch .LBB94_320
.LBB94_316:
	s_and_not1_saveexec_b32 s21, s21
	s_cbranch_execz .LBB94_297
.LBB94_317:
	v_cmp_ne_u16_e32 vcc_lo, 0, v1
	s_and_not1_b32 s28, s28, exec_lo
	s_and_b32 s29, vcc_lo, exec_lo
	s_delay_alu instid0(SALU_CYCLE_1)
	s_or_b32 s28, s28, s29
	s_or_b32 exec_lo, exec_lo, s21
	v_mov_b32_e32 v6, 0
	s_and_saveexec_b32 s21, s28
	s_cbranch_execnz .LBB94_298
	s_branch .LBB94_299
.LBB94_318:
	s_mov_b32 s23, -1
                                        ; implicit-def: $vgpr6
.LBB94_319:
	s_mov_b32 s28, 0
.LBB94_320:
	s_delay_alu instid0(SALU_CYCLE_1)
	s_and_b32 vcc_lo, exec_lo, s28
	s_cbranch_vccz .LBB94_324
; %bb.321:
	s_cmp_eq_u32 s0, 11
	s_cbranch_scc0 .LBB94_323
; %bb.322:
	s_wait_loadcnt 0x0
	global_load_u8 v1, v[4:5], off
	s_mov_b32 s23, 0
	s_mov_b32 s21, -1
	s_wait_loadcnt 0x0
	v_cmp_ne_u16_e32 vcc_lo, 0, v1
	v_cndmask_b32_e64 v6, 0, 1, vcc_lo
	s_branch .LBB94_324
.LBB94_323:
	s_mov_b32 s23, -1
                                        ; implicit-def: $vgpr6
.LBB94_324:
	s_mov_b32 s28, 0
.LBB94_325:
	s_delay_alu instid0(SALU_CYCLE_1)
	s_and_b32 vcc_lo, exec_lo, s28
	s_cbranch_vccz .LBB94_374
; %bb.326:
	s_cmp_lt_i32 s0, 5
	s_cbranch_scc1 .LBB94_331
; %bb.327:
	s_cmp_lt_i32 s0, 8
	s_cbranch_scc1 .LBB94_332
	;; [unrolled: 3-line block ×3, first 2 shown]
; %bb.329:
	s_cmp_gt_i32 s0, 9
	s_cbranch_scc0 .LBB94_334
; %bb.330:
	s_wait_loadcnt 0x0
	global_load_b64 v[6:7], v[4:5], off
	s_mov_b32 s21, 0
	s_wait_loadcnt 0x0
	v_cvt_i32_f64_e32 v6, v[6:7]
	s_branch .LBB94_335
.LBB94_331:
	s_mov_b32 s21, -1
                                        ; implicit-def: $vgpr6
	s_branch .LBB94_353
.LBB94_332:
	s_mov_b32 s21, -1
                                        ; implicit-def: $vgpr6
	s_branch .LBB94_341
.LBB94_333:
	s_mov_b32 s21, -1
                                        ; implicit-def: $vgpr6
	s_branch .LBB94_338
.LBB94_334:
	s_mov_b32 s21, -1
                                        ; implicit-def: $vgpr6
.LBB94_335:
	s_delay_alu instid0(SALU_CYCLE_1)
	s_and_not1_b32 vcc_lo, exec_lo, s21
	s_cbranch_vccnz .LBB94_337
; %bb.336:
	s_wait_loadcnt 0x0
	global_load_b32 v1, v[4:5], off
	s_wait_loadcnt 0x0
	v_cvt_i32_f32_e32 v6, v1
.LBB94_337:
	s_mov_b32 s21, 0
.LBB94_338:
	s_delay_alu instid0(SALU_CYCLE_1)
	s_and_not1_b32 vcc_lo, exec_lo, s21
	s_cbranch_vccnz .LBB94_340
; %bb.339:
	s_wait_loadcnt 0x0
	global_load_b32 v1, v[4:5], off
	s_wait_loadcnt 0x0
	v_cvt_i16_f16_e32 v6, v1
.LBB94_340:
	s_mov_b32 s21, 0
.LBB94_341:
	s_delay_alu instid0(SALU_CYCLE_1)
	s_and_not1_b32 vcc_lo, exec_lo, s21
	s_cbranch_vccnz .LBB94_352
; %bb.342:
	s_cmp_lt_i32 s0, 6
	s_cbranch_scc1 .LBB94_345
; %bb.343:
	s_cmp_gt_i32 s0, 6
	s_cbranch_scc0 .LBB94_346
; %bb.344:
	s_wait_loadcnt 0x0
	global_load_b64 v[6:7], v[4:5], off
	s_mov_b32 s21, 0
	s_wait_loadcnt 0x0
	v_cvt_i32_f64_e32 v6, v[6:7]
	s_branch .LBB94_347
.LBB94_345:
	s_mov_b32 s21, -1
                                        ; implicit-def: $vgpr6
	s_branch .LBB94_350
.LBB94_346:
	s_mov_b32 s21, -1
                                        ; implicit-def: $vgpr6
.LBB94_347:
	s_delay_alu instid0(SALU_CYCLE_1)
	s_and_not1_b32 vcc_lo, exec_lo, s21
	s_cbranch_vccnz .LBB94_349
; %bb.348:
	s_wait_loadcnt 0x0
	global_load_b32 v1, v[4:5], off
	s_wait_loadcnt 0x0
	v_cvt_i32_f32_e32 v6, v1
.LBB94_349:
	s_mov_b32 s21, 0
.LBB94_350:
	s_delay_alu instid0(SALU_CYCLE_1)
	s_and_not1_b32 vcc_lo, exec_lo, s21
	s_cbranch_vccnz .LBB94_352
; %bb.351:
	s_wait_loadcnt 0x0
	global_load_u16 v1, v[4:5], off
	s_wait_loadcnt 0x0
	v_cvt_i16_f16_e32 v6, v1
.LBB94_352:
	s_mov_b32 s21, 0
.LBB94_353:
	s_delay_alu instid0(SALU_CYCLE_1)
	s_and_not1_b32 vcc_lo, exec_lo, s21
	s_cbranch_vccnz .LBB94_373
; %bb.354:
	s_cmp_lt_i32 s0, 2
	s_cbranch_scc1 .LBB94_358
; %bb.355:
	s_cmp_lt_i32 s0, 3
	s_cbranch_scc1 .LBB94_359
; %bb.356:
	s_cmp_gt_i32 s0, 3
	s_cbranch_scc0 .LBB94_360
; %bb.357:
	s_wait_loadcnt 0x0
	global_load_b64 v[6:7], v[4:5], off
	s_mov_b32 s21, 0
	s_branch .LBB94_361
.LBB94_358:
	s_mov_b32 s21, -1
                                        ; implicit-def: $vgpr6
	s_branch .LBB94_367
.LBB94_359:
	s_mov_b32 s21, -1
                                        ; implicit-def: $vgpr6
	s_branch .LBB94_364
.LBB94_360:
	s_mov_b32 s21, -1
                                        ; implicit-def: $vgpr6
.LBB94_361:
	s_delay_alu instid0(SALU_CYCLE_1)
	s_and_not1_b32 vcc_lo, exec_lo, s21
	s_cbranch_vccnz .LBB94_363
; %bb.362:
	s_wait_loadcnt 0x0
	global_load_b32 v6, v[4:5], off
.LBB94_363:
	s_mov_b32 s21, 0
.LBB94_364:
	s_delay_alu instid0(SALU_CYCLE_1)
	s_and_not1_b32 vcc_lo, exec_lo, s21
	s_cbranch_vccnz .LBB94_366
; %bb.365:
	s_wait_loadcnt 0x0
	global_load_u16 v6, v[4:5], off
.LBB94_366:
	s_mov_b32 s21, 0
.LBB94_367:
	s_delay_alu instid0(SALU_CYCLE_1)
	s_and_not1_b32 vcc_lo, exec_lo, s21
	s_cbranch_vccnz .LBB94_373
; %bb.368:
	s_cmp_gt_i32 s0, 0
	s_mov_b32 s0, 0
	s_cbranch_scc0 .LBB94_370
; %bb.369:
	s_wait_loadcnt 0x0
	global_load_i8 v6, v[4:5], off
	s_branch .LBB94_371
.LBB94_370:
	s_mov_b32 s0, -1
                                        ; implicit-def: $vgpr6
.LBB94_371:
	s_delay_alu instid0(SALU_CYCLE_1)
	s_and_not1_b32 vcc_lo, exec_lo, s0
	s_cbranch_vccnz .LBB94_373
; %bb.372:
	s_wait_loadcnt 0x0
	global_load_u8 v6, v[4:5], off
.LBB94_373:
	s_mov_b32 s21, -1
.LBB94_374:
	s_delay_alu instid0(SALU_CYCLE_1)
	s_and_not1_b32 vcc_lo, exec_lo, s21
	s_cbranch_vccnz .LBB94_382
; %bb.375:
	s_wait_xcnt 0x0
	v_mul_lo_u32 v4, v26, s12
	s_wait_loadcnt 0x0
	v_mul_lo_u16 v3, v0, s2
	v_mul_lo_u16 v2, v2, s1
	s_and_b32 s21, s3, 0xff
	s_delay_alu instid0(SALU_CYCLE_1) | instskip(NEXT) | instid1(VALU_DEP_3)
	s_cmp_lt_i32 s21, 11
	v_ashrrev_i32_e32 v5, 31, v4
	s_delay_alu instid0(VALU_DEP_1)
	v_add_nc_u64_e32 v[0:1], s[4:5], v[4:5]
	v_mad_u16 v4, v2, v6, v3
	s_cbranch_scc1 .LBB94_383
; %bb.376:
	s_and_b32 s28, 0xffff, s21
	s_delay_alu instid0(SALU_CYCLE_1)
	s_cmp_gt_i32 s28, 25
	s_cbranch_scc0 .LBB94_384
; %bb.377:
	s_cmp_gt_i32 s28, 28
	s_cbranch_scc0 .LBB94_385
; %bb.378:
	;; [unrolled: 3-line block ×4, first 2 shown]
	s_mov_b32 s30, 0
	s_mov_b32 s0, -1
	s_cmp_eq_u32 s28, 46
	s_mov_b32 s29, 0
	s_cbranch_scc0 .LBB94_388
; %bb.381:
	v_bfe_i32 v2, v4, 0, 16
	s_mov_b32 s29, -1
	s_mov_b32 s0, 0
	s_delay_alu instid0(VALU_DEP_1) | instskip(NEXT) | instid1(VALU_DEP_1)
	v_cvt_f32_i32_e32 v2, v2
	v_bfe_u32 v3, v2, 16, 1
	s_delay_alu instid0(VALU_DEP_1) | instskip(NEXT) | instid1(VALU_DEP_1)
	v_add3_u32 v2, v2, v3, 0x7fff
	v_lshrrev_b32_e32 v2, 16, v2
	global_store_b32 v[0:1], v2, off
	s_branch .LBB94_388
.LBB94_382:
	s_mov_b32 s0, 0
	s_branch .LBB94_498
.LBB94_383:
	s_mov_b32 s28, -1
	s_mov_b32 s0, 0
	s_mov_b32 s29, 0
	s_branch .LBB94_457
.LBB94_384:
	s_mov_b32 s0, 0
	s_mov_b32 s29, 0
	s_branch .LBB94_415
.LBB94_385:
	s_mov_b32 s0, 0
	s_mov_b32 s29, 0
	s_branch .LBB94_398
.LBB94_386:
	s_mov_b32 s0, 0
	s_mov_b32 s29, 0
	s_branch .LBB94_394
.LBB94_387:
	s_mov_b32 s0, 0
	s_mov_b32 s29, 0
.LBB94_388:
	s_and_b32 vcc_lo, exec_lo, s30
	s_cbranch_vccz .LBB94_393
; %bb.389:
	s_cmp_eq_u32 s28, 44
	s_mov_b32 s0, -1
	s_cbranch_scc0 .LBB94_393
; %bb.390:
	s_wait_xcnt 0x0
	v_bfe_i32 v2, v4, 0, 16
	v_mov_b32_e32 v3, 0xff
	s_mov_b32 s29, exec_lo
	s_delay_alu instid0(VALU_DEP_2) | instskip(NEXT) | instid1(VALU_DEP_1)
	v_cvt_f32_i32_e32 v2, v2
	v_bfe_u32 v5, v2, 23, 8
	s_delay_alu instid0(VALU_DEP_1)
	v_cmpx_ne_u32_e32 0xff, v5
	s_cbranch_execz .LBB94_392
; %bb.391:
	v_and_b32_e32 v3, 0x400000, v2
	v_and_or_b32 v5, 0x3fffff, v2, v5
	v_lshrrev_b32_e32 v2, 23, v2
	s_delay_alu instid0(VALU_DEP_3) | instskip(NEXT) | instid1(VALU_DEP_3)
	v_cmp_ne_u32_e32 vcc_lo, 0, v3
	v_cmp_ne_u32_e64 s0, 0, v5
	s_and_b32 s0, vcc_lo, s0
	s_delay_alu instid0(SALU_CYCLE_1) | instskip(NEXT) | instid1(VALU_DEP_1)
	v_cndmask_b32_e64 v3, 0, 1, s0
	v_add_nc_u32_e32 v3, v2, v3
.LBB94_392:
	s_or_b32 exec_lo, exec_lo, s29
	s_mov_b32 s29, -1
	s_mov_b32 s0, 0
	global_store_b8 v[0:1], v3, off
.LBB94_393:
	s_mov_b32 s30, 0
.LBB94_394:
	s_delay_alu instid0(SALU_CYCLE_1)
	s_and_b32 vcc_lo, exec_lo, s30
	s_cbranch_vccz .LBB94_397
; %bb.395:
	s_cmp_eq_u32 s28, 29
	s_mov_b32 s0, -1
	s_cbranch_scc0 .LBB94_397
; %bb.396:
	s_wait_xcnt 0x0
	v_bfe_i32 v2, v4, 0, 16
	s_mov_b32 s0, 0
	s_mov_b32 s29, -1
	s_mov_b32 s30, 0
	s_delay_alu instid0(VALU_DEP_1)
	v_ashrrev_i32_e32 v3, 31, v2
	global_store_b64 v[0:1], v[2:3], off
	s_branch .LBB94_398
.LBB94_397:
	s_mov_b32 s30, 0
.LBB94_398:
	s_delay_alu instid0(SALU_CYCLE_1)
	s_and_b32 vcc_lo, exec_lo, s30
	s_cbranch_vccz .LBB94_414
; %bb.399:
	s_cmp_lt_i32 s28, 27
	s_mov_b32 s29, -1
	s_cbranch_scc1 .LBB94_405
; %bb.400:
	s_cmp_gt_i32 s28, 27
	s_cbranch_scc0 .LBB94_402
; %bb.401:
	s_wait_xcnt 0x0
	v_bfe_i32 v2, v4, 0, 16
	s_mov_b32 s29, 0
	global_store_b32 v[0:1], v2, off
.LBB94_402:
	s_and_not1_b32 vcc_lo, exec_lo, s29
	s_cbranch_vccnz .LBB94_404
; %bb.403:
	global_store_b16 v[0:1], v4, off
.LBB94_404:
	s_mov_b32 s29, 0
.LBB94_405:
	s_delay_alu instid0(SALU_CYCLE_1)
	s_and_not1_b32 vcc_lo, exec_lo, s29
	s_cbranch_vccnz .LBB94_413
; %bb.406:
	s_wait_xcnt 0x0
	v_bfe_i32 v2, v4, 0, 16
	v_mov_b32_e32 v5, 0x80
	s_mov_b32 s29, exec_lo
	s_delay_alu instid0(VALU_DEP_2) | instskip(NEXT) | instid1(VALU_DEP_1)
	v_cvt_f32_i32_e32 v2, v2
	v_and_b32_e32 v3, 0x7fffffff, v2
	s_delay_alu instid0(VALU_DEP_1)
	v_cmpx_gt_u32_e32 0x43800000, v3
	s_cbranch_execz .LBB94_412
; %bb.407:
	v_cmp_lt_u32_e32 vcc_lo, 0x3bffffff, v3
	s_mov_b32 s30, 0
                                        ; implicit-def: $vgpr3
	s_and_saveexec_b32 s31, vcc_lo
	s_delay_alu instid0(SALU_CYCLE_1)
	s_xor_b32 s31, exec_lo, s31
	s_cbranch_execz .LBB94_642
; %bb.408:
	v_bfe_u32 v3, v2, 20, 1
	s_mov_b32 s30, exec_lo
	s_delay_alu instid0(VALU_DEP_1) | instskip(NEXT) | instid1(VALU_DEP_1)
	v_add3_u32 v3, v2, v3, 0x487ffff
	v_lshrrev_b32_e32 v3, 20, v3
	s_and_not1_saveexec_b32 s31, s31
	s_cbranch_execnz .LBB94_643
.LBB94_409:
	s_or_b32 exec_lo, exec_lo, s31
	v_mov_b32_e32 v5, 0
	s_and_saveexec_b32 s31, s30
.LBB94_410:
	v_lshrrev_b32_e32 v2, 24, v2
	s_delay_alu instid0(VALU_DEP_1)
	v_and_or_b32 v5, 0x80, v2, v3
.LBB94_411:
	s_or_b32 exec_lo, exec_lo, s31
.LBB94_412:
	s_delay_alu instid0(SALU_CYCLE_1)
	s_or_b32 exec_lo, exec_lo, s29
	global_store_b8 v[0:1], v5, off
.LBB94_413:
	s_mov_b32 s29, -1
.LBB94_414:
	s_mov_b32 s30, 0
.LBB94_415:
	s_delay_alu instid0(SALU_CYCLE_1)
	s_and_b32 vcc_lo, exec_lo, s30
	s_cbranch_vccz .LBB94_456
; %bb.416:
	s_cmp_gt_i32 s28, 22
	s_mov_b32 s30, -1
	s_cbranch_scc0 .LBB94_448
; %bb.417:
	s_cmp_lt_i32 s28, 24
	s_mov_b32 s29, -1
	s_cbranch_scc1 .LBB94_437
; %bb.418:
	s_cmp_gt_i32 s28, 24
	s_cbranch_scc0 .LBB94_426
; %bb.419:
	s_wait_xcnt 0x0
	v_bfe_i32 v2, v4, 0, 16
	v_mov_b32_e32 v5, 0x80
	s_mov_b32 s29, exec_lo
	s_delay_alu instid0(VALU_DEP_2) | instskip(NEXT) | instid1(VALU_DEP_1)
	v_cvt_f32_i32_e32 v2, v2
	v_and_b32_e32 v3, 0x7fffffff, v2
	s_delay_alu instid0(VALU_DEP_1)
	v_cmpx_gt_u32_e32 0x47800000, v3
	s_cbranch_execz .LBB94_425
; %bb.420:
	v_cmp_lt_u32_e32 vcc_lo, 0x37ffffff, v3
	s_mov_b32 s30, 0
                                        ; implicit-def: $vgpr3
	s_and_saveexec_b32 s31, vcc_lo
	s_delay_alu instid0(SALU_CYCLE_1)
	s_xor_b32 s31, exec_lo, s31
	s_cbranch_execz .LBB94_770
; %bb.421:
	v_bfe_u32 v3, v2, 21, 1
	s_mov_b32 s30, exec_lo
	s_delay_alu instid0(VALU_DEP_1) | instskip(NEXT) | instid1(VALU_DEP_1)
	v_add3_u32 v3, v2, v3, 0x88fffff
	v_lshrrev_b32_e32 v3, 21, v3
	s_and_not1_saveexec_b32 s31, s31
	s_cbranch_execnz .LBB94_771
.LBB94_422:
	s_or_b32 exec_lo, exec_lo, s31
	v_mov_b32_e32 v5, 0
	s_and_saveexec_b32 s31, s30
.LBB94_423:
	v_lshrrev_b32_e32 v2, 24, v2
	s_delay_alu instid0(VALU_DEP_1)
	v_and_or_b32 v5, 0x80, v2, v3
.LBB94_424:
	s_or_b32 exec_lo, exec_lo, s31
.LBB94_425:
	s_delay_alu instid0(SALU_CYCLE_1)
	s_or_b32 exec_lo, exec_lo, s29
	s_mov_b32 s29, 0
	global_store_b8 v[0:1], v5, off
.LBB94_426:
	s_and_b32 vcc_lo, exec_lo, s29
	s_cbranch_vccz .LBB94_436
; %bb.427:
	s_wait_xcnt 0x0
	v_bfe_i32 v2, v4, 0, 16
	s_mov_b32 s29, exec_lo
                                        ; implicit-def: $vgpr3
	s_delay_alu instid0(VALU_DEP_1) | instskip(NEXT) | instid1(VALU_DEP_1)
	v_cvt_f32_i32_e32 v2, v2
	v_and_b32_e32 v5, 0x7fffffff, v2
	s_delay_alu instid0(VALU_DEP_1)
	v_cmpx_gt_u32_e32 0x43f00000, v5
	s_xor_b32 s29, exec_lo, s29
	s_cbranch_execz .LBB94_433
; %bb.428:
	s_mov_b32 s30, exec_lo
                                        ; implicit-def: $vgpr3
	v_cmpx_lt_u32_e32 0x3c7fffff, v5
	s_xor_b32 s30, exec_lo, s30
; %bb.429:
	v_bfe_u32 v3, v2, 20, 1
	s_delay_alu instid0(VALU_DEP_1) | instskip(NEXT) | instid1(VALU_DEP_1)
	v_add3_u32 v3, v2, v3, 0x407ffff
	v_and_b32_e32 v5, 0xff00000, v3
	v_lshrrev_b32_e32 v3, 20, v3
	s_delay_alu instid0(VALU_DEP_2) | instskip(NEXT) | instid1(VALU_DEP_2)
	v_cmp_ne_u32_e32 vcc_lo, 0x7f00000, v5
	v_cndmask_b32_e32 v3, 0x7e, v3, vcc_lo
; %bb.430:
	s_and_not1_saveexec_b32 s30, s30
; %bb.431:
	v_add_f32_e64 v3, 0x46800000, |v2|
; %bb.432:
	s_or_b32 exec_lo, exec_lo, s30
                                        ; implicit-def: $vgpr5
.LBB94_433:
	s_and_not1_saveexec_b32 s29, s29
; %bb.434:
	v_mov_b32_e32 v3, 0x7f
	v_cmp_lt_u32_e32 vcc_lo, 0x7f800000, v5
	s_delay_alu instid0(VALU_DEP_2)
	v_cndmask_b32_e32 v3, 0x7e, v3, vcc_lo
; %bb.435:
	s_or_b32 exec_lo, exec_lo, s29
	v_lshrrev_b32_e32 v2, 24, v2
	s_delay_alu instid0(VALU_DEP_1)
	v_and_or_b32 v2, 0x80, v2, v3
	global_store_b8 v[0:1], v2, off
.LBB94_436:
	s_mov_b32 s29, 0
.LBB94_437:
	s_delay_alu instid0(SALU_CYCLE_1)
	s_and_not1_b32 vcc_lo, exec_lo, s29
	s_cbranch_vccnz .LBB94_447
; %bb.438:
	s_wait_xcnt 0x0
	v_bfe_i32 v2, v4, 0, 16
	s_mov_b32 s29, exec_lo
                                        ; implicit-def: $vgpr3
	s_delay_alu instid0(VALU_DEP_1) | instskip(NEXT) | instid1(VALU_DEP_1)
	v_cvt_f32_i32_e32 v2, v2
	v_and_b32_e32 v5, 0x7fffffff, v2
	s_delay_alu instid0(VALU_DEP_1)
	v_cmpx_gt_u32_e32 0x47800000, v5
	s_xor_b32 s29, exec_lo, s29
	s_cbranch_execz .LBB94_444
; %bb.439:
	s_mov_b32 s30, exec_lo
                                        ; implicit-def: $vgpr3
	v_cmpx_lt_u32_e32 0x387fffff, v5
	s_xor_b32 s30, exec_lo, s30
; %bb.440:
	v_bfe_u32 v3, v2, 21, 1
	s_delay_alu instid0(VALU_DEP_1) | instskip(NEXT) | instid1(VALU_DEP_1)
	v_add3_u32 v3, v2, v3, 0x80fffff
	v_lshrrev_b32_e32 v3, 21, v3
; %bb.441:
	s_and_not1_saveexec_b32 s30, s30
; %bb.442:
	v_add_f32_e64 v3, 0x43000000, |v2|
; %bb.443:
	s_or_b32 exec_lo, exec_lo, s30
                                        ; implicit-def: $vgpr5
.LBB94_444:
	s_and_not1_saveexec_b32 s29, s29
; %bb.445:
	v_mov_b32_e32 v3, 0x7f
	v_cmp_lt_u32_e32 vcc_lo, 0x7f800000, v5
	s_delay_alu instid0(VALU_DEP_2)
	v_cndmask_b32_e32 v3, 0x7c, v3, vcc_lo
; %bb.446:
	s_or_b32 exec_lo, exec_lo, s29
	v_lshrrev_b32_e32 v2, 24, v2
	s_delay_alu instid0(VALU_DEP_1)
	v_and_or_b32 v2, 0x80, v2, v3
	global_store_b8 v[0:1], v2, off
.LBB94_447:
	s_mov_b32 s30, 0
	s_mov_b32 s29, -1
.LBB94_448:
	s_and_not1_b32 vcc_lo, exec_lo, s30
	s_cbranch_vccnz .LBB94_456
; %bb.449:
	s_cmp_gt_i32 s28, 14
	s_mov_b32 s30, -1
	s_cbranch_scc0 .LBB94_453
; %bb.450:
	s_cmp_eq_u32 s28, 15
	s_mov_b32 s0, -1
	s_cbranch_scc0 .LBB94_452
; %bb.451:
	s_wait_xcnt 0x0
	v_bfe_i32 v2, v4, 0, 16
	s_mov_b32 s29, -1
	s_mov_b32 s0, 0
	s_delay_alu instid0(VALU_DEP_1) | instskip(NEXT) | instid1(VALU_DEP_1)
	v_cvt_f32_i32_e32 v2, v2
	v_bfe_u32 v3, v2, 16, 1
	s_delay_alu instid0(VALU_DEP_1)
	v_add3_u32 v2, v2, v3, 0x7fff
	global_store_d16_hi_b16 v[0:1], v2, off
.LBB94_452:
	s_mov_b32 s30, 0
.LBB94_453:
	s_delay_alu instid0(SALU_CYCLE_1)
	s_and_b32 vcc_lo, exec_lo, s30
	s_cbranch_vccz .LBB94_456
; %bb.454:
	s_cmp_eq_u32 s28, 11
	s_mov_b32 s0, -1
	s_cbranch_scc0 .LBB94_456
; %bb.455:
	v_cmp_ne_u16_e32 vcc_lo, 0, v4
	s_mov_b32 s0, 0
	s_mov_b32 s29, -1
	s_wait_xcnt 0x0
	v_cndmask_b32_e64 v2, 0, 1, vcc_lo
	global_store_b8 v[0:1], v2, off
.LBB94_456:
	s_mov_b32 s28, 0
.LBB94_457:
	s_delay_alu instid0(SALU_CYCLE_1)
	s_and_b32 vcc_lo, exec_lo, s28
	s_cbranch_vccz .LBB94_496
; %bb.458:
	s_and_b32 s21, 0xffff, s21
	s_mov_b32 s28, -1
	s_cmp_lt_i32 s21, 5
	s_cbranch_scc1 .LBB94_479
; %bb.459:
	s_cmp_lt_i32 s21, 8
	s_cbranch_scc1 .LBB94_469
; %bb.460:
	s_cmp_lt_i32 s21, 9
	s_cbranch_scc1 .LBB94_466
; %bb.461:
	s_cmp_gt_i32 s21, 9
	s_cbranch_scc0 .LBB94_463
; %bb.462:
	s_wait_xcnt 0x0
	v_bfe_i32 v2, v4, 0, 16
	v_mov_b32_e32 v8, 0
	s_mov_b32 s28, 0
	s_delay_alu instid0(VALU_DEP_2) | instskip(NEXT) | instid1(VALU_DEP_2)
	v_cvt_f64_i32_e32 v[6:7], v2
	v_mov_b32_e32 v9, v8
	global_store_b128 v[0:1], v[6:9], off
.LBB94_463:
	s_and_not1_b32 vcc_lo, exec_lo, s28
	s_cbranch_vccnz .LBB94_465
; %bb.464:
	s_wait_xcnt 0x0
	v_bfe_i32 v2, v4, 0, 16
	v_mov_b32_e32 v3, 0
	s_delay_alu instid0(VALU_DEP_2)
	v_cvt_f32_i32_e32 v2, v2
	global_store_b64 v[0:1], v[2:3], off
.LBB94_465:
	s_mov_b32 s28, 0
.LBB94_466:
	s_delay_alu instid0(SALU_CYCLE_1)
	s_and_not1_b32 vcc_lo, exec_lo, s28
	s_cbranch_vccnz .LBB94_468
; %bb.467:
	s_wait_xcnt 0x0
	v_cvt_f16_i16_e32 v2, v4
	s_delay_alu instid0(VALU_DEP_1)
	v_and_b32_e32 v2, 0xffff, v2
	global_store_b32 v[0:1], v2, off
.LBB94_468:
	s_mov_b32 s28, 0
.LBB94_469:
	s_delay_alu instid0(SALU_CYCLE_1)
	s_and_not1_b32 vcc_lo, exec_lo, s28
	s_cbranch_vccnz .LBB94_478
; %bb.470:
	s_cmp_lt_i32 s21, 6
	s_mov_b32 s28, -1
	s_cbranch_scc1 .LBB94_476
; %bb.471:
	s_cmp_gt_i32 s21, 6
	s_cbranch_scc0 .LBB94_473
; %bb.472:
	s_wait_xcnt 0x0
	v_bfe_i32 v2, v4, 0, 16
	s_mov_b32 s28, 0
	s_delay_alu instid0(VALU_DEP_1)
	v_cvt_f64_i32_e32 v[2:3], v2
	global_store_b64 v[0:1], v[2:3], off
.LBB94_473:
	s_and_not1_b32 vcc_lo, exec_lo, s28
	s_cbranch_vccnz .LBB94_475
; %bb.474:
	s_wait_xcnt 0x0
	v_bfe_i32 v2, v4, 0, 16
	s_delay_alu instid0(VALU_DEP_1)
	v_cvt_f32_i32_e32 v2, v2
	global_store_b32 v[0:1], v2, off
.LBB94_475:
	s_mov_b32 s28, 0
.LBB94_476:
	s_delay_alu instid0(SALU_CYCLE_1)
	s_and_not1_b32 vcc_lo, exec_lo, s28
	s_cbranch_vccnz .LBB94_478
; %bb.477:
	s_wait_xcnt 0x0
	v_cvt_f16_i16_e32 v2, v4
	global_store_b16 v[0:1], v2, off
.LBB94_478:
	s_mov_b32 s28, 0
.LBB94_479:
	s_delay_alu instid0(SALU_CYCLE_1)
	s_and_not1_b32 vcc_lo, exec_lo, s28
	s_cbranch_vccnz .LBB94_495
; %bb.480:
	s_cmp_lt_i32 s21, 2
	s_mov_b32 s28, -1
	s_cbranch_scc1 .LBB94_490
; %bb.481:
	s_cmp_lt_i32 s21, 3
	s_cbranch_scc1 .LBB94_487
; %bb.482:
	s_wait_xcnt 0x0
	v_bfe_i32 v2, v4, 0, 16
	s_cmp_gt_i32 s21, 3
	s_cbranch_scc0 .LBB94_484
; %bb.483:
	s_delay_alu instid0(VALU_DEP_1)
	v_ashrrev_i32_e32 v3, 31, v2
	s_mov_b32 s28, 0
	global_store_b64 v[0:1], v[2:3], off
.LBB94_484:
	s_and_not1_b32 vcc_lo, exec_lo, s28
	s_cbranch_vccnz .LBB94_486
; %bb.485:
	global_store_b32 v[0:1], v2, off
.LBB94_486:
	s_mov_b32 s28, 0
.LBB94_487:
	s_delay_alu instid0(SALU_CYCLE_1)
	s_and_not1_b32 vcc_lo, exec_lo, s28
	s_cbranch_vccnz .LBB94_489
; %bb.488:
	global_store_b16 v[0:1], v4, off
.LBB94_489:
	s_mov_b32 s28, 0
.LBB94_490:
	s_delay_alu instid0(SALU_CYCLE_1)
	s_and_not1_b32 vcc_lo, exec_lo, s28
	s_cbranch_vccnz .LBB94_495
; %bb.491:
	s_cmp_gt_i32 s21, 0
	s_mov_b32 s21, -1
	s_cbranch_scc0 .LBB94_493
; %bb.492:
	s_mov_b32 s21, 0
	global_store_b8 v[0:1], v4, off
.LBB94_493:
	s_and_not1_b32 vcc_lo, exec_lo, s21
	s_cbranch_vccnz .LBB94_495
; %bb.494:
	global_store_b8 v[0:1], v4, off
.LBB94_495:
	s_mov_b32 s29, -1
.LBB94_496:
	s_delay_alu instid0(SALU_CYCLE_1)
	s_and_not1_b32 vcc_lo, exec_lo, s29
	s_cbranch_vccnz .LBB94_498
; %bb.497:
	v_add_nc_u32_e32 v26, 0x80, v26
	s_mov_b32 s28, -1
	s_branch .LBB94_499
.LBB94_498:
	s_mov_b32 s28, 0
                                        ; implicit-def: $vgpr26
.LBB94_499:
	s_and_b32 s21, s0, exec_lo
	s_and_b32 s23, s23, exec_lo
	;; [unrolled: 1-line block ×4, first 2 shown]
	s_or_not1_b32 s30, s28, exec_lo
.LBB94_500:
	s_wait_xcnt 0x0
	s_or_b32 exec_lo, exec_lo, s26
	s_mov_b32 s29, 0
	s_mov_b32 s28, 0
                                        ; implicit-def: $sgpr0
                                        ; implicit-def: $vgpr2_vgpr3
                                        ; implicit-def: $vgpr0
	s_and_saveexec_b32 s26, s30
	s_cbranch_execz .LBB94_509
; %bb.501:
	s_mov_b32 s34, -1
	s_mov_b32 s27, s25
	s_mov_b32 s30, s24
	s_mov_b32 s29, s23
	s_mov_b32 s28, s21
	s_mov_b32 s31, exec_lo
	v_cmpx_gt_i32_e64 s22, v26
	s_cbranch_execz .LBB94_1011
; %bb.502:
	s_wait_loadcnt 0x0
	v_mul_lo_u32 v0, v26, s13
	s_and_b32 s0, s19, 0xff
	s_delay_alu instid0(SALU_CYCLE_1) | instskip(NEXT) | instid1(VALU_DEP_1)
	s_cmp_lt_i32 s0, 11
	v_ashrrev_i32_e32 v1, 31, v0
	s_delay_alu instid0(VALU_DEP_1)
	v_add_nc_u64_e32 v[2:3], s[6:7], v[0:1]
	s_cbranch_scc1 .LBB94_512
; %bb.503:
	s_and_b32 s28, 0xffff, s0
	s_delay_alu instid0(SALU_CYCLE_1)
	s_cmp_gt_i32 s28, 25
	s_cbranch_scc0 .LBB94_521
; %bb.504:
	s_cmp_gt_i32 s28, 28
	s_cbranch_scc0 .LBB94_523
; %bb.505:
	;; [unrolled: 3-line block ×4, first 2 shown]
	s_cmp_eq_u32 s28, 46
	s_mov_b32 s30, 0
	s_cbranch_scc0 .LBB94_529
; %bb.508:
	global_load_b32 v0, v[2:3], off
	s_mov_b32 s29, -1
	s_mov_b32 s27, 0
	s_wait_loadcnt 0x0
	v_lshlrev_b32_e32 v0, 16, v0
	s_delay_alu instid0(VALU_DEP_1)
	v_cvt_i32_f32_e32 v0, v0
	s_branch .LBB94_531
.LBB94_509:
	s_or_b32 exec_lo, exec_lo, s26
	s_mov_b32 s22, 0
	s_and_saveexec_b32 s26, s25
	s_cbranch_execnz .LBB94_1599
.LBB94_510:
	s_or_b32 exec_lo, exec_lo, s26
	s_and_saveexec_b32 s25, s27
	s_delay_alu instid0(SALU_CYCLE_1)
	s_xor_b32 s25, exec_lo, s25
	s_cbranch_execz .LBB94_1600
.LBB94_511:
	s_wait_loadcnt 0x0
	global_load_u8 v0, v[2:3], off
	s_or_b32 s28, s28, exec_lo
	s_wait_loadcnt 0x0
	v_cmp_ne_u16_e32 vcc_lo, 0, v0
	v_cndmask_b32_e64 v0, 0, 1, vcc_lo
	s_wait_xcnt 0x0
	s_or_b32 exec_lo, exec_lo, s25
	s_and_saveexec_b32 s25, s29
	s_cbranch_execz .LBB94_1646
	s_branch .LBB94_1601
.LBB94_512:
	s_mov_b32 s29, 0
	s_mov_b32 s27, s25
                                        ; implicit-def: $vgpr0
	s_cbranch_execnz .LBB94_593
.LBB94_513:
	s_and_not1_b32 vcc_lo, exec_lo, s29
	s_cbranch_vccnz .LBB94_641
.LBB94_514:
	s_wait_xcnt 0x0
	v_mul_lo_u32 v2, v26, s14
	s_and_b32 s0, s17, 0xff
	s_delay_alu instid0(SALU_CYCLE_1) | instskip(NEXT) | instid1(VALU_DEP_1)
	s_cmp_lt_i32 s0, 11
	v_ashrrev_i32_e32 v3, 31, v2
	s_delay_alu instid0(VALU_DEP_1)
	v_add_nc_u64_e32 v[4:5], s[8:9], v[2:3]
	s_cbranch_scc1 .LBB94_522
; %bb.515:
	s_and_b32 s28, 0xffff, s0
	s_delay_alu instid0(SALU_CYCLE_1)
	s_cmp_gt_i32 s28, 25
	s_cbranch_scc0 .LBB94_524
; %bb.516:
	s_cmp_gt_i32 s28, 28
	s_cbranch_scc0 .LBB94_526
; %bb.517:
	;; [unrolled: 3-line block ×4, first 2 shown]
	s_cmp_eq_u32 s28, 46
	s_mov_b32 s33, 0
	s_cbranch_scc0 .LBB94_644
; %bb.520:
	s_wait_loadcnt 0x0
	global_load_b32 v1, v[4:5], off
	s_mov_b32 s29, -1
	s_mov_b32 s30, 0
	s_wait_loadcnt 0x0
	v_lshlrev_b32_e32 v1, 16, v1
	s_delay_alu instid0(VALU_DEP_1)
	v_cvt_i32_f32_e32 v2, v1
	s_branch .LBB94_646
.LBB94_521:
	s_mov_b32 s30, -1
	s_mov_b32 s29, 0
	s_mov_b32 s27, s25
                                        ; implicit-def: $vgpr0
	s_branch .LBB94_559
.LBB94_522:
	s_mov_b32 s28, -1
	s_mov_b32 s29, 0
	s_mov_b32 s30, s24
                                        ; implicit-def: $vgpr2
	s_branch .LBB94_707
.LBB94_523:
	s_mov_b32 s30, -1
	s_mov_b32 s29, 0
	s_mov_b32 s27, s25
                                        ; implicit-def: $vgpr0
	s_branch .LBB94_542
.LBB94_524:
	s_mov_b32 s33, -1
	s_mov_b32 s29, 0
	s_mov_b32 s30, s24
                                        ; implicit-def: $vgpr2
	s_branch .LBB94_673
.LBB94_525:
	s_mov_b32 s30, -1
	s_mov_b32 s29, 0
	s_mov_b32 s27, s25
                                        ; implicit-def: $vgpr0
	s_branch .LBB94_537
.LBB94_526:
	s_mov_b32 s33, -1
	s_mov_b32 s29, 0
	s_mov_b32 s30, s24
                                        ; implicit-def: $vgpr2
	s_branch .LBB94_656
.LBB94_527:
	s_mov_b32 s30, -1
	s_mov_b32 s29, 0
	s_mov_b32 s27, s25
	s_branch .LBB94_530
.LBB94_528:
	s_mov_b32 s33, -1
	s_mov_b32 s29, 0
	s_mov_b32 s30, s24
                                        ; implicit-def: $vgpr2
	s_branch .LBB94_651
.LBB94_529:
	s_mov_b32 s27, -1
	s_mov_b32 s29, 0
.LBB94_530:
                                        ; implicit-def: $vgpr0
.LBB94_531:
	s_and_b32 vcc_lo, exec_lo, s30
	s_cbranch_vccz .LBB94_536
; %bb.532:
	s_cmp_eq_u32 s28, 44
	s_cbranch_scc0 .LBB94_535
; %bb.533:
	global_load_u8 v0, v[2:3], off
	s_mov_b32 s27, 0
	s_mov_b32 s29, -1
	s_wait_loadcnt 0x0
	v_lshlrev_b32_e32 v1, 23, v0
	v_cmp_ne_u32_e32 vcc_lo, 0, v0
	s_delay_alu instid0(VALU_DEP_2) | instskip(NEXT) | instid1(VALU_DEP_1)
	v_cvt_i32_f32_e32 v1, v1
	v_cndmask_b32_e32 v0, 0, v1, vcc_lo
	s_branch .LBB94_536
.LBB94_534:
	s_mov_b32 s33, -1
	s_mov_b32 s29, 0
	s_mov_b32 s30, s24
	s_branch .LBB94_645
.LBB94_535:
	s_mov_b32 s27, -1
                                        ; implicit-def: $vgpr0
.LBB94_536:
	s_mov_b32 s30, 0
.LBB94_537:
	s_delay_alu instid0(SALU_CYCLE_1)
	s_and_b32 vcc_lo, exec_lo, s30
	s_cbranch_vccz .LBB94_541
; %bb.538:
	s_cmp_eq_u32 s28, 29
	s_cbranch_scc0 .LBB94_540
; %bb.539:
	global_load_b64 v[0:1], v[2:3], off
	s_mov_b32 s29, -1
	s_mov_b32 s27, 0
	s_branch .LBB94_541
.LBB94_540:
	s_mov_b32 s27, -1
                                        ; implicit-def: $vgpr0
.LBB94_541:
	s_mov_b32 s30, 0
.LBB94_542:
	s_delay_alu instid0(SALU_CYCLE_1)
	s_and_b32 vcc_lo, exec_lo, s30
	s_cbranch_vccz .LBB94_558
; %bb.543:
	s_cmp_lt_i32 s28, 27
	s_cbranch_scc1 .LBB94_546
; %bb.544:
	s_cmp_gt_i32 s28, 27
	s_cbranch_scc0 .LBB94_547
; %bb.545:
	s_wait_loadcnt 0x0
	global_load_b32 v0, v[2:3], off
	s_mov_b32 s29, 0
	s_branch .LBB94_548
.LBB94_546:
	s_mov_b32 s29, -1
                                        ; implicit-def: $vgpr0
	s_branch .LBB94_551
.LBB94_547:
	s_mov_b32 s29, -1
                                        ; implicit-def: $vgpr0
.LBB94_548:
	s_delay_alu instid0(SALU_CYCLE_1)
	s_and_not1_b32 vcc_lo, exec_lo, s29
	s_cbranch_vccnz .LBB94_550
; %bb.549:
	s_wait_loadcnt 0x0
	global_load_u16 v0, v[2:3], off
.LBB94_550:
	s_mov_b32 s29, 0
.LBB94_551:
	s_delay_alu instid0(SALU_CYCLE_1)
	s_and_not1_b32 vcc_lo, exec_lo, s29
	s_cbranch_vccnz .LBB94_557
; %bb.552:
	s_wait_loadcnt 0x0
	global_load_u8 v1, v[2:3], off
	s_mov_b32 s30, 0
	s_mov_b32 s29, exec_lo
	s_wait_loadcnt 0x0
	v_cmpx_lt_i16_e32 0x7f, v1
	s_xor_b32 s29, exec_lo, s29
	s_cbranch_execz .LBB94_569
; %bb.553:
	v_cmp_ne_u16_e32 vcc_lo, 0x80, v1
	s_and_b32 s30, vcc_lo, exec_lo
	s_and_not1_saveexec_b32 s29, s29
	s_cbranch_execnz .LBB94_570
.LBB94_554:
	s_or_b32 exec_lo, exec_lo, s29
	v_mov_b32_e32 v0, 0
	s_and_saveexec_b32 s29, s30
	s_cbranch_execz .LBB94_556
.LBB94_555:
	v_and_b32_e32 v0, 0xffff, v1
	s_delay_alu instid0(VALU_DEP_1) | instskip(SKIP_1) | instid1(VALU_DEP_2)
	v_and_b32_e32 v4, 7, v0
	v_bfe_u32 v7, v0, 3, 4
	v_clz_i32_u32_e32 v5, v4
	s_delay_alu instid0(VALU_DEP_2) | instskip(NEXT) | instid1(VALU_DEP_2)
	v_cmp_eq_u32_e32 vcc_lo, 0, v7
	v_min_u32_e32 v5, 32, v5
	s_delay_alu instid0(VALU_DEP_1) | instskip(NEXT) | instid1(VALU_DEP_1)
	v_subrev_nc_u32_e32 v6, 28, v5
	v_dual_lshlrev_b32 v0, v6, v0 :: v_dual_sub_nc_u32 v5, 29, v5
	s_delay_alu instid0(VALU_DEP_1) | instskip(NEXT) | instid1(VALU_DEP_1)
	v_dual_lshlrev_b32 v1, 24, v1 :: v_dual_bitop2_b32 v0, 7, v0 bitop3:0x40
	v_dual_cndmask_b32 v0, v4, v0 :: v_dual_cndmask_b32 v5, v7, v5
	s_delay_alu instid0(VALU_DEP_2) | instskip(NEXT) | instid1(VALU_DEP_2)
	v_and_b32_e32 v1, 0x80000000, v1
	v_lshlrev_b32_e32 v0, 20, v0
	s_delay_alu instid0(VALU_DEP_3) | instskip(NEXT) | instid1(VALU_DEP_1)
	v_lshl_add_u32 v4, v5, 23, 0x3b800000
	v_or3_b32 v0, v1, v4, v0
	s_delay_alu instid0(VALU_DEP_1)
	v_cvt_i32_f32_e32 v0, v0
.LBB94_556:
	s_or_b32 exec_lo, exec_lo, s29
.LBB94_557:
	s_mov_b32 s29, -1
.LBB94_558:
	s_mov_b32 s30, 0
.LBB94_559:
	s_delay_alu instid0(SALU_CYCLE_1)
	s_and_b32 vcc_lo, exec_lo, s30
	s_cbranch_vccz .LBB94_592
; %bb.560:
	s_cmp_gt_i32 s28, 22
	s_cbranch_scc0 .LBB94_568
; %bb.561:
	s_cmp_lt_i32 s28, 24
	s_cbranch_scc1 .LBB94_571
; %bb.562:
	s_cmp_gt_i32 s28, 24
	s_cbranch_scc0 .LBB94_572
; %bb.563:
	s_wait_loadcnt 0x0
	global_load_u8 v1, v[2:3], off
	s_mov_b32 s30, 0
	s_mov_b32 s29, exec_lo
	s_wait_loadcnt 0x0
	v_cmpx_lt_i16_e32 0x7f, v1
	s_xor_b32 s29, exec_lo, s29
	s_cbranch_execz .LBB94_584
; %bb.564:
	v_cmp_ne_u16_e32 vcc_lo, 0x80, v1
	s_and_b32 s30, vcc_lo, exec_lo
	s_and_not1_saveexec_b32 s29, s29
	s_cbranch_execnz .LBB94_585
.LBB94_565:
	s_or_b32 exec_lo, exec_lo, s29
	v_mov_b32_e32 v0, 0
	s_and_saveexec_b32 s29, s30
	s_cbranch_execz .LBB94_567
.LBB94_566:
	v_and_b32_e32 v0, 0xffff, v1
	s_delay_alu instid0(VALU_DEP_1) | instskip(SKIP_1) | instid1(VALU_DEP_2)
	v_and_b32_e32 v4, 3, v0
	v_bfe_u32 v7, v0, 2, 5
	v_clz_i32_u32_e32 v5, v4
	s_delay_alu instid0(VALU_DEP_2) | instskip(NEXT) | instid1(VALU_DEP_2)
	v_cmp_eq_u32_e32 vcc_lo, 0, v7
	v_min_u32_e32 v5, 32, v5
	s_delay_alu instid0(VALU_DEP_1) | instskip(NEXT) | instid1(VALU_DEP_1)
	v_subrev_nc_u32_e32 v6, 29, v5
	v_dual_lshlrev_b32 v0, v6, v0 :: v_dual_sub_nc_u32 v5, 30, v5
	s_delay_alu instid0(VALU_DEP_1) | instskip(NEXT) | instid1(VALU_DEP_1)
	v_dual_lshlrev_b32 v1, 24, v1 :: v_dual_bitop2_b32 v0, 3, v0 bitop3:0x40
	v_dual_cndmask_b32 v0, v4, v0 :: v_dual_cndmask_b32 v5, v7, v5
	s_delay_alu instid0(VALU_DEP_2) | instskip(NEXT) | instid1(VALU_DEP_2)
	v_and_b32_e32 v1, 0x80000000, v1
	v_lshlrev_b32_e32 v0, 21, v0
	s_delay_alu instid0(VALU_DEP_3) | instskip(NEXT) | instid1(VALU_DEP_1)
	v_lshl_add_u32 v4, v5, 23, 0x37800000
	v_or3_b32 v0, v1, v4, v0
	s_delay_alu instid0(VALU_DEP_1)
	v_cvt_i32_f32_e32 v0, v0
.LBB94_567:
	s_or_b32 exec_lo, exec_lo, s29
	s_mov_b32 s29, 0
	s_branch .LBB94_573
.LBB94_568:
	s_mov_b32 s30, -1
                                        ; implicit-def: $vgpr0
	s_branch .LBB94_579
.LBB94_569:
	s_and_not1_saveexec_b32 s29, s29
	s_cbranch_execz .LBB94_554
.LBB94_570:
	v_cmp_ne_u16_e32 vcc_lo, 0, v1
	s_and_not1_b32 s30, s30, exec_lo
	s_and_b32 s33, vcc_lo, exec_lo
	s_delay_alu instid0(SALU_CYCLE_1)
	s_or_b32 s30, s30, s33
	s_or_b32 exec_lo, exec_lo, s29
	v_mov_b32_e32 v0, 0
	s_and_saveexec_b32 s29, s30
	s_cbranch_execnz .LBB94_555
	s_branch .LBB94_556
.LBB94_571:
	s_mov_b32 s29, -1
                                        ; implicit-def: $vgpr0
	s_branch .LBB94_576
.LBB94_572:
	s_mov_b32 s29, -1
                                        ; implicit-def: $vgpr0
.LBB94_573:
	s_delay_alu instid0(SALU_CYCLE_1)
	s_and_b32 vcc_lo, exec_lo, s29
	s_cbranch_vccz .LBB94_575
; %bb.574:
	s_wait_loadcnt 0x0
	global_load_u8 v0, v[2:3], off
	s_wait_loadcnt 0x0
	v_lshlrev_b32_e32 v0, 24, v0
	s_delay_alu instid0(VALU_DEP_1) | instskip(NEXT) | instid1(VALU_DEP_1)
	v_and_b32_e32 v1, 0x7f000000, v0
	v_clz_i32_u32_e32 v4, v1
	v_cmp_ne_u32_e32 vcc_lo, 0, v1
	v_add_nc_u32_e32 v6, 0x1000000, v1
	s_delay_alu instid0(VALU_DEP_3) | instskip(NEXT) | instid1(VALU_DEP_1)
	v_min_u32_e32 v4, 32, v4
	v_sub_nc_u32_e64 v4, v4, 4 clamp
	s_delay_alu instid0(VALU_DEP_1) | instskip(NEXT) | instid1(VALU_DEP_1)
	v_dual_lshlrev_b32 v5, v4, v1 :: v_dual_lshlrev_b32 v4, 23, v4
	v_lshrrev_b32_e32 v5, 4, v5
	s_delay_alu instid0(VALU_DEP_1) | instskip(NEXT) | instid1(VALU_DEP_1)
	v_dual_sub_nc_u32 v4, v5, v4 :: v_dual_ashrrev_i32 v5, 8, v6
	v_add_nc_u32_e32 v4, 0x3c000000, v4
	s_delay_alu instid0(VALU_DEP_1) | instskip(NEXT) | instid1(VALU_DEP_1)
	v_and_or_b32 v4, 0x7f800000, v5, v4
	v_cndmask_b32_e32 v1, 0, v4, vcc_lo
	s_delay_alu instid0(VALU_DEP_1) | instskip(NEXT) | instid1(VALU_DEP_1)
	v_and_or_b32 v0, 0x80000000, v0, v1
	v_cvt_i32_f32_e32 v0, v0
.LBB94_575:
	s_mov_b32 s29, 0
.LBB94_576:
	s_delay_alu instid0(SALU_CYCLE_1)
	s_and_not1_b32 vcc_lo, exec_lo, s29
	s_cbranch_vccnz .LBB94_578
; %bb.577:
	s_wait_loadcnt 0x0
	global_load_u8 v0, v[2:3], off
	s_wait_loadcnt 0x0
	v_lshlrev_b32_e32 v1, 25, v0
	v_lshlrev_b16 v0, 8, v0
	s_delay_alu instid0(VALU_DEP_1) | instskip(SKIP_1) | instid1(VALU_DEP_2)
	v_and_or_b32 v5, 0x7f00, v0, 0.5
	v_bfe_i32 v0, v0, 0, 16
	v_add_f32_e32 v5, -0.5, v5
	v_lshrrev_b32_e32 v4, 4, v1
	v_cmp_gt_u32_e32 vcc_lo, 0x8000000, v1
	s_delay_alu instid0(VALU_DEP_2) | instskip(NEXT) | instid1(VALU_DEP_1)
	v_or_b32_e32 v4, 0x70000000, v4
	v_mul_f32_e32 v4, 0x7800000, v4
	s_delay_alu instid0(VALU_DEP_1) | instskip(NEXT) | instid1(VALU_DEP_1)
	v_cndmask_b32_e32 v1, v4, v5, vcc_lo
	v_and_or_b32 v0, 0x80000000, v0, v1
	s_delay_alu instid0(VALU_DEP_1)
	v_cvt_i32_f32_e32 v0, v0
.LBB94_578:
	s_mov_b32 s30, 0
	s_mov_b32 s29, -1
.LBB94_579:
	s_and_not1_b32 vcc_lo, exec_lo, s30
	s_cbranch_vccnz .LBB94_592
; %bb.580:
	s_cmp_gt_i32 s28, 14
	s_cbranch_scc0 .LBB94_583
; %bb.581:
	s_cmp_eq_u32 s28, 15
	s_cbranch_scc0 .LBB94_586
; %bb.582:
	s_wait_loadcnt 0x0
	global_load_u16 v0, v[2:3], off
	s_mov_b32 s29, -1
	s_mov_b32 s27, 0
	s_wait_loadcnt 0x0
	v_lshlrev_b32_e32 v0, 16, v0
	s_delay_alu instid0(VALU_DEP_1)
	v_cvt_i32_f32_e32 v0, v0
	s_branch .LBB94_587
.LBB94_583:
	s_mov_b32 s30, -1
                                        ; implicit-def: $vgpr0
	s_branch .LBB94_588
.LBB94_584:
	s_and_not1_saveexec_b32 s29, s29
	s_cbranch_execz .LBB94_565
.LBB94_585:
	v_cmp_ne_u16_e32 vcc_lo, 0, v1
	s_and_not1_b32 s30, s30, exec_lo
	s_and_b32 s33, vcc_lo, exec_lo
	s_delay_alu instid0(SALU_CYCLE_1)
	s_or_b32 s30, s30, s33
	s_or_b32 exec_lo, exec_lo, s29
	v_mov_b32_e32 v0, 0
	s_and_saveexec_b32 s29, s30
	s_cbranch_execnz .LBB94_566
	s_branch .LBB94_567
.LBB94_586:
	s_mov_b32 s27, -1
                                        ; implicit-def: $vgpr0
.LBB94_587:
	s_mov_b32 s30, 0
.LBB94_588:
	s_delay_alu instid0(SALU_CYCLE_1)
	s_and_b32 vcc_lo, exec_lo, s30
	s_cbranch_vccz .LBB94_592
; %bb.589:
	s_cmp_eq_u32 s28, 11
	s_cbranch_scc0 .LBB94_591
; %bb.590:
	s_wait_loadcnt 0x0
	global_load_u8 v0, v[2:3], off
	s_mov_b32 s27, 0
	s_mov_b32 s29, -1
	s_wait_loadcnt 0x0
	v_cmp_ne_u16_e32 vcc_lo, 0, v0
	v_cndmask_b32_e64 v0, 0, 1, vcc_lo
	s_branch .LBB94_592
.LBB94_591:
	s_mov_b32 s27, -1
                                        ; implicit-def: $vgpr0
.LBB94_592:
	s_branch .LBB94_513
.LBB94_593:
	s_and_b32 s0, 0xffff, s0
	s_delay_alu instid0(SALU_CYCLE_1)
	s_cmp_lt_i32 s0, 5
	s_cbranch_scc1 .LBB94_598
; %bb.594:
	s_cmp_lt_i32 s0, 8
	s_cbranch_scc1 .LBB94_599
; %bb.595:
	s_cmp_lt_i32 s0, 9
	s_cbranch_scc1 .LBB94_600
; %bb.596:
	s_cmp_gt_i32 s0, 9
	s_cbranch_scc0 .LBB94_601
; %bb.597:
	s_wait_loadcnt 0x0
	global_load_b64 v[0:1], v[2:3], off
	s_mov_b32 s28, 0
	s_wait_loadcnt 0x0
	v_cvt_i32_f64_e32 v0, v[0:1]
	s_branch .LBB94_602
.LBB94_598:
	s_mov_b32 s28, -1
                                        ; implicit-def: $vgpr0
	s_branch .LBB94_620
.LBB94_599:
	s_mov_b32 s28, -1
                                        ; implicit-def: $vgpr0
	s_branch .LBB94_608
.LBB94_600:
	s_mov_b32 s28, -1
                                        ; implicit-def: $vgpr0
	s_branch .LBB94_605
.LBB94_601:
	s_mov_b32 s28, -1
                                        ; implicit-def: $vgpr0
.LBB94_602:
	s_delay_alu instid0(SALU_CYCLE_1)
	s_and_not1_b32 vcc_lo, exec_lo, s28
	s_cbranch_vccnz .LBB94_604
; %bb.603:
	s_wait_loadcnt 0x0
	global_load_b32 v0, v[2:3], off
	s_wait_loadcnt 0x0
	v_cvt_i32_f32_e32 v0, v0
.LBB94_604:
	s_mov_b32 s28, 0
.LBB94_605:
	s_delay_alu instid0(SALU_CYCLE_1)
	s_and_not1_b32 vcc_lo, exec_lo, s28
	s_cbranch_vccnz .LBB94_607
; %bb.606:
	s_wait_loadcnt 0x0
	global_load_b32 v0, v[2:3], off
	s_wait_loadcnt 0x0
	v_cvt_i16_f16_e32 v0, v0
.LBB94_607:
	s_mov_b32 s28, 0
.LBB94_608:
	s_delay_alu instid0(SALU_CYCLE_1)
	s_and_not1_b32 vcc_lo, exec_lo, s28
	s_cbranch_vccnz .LBB94_619
; %bb.609:
	s_cmp_lt_i32 s0, 6
	s_cbranch_scc1 .LBB94_612
; %bb.610:
	s_cmp_gt_i32 s0, 6
	s_cbranch_scc0 .LBB94_613
; %bb.611:
	s_wait_loadcnt 0x0
	global_load_b64 v[0:1], v[2:3], off
	s_mov_b32 s28, 0
	s_wait_loadcnt 0x0
	v_cvt_i32_f64_e32 v0, v[0:1]
	s_branch .LBB94_614
.LBB94_612:
	s_mov_b32 s28, -1
                                        ; implicit-def: $vgpr0
	s_branch .LBB94_617
.LBB94_613:
	s_mov_b32 s28, -1
                                        ; implicit-def: $vgpr0
.LBB94_614:
	s_delay_alu instid0(SALU_CYCLE_1)
	s_and_not1_b32 vcc_lo, exec_lo, s28
	s_cbranch_vccnz .LBB94_616
; %bb.615:
	s_wait_loadcnt 0x0
	global_load_b32 v0, v[2:3], off
	s_wait_loadcnt 0x0
	v_cvt_i32_f32_e32 v0, v0
.LBB94_616:
	s_mov_b32 s28, 0
.LBB94_617:
	s_delay_alu instid0(SALU_CYCLE_1)
	s_and_not1_b32 vcc_lo, exec_lo, s28
	s_cbranch_vccnz .LBB94_619
; %bb.618:
	s_wait_loadcnt 0x0
	global_load_u16 v0, v[2:3], off
	s_wait_loadcnt 0x0
	v_cvt_i16_f16_e32 v0, v0
.LBB94_619:
	s_mov_b32 s28, 0
.LBB94_620:
	s_delay_alu instid0(SALU_CYCLE_1)
	s_and_not1_b32 vcc_lo, exec_lo, s28
	s_cbranch_vccnz .LBB94_640
; %bb.621:
	s_cmp_lt_i32 s0, 2
	s_cbranch_scc1 .LBB94_625
; %bb.622:
	s_cmp_lt_i32 s0, 3
	s_cbranch_scc1 .LBB94_626
; %bb.623:
	s_cmp_gt_i32 s0, 3
	s_cbranch_scc0 .LBB94_627
; %bb.624:
	s_wait_loadcnt 0x0
	global_load_b64 v[0:1], v[2:3], off
	s_mov_b32 s28, 0
	s_branch .LBB94_628
.LBB94_625:
	s_mov_b32 s28, -1
                                        ; implicit-def: $vgpr0
	s_branch .LBB94_634
.LBB94_626:
	s_mov_b32 s28, -1
                                        ; implicit-def: $vgpr0
	s_branch .LBB94_631
.LBB94_627:
	s_mov_b32 s28, -1
                                        ; implicit-def: $vgpr0
.LBB94_628:
	s_delay_alu instid0(SALU_CYCLE_1)
	s_and_not1_b32 vcc_lo, exec_lo, s28
	s_cbranch_vccnz .LBB94_630
; %bb.629:
	s_wait_loadcnt 0x0
	global_load_b32 v0, v[2:3], off
.LBB94_630:
	s_mov_b32 s28, 0
.LBB94_631:
	s_delay_alu instid0(SALU_CYCLE_1)
	s_and_not1_b32 vcc_lo, exec_lo, s28
	s_cbranch_vccnz .LBB94_633
; %bb.632:
	s_wait_loadcnt 0x0
	global_load_u16 v0, v[2:3], off
.LBB94_633:
	s_mov_b32 s28, 0
.LBB94_634:
	s_delay_alu instid0(SALU_CYCLE_1)
	s_and_not1_b32 vcc_lo, exec_lo, s28
	s_cbranch_vccnz .LBB94_640
; %bb.635:
	s_cmp_gt_i32 s0, 0
	s_mov_b32 s0, 0
	s_cbranch_scc0 .LBB94_637
; %bb.636:
	s_wait_loadcnt 0x0
	global_load_i8 v0, v[2:3], off
	s_branch .LBB94_638
.LBB94_637:
	s_mov_b32 s0, -1
                                        ; implicit-def: $vgpr0
.LBB94_638:
	s_delay_alu instid0(SALU_CYCLE_1)
	s_and_not1_b32 vcc_lo, exec_lo, s0
	s_cbranch_vccnz .LBB94_640
; %bb.639:
	s_wait_loadcnt 0x0
	global_load_u8 v0, v[2:3], off
.LBB94_640:
	s_branch .LBB94_514
.LBB94_641:
	s_mov_b32 s33, 0
	s_mov_b32 s0, s21
	;; [unrolled: 1-line block ×4, first 2 shown]
	s_branch .LBB94_1009
.LBB94_642:
	s_and_not1_saveexec_b32 s31, s31
	s_cbranch_execz .LBB94_409
.LBB94_643:
	v_add_f32_e64 v3, 0x46000000, |v2|
	s_and_not1_b32 s30, s30, exec_lo
	s_delay_alu instid0(VALU_DEP_1) | instskip(NEXT) | instid1(VALU_DEP_1)
	v_and_b32_e32 v3, 0xff, v3
	v_cmp_ne_u32_e32 vcc_lo, 0, v3
	s_and_b32 s33, vcc_lo, exec_lo
	s_delay_alu instid0(SALU_CYCLE_1)
	s_or_b32 s30, s30, s33
	s_or_b32 exec_lo, exec_lo, s31
	v_mov_b32_e32 v5, 0
	s_and_saveexec_b32 s31, s30
	s_cbranch_execnz .LBB94_410
	s_branch .LBB94_411
.LBB94_644:
	s_mov_b32 s30, -1
	s_mov_b32 s29, 0
.LBB94_645:
                                        ; implicit-def: $vgpr2
.LBB94_646:
	s_and_b32 vcc_lo, exec_lo, s33
	s_cbranch_vccz .LBB94_650
; %bb.647:
	s_cmp_eq_u32 s28, 44
	s_cbranch_scc0 .LBB94_649
; %bb.648:
	s_wait_loadcnt 0x0
	global_load_u8 v1, v[4:5], off
	s_mov_b32 s30, 0
	s_mov_b32 s29, -1
	s_wait_loadcnt 0x0
	v_lshlrev_b32_e32 v2, 23, v1
	v_cmp_ne_u32_e32 vcc_lo, 0, v1
	s_delay_alu instid0(VALU_DEP_2) | instskip(NEXT) | instid1(VALU_DEP_1)
	v_cvt_i32_f32_e32 v2, v2
	v_cndmask_b32_e32 v2, 0, v2, vcc_lo
	s_branch .LBB94_650
.LBB94_649:
	s_mov_b32 s30, -1
                                        ; implicit-def: $vgpr2
.LBB94_650:
	s_mov_b32 s33, 0
.LBB94_651:
	s_delay_alu instid0(SALU_CYCLE_1)
	s_and_b32 vcc_lo, exec_lo, s33
	s_cbranch_vccz .LBB94_655
; %bb.652:
	s_cmp_eq_u32 s28, 29
	s_cbranch_scc0 .LBB94_654
; %bb.653:
	global_load_b64 v[2:3], v[4:5], off
	s_mov_b32 s29, -1
	s_mov_b32 s30, 0
	s_branch .LBB94_655
.LBB94_654:
	s_mov_b32 s30, -1
                                        ; implicit-def: $vgpr2
.LBB94_655:
	s_mov_b32 s33, 0
.LBB94_656:
	s_delay_alu instid0(SALU_CYCLE_1)
	s_and_b32 vcc_lo, exec_lo, s33
	s_cbranch_vccz .LBB94_672
; %bb.657:
	s_cmp_lt_i32 s28, 27
	s_cbranch_scc1 .LBB94_660
; %bb.658:
	s_cmp_gt_i32 s28, 27
	s_cbranch_scc0 .LBB94_661
; %bb.659:
	s_wait_loadcnt 0x0
	global_load_b32 v2, v[4:5], off
	s_mov_b32 s29, 0
	s_branch .LBB94_662
.LBB94_660:
	s_mov_b32 s29, -1
                                        ; implicit-def: $vgpr2
	s_branch .LBB94_665
.LBB94_661:
	s_mov_b32 s29, -1
                                        ; implicit-def: $vgpr2
.LBB94_662:
	s_delay_alu instid0(SALU_CYCLE_1)
	s_and_not1_b32 vcc_lo, exec_lo, s29
	s_cbranch_vccnz .LBB94_664
; %bb.663:
	s_wait_loadcnt 0x0
	global_load_u16 v2, v[4:5], off
.LBB94_664:
	s_mov_b32 s29, 0
.LBB94_665:
	s_delay_alu instid0(SALU_CYCLE_1)
	s_and_not1_b32 vcc_lo, exec_lo, s29
	s_cbranch_vccnz .LBB94_671
; %bb.666:
	s_wait_loadcnt 0x0
	global_load_u8 v1, v[4:5], off
	s_mov_b32 s33, 0
	s_mov_b32 s29, exec_lo
	s_wait_loadcnt 0x0
	v_cmpx_lt_i16_e32 0x7f, v1
	s_xor_b32 s29, exec_lo, s29
	s_cbranch_execz .LBB94_683
; %bb.667:
	v_cmp_ne_u16_e32 vcc_lo, 0x80, v1
	s_and_b32 s33, vcc_lo, exec_lo
	s_and_not1_saveexec_b32 s29, s29
	s_cbranch_execnz .LBB94_684
.LBB94_668:
	s_or_b32 exec_lo, exec_lo, s29
	v_mov_b32_e32 v2, 0
	s_and_saveexec_b32 s29, s33
	s_cbranch_execz .LBB94_670
.LBB94_669:
	v_and_b32_e32 v2, 0xffff, v1
	s_delay_alu instid0(VALU_DEP_1) | instskip(SKIP_1) | instid1(VALU_DEP_2)
	v_dual_lshlrev_b32 v1, 24, v1 :: v_dual_bitop2_b32 v3, 7, v2 bitop3:0x40
	v_bfe_u32 v8, v2, 3, 4
	v_and_b32_e32 v1, 0x80000000, v1
	s_delay_alu instid0(VALU_DEP_3) | instskip(NEXT) | instid1(VALU_DEP_3)
	v_clz_i32_u32_e32 v6, v3
	v_cmp_eq_u32_e32 vcc_lo, 0, v8
	s_delay_alu instid0(VALU_DEP_2) | instskip(NEXT) | instid1(VALU_DEP_1)
	v_min_u32_e32 v6, 32, v6
	v_subrev_nc_u32_e32 v7, 28, v6
	v_sub_nc_u32_e32 v6, 29, v6
	s_delay_alu instid0(VALU_DEP_2) | instskip(NEXT) | instid1(VALU_DEP_2)
	v_lshlrev_b32_e32 v2, v7, v2
	v_cndmask_b32_e32 v6, v8, v6, vcc_lo
	s_delay_alu instid0(VALU_DEP_2) | instskip(NEXT) | instid1(VALU_DEP_1)
	v_and_b32_e32 v2, 7, v2
	v_cndmask_b32_e32 v2, v3, v2, vcc_lo
	s_delay_alu instid0(VALU_DEP_3) | instskip(NEXT) | instid1(VALU_DEP_2)
	v_lshl_add_u32 v3, v6, 23, 0x3b800000
	v_lshlrev_b32_e32 v2, 20, v2
	s_delay_alu instid0(VALU_DEP_1) | instskip(NEXT) | instid1(VALU_DEP_1)
	v_or3_b32 v1, v1, v3, v2
	v_cvt_i32_f32_e32 v2, v1
.LBB94_670:
	s_or_b32 exec_lo, exec_lo, s29
.LBB94_671:
	s_mov_b32 s29, -1
.LBB94_672:
	s_mov_b32 s33, 0
.LBB94_673:
	s_delay_alu instid0(SALU_CYCLE_1)
	s_and_b32 vcc_lo, exec_lo, s33
	s_cbranch_vccz .LBB94_706
; %bb.674:
	s_cmp_gt_i32 s28, 22
	s_cbranch_scc0 .LBB94_682
; %bb.675:
	s_cmp_lt_i32 s28, 24
	s_cbranch_scc1 .LBB94_685
; %bb.676:
	s_cmp_gt_i32 s28, 24
	s_cbranch_scc0 .LBB94_686
; %bb.677:
	s_wait_loadcnt 0x0
	global_load_u8 v1, v[4:5], off
	s_mov_b32 s33, 0
	s_mov_b32 s29, exec_lo
	s_wait_loadcnt 0x0
	v_cmpx_lt_i16_e32 0x7f, v1
	s_xor_b32 s29, exec_lo, s29
	s_cbranch_execz .LBB94_698
; %bb.678:
	v_cmp_ne_u16_e32 vcc_lo, 0x80, v1
	s_and_b32 s33, vcc_lo, exec_lo
	s_and_not1_saveexec_b32 s29, s29
	s_cbranch_execnz .LBB94_699
.LBB94_679:
	s_or_b32 exec_lo, exec_lo, s29
	v_mov_b32_e32 v2, 0
	s_and_saveexec_b32 s29, s33
	s_cbranch_execz .LBB94_681
.LBB94_680:
	v_and_b32_e32 v2, 0xffff, v1
	s_delay_alu instid0(VALU_DEP_1) | instskip(SKIP_1) | instid1(VALU_DEP_2)
	v_dual_lshlrev_b32 v1, 24, v1 :: v_dual_bitop2_b32 v3, 3, v2 bitop3:0x40
	v_bfe_u32 v8, v2, 2, 5
	v_and_b32_e32 v1, 0x80000000, v1
	s_delay_alu instid0(VALU_DEP_3) | instskip(NEXT) | instid1(VALU_DEP_3)
	v_clz_i32_u32_e32 v6, v3
	v_cmp_eq_u32_e32 vcc_lo, 0, v8
	s_delay_alu instid0(VALU_DEP_2) | instskip(NEXT) | instid1(VALU_DEP_1)
	v_min_u32_e32 v6, 32, v6
	v_subrev_nc_u32_e32 v7, 29, v6
	v_sub_nc_u32_e32 v6, 30, v6
	s_delay_alu instid0(VALU_DEP_2) | instskip(NEXT) | instid1(VALU_DEP_2)
	v_lshlrev_b32_e32 v2, v7, v2
	v_cndmask_b32_e32 v6, v8, v6, vcc_lo
	s_delay_alu instid0(VALU_DEP_2) | instskip(NEXT) | instid1(VALU_DEP_1)
	v_and_b32_e32 v2, 3, v2
	v_cndmask_b32_e32 v2, v3, v2, vcc_lo
	s_delay_alu instid0(VALU_DEP_3) | instskip(NEXT) | instid1(VALU_DEP_2)
	v_lshl_add_u32 v3, v6, 23, 0x37800000
	v_lshlrev_b32_e32 v2, 21, v2
	s_delay_alu instid0(VALU_DEP_1) | instskip(NEXT) | instid1(VALU_DEP_1)
	v_or3_b32 v1, v1, v3, v2
	v_cvt_i32_f32_e32 v2, v1
.LBB94_681:
	s_or_b32 exec_lo, exec_lo, s29
	s_mov_b32 s29, 0
	s_branch .LBB94_687
.LBB94_682:
	s_mov_b32 s33, -1
                                        ; implicit-def: $vgpr2
	s_branch .LBB94_693
.LBB94_683:
	s_and_not1_saveexec_b32 s29, s29
	s_cbranch_execz .LBB94_668
.LBB94_684:
	v_cmp_ne_u16_e32 vcc_lo, 0, v1
	s_and_not1_b32 s33, s33, exec_lo
	s_and_b32 s34, vcc_lo, exec_lo
	s_delay_alu instid0(SALU_CYCLE_1)
	s_or_b32 s33, s33, s34
	s_or_b32 exec_lo, exec_lo, s29
	v_mov_b32_e32 v2, 0
	s_and_saveexec_b32 s29, s33
	s_cbranch_execnz .LBB94_669
	s_branch .LBB94_670
.LBB94_685:
	s_mov_b32 s29, -1
                                        ; implicit-def: $vgpr2
	s_branch .LBB94_690
.LBB94_686:
	s_mov_b32 s29, -1
                                        ; implicit-def: $vgpr2
.LBB94_687:
	s_delay_alu instid0(SALU_CYCLE_1)
	s_and_b32 vcc_lo, exec_lo, s29
	s_cbranch_vccz .LBB94_689
; %bb.688:
	s_wait_loadcnt 0x0
	global_load_u8 v1, v[4:5], off
	s_wait_loadcnt 0x0
	v_lshlrev_b32_e32 v1, 24, v1
	s_delay_alu instid0(VALU_DEP_1) | instskip(NEXT) | instid1(VALU_DEP_1)
	v_and_b32_e32 v2, 0x7f000000, v1
	v_clz_i32_u32_e32 v3, v2
	v_cmp_ne_u32_e32 vcc_lo, 0, v2
	v_add_nc_u32_e32 v7, 0x1000000, v2
	s_delay_alu instid0(VALU_DEP_3) | instskip(NEXT) | instid1(VALU_DEP_1)
	v_min_u32_e32 v3, 32, v3
	v_sub_nc_u32_e64 v3, v3, 4 clamp
	s_delay_alu instid0(VALU_DEP_1) | instskip(NEXT) | instid1(VALU_DEP_1)
	v_dual_lshlrev_b32 v6, v3, v2 :: v_dual_lshlrev_b32 v3, 23, v3
	v_lshrrev_b32_e32 v6, 4, v6
	s_delay_alu instid0(VALU_DEP_1) | instskip(SKIP_1) | instid1(VALU_DEP_2)
	v_sub_nc_u32_e32 v3, v6, v3
	v_ashrrev_i32_e32 v6, 8, v7
	v_add_nc_u32_e32 v3, 0x3c000000, v3
	s_delay_alu instid0(VALU_DEP_1) | instskip(NEXT) | instid1(VALU_DEP_1)
	v_and_or_b32 v3, 0x7f800000, v6, v3
	v_cndmask_b32_e32 v2, 0, v3, vcc_lo
	s_delay_alu instid0(VALU_DEP_1) | instskip(NEXT) | instid1(VALU_DEP_1)
	v_and_or_b32 v1, 0x80000000, v1, v2
	v_cvt_i32_f32_e32 v2, v1
.LBB94_689:
	s_mov_b32 s29, 0
.LBB94_690:
	s_delay_alu instid0(SALU_CYCLE_1)
	s_and_not1_b32 vcc_lo, exec_lo, s29
	s_cbranch_vccnz .LBB94_692
; %bb.691:
	s_wait_loadcnt 0x0
	global_load_u8 v1, v[4:5], off
	s_wait_loadcnt 0x0
	v_lshlrev_b32_e32 v2, 25, v1
	v_lshlrev_b16 v1, 8, v1
	s_delay_alu instid0(VALU_DEP_1) | instskip(SKIP_1) | instid1(VALU_DEP_2)
	v_and_or_b32 v6, 0x7f00, v1, 0.5
	v_bfe_i32 v1, v1, 0, 16
	v_add_f32_e32 v6, -0.5, v6
	v_lshrrev_b32_e32 v3, 4, v2
	v_cmp_gt_u32_e32 vcc_lo, 0x8000000, v2
	s_delay_alu instid0(VALU_DEP_2) | instskip(NEXT) | instid1(VALU_DEP_1)
	v_or_b32_e32 v3, 0x70000000, v3
	v_mul_f32_e32 v3, 0x7800000, v3
	s_delay_alu instid0(VALU_DEP_1) | instskip(NEXT) | instid1(VALU_DEP_1)
	v_cndmask_b32_e32 v2, v3, v6, vcc_lo
	v_and_or_b32 v1, 0x80000000, v1, v2
	s_delay_alu instid0(VALU_DEP_1)
	v_cvt_i32_f32_e32 v2, v1
.LBB94_692:
	s_mov_b32 s33, 0
	s_mov_b32 s29, -1
.LBB94_693:
	s_and_not1_b32 vcc_lo, exec_lo, s33
	s_cbranch_vccnz .LBB94_706
; %bb.694:
	s_cmp_gt_i32 s28, 14
	s_cbranch_scc0 .LBB94_697
; %bb.695:
	s_cmp_eq_u32 s28, 15
	s_cbranch_scc0 .LBB94_700
; %bb.696:
	s_wait_loadcnt 0x0
	global_load_u16 v1, v[4:5], off
	s_mov_b32 s29, -1
	s_mov_b32 s30, 0
	s_wait_loadcnt 0x0
	v_lshlrev_b32_e32 v1, 16, v1
	s_delay_alu instid0(VALU_DEP_1)
	v_cvt_i32_f32_e32 v2, v1
	s_branch .LBB94_701
.LBB94_697:
	s_mov_b32 s33, -1
                                        ; implicit-def: $vgpr2
	s_branch .LBB94_702
.LBB94_698:
	s_and_not1_saveexec_b32 s29, s29
	s_cbranch_execz .LBB94_679
.LBB94_699:
	v_cmp_ne_u16_e32 vcc_lo, 0, v1
	s_and_not1_b32 s33, s33, exec_lo
	s_and_b32 s34, vcc_lo, exec_lo
	s_delay_alu instid0(SALU_CYCLE_1)
	s_or_b32 s33, s33, s34
	s_or_b32 exec_lo, exec_lo, s29
	v_mov_b32_e32 v2, 0
	s_and_saveexec_b32 s29, s33
	s_cbranch_execnz .LBB94_680
	s_branch .LBB94_681
.LBB94_700:
	s_mov_b32 s30, -1
                                        ; implicit-def: $vgpr2
.LBB94_701:
	s_mov_b32 s33, 0
.LBB94_702:
	s_delay_alu instid0(SALU_CYCLE_1)
	s_and_b32 vcc_lo, exec_lo, s33
	s_cbranch_vccz .LBB94_706
; %bb.703:
	s_cmp_eq_u32 s28, 11
	s_cbranch_scc0 .LBB94_705
; %bb.704:
	s_wait_loadcnt 0x0
	global_load_u8 v1, v[4:5], off
	s_mov_b32 s30, 0
	s_mov_b32 s29, -1
	s_wait_loadcnt 0x0
	v_cmp_ne_u16_e32 vcc_lo, 0, v1
	v_cndmask_b32_e64 v2, 0, 1, vcc_lo
	s_branch .LBB94_706
.LBB94_705:
	s_mov_b32 s30, -1
                                        ; implicit-def: $vgpr2
.LBB94_706:
	s_mov_b32 s28, 0
.LBB94_707:
	s_delay_alu instid0(SALU_CYCLE_1)
	s_and_b32 vcc_lo, exec_lo, s28
	s_cbranch_vccz .LBB94_756
; %bb.708:
	s_and_b32 s0, 0xffff, s0
	s_delay_alu instid0(SALU_CYCLE_1)
	s_cmp_lt_i32 s0, 5
	s_cbranch_scc1 .LBB94_713
; %bb.709:
	s_cmp_lt_i32 s0, 8
	s_cbranch_scc1 .LBB94_714
; %bb.710:
	;; [unrolled: 3-line block ×3, first 2 shown]
	s_cmp_gt_i32 s0, 9
	s_cbranch_scc0 .LBB94_716
; %bb.712:
	s_wait_loadcnt 0x0
	global_load_b64 v[2:3], v[4:5], off
	s_mov_b32 s28, 0
	s_wait_loadcnt 0x0
	v_cvt_i32_f64_e32 v2, v[2:3]
	s_branch .LBB94_717
.LBB94_713:
	s_mov_b32 s28, -1
                                        ; implicit-def: $vgpr2
	s_branch .LBB94_735
.LBB94_714:
	s_mov_b32 s28, -1
                                        ; implicit-def: $vgpr2
	s_branch .LBB94_723
.LBB94_715:
	s_mov_b32 s28, -1
                                        ; implicit-def: $vgpr2
	s_branch .LBB94_720
.LBB94_716:
	s_mov_b32 s28, -1
                                        ; implicit-def: $vgpr2
.LBB94_717:
	s_delay_alu instid0(SALU_CYCLE_1)
	s_and_not1_b32 vcc_lo, exec_lo, s28
	s_cbranch_vccnz .LBB94_719
; %bb.718:
	s_wait_loadcnt 0x0
	global_load_b32 v1, v[4:5], off
	s_wait_loadcnt 0x0
	v_cvt_i32_f32_e32 v2, v1
.LBB94_719:
	s_mov_b32 s28, 0
.LBB94_720:
	s_delay_alu instid0(SALU_CYCLE_1)
	s_and_not1_b32 vcc_lo, exec_lo, s28
	s_cbranch_vccnz .LBB94_722
; %bb.721:
	s_wait_loadcnt 0x0
	global_load_b32 v1, v[4:5], off
	s_wait_loadcnt 0x0
	v_cvt_i16_f16_e32 v2, v1
.LBB94_722:
	s_mov_b32 s28, 0
.LBB94_723:
	s_delay_alu instid0(SALU_CYCLE_1)
	s_and_not1_b32 vcc_lo, exec_lo, s28
	s_cbranch_vccnz .LBB94_734
; %bb.724:
	s_cmp_lt_i32 s0, 6
	s_cbranch_scc1 .LBB94_727
; %bb.725:
	s_cmp_gt_i32 s0, 6
	s_cbranch_scc0 .LBB94_728
; %bb.726:
	s_wait_loadcnt 0x0
	global_load_b64 v[2:3], v[4:5], off
	s_mov_b32 s28, 0
	s_wait_loadcnt 0x0
	v_cvt_i32_f64_e32 v2, v[2:3]
	s_branch .LBB94_729
.LBB94_727:
	s_mov_b32 s28, -1
                                        ; implicit-def: $vgpr2
	s_branch .LBB94_732
.LBB94_728:
	s_mov_b32 s28, -1
                                        ; implicit-def: $vgpr2
.LBB94_729:
	s_delay_alu instid0(SALU_CYCLE_1)
	s_and_not1_b32 vcc_lo, exec_lo, s28
	s_cbranch_vccnz .LBB94_731
; %bb.730:
	s_wait_loadcnt 0x0
	global_load_b32 v1, v[4:5], off
	s_wait_loadcnt 0x0
	v_cvt_i32_f32_e32 v2, v1
.LBB94_731:
	s_mov_b32 s28, 0
.LBB94_732:
	s_delay_alu instid0(SALU_CYCLE_1)
	s_and_not1_b32 vcc_lo, exec_lo, s28
	s_cbranch_vccnz .LBB94_734
; %bb.733:
	s_wait_loadcnt 0x0
	global_load_u16 v1, v[4:5], off
	s_wait_loadcnt 0x0
	v_cvt_i16_f16_e32 v2, v1
.LBB94_734:
	s_mov_b32 s28, 0
.LBB94_735:
	s_delay_alu instid0(SALU_CYCLE_1)
	s_and_not1_b32 vcc_lo, exec_lo, s28
	s_cbranch_vccnz .LBB94_755
; %bb.736:
	s_cmp_lt_i32 s0, 2
	s_cbranch_scc1 .LBB94_740
; %bb.737:
	s_cmp_lt_i32 s0, 3
	s_cbranch_scc1 .LBB94_741
; %bb.738:
	s_cmp_gt_i32 s0, 3
	s_cbranch_scc0 .LBB94_742
; %bb.739:
	s_wait_loadcnt 0x0
	global_load_b64 v[2:3], v[4:5], off
	s_mov_b32 s28, 0
	s_branch .LBB94_743
.LBB94_740:
	s_mov_b32 s28, -1
                                        ; implicit-def: $vgpr2
	s_branch .LBB94_749
.LBB94_741:
	s_mov_b32 s28, -1
                                        ; implicit-def: $vgpr2
	s_branch .LBB94_746
.LBB94_742:
	s_mov_b32 s28, -1
                                        ; implicit-def: $vgpr2
.LBB94_743:
	s_delay_alu instid0(SALU_CYCLE_1)
	s_and_not1_b32 vcc_lo, exec_lo, s28
	s_cbranch_vccnz .LBB94_745
; %bb.744:
	s_wait_loadcnt 0x0
	global_load_b32 v2, v[4:5], off
.LBB94_745:
	s_mov_b32 s28, 0
.LBB94_746:
	s_delay_alu instid0(SALU_CYCLE_1)
	s_and_not1_b32 vcc_lo, exec_lo, s28
	s_cbranch_vccnz .LBB94_748
; %bb.747:
	s_wait_loadcnt 0x0
	global_load_u16 v2, v[4:5], off
.LBB94_748:
	s_mov_b32 s28, 0
.LBB94_749:
	s_delay_alu instid0(SALU_CYCLE_1)
	s_and_not1_b32 vcc_lo, exec_lo, s28
	s_cbranch_vccnz .LBB94_755
; %bb.750:
	s_cmp_gt_i32 s0, 0
	s_mov_b32 s0, 0
	s_cbranch_scc0 .LBB94_752
; %bb.751:
	s_wait_loadcnt 0x0
	global_load_i8 v2, v[4:5], off
	s_branch .LBB94_753
.LBB94_752:
	s_mov_b32 s0, -1
                                        ; implicit-def: $vgpr2
.LBB94_753:
	s_delay_alu instid0(SALU_CYCLE_1)
	s_and_not1_b32 vcc_lo, exec_lo, s0
	s_cbranch_vccnz .LBB94_755
; %bb.754:
	s_wait_loadcnt 0x0
	global_load_u8 v2, v[4:5], off
.LBB94_755:
	s_mov_b32 s29, -1
.LBB94_756:
	s_delay_alu instid0(SALU_CYCLE_1)
	s_and_not1_b32 vcc_lo, exec_lo, s29
	s_cbranch_vccnz .LBB94_764
; %bb.757:
	s_wait_xcnt 0x0
	v_mul_lo_u32 v4, v26, s15
	s_and_b32 s0, 0xffff, s16
	s_delay_alu instid0(SALU_CYCLE_1) | instskip(NEXT) | instid1(VALU_DEP_1)
	s_cmp_lt_i32 s0, 11
	v_ashrrev_i32_e32 v5, 31, v4
	s_delay_alu instid0(VALU_DEP_1)
	v_add_nc_u64_e32 v[4:5], s[10:11], v[4:5]
	s_cbranch_scc1 .LBB94_765
; %bb.758:
	s_cmp_gt_i32 s0, 25
	s_cbranch_scc0 .LBB94_766
; %bb.759:
	s_cmp_gt_i32 s0, 28
	s_cbranch_scc0 .LBB94_767
	;; [unrolled: 3-line block ×4, first 2 shown]
; %bb.762:
	s_cmp_eq_u32 s0, 46
	s_mov_b32 s33, 0
	s_cbranch_scc0 .LBB94_772
; %bb.763:
	s_wait_loadcnt 0x0
	global_load_b32 v1, v[4:5], off
	s_mov_b32 s29, -1
	s_mov_b32 s28, 0
	s_wait_loadcnt 0x0
	v_lshlrev_b32_e32 v1, 16, v1
	s_delay_alu instid0(VALU_DEP_1)
	v_cvt_i32_f32_e32 v6, v1
	s_branch .LBB94_774
.LBB94_764:
	s_mov_b32 s33, 0
	s_mov_b32 s0, s21
	;; [unrolled: 1-line block ×3, first 2 shown]
	s_branch .LBB94_1009
.LBB94_765:
	s_mov_b32 s33, -1
	s_mov_b32 s29, 0
	s_mov_b32 s28, s23
                                        ; implicit-def: $vgpr6
	s_branch .LBB94_835
.LBB94_766:
	s_mov_b32 s33, -1
	s_mov_b32 s29, 0
	s_mov_b32 s28, s23
                                        ; implicit-def: $vgpr6
	s_branch .LBB94_801
.LBB94_767:
	s_mov_b32 s33, -1
	s_mov_b32 s29, 0
	s_mov_b32 s28, s23
                                        ; implicit-def: $vgpr6
	s_branch .LBB94_784
.LBB94_768:
	s_mov_b32 s33, -1
	s_mov_b32 s29, 0
	s_mov_b32 s28, s23
                                        ; implicit-def: $vgpr6
	s_branch .LBB94_779
.LBB94_769:
	s_mov_b32 s33, -1
	s_mov_b32 s29, 0
	s_mov_b32 s28, s23
	s_branch .LBB94_773
.LBB94_770:
	s_and_not1_saveexec_b32 s31, s31
	s_cbranch_execz .LBB94_422
.LBB94_771:
	v_add_f32_e64 v3, 0x42800000, |v2|
	s_and_not1_b32 s30, s30, exec_lo
	s_delay_alu instid0(VALU_DEP_1) | instskip(NEXT) | instid1(VALU_DEP_1)
	v_and_b32_e32 v3, 0xff, v3
	v_cmp_ne_u32_e32 vcc_lo, 0, v3
	s_and_b32 s33, vcc_lo, exec_lo
	s_delay_alu instid0(SALU_CYCLE_1)
	s_or_b32 s30, s30, s33
	s_or_b32 exec_lo, exec_lo, s31
	v_mov_b32_e32 v5, 0
	s_and_saveexec_b32 s31, s30
	s_cbranch_execnz .LBB94_423
	s_branch .LBB94_424
.LBB94_772:
	s_mov_b32 s28, -1
	s_mov_b32 s29, 0
.LBB94_773:
                                        ; implicit-def: $vgpr6
.LBB94_774:
	s_and_b32 vcc_lo, exec_lo, s33
	s_cbranch_vccz .LBB94_778
; %bb.775:
	s_cmp_eq_u32 s0, 44
	s_cbranch_scc0 .LBB94_777
; %bb.776:
	s_wait_loadcnt 0x0
	global_load_u8 v1, v[4:5], off
	s_mov_b32 s28, 0
	s_mov_b32 s29, -1
	s_wait_loadcnt 0x0
	v_lshlrev_b32_e32 v3, 23, v1
	v_cmp_ne_u32_e32 vcc_lo, 0, v1
	s_delay_alu instid0(VALU_DEP_2) | instskip(NEXT) | instid1(VALU_DEP_1)
	v_cvt_i32_f32_e32 v3, v3
	v_cndmask_b32_e32 v6, 0, v3, vcc_lo
	s_branch .LBB94_778
.LBB94_777:
	s_mov_b32 s28, -1
                                        ; implicit-def: $vgpr6
.LBB94_778:
	s_mov_b32 s33, 0
.LBB94_779:
	s_delay_alu instid0(SALU_CYCLE_1)
	s_and_b32 vcc_lo, exec_lo, s33
	s_cbranch_vccz .LBB94_783
; %bb.780:
	s_cmp_eq_u32 s0, 29
	s_cbranch_scc0 .LBB94_782
; %bb.781:
	global_load_b64 v[6:7], v[4:5], off
	s_mov_b32 s29, -1
	s_mov_b32 s28, 0
	s_branch .LBB94_783
.LBB94_782:
	s_mov_b32 s28, -1
                                        ; implicit-def: $vgpr6
.LBB94_783:
	s_mov_b32 s33, 0
.LBB94_784:
	s_delay_alu instid0(SALU_CYCLE_1)
	s_and_b32 vcc_lo, exec_lo, s33
	s_cbranch_vccz .LBB94_800
; %bb.785:
	s_cmp_lt_i32 s0, 27
	s_cbranch_scc1 .LBB94_788
; %bb.786:
	s_cmp_gt_i32 s0, 27
	s_cbranch_scc0 .LBB94_789
; %bb.787:
	s_wait_loadcnt 0x0
	global_load_b32 v6, v[4:5], off
	s_mov_b32 s29, 0
	s_branch .LBB94_790
.LBB94_788:
	s_mov_b32 s29, -1
                                        ; implicit-def: $vgpr6
	s_branch .LBB94_793
.LBB94_789:
	s_mov_b32 s29, -1
                                        ; implicit-def: $vgpr6
.LBB94_790:
	s_delay_alu instid0(SALU_CYCLE_1)
	s_and_not1_b32 vcc_lo, exec_lo, s29
	s_cbranch_vccnz .LBB94_792
; %bb.791:
	s_wait_loadcnt 0x0
	global_load_u16 v6, v[4:5], off
.LBB94_792:
	s_mov_b32 s29, 0
.LBB94_793:
	s_delay_alu instid0(SALU_CYCLE_1)
	s_and_not1_b32 vcc_lo, exec_lo, s29
	s_cbranch_vccnz .LBB94_799
; %bb.794:
	s_wait_loadcnt 0x0
	global_load_u8 v1, v[4:5], off
	s_mov_b32 s33, 0
	s_mov_b32 s29, exec_lo
	s_wait_loadcnt 0x0
	v_cmpx_lt_i16_e32 0x7f, v1
	s_xor_b32 s29, exec_lo, s29
	s_cbranch_execz .LBB94_811
; %bb.795:
	v_cmp_ne_u16_e32 vcc_lo, 0x80, v1
	s_and_b32 s33, vcc_lo, exec_lo
	s_and_not1_saveexec_b32 s29, s29
	s_cbranch_execnz .LBB94_812
.LBB94_796:
	s_or_b32 exec_lo, exec_lo, s29
	v_mov_b32_e32 v6, 0
	s_and_saveexec_b32 s29, s33
	s_cbranch_execz .LBB94_798
.LBB94_797:
	v_and_b32_e32 v3, 0xffff, v1
	s_delay_alu instid0(VALU_DEP_1) | instskip(SKIP_1) | instid1(VALU_DEP_2)
	v_dual_lshlrev_b32 v1, 24, v1 :: v_dual_bitop2_b32 v6, 7, v3 bitop3:0x40
	v_bfe_u32 v9, v3, 3, 4
	v_and_b32_e32 v1, 0x80000000, v1
	s_delay_alu instid0(VALU_DEP_3) | instskip(NEXT) | instid1(VALU_DEP_3)
	v_clz_i32_u32_e32 v7, v6
	v_cmp_eq_u32_e32 vcc_lo, 0, v9
	s_delay_alu instid0(VALU_DEP_2) | instskip(NEXT) | instid1(VALU_DEP_1)
	v_min_u32_e32 v7, 32, v7
	v_subrev_nc_u32_e32 v8, 28, v7
	v_sub_nc_u32_e32 v7, 29, v7
	s_delay_alu instid0(VALU_DEP_2) | instskip(NEXT) | instid1(VALU_DEP_2)
	v_lshlrev_b32_e32 v3, v8, v3
	v_cndmask_b32_e32 v7, v9, v7, vcc_lo
	s_delay_alu instid0(VALU_DEP_2) | instskip(NEXT) | instid1(VALU_DEP_1)
	v_and_b32_e32 v3, 7, v3
	v_cndmask_b32_e32 v3, v6, v3, vcc_lo
	s_delay_alu instid0(VALU_DEP_3) | instskip(NEXT) | instid1(VALU_DEP_2)
	v_lshl_add_u32 v6, v7, 23, 0x3b800000
	v_lshlrev_b32_e32 v3, 20, v3
	s_delay_alu instid0(VALU_DEP_1) | instskip(NEXT) | instid1(VALU_DEP_1)
	v_or3_b32 v1, v1, v6, v3
	v_cvt_i32_f32_e32 v6, v1
.LBB94_798:
	s_or_b32 exec_lo, exec_lo, s29
.LBB94_799:
	s_mov_b32 s29, -1
.LBB94_800:
	s_mov_b32 s33, 0
.LBB94_801:
	s_delay_alu instid0(SALU_CYCLE_1)
	s_and_b32 vcc_lo, exec_lo, s33
	s_cbranch_vccz .LBB94_834
; %bb.802:
	s_cmp_gt_i32 s0, 22
	s_cbranch_scc0 .LBB94_810
; %bb.803:
	s_cmp_lt_i32 s0, 24
	s_cbranch_scc1 .LBB94_813
; %bb.804:
	s_cmp_gt_i32 s0, 24
	s_cbranch_scc0 .LBB94_814
; %bb.805:
	s_wait_loadcnt 0x0
	global_load_u8 v1, v[4:5], off
	s_mov_b32 s33, 0
	s_mov_b32 s29, exec_lo
	s_wait_loadcnt 0x0
	v_cmpx_lt_i16_e32 0x7f, v1
	s_xor_b32 s29, exec_lo, s29
	s_cbranch_execz .LBB94_826
; %bb.806:
	v_cmp_ne_u16_e32 vcc_lo, 0x80, v1
	s_and_b32 s33, vcc_lo, exec_lo
	s_and_not1_saveexec_b32 s29, s29
	s_cbranch_execnz .LBB94_827
.LBB94_807:
	s_or_b32 exec_lo, exec_lo, s29
	v_mov_b32_e32 v6, 0
	s_and_saveexec_b32 s29, s33
	s_cbranch_execz .LBB94_809
.LBB94_808:
	v_and_b32_e32 v3, 0xffff, v1
	s_delay_alu instid0(VALU_DEP_1) | instskip(SKIP_1) | instid1(VALU_DEP_2)
	v_dual_lshlrev_b32 v1, 24, v1 :: v_dual_bitop2_b32 v6, 3, v3 bitop3:0x40
	v_bfe_u32 v9, v3, 2, 5
	v_and_b32_e32 v1, 0x80000000, v1
	s_delay_alu instid0(VALU_DEP_3) | instskip(NEXT) | instid1(VALU_DEP_3)
	v_clz_i32_u32_e32 v7, v6
	v_cmp_eq_u32_e32 vcc_lo, 0, v9
	s_delay_alu instid0(VALU_DEP_2) | instskip(NEXT) | instid1(VALU_DEP_1)
	v_min_u32_e32 v7, 32, v7
	v_subrev_nc_u32_e32 v8, 29, v7
	v_sub_nc_u32_e32 v7, 30, v7
	s_delay_alu instid0(VALU_DEP_2) | instskip(NEXT) | instid1(VALU_DEP_2)
	v_lshlrev_b32_e32 v3, v8, v3
	v_cndmask_b32_e32 v7, v9, v7, vcc_lo
	s_delay_alu instid0(VALU_DEP_2) | instskip(NEXT) | instid1(VALU_DEP_1)
	v_and_b32_e32 v3, 3, v3
	v_cndmask_b32_e32 v3, v6, v3, vcc_lo
	s_delay_alu instid0(VALU_DEP_3) | instskip(NEXT) | instid1(VALU_DEP_2)
	v_lshl_add_u32 v6, v7, 23, 0x37800000
	v_lshlrev_b32_e32 v3, 21, v3
	s_delay_alu instid0(VALU_DEP_1) | instskip(NEXT) | instid1(VALU_DEP_1)
	v_or3_b32 v1, v1, v6, v3
	v_cvt_i32_f32_e32 v6, v1
.LBB94_809:
	s_or_b32 exec_lo, exec_lo, s29
	s_mov_b32 s29, 0
	s_branch .LBB94_815
.LBB94_810:
	s_mov_b32 s33, -1
                                        ; implicit-def: $vgpr6
	s_branch .LBB94_821
.LBB94_811:
	s_and_not1_saveexec_b32 s29, s29
	s_cbranch_execz .LBB94_796
.LBB94_812:
	v_cmp_ne_u16_e32 vcc_lo, 0, v1
	s_and_not1_b32 s33, s33, exec_lo
	s_and_b32 s34, vcc_lo, exec_lo
	s_delay_alu instid0(SALU_CYCLE_1)
	s_or_b32 s33, s33, s34
	s_or_b32 exec_lo, exec_lo, s29
	v_mov_b32_e32 v6, 0
	s_and_saveexec_b32 s29, s33
	s_cbranch_execnz .LBB94_797
	s_branch .LBB94_798
.LBB94_813:
	s_mov_b32 s29, -1
                                        ; implicit-def: $vgpr6
	s_branch .LBB94_818
.LBB94_814:
	s_mov_b32 s29, -1
                                        ; implicit-def: $vgpr6
.LBB94_815:
	s_delay_alu instid0(SALU_CYCLE_1)
	s_and_b32 vcc_lo, exec_lo, s29
	s_cbranch_vccz .LBB94_817
; %bb.816:
	s_wait_loadcnt 0x0
	global_load_u8 v1, v[4:5], off
	s_wait_loadcnt 0x0
	v_lshlrev_b32_e32 v1, 24, v1
	s_delay_alu instid0(VALU_DEP_1) | instskip(NEXT) | instid1(VALU_DEP_1)
	v_and_b32_e32 v3, 0x7f000000, v1
	v_clz_i32_u32_e32 v6, v3
	v_cmp_ne_u32_e32 vcc_lo, 0, v3
	v_add_nc_u32_e32 v8, 0x1000000, v3
	s_delay_alu instid0(VALU_DEP_3) | instskip(NEXT) | instid1(VALU_DEP_1)
	v_min_u32_e32 v6, 32, v6
	v_sub_nc_u32_e64 v6, v6, 4 clamp
	s_delay_alu instid0(VALU_DEP_1) | instskip(NEXT) | instid1(VALU_DEP_1)
	v_dual_lshlrev_b32 v7, v6, v3 :: v_dual_lshlrev_b32 v6, 23, v6
	v_lshrrev_b32_e32 v7, 4, v7
	s_delay_alu instid0(VALU_DEP_1) | instskip(NEXT) | instid1(VALU_DEP_1)
	v_dual_sub_nc_u32 v6, v7, v6 :: v_dual_ashrrev_i32 v7, 8, v8
	v_add_nc_u32_e32 v6, 0x3c000000, v6
	s_delay_alu instid0(VALU_DEP_1) | instskip(NEXT) | instid1(VALU_DEP_1)
	v_and_or_b32 v6, 0x7f800000, v7, v6
	v_cndmask_b32_e32 v3, 0, v6, vcc_lo
	s_delay_alu instid0(VALU_DEP_1) | instskip(NEXT) | instid1(VALU_DEP_1)
	v_and_or_b32 v1, 0x80000000, v1, v3
	v_cvt_i32_f32_e32 v6, v1
.LBB94_817:
	s_mov_b32 s29, 0
.LBB94_818:
	s_delay_alu instid0(SALU_CYCLE_1)
	s_and_not1_b32 vcc_lo, exec_lo, s29
	s_cbranch_vccnz .LBB94_820
; %bb.819:
	s_wait_loadcnt 0x0
	global_load_u8 v1, v[4:5], off
	s_wait_loadcnt 0x0
	v_lshlrev_b32_e32 v3, 25, v1
	v_lshlrev_b16 v1, 8, v1
	s_delay_alu instid0(VALU_DEP_1) | instskip(SKIP_1) | instid1(VALU_DEP_2)
	v_and_or_b32 v7, 0x7f00, v1, 0.5
	v_bfe_i32 v1, v1, 0, 16
	v_add_f32_e32 v7, -0.5, v7
	v_lshrrev_b32_e32 v6, 4, v3
	v_cmp_gt_u32_e32 vcc_lo, 0x8000000, v3
	s_delay_alu instid0(VALU_DEP_2) | instskip(NEXT) | instid1(VALU_DEP_1)
	v_or_b32_e32 v6, 0x70000000, v6
	v_mul_f32_e32 v6, 0x7800000, v6
	s_delay_alu instid0(VALU_DEP_1) | instskip(NEXT) | instid1(VALU_DEP_1)
	v_cndmask_b32_e32 v3, v6, v7, vcc_lo
	v_and_or_b32 v1, 0x80000000, v1, v3
	s_delay_alu instid0(VALU_DEP_1)
	v_cvt_i32_f32_e32 v6, v1
.LBB94_820:
	s_mov_b32 s33, 0
	s_mov_b32 s29, -1
.LBB94_821:
	s_and_not1_b32 vcc_lo, exec_lo, s33
	s_cbranch_vccnz .LBB94_834
; %bb.822:
	s_cmp_gt_i32 s0, 14
	s_cbranch_scc0 .LBB94_825
; %bb.823:
	s_cmp_eq_u32 s0, 15
	s_cbranch_scc0 .LBB94_828
; %bb.824:
	s_wait_loadcnt 0x0
	global_load_u16 v1, v[4:5], off
	s_mov_b32 s29, -1
	s_mov_b32 s28, 0
	s_wait_loadcnt 0x0
	v_lshlrev_b32_e32 v1, 16, v1
	s_delay_alu instid0(VALU_DEP_1)
	v_cvt_i32_f32_e32 v6, v1
	s_branch .LBB94_829
.LBB94_825:
	s_mov_b32 s33, -1
                                        ; implicit-def: $vgpr6
	s_branch .LBB94_830
.LBB94_826:
	s_and_not1_saveexec_b32 s29, s29
	s_cbranch_execz .LBB94_807
.LBB94_827:
	v_cmp_ne_u16_e32 vcc_lo, 0, v1
	s_and_not1_b32 s33, s33, exec_lo
	s_and_b32 s34, vcc_lo, exec_lo
	s_delay_alu instid0(SALU_CYCLE_1)
	s_or_b32 s33, s33, s34
	s_or_b32 exec_lo, exec_lo, s29
	v_mov_b32_e32 v6, 0
	s_and_saveexec_b32 s29, s33
	s_cbranch_execnz .LBB94_808
	s_branch .LBB94_809
.LBB94_828:
	s_mov_b32 s28, -1
                                        ; implicit-def: $vgpr6
.LBB94_829:
	s_mov_b32 s33, 0
.LBB94_830:
	s_delay_alu instid0(SALU_CYCLE_1)
	s_and_b32 vcc_lo, exec_lo, s33
	s_cbranch_vccz .LBB94_834
; %bb.831:
	s_cmp_eq_u32 s0, 11
	s_cbranch_scc0 .LBB94_833
; %bb.832:
	s_wait_loadcnt 0x0
	global_load_u8 v1, v[4:5], off
	s_mov_b32 s28, 0
	s_mov_b32 s29, -1
	s_wait_loadcnt 0x0
	v_cmp_ne_u16_e32 vcc_lo, 0, v1
	v_cndmask_b32_e64 v6, 0, 1, vcc_lo
	s_branch .LBB94_834
.LBB94_833:
	s_mov_b32 s28, -1
                                        ; implicit-def: $vgpr6
.LBB94_834:
	s_mov_b32 s33, 0
.LBB94_835:
	s_delay_alu instid0(SALU_CYCLE_1)
	s_and_b32 vcc_lo, exec_lo, s33
	s_cbranch_vccz .LBB94_884
; %bb.836:
	s_cmp_lt_i32 s0, 5
	s_cbranch_scc1 .LBB94_841
; %bb.837:
	s_cmp_lt_i32 s0, 8
	s_cbranch_scc1 .LBB94_842
	;; [unrolled: 3-line block ×3, first 2 shown]
; %bb.839:
	s_cmp_gt_i32 s0, 9
	s_cbranch_scc0 .LBB94_844
; %bb.840:
	s_wait_loadcnt 0x0
	global_load_b64 v[6:7], v[4:5], off
	s_mov_b32 s29, 0
	s_wait_loadcnt 0x0
	v_cvt_i32_f64_e32 v6, v[6:7]
	s_branch .LBB94_845
.LBB94_841:
	s_mov_b32 s29, -1
                                        ; implicit-def: $vgpr6
	s_branch .LBB94_863
.LBB94_842:
	s_mov_b32 s29, -1
                                        ; implicit-def: $vgpr6
	s_branch .LBB94_851
.LBB94_843:
	s_mov_b32 s29, -1
                                        ; implicit-def: $vgpr6
	s_branch .LBB94_848
.LBB94_844:
	s_mov_b32 s29, -1
                                        ; implicit-def: $vgpr6
.LBB94_845:
	s_delay_alu instid0(SALU_CYCLE_1)
	s_and_not1_b32 vcc_lo, exec_lo, s29
	s_cbranch_vccnz .LBB94_847
; %bb.846:
	s_wait_loadcnt 0x0
	global_load_b32 v1, v[4:5], off
	s_wait_loadcnt 0x0
	v_cvt_i32_f32_e32 v6, v1
.LBB94_847:
	s_mov_b32 s29, 0
.LBB94_848:
	s_delay_alu instid0(SALU_CYCLE_1)
	s_and_not1_b32 vcc_lo, exec_lo, s29
	s_cbranch_vccnz .LBB94_850
; %bb.849:
	s_wait_loadcnt 0x0
	global_load_b32 v1, v[4:5], off
	s_wait_loadcnt 0x0
	v_cvt_i16_f16_e32 v6, v1
.LBB94_850:
	s_mov_b32 s29, 0
.LBB94_851:
	s_delay_alu instid0(SALU_CYCLE_1)
	s_and_not1_b32 vcc_lo, exec_lo, s29
	s_cbranch_vccnz .LBB94_862
; %bb.852:
	s_cmp_lt_i32 s0, 6
	s_cbranch_scc1 .LBB94_855
; %bb.853:
	s_cmp_gt_i32 s0, 6
	s_cbranch_scc0 .LBB94_856
; %bb.854:
	s_wait_loadcnt 0x0
	global_load_b64 v[6:7], v[4:5], off
	s_mov_b32 s29, 0
	s_wait_loadcnt 0x0
	v_cvt_i32_f64_e32 v6, v[6:7]
	s_branch .LBB94_857
.LBB94_855:
	s_mov_b32 s29, -1
                                        ; implicit-def: $vgpr6
	s_branch .LBB94_860
.LBB94_856:
	s_mov_b32 s29, -1
                                        ; implicit-def: $vgpr6
.LBB94_857:
	s_delay_alu instid0(SALU_CYCLE_1)
	s_and_not1_b32 vcc_lo, exec_lo, s29
	s_cbranch_vccnz .LBB94_859
; %bb.858:
	s_wait_loadcnt 0x0
	global_load_b32 v1, v[4:5], off
	s_wait_loadcnt 0x0
	v_cvt_i32_f32_e32 v6, v1
.LBB94_859:
	s_mov_b32 s29, 0
.LBB94_860:
	s_delay_alu instid0(SALU_CYCLE_1)
	s_and_not1_b32 vcc_lo, exec_lo, s29
	s_cbranch_vccnz .LBB94_862
; %bb.861:
	s_wait_loadcnt 0x0
	global_load_u16 v1, v[4:5], off
	s_wait_loadcnt 0x0
	v_cvt_i16_f16_e32 v6, v1
.LBB94_862:
	s_mov_b32 s29, 0
.LBB94_863:
	s_delay_alu instid0(SALU_CYCLE_1)
	s_and_not1_b32 vcc_lo, exec_lo, s29
	s_cbranch_vccnz .LBB94_883
; %bb.864:
	s_cmp_lt_i32 s0, 2
	s_cbranch_scc1 .LBB94_868
; %bb.865:
	s_cmp_lt_i32 s0, 3
	s_cbranch_scc1 .LBB94_869
; %bb.866:
	s_cmp_gt_i32 s0, 3
	s_cbranch_scc0 .LBB94_870
; %bb.867:
	s_wait_loadcnt 0x0
	global_load_b64 v[6:7], v[4:5], off
	s_mov_b32 s29, 0
	s_branch .LBB94_871
.LBB94_868:
	s_mov_b32 s29, -1
                                        ; implicit-def: $vgpr6
	s_branch .LBB94_877
.LBB94_869:
	s_mov_b32 s29, -1
                                        ; implicit-def: $vgpr6
	s_branch .LBB94_874
.LBB94_870:
	s_mov_b32 s29, -1
                                        ; implicit-def: $vgpr6
.LBB94_871:
	s_delay_alu instid0(SALU_CYCLE_1)
	s_and_not1_b32 vcc_lo, exec_lo, s29
	s_cbranch_vccnz .LBB94_873
; %bb.872:
	s_wait_loadcnt 0x0
	global_load_b32 v6, v[4:5], off
.LBB94_873:
	s_mov_b32 s29, 0
.LBB94_874:
	s_delay_alu instid0(SALU_CYCLE_1)
	s_and_not1_b32 vcc_lo, exec_lo, s29
	s_cbranch_vccnz .LBB94_876
; %bb.875:
	s_wait_loadcnt 0x0
	global_load_u16 v6, v[4:5], off
.LBB94_876:
	s_mov_b32 s29, 0
.LBB94_877:
	s_delay_alu instid0(SALU_CYCLE_1)
	s_and_not1_b32 vcc_lo, exec_lo, s29
	s_cbranch_vccnz .LBB94_883
; %bb.878:
	s_cmp_gt_i32 s0, 0
	s_mov_b32 s0, 0
	s_cbranch_scc0 .LBB94_880
; %bb.879:
	s_wait_loadcnt 0x0
	global_load_i8 v6, v[4:5], off
	s_branch .LBB94_881
.LBB94_880:
	s_mov_b32 s0, -1
                                        ; implicit-def: $vgpr6
.LBB94_881:
	s_delay_alu instid0(SALU_CYCLE_1)
	s_and_not1_b32 vcc_lo, exec_lo, s0
	s_cbranch_vccnz .LBB94_883
; %bb.882:
	s_wait_loadcnt 0x0
	global_load_u8 v6, v[4:5], off
.LBB94_883:
	s_mov_b32 s29, -1
.LBB94_884:
	s_delay_alu instid0(SALU_CYCLE_1)
	s_and_not1_b32 vcc_lo, exec_lo, s29
	s_cbranch_vccnz .LBB94_892
; %bb.885:
	s_wait_xcnt 0x0
	v_mul_lo_u32 v4, v26, s12
	s_wait_loadcnt 0x0
	v_mul_lo_u16 v3, v0, s2
	v_mul_lo_u16 v2, v2, s1
	s_and_b32 s29, s3, 0xff
	s_delay_alu instid0(SALU_CYCLE_1) | instskip(NEXT) | instid1(VALU_DEP_3)
	s_cmp_lt_i32 s29, 11
	v_ashrrev_i32_e32 v5, 31, v4
	s_delay_alu instid0(VALU_DEP_1)
	v_add_nc_u64_e32 v[0:1], s[4:5], v[4:5]
	v_mad_u16 v4, v2, v6, v3
	s_cbranch_scc1 .LBB94_893
; %bb.886:
	s_and_b32 s33, 0xffff, s29
	s_delay_alu instid0(SALU_CYCLE_1)
	s_cmp_gt_i32 s33, 25
	s_cbranch_scc0 .LBB94_894
; %bb.887:
	s_cmp_gt_i32 s33, 28
	s_cbranch_scc0 .LBB94_895
; %bb.888:
	;; [unrolled: 3-line block ×4, first 2 shown]
	s_mov_b32 s35, 0
	s_mov_b32 s0, -1
	s_cmp_eq_u32 s33, 46
	s_mov_b32 s34, 0
	s_cbranch_scc0 .LBB94_898
; %bb.891:
	v_bfe_i32 v2, v4, 0, 16
	s_mov_b32 s34, -1
	s_mov_b32 s0, 0
	s_delay_alu instid0(VALU_DEP_1) | instskip(NEXT) | instid1(VALU_DEP_1)
	v_cvt_f32_i32_e32 v2, v2
	v_bfe_u32 v3, v2, 16, 1
	s_delay_alu instid0(VALU_DEP_1) | instskip(NEXT) | instid1(VALU_DEP_1)
	v_add3_u32 v2, v2, v3, 0x7fff
	v_lshrrev_b32_e32 v2, 16, v2
	global_store_b32 v[0:1], v2, off
	s_branch .LBB94_898
.LBB94_892:
	s_mov_b32 s33, 0
	s_mov_b32 s0, s21
	s_branch .LBB94_1009
.LBB94_893:
	s_mov_b32 s33, -1
	s_mov_b32 s34, 0
	s_mov_b32 s0, s21
	s_branch .LBB94_967
.LBB94_894:
	s_mov_b32 s35, -1
	s_mov_b32 s34, 0
	s_mov_b32 s0, s21
	s_branch .LBB94_925
.LBB94_895:
	s_mov_b32 s35, -1
	s_mov_b32 s34, 0
	s_mov_b32 s0, s21
	s_branch .LBB94_908
.LBB94_896:
	s_mov_b32 s35, -1
	s_mov_b32 s34, 0
	s_mov_b32 s0, s21
	s_branch .LBB94_904
.LBB94_897:
	s_mov_b32 s35, -1
	s_mov_b32 s34, 0
	s_mov_b32 s0, s21
.LBB94_898:
	s_and_b32 vcc_lo, exec_lo, s35
	s_cbranch_vccz .LBB94_903
; %bb.899:
	s_cmp_eq_u32 s33, 44
	s_mov_b32 s0, -1
	s_cbranch_scc0 .LBB94_903
; %bb.900:
	s_wait_xcnt 0x0
	v_bfe_i32 v2, v4, 0, 16
	v_mov_b32_e32 v3, 0xff
	s_mov_b32 s34, exec_lo
	s_delay_alu instid0(VALU_DEP_2) | instskip(NEXT) | instid1(VALU_DEP_1)
	v_cvt_f32_i32_e32 v2, v2
	v_bfe_u32 v5, v2, 23, 8
	s_delay_alu instid0(VALU_DEP_1)
	v_cmpx_ne_u32_e32 0xff, v5
	s_cbranch_execz .LBB94_902
; %bb.901:
	v_and_b32_e32 v3, 0x400000, v2
	v_and_or_b32 v5, 0x3fffff, v2, v5
	v_lshrrev_b32_e32 v2, 23, v2
	s_delay_alu instid0(VALU_DEP_3) | instskip(NEXT) | instid1(VALU_DEP_3)
	v_cmp_ne_u32_e32 vcc_lo, 0, v3
	v_cmp_ne_u32_e64 s0, 0, v5
	s_and_b32 s0, vcc_lo, s0
	s_delay_alu instid0(SALU_CYCLE_1) | instskip(NEXT) | instid1(VALU_DEP_1)
	v_cndmask_b32_e64 v3, 0, 1, s0
	v_add_nc_u32_e32 v3, v2, v3
.LBB94_902:
	s_or_b32 exec_lo, exec_lo, s34
	s_mov_b32 s34, -1
	s_mov_b32 s0, 0
	global_store_b8 v[0:1], v3, off
.LBB94_903:
	s_mov_b32 s35, 0
.LBB94_904:
	s_delay_alu instid0(SALU_CYCLE_1)
	s_and_b32 vcc_lo, exec_lo, s35
	s_cbranch_vccz .LBB94_907
; %bb.905:
	s_cmp_eq_u32 s33, 29
	s_mov_b32 s0, -1
	s_cbranch_scc0 .LBB94_907
; %bb.906:
	s_wait_xcnt 0x0
	v_bfe_i32 v2, v4, 0, 16
	s_mov_b32 s0, 0
	s_mov_b32 s34, -1
	s_mov_b32 s35, 0
	s_delay_alu instid0(VALU_DEP_1)
	v_ashrrev_i32_e32 v3, 31, v2
	global_store_b64 v[0:1], v[2:3], off
	s_branch .LBB94_908
.LBB94_907:
	s_mov_b32 s35, 0
.LBB94_908:
	s_delay_alu instid0(SALU_CYCLE_1)
	s_and_b32 vcc_lo, exec_lo, s35
	s_cbranch_vccz .LBB94_924
; %bb.909:
	s_cmp_lt_i32 s33, 27
	s_mov_b32 s34, -1
	s_cbranch_scc1 .LBB94_915
; %bb.910:
	s_cmp_gt_i32 s33, 27
	s_cbranch_scc0 .LBB94_912
; %bb.911:
	s_wait_xcnt 0x0
	v_bfe_i32 v2, v4, 0, 16
	s_mov_b32 s34, 0
	global_store_b32 v[0:1], v2, off
.LBB94_912:
	s_and_not1_b32 vcc_lo, exec_lo, s34
	s_cbranch_vccnz .LBB94_914
; %bb.913:
	global_store_b16 v[0:1], v4, off
.LBB94_914:
	s_mov_b32 s34, 0
.LBB94_915:
	s_delay_alu instid0(SALU_CYCLE_1)
	s_and_not1_b32 vcc_lo, exec_lo, s34
	s_cbranch_vccnz .LBB94_923
; %bb.916:
	s_wait_xcnt 0x0
	v_bfe_i32 v2, v4, 0, 16
	v_mov_b32_e32 v5, 0x80
	s_mov_b32 s34, exec_lo
	s_delay_alu instid0(VALU_DEP_2) | instskip(NEXT) | instid1(VALU_DEP_1)
	v_cvt_f32_i32_e32 v2, v2
	v_and_b32_e32 v3, 0x7fffffff, v2
	s_delay_alu instid0(VALU_DEP_1)
	v_cmpx_gt_u32_e32 0x43800000, v3
	s_cbranch_execz .LBB94_922
; %bb.917:
	v_cmp_lt_u32_e32 vcc_lo, 0x3bffffff, v3
	s_mov_b32 s35, 0
                                        ; implicit-def: $vgpr3
	s_and_saveexec_b32 s36, vcc_lo
	s_delay_alu instid0(SALU_CYCLE_1)
	s_xor_b32 s36, exec_lo, s36
	s_cbranch_execz .LBB94_1151
; %bb.918:
	v_bfe_u32 v3, v2, 20, 1
	s_mov_b32 s35, exec_lo
	s_delay_alu instid0(VALU_DEP_1) | instskip(NEXT) | instid1(VALU_DEP_1)
	v_add3_u32 v3, v2, v3, 0x487ffff
	v_lshrrev_b32_e32 v3, 20, v3
	s_and_not1_saveexec_b32 s36, s36
	s_cbranch_execnz .LBB94_1152
.LBB94_919:
	s_or_b32 exec_lo, exec_lo, s36
	v_mov_b32_e32 v5, 0
	s_and_saveexec_b32 s36, s35
.LBB94_920:
	v_lshrrev_b32_e32 v2, 24, v2
	s_delay_alu instid0(VALU_DEP_1)
	v_and_or_b32 v5, 0x80, v2, v3
.LBB94_921:
	s_or_b32 exec_lo, exec_lo, s36
.LBB94_922:
	s_delay_alu instid0(SALU_CYCLE_1)
	s_or_b32 exec_lo, exec_lo, s34
	global_store_b8 v[0:1], v5, off
.LBB94_923:
	s_mov_b32 s34, -1
.LBB94_924:
	s_mov_b32 s35, 0
.LBB94_925:
	s_delay_alu instid0(SALU_CYCLE_1)
	s_and_b32 vcc_lo, exec_lo, s35
	s_cbranch_vccz .LBB94_966
; %bb.926:
	s_cmp_gt_i32 s33, 22
	s_mov_b32 s35, -1
	s_cbranch_scc0 .LBB94_958
; %bb.927:
	s_cmp_lt_i32 s33, 24
	s_mov_b32 s34, -1
	s_cbranch_scc1 .LBB94_947
; %bb.928:
	s_cmp_gt_i32 s33, 24
	s_cbranch_scc0 .LBB94_936
; %bb.929:
	s_wait_xcnt 0x0
	v_bfe_i32 v2, v4, 0, 16
	v_mov_b32_e32 v5, 0x80
	s_mov_b32 s34, exec_lo
	s_delay_alu instid0(VALU_DEP_2) | instskip(NEXT) | instid1(VALU_DEP_1)
	v_cvt_f32_i32_e32 v2, v2
	v_and_b32_e32 v3, 0x7fffffff, v2
	s_delay_alu instid0(VALU_DEP_1)
	v_cmpx_gt_u32_e32 0x47800000, v3
	s_cbranch_execz .LBB94_935
; %bb.930:
	v_cmp_lt_u32_e32 vcc_lo, 0x37ffffff, v3
	s_mov_b32 s35, 0
                                        ; implicit-def: $vgpr3
	s_and_saveexec_b32 s36, vcc_lo
	s_delay_alu instid0(SALU_CYCLE_1)
	s_xor_b32 s36, exec_lo, s36
	s_cbranch_execz .LBB94_1279
; %bb.931:
	v_bfe_u32 v3, v2, 21, 1
	s_mov_b32 s35, exec_lo
	s_delay_alu instid0(VALU_DEP_1) | instskip(NEXT) | instid1(VALU_DEP_1)
	v_add3_u32 v3, v2, v3, 0x88fffff
	v_lshrrev_b32_e32 v3, 21, v3
	s_and_not1_saveexec_b32 s36, s36
	s_cbranch_execnz .LBB94_1280
.LBB94_932:
	s_or_b32 exec_lo, exec_lo, s36
	v_mov_b32_e32 v5, 0
	s_and_saveexec_b32 s36, s35
.LBB94_933:
	v_lshrrev_b32_e32 v2, 24, v2
	s_delay_alu instid0(VALU_DEP_1)
	v_and_or_b32 v5, 0x80, v2, v3
.LBB94_934:
	s_or_b32 exec_lo, exec_lo, s36
.LBB94_935:
	s_delay_alu instid0(SALU_CYCLE_1)
	s_or_b32 exec_lo, exec_lo, s34
	s_mov_b32 s34, 0
	global_store_b8 v[0:1], v5, off
.LBB94_936:
	s_and_b32 vcc_lo, exec_lo, s34
	s_cbranch_vccz .LBB94_946
; %bb.937:
	s_wait_xcnt 0x0
	v_bfe_i32 v2, v4, 0, 16
	s_mov_b32 s34, exec_lo
                                        ; implicit-def: $vgpr3
	s_delay_alu instid0(VALU_DEP_1) | instskip(NEXT) | instid1(VALU_DEP_1)
	v_cvt_f32_i32_e32 v2, v2
	v_and_b32_e32 v5, 0x7fffffff, v2
	s_delay_alu instid0(VALU_DEP_1)
	v_cmpx_gt_u32_e32 0x43f00000, v5
	s_xor_b32 s34, exec_lo, s34
	s_cbranch_execz .LBB94_943
; %bb.938:
	s_mov_b32 s35, exec_lo
                                        ; implicit-def: $vgpr3
	v_cmpx_lt_u32_e32 0x3c7fffff, v5
	s_xor_b32 s35, exec_lo, s35
; %bb.939:
	v_bfe_u32 v3, v2, 20, 1
	s_delay_alu instid0(VALU_DEP_1) | instskip(NEXT) | instid1(VALU_DEP_1)
	v_add3_u32 v3, v2, v3, 0x407ffff
	v_and_b32_e32 v5, 0xff00000, v3
	v_lshrrev_b32_e32 v3, 20, v3
	s_delay_alu instid0(VALU_DEP_2) | instskip(NEXT) | instid1(VALU_DEP_2)
	v_cmp_ne_u32_e32 vcc_lo, 0x7f00000, v5
	v_cndmask_b32_e32 v3, 0x7e, v3, vcc_lo
; %bb.940:
	s_and_not1_saveexec_b32 s35, s35
; %bb.941:
	v_add_f32_e64 v3, 0x46800000, |v2|
; %bb.942:
	s_or_b32 exec_lo, exec_lo, s35
                                        ; implicit-def: $vgpr5
.LBB94_943:
	s_and_not1_saveexec_b32 s34, s34
; %bb.944:
	v_mov_b32_e32 v3, 0x7f
	v_cmp_lt_u32_e32 vcc_lo, 0x7f800000, v5
	s_delay_alu instid0(VALU_DEP_2)
	v_cndmask_b32_e32 v3, 0x7e, v3, vcc_lo
; %bb.945:
	s_or_b32 exec_lo, exec_lo, s34
	v_lshrrev_b32_e32 v2, 24, v2
	s_delay_alu instid0(VALU_DEP_1)
	v_and_or_b32 v2, 0x80, v2, v3
	global_store_b8 v[0:1], v2, off
.LBB94_946:
	s_mov_b32 s34, 0
.LBB94_947:
	s_delay_alu instid0(SALU_CYCLE_1)
	s_and_not1_b32 vcc_lo, exec_lo, s34
	s_cbranch_vccnz .LBB94_957
; %bb.948:
	s_wait_xcnt 0x0
	v_bfe_i32 v2, v4, 0, 16
	s_mov_b32 s34, exec_lo
                                        ; implicit-def: $vgpr3
	s_delay_alu instid0(VALU_DEP_1) | instskip(NEXT) | instid1(VALU_DEP_1)
	v_cvt_f32_i32_e32 v2, v2
	v_and_b32_e32 v5, 0x7fffffff, v2
	s_delay_alu instid0(VALU_DEP_1)
	v_cmpx_gt_u32_e32 0x47800000, v5
	s_xor_b32 s34, exec_lo, s34
	s_cbranch_execz .LBB94_954
; %bb.949:
	s_mov_b32 s35, exec_lo
                                        ; implicit-def: $vgpr3
	v_cmpx_lt_u32_e32 0x387fffff, v5
	s_xor_b32 s35, exec_lo, s35
; %bb.950:
	v_bfe_u32 v3, v2, 21, 1
	s_delay_alu instid0(VALU_DEP_1) | instskip(NEXT) | instid1(VALU_DEP_1)
	v_add3_u32 v3, v2, v3, 0x80fffff
	v_lshrrev_b32_e32 v3, 21, v3
; %bb.951:
	s_and_not1_saveexec_b32 s35, s35
; %bb.952:
	v_add_f32_e64 v3, 0x43000000, |v2|
; %bb.953:
	s_or_b32 exec_lo, exec_lo, s35
                                        ; implicit-def: $vgpr5
.LBB94_954:
	s_and_not1_saveexec_b32 s34, s34
; %bb.955:
	v_mov_b32_e32 v3, 0x7f
	v_cmp_lt_u32_e32 vcc_lo, 0x7f800000, v5
	s_delay_alu instid0(VALU_DEP_2)
	v_cndmask_b32_e32 v3, 0x7c, v3, vcc_lo
; %bb.956:
	s_or_b32 exec_lo, exec_lo, s34
	v_lshrrev_b32_e32 v2, 24, v2
	s_delay_alu instid0(VALU_DEP_1)
	v_and_or_b32 v2, 0x80, v2, v3
	global_store_b8 v[0:1], v2, off
.LBB94_957:
	s_mov_b32 s35, 0
	s_mov_b32 s34, -1
.LBB94_958:
	s_and_not1_b32 vcc_lo, exec_lo, s35
	s_cbranch_vccnz .LBB94_966
; %bb.959:
	s_cmp_gt_i32 s33, 14
	s_mov_b32 s35, -1
	s_cbranch_scc0 .LBB94_963
; %bb.960:
	s_cmp_eq_u32 s33, 15
	s_mov_b32 s0, -1
	s_cbranch_scc0 .LBB94_962
; %bb.961:
	s_wait_xcnt 0x0
	v_bfe_i32 v2, v4, 0, 16
	s_mov_b32 s34, -1
	s_mov_b32 s0, 0
	s_delay_alu instid0(VALU_DEP_1) | instskip(NEXT) | instid1(VALU_DEP_1)
	v_cvt_f32_i32_e32 v2, v2
	v_bfe_u32 v3, v2, 16, 1
	s_delay_alu instid0(VALU_DEP_1)
	v_add3_u32 v2, v2, v3, 0x7fff
	global_store_d16_hi_b16 v[0:1], v2, off
.LBB94_962:
	s_mov_b32 s35, 0
.LBB94_963:
	s_delay_alu instid0(SALU_CYCLE_1)
	s_and_b32 vcc_lo, exec_lo, s35
	s_cbranch_vccz .LBB94_966
; %bb.964:
	s_cmp_eq_u32 s33, 11
	s_mov_b32 s0, -1
	s_cbranch_scc0 .LBB94_966
; %bb.965:
	v_cmp_ne_u16_e32 vcc_lo, 0, v4
	s_mov_b32 s0, 0
	s_mov_b32 s34, -1
	s_wait_xcnt 0x0
	v_cndmask_b32_e64 v2, 0, 1, vcc_lo
	global_store_b8 v[0:1], v2, off
.LBB94_966:
	s_mov_b32 s33, 0
.LBB94_967:
	s_delay_alu instid0(SALU_CYCLE_1)
	s_and_b32 vcc_lo, exec_lo, s33
	s_cbranch_vccz .LBB94_1006
; %bb.968:
	s_and_b32 s29, 0xffff, s29
	s_mov_b32 s33, -1
	s_cmp_lt_i32 s29, 5
	s_cbranch_scc1 .LBB94_989
; %bb.969:
	s_cmp_lt_i32 s29, 8
	s_cbranch_scc1 .LBB94_979
; %bb.970:
	;; [unrolled: 3-line block ×3, first 2 shown]
	s_cmp_gt_i32 s29, 9
	s_cbranch_scc0 .LBB94_973
; %bb.972:
	s_wait_xcnt 0x0
	v_bfe_i32 v2, v4, 0, 16
	v_mov_b32_e32 v8, 0
	s_mov_b32 s33, 0
	s_delay_alu instid0(VALU_DEP_2) | instskip(NEXT) | instid1(VALU_DEP_2)
	v_cvt_f64_i32_e32 v[6:7], v2
	v_mov_b32_e32 v9, v8
	global_store_b128 v[0:1], v[6:9], off
.LBB94_973:
	s_and_not1_b32 vcc_lo, exec_lo, s33
	s_cbranch_vccnz .LBB94_975
; %bb.974:
	s_wait_xcnt 0x0
	v_bfe_i32 v2, v4, 0, 16
	v_mov_b32_e32 v3, 0
	s_delay_alu instid0(VALU_DEP_2)
	v_cvt_f32_i32_e32 v2, v2
	global_store_b64 v[0:1], v[2:3], off
.LBB94_975:
	s_mov_b32 s33, 0
.LBB94_976:
	s_delay_alu instid0(SALU_CYCLE_1)
	s_and_not1_b32 vcc_lo, exec_lo, s33
	s_cbranch_vccnz .LBB94_978
; %bb.977:
	s_wait_xcnt 0x0
	v_cvt_f16_i16_e32 v2, v4
	s_delay_alu instid0(VALU_DEP_1)
	v_and_b32_e32 v2, 0xffff, v2
	global_store_b32 v[0:1], v2, off
.LBB94_978:
	s_mov_b32 s33, 0
.LBB94_979:
	s_delay_alu instid0(SALU_CYCLE_1)
	s_and_not1_b32 vcc_lo, exec_lo, s33
	s_cbranch_vccnz .LBB94_988
; %bb.980:
	s_cmp_lt_i32 s29, 6
	s_mov_b32 s33, -1
	s_cbranch_scc1 .LBB94_986
; %bb.981:
	s_cmp_gt_i32 s29, 6
	s_cbranch_scc0 .LBB94_983
; %bb.982:
	s_wait_xcnt 0x0
	v_bfe_i32 v2, v4, 0, 16
	s_mov_b32 s33, 0
	s_delay_alu instid0(VALU_DEP_1)
	v_cvt_f64_i32_e32 v[2:3], v2
	global_store_b64 v[0:1], v[2:3], off
.LBB94_983:
	s_and_not1_b32 vcc_lo, exec_lo, s33
	s_cbranch_vccnz .LBB94_985
; %bb.984:
	s_wait_xcnt 0x0
	v_bfe_i32 v2, v4, 0, 16
	s_delay_alu instid0(VALU_DEP_1)
	v_cvt_f32_i32_e32 v2, v2
	global_store_b32 v[0:1], v2, off
.LBB94_985:
	s_mov_b32 s33, 0
.LBB94_986:
	s_delay_alu instid0(SALU_CYCLE_1)
	s_and_not1_b32 vcc_lo, exec_lo, s33
	s_cbranch_vccnz .LBB94_988
; %bb.987:
	s_wait_xcnt 0x0
	v_cvt_f16_i16_e32 v2, v4
	global_store_b16 v[0:1], v2, off
.LBB94_988:
	s_mov_b32 s33, 0
.LBB94_989:
	s_delay_alu instid0(SALU_CYCLE_1)
	s_and_not1_b32 vcc_lo, exec_lo, s33
	s_cbranch_vccnz .LBB94_1005
; %bb.990:
	s_cmp_lt_i32 s29, 2
	s_mov_b32 s33, -1
	s_cbranch_scc1 .LBB94_1000
; %bb.991:
	s_cmp_lt_i32 s29, 3
	s_cbranch_scc1 .LBB94_997
; %bb.992:
	s_wait_xcnt 0x0
	v_bfe_i32 v2, v4, 0, 16
	s_cmp_gt_i32 s29, 3
	s_cbranch_scc0 .LBB94_994
; %bb.993:
	s_delay_alu instid0(VALU_DEP_1)
	v_ashrrev_i32_e32 v3, 31, v2
	s_mov_b32 s33, 0
	global_store_b64 v[0:1], v[2:3], off
.LBB94_994:
	s_and_not1_b32 vcc_lo, exec_lo, s33
	s_cbranch_vccnz .LBB94_996
; %bb.995:
	global_store_b32 v[0:1], v2, off
.LBB94_996:
	s_mov_b32 s33, 0
.LBB94_997:
	s_delay_alu instid0(SALU_CYCLE_1)
	s_and_not1_b32 vcc_lo, exec_lo, s33
	s_cbranch_vccnz .LBB94_999
; %bb.998:
	global_store_b16 v[0:1], v4, off
.LBB94_999:
	s_mov_b32 s33, 0
.LBB94_1000:
	s_delay_alu instid0(SALU_CYCLE_1)
	s_and_not1_b32 vcc_lo, exec_lo, s33
	s_cbranch_vccnz .LBB94_1005
; %bb.1001:
	s_cmp_gt_i32 s29, 0
	s_mov_b32 s29, -1
	s_cbranch_scc0 .LBB94_1003
; %bb.1002:
	s_mov_b32 s29, 0
	global_store_b8 v[0:1], v4, off
.LBB94_1003:
	s_and_not1_b32 vcc_lo, exec_lo, s29
	s_cbranch_vccnz .LBB94_1005
; %bb.1004:
	global_store_b8 v[0:1], v4, off
.LBB94_1005:
	s_mov_b32 s34, -1
.LBB94_1006:
	s_delay_alu instid0(SALU_CYCLE_1)
	s_and_not1_b32 vcc_lo, exec_lo, s34
	s_cbranch_vccnz .LBB94_1008
; %bb.1007:
	v_add_nc_u32_e32 v26, 0x80, v26
	s_mov_b32 s33, -1
	s_branch .LBB94_1010
.LBB94_1008:
	s_mov_b32 s33, 0
.LBB94_1009:
                                        ; implicit-def: $vgpr26
.LBB94_1010:
	s_and_not1_b32 s29, s21, exec_lo
	s_and_b32 s0, s0, exec_lo
	s_and_not1_b32 s34, s23, exec_lo
	s_and_b32 s35, s28, exec_lo
	s_or_b32 s28, s29, s0
	s_or_b32 s29, s34, s35
	s_and_not1_b32 s0, s24, exec_lo
	s_and_b32 s30, s30, exec_lo
	s_and_not1_b32 s34, s25, exec_lo
	s_and_b32 s27, s27, exec_lo
	s_or_b32 s30, s0, s30
	s_or_b32 s27, s34, s27
	s_or_not1_b32 s34, s33, exec_lo
.LBB94_1011:
	s_wait_xcnt 0x0
	s_or_b32 exec_lo, exec_lo, s31
	s_mov_b32 s33, 0
	s_mov_b32 s35, 0
	;; [unrolled: 1-line block ×3, first 2 shown]
                                        ; implicit-def: $sgpr0
                                        ; implicit-def: $vgpr2_vgpr3
                                        ; implicit-def: $vgpr0
	s_and_saveexec_b32 s31, s34
	s_cbranch_execz .LBB94_1598
; %bb.1012:
	s_mov_b32 s41, -1
	s_mov_b32 s34, s27
	s_mov_b32 s35, s30
	;; [unrolled: 1-line block ×4, first 2 shown]
	s_mov_b32 s33, exec_lo
	v_cmpx_gt_i32_e64 s22, v26
	s_cbranch_execz .LBB94_1520
; %bb.1013:
	s_wait_loadcnt 0x0
	v_mul_lo_u32 v0, v26, s13
	s_and_b32 s0, s19, 0xff
	s_delay_alu instid0(SALU_CYCLE_1) | instskip(NEXT) | instid1(VALU_DEP_1)
	s_cmp_lt_i32 s0, 11
	v_ashrrev_i32_e32 v1, 31, v0
	s_delay_alu instid0(VALU_DEP_1)
	v_add_nc_u64_e32 v[2:3], s[6:7], v[0:1]
	s_cbranch_scc1 .LBB94_1020
; %bb.1014:
	s_and_b32 s35, 0xffff, s0
	s_delay_alu instid0(SALU_CYCLE_1)
	s_cmp_gt_i32 s35, 25
	s_cbranch_scc0 .LBB94_1021
; %bb.1015:
	s_cmp_gt_i32 s35, 28
	s_cbranch_scc0 .LBB94_1022
; %bb.1016:
	;; [unrolled: 3-line block ×4, first 2 shown]
	s_cmp_eq_u32 s35, 46
	s_mov_b32 s37, 0
	s_cbranch_scc0 .LBB94_1025
; %bb.1019:
	global_load_b32 v0, v[2:3], off
	s_mov_b32 s36, -1
	s_mov_b32 s34, 0
	s_wait_loadcnt 0x0
	v_lshlrev_b32_e32 v0, 16, v0
	s_delay_alu instid0(VALU_DEP_1)
	v_cvt_i32_f32_e32 v0, v0
	s_branch .LBB94_1027
.LBB94_1020:
	s_mov_b32 s35, -1
	s_mov_b32 s36, 0
	s_mov_b32 s34, s27
                                        ; implicit-def: $vgpr0
	s_branch .LBB94_1088
.LBB94_1021:
	s_mov_b32 s37, -1
	s_mov_b32 s36, 0
	s_mov_b32 s34, s27
                                        ; implicit-def: $vgpr0
	s_branch .LBB94_1054
.LBB94_1022:
	s_mov_b32 s37, -1
	s_mov_b32 s36, 0
	s_mov_b32 s34, s27
                                        ; implicit-def: $vgpr0
	s_branch .LBB94_1037
.LBB94_1023:
	s_mov_b32 s37, -1
	s_mov_b32 s36, 0
	s_mov_b32 s34, s27
                                        ; implicit-def: $vgpr0
	s_branch .LBB94_1032
.LBB94_1024:
	s_mov_b32 s37, -1
	s_mov_b32 s36, 0
	s_mov_b32 s34, s27
	s_branch .LBB94_1026
.LBB94_1025:
	s_mov_b32 s34, -1
	s_mov_b32 s36, 0
.LBB94_1026:
                                        ; implicit-def: $vgpr0
.LBB94_1027:
	s_and_b32 vcc_lo, exec_lo, s37
	s_cbranch_vccz .LBB94_1031
; %bb.1028:
	s_cmp_eq_u32 s35, 44
	s_cbranch_scc0 .LBB94_1030
; %bb.1029:
	global_load_u8 v0, v[2:3], off
	s_mov_b32 s34, 0
	s_mov_b32 s36, -1
	s_wait_loadcnt 0x0
	v_lshlrev_b32_e32 v1, 23, v0
	v_cmp_ne_u32_e32 vcc_lo, 0, v0
	s_delay_alu instid0(VALU_DEP_2) | instskip(NEXT) | instid1(VALU_DEP_1)
	v_cvt_i32_f32_e32 v1, v1
	v_cndmask_b32_e32 v0, 0, v1, vcc_lo
	s_branch .LBB94_1031
.LBB94_1030:
	s_mov_b32 s34, -1
                                        ; implicit-def: $vgpr0
.LBB94_1031:
	s_mov_b32 s37, 0
.LBB94_1032:
	s_delay_alu instid0(SALU_CYCLE_1)
	s_and_b32 vcc_lo, exec_lo, s37
	s_cbranch_vccz .LBB94_1036
; %bb.1033:
	s_cmp_eq_u32 s35, 29
	s_cbranch_scc0 .LBB94_1035
; %bb.1034:
	global_load_b64 v[0:1], v[2:3], off
	s_mov_b32 s36, -1
	s_mov_b32 s34, 0
	s_branch .LBB94_1036
.LBB94_1035:
	s_mov_b32 s34, -1
                                        ; implicit-def: $vgpr0
.LBB94_1036:
	s_mov_b32 s37, 0
.LBB94_1037:
	s_delay_alu instid0(SALU_CYCLE_1)
	s_and_b32 vcc_lo, exec_lo, s37
	s_cbranch_vccz .LBB94_1053
; %bb.1038:
	s_cmp_lt_i32 s35, 27
	s_cbranch_scc1 .LBB94_1041
; %bb.1039:
	s_cmp_gt_i32 s35, 27
	s_cbranch_scc0 .LBB94_1042
; %bb.1040:
	s_wait_loadcnt 0x0
	global_load_b32 v0, v[2:3], off
	s_mov_b32 s36, 0
	s_branch .LBB94_1043
.LBB94_1041:
	s_mov_b32 s36, -1
                                        ; implicit-def: $vgpr0
	s_branch .LBB94_1046
.LBB94_1042:
	s_mov_b32 s36, -1
                                        ; implicit-def: $vgpr0
.LBB94_1043:
	s_delay_alu instid0(SALU_CYCLE_1)
	s_and_not1_b32 vcc_lo, exec_lo, s36
	s_cbranch_vccnz .LBB94_1045
; %bb.1044:
	s_wait_loadcnt 0x0
	global_load_u16 v0, v[2:3], off
.LBB94_1045:
	s_mov_b32 s36, 0
.LBB94_1046:
	s_delay_alu instid0(SALU_CYCLE_1)
	s_and_not1_b32 vcc_lo, exec_lo, s36
	s_cbranch_vccnz .LBB94_1052
; %bb.1047:
	s_wait_loadcnt 0x0
	global_load_u8 v1, v[2:3], off
	s_mov_b32 s37, 0
	s_mov_b32 s36, exec_lo
	s_wait_loadcnt 0x0
	v_cmpx_lt_i16_e32 0x7f, v1
	s_xor_b32 s36, exec_lo, s36
	s_cbranch_execz .LBB94_1064
; %bb.1048:
	v_cmp_ne_u16_e32 vcc_lo, 0x80, v1
	s_and_b32 s37, vcc_lo, exec_lo
	s_and_not1_saveexec_b32 s36, s36
	s_cbranch_execnz .LBB94_1065
.LBB94_1049:
	s_or_b32 exec_lo, exec_lo, s36
	v_mov_b32_e32 v0, 0
	s_and_saveexec_b32 s36, s37
	s_cbranch_execz .LBB94_1051
.LBB94_1050:
	v_and_b32_e32 v0, 0xffff, v1
	s_delay_alu instid0(VALU_DEP_1) | instskip(SKIP_1) | instid1(VALU_DEP_2)
	v_and_b32_e32 v4, 7, v0
	v_bfe_u32 v7, v0, 3, 4
	v_clz_i32_u32_e32 v5, v4
	s_delay_alu instid0(VALU_DEP_2) | instskip(NEXT) | instid1(VALU_DEP_2)
	v_cmp_eq_u32_e32 vcc_lo, 0, v7
	v_min_u32_e32 v5, 32, v5
	s_delay_alu instid0(VALU_DEP_1) | instskip(NEXT) | instid1(VALU_DEP_1)
	v_subrev_nc_u32_e32 v6, 28, v5
	v_dual_lshlrev_b32 v0, v6, v0 :: v_dual_sub_nc_u32 v5, 29, v5
	s_delay_alu instid0(VALU_DEP_1) | instskip(NEXT) | instid1(VALU_DEP_1)
	v_dual_lshlrev_b32 v1, 24, v1 :: v_dual_bitop2_b32 v0, 7, v0 bitop3:0x40
	v_dual_cndmask_b32 v0, v4, v0 :: v_dual_cndmask_b32 v5, v7, v5
	s_delay_alu instid0(VALU_DEP_2) | instskip(NEXT) | instid1(VALU_DEP_2)
	v_and_b32_e32 v1, 0x80000000, v1
	v_lshlrev_b32_e32 v0, 20, v0
	s_delay_alu instid0(VALU_DEP_3) | instskip(NEXT) | instid1(VALU_DEP_1)
	v_lshl_add_u32 v4, v5, 23, 0x3b800000
	v_or3_b32 v0, v1, v4, v0
	s_delay_alu instid0(VALU_DEP_1)
	v_cvt_i32_f32_e32 v0, v0
.LBB94_1051:
	s_or_b32 exec_lo, exec_lo, s36
.LBB94_1052:
	s_mov_b32 s36, -1
.LBB94_1053:
	s_mov_b32 s37, 0
.LBB94_1054:
	s_delay_alu instid0(SALU_CYCLE_1)
	s_and_b32 vcc_lo, exec_lo, s37
	s_cbranch_vccz .LBB94_1087
; %bb.1055:
	s_cmp_gt_i32 s35, 22
	s_cbranch_scc0 .LBB94_1063
; %bb.1056:
	s_cmp_lt_i32 s35, 24
	s_cbranch_scc1 .LBB94_1066
; %bb.1057:
	s_cmp_gt_i32 s35, 24
	s_cbranch_scc0 .LBB94_1067
; %bb.1058:
	s_wait_loadcnt 0x0
	global_load_u8 v1, v[2:3], off
	s_mov_b32 s37, 0
	s_mov_b32 s36, exec_lo
	s_wait_loadcnt 0x0
	v_cmpx_lt_i16_e32 0x7f, v1
	s_xor_b32 s36, exec_lo, s36
	s_cbranch_execz .LBB94_1079
; %bb.1059:
	v_cmp_ne_u16_e32 vcc_lo, 0x80, v1
	s_and_b32 s37, vcc_lo, exec_lo
	s_and_not1_saveexec_b32 s36, s36
	s_cbranch_execnz .LBB94_1080
.LBB94_1060:
	s_or_b32 exec_lo, exec_lo, s36
	v_mov_b32_e32 v0, 0
	s_and_saveexec_b32 s36, s37
	s_cbranch_execz .LBB94_1062
.LBB94_1061:
	v_and_b32_e32 v0, 0xffff, v1
	s_delay_alu instid0(VALU_DEP_1) | instskip(SKIP_1) | instid1(VALU_DEP_2)
	v_and_b32_e32 v4, 3, v0
	v_bfe_u32 v7, v0, 2, 5
	v_clz_i32_u32_e32 v5, v4
	s_delay_alu instid0(VALU_DEP_2) | instskip(NEXT) | instid1(VALU_DEP_2)
	v_cmp_eq_u32_e32 vcc_lo, 0, v7
	v_min_u32_e32 v5, 32, v5
	s_delay_alu instid0(VALU_DEP_1) | instskip(NEXT) | instid1(VALU_DEP_1)
	v_subrev_nc_u32_e32 v6, 29, v5
	v_dual_lshlrev_b32 v0, v6, v0 :: v_dual_sub_nc_u32 v5, 30, v5
	s_delay_alu instid0(VALU_DEP_1) | instskip(NEXT) | instid1(VALU_DEP_1)
	v_dual_lshlrev_b32 v1, 24, v1 :: v_dual_bitop2_b32 v0, 3, v0 bitop3:0x40
	v_dual_cndmask_b32 v0, v4, v0 :: v_dual_cndmask_b32 v5, v7, v5
	s_delay_alu instid0(VALU_DEP_2) | instskip(NEXT) | instid1(VALU_DEP_2)
	v_and_b32_e32 v1, 0x80000000, v1
	v_lshlrev_b32_e32 v0, 21, v0
	s_delay_alu instid0(VALU_DEP_3) | instskip(NEXT) | instid1(VALU_DEP_1)
	v_lshl_add_u32 v4, v5, 23, 0x37800000
	v_or3_b32 v0, v1, v4, v0
	s_delay_alu instid0(VALU_DEP_1)
	v_cvt_i32_f32_e32 v0, v0
.LBB94_1062:
	s_or_b32 exec_lo, exec_lo, s36
	s_mov_b32 s36, 0
	s_branch .LBB94_1068
.LBB94_1063:
	s_mov_b32 s37, -1
                                        ; implicit-def: $vgpr0
	s_branch .LBB94_1074
.LBB94_1064:
	s_and_not1_saveexec_b32 s36, s36
	s_cbranch_execz .LBB94_1049
.LBB94_1065:
	v_cmp_ne_u16_e32 vcc_lo, 0, v1
	s_and_not1_b32 s37, s37, exec_lo
	s_and_b32 s38, vcc_lo, exec_lo
	s_delay_alu instid0(SALU_CYCLE_1)
	s_or_b32 s37, s37, s38
	s_or_b32 exec_lo, exec_lo, s36
	v_mov_b32_e32 v0, 0
	s_and_saveexec_b32 s36, s37
	s_cbranch_execnz .LBB94_1050
	s_branch .LBB94_1051
.LBB94_1066:
	s_mov_b32 s36, -1
                                        ; implicit-def: $vgpr0
	s_branch .LBB94_1071
.LBB94_1067:
	s_mov_b32 s36, -1
                                        ; implicit-def: $vgpr0
.LBB94_1068:
	s_delay_alu instid0(SALU_CYCLE_1)
	s_and_b32 vcc_lo, exec_lo, s36
	s_cbranch_vccz .LBB94_1070
; %bb.1069:
	s_wait_loadcnt 0x0
	global_load_u8 v0, v[2:3], off
	s_wait_loadcnt 0x0
	v_lshlrev_b32_e32 v0, 24, v0
	s_delay_alu instid0(VALU_DEP_1) | instskip(NEXT) | instid1(VALU_DEP_1)
	v_and_b32_e32 v1, 0x7f000000, v0
	v_clz_i32_u32_e32 v4, v1
	v_cmp_ne_u32_e32 vcc_lo, 0, v1
	v_add_nc_u32_e32 v6, 0x1000000, v1
	s_delay_alu instid0(VALU_DEP_3) | instskip(NEXT) | instid1(VALU_DEP_1)
	v_min_u32_e32 v4, 32, v4
	v_sub_nc_u32_e64 v4, v4, 4 clamp
	s_delay_alu instid0(VALU_DEP_1) | instskip(NEXT) | instid1(VALU_DEP_1)
	v_dual_lshlrev_b32 v5, v4, v1 :: v_dual_lshlrev_b32 v4, 23, v4
	v_lshrrev_b32_e32 v5, 4, v5
	s_delay_alu instid0(VALU_DEP_1) | instskip(NEXT) | instid1(VALU_DEP_1)
	v_dual_sub_nc_u32 v4, v5, v4 :: v_dual_ashrrev_i32 v5, 8, v6
	v_add_nc_u32_e32 v4, 0x3c000000, v4
	s_delay_alu instid0(VALU_DEP_1) | instskip(NEXT) | instid1(VALU_DEP_1)
	v_and_or_b32 v4, 0x7f800000, v5, v4
	v_cndmask_b32_e32 v1, 0, v4, vcc_lo
	s_delay_alu instid0(VALU_DEP_1) | instskip(NEXT) | instid1(VALU_DEP_1)
	v_and_or_b32 v0, 0x80000000, v0, v1
	v_cvt_i32_f32_e32 v0, v0
.LBB94_1070:
	s_mov_b32 s36, 0
.LBB94_1071:
	s_delay_alu instid0(SALU_CYCLE_1)
	s_and_not1_b32 vcc_lo, exec_lo, s36
	s_cbranch_vccnz .LBB94_1073
; %bb.1072:
	s_wait_loadcnt 0x0
	global_load_u8 v0, v[2:3], off
	s_wait_loadcnt 0x0
	v_lshlrev_b32_e32 v1, 25, v0
	v_lshlrev_b16 v0, 8, v0
	s_delay_alu instid0(VALU_DEP_1) | instskip(SKIP_1) | instid1(VALU_DEP_2)
	v_and_or_b32 v5, 0x7f00, v0, 0.5
	v_bfe_i32 v0, v0, 0, 16
	v_add_f32_e32 v5, -0.5, v5
	v_lshrrev_b32_e32 v4, 4, v1
	v_cmp_gt_u32_e32 vcc_lo, 0x8000000, v1
	s_delay_alu instid0(VALU_DEP_2) | instskip(NEXT) | instid1(VALU_DEP_1)
	v_or_b32_e32 v4, 0x70000000, v4
	v_mul_f32_e32 v4, 0x7800000, v4
	s_delay_alu instid0(VALU_DEP_1) | instskip(NEXT) | instid1(VALU_DEP_1)
	v_cndmask_b32_e32 v1, v4, v5, vcc_lo
	v_and_or_b32 v0, 0x80000000, v0, v1
	s_delay_alu instid0(VALU_DEP_1)
	v_cvt_i32_f32_e32 v0, v0
.LBB94_1073:
	s_mov_b32 s37, 0
	s_mov_b32 s36, -1
.LBB94_1074:
	s_and_not1_b32 vcc_lo, exec_lo, s37
	s_cbranch_vccnz .LBB94_1087
; %bb.1075:
	s_cmp_gt_i32 s35, 14
	s_cbranch_scc0 .LBB94_1078
; %bb.1076:
	s_cmp_eq_u32 s35, 15
	s_cbranch_scc0 .LBB94_1081
; %bb.1077:
	s_wait_loadcnt 0x0
	global_load_u16 v0, v[2:3], off
	s_mov_b32 s36, -1
	s_mov_b32 s34, 0
	s_wait_loadcnt 0x0
	v_lshlrev_b32_e32 v0, 16, v0
	s_delay_alu instid0(VALU_DEP_1)
	v_cvt_i32_f32_e32 v0, v0
	s_branch .LBB94_1082
.LBB94_1078:
	s_mov_b32 s37, -1
                                        ; implicit-def: $vgpr0
	s_branch .LBB94_1083
.LBB94_1079:
	s_and_not1_saveexec_b32 s36, s36
	s_cbranch_execz .LBB94_1060
.LBB94_1080:
	v_cmp_ne_u16_e32 vcc_lo, 0, v1
	s_and_not1_b32 s37, s37, exec_lo
	s_and_b32 s38, vcc_lo, exec_lo
	s_delay_alu instid0(SALU_CYCLE_1)
	s_or_b32 s37, s37, s38
	s_or_b32 exec_lo, exec_lo, s36
	v_mov_b32_e32 v0, 0
	s_and_saveexec_b32 s36, s37
	s_cbranch_execnz .LBB94_1061
	s_branch .LBB94_1062
.LBB94_1081:
	s_mov_b32 s34, -1
                                        ; implicit-def: $vgpr0
.LBB94_1082:
	s_mov_b32 s37, 0
.LBB94_1083:
	s_delay_alu instid0(SALU_CYCLE_1)
	s_and_b32 vcc_lo, exec_lo, s37
	s_cbranch_vccz .LBB94_1087
; %bb.1084:
	s_cmp_eq_u32 s35, 11
	s_cbranch_scc0 .LBB94_1086
; %bb.1085:
	s_wait_loadcnt 0x0
	global_load_u8 v0, v[2:3], off
	s_mov_b32 s34, 0
	s_mov_b32 s36, -1
	s_wait_loadcnt 0x0
	v_cmp_ne_u16_e32 vcc_lo, 0, v0
	v_cndmask_b32_e64 v0, 0, 1, vcc_lo
	s_branch .LBB94_1087
.LBB94_1086:
	s_mov_b32 s34, -1
                                        ; implicit-def: $vgpr0
.LBB94_1087:
	s_mov_b32 s35, 0
.LBB94_1088:
	s_delay_alu instid0(SALU_CYCLE_1)
	s_and_b32 vcc_lo, exec_lo, s35
	s_cbranch_vccz .LBB94_1137
; %bb.1089:
	s_and_b32 s0, 0xffff, s0
	s_delay_alu instid0(SALU_CYCLE_1)
	s_cmp_lt_i32 s0, 5
	s_cbranch_scc1 .LBB94_1094
; %bb.1090:
	s_cmp_lt_i32 s0, 8
	s_cbranch_scc1 .LBB94_1095
; %bb.1091:
	;; [unrolled: 3-line block ×3, first 2 shown]
	s_cmp_gt_i32 s0, 9
	s_cbranch_scc0 .LBB94_1097
; %bb.1093:
	s_wait_loadcnt 0x0
	global_load_b64 v[0:1], v[2:3], off
	s_mov_b32 s35, 0
	s_wait_loadcnt 0x0
	v_cvt_i32_f64_e32 v0, v[0:1]
	s_branch .LBB94_1098
.LBB94_1094:
	s_mov_b32 s35, -1
                                        ; implicit-def: $vgpr0
	s_branch .LBB94_1116
.LBB94_1095:
	s_mov_b32 s35, -1
                                        ; implicit-def: $vgpr0
	s_branch .LBB94_1104
.LBB94_1096:
	s_mov_b32 s35, -1
                                        ; implicit-def: $vgpr0
	s_branch .LBB94_1101
.LBB94_1097:
	s_mov_b32 s35, -1
                                        ; implicit-def: $vgpr0
.LBB94_1098:
	s_delay_alu instid0(SALU_CYCLE_1)
	s_and_not1_b32 vcc_lo, exec_lo, s35
	s_cbranch_vccnz .LBB94_1100
; %bb.1099:
	s_wait_loadcnt 0x0
	global_load_b32 v0, v[2:3], off
	s_wait_loadcnt 0x0
	v_cvt_i32_f32_e32 v0, v0
.LBB94_1100:
	s_mov_b32 s35, 0
.LBB94_1101:
	s_delay_alu instid0(SALU_CYCLE_1)
	s_and_not1_b32 vcc_lo, exec_lo, s35
	s_cbranch_vccnz .LBB94_1103
; %bb.1102:
	s_wait_loadcnt 0x0
	global_load_b32 v0, v[2:3], off
	s_wait_loadcnt 0x0
	v_cvt_i16_f16_e32 v0, v0
.LBB94_1103:
	s_mov_b32 s35, 0
.LBB94_1104:
	s_delay_alu instid0(SALU_CYCLE_1)
	s_and_not1_b32 vcc_lo, exec_lo, s35
	s_cbranch_vccnz .LBB94_1115
; %bb.1105:
	s_cmp_lt_i32 s0, 6
	s_cbranch_scc1 .LBB94_1108
; %bb.1106:
	s_cmp_gt_i32 s0, 6
	s_cbranch_scc0 .LBB94_1109
; %bb.1107:
	s_wait_loadcnt 0x0
	global_load_b64 v[0:1], v[2:3], off
	s_mov_b32 s35, 0
	s_wait_loadcnt 0x0
	v_cvt_i32_f64_e32 v0, v[0:1]
	s_branch .LBB94_1110
.LBB94_1108:
	s_mov_b32 s35, -1
                                        ; implicit-def: $vgpr0
	s_branch .LBB94_1113
.LBB94_1109:
	s_mov_b32 s35, -1
                                        ; implicit-def: $vgpr0
.LBB94_1110:
	s_delay_alu instid0(SALU_CYCLE_1)
	s_and_not1_b32 vcc_lo, exec_lo, s35
	s_cbranch_vccnz .LBB94_1112
; %bb.1111:
	s_wait_loadcnt 0x0
	global_load_b32 v0, v[2:3], off
	s_wait_loadcnt 0x0
	v_cvt_i32_f32_e32 v0, v0
.LBB94_1112:
	s_mov_b32 s35, 0
.LBB94_1113:
	s_delay_alu instid0(SALU_CYCLE_1)
	s_and_not1_b32 vcc_lo, exec_lo, s35
	s_cbranch_vccnz .LBB94_1115
; %bb.1114:
	s_wait_loadcnt 0x0
	global_load_u16 v0, v[2:3], off
	s_wait_loadcnt 0x0
	v_cvt_i16_f16_e32 v0, v0
.LBB94_1115:
	s_mov_b32 s35, 0
.LBB94_1116:
	s_delay_alu instid0(SALU_CYCLE_1)
	s_and_not1_b32 vcc_lo, exec_lo, s35
	s_cbranch_vccnz .LBB94_1136
; %bb.1117:
	s_cmp_lt_i32 s0, 2
	s_cbranch_scc1 .LBB94_1121
; %bb.1118:
	s_cmp_lt_i32 s0, 3
	s_cbranch_scc1 .LBB94_1122
; %bb.1119:
	s_cmp_gt_i32 s0, 3
	s_cbranch_scc0 .LBB94_1123
; %bb.1120:
	s_wait_loadcnt 0x0
	global_load_b64 v[0:1], v[2:3], off
	s_mov_b32 s35, 0
	s_branch .LBB94_1124
.LBB94_1121:
	s_mov_b32 s35, -1
                                        ; implicit-def: $vgpr0
	s_branch .LBB94_1130
.LBB94_1122:
	s_mov_b32 s35, -1
                                        ; implicit-def: $vgpr0
	s_branch .LBB94_1127
.LBB94_1123:
	s_mov_b32 s35, -1
                                        ; implicit-def: $vgpr0
.LBB94_1124:
	s_delay_alu instid0(SALU_CYCLE_1)
	s_and_not1_b32 vcc_lo, exec_lo, s35
	s_cbranch_vccnz .LBB94_1126
; %bb.1125:
	s_wait_loadcnt 0x0
	global_load_b32 v0, v[2:3], off
.LBB94_1126:
	s_mov_b32 s35, 0
.LBB94_1127:
	s_delay_alu instid0(SALU_CYCLE_1)
	s_and_not1_b32 vcc_lo, exec_lo, s35
	s_cbranch_vccnz .LBB94_1129
; %bb.1128:
	s_wait_loadcnt 0x0
	global_load_u16 v0, v[2:3], off
.LBB94_1129:
	s_mov_b32 s35, 0
.LBB94_1130:
	s_delay_alu instid0(SALU_CYCLE_1)
	s_and_not1_b32 vcc_lo, exec_lo, s35
	s_cbranch_vccnz .LBB94_1136
; %bb.1131:
	s_cmp_gt_i32 s0, 0
	s_mov_b32 s0, 0
	s_cbranch_scc0 .LBB94_1133
; %bb.1132:
	s_wait_loadcnt 0x0
	global_load_i8 v0, v[2:3], off
	s_branch .LBB94_1134
.LBB94_1133:
	s_mov_b32 s0, -1
                                        ; implicit-def: $vgpr0
.LBB94_1134:
	s_delay_alu instid0(SALU_CYCLE_1)
	s_and_not1_b32 vcc_lo, exec_lo, s0
	s_cbranch_vccnz .LBB94_1136
; %bb.1135:
	s_wait_loadcnt 0x0
	global_load_u8 v0, v[2:3], off
.LBB94_1136:
	s_mov_b32 s36, -1
.LBB94_1137:
	s_delay_alu instid0(SALU_CYCLE_1)
	s_and_not1_b32 vcc_lo, exec_lo, s36
	s_cbranch_vccnz .LBB94_1145
; %bb.1138:
	s_wait_xcnt 0x0
	v_mul_lo_u32 v2, v26, s14
	s_and_b32 s0, s17, 0xff
	s_delay_alu instid0(SALU_CYCLE_1) | instskip(NEXT) | instid1(VALU_DEP_1)
	s_cmp_lt_i32 s0, 11
	v_ashrrev_i32_e32 v3, 31, v2
	s_delay_alu instid0(VALU_DEP_1)
	v_add_nc_u64_e32 v[4:5], s[8:9], v[2:3]
	s_cbranch_scc1 .LBB94_1146
; %bb.1139:
	s_and_b32 s36, 0xffff, s0
	s_delay_alu instid0(SALU_CYCLE_1)
	s_cmp_gt_i32 s36, 25
	s_cbranch_scc0 .LBB94_1147
; %bb.1140:
	s_cmp_gt_i32 s36, 28
	s_cbranch_scc0 .LBB94_1148
; %bb.1141:
	;; [unrolled: 3-line block ×4, first 2 shown]
	s_cmp_eq_u32 s36, 46
	s_mov_b32 s38, 0
	s_cbranch_scc0 .LBB94_1153
; %bb.1144:
	s_wait_loadcnt 0x0
	global_load_b32 v1, v[4:5], off
	s_mov_b32 s37, -1
	s_mov_b32 s35, 0
	s_wait_loadcnt 0x0
	v_lshlrev_b32_e32 v1, 16, v1
	s_delay_alu instid0(VALU_DEP_1)
	v_cvt_i32_f32_e32 v2, v1
	s_branch .LBB94_1155
.LBB94_1145:
	s_mov_b32 s38, 0
	s_mov_b32 s0, s28
	;; [unrolled: 1-line block ×4, first 2 shown]
	s_branch .LBB94_1518
.LBB94_1146:
	s_mov_b32 s36, -1
	s_mov_b32 s37, 0
	s_mov_b32 s35, s30
                                        ; implicit-def: $vgpr2
	s_branch .LBB94_1216
.LBB94_1147:
	s_mov_b32 s38, -1
	s_mov_b32 s37, 0
	s_mov_b32 s35, s30
                                        ; implicit-def: $vgpr2
	s_branch .LBB94_1182
.LBB94_1148:
	s_mov_b32 s38, -1
	s_mov_b32 s37, 0
	s_mov_b32 s35, s30
                                        ; implicit-def: $vgpr2
	s_branch .LBB94_1165
.LBB94_1149:
	s_mov_b32 s38, -1
	s_mov_b32 s37, 0
	s_mov_b32 s35, s30
                                        ; implicit-def: $vgpr2
	s_branch .LBB94_1160
.LBB94_1150:
	s_mov_b32 s38, -1
	s_mov_b32 s37, 0
	s_mov_b32 s35, s30
	s_branch .LBB94_1154
.LBB94_1151:
	s_and_not1_saveexec_b32 s36, s36
	s_cbranch_execz .LBB94_919
.LBB94_1152:
	v_add_f32_e64 v3, 0x46000000, |v2|
	s_and_not1_b32 s35, s35, exec_lo
	s_delay_alu instid0(VALU_DEP_1) | instskip(NEXT) | instid1(VALU_DEP_1)
	v_and_b32_e32 v3, 0xff, v3
	v_cmp_ne_u32_e32 vcc_lo, 0, v3
	s_and_b32 s37, vcc_lo, exec_lo
	s_delay_alu instid0(SALU_CYCLE_1)
	s_or_b32 s35, s35, s37
	s_or_b32 exec_lo, exec_lo, s36
	v_mov_b32_e32 v5, 0
	s_and_saveexec_b32 s36, s35
	s_cbranch_execnz .LBB94_920
	s_branch .LBB94_921
.LBB94_1153:
	s_mov_b32 s35, -1
	s_mov_b32 s37, 0
.LBB94_1154:
                                        ; implicit-def: $vgpr2
.LBB94_1155:
	s_and_b32 vcc_lo, exec_lo, s38
	s_cbranch_vccz .LBB94_1159
; %bb.1156:
	s_cmp_eq_u32 s36, 44
	s_cbranch_scc0 .LBB94_1158
; %bb.1157:
	s_wait_loadcnt 0x0
	global_load_u8 v1, v[4:5], off
	s_mov_b32 s35, 0
	s_mov_b32 s37, -1
	s_wait_loadcnt 0x0
	v_lshlrev_b32_e32 v2, 23, v1
	v_cmp_ne_u32_e32 vcc_lo, 0, v1
	s_delay_alu instid0(VALU_DEP_2) | instskip(NEXT) | instid1(VALU_DEP_1)
	v_cvt_i32_f32_e32 v2, v2
	v_cndmask_b32_e32 v2, 0, v2, vcc_lo
	s_branch .LBB94_1159
.LBB94_1158:
	s_mov_b32 s35, -1
                                        ; implicit-def: $vgpr2
.LBB94_1159:
	s_mov_b32 s38, 0
.LBB94_1160:
	s_delay_alu instid0(SALU_CYCLE_1)
	s_and_b32 vcc_lo, exec_lo, s38
	s_cbranch_vccz .LBB94_1164
; %bb.1161:
	s_cmp_eq_u32 s36, 29
	s_cbranch_scc0 .LBB94_1163
; %bb.1162:
	global_load_b64 v[2:3], v[4:5], off
	s_mov_b32 s37, -1
	s_mov_b32 s35, 0
	s_branch .LBB94_1164
.LBB94_1163:
	s_mov_b32 s35, -1
                                        ; implicit-def: $vgpr2
.LBB94_1164:
	s_mov_b32 s38, 0
.LBB94_1165:
	s_delay_alu instid0(SALU_CYCLE_1)
	s_and_b32 vcc_lo, exec_lo, s38
	s_cbranch_vccz .LBB94_1181
; %bb.1166:
	s_cmp_lt_i32 s36, 27
	s_cbranch_scc1 .LBB94_1169
; %bb.1167:
	s_cmp_gt_i32 s36, 27
	s_cbranch_scc0 .LBB94_1170
; %bb.1168:
	s_wait_loadcnt 0x0
	global_load_b32 v2, v[4:5], off
	s_mov_b32 s37, 0
	s_branch .LBB94_1171
.LBB94_1169:
	s_mov_b32 s37, -1
                                        ; implicit-def: $vgpr2
	s_branch .LBB94_1174
.LBB94_1170:
	s_mov_b32 s37, -1
                                        ; implicit-def: $vgpr2
.LBB94_1171:
	s_delay_alu instid0(SALU_CYCLE_1)
	s_and_not1_b32 vcc_lo, exec_lo, s37
	s_cbranch_vccnz .LBB94_1173
; %bb.1172:
	s_wait_loadcnt 0x0
	global_load_u16 v2, v[4:5], off
.LBB94_1173:
	s_mov_b32 s37, 0
.LBB94_1174:
	s_delay_alu instid0(SALU_CYCLE_1)
	s_and_not1_b32 vcc_lo, exec_lo, s37
	s_cbranch_vccnz .LBB94_1180
; %bb.1175:
	s_wait_loadcnt 0x0
	global_load_u8 v1, v[4:5], off
	s_mov_b32 s38, 0
	s_mov_b32 s37, exec_lo
	s_wait_loadcnt 0x0
	v_cmpx_lt_i16_e32 0x7f, v1
	s_xor_b32 s37, exec_lo, s37
	s_cbranch_execz .LBB94_1192
; %bb.1176:
	v_cmp_ne_u16_e32 vcc_lo, 0x80, v1
	s_and_b32 s38, vcc_lo, exec_lo
	s_and_not1_saveexec_b32 s37, s37
	s_cbranch_execnz .LBB94_1193
.LBB94_1177:
	s_or_b32 exec_lo, exec_lo, s37
	v_mov_b32_e32 v2, 0
	s_and_saveexec_b32 s37, s38
	s_cbranch_execz .LBB94_1179
.LBB94_1178:
	v_and_b32_e32 v2, 0xffff, v1
	s_delay_alu instid0(VALU_DEP_1) | instskip(SKIP_1) | instid1(VALU_DEP_2)
	v_dual_lshlrev_b32 v1, 24, v1 :: v_dual_bitop2_b32 v3, 7, v2 bitop3:0x40
	v_bfe_u32 v8, v2, 3, 4
	v_and_b32_e32 v1, 0x80000000, v1
	s_delay_alu instid0(VALU_DEP_3) | instskip(NEXT) | instid1(VALU_DEP_3)
	v_clz_i32_u32_e32 v6, v3
	v_cmp_eq_u32_e32 vcc_lo, 0, v8
	s_delay_alu instid0(VALU_DEP_2) | instskip(NEXT) | instid1(VALU_DEP_1)
	v_min_u32_e32 v6, 32, v6
	v_subrev_nc_u32_e32 v7, 28, v6
	v_sub_nc_u32_e32 v6, 29, v6
	s_delay_alu instid0(VALU_DEP_2) | instskip(NEXT) | instid1(VALU_DEP_2)
	v_lshlrev_b32_e32 v2, v7, v2
	v_cndmask_b32_e32 v6, v8, v6, vcc_lo
	s_delay_alu instid0(VALU_DEP_2) | instskip(NEXT) | instid1(VALU_DEP_1)
	v_and_b32_e32 v2, 7, v2
	v_cndmask_b32_e32 v2, v3, v2, vcc_lo
	s_delay_alu instid0(VALU_DEP_3) | instskip(NEXT) | instid1(VALU_DEP_2)
	v_lshl_add_u32 v3, v6, 23, 0x3b800000
	v_lshlrev_b32_e32 v2, 20, v2
	s_delay_alu instid0(VALU_DEP_1) | instskip(NEXT) | instid1(VALU_DEP_1)
	v_or3_b32 v1, v1, v3, v2
	v_cvt_i32_f32_e32 v2, v1
.LBB94_1179:
	s_or_b32 exec_lo, exec_lo, s37
.LBB94_1180:
	s_mov_b32 s37, -1
.LBB94_1181:
	s_mov_b32 s38, 0
.LBB94_1182:
	s_delay_alu instid0(SALU_CYCLE_1)
	s_and_b32 vcc_lo, exec_lo, s38
	s_cbranch_vccz .LBB94_1215
; %bb.1183:
	s_cmp_gt_i32 s36, 22
	s_cbranch_scc0 .LBB94_1191
; %bb.1184:
	s_cmp_lt_i32 s36, 24
	s_cbranch_scc1 .LBB94_1194
; %bb.1185:
	s_cmp_gt_i32 s36, 24
	s_cbranch_scc0 .LBB94_1195
; %bb.1186:
	s_wait_loadcnt 0x0
	global_load_u8 v1, v[4:5], off
	s_mov_b32 s38, 0
	s_mov_b32 s37, exec_lo
	s_wait_loadcnt 0x0
	v_cmpx_lt_i16_e32 0x7f, v1
	s_xor_b32 s37, exec_lo, s37
	s_cbranch_execz .LBB94_1207
; %bb.1187:
	v_cmp_ne_u16_e32 vcc_lo, 0x80, v1
	s_and_b32 s38, vcc_lo, exec_lo
	s_and_not1_saveexec_b32 s37, s37
	s_cbranch_execnz .LBB94_1208
.LBB94_1188:
	s_or_b32 exec_lo, exec_lo, s37
	v_mov_b32_e32 v2, 0
	s_and_saveexec_b32 s37, s38
	s_cbranch_execz .LBB94_1190
.LBB94_1189:
	v_and_b32_e32 v2, 0xffff, v1
	s_delay_alu instid0(VALU_DEP_1) | instskip(SKIP_1) | instid1(VALU_DEP_2)
	v_dual_lshlrev_b32 v1, 24, v1 :: v_dual_bitop2_b32 v3, 3, v2 bitop3:0x40
	v_bfe_u32 v8, v2, 2, 5
	v_and_b32_e32 v1, 0x80000000, v1
	s_delay_alu instid0(VALU_DEP_3) | instskip(NEXT) | instid1(VALU_DEP_3)
	v_clz_i32_u32_e32 v6, v3
	v_cmp_eq_u32_e32 vcc_lo, 0, v8
	s_delay_alu instid0(VALU_DEP_2) | instskip(NEXT) | instid1(VALU_DEP_1)
	v_min_u32_e32 v6, 32, v6
	v_subrev_nc_u32_e32 v7, 29, v6
	v_sub_nc_u32_e32 v6, 30, v6
	s_delay_alu instid0(VALU_DEP_2) | instskip(NEXT) | instid1(VALU_DEP_2)
	v_lshlrev_b32_e32 v2, v7, v2
	v_cndmask_b32_e32 v6, v8, v6, vcc_lo
	s_delay_alu instid0(VALU_DEP_2) | instskip(NEXT) | instid1(VALU_DEP_1)
	v_and_b32_e32 v2, 3, v2
	v_cndmask_b32_e32 v2, v3, v2, vcc_lo
	s_delay_alu instid0(VALU_DEP_3) | instskip(NEXT) | instid1(VALU_DEP_2)
	v_lshl_add_u32 v3, v6, 23, 0x37800000
	v_lshlrev_b32_e32 v2, 21, v2
	s_delay_alu instid0(VALU_DEP_1) | instskip(NEXT) | instid1(VALU_DEP_1)
	v_or3_b32 v1, v1, v3, v2
	v_cvt_i32_f32_e32 v2, v1
.LBB94_1190:
	s_or_b32 exec_lo, exec_lo, s37
	s_mov_b32 s37, 0
	s_branch .LBB94_1196
.LBB94_1191:
	s_mov_b32 s38, -1
                                        ; implicit-def: $vgpr2
	s_branch .LBB94_1202
.LBB94_1192:
	s_and_not1_saveexec_b32 s37, s37
	s_cbranch_execz .LBB94_1177
.LBB94_1193:
	v_cmp_ne_u16_e32 vcc_lo, 0, v1
	s_and_not1_b32 s38, s38, exec_lo
	s_and_b32 s39, vcc_lo, exec_lo
	s_delay_alu instid0(SALU_CYCLE_1)
	s_or_b32 s38, s38, s39
	s_or_b32 exec_lo, exec_lo, s37
	v_mov_b32_e32 v2, 0
	s_and_saveexec_b32 s37, s38
	s_cbranch_execnz .LBB94_1178
	s_branch .LBB94_1179
.LBB94_1194:
	s_mov_b32 s37, -1
                                        ; implicit-def: $vgpr2
	s_branch .LBB94_1199
.LBB94_1195:
	s_mov_b32 s37, -1
                                        ; implicit-def: $vgpr2
.LBB94_1196:
	s_delay_alu instid0(SALU_CYCLE_1)
	s_and_b32 vcc_lo, exec_lo, s37
	s_cbranch_vccz .LBB94_1198
; %bb.1197:
	s_wait_loadcnt 0x0
	global_load_u8 v1, v[4:5], off
	s_wait_loadcnt 0x0
	v_lshlrev_b32_e32 v1, 24, v1
	s_delay_alu instid0(VALU_DEP_1) | instskip(NEXT) | instid1(VALU_DEP_1)
	v_and_b32_e32 v2, 0x7f000000, v1
	v_clz_i32_u32_e32 v3, v2
	v_cmp_ne_u32_e32 vcc_lo, 0, v2
	v_add_nc_u32_e32 v7, 0x1000000, v2
	s_delay_alu instid0(VALU_DEP_3) | instskip(NEXT) | instid1(VALU_DEP_1)
	v_min_u32_e32 v3, 32, v3
	v_sub_nc_u32_e64 v3, v3, 4 clamp
	s_delay_alu instid0(VALU_DEP_1) | instskip(NEXT) | instid1(VALU_DEP_1)
	v_dual_lshlrev_b32 v6, v3, v2 :: v_dual_lshlrev_b32 v3, 23, v3
	v_lshrrev_b32_e32 v6, 4, v6
	s_delay_alu instid0(VALU_DEP_1) | instskip(SKIP_1) | instid1(VALU_DEP_2)
	v_sub_nc_u32_e32 v3, v6, v3
	v_ashrrev_i32_e32 v6, 8, v7
	v_add_nc_u32_e32 v3, 0x3c000000, v3
	s_delay_alu instid0(VALU_DEP_1) | instskip(NEXT) | instid1(VALU_DEP_1)
	v_and_or_b32 v3, 0x7f800000, v6, v3
	v_cndmask_b32_e32 v2, 0, v3, vcc_lo
	s_delay_alu instid0(VALU_DEP_1) | instskip(NEXT) | instid1(VALU_DEP_1)
	v_and_or_b32 v1, 0x80000000, v1, v2
	v_cvt_i32_f32_e32 v2, v1
.LBB94_1198:
	s_mov_b32 s37, 0
.LBB94_1199:
	s_delay_alu instid0(SALU_CYCLE_1)
	s_and_not1_b32 vcc_lo, exec_lo, s37
	s_cbranch_vccnz .LBB94_1201
; %bb.1200:
	s_wait_loadcnt 0x0
	global_load_u8 v1, v[4:5], off
	s_wait_loadcnt 0x0
	v_lshlrev_b32_e32 v2, 25, v1
	v_lshlrev_b16 v1, 8, v1
	s_delay_alu instid0(VALU_DEP_1) | instskip(SKIP_1) | instid1(VALU_DEP_2)
	v_and_or_b32 v6, 0x7f00, v1, 0.5
	v_bfe_i32 v1, v1, 0, 16
	v_add_f32_e32 v6, -0.5, v6
	v_lshrrev_b32_e32 v3, 4, v2
	v_cmp_gt_u32_e32 vcc_lo, 0x8000000, v2
	s_delay_alu instid0(VALU_DEP_2) | instskip(NEXT) | instid1(VALU_DEP_1)
	v_or_b32_e32 v3, 0x70000000, v3
	v_mul_f32_e32 v3, 0x7800000, v3
	s_delay_alu instid0(VALU_DEP_1) | instskip(NEXT) | instid1(VALU_DEP_1)
	v_cndmask_b32_e32 v2, v3, v6, vcc_lo
	v_and_or_b32 v1, 0x80000000, v1, v2
	s_delay_alu instid0(VALU_DEP_1)
	v_cvt_i32_f32_e32 v2, v1
.LBB94_1201:
	s_mov_b32 s38, 0
	s_mov_b32 s37, -1
.LBB94_1202:
	s_and_not1_b32 vcc_lo, exec_lo, s38
	s_cbranch_vccnz .LBB94_1215
; %bb.1203:
	s_cmp_gt_i32 s36, 14
	s_cbranch_scc0 .LBB94_1206
; %bb.1204:
	s_cmp_eq_u32 s36, 15
	s_cbranch_scc0 .LBB94_1209
; %bb.1205:
	s_wait_loadcnt 0x0
	global_load_u16 v1, v[4:5], off
	s_mov_b32 s37, -1
	s_mov_b32 s35, 0
	s_wait_loadcnt 0x0
	v_lshlrev_b32_e32 v1, 16, v1
	s_delay_alu instid0(VALU_DEP_1)
	v_cvt_i32_f32_e32 v2, v1
	s_branch .LBB94_1210
.LBB94_1206:
	s_mov_b32 s38, -1
                                        ; implicit-def: $vgpr2
	s_branch .LBB94_1211
.LBB94_1207:
	s_and_not1_saveexec_b32 s37, s37
	s_cbranch_execz .LBB94_1188
.LBB94_1208:
	v_cmp_ne_u16_e32 vcc_lo, 0, v1
	s_and_not1_b32 s38, s38, exec_lo
	s_and_b32 s39, vcc_lo, exec_lo
	s_delay_alu instid0(SALU_CYCLE_1)
	s_or_b32 s38, s38, s39
	s_or_b32 exec_lo, exec_lo, s37
	v_mov_b32_e32 v2, 0
	s_and_saveexec_b32 s37, s38
	s_cbranch_execnz .LBB94_1189
	s_branch .LBB94_1190
.LBB94_1209:
	s_mov_b32 s35, -1
                                        ; implicit-def: $vgpr2
.LBB94_1210:
	s_mov_b32 s38, 0
.LBB94_1211:
	s_delay_alu instid0(SALU_CYCLE_1)
	s_and_b32 vcc_lo, exec_lo, s38
	s_cbranch_vccz .LBB94_1215
; %bb.1212:
	s_cmp_eq_u32 s36, 11
	s_cbranch_scc0 .LBB94_1214
; %bb.1213:
	s_wait_loadcnt 0x0
	global_load_u8 v1, v[4:5], off
	s_mov_b32 s35, 0
	s_mov_b32 s37, -1
	s_wait_loadcnt 0x0
	v_cmp_ne_u16_e32 vcc_lo, 0, v1
	v_cndmask_b32_e64 v2, 0, 1, vcc_lo
	s_branch .LBB94_1215
.LBB94_1214:
	s_mov_b32 s35, -1
                                        ; implicit-def: $vgpr2
.LBB94_1215:
	s_mov_b32 s36, 0
.LBB94_1216:
	s_delay_alu instid0(SALU_CYCLE_1)
	s_and_b32 vcc_lo, exec_lo, s36
	s_cbranch_vccz .LBB94_1265
; %bb.1217:
	s_and_b32 s0, 0xffff, s0
	s_delay_alu instid0(SALU_CYCLE_1)
	s_cmp_lt_i32 s0, 5
	s_cbranch_scc1 .LBB94_1222
; %bb.1218:
	s_cmp_lt_i32 s0, 8
	s_cbranch_scc1 .LBB94_1223
; %bb.1219:
	;; [unrolled: 3-line block ×3, first 2 shown]
	s_cmp_gt_i32 s0, 9
	s_cbranch_scc0 .LBB94_1225
; %bb.1221:
	s_wait_loadcnt 0x0
	global_load_b64 v[2:3], v[4:5], off
	s_mov_b32 s36, 0
	s_wait_loadcnt 0x0
	v_cvt_i32_f64_e32 v2, v[2:3]
	s_branch .LBB94_1226
.LBB94_1222:
	s_mov_b32 s36, -1
                                        ; implicit-def: $vgpr2
	s_branch .LBB94_1244
.LBB94_1223:
	s_mov_b32 s36, -1
                                        ; implicit-def: $vgpr2
	s_branch .LBB94_1232
.LBB94_1224:
	s_mov_b32 s36, -1
                                        ; implicit-def: $vgpr2
	s_branch .LBB94_1229
.LBB94_1225:
	s_mov_b32 s36, -1
                                        ; implicit-def: $vgpr2
.LBB94_1226:
	s_delay_alu instid0(SALU_CYCLE_1)
	s_and_not1_b32 vcc_lo, exec_lo, s36
	s_cbranch_vccnz .LBB94_1228
; %bb.1227:
	s_wait_loadcnt 0x0
	global_load_b32 v1, v[4:5], off
	s_wait_loadcnt 0x0
	v_cvt_i32_f32_e32 v2, v1
.LBB94_1228:
	s_mov_b32 s36, 0
.LBB94_1229:
	s_delay_alu instid0(SALU_CYCLE_1)
	s_and_not1_b32 vcc_lo, exec_lo, s36
	s_cbranch_vccnz .LBB94_1231
; %bb.1230:
	s_wait_loadcnt 0x0
	global_load_b32 v1, v[4:5], off
	s_wait_loadcnt 0x0
	v_cvt_i16_f16_e32 v2, v1
.LBB94_1231:
	s_mov_b32 s36, 0
.LBB94_1232:
	s_delay_alu instid0(SALU_CYCLE_1)
	s_and_not1_b32 vcc_lo, exec_lo, s36
	s_cbranch_vccnz .LBB94_1243
; %bb.1233:
	s_cmp_lt_i32 s0, 6
	s_cbranch_scc1 .LBB94_1236
; %bb.1234:
	s_cmp_gt_i32 s0, 6
	s_cbranch_scc0 .LBB94_1237
; %bb.1235:
	s_wait_loadcnt 0x0
	global_load_b64 v[2:3], v[4:5], off
	s_mov_b32 s36, 0
	s_wait_loadcnt 0x0
	v_cvt_i32_f64_e32 v2, v[2:3]
	s_branch .LBB94_1238
.LBB94_1236:
	s_mov_b32 s36, -1
                                        ; implicit-def: $vgpr2
	s_branch .LBB94_1241
.LBB94_1237:
	s_mov_b32 s36, -1
                                        ; implicit-def: $vgpr2
.LBB94_1238:
	s_delay_alu instid0(SALU_CYCLE_1)
	s_and_not1_b32 vcc_lo, exec_lo, s36
	s_cbranch_vccnz .LBB94_1240
; %bb.1239:
	s_wait_loadcnt 0x0
	global_load_b32 v1, v[4:5], off
	s_wait_loadcnt 0x0
	v_cvt_i32_f32_e32 v2, v1
.LBB94_1240:
	s_mov_b32 s36, 0
.LBB94_1241:
	s_delay_alu instid0(SALU_CYCLE_1)
	s_and_not1_b32 vcc_lo, exec_lo, s36
	s_cbranch_vccnz .LBB94_1243
; %bb.1242:
	s_wait_loadcnt 0x0
	global_load_u16 v1, v[4:5], off
	s_wait_loadcnt 0x0
	v_cvt_i16_f16_e32 v2, v1
.LBB94_1243:
	s_mov_b32 s36, 0
.LBB94_1244:
	s_delay_alu instid0(SALU_CYCLE_1)
	s_and_not1_b32 vcc_lo, exec_lo, s36
	s_cbranch_vccnz .LBB94_1264
; %bb.1245:
	s_cmp_lt_i32 s0, 2
	s_cbranch_scc1 .LBB94_1249
; %bb.1246:
	s_cmp_lt_i32 s0, 3
	s_cbranch_scc1 .LBB94_1250
; %bb.1247:
	s_cmp_gt_i32 s0, 3
	s_cbranch_scc0 .LBB94_1251
; %bb.1248:
	s_wait_loadcnt 0x0
	global_load_b64 v[2:3], v[4:5], off
	s_mov_b32 s36, 0
	s_branch .LBB94_1252
.LBB94_1249:
	s_mov_b32 s36, -1
                                        ; implicit-def: $vgpr2
	s_branch .LBB94_1258
.LBB94_1250:
	s_mov_b32 s36, -1
                                        ; implicit-def: $vgpr2
	s_branch .LBB94_1255
.LBB94_1251:
	s_mov_b32 s36, -1
                                        ; implicit-def: $vgpr2
.LBB94_1252:
	s_delay_alu instid0(SALU_CYCLE_1)
	s_and_not1_b32 vcc_lo, exec_lo, s36
	s_cbranch_vccnz .LBB94_1254
; %bb.1253:
	s_wait_loadcnt 0x0
	global_load_b32 v2, v[4:5], off
.LBB94_1254:
	s_mov_b32 s36, 0
.LBB94_1255:
	s_delay_alu instid0(SALU_CYCLE_1)
	s_and_not1_b32 vcc_lo, exec_lo, s36
	s_cbranch_vccnz .LBB94_1257
; %bb.1256:
	s_wait_loadcnt 0x0
	global_load_u16 v2, v[4:5], off
.LBB94_1257:
	s_mov_b32 s36, 0
.LBB94_1258:
	s_delay_alu instid0(SALU_CYCLE_1)
	s_and_not1_b32 vcc_lo, exec_lo, s36
	s_cbranch_vccnz .LBB94_1264
; %bb.1259:
	s_cmp_gt_i32 s0, 0
	s_mov_b32 s0, 0
	s_cbranch_scc0 .LBB94_1261
; %bb.1260:
	s_wait_loadcnt 0x0
	global_load_i8 v2, v[4:5], off
	s_branch .LBB94_1262
.LBB94_1261:
	s_mov_b32 s0, -1
                                        ; implicit-def: $vgpr2
.LBB94_1262:
	s_delay_alu instid0(SALU_CYCLE_1)
	s_and_not1_b32 vcc_lo, exec_lo, s0
	s_cbranch_vccnz .LBB94_1264
; %bb.1263:
	s_wait_loadcnt 0x0
	global_load_u8 v2, v[4:5], off
.LBB94_1264:
	s_mov_b32 s37, -1
.LBB94_1265:
	s_delay_alu instid0(SALU_CYCLE_1)
	s_and_not1_b32 vcc_lo, exec_lo, s37
	s_cbranch_vccnz .LBB94_1273
; %bb.1266:
	s_wait_xcnt 0x0
	v_mul_lo_u32 v4, v26, s15
	s_and_b32 s0, 0xffff, s16
	s_delay_alu instid0(SALU_CYCLE_1) | instskip(NEXT) | instid1(VALU_DEP_1)
	s_cmp_lt_i32 s0, 11
	v_ashrrev_i32_e32 v5, 31, v4
	s_delay_alu instid0(VALU_DEP_1)
	v_add_nc_u64_e32 v[4:5], s[10:11], v[4:5]
	s_cbranch_scc1 .LBB94_1274
; %bb.1267:
	s_cmp_gt_i32 s0, 25
	s_cbranch_scc0 .LBB94_1275
; %bb.1268:
	s_cmp_gt_i32 s0, 28
	s_cbranch_scc0 .LBB94_1276
	;; [unrolled: 3-line block ×4, first 2 shown]
; %bb.1271:
	s_cmp_eq_u32 s0, 46
	s_mov_b32 s38, 0
	s_cbranch_scc0 .LBB94_1281
; %bb.1272:
	s_wait_loadcnt 0x0
	global_load_b32 v1, v[4:5], off
	s_mov_b32 s37, -1
	s_mov_b32 s36, 0
	s_wait_loadcnt 0x0
	v_lshlrev_b32_e32 v1, 16, v1
	s_delay_alu instid0(VALU_DEP_1)
	v_cvt_i32_f32_e32 v6, v1
	s_branch .LBB94_1283
.LBB94_1273:
	s_mov_b32 s38, 0
	s_mov_b32 s0, s28
	;; [unrolled: 1-line block ×3, first 2 shown]
	s_branch .LBB94_1518
.LBB94_1274:
	s_mov_b32 s38, -1
	s_mov_b32 s37, 0
	s_mov_b32 s36, s29
                                        ; implicit-def: $vgpr6
	s_branch .LBB94_1344
.LBB94_1275:
	s_mov_b32 s38, -1
	s_mov_b32 s37, 0
	s_mov_b32 s36, s29
                                        ; implicit-def: $vgpr6
	s_branch .LBB94_1310
.LBB94_1276:
	s_mov_b32 s38, -1
	s_mov_b32 s37, 0
	s_mov_b32 s36, s29
                                        ; implicit-def: $vgpr6
	s_branch .LBB94_1293
.LBB94_1277:
	s_mov_b32 s38, -1
	s_mov_b32 s37, 0
	s_mov_b32 s36, s29
                                        ; implicit-def: $vgpr6
	s_branch .LBB94_1288
.LBB94_1278:
	s_mov_b32 s38, -1
	s_mov_b32 s37, 0
	s_mov_b32 s36, s29
	s_branch .LBB94_1282
.LBB94_1279:
	s_and_not1_saveexec_b32 s36, s36
	s_cbranch_execz .LBB94_932
.LBB94_1280:
	v_add_f32_e64 v3, 0x42800000, |v2|
	s_and_not1_b32 s35, s35, exec_lo
	s_delay_alu instid0(VALU_DEP_1) | instskip(NEXT) | instid1(VALU_DEP_1)
	v_and_b32_e32 v3, 0xff, v3
	v_cmp_ne_u32_e32 vcc_lo, 0, v3
	s_and_b32 s37, vcc_lo, exec_lo
	s_delay_alu instid0(SALU_CYCLE_1)
	s_or_b32 s35, s35, s37
	s_or_b32 exec_lo, exec_lo, s36
	v_mov_b32_e32 v5, 0
	s_and_saveexec_b32 s36, s35
	s_cbranch_execnz .LBB94_933
	s_branch .LBB94_934
.LBB94_1281:
	s_mov_b32 s36, -1
	s_mov_b32 s37, 0
.LBB94_1282:
                                        ; implicit-def: $vgpr6
.LBB94_1283:
	s_and_b32 vcc_lo, exec_lo, s38
	s_cbranch_vccz .LBB94_1287
; %bb.1284:
	s_cmp_eq_u32 s0, 44
	s_cbranch_scc0 .LBB94_1286
; %bb.1285:
	s_wait_loadcnt 0x0
	global_load_u8 v1, v[4:5], off
	s_mov_b32 s36, 0
	s_mov_b32 s37, -1
	s_wait_loadcnt 0x0
	v_lshlrev_b32_e32 v3, 23, v1
	v_cmp_ne_u32_e32 vcc_lo, 0, v1
	s_delay_alu instid0(VALU_DEP_2) | instskip(NEXT) | instid1(VALU_DEP_1)
	v_cvt_i32_f32_e32 v3, v3
	v_cndmask_b32_e32 v6, 0, v3, vcc_lo
	s_branch .LBB94_1287
.LBB94_1286:
	s_mov_b32 s36, -1
                                        ; implicit-def: $vgpr6
.LBB94_1287:
	s_mov_b32 s38, 0
.LBB94_1288:
	s_delay_alu instid0(SALU_CYCLE_1)
	s_and_b32 vcc_lo, exec_lo, s38
	s_cbranch_vccz .LBB94_1292
; %bb.1289:
	s_cmp_eq_u32 s0, 29
	s_cbranch_scc0 .LBB94_1291
; %bb.1290:
	global_load_b64 v[6:7], v[4:5], off
	s_mov_b32 s37, -1
	s_mov_b32 s36, 0
	s_branch .LBB94_1292
.LBB94_1291:
	s_mov_b32 s36, -1
                                        ; implicit-def: $vgpr6
.LBB94_1292:
	s_mov_b32 s38, 0
.LBB94_1293:
	s_delay_alu instid0(SALU_CYCLE_1)
	s_and_b32 vcc_lo, exec_lo, s38
	s_cbranch_vccz .LBB94_1309
; %bb.1294:
	s_cmp_lt_i32 s0, 27
	s_cbranch_scc1 .LBB94_1297
; %bb.1295:
	s_cmp_gt_i32 s0, 27
	s_cbranch_scc0 .LBB94_1298
; %bb.1296:
	s_wait_loadcnt 0x0
	global_load_b32 v6, v[4:5], off
	s_mov_b32 s37, 0
	s_branch .LBB94_1299
.LBB94_1297:
	s_mov_b32 s37, -1
                                        ; implicit-def: $vgpr6
	s_branch .LBB94_1302
.LBB94_1298:
	s_mov_b32 s37, -1
                                        ; implicit-def: $vgpr6
.LBB94_1299:
	s_delay_alu instid0(SALU_CYCLE_1)
	s_and_not1_b32 vcc_lo, exec_lo, s37
	s_cbranch_vccnz .LBB94_1301
; %bb.1300:
	s_wait_loadcnt 0x0
	global_load_u16 v6, v[4:5], off
.LBB94_1301:
	s_mov_b32 s37, 0
.LBB94_1302:
	s_delay_alu instid0(SALU_CYCLE_1)
	s_and_not1_b32 vcc_lo, exec_lo, s37
	s_cbranch_vccnz .LBB94_1308
; %bb.1303:
	s_wait_loadcnt 0x0
	global_load_u8 v1, v[4:5], off
	s_mov_b32 s38, 0
	s_mov_b32 s37, exec_lo
	s_wait_loadcnt 0x0
	v_cmpx_lt_i16_e32 0x7f, v1
	s_xor_b32 s37, exec_lo, s37
	s_cbranch_execz .LBB94_1320
; %bb.1304:
	v_cmp_ne_u16_e32 vcc_lo, 0x80, v1
	s_and_b32 s38, vcc_lo, exec_lo
	s_and_not1_saveexec_b32 s37, s37
	s_cbranch_execnz .LBB94_1321
.LBB94_1305:
	s_or_b32 exec_lo, exec_lo, s37
	v_mov_b32_e32 v6, 0
	s_and_saveexec_b32 s37, s38
	s_cbranch_execz .LBB94_1307
.LBB94_1306:
	v_and_b32_e32 v3, 0xffff, v1
	s_delay_alu instid0(VALU_DEP_1) | instskip(SKIP_1) | instid1(VALU_DEP_2)
	v_dual_lshlrev_b32 v1, 24, v1 :: v_dual_bitop2_b32 v6, 7, v3 bitop3:0x40
	v_bfe_u32 v9, v3, 3, 4
	v_and_b32_e32 v1, 0x80000000, v1
	s_delay_alu instid0(VALU_DEP_3) | instskip(NEXT) | instid1(VALU_DEP_3)
	v_clz_i32_u32_e32 v7, v6
	v_cmp_eq_u32_e32 vcc_lo, 0, v9
	s_delay_alu instid0(VALU_DEP_2) | instskip(NEXT) | instid1(VALU_DEP_1)
	v_min_u32_e32 v7, 32, v7
	v_subrev_nc_u32_e32 v8, 28, v7
	v_sub_nc_u32_e32 v7, 29, v7
	s_delay_alu instid0(VALU_DEP_2) | instskip(NEXT) | instid1(VALU_DEP_2)
	v_lshlrev_b32_e32 v3, v8, v3
	v_cndmask_b32_e32 v7, v9, v7, vcc_lo
	s_delay_alu instid0(VALU_DEP_2) | instskip(NEXT) | instid1(VALU_DEP_1)
	v_and_b32_e32 v3, 7, v3
	v_cndmask_b32_e32 v3, v6, v3, vcc_lo
	s_delay_alu instid0(VALU_DEP_3) | instskip(NEXT) | instid1(VALU_DEP_2)
	v_lshl_add_u32 v6, v7, 23, 0x3b800000
	v_lshlrev_b32_e32 v3, 20, v3
	s_delay_alu instid0(VALU_DEP_1) | instskip(NEXT) | instid1(VALU_DEP_1)
	v_or3_b32 v1, v1, v6, v3
	v_cvt_i32_f32_e32 v6, v1
.LBB94_1307:
	s_or_b32 exec_lo, exec_lo, s37
.LBB94_1308:
	s_mov_b32 s37, -1
.LBB94_1309:
	s_mov_b32 s38, 0
.LBB94_1310:
	s_delay_alu instid0(SALU_CYCLE_1)
	s_and_b32 vcc_lo, exec_lo, s38
	s_cbranch_vccz .LBB94_1343
; %bb.1311:
	s_cmp_gt_i32 s0, 22
	s_cbranch_scc0 .LBB94_1319
; %bb.1312:
	s_cmp_lt_i32 s0, 24
	s_cbranch_scc1 .LBB94_1322
; %bb.1313:
	s_cmp_gt_i32 s0, 24
	s_cbranch_scc0 .LBB94_1323
; %bb.1314:
	s_wait_loadcnt 0x0
	global_load_u8 v1, v[4:5], off
	s_mov_b32 s38, 0
	s_mov_b32 s37, exec_lo
	s_wait_loadcnt 0x0
	v_cmpx_lt_i16_e32 0x7f, v1
	s_xor_b32 s37, exec_lo, s37
	s_cbranch_execz .LBB94_1335
; %bb.1315:
	v_cmp_ne_u16_e32 vcc_lo, 0x80, v1
	s_and_b32 s38, vcc_lo, exec_lo
	s_and_not1_saveexec_b32 s37, s37
	s_cbranch_execnz .LBB94_1336
.LBB94_1316:
	s_or_b32 exec_lo, exec_lo, s37
	v_mov_b32_e32 v6, 0
	s_and_saveexec_b32 s37, s38
	s_cbranch_execz .LBB94_1318
.LBB94_1317:
	v_and_b32_e32 v3, 0xffff, v1
	s_delay_alu instid0(VALU_DEP_1) | instskip(SKIP_1) | instid1(VALU_DEP_2)
	v_dual_lshlrev_b32 v1, 24, v1 :: v_dual_bitop2_b32 v6, 3, v3 bitop3:0x40
	v_bfe_u32 v9, v3, 2, 5
	v_and_b32_e32 v1, 0x80000000, v1
	s_delay_alu instid0(VALU_DEP_3) | instskip(NEXT) | instid1(VALU_DEP_3)
	v_clz_i32_u32_e32 v7, v6
	v_cmp_eq_u32_e32 vcc_lo, 0, v9
	s_delay_alu instid0(VALU_DEP_2) | instskip(NEXT) | instid1(VALU_DEP_1)
	v_min_u32_e32 v7, 32, v7
	v_subrev_nc_u32_e32 v8, 29, v7
	v_sub_nc_u32_e32 v7, 30, v7
	s_delay_alu instid0(VALU_DEP_2) | instskip(NEXT) | instid1(VALU_DEP_2)
	v_lshlrev_b32_e32 v3, v8, v3
	v_cndmask_b32_e32 v7, v9, v7, vcc_lo
	s_delay_alu instid0(VALU_DEP_2) | instskip(NEXT) | instid1(VALU_DEP_1)
	v_and_b32_e32 v3, 3, v3
	v_cndmask_b32_e32 v3, v6, v3, vcc_lo
	s_delay_alu instid0(VALU_DEP_3) | instskip(NEXT) | instid1(VALU_DEP_2)
	v_lshl_add_u32 v6, v7, 23, 0x37800000
	v_lshlrev_b32_e32 v3, 21, v3
	s_delay_alu instid0(VALU_DEP_1) | instskip(NEXT) | instid1(VALU_DEP_1)
	v_or3_b32 v1, v1, v6, v3
	v_cvt_i32_f32_e32 v6, v1
.LBB94_1318:
	s_or_b32 exec_lo, exec_lo, s37
	s_mov_b32 s37, 0
	s_branch .LBB94_1324
.LBB94_1319:
	s_mov_b32 s38, -1
                                        ; implicit-def: $vgpr6
	s_branch .LBB94_1330
.LBB94_1320:
	s_and_not1_saveexec_b32 s37, s37
	s_cbranch_execz .LBB94_1305
.LBB94_1321:
	v_cmp_ne_u16_e32 vcc_lo, 0, v1
	s_and_not1_b32 s38, s38, exec_lo
	s_and_b32 s39, vcc_lo, exec_lo
	s_delay_alu instid0(SALU_CYCLE_1)
	s_or_b32 s38, s38, s39
	s_or_b32 exec_lo, exec_lo, s37
	v_mov_b32_e32 v6, 0
	s_and_saveexec_b32 s37, s38
	s_cbranch_execnz .LBB94_1306
	s_branch .LBB94_1307
.LBB94_1322:
	s_mov_b32 s37, -1
                                        ; implicit-def: $vgpr6
	s_branch .LBB94_1327
.LBB94_1323:
	s_mov_b32 s37, -1
                                        ; implicit-def: $vgpr6
.LBB94_1324:
	s_delay_alu instid0(SALU_CYCLE_1)
	s_and_b32 vcc_lo, exec_lo, s37
	s_cbranch_vccz .LBB94_1326
; %bb.1325:
	s_wait_loadcnt 0x0
	global_load_u8 v1, v[4:5], off
	s_wait_loadcnt 0x0
	v_lshlrev_b32_e32 v1, 24, v1
	s_delay_alu instid0(VALU_DEP_1) | instskip(NEXT) | instid1(VALU_DEP_1)
	v_and_b32_e32 v3, 0x7f000000, v1
	v_clz_i32_u32_e32 v6, v3
	v_cmp_ne_u32_e32 vcc_lo, 0, v3
	v_add_nc_u32_e32 v8, 0x1000000, v3
	s_delay_alu instid0(VALU_DEP_3) | instskip(NEXT) | instid1(VALU_DEP_1)
	v_min_u32_e32 v6, 32, v6
	v_sub_nc_u32_e64 v6, v6, 4 clamp
	s_delay_alu instid0(VALU_DEP_1) | instskip(NEXT) | instid1(VALU_DEP_1)
	v_dual_lshlrev_b32 v7, v6, v3 :: v_dual_lshlrev_b32 v6, 23, v6
	v_lshrrev_b32_e32 v7, 4, v7
	s_delay_alu instid0(VALU_DEP_1) | instskip(NEXT) | instid1(VALU_DEP_1)
	v_dual_sub_nc_u32 v6, v7, v6 :: v_dual_ashrrev_i32 v7, 8, v8
	v_add_nc_u32_e32 v6, 0x3c000000, v6
	s_delay_alu instid0(VALU_DEP_1) | instskip(NEXT) | instid1(VALU_DEP_1)
	v_and_or_b32 v6, 0x7f800000, v7, v6
	v_cndmask_b32_e32 v3, 0, v6, vcc_lo
	s_delay_alu instid0(VALU_DEP_1) | instskip(NEXT) | instid1(VALU_DEP_1)
	v_and_or_b32 v1, 0x80000000, v1, v3
	v_cvt_i32_f32_e32 v6, v1
.LBB94_1326:
	s_mov_b32 s37, 0
.LBB94_1327:
	s_delay_alu instid0(SALU_CYCLE_1)
	s_and_not1_b32 vcc_lo, exec_lo, s37
	s_cbranch_vccnz .LBB94_1329
; %bb.1328:
	s_wait_loadcnt 0x0
	global_load_u8 v1, v[4:5], off
	s_wait_loadcnt 0x0
	v_lshlrev_b32_e32 v3, 25, v1
	v_lshlrev_b16 v1, 8, v1
	s_delay_alu instid0(VALU_DEP_1) | instskip(SKIP_1) | instid1(VALU_DEP_2)
	v_and_or_b32 v7, 0x7f00, v1, 0.5
	v_bfe_i32 v1, v1, 0, 16
	v_add_f32_e32 v7, -0.5, v7
	v_lshrrev_b32_e32 v6, 4, v3
	v_cmp_gt_u32_e32 vcc_lo, 0x8000000, v3
	s_delay_alu instid0(VALU_DEP_2) | instskip(NEXT) | instid1(VALU_DEP_1)
	v_or_b32_e32 v6, 0x70000000, v6
	v_mul_f32_e32 v6, 0x7800000, v6
	s_delay_alu instid0(VALU_DEP_1) | instskip(NEXT) | instid1(VALU_DEP_1)
	v_cndmask_b32_e32 v3, v6, v7, vcc_lo
	v_and_or_b32 v1, 0x80000000, v1, v3
	s_delay_alu instid0(VALU_DEP_1)
	v_cvt_i32_f32_e32 v6, v1
.LBB94_1329:
	s_mov_b32 s38, 0
	s_mov_b32 s37, -1
.LBB94_1330:
	s_and_not1_b32 vcc_lo, exec_lo, s38
	s_cbranch_vccnz .LBB94_1343
; %bb.1331:
	s_cmp_gt_i32 s0, 14
	s_cbranch_scc0 .LBB94_1334
; %bb.1332:
	s_cmp_eq_u32 s0, 15
	s_cbranch_scc0 .LBB94_1337
; %bb.1333:
	s_wait_loadcnt 0x0
	global_load_u16 v1, v[4:5], off
	s_mov_b32 s37, -1
	s_mov_b32 s36, 0
	s_wait_loadcnt 0x0
	v_lshlrev_b32_e32 v1, 16, v1
	s_delay_alu instid0(VALU_DEP_1)
	v_cvt_i32_f32_e32 v6, v1
	s_branch .LBB94_1338
.LBB94_1334:
	s_mov_b32 s38, -1
                                        ; implicit-def: $vgpr6
	s_branch .LBB94_1339
.LBB94_1335:
	s_and_not1_saveexec_b32 s37, s37
	s_cbranch_execz .LBB94_1316
.LBB94_1336:
	v_cmp_ne_u16_e32 vcc_lo, 0, v1
	s_and_not1_b32 s38, s38, exec_lo
	s_and_b32 s39, vcc_lo, exec_lo
	s_delay_alu instid0(SALU_CYCLE_1)
	s_or_b32 s38, s38, s39
	s_or_b32 exec_lo, exec_lo, s37
	v_mov_b32_e32 v6, 0
	s_and_saveexec_b32 s37, s38
	s_cbranch_execnz .LBB94_1317
	s_branch .LBB94_1318
.LBB94_1337:
	s_mov_b32 s36, -1
                                        ; implicit-def: $vgpr6
.LBB94_1338:
	s_mov_b32 s38, 0
.LBB94_1339:
	s_delay_alu instid0(SALU_CYCLE_1)
	s_and_b32 vcc_lo, exec_lo, s38
	s_cbranch_vccz .LBB94_1343
; %bb.1340:
	s_cmp_eq_u32 s0, 11
	s_cbranch_scc0 .LBB94_1342
; %bb.1341:
	s_wait_loadcnt 0x0
	global_load_u8 v1, v[4:5], off
	s_mov_b32 s36, 0
	s_mov_b32 s37, -1
	s_wait_loadcnt 0x0
	v_cmp_ne_u16_e32 vcc_lo, 0, v1
	v_cndmask_b32_e64 v6, 0, 1, vcc_lo
	s_branch .LBB94_1343
.LBB94_1342:
	s_mov_b32 s36, -1
                                        ; implicit-def: $vgpr6
.LBB94_1343:
	s_mov_b32 s38, 0
.LBB94_1344:
	s_delay_alu instid0(SALU_CYCLE_1)
	s_and_b32 vcc_lo, exec_lo, s38
	s_cbranch_vccz .LBB94_1393
; %bb.1345:
	s_cmp_lt_i32 s0, 5
	s_cbranch_scc1 .LBB94_1350
; %bb.1346:
	s_cmp_lt_i32 s0, 8
	s_cbranch_scc1 .LBB94_1351
	;; [unrolled: 3-line block ×3, first 2 shown]
; %bb.1348:
	s_cmp_gt_i32 s0, 9
	s_cbranch_scc0 .LBB94_1353
; %bb.1349:
	s_wait_loadcnt 0x0
	global_load_b64 v[6:7], v[4:5], off
	s_mov_b32 s37, 0
	s_wait_loadcnt 0x0
	v_cvt_i32_f64_e32 v6, v[6:7]
	s_branch .LBB94_1354
.LBB94_1350:
	s_mov_b32 s37, -1
                                        ; implicit-def: $vgpr6
	s_branch .LBB94_1372
.LBB94_1351:
	s_mov_b32 s37, -1
                                        ; implicit-def: $vgpr6
	s_branch .LBB94_1360
.LBB94_1352:
	s_mov_b32 s37, -1
                                        ; implicit-def: $vgpr6
	s_branch .LBB94_1357
.LBB94_1353:
	s_mov_b32 s37, -1
                                        ; implicit-def: $vgpr6
.LBB94_1354:
	s_delay_alu instid0(SALU_CYCLE_1)
	s_and_not1_b32 vcc_lo, exec_lo, s37
	s_cbranch_vccnz .LBB94_1356
; %bb.1355:
	s_wait_loadcnt 0x0
	global_load_b32 v1, v[4:5], off
	s_wait_loadcnt 0x0
	v_cvt_i32_f32_e32 v6, v1
.LBB94_1356:
	s_mov_b32 s37, 0
.LBB94_1357:
	s_delay_alu instid0(SALU_CYCLE_1)
	s_and_not1_b32 vcc_lo, exec_lo, s37
	s_cbranch_vccnz .LBB94_1359
; %bb.1358:
	s_wait_loadcnt 0x0
	global_load_b32 v1, v[4:5], off
	s_wait_loadcnt 0x0
	v_cvt_i16_f16_e32 v6, v1
.LBB94_1359:
	s_mov_b32 s37, 0
.LBB94_1360:
	s_delay_alu instid0(SALU_CYCLE_1)
	s_and_not1_b32 vcc_lo, exec_lo, s37
	s_cbranch_vccnz .LBB94_1371
; %bb.1361:
	s_cmp_lt_i32 s0, 6
	s_cbranch_scc1 .LBB94_1364
; %bb.1362:
	s_cmp_gt_i32 s0, 6
	s_cbranch_scc0 .LBB94_1365
; %bb.1363:
	s_wait_loadcnt 0x0
	global_load_b64 v[6:7], v[4:5], off
	s_mov_b32 s37, 0
	s_wait_loadcnt 0x0
	v_cvt_i32_f64_e32 v6, v[6:7]
	s_branch .LBB94_1366
.LBB94_1364:
	s_mov_b32 s37, -1
                                        ; implicit-def: $vgpr6
	s_branch .LBB94_1369
.LBB94_1365:
	s_mov_b32 s37, -1
                                        ; implicit-def: $vgpr6
.LBB94_1366:
	s_delay_alu instid0(SALU_CYCLE_1)
	s_and_not1_b32 vcc_lo, exec_lo, s37
	s_cbranch_vccnz .LBB94_1368
; %bb.1367:
	s_wait_loadcnt 0x0
	global_load_b32 v1, v[4:5], off
	s_wait_loadcnt 0x0
	v_cvt_i32_f32_e32 v6, v1
.LBB94_1368:
	s_mov_b32 s37, 0
.LBB94_1369:
	s_delay_alu instid0(SALU_CYCLE_1)
	s_and_not1_b32 vcc_lo, exec_lo, s37
	s_cbranch_vccnz .LBB94_1371
; %bb.1370:
	s_wait_loadcnt 0x0
	global_load_u16 v1, v[4:5], off
	s_wait_loadcnt 0x0
	v_cvt_i16_f16_e32 v6, v1
.LBB94_1371:
	s_mov_b32 s37, 0
.LBB94_1372:
	s_delay_alu instid0(SALU_CYCLE_1)
	s_and_not1_b32 vcc_lo, exec_lo, s37
	s_cbranch_vccnz .LBB94_1392
; %bb.1373:
	s_cmp_lt_i32 s0, 2
	s_cbranch_scc1 .LBB94_1377
; %bb.1374:
	s_cmp_lt_i32 s0, 3
	s_cbranch_scc1 .LBB94_1378
; %bb.1375:
	s_cmp_gt_i32 s0, 3
	s_cbranch_scc0 .LBB94_1379
; %bb.1376:
	s_wait_loadcnt 0x0
	global_load_b64 v[6:7], v[4:5], off
	s_mov_b32 s37, 0
	s_branch .LBB94_1380
.LBB94_1377:
	s_mov_b32 s37, -1
                                        ; implicit-def: $vgpr6
	s_branch .LBB94_1386
.LBB94_1378:
	s_mov_b32 s37, -1
                                        ; implicit-def: $vgpr6
	s_branch .LBB94_1383
.LBB94_1379:
	s_mov_b32 s37, -1
                                        ; implicit-def: $vgpr6
.LBB94_1380:
	s_delay_alu instid0(SALU_CYCLE_1)
	s_and_not1_b32 vcc_lo, exec_lo, s37
	s_cbranch_vccnz .LBB94_1382
; %bb.1381:
	s_wait_loadcnt 0x0
	global_load_b32 v6, v[4:5], off
.LBB94_1382:
	s_mov_b32 s37, 0
.LBB94_1383:
	s_delay_alu instid0(SALU_CYCLE_1)
	s_and_not1_b32 vcc_lo, exec_lo, s37
	s_cbranch_vccnz .LBB94_1385
; %bb.1384:
	s_wait_loadcnt 0x0
	global_load_u16 v6, v[4:5], off
.LBB94_1385:
	s_mov_b32 s37, 0
.LBB94_1386:
	s_delay_alu instid0(SALU_CYCLE_1)
	s_and_not1_b32 vcc_lo, exec_lo, s37
	s_cbranch_vccnz .LBB94_1392
; %bb.1387:
	s_cmp_gt_i32 s0, 0
	s_mov_b32 s0, 0
	s_cbranch_scc0 .LBB94_1389
; %bb.1388:
	s_wait_loadcnt 0x0
	global_load_i8 v6, v[4:5], off
	s_branch .LBB94_1390
.LBB94_1389:
	s_mov_b32 s0, -1
                                        ; implicit-def: $vgpr6
.LBB94_1390:
	s_delay_alu instid0(SALU_CYCLE_1)
	s_and_not1_b32 vcc_lo, exec_lo, s0
	s_cbranch_vccnz .LBB94_1392
; %bb.1391:
	s_wait_loadcnt 0x0
	global_load_u8 v6, v[4:5], off
.LBB94_1392:
	s_mov_b32 s37, -1
.LBB94_1393:
	s_delay_alu instid0(SALU_CYCLE_1)
	s_and_not1_b32 vcc_lo, exec_lo, s37
	s_cbranch_vccnz .LBB94_1401
; %bb.1394:
	s_wait_xcnt 0x0
	v_mul_lo_u32 v4, v26, s12
	s_wait_loadcnt 0x0
	v_mul_lo_u16 v3, v0, s2
	v_mul_lo_u16 v2, v2, s1
	s_and_b32 s37, s3, 0xff
	s_delay_alu instid0(SALU_CYCLE_1) | instskip(NEXT) | instid1(VALU_DEP_3)
	s_cmp_lt_i32 s37, 11
	v_ashrrev_i32_e32 v5, 31, v4
	s_delay_alu instid0(VALU_DEP_1)
	v_add_nc_u64_e32 v[0:1], s[4:5], v[4:5]
	v_mad_u16 v4, v2, v6, v3
	s_cbranch_scc1 .LBB94_1402
; %bb.1395:
	s_and_b32 s38, 0xffff, s37
	s_delay_alu instid0(SALU_CYCLE_1)
	s_cmp_gt_i32 s38, 25
	s_cbranch_scc0 .LBB94_1403
; %bb.1396:
	s_cmp_gt_i32 s38, 28
	s_cbranch_scc0 .LBB94_1404
; %bb.1397:
	;; [unrolled: 3-line block ×4, first 2 shown]
	s_mov_b32 s40, 0
	s_mov_b32 s0, -1
	s_cmp_eq_u32 s38, 46
	s_mov_b32 s39, 0
	s_cbranch_scc0 .LBB94_1407
; %bb.1400:
	v_bfe_i32 v2, v4, 0, 16
	s_mov_b32 s39, -1
	s_mov_b32 s0, 0
	s_delay_alu instid0(VALU_DEP_1) | instskip(NEXT) | instid1(VALU_DEP_1)
	v_cvt_f32_i32_e32 v2, v2
	v_bfe_u32 v3, v2, 16, 1
	s_delay_alu instid0(VALU_DEP_1) | instskip(NEXT) | instid1(VALU_DEP_1)
	v_add3_u32 v2, v2, v3, 0x7fff
	v_lshrrev_b32_e32 v2, 16, v2
	global_store_b32 v[0:1], v2, off
	s_branch .LBB94_1407
.LBB94_1401:
	s_mov_b32 s38, 0
	s_mov_b32 s0, s28
	s_branch .LBB94_1518
.LBB94_1402:
	s_mov_b32 s38, -1
	s_mov_b32 s39, 0
	s_mov_b32 s0, s28
	s_branch .LBB94_1476
.LBB94_1403:
	s_mov_b32 s40, -1
	s_mov_b32 s39, 0
	s_mov_b32 s0, s28
	s_branch .LBB94_1434
.LBB94_1404:
	s_mov_b32 s40, -1
	s_mov_b32 s39, 0
	s_mov_b32 s0, s28
	s_branch .LBB94_1417
.LBB94_1405:
	s_mov_b32 s40, -1
	s_mov_b32 s39, 0
	s_mov_b32 s0, s28
	s_branch .LBB94_1413
.LBB94_1406:
	s_mov_b32 s40, -1
	s_mov_b32 s39, 0
	s_mov_b32 s0, s28
.LBB94_1407:
	s_and_b32 vcc_lo, exec_lo, s40
	s_cbranch_vccz .LBB94_1412
; %bb.1408:
	s_cmp_eq_u32 s38, 44
	s_mov_b32 s0, -1
	s_cbranch_scc0 .LBB94_1412
; %bb.1409:
	s_wait_xcnt 0x0
	v_bfe_i32 v2, v4, 0, 16
	v_mov_b32_e32 v3, 0xff
	s_mov_b32 s39, exec_lo
	s_delay_alu instid0(VALU_DEP_2) | instskip(NEXT) | instid1(VALU_DEP_1)
	v_cvt_f32_i32_e32 v2, v2
	v_bfe_u32 v5, v2, 23, 8
	s_delay_alu instid0(VALU_DEP_1)
	v_cmpx_ne_u32_e32 0xff, v5
	s_cbranch_execz .LBB94_1411
; %bb.1410:
	v_and_b32_e32 v3, 0x400000, v2
	v_and_or_b32 v5, 0x3fffff, v2, v5
	v_lshrrev_b32_e32 v2, 23, v2
	s_delay_alu instid0(VALU_DEP_3) | instskip(NEXT) | instid1(VALU_DEP_3)
	v_cmp_ne_u32_e32 vcc_lo, 0, v3
	v_cmp_ne_u32_e64 s0, 0, v5
	s_and_b32 s0, vcc_lo, s0
	s_delay_alu instid0(SALU_CYCLE_1) | instskip(NEXT) | instid1(VALU_DEP_1)
	v_cndmask_b32_e64 v3, 0, 1, s0
	v_add_nc_u32_e32 v3, v2, v3
.LBB94_1411:
	s_or_b32 exec_lo, exec_lo, s39
	s_mov_b32 s39, -1
	s_mov_b32 s0, 0
	global_store_b8 v[0:1], v3, off
.LBB94_1412:
	s_mov_b32 s40, 0
.LBB94_1413:
	s_delay_alu instid0(SALU_CYCLE_1)
	s_and_b32 vcc_lo, exec_lo, s40
	s_cbranch_vccz .LBB94_1416
; %bb.1414:
	s_cmp_eq_u32 s38, 29
	s_mov_b32 s0, -1
	s_cbranch_scc0 .LBB94_1416
; %bb.1415:
	s_wait_xcnt 0x0
	v_bfe_i32 v2, v4, 0, 16
	s_mov_b32 s0, 0
	s_mov_b32 s39, -1
	s_mov_b32 s40, 0
	s_delay_alu instid0(VALU_DEP_1)
	v_ashrrev_i32_e32 v3, 31, v2
	global_store_b64 v[0:1], v[2:3], off
	s_branch .LBB94_1417
.LBB94_1416:
	s_mov_b32 s40, 0
.LBB94_1417:
	s_delay_alu instid0(SALU_CYCLE_1)
	s_and_b32 vcc_lo, exec_lo, s40
	s_cbranch_vccz .LBB94_1433
; %bb.1418:
	s_cmp_lt_i32 s38, 27
	s_mov_b32 s39, -1
	s_cbranch_scc1 .LBB94_1424
; %bb.1419:
	s_cmp_gt_i32 s38, 27
	s_cbranch_scc0 .LBB94_1421
; %bb.1420:
	s_wait_xcnt 0x0
	v_bfe_i32 v2, v4, 0, 16
	s_mov_b32 s39, 0
	global_store_b32 v[0:1], v2, off
.LBB94_1421:
	s_and_not1_b32 vcc_lo, exec_lo, s39
	s_cbranch_vccnz .LBB94_1423
; %bb.1422:
	global_store_b16 v[0:1], v4, off
.LBB94_1423:
	s_mov_b32 s39, 0
.LBB94_1424:
	s_delay_alu instid0(SALU_CYCLE_1)
	s_and_not1_b32 vcc_lo, exec_lo, s39
	s_cbranch_vccnz .LBB94_1432
; %bb.1425:
	s_wait_xcnt 0x0
	v_bfe_i32 v2, v4, 0, 16
	v_mov_b32_e32 v5, 0x80
	s_mov_b32 s39, exec_lo
	s_delay_alu instid0(VALU_DEP_2) | instskip(NEXT) | instid1(VALU_DEP_1)
	v_cvt_f32_i32_e32 v2, v2
	v_and_b32_e32 v3, 0x7fffffff, v2
	s_delay_alu instid0(VALU_DEP_1)
	v_cmpx_gt_u32_e32 0x43800000, v3
	s_cbranch_execz .LBB94_1431
; %bb.1426:
	v_cmp_lt_u32_e32 vcc_lo, 0x3bffffff, v3
	s_mov_b32 s40, 0
                                        ; implicit-def: $vgpr3
	s_and_saveexec_b32 s41, vcc_lo
	s_delay_alu instid0(SALU_CYCLE_1)
	s_xor_b32 s41, exec_lo, s41
	s_cbranch_execz .LBB94_2655
; %bb.1427:
	v_bfe_u32 v3, v2, 20, 1
	s_mov_b32 s40, exec_lo
	s_delay_alu instid0(VALU_DEP_1) | instskip(NEXT) | instid1(VALU_DEP_1)
	v_add3_u32 v3, v2, v3, 0x487ffff
	v_lshrrev_b32_e32 v3, 20, v3
	s_and_not1_saveexec_b32 s41, s41
	s_cbranch_execnz .LBB94_2656
.LBB94_1428:
	s_or_b32 exec_lo, exec_lo, s41
	v_mov_b32_e32 v5, 0
	s_and_saveexec_b32 s41, s40
.LBB94_1429:
	v_lshrrev_b32_e32 v2, 24, v2
	s_delay_alu instid0(VALU_DEP_1)
	v_and_or_b32 v5, 0x80, v2, v3
.LBB94_1430:
	s_or_b32 exec_lo, exec_lo, s41
.LBB94_1431:
	s_delay_alu instid0(SALU_CYCLE_1)
	s_or_b32 exec_lo, exec_lo, s39
	global_store_b8 v[0:1], v5, off
.LBB94_1432:
	s_mov_b32 s39, -1
.LBB94_1433:
	s_mov_b32 s40, 0
.LBB94_1434:
	s_delay_alu instid0(SALU_CYCLE_1)
	s_and_b32 vcc_lo, exec_lo, s40
	s_cbranch_vccz .LBB94_1475
; %bb.1435:
	s_cmp_gt_i32 s38, 22
	s_mov_b32 s40, -1
	s_cbranch_scc0 .LBB94_1467
; %bb.1436:
	s_cmp_lt_i32 s38, 24
	s_mov_b32 s39, -1
	s_cbranch_scc1 .LBB94_1456
; %bb.1437:
	s_cmp_gt_i32 s38, 24
	s_cbranch_scc0 .LBB94_1445
; %bb.1438:
	s_wait_xcnt 0x0
	v_bfe_i32 v2, v4, 0, 16
	v_mov_b32_e32 v5, 0x80
	s_mov_b32 s39, exec_lo
	s_delay_alu instid0(VALU_DEP_2) | instskip(NEXT) | instid1(VALU_DEP_1)
	v_cvt_f32_i32_e32 v2, v2
	v_and_b32_e32 v3, 0x7fffffff, v2
	s_delay_alu instid0(VALU_DEP_1)
	v_cmpx_gt_u32_e32 0x47800000, v3
	s_cbranch_execz .LBB94_1444
; %bb.1439:
	v_cmp_lt_u32_e32 vcc_lo, 0x37ffffff, v3
	s_mov_b32 s40, 0
                                        ; implicit-def: $vgpr3
	s_and_saveexec_b32 s41, vcc_lo
	s_delay_alu instid0(SALU_CYCLE_1)
	s_xor_b32 s41, exec_lo, s41
	s_cbranch_execz .LBB94_2784
; %bb.1440:
	v_bfe_u32 v3, v2, 21, 1
	s_mov_b32 s40, exec_lo
	s_delay_alu instid0(VALU_DEP_1) | instskip(NEXT) | instid1(VALU_DEP_1)
	v_add3_u32 v3, v2, v3, 0x88fffff
	v_lshrrev_b32_e32 v3, 21, v3
	s_and_not1_saveexec_b32 s41, s41
	s_cbranch_execnz .LBB94_2785
.LBB94_1441:
	s_or_b32 exec_lo, exec_lo, s41
	v_mov_b32_e32 v5, 0
	s_and_saveexec_b32 s41, s40
.LBB94_1442:
	v_lshrrev_b32_e32 v2, 24, v2
	s_delay_alu instid0(VALU_DEP_1)
	v_and_or_b32 v5, 0x80, v2, v3
.LBB94_1443:
	s_or_b32 exec_lo, exec_lo, s41
.LBB94_1444:
	s_delay_alu instid0(SALU_CYCLE_1)
	s_or_b32 exec_lo, exec_lo, s39
	s_mov_b32 s39, 0
	global_store_b8 v[0:1], v5, off
.LBB94_1445:
	s_and_b32 vcc_lo, exec_lo, s39
	s_cbranch_vccz .LBB94_1455
; %bb.1446:
	s_wait_xcnt 0x0
	v_bfe_i32 v2, v4, 0, 16
	s_mov_b32 s39, exec_lo
                                        ; implicit-def: $vgpr3
	s_delay_alu instid0(VALU_DEP_1) | instskip(NEXT) | instid1(VALU_DEP_1)
	v_cvt_f32_i32_e32 v2, v2
	v_and_b32_e32 v5, 0x7fffffff, v2
	s_delay_alu instid0(VALU_DEP_1)
	v_cmpx_gt_u32_e32 0x43f00000, v5
	s_xor_b32 s39, exec_lo, s39
	s_cbranch_execz .LBB94_1452
; %bb.1447:
	s_mov_b32 s40, exec_lo
                                        ; implicit-def: $vgpr3
	v_cmpx_lt_u32_e32 0x3c7fffff, v5
	s_xor_b32 s40, exec_lo, s40
; %bb.1448:
	v_bfe_u32 v3, v2, 20, 1
	s_delay_alu instid0(VALU_DEP_1) | instskip(NEXT) | instid1(VALU_DEP_1)
	v_add3_u32 v3, v2, v3, 0x407ffff
	v_and_b32_e32 v5, 0xff00000, v3
	v_lshrrev_b32_e32 v3, 20, v3
	s_delay_alu instid0(VALU_DEP_2) | instskip(NEXT) | instid1(VALU_DEP_2)
	v_cmp_ne_u32_e32 vcc_lo, 0x7f00000, v5
	v_cndmask_b32_e32 v3, 0x7e, v3, vcc_lo
; %bb.1449:
	s_and_not1_saveexec_b32 s40, s40
; %bb.1450:
	v_add_f32_e64 v3, 0x46800000, |v2|
; %bb.1451:
	s_or_b32 exec_lo, exec_lo, s40
                                        ; implicit-def: $vgpr5
.LBB94_1452:
	s_and_not1_saveexec_b32 s39, s39
; %bb.1453:
	v_mov_b32_e32 v3, 0x7f
	v_cmp_lt_u32_e32 vcc_lo, 0x7f800000, v5
	s_delay_alu instid0(VALU_DEP_2)
	v_cndmask_b32_e32 v3, 0x7e, v3, vcc_lo
; %bb.1454:
	s_or_b32 exec_lo, exec_lo, s39
	v_lshrrev_b32_e32 v2, 24, v2
	s_delay_alu instid0(VALU_DEP_1)
	v_and_or_b32 v2, 0x80, v2, v3
	global_store_b8 v[0:1], v2, off
.LBB94_1455:
	s_mov_b32 s39, 0
.LBB94_1456:
	s_delay_alu instid0(SALU_CYCLE_1)
	s_and_not1_b32 vcc_lo, exec_lo, s39
	s_cbranch_vccnz .LBB94_1466
; %bb.1457:
	s_wait_xcnt 0x0
	v_bfe_i32 v2, v4, 0, 16
	s_mov_b32 s39, exec_lo
                                        ; implicit-def: $vgpr3
	s_delay_alu instid0(VALU_DEP_1) | instskip(NEXT) | instid1(VALU_DEP_1)
	v_cvt_f32_i32_e32 v2, v2
	v_and_b32_e32 v5, 0x7fffffff, v2
	s_delay_alu instid0(VALU_DEP_1)
	v_cmpx_gt_u32_e32 0x47800000, v5
	s_xor_b32 s39, exec_lo, s39
	s_cbranch_execz .LBB94_1463
; %bb.1458:
	s_mov_b32 s40, exec_lo
                                        ; implicit-def: $vgpr3
	v_cmpx_lt_u32_e32 0x387fffff, v5
	s_xor_b32 s40, exec_lo, s40
; %bb.1459:
	v_bfe_u32 v3, v2, 21, 1
	s_delay_alu instid0(VALU_DEP_1) | instskip(NEXT) | instid1(VALU_DEP_1)
	v_add3_u32 v3, v2, v3, 0x80fffff
	v_lshrrev_b32_e32 v3, 21, v3
; %bb.1460:
	s_and_not1_saveexec_b32 s40, s40
; %bb.1461:
	v_add_f32_e64 v3, 0x43000000, |v2|
; %bb.1462:
	s_or_b32 exec_lo, exec_lo, s40
                                        ; implicit-def: $vgpr5
.LBB94_1463:
	s_and_not1_saveexec_b32 s39, s39
; %bb.1464:
	v_mov_b32_e32 v3, 0x7f
	v_cmp_lt_u32_e32 vcc_lo, 0x7f800000, v5
	s_delay_alu instid0(VALU_DEP_2)
	v_cndmask_b32_e32 v3, 0x7c, v3, vcc_lo
; %bb.1465:
	s_or_b32 exec_lo, exec_lo, s39
	v_lshrrev_b32_e32 v2, 24, v2
	s_delay_alu instid0(VALU_DEP_1)
	v_and_or_b32 v2, 0x80, v2, v3
	global_store_b8 v[0:1], v2, off
.LBB94_1466:
	s_mov_b32 s40, 0
	s_mov_b32 s39, -1
.LBB94_1467:
	s_and_not1_b32 vcc_lo, exec_lo, s40
	s_cbranch_vccnz .LBB94_1475
; %bb.1468:
	s_cmp_gt_i32 s38, 14
	s_mov_b32 s40, -1
	s_cbranch_scc0 .LBB94_1472
; %bb.1469:
	s_cmp_eq_u32 s38, 15
	s_mov_b32 s0, -1
	s_cbranch_scc0 .LBB94_1471
; %bb.1470:
	s_wait_xcnt 0x0
	v_bfe_i32 v2, v4, 0, 16
	s_mov_b32 s39, -1
	s_mov_b32 s0, 0
	s_delay_alu instid0(VALU_DEP_1) | instskip(NEXT) | instid1(VALU_DEP_1)
	v_cvt_f32_i32_e32 v2, v2
	v_bfe_u32 v3, v2, 16, 1
	s_delay_alu instid0(VALU_DEP_1)
	v_add3_u32 v2, v2, v3, 0x7fff
	global_store_d16_hi_b16 v[0:1], v2, off
.LBB94_1471:
	s_mov_b32 s40, 0
.LBB94_1472:
	s_delay_alu instid0(SALU_CYCLE_1)
	s_and_b32 vcc_lo, exec_lo, s40
	s_cbranch_vccz .LBB94_1475
; %bb.1473:
	s_cmp_eq_u32 s38, 11
	s_mov_b32 s0, -1
	s_cbranch_scc0 .LBB94_1475
; %bb.1474:
	v_cmp_ne_u16_e32 vcc_lo, 0, v4
	s_mov_b32 s0, 0
	s_mov_b32 s39, -1
	s_wait_xcnt 0x0
	v_cndmask_b32_e64 v2, 0, 1, vcc_lo
	global_store_b8 v[0:1], v2, off
.LBB94_1475:
	s_mov_b32 s38, 0
.LBB94_1476:
	s_delay_alu instid0(SALU_CYCLE_1)
	s_and_b32 vcc_lo, exec_lo, s38
	s_cbranch_vccz .LBB94_1515
; %bb.1477:
	s_and_b32 s37, 0xffff, s37
	s_mov_b32 s38, -1
	s_cmp_lt_i32 s37, 5
	s_cbranch_scc1 .LBB94_1498
; %bb.1478:
	s_cmp_lt_i32 s37, 8
	s_cbranch_scc1 .LBB94_1488
; %bb.1479:
	;; [unrolled: 3-line block ×3, first 2 shown]
	s_cmp_gt_i32 s37, 9
	s_cbranch_scc0 .LBB94_1482
; %bb.1481:
	s_wait_xcnt 0x0
	v_bfe_i32 v2, v4, 0, 16
	v_mov_b32_e32 v8, 0
	s_mov_b32 s38, 0
	s_delay_alu instid0(VALU_DEP_2) | instskip(NEXT) | instid1(VALU_DEP_2)
	v_cvt_f64_i32_e32 v[6:7], v2
	v_mov_b32_e32 v9, v8
	global_store_b128 v[0:1], v[6:9], off
.LBB94_1482:
	s_and_not1_b32 vcc_lo, exec_lo, s38
	s_cbranch_vccnz .LBB94_1484
; %bb.1483:
	s_wait_xcnt 0x0
	v_bfe_i32 v2, v4, 0, 16
	v_mov_b32_e32 v3, 0
	s_delay_alu instid0(VALU_DEP_2)
	v_cvt_f32_i32_e32 v2, v2
	global_store_b64 v[0:1], v[2:3], off
.LBB94_1484:
	s_mov_b32 s38, 0
.LBB94_1485:
	s_delay_alu instid0(SALU_CYCLE_1)
	s_and_not1_b32 vcc_lo, exec_lo, s38
	s_cbranch_vccnz .LBB94_1487
; %bb.1486:
	s_wait_xcnt 0x0
	v_cvt_f16_i16_e32 v2, v4
	s_delay_alu instid0(VALU_DEP_1)
	v_and_b32_e32 v2, 0xffff, v2
	global_store_b32 v[0:1], v2, off
.LBB94_1487:
	s_mov_b32 s38, 0
.LBB94_1488:
	s_delay_alu instid0(SALU_CYCLE_1)
	s_and_not1_b32 vcc_lo, exec_lo, s38
	s_cbranch_vccnz .LBB94_1497
; %bb.1489:
	s_cmp_lt_i32 s37, 6
	s_mov_b32 s38, -1
	s_cbranch_scc1 .LBB94_1495
; %bb.1490:
	s_cmp_gt_i32 s37, 6
	s_cbranch_scc0 .LBB94_1492
; %bb.1491:
	s_wait_xcnt 0x0
	v_bfe_i32 v2, v4, 0, 16
	s_mov_b32 s38, 0
	s_delay_alu instid0(VALU_DEP_1)
	v_cvt_f64_i32_e32 v[2:3], v2
	global_store_b64 v[0:1], v[2:3], off
.LBB94_1492:
	s_and_not1_b32 vcc_lo, exec_lo, s38
	s_cbranch_vccnz .LBB94_1494
; %bb.1493:
	s_wait_xcnt 0x0
	v_bfe_i32 v2, v4, 0, 16
	s_delay_alu instid0(VALU_DEP_1)
	v_cvt_f32_i32_e32 v2, v2
	global_store_b32 v[0:1], v2, off
.LBB94_1494:
	s_mov_b32 s38, 0
.LBB94_1495:
	s_delay_alu instid0(SALU_CYCLE_1)
	s_and_not1_b32 vcc_lo, exec_lo, s38
	s_cbranch_vccnz .LBB94_1497
; %bb.1496:
	s_wait_xcnt 0x0
	v_cvt_f16_i16_e32 v2, v4
	global_store_b16 v[0:1], v2, off
.LBB94_1497:
	s_mov_b32 s38, 0
.LBB94_1498:
	s_delay_alu instid0(SALU_CYCLE_1)
	s_and_not1_b32 vcc_lo, exec_lo, s38
	s_cbranch_vccnz .LBB94_1514
; %bb.1499:
	s_cmp_lt_i32 s37, 2
	s_mov_b32 s38, -1
	s_cbranch_scc1 .LBB94_1509
; %bb.1500:
	s_cmp_lt_i32 s37, 3
	s_cbranch_scc1 .LBB94_1506
; %bb.1501:
	s_wait_xcnt 0x0
	v_bfe_i32 v2, v4, 0, 16
	s_cmp_gt_i32 s37, 3
	s_cbranch_scc0 .LBB94_1503
; %bb.1502:
	s_delay_alu instid0(VALU_DEP_1)
	v_ashrrev_i32_e32 v3, 31, v2
	s_mov_b32 s38, 0
	global_store_b64 v[0:1], v[2:3], off
.LBB94_1503:
	s_and_not1_b32 vcc_lo, exec_lo, s38
	s_cbranch_vccnz .LBB94_1505
; %bb.1504:
	global_store_b32 v[0:1], v2, off
.LBB94_1505:
	s_mov_b32 s38, 0
.LBB94_1506:
	s_delay_alu instid0(SALU_CYCLE_1)
	s_and_not1_b32 vcc_lo, exec_lo, s38
	s_cbranch_vccnz .LBB94_1508
; %bb.1507:
	global_store_b16 v[0:1], v4, off
.LBB94_1508:
	s_mov_b32 s38, 0
.LBB94_1509:
	s_delay_alu instid0(SALU_CYCLE_1)
	s_and_not1_b32 vcc_lo, exec_lo, s38
	s_cbranch_vccnz .LBB94_1514
; %bb.1510:
	s_cmp_gt_i32 s37, 0
	s_mov_b32 s37, -1
	s_cbranch_scc0 .LBB94_1512
; %bb.1511:
	s_mov_b32 s37, 0
	global_store_b8 v[0:1], v4, off
.LBB94_1512:
	s_and_not1_b32 vcc_lo, exec_lo, s37
	s_cbranch_vccnz .LBB94_1514
; %bb.1513:
	global_store_b8 v[0:1], v4, off
.LBB94_1514:
	s_mov_b32 s39, -1
.LBB94_1515:
	s_delay_alu instid0(SALU_CYCLE_1)
	s_and_not1_b32 vcc_lo, exec_lo, s39
	s_cbranch_vccnz .LBB94_1517
; %bb.1516:
	v_add_nc_u32_e32 v26, 0x80, v26
	s_mov_b32 s38, -1
	s_branch .LBB94_1519
.LBB94_1517:
	s_mov_b32 s38, 0
.LBB94_1518:
                                        ; implicit-def: $vgpr26
.LBB94_1519:
	s_and_not1_b32 s37, s28, exec_lo
	s_and_b32 s0, s0, exec_lo
	s_and_not1_b32 s39, s29, exec_lo
	s_and_b32 s36, s36, exec_lo
	s_or_b32 s37, s37, s0
	s_or_b32 s36, s39, s36
	s_and_not1_b32 s0, s30, exec_lo
	s_and_b32 s35, s35, exec_lo
	s_and_not1_b32 s39, s27, exec_lo
	s_and_b32 s34, s34, exec_lo
	s_or_b32 s35, s0, s35
	s_or_b32 s34, s39, s34
	s_or_not1_b32 s41, s38, exec_lo
.LBB94_1520:
	s_wait_xcnt 0x0
	s_or_b32 exec_lo, exec_lo, s33
	s_mov_b32 s38, 0
	s_mov_b32 s39, 0
	;; [unrolled: 1-line block ×3, first 2 shown]
                                        ; implicit-def: $sgpr0
                                        ; implicit-def: $vgpr2_vgpr3
                                        ; implicit-def: $vgpr0
	s_and_saveexec_b32 s33, s41
	s_cbranch_execz .LBB94_1597
; %bb.1521:
	v_cmp_gt_i32_e32 vcc_lo, s22, v26
	s_mov_b32 s42, s34
	s_mov_b32 s41, 0
	;; [unrolled: 1-line block ×3, first 2 shown]
                                        ; implicit-def: $sgpr0
                                        ; implicit-def: $vgpr2_vgpr3
                                        ; implicit-def: $vgpr0
	s_and_saveexec_b32 s22, vcc_lo
	s_cbranch_execz .LBB94_1596
; %bb.1522:
	s_wait_loadcnt 0x0
	v_mul_lo_u32 v0, v26, s13
	s_and_b32 s0, s19, 0xff
	s_delay_alu instid0(SALU_CYCLE_1) | instskip(NEXT) | instid1(VALU_DEP_1)
	s_cmp_lt_i32 s0, 11
	v_ashrrev_i32_e32 v1, 31, v0
	s_delay_alu instid0(VALU_DEP_1)
	v_add_nc_u64_e32 v[2:3], s[6:7], v[0:1]
	s_cbranch_scc1 .LBB94_1529
; %bb.1523:
	s_and_b32 s38, 0xffff, s0
	s_delay_alu instid0(SALU_CYCLE_1)
	s_cmp_gt_i32 s38, 25
	s_cbranch_scc0 .LBB94_1530
; %bb.1524:
	s_cmp_gt_i32 s38, 28
	s_cbranch_scc0 .LBB94_1531
; %bb.1525:
	;; [unrolled: 3-line block ×4, first 2 shown]
	s_cmp_eq_u32 s38, 46
	s_mov_b32 s42, 0
	s_cbranch_scc0 .LBB94_1534
; %bb.1528:
	global_load_b32 v0, v[2:3], off
	s_mov_b32 s41, -1
	s_wait_loadcnt 0x0
	v_lshlrev_b32_e32 v0, 16, v0
	s_delay_alu instid0(VALU_DEP_1)
	v_cvt_i32_f32_e32 v0, v0
	s_branch .LBB94_1536
.LBB94_1529:
	s_mov_b32 s38, -1
	s_mov_b32 s39, s34
                                        ; implicit-def: $vgpr0
	s_branch .LBB94_1595
.LBB94_1530:
	s_mov_b32 s42, -1
	s_mov_b32 s39, s34
                                        ; implicit-def: $vgpr0
	s_branch .LBB94_1563
.LBB94_1531:
	s_mov_b32 s42, -1
	s_mov_b32 s39, s34
                                        ; implicit-def: $vgpr0
	s_branch .LBB94_1546
.LBB94_1532:
	s_mov_b32 s42, -1
	s_mov_b32 s39, s34
                                        ; implicit-def: $vgpr0
	s_branch .LBB94_1541
.LBB94_1533:
	s_mov_b32 s42, -1
	s_mov_b32 s39, s34
	s_branch .LBB94_1535
.LBB94_1534:
	s_mov_b32 s39, -1
.LBB94_1535:
                                        ; implicit-def: $vgpr0
.LBB94_1536:
	s_and_b32 vcc_lo, exec_lo, s42
	s_cbranch_vccz .LBB94_1540
; %bb.1537:
	s_cmp_eq_u32 s38, 44
	s_cbranch_scc0 .LBB94_1539
; %bb.1538:
	global_load_u8 v0, v[2:3], off
	s_mov_b32 s39, 0
	s_mov_b32 s41, -1
	s_wait_loadcnt 0x0
	v_lshlrev_b32_e32 v1, 23, v0
	v_cmp_ne_u32_e32 vcc_lo, 0, v0
	s_delay_alu instid0(VALU_DEP_2) | instskip(NEXT) | instid1(VALU_DEP_1)
	v_cvt_i32_f32_e32 v1, v1
	v_cndmask_b32_e32 v0, 0, v1, vcc_lo
	s_branch .LBB94_1540
.LBB94_1539:
	s_mov_b32 s39, -1
                                        ; implicit-def: $vgpr0
.LBB94_1540:
	s_mov_b32 s42, 0
.LBB94_1541:
	s_delay_alu instid0(SALU_CYCLE_1)
	s_and_b32 vcc_lo, exec_lo, s42
	s_cbranch_vccz .LBB94_1545
; %bb.1542:
	s_cmp_eq_u32 s38, 29
	s_cbranch_scc0 .LBB94_1544
; %bb.1543:
	global_load_b64 v[0:1], v[2:3], off
	s_mov_b32 s39, 0
	s_mov_b32 s41, -1
	s_branch .LBB94_1545
.LBB94_1544:
	s_mov_b32 s39, -1
                                        ; implicit-def: $vgpr0
.LBB94_1545:
	s_mov_b32 s42, 0
.LBB94_1546:
	s_delay_alu instid0(SALU_CYCLE_1)
	s_and_b32 vcc_lo, exec_lo, s42
	s_cbranch_vccz .LBB94_1562
; %bb.1547:
	s_cmp_lt_i32 s38, 27
	s_cbranch_scc1 .LBB94_1550
; %bb.1548:
	s_cmp_gt_i32 s38, 27
	s_cbranch_scc0 .LBB94_1551
; %bb.1549:
	s_wait_loadcnt 0x0
	global_load_b32 v0, v[2:3], off
	s_mov_b32 s41, 0
	s_branch .LBB94_1552
.LBB94_1550:
	s_mov_b32 s41, -1
                                        ; implicit-def: $vgpr0
	s_branch .LBB94_1555
.LBB94_1551:
	s_mov_b32 s41, -1
                                        ; implicit-def: $vgpr0
.LBB94_1552:
	s_delay_alu instid0(SALU_CYCLE_1)
	s_and_not1_b32 vcc_lo, exec_lo, s41
	s_cbranch_vccnz .LBB94_1554
; %bb.1553:
	s_wait_loadcnt 0x0
	global_load_u16 v0, v[2:3], off
.LBB94_1554:
	s_mov_b32 s41, 0
.LBB94_1555:
	s_delay_alu instid0(SALU_CYCLE_1)
	s_and_not1_b32 vcc_lo, exec_lo, s41
	s_cbranch_vccnz .LBB94_1561
; %bb.1556:
	s_wait_loadcnt 0x0
	global_load_u8 v1, v[2:3], off
	s_mov_b32 s42, 0
	s_mov_b32 s41, exec_lo
	s_wait_loadcnt 0x0
	v_cmpx_lt_i16_e32 0x7f, v1
	s_xor_b32 s41, exec_lo, s41
	s_cbranch_execz .LBB94_1573
; %bb.1557:
	v_cmp_ne_u16_e32 vcc_lo, 0x80, v1
	s_and_b32 s42, vcc_lo, exec_lo
	s_and_not1_saveexec_b32 s41, s41
	s_cbranch_execnz .LBB94_1574
.LBB94_1558:
	s_or_b32 exec_lo, exec_lo, s41
	v_mov_b32_e32 v0, 0
	s_and_saveexec_b32 s41, s42
	s_cbranch_execz .LBB94_1560
.LBB94_1559:
	v_and_b32_e32 v0, 0xffff, v1
	s_delay_alu instid0(VALU_DEP_1) | instskip(SKIP_1) | instid1(VALU_DEP_2)
	v_and_b32_e32 v4, 7, v0
	v_bfe_u32 v7, v0, 3, 4
	v_clz_i32_u32_e32 v5, v4
	s_delay_alu instid0(VALU_DEP_2) | instskip(NEXT) | instid1(VALU_DEP_2)
	v_cmp_eq_u32_e32 vcc_lo, 0, v7
	v_min_u32_e32 v5, 32, v5
	s_delay_alu instid0(VALU_DEP_1) | instskip(NEXT) | instid1(VALU_DEP_1)
	v_subrev_nc_u32_e32 v6, 28, v5
	v_dual_lshlrev_b32 v0, v6, v0 :: v_dual_sub_nc_u32 v5, 29, v5
	s_delay_alu instid0(VALU_DEP_1) | instskip(NEXT) | instid1(VALU_DEP_1)
	v_dual_lshlrev_b32 v1, 24, v1 :: v_dual_bitop2_b32 v0, 7, v0 bitop3:0x40
	v_dual_cndmask_b32 v0, v4, v0 :: v_dual_cndmask_b32 v5, v7, v5
	s_delay_alu instid0(VALU_DEP_2) | instskip(NEXT) | instid1(VALU_DEP_2)
	v_and_b32_e32 v1, 0x80000000, v1
	v_lshlrev_b32_e32 v0, 20, v0
	s_delay_alu instid0(VALU_DEP_3) | instskip(NEXT) | instid1(VALU_DEP_1)
	v_lshl_add_u32 v4, v5, 23, 0x3b800000
	v_or3_b32 v0, v1, v4, v0
	s_delay_alu instid0(VALU_DEP_1)
	v_cvt_i32_f32_e32 v0, v0
.LBB94_1560:
	s_or_b32 exec_lo, exec_lo, s41
.LBB94_1561:
	s_mov_b32 s41, -1
.LBB94_1562:
	s_mov_b32 s42, 0
.LBB94_1563:
	s_delay_alu instid0(SALU_CYCLE_1)
	s_and_b32 vcc_lo, exec_lo, s42
	s_cbranch_vccz .LBB94_1594
; %bb.1564:
	s_cmp_gt_i32 s38, 22
	s_cbranch_scc0 .LBB94_1572
; %bb.1565:
	s_cmp_lt_i32 s38, 24
	s_cbranch_scc1 .LBB94_1575
; %bb.1566:
	s_cmp_gt_i32 s38, 24
	s_cbranch_scc0 .LBB94_1576
; %bb.1567:
	s_wait_loadcnt 0x0
	global_load_u8 v1, v[2:3], off
	s_mov_b32 s41, 0
	s_mov_b32 s40, exec_lo
	s_wait_loadcnt 0x0
	v_cmpx_lt_i16_e32 0x7f, v1
	s_xor_b32 s40, exec_lo, s40
	s_cbranch_execz .LBB94_1588
; %bb.1568:
	v_cmp_ne_u16_e32 vcc_lo, 0x80, v1
	s_and_b32 s41, vcc_lo, exec_lo
	s_and_not1_saveexec_b32 s40, s40
	s_cbranch_execnz .LBB94_1589
.LBB94_1569:
	s_or_b32 exec_lo, exec_lo, s40
	v_mov_b32_e32 v0, 0
	s_and_saveexec_b32 s40, s41
	s_cbranch_execz .LBB94_1571
.LBB94_1570:
	v_and_b32_e32 v0, 0xffff, v1
	s_delay_alu instid0(VALU_DEP_1) | instskip(SKIP_1) | instid1(VALU_DEP_2)
	v_and_b32_e32 v4, 3, v0
	v_bfe_u32 v7, v0, 2, 5
	v_clz_i32_u32_e32 v5, v4
	s_delay_alu instid0(VALU_DEP_2) | instskip(NEXT) | instid1(VALU_DEP_2)
	v_cmp_eq_u32_e32 vcc_lo, 0, v7
	v_min_u32_e32 v5, 32, v5
	s_delay_alu instid0(VALU_DEP_1) | instskip(NEXT) | instid1(VALU_DEP_1)
	v_subrev_nc_u32_e32 v6, 29, v5
	v_dual_lshlrev_b32 v0, v6, v0 :: v_dual_sub_nc_u32 v5, 30, v5
	s_delay_alu instid0(VALU_DEP_1) | instskip(NEXT) | instid1(VALU_DEP_1)
	v_dual_lshlrev_b32 v1, 24, v1 :: v_dual_bitop2_b32 v0, 3, v0 bitop3:0x40
	v_dual_cndmask_b32 v0, v4, v0 :: v_dual_cndmask_b32 v5, v7, v5
	s_delay_alu instid0(VALU_DEP_2) | instskip(NEXT) | instid1(VALU_DEP_2)
	v_and_b32_e32 v1, 0x80000000, v1
	v_lshlrev_b32_e32 v0, 21, v0
	s_delay_alu instid0(VALU_DEP_3) | instskip(NEXT) | instid1(VALU_DEP_1)
	v_lshl_add_u32 v4, v5, 23, 0x37800000
	v_or3_b32 v0, v1, v4, v0
	s_delay_alu instid0(VALU_DEP_1)
	v_cvt_i32_f32_e32 v0, v0
.LBB94_1571:
	s_or_b32 exec_lo, exec_lo, s40
	s_mov_b32 s40, 0
	s_branch .LBB94_1577
.LBB94_1572:
	s_mov_b32 s40, -1
                                        ; implicit-def: $vgpr0
	s_branch .LBB94_1583
.LBB94_1573:
	s_and_not1_saveexec_b32 s41, s41
	s_cbranch_execz .LBB94_1558
.LBB94_1574:
	v_cmp_ne_u16_e32 vcc_lo, 0, v1
	s_and_not1_b32 s42, s42, exec_lo
	s_and_b32 s43, vcc_lo, exec_lo
	s_delay_alu instid0(SALU_CYCLE_1)
	s_or_b32 s42, s42, s43
	s_or_b32 exec_lo, exec_lo, s41
	v_mov_b32_e32 v0, 0
	s_and_saveexec_b32 s41, s42
	s_cbranch_execnz .LBB94_1559
	s_branch .LBB94_1560
.LBB94_1575:
	s_mov_b32 s40, -1
                                        ; implicit-def: $vgpr0
	s_branch .LBB94_1580
.LBB94_1576:
	s_mov_b32 s40, -1
                                        ; implicit-def: $vgpr0
.LBB94_1577:
	s_delay_alu instid0(SALU_CYCLE_1)
	s_and_b32 vcc_lo, exec_lo, s40
	s_cbranch_vccz .LBB94_1579
; %bb.1578:
	s_wait_loadcnt 0x0
	global_load_u8 v0, v[2:3], off
	s_wait_loadcnt 0x0
	v_lshlrev_b32_e32 v0, 24, v0
	s_delay_alu instid0(VALU_DEP_1) | instskip(NEXT) | instid1(VALU_DEP_1)
	v_and_b32_e32 v1, 0x7f000000, v0
	v_clz_i32_u32_e32 v4, v1
	v_cmp_ne_u32_e32 vcc_lo, 0, v1
	v_add_nc_u32_e32 v6, 0x1000000, v1
	s_delay_alu instid0(VALU_DEP_3) | instskip(NEXT) | instid1(VALU_DEP_1)
	v_min_u32_e32 v4, 32, v4
	v_sub_nc_u32_e64 v4, v4, 4 clamp
	s_delay_alu instid0(VALU_DEP_1) | instskip(NEXT) | instid1(VALU_DEP_1)
	v_dual_lshlrev_b32 v5, v4, v1 :: v_dual_lshlrev_b32 v4, 23, v4
	v_lshrrev_b32_e32 v5, 4, v5
	s_delay_alu instid0(VALU_DEP_1) | instskip(NEXT) | instid1(VALU_DEP_1)
	v_dual_sub_nc_u32 v4, v5, v4 :: v_dual_ashrrev_i32 v5, 8, v6
	v_add_nc_u32_e32 v4, 0x3c000000, v4
	s_delay_alu instid0(VALU_DEP_1) | instskip(NEXT) | instid1(VALU_DEP_1)
	v_and_or_b32 v4, 0x7f800000, v5, v4
	v_cndmask_b32_e32 v1, 0, v4, vcc_lo
	s_delay_alu instid0(VALU_DEP_1) | instskip(NEXT) | instid1(VALU_DEP_1)
	v_and_or_b32 v0, 0x80000000, v0, v1
	v_cvt_i32_f32_e32 v0, v0
.LBB94_1579:
	s_mov_b32 s40, 0
.LBB94_1580:
	s_delay_alu instid0(SALU_CYCLE_1)
	s_and_not1_b32 vcc_lo, exec_lo, s40
	s_cbranch_vccnz .LBB94_1582
; %bb.1581:
	s_wait_loadcnt 0x0
	global_load_u8 v0, v[2:3], off
	s_wait_loadcnt 0x0
	v_lshlrev_b32_e32 v1, 25, v0
	v_lshlrev_b16 v0, 8, v0
	s_delay_alu instid0(VALU_DEP_1) | instskip(SKIP_1) | instid1(VALU_DEP_2)
	v_and_or_b32 v5, 0x7f00, v0, 0.5
	v_bfe_i32 v0, v0, 0, 16
	v_add_f32_e32 v5, -0.5, v5
	v_lshrrev_b32_e32 v4, 4, v1
	v_cmp_gt_u32_e32 vcc_lo, 0x8000000, v1
	s_delay_alu instid0(VALU_DEP_2) | instskip(NEXT) | instid1(VALU_DEP_1)
	v_or_b32_e32 v4, 0x70000000, v4
	v_mul_f32_e32 v4, 0x7800000, v4
	s_delay_alu instid0(VALU_DEP_1) | instskip(NEXT) | instid1(VALU_DEP_1)
	v_cndmask_b32_e32 v1, v4, v5, vcc_lo
	v_and_or_b32 v0, 0x80000000, v0, v1
	s_delay_alu instid0(VALU_DEP_1)
	v_cvt_i32_f32_e32 v0, v0
.LBB94_1582:
	s_mov_b32 s40, 0
	s_mov_b32 s41, -1
.LBB94_1583:
	s_and_not1_b32 vcc_lo, exec_lo, s40
	s_mov_b32 s40, 0
	s_cbranch_vccnz .LBB94_1594
; %bb.1584:
	s_cmp_gt_i32 s38, 14
	s_cbranch_scc0 .LBB94_1587
; %bb.1585:
	s_cmp_eq_u32 s38, 15
	s_cbranch_scc0 .LBB94_1590
; %bb.1586:
	s_wait_loadcnt 0x0
	global_load_u16 v0, v[2:3], off
	s_mov_b32 s39, 0
	s_mov_b32 s41, -1
	s_wait_loadcnt 0x0
	v_lshlrev_b32_e32 v0, 16, v0
	s_delay_alu instid0(VALU_DEP_1)
	v_cvt_i32_f32_e32 v0, v0
	s_branch .LBB94_1592
.LBB94_1587:
	s_mov_b32 s40, -1
	s_branch .LBB94_1591
.LBB94_1588:
	s_and_not1_saveexec_b32 s40, s40
	s_cbranch_execz .LBB94_1569
.LBB94_1589:
	v_cmp_ne_u16_e32 vcc_lo, 0, v1
	s_and_not1_b32 s41, s41, exec_lo
	s_and_b32 s42, vcc_lo, exec_lo
	s_delay_alu instid0(SALU_CYCLE_1)
	s_or_b32 s41, s41, s42
	s_or_b32 exec_lo, exec_lo, s40
	v_mov_b32_e32 v0, 0
	s_and_saveexec_b32 s40, s41
	s_cbranch_execnz .LBB94_1570
	s_branch .LBB94_1571
.LBB94_1590:
	s_mov_b32 s39, -1
.LBB94_1591:
                                        ; implicit-def: $vgpr0
.LBB94_1592:
	s_and_b32 vcc_lo, exec_lo, s40
	s_mov_b32 s40, 0
	s_cbranch_vccz .LBB94_1594
; %bb.1593:
	s_cmp_lg_u32 s38, 11
	s_mov_b32 s40, -1
	s_cselect_b32 s38, -1, 0
	s_and_not1_b32 s39, s39, exec_lo
	s_and_b32 s38, s38, exec_lo
	s_delay_alu instid0(SALU_CYCLE_1)
	s_or_b32 s39, s39, s38
.LBB94_1594:
	s_mov_b32 s38, 0
.LBB94_1595:
	s_and_not1_b32 s42, s34, exec_lo
	s_and_b32 s39, s39, exec_lo
	s_and_b32 s43, s41, exec_lo
	;; [unrolled: 1-line block ×4, first 2 shown]
	s_or_b32 s42, s42, s39
.LBB94_1596:
	s_wait_xcnt 0x0
	s_or_b32 exec_lo, exec_lo, s22
	s_delay_alu instid0(SALU_CYCLE_1)
	s_and_not1_b32 s22, s34, exec_lo
	s_and_b32 s34, s42, exec_lo
	s_and_b32 s40, s43, exec_lo
	;; [unrolled: 1-line block ×4, first 2 shown]
	s_or_b32 s34, s22, s34
.LBB94_1597:
	s_or_b32 exec_lo, exec_lo, s33
	s_delay_alu instid0(SALU_CYCLE_1)
	s_and_not1_b32 s22, s28, exec_lo
	s_and_b32 s28, s37, exec_lo
	s_and_not1_b32 s30, s30, exec_lo
	s_or_b32 s28, s22, s28
	s_and_not1_b32 s22, s29, exec_lo
	s_and_b32 s29, s36, exec_lo
	s_and_b32 s33, s35, exec_lo
	s_or_b32 s29, s22, s29
	s_and_not1_b32 s22, s27, exec_lo
	s_and_b32 s27, s34, exec_lo
	s_or_b32 s30, s30, s33
	s_and_b32 s36, s40, exec_lo
	s_and_b32 s35, s39, exec_lo
	;; [unrolled: 1-line block ×3, first 2 shown]
	s_or_b32 s27, s22, s27
.LBB94_1598:
	s_or_b32 exec_lo, exec_lo, s31
	s_delay_alu instid0(SALU_CYCLE_1)
	s_and_not1_b32 s21, s21, exec_lo
	s_and_b32 s22, s28, exec_lo
	s_and_not1_b32 s24, s24, exec_lo
	s_or_b32 s21, s21, s22
	s_and_not1_b32 s22, s23, exec_lo
	s_and_b32 s23, s29, exec_lo
	s_and_b32 s28, s30, exec_lo
	s_or_b32 s23, s22, s23
	s_and_not1_b32 s22, s25, exec_lo
	s_and_b32 s25, s27, exec_lo
	s_or_b32 s24, s24, s28
	s_and_b32 s28, s36, exec_lo
	s_and_b32 s29, s35, exec_lo
	;; [unrolled: 1-line block ×3, first 2 shown]
	s_or_b32 s25, s22, s25
	s_or_b32 exec_lo, exec_lo, s26
	s_mov_b32 s22, 0
	s_and_saveexec_b32 s26, s25
	s_cbranch_execz .LBB94_510
.LBB94_1599:
	s_mov_b32 s22, exec_lo
	s_and_not1_b32 s27, s27, exec_lo
	s_trap 2
	s_or_b32 exec_lo, exec_lo, s26
	s_and_saveexec_b32 s25, s27
	s_delay_alu instid0(SALU_CYCLE_1)
	s_xor_b32 s25, exec_lo, s25
	s_cbranch_execnz .LBB94_511
.LBB94_1600:
	s_or_b32 exec_lo, exec_lo, s25
	s_and_saveexec_b32 s25, s29
	s_cbranch_execz .LBB94_1646
.LBB94_1601:
	s_sext_i32_i16 s26, s0
	s_delay_alu instid0(SALU_CYCLE_1)
	s_cmp_lt_i32 s26, 5
	s_cbranch_scc1 .LBB94_1606
; %bb.1602:
	s_cmp_lt_i32 s26, 8
	s_cbranch_scc1 .LBB94_1607
; %bb.1603:
	;; [unrolled: 3-line block ×3, first 2 shown]
	s_cmp_gt_i32 s26, 9
	s_cbranch_scc0 .LBB94_1609
; %bb.1605:
	s_wait_loadcnt 0x0
	global_load_b64 v[0:1], v[2:3], off
	s_mov_b32 s26, 0
	s_wait_loadcnt 0x0
	v_cvt_i32_f64_e32 v0, v[0:1]
	s_branch .LBB94_1610
.LBB94_1606:
                                        ; implicit-def: $vgpr0
	s_branch .LBB94_1627
.LBB94_1607:
                                        ; implicit-def: $vgpr0
	s_branch .LBB94_1616
.LBB94_1608:
	s_mov_b32 s26, -1
                                        ; implicit-def: $vgpr0
	s_branch .LBB94_1613
.LBB94_1609:
	s_mov_b32 s26, -1
                                        ; implicit-def: $vgpr0
.LBB94_1610:
	s_delay_alu instid0(SALU_CYCLE_1)
	s_and_not1_b32 vcc_lo, exec_lo, s26
	s_cbranch_vccnz .LBB94_1612
; %bb.1611:
	s_wait_loadcnt 0x0
	global_load_b32 v0, v[2:3], off
	s_wait_loadcnt 0x0
	v_cvt_i32_f32_e32 v0, v0
.LBB94_1612:
	s_mov_b32 s26, 0
.LBB94_1613:
	s_delay_alu instid0(SALU_CYCLE_1)
	s_and_not1_b32 vcc_lo, exec_lo, s26
	s_cbranch_vccnz .LBB94_1615
; %bb.1614:
	s_wait_loadcnt 0x0
	global_load_b32 v0, v[2:3], off
	s_wait_loadcnt 0x0
	v_cvt_i16_f16_e32 v0, v0
.LBB94_1615:
	s_cbranch_execnz .LBB94_1626
.LBB94_1616:
	s_sext_i32_i16 s26, s0
	s_delay_alu instid0(SALU_CYCLE_1)
	s_cmp_lt_i32 s26, 6
	s_cbranch_scc1 .LBB94_1619
; %bb.1617:
	s_cmp_gt_i32 s26, 6
	s_cbranch_scc0 .LBB94_1620
; %bb.1618:
	s_wait_loadcnt 0x0
	global_load_b64 v[0:1], v[2:3], off
	s_mov_b32 s26, 0
	s_wait_loadcnt 0x0
	v_cvt_i32_f64_e32 v0, v[0:1]
	s_branch .LBB94_1621
.LBB94_1619:
	s_mov_b32 s26, -1
                                        ; implicit-def: $vgpr0
	s_branch .LBB94_1624
.LBB94_1620:
	s_mov_b32 s26, -1
                                        ; implicit-def: $vgpr0
.LBB94_1621:
	s_delay_alu instid0(SALU_CYCLE_1)
	s_and_not1_b32 vcc_lo, exec_lo, s26
	s_cbranch_vccnz .LBB94_1623
; %bb.1622:
	s_wait_loadcnt 0x0
	global_load_b32 v0, v[2:3], off
	s_wait_loadcnt 0x0
	v_cvt_i32_f32_e32 v0, v0
.LBB94_1623:
	s_mov_b32 s26, 0
.LBB94_1624:
	s_delay_alu instid0(SALU_CYCLE_1)
	s_and_not1_b32 vcc_lo, exec_lo, s26
	s_cbranch_vccnz .LBB94_1626
; %bb.1625:
	s_wait_loadcnt 0x0
	global_load_u16 v0, v[2:3], off
	s_wait_loadcnt 0x0
	v_cvt_i16_f16_e32 v0, v0
.LBB94_1626:
	s_cbranch_execnz .LBB94_1645
.LBB94_1627:
	s_sext_i32_i16 s26, s0
	s_delay_alu instid0(SALU_CYCLE_1)
	s_cmp_lt_i32 s26, 2
	s_cbranch_scc1 .LBB94_1631
; %bb.1628:
	s_cmp_lt_i32 s26, 3
	s_cbranch_scc1 .LBB94_1632
; %bb.1629:
	s_cmp_gt_i32 s26, 3
	s_cbranch_scc0 .LBB94_1633
; %bb.1630:
	s_wait_loadcnt 0x0
	global_load_b64 v[0:1], v[2:3], off
	s_mov_b32 s26, 0
	s_branch .LBB94_1634
.LBB94_1631:
                                        ; implicit-def: $vgpr0
	s_branch .LBB94_1640
.LBB94_1632:
	s_mov_b32 s26, -1
                                        ; implicit-def: $vgpr0
	s_branch .LBB94_1637
.LBB94_1633:
	s_mov_b32 s26, -1
                                        ; implicit-def: $vgpr0
.LBB94_1634:
	s_delay_alu instid0(SALU_CYCLE_1)
	s_and_not1_b32 vcc_lo, exec_lo, s26
	s_cbranch_vccnz .LBB94_1636
; %bb.1635:
	s_wait_loadcnt 0x0
	global_load_b32 v0, v[2:3], off
.LBB94_1636:
	s_mov_b32 s26, 0
.LBB94_1637:
	s_delay_alu instid0(SALU_CYCLE_1)
	s_and_not1_b32 vcc_lo, exec_lo, s26
	s_cbranch_vccnz .LBB94_1639
; %bb.1638:
	s_wait_loadcnt 0x0
	global_load_u16 v0, v[2:3], off
.LBB94_1639:
	s_cbranch_execnz .LBB94_1645
.LBB94_1640:
	s_sext_i32_i16 s0, s0
	s_delay_alu instid0(SALU_CYCLE_1)
	s_cmp_gt_i32 s0, 0
	s_mov_b32 s0, 0
	s_cbranch_scc0 .LBB94_1642
; %bb.1641:
	s_wait_loadcnt 0x0
	global_load_i8 v0, v[2:3], off
	s_branch .LBB94_1643
.LBB94_1642:
	s_mov_b32 s0, -1
                                        ; implicit-def: $vgpr0
.LBB94_1643:
	s_delay_alu instid0(SALU_CYCLE_1)
	s_and_not1_b32 vcc_lo, exec_lo, s0
	s_cbranch_vccnz .LBB94_1645
; %bb.1644:
	s_wait_loadcnt 0x0
	global_load_u8 v0, v[2:3], off
.LBB94_1645:
	s_or_b32 s28, s28, exec_lo
.LBB94_1646:
	s_wait_xcnt 0x0
	s_or_b32 exec_lo, exec_lo, s25
	s_mov_b32 s27, 0
	s_mov_b32 s29, 0
	;; [unrolled: 1-line block ×3, first 2 shown]
                                        ; implicit-def: $sgpr0
                                        ; implicit-def: $vgpr4_vgpr5
                                        ; implicit-def: $vgpr2
	s_and_saveexec_b32 s25, s28
	s_cbranch_execz .LBB94_1654
; %bb.1647:
	s_wait_loadcnt 0x0
	v_mul_lo_u32 v2, v26, s14
	s_and_b32 s0, s17, 0xff
	s_delay_alu instid0(SALU_CYCLE_1) | instskip(NEXT) | instid1(VALU_DEP_1)
	s_cmp_lt_i32 s0, 11
	v_ashrrev_i32_e32 v3, 31, v2
	s_delay_alu instid0(VALU_DEP_1)
	v_add_nc_u64_e32 v[4:5], s[8:9], v[2:3]
	s_cbranch_scc1 .LBB94_1657
; %bb.1648:
	s_and_b32 s26, 0xffff, s0
	s_mov_b32 s28, 0
	s_cmp_gt_i32 s26, 25
	s_cbranch_scc0 .LBB94_1658
; %bb.1649:
	s_cmp_gt_i32 s26, 28
	s_cbranch_scc0 .LBB94_1659
; %bb.1650:
	;; [unrolled: 3-line block ×4, first 2 shown]
	s_cmp_eq_u32 s26, 46
	s_mov_b32 s30, 0
	s_cbranch_scc0 .LBB94_1662
; %bb.1653:
	global_load_b32 v1, v[4:5], off
	s_mov_b32 s29, -1
	s_wait_loadcnt 0x0
	v_lshlrev_b32_e32 v1, 16, v1
	s_delay_alu instid0(VALU_DEP_1)
	v_cvt_i32_f32_e32 v2, v1
	s_branch .LBB94_1664
.LBB94_1654:
	s_or_b32 exec_lo, exec_lo, s25
	s_and_saveexec_b32 s25, s24
	s_cbranch_execnz .LBB94_1723
.LBB94_1655:
	s_or_b32 exec_lo, exec_lo, s25
	s_and_saveexec_b32 s24, s27
	s_delay_alu instid0(SALU_CYCLE_1)
	s_xor_b32 s24, exec_lo, s24
	s_cbranch_execz .LBB94_1724
.LBB94_1656:
	s_wait_loadcnt 0x0
	global_load_u8 v1, v[4:5], off
	s_or_b32 s26, s26, exec_lo
	s_wait_loadcnt 0x0
	v_cmp_ne_u16_e32 vcc_lo, 0, v1
	v_cndmask_b32_e64 v2, 0, 1, vcc_lo
	s_wait_xcnt 0x0
	s_or_b32 exec_lo, exec_lo, s24
	s_and_saveexec_b32 s24, s29
	s_cbranch_execz .LBB94_1770
	s_branch .LBB94_1725
.LBB94_1657:
	s_mov_b32 s30, -1
	s_mov_b32 s28, 0
	s_mov_b32 s27, s24
                                        ; implicit-def: $vgpr2
	s_branch .LBB94_1722
.LBB94_1658:
	s_mov_b32 s27, s24
                                        ; implicit-def: $vgpr2
	s_cbranch_execnz .LBB94_1691
	s_branch .LBB94_1721
.LBB94_1659:
	s_mov_b32 s30, -1
	s_mov_b32 s27, s24
                                        ; implicit-def: $vgpr2
	s_branch .LBB94_1674
.LBB94_1660:
	s_mov_b32 s30, -1
	s_mov_b32 s27, s24
                                        ; implicit-def: $vgpr2
	s_branch .LBB94_1669
.LBB94_1661:
	s_mov_b32 s30, -1
	s_mov_b32 s27, s24
	s_branch .LBB94_1663
.LBB94_1662:
	s_mov_b32 s27, -1
.LBB94_1663:
                                        ; implicit-def: $vgpr2
.LBB94_1664:
	s_and_b32 vcc_lo, exec_lo, s30
	s_cbranch_vccz .LBB94_1668
; %bb.1665:
	s_cmp_eq_u32 s26, 44
	s_cbranch_scc0 .LBB94_1667
; %bb.1666:
	global_load_u8 v1, v[4:5], off
	s_mov_b32 s27, 0
	s_mov_b32 s29, -1
	s_wait_loadcnt 0x0
	v_lshlrev_b32_e32 v2, 23, v1
	v_cmp_ne_u32_e32 vcc_lo, 0, v1
	s_delay_alu instid0(VALU_DEP_2) | instskip(NEXT) | instid1(VALU_DEP_1)
	v_cvt_i32_f32_e32 v2, v2
	v_cndmask_b32_e32 v2, 0, v2, vcc_lo
	s_branch .LBB94_1668
.LBB94_1667:
	s_mov_b32 s27, -1
                                        ; implicit-def: $vgpr2
.LBB94_1668:
	s_mov_b32 s30, 0
.LBB94_1669:
	s_delay_alu instid0(SALU_CYCLE_1)
	s_and_b32 vcc_lo, exec_lo, s30
	s_cbranch_vccz .LBB94_1673
; %bb.1670:
	s_cmp_eq_u32 s26, 29
	s_cbranch_scc0 .LBB94_1672
; %bb.1671:
	global_load_b64 v[2:3], v[4:5], off
	s_mov_b32 s27, 0
	s_mov_b32 s29, -1
	s_branch .LBB94_1673
.LBB94_1672:
	s_mov_b32 s27, -1
                                        ; implicit-def: $vgpr2
.LBB94_1673:
	s_mov_b32 s30, 0
.LBB94_1674:
	s_delay_alu instid0(SALU_CYCLE_1)
	s_and_b32 vcc_lo, exec_lo, s30
	s_cbranch_vccz .LBB94_1690
; %bb.1675:
	s_cmp_lt_i32 s26, 27
	s_cbranch_scc1 .LBB94_1678
; %bb.1676:
	s_cmp_gt_i32 s26, 27
	s_cbranch_scc0 .LBB94_1679
; %bb.1677:
	s_wait_loadcnt 0x0
	global_load_b32 v2, v[4:5], off
	s_mov_b32 s29, 0
	s_branch .LBB94_1680
.LBB94_1678:
	s_mov_b32 s29, -1
                                        ; implicit-def: $vgpr2
	s_branch .LBB94_1683
.LBB94_1679:
	s_mov_b32 s29, -1
                                        ; implicit-def: $vgpr2
.LBB94_1680:
	s_delay_alu instid0(SALU_CYCLE_1)
	s_and_not1_b32 vcc_lo, exec_lo, s29
	s_cbranch_vccnz .LBB94_1682
; %bb.1681:
	s_wait_loadcnt 0x0
	global_load_u16 v2, v[4:5], off
.LBB94_1682:
	s_mov_b32 s29, 0
.LBB94_1683:
	s_delay_alu instid0(SALU_CYCLE_1)
	s_and_not1_b32 vcc_lo, exec_lo, s29
	s_cbranch_vccnz .LBB94_1689
; %bb.1684:
	global_load_u8 v1, v[4:5], off
	s_mov_b32 s30, 0
	s_mov_b32 s29, exec_lo
	s_wait_loadcnt 0x0
	v_cmpx_lt_i16_e32 0x7f, v1
	s_xor_b32 s29, exec_lo, s29
	s_cbranch_execz .LBB94_1700
; %bb.1685:
	v_cmp_ne_u16_e32 vcc_lo, 0x80, v1
	s_and_b32 s30, vcc_lo, exec_lo
	s_and_not1_saveexec_b32 s29, s29
	s_cbranch_execnz .LBB94_1701
.LBB94_1686:
	s_or_b32 exec_lo, exec_lo, s29
	v_mov_b32_e32 v2, 0
	s_and_saveexec_b32 s29, s30
	s_cbranch_execz .LBB94_1688
.LBB94_1687:
	v_and_b32_e32 v2, 0xffff, v1
	s_delay_alu instid0(VALU_DEP_1) | instskip(SKIP_1) | instid1(VALU_DEP_2)
	v_dual_lshlrev_b32 v1, 24, v1 :: v_dual_bitop2_b32 v3, 7, v2 bitop3:0x40
	v_bfe_u32 v8, v2, 3, 4
	v_and_b32_e32 v1, 0x80000000, v1
	s_delay_alu instid0(VALU_DEP_3) | instskip(NEXT) | instid1(VALU_DEP_3)
	v_clz_i32_u32_e32 v6, v3
	v_cmp_eq_u32_e32 vcc_lo, 0, v8
	s_delay_alu instid0(VALU_DEP_2) | instskip(NEXT) | instid1(VALU_DEP_1)
	v_min_u32_e32 v6, 32, v6
	v_subrev_nc_u32_e32 v7, 28, v6
	v_sub_nc_u32_e32 v6, 29, v6
	s_delay_alu instid0(VALU_DEP_2) | instskip(NEXT) | instid1(VALU_DEP_2)
	v_lshlrev_b32_e32 v2, v7, v2
	v_cndmask_b32_e32 v6, v8, v6, vcc_lo
	s_delay_alu instid0(VALU_DEP_2) | instskip(NEXT) | instid1(VALU_DEP_1)
	v_and_b32_e32 v2, 7, v2
	v_cndmask_b32_e32 v2, v3, v2, vcc_lo
	s_delay_alu instid0(VALU_DEP_3) | instskip(NEXT) | instid1(VALU_DEP_2)
	v_lshl_add_u32 v3, v6, 23, 0x3b800000
	v_lshlrev_b32_e32 v2, 20, v2
	s_delay_alu instid0(VALU_DEP_1) | instskip(NEXT) | instid1(VALU_DEP_1)
	v_or3_b32 v1, v1, v3, v2
	v_cvt_i32_f32_e32 v2, v1
.LBB94_1688:
	s_or_b32 exec_lo, exec_lo, s29
.LBB94_1689:
	s_mov_b32 s29, -1
.LBB94_1690:
	s_branch .LBB94_1721
.LBB94_1691:
	s_cmp_gt_i32 s26, 22
	s_cbranch_scc0 .LBB94_1699
; %bb.1692:
	s_cmp_lt_i32 s26, 24
	s_cbranch_scc1 .LBB94_1702
; %bb.1693:
	s_cmp_gt_i32 s26, 24
	s_cbranch_scc0 .LBB94_1703
; %bb.1694:
	global_load_u8 v1, v[4:5], off
	s_mov_b32 s29, 0
	s_mov_b32 s28, exec_lo
	s_wait_loadcnt 0x0
	v_cmpx_lt_i16_e32 0x7f, v1
	s_xor_b32 s28, exec_lo, s28
	s_cbranch_execz .LBB94_1715
; %bb.1695:
	v_cmp_ne_u16_e32 vcc_lo, 0x80, v1
	s_and_b32 s29, vcc_lo, exec_lo
	s_and_not1_saveexec_b32 s28, s28
	s_cbranch_execnz .LBB94_1716
.LBB94_1696:
	s_or_b32 exec_lo, exec_lo, s28
	v_mov_b32_e32 v2, 0
	s_and_saveexec_b32 s28, s29
	s_cbranch_execz .LBB94_1698
.LBB94_1697:
	v_and_b32_e32 v2, 0xffff, v1
	s_delay_alu instid0(VALU_DEP_1) | instskip(SKIP_1) | instid1(VALU_DEP_2)
	v_dual_lshlrev_b32 v1, 24, v1 :: v_dual_bitop2_b32 v3, 3, v2 bitop3:0x40
	v_bfe_u32 v8, v2, 2, 5
	v_and_b32_e32 v1, 0x80000000, v1
	s_delay_alu instid0(VALU_DEP_3) | instskip(NEXT) | instid1(VALU_DEP_3)
	v_clz_i32_u32_e32 v6, v3
	v_cmp_eq_u32_e32 vcc_lo, 0, v8
	s_delay_alu instid0(VALU_DEP_2) | instskip(NEXT) | instid1(VALU_DEP_1)
	v_min_u32_e32 v6, 32, v6
	v_subrev_nc_u32_e32 v7, 29, v6
	v_sub_nc_u32_e32 v6, 30, v6
	s_delay_alu instid0(VALU_DEP_2) | instskip(NEXT) | instid1(VALU_DEP_2)
	v_lshlrev_b32_e32 v2, v7, v2
	v_cndmask_b32_e32 v6, v8, v6, vcc_lo
	s_delay_alu instid0(VALU_DEP_2) | instskip(NEXT) | instid1(VALU_DEP_1)
	v_and_b32_e32 v2, 3, v2
	v_cndmask_b32_e32 v2, v3, v2, vcc_lo
	s_delay_alu instid0(VALU_DEP_3) | instskip(NEXT) | instid1(VALU_DEP_2)
	v_lshl_add_u32 v3, v6, 23, 0x37800000
	v_lshlrev_b32_e32 v2, 21, v2
	s_delay_alu instid0(VALU_DEP_1) | instskip(NEXT) | instid1(VALU_DEP_1)
	v_or3_b32 v1, v1, v3, v2
	v_cvt_i32_f32_e32 v2, v1
.LBB94_1698:
	s_or_b32 exec_lo, exec_lo, s28
	s_mov_b32 s28, 0
	s_branch .LBB94_1704
.LBB94_1699:
	s_mov_b32 s28, -1
                                        ; implicit-def: $vgpr2
	s_branch .LBB94_1710
.LBB94_1700:
	s_and_not1_saveexec_b32 s29, s29
	s_cbranch_execz .LBB94_1686
.LBB94_1701:
	v_cmp_ne_u16_e32 vcc_lo, 0, v1
	s_and_not1_b32 s30, s30, exec_lo
	s_and_b32 s31, vcc_lo, exec_lo
	s_delay_alu instid0(SALU_CYCLE_1)
	s_or_b32 s30, s30, s31
	s_or_b32 exec_lo, exec_lo, s29
	v_mov_b32_e32 v2, 0
	s_and_saveexec_b32 s29, s30
	s_cbranch_execnz .LBB94_1687
	s_branch .LBB94_1688
.LBB94_1702:
	s_mov_b32 s28, -1
                                        ; implicit-def: $vgpr2
	s_branch .LBB94_1707
.LBB94_1703:
	s_mov_b32 s28, -1
                                        ; implicit-def: $vgpr2
.LBB94_1704:
	s_delay_alu instid0(SALU_CYCLE_1)
	s_and_b32 vcc_lo, exec_lo, s28
	s_cbranch_vccz .LBB94_1706
; %bb.1705:
	global_load_u8 v1, v[4:5], off
	s_wait_loadcnt 0x0
	v_lshlrev_b32_e32 v1, 24, v1
	s_delay_alu instid0(VALU_DEP_1) | instskip(NEXT) | instid1(VALU_DEP_1)
	v_and_b32_e32 v2, 0x7f000000, v1
	v_clz_i32_u32_e32 v3, v2
	v_cmp_ne_u32_e32 vcc_lo, 0, v2
	v_add_nc_u32_e32 v7, 0x1000000, v2
	s_delay_alu instid0(VALU_DEP_3) | instskip(NEXT) | instid1(VALU_DEP_1)
	v_min_u32_e32 v3, 32, v3
	v_sub_nc_u32_e64 v3, v3, 4 clamp
	s_delay_alu instid0(VALU_DEP_1) | instskip(NEXT) | instid1(VALU_DEP_1)
	v_dual_lshlrev_b32 v6, v3, v2 :: v_dual_lshlrev_b32 v3, 23, v3
	v_lshrrev_b32_e32 v6, 4, v6
	s_delay_alu instid0(VALU_DEP_1) | instskip(SKIP_1) | instid1(VALU_DEP_2)
	v_sub_nc_u32_e32 v3, v6, v3
	v_ashrrev_i32_e32 v6, 8, v7
	v_add_nc_u32_e32 v3, 0x3c000000, v3
	s_delay_alu instid0(VALU_DEP_1) | instskip(NEXT) | instid1(VALU_DEP_1)
	v_and_or_b32 v3, 0x7f800000, v6, v3
	v_cndmask_b32_e32 v2, 0, v3, vcc_lo
	s_delay_alu instid0(VALU_DEP_1) | instskip(NEXT) | instid1(VALU_DEP_1)
	v_and_or_b32 v1, 0x80000000, v1, v2
	v_cvt_i32_f32_e32 v2, v1
.LBB94_1706:
	s_mov_b32 s28, 0
.LBB94_1707:
	s_delay_alu instid0(SALU_CYCLE_1)
	s_and_not1_b32 vcc_lo, exec_lo, s28
	s_cbranch_vccnz .LBB94_1709
; %bb.1708:
	global_load_u8 v1, v[4:5], off
	s_wait_loadcnt 0x0
	v_lshlrev_b32_e32 v2, 25, v1
	v_lshlrev_b16 v1, 8, v1
	s_delay_alu instid0(VALU_DEP_1) | instskip(SKIP_1) | instid1(VALU_DEP_2)
	v_and_or_b32 v6, 0x7f00, v1, 0.5
	v_bfe_i32 v1, v1, 0, 16
	v_add_f32_e32 v6, -0.5, v6
	v_lshrrev_b32_e32 v3, 4, v2
	v_cmp_gt_u32_e32 vcc_lo, 0x8000000, v2
	s_delay_alu instid0(VALU_DEP_2) | instskip(NEXT) | instid1(VALU_DEP_1)
	v_or_b32_e32 v3, 0x70000000, v3
	v_mul_f32_e32 v3, 0x7800000, v3
	s_delay_alu instid0(VALU_DEP_1) | instskip(NEXT) | instid1(VALU_DEP_1)
	v_cndmask_b32_e32 v2, v3, v6, vcc_lo
	v_and_or_b32 v1, 0x80000000, v1, v2
	s_delay_alu instid0(VALU_DEP_1)
	v_cvt_i32_f32_e32 v2, v1
.LBB94_1709:
	s_mov_b32 s28, 0
	s_mov_b32 s29, -1
.LBB94_1710:
	s_and_not1_b32 vcc_lo, exec_lo, s28
	s_mov_b32 s28, 0
	s_cbranch_vccnz .LBB94_1721
; %bb.1711:
	s_cmp_gt_i32 s26, 14
	s_cbranch_scc0 .LBB94_1714
; %bb.1712:
	s_cmp_eq_u32 s26, 15
	s_cbranch_scc0 .LBB94_1717
; %bb.1713:
	global_load_u16 v1, v[4:5], off
	s_mov_b32 s27, 0
	s_mov_b32 s29, -1
	s_wait_loadcnt 0x0
	v_lshlrev_b32_e32 v1, 16, v1
	s_delay_alu instid0(VALU_DEP_1)
	v_cvt_i32_f32_e32 v2, v1
	s_branch .LBB94_1719
.LBB94_1714:
	s_mov_b32 s28, -1
	s_branch .LBB94_1718
.LBB94_1715:
	s_and_not1_saveexec_b32 s28, s28
	s_cbranch_execz .LBB94_1696
.LBB94_1716:
	v_cmp_ne_u16_e32 vcc_lo, 0, v1
	s_and_not1_b32 s29, s29, exec_lo
	s_and_b32 s30, vcc_lo, exec_lo
	s_delay_alu instid0(SALU_CYCLE_1)
	s_or_b32 s29, s29, s30
	s_or_b32 exec_lo, exec_lo, s28
	v_mov_b32_e32 v2, 0
	s_and_saveexec_b32 s28, s29
	s_cbranch_execnz .LBB94_1697
	s_branch .LBB94_1698
.LBB94_1717:
	s_mov_b32 s27, -1
.LBB94_1718:
                                        ; implicit-def: $vgpr2
.LBB94_1719:
	s_and_b32 vcc_lo, exec_lo, s28
	s_mov_b32 s28, 0
	s_cbranch_vccz .LBB94_1721
; %bb.1720:
	s_cmp_lg_u32 s26, 11
	s_mov_b32 s28, -1
	s_cselect_b32 s26, -1, 0
	s_and_not1_b32 s27, s27, exec_lo
	s_and_b32 s26, s26, exec_lo
	s_delay_alu instid0(SALU_CYCLE_1)
	s_or_b32 s27, s27, s26
.LBB94_1721:
	s_mov_b32 s30, 0
.LBB94_1722:
	s_and_b32 s26, s29, exec_lo
	s_and_b32 s29, s30, exec_lo
	s_and_not1_b32 s24, s24, exec_lo
	s_and_b32 s30, s27, exec_lo
	s_and_b32 s27, s28, exec_lo
	s_or_b32 s24, s24, s30
	s_wait_xcnt 0x0
	s_or_b32 exec_lo, exec_lo, s25
	s_and_saveexec_b32 s25, s24
	s_cbranch_execz .LBB94_1655
.LBB94_1723:
	s_or_b32 s22, s22, exec_lo
	s_and_not1_b32 s27, s27, exec_lo
	s_trap 2
	s_or_b32 exec_lo, exec_lo, s25
	s_and_saveexec_b32 s24, s27
	s_delay_alu instid0(SALU_CYCLE_1)
	s_xor_b32 s24, exec_lo, s24
	s_cbranch_execnz .LBB94_1656
.LBB94_1724:
	s_or_b32 exec_lo, exec_lo, s24
	s_and_saveexec_b32 s24, s29
	s_cbranch_execz .LBB94_1770
.LBB94_1725:
	s_sext_i32_i16 s25, s0
	s_delay_alu instid0(SALU_CYCLE_1)
	s_cmp_lt_i32 s25, 5
	s_cbranch_scc1 .LBB94_1730
; %bb.1726:
	s_cmp_lt_i32 s25, 8
	s_cbranch_scc1 .LBB94_1731
; %bb.1727:
	;; [unrolled: 3-line block ×3, first 2 shown]
	s_cmp_gt_i32 s25, 9
	s_cbranch_scc0 .LBB94_1733
; %bb.1729:
	s_wait_loadcnt 0x0
	global_load_b64 v[2:3], v[4:5], off
	s_mov_b32 s25, 0
	s_wait_loadcnt 0x0
	v_cvt_i32_f64_e32 v2, v[2:3]
	s_branch .LBB94_1734
.LBB94_1730:
                                        ; implicit-def: $vgpr2
	s_branch .LBB94_1751
.LBB94_1731:
                                        ; implicit-def: $vgpr2
	s_branch .LBB94_1740
.LBB94_1732:
	s_mov_b32 s25, -1
                                        ; implicit-def: $vgpr2
	s_branch .LBB94_1737
.LBB94_1733:
	s_mov_b32 s25, -1
                                        ; implicit-def: $vgpr2
.LBB94_1734:
	s_delay_alu instid0(SALU_CYCLE_1)
	s_and_not1_b32 vcc_lo, exec_lo, s25
	s_cbranch_vccnz .LBB94_1736
; %bb.1735:
	s_wait_loadcnt 0x0
	global_load_b32 v1, v[4:5], off
	s_wait_loadcnt 0x0
	v_cvt_i32_f32_e32 v2, v1
.LBB94_1736:
	s_mov_b32 s25, 0
.LBB94_1737:
	s_delay_alu instid0(SALU_CYCLE_1)
	s_and_not1_b32 vcc_lo, exec_lo, s25
	s_cbranch_vccnz .LBB94_1739
; %bb.1738:
	s_wait_loadcnt 0x0
	global_load_b32 v1, v[4:5], off
	s_wait_loadcnt 0x0
	v_cvt_i16_f16_e32 v2, v1
.LBB94_1739:
	s_cbranch_execnz .LBB94_1750
.LBB94_1740:
	s_sext_i32_i16 s25, s0
	s_delay_alu instid0(SALU_CYCLE_1)
	s_cmp_lt_i32 s25, 6
	s_cbranch_scc1 .LBB94_1743
; %bb.1741:
	s_cmp_gt_i32 s25, 6
	s_cbranch_scc0 .LBB94_1744
; %bb.1742:
	s_wait_loadcnt 0x0
	global_load_b64 v[2:3], v[4:5], off
	s_mov_b32 s25, 0
	s_wait_loadcnt 0x0
	v_cvt_i32_f64_e32 v2, v[2:3]
	s_branch .LBB94_1745
.LBB94_1743:
	s_mov_b32 s25, -1
                                        ; implicit-def: $vgpr2
	s_branch .LBB94_1748
.LBB94_1744:
	s_mov_b32 s25, -1
                                        ; implicit-def: $vgpr2
.LBB94_1745:
	s_delay_alu instid0(SALU_CYCLE_1)
	s_and_not1_b32 vcc_lo, exec_lo, s25
	s_cbranch_vccnz .LBB94_1747
; %bb.1746:
	s_wait_loadcnt 0x0
	global_load_b32 v1, v[4:5], off
	s_wait_loadcnt 0x0
	v_cvt_i32_f32_e32 v2, v1
.LBB94_1747:
	s_mov_b32 s25, 0
.LBB94_1748:
	s_delay_alu instid0(SALU_CYCLE_1)
	s_and_not1_b32 vcc_lo, exec_lo, s25
	s_cbranch_vccnz .LBB94_1750
; %bb.1749:
	s_wait_loadcnt 0x0
	global_load_u16 v1, v[4:5], off
	s_wait_loadcnt 0x0
	v_cvt_i16_f16_e32 v2, v1
.LBB94_1750:
	s_cbranch_execnz .LBB94_1769
.LBB94_1751:
	s_sext_i32_i16 s25, s0
	s_delay_alu instid0(SALU_CYCLE_1)
	s_cmp_lt_i32 s25, 2
	s_cbranch_scc1 .LBB94_1755
; %bb.1752:
	s_cmp_lt_i32 s25, 3
	s_cbranch_scc1 .LBB94_1756
; %bb.1753:
	s_cmp_gt_i32 s25, 3
	s_cbranch_scc0 .LBB94_1757
; %bb.1754:
	s_wait_loadcnt 0x0
	global_load_b64 v[2:3], v[4:5], off
	s_mov_b32 s25, 0
	s_branch .LBB94_1758
.LBB94_1755:
                                        ; implicit-def: $vgpr2
	s_branch .LBB94_1764
.LBB94_1756:
	s_mov_b32 s25, -1
                                        ; implicit-def: $vgpr2
	s_branch .LBB94_1761
.LBB94_1757:
	s_mov_b32 s25, -1
                                        ; implicit-def: $vgpr2
.LBB94_1758:
	s_delay_alu instid0(SALU_CYCLE_1)
	s_and_not1_b32 vcc_lo, exec_lo, s25
	s_cbranch_vccnz .LBB94_1760
; %bb.1759:
	s_wait_loadcnt 0x0
	global_load_b32 v2, v[4:5], off
.LBB94_1760:
	s_mov_b32 s25, 0
.LBB94_1761:
	s_delay_alu instid0(SALU_CYCLE_1)
	s_and_not1_b32 vcc_lo, exec_lo, s25
	s_cbranch_vccnz .LBB94_1763
; %bb.1762:
	s_wait_loadcnt 0x0
	global_load_u16 v2, v[4:5], off
.LBB94_1763:
	s_cbranch_execnz .LBB94_1769
.LBB94_1764:
	s_sext_i32_i16 s0, s0
	s_delay_alu instid0(SALU_CYCLE_1)
	s_cmp_gt_i32 s0, 0
	s_mov_b32 s0, 0
	s_cbranch_scc0 .LBB94_1766
; %bb.1765:
	s_wait_loadcnt 0x0
	global_load_i8 v2, v[4:5], off
	s_branch .LBB94_1767
.LBB94_1766:
	s_mov_b32 s0, -1
                                        ; implicit-def: $vgpr2
.LBB94_1767:
	s_delay_alu instid0(SALU_CYCLE_1)
	s_and_not1_b32 vcc_lo, exec_lo, s0
	s_cbranch_vccnz .LBB94_1769
; %bb.1768:
	s_wait_loadcnt 0x0
	global_load_u8 v2, v[4:5], off
.LBB94_1769:
	s_or_b32 s26, s26, exec_lo
.LBB94_1770:
	s_wait_xcnt 0x0
	s_or_b32 exec_lo, exec_lo, s24
	s_mov_b32 s25, 0
	s_mov_b32 s24, 0
	s_mov_b32 s27, 0
                                        ; implicit-def: $vgpr4_vgpr5
                                        ; implicit-def: $vgpr6
	s_and_saveexec_b32 s0, s26
	s_cbranch_execz .LBB94_1778
; %bb.1771:
	v_mul_lo_u32 v4, v26, s15
	s_and_b32 s24, 0xffff, s16
	s_delay_alu instid0(SALU_CYCLE_1) | instskip(NEXT) | instid1(VALU_DEP_1)
	s_cmp_lt_i32 s24, 11
	v_ashrrev_i32_e32 v5, 31, v4
	s_delay_alu instid0(VALU_DEP_1)
	v_add_nc_u64_e32 v[4:5], s[10:11], v[4:5]
	s_cbranch_scc1 .LBB94_1781
; %bb.1772:
	s_cmp_gt_i32 s24, 25
	s_mov_b32 s26, 0
	s_cbranch_scc0 .LBB94_1782
; %bb.1773:
	s_cmp_gt_i32 s24, 28
	s_cbranch_scc0 .LBB94_1783
; %bb.1774:
	s_cmp_gt_i32 s24, 43
	;; [unrolled: 3-line block ×3, first 2 shown]
	s_cbranch_scc0 .LBB94_1785
; %bb.1776:
	s_cmp_eq_u32 s24, 46
	s_mov_b32 s28, 0
	s_cbranch_scc0 .LBB94_1786
; %bb.1777:
	s_wait_loadcnt 0x0
	global_load_b32 v1, v[4:5], off
	s_mov_b32 s27, -1
	s_wait_loadcnt 0x0
	v_lshlrev_b32_e32 v1, 16, v1
	s_delay_alu instid0(VALU_DEP_1)
	v_cvt_i32_f32_e32 v6, v1
	s_branch .LBB94_1788
.LBB94_1778:
	s_or_b32 exec_lo, exec_lo, s0
	s_and_saveexec_b32 s0, s23
	s_cbranch_execnz .LBB94_1847
.LBB94_1779:
	s_or_b32 exec_lo, exec_lo, s0
	s_and_saveexec_b32 s0, s25
	s_delay_alu instid0(SALU_CYCLE_1)
	s_xor_b32 s0, exec_lo, s0
	s_cbranch_execz .LBB94_1848
.LBB94_1780:
	s_wait_loadcnt 0x0
	global_load_u8 v1, v[4:5], off
	s_or_b32 s27, s27, exec_lo
	s_wait_loadcnt 0x0
	v_cmp_ne_u16_e32 vcc_lo, 0, v1
	v_cndmask_b32_e64 v6, 0, 1, vcc_lo
	s_wait_xcnt 0x0
	s_or_b32 exec_lo, exec_lo, s0
	s_and_saveexec_b32 s0, s24
	s_cbranch_execz .LBB94_1894
	s_branch .LBB94_1849
.LBB94_1781:
	s_mov_b32 s24, -1
	s_mov_b32 s26, 0
	s_mov_b32 s25, s23
                                        ; implicit-def: $vgpr6
	s_branch .LBB94_1846
.LBB94_1782:
	s_mov_b32 s25, s23
                                        ; implicit-def: $vgpr6
	s_cbranch_execnz .LBB94_1815
	s_branch .LBB94_1845
.LBB94_1783:
	s_mov_b32 s28, -1
	s_mov_b32 s25, s23
                                        ; implicit-def: $vgpr6
	s_branch .LBB94_1798
.LBB94_1784:
	s_mov_b32 s28, -1
	s_mov_b32 s25, s23
                                        ; implicit-def: $vgpr6
	s_branch .LBB94_1793
.LBB94_1785:
	s_mov_b32 s28, -1
	s_mov_b32 s25, s23
	s_branch .LBB94_1787
.LBB94_1786:
	s_mov_b32 s25, -1
.LBB94_1787:
                                        ; implicit-def: $vgpr6
.LBB94_1788:
	s_and_b32 vcc_lo, exec_lo, s28
	s_cbranch_vccz .LBB94_1792
; %bb.1789:
	s_cmp_eq_u32 s24, 44
	s_cbranch_scc0 .LBB94_1791
; %bb.1790:
	s_wait_loadcnt 0x0
	global_load_u8 v1, v[4:5], off
	s_mov_b32 s25, 0
	s_mov_b32 s27, -1
	s_wait_loadcnt 0x0
	v_lshlrev_b32_e32 v3, 23, v1
	v_cmp_ne_u32_e32 vcc_lo, 0, v1
	s_delay_alu instid0(VALU_DEP_2) | instskip(NEXT) | instid1(VALU_DEP_1)
	v_cvt_i32_f32_e32 v3, v3
	v_cndmask_b32_e32 v6, 0, v3, vcc_lo
	s_branch .LBB94_1792
.LBB94_1791:
	s_mov_b32 s25, -1
                                        ; implicit-def: $vgpr6
.LBB94_1792:
	s_mov_b32 s28, 0
.LBB94_1793:
	s_delay_alu instid0(SALU_CYCLE_1)
	s_and_b32 vcc_lo, exec_lo, s28
	s_cbranch_vccz .LBB94_1797
; %bb.1794:
	s_cmp_eq_u32 s24, 29
	s_cbranch_scc0 .LBB94_1796
; %bb.1795:
	s_wait_loadcnt 0x0
	global_load_b64 v[6:7], v[4:5], off
	s_mov_b32 s25, 0
	s_mov_b32 s27, -1
	s_branch .LBB94_1797
.LBB94_1796:
	s_mov_b32 s25, -1
                                        ; implicit-def: $vgpr6
.LBB94_1797:
	s_mov_b32 s28, 0
.LBB94_1798:
	s_delay_alu instid0(SALU_CYCLE_1)
	s_and_b32 vcc_lo, exec_lo, s28
	s_cbranch_vccz .LBB94_1814
; %bb.1799:
	s_cmp_lt_i32 s24, 27
	s_cbranch_scc1 .LBB94_1802
; %bb.1800:
	s_cmp_gt_i32 s24, 27
	s_cbranch_scc0 .LBB94_1803
; %bb.1801:
	s_wait_loadcnt 0x0
	global_load_b32 v6, v[4:5], off
	s_mov_b32 s27, 0
	s_branch .LBB94_1804
.LBB94_1802:
	s_mov_b32 s27, -1
                                        ; implicit-def: $vgpr6
	s_branch .LBB94_1807
.LBB94_1803:
	s_mov_b32 s27, -1
                                        ; implicit-def: $vgpr6
.LBB94_1804:
	s_delay_alu instid0(SALU_CYCLE_1)
	s_and_not1_b32 vcc_lo, exec_lo, s27
	s_cbranch_vccnz .LBB94_1806
; %bb.1805:
	s_wait_loadcnt 0x0
	global_load_u16 v6, v[4:5], off
.LBB94_1806:
	s_mov_b32 s27, 0
.LBB94_1807:
	s_delay_alu instid0(SALU_CYCLE_1)
	s_and_not1_b32 vcc_lo, exec_lo, s27
	s_cbranch_vccnz .LBB94_1813
; %bb.1808:
	s_wait_loadcnt 0x0
	global_load_u8 v1, v[4:5], off
	s_mov_b32 s28, 0
	s_mov_b32 s27, exec_lo
	s_wait_loadcnt 0x0
	v_cmpx_lt_i16_e32 0x7f, v1
	s_xor_b32 s27, exec_lo, s27
	s_cbranch_execz .LBB94_1824
; %bb.1809:
	v_cmp_ne_u16_e32 vcc_lo, 0x80, v1
	s_and_b32 s28, vcc_lo, exec_lo
	s_and_not1_saveexec_b32 s27, s27
	s_cbranch_execnz .LBB94_1825
.LBB94_1810:
	s_or_b32 exec_lo, exec_lo, s27
	v_mov_b32_e32 v6, 0
	s_and_saveexec_b32 s27, s28
	s_cbranch_execz .LBB94_1812
.LBB94_1811:
	v_and_b32_e32 v3, 0xffff, v1
	s_delay_alu instid0(VALU_DEP_1) | instskip(SKIP_1) | instid1(VALU_DEP_2)
	v_dual_lshlrev_b32 v1, 24, v1 :: v_dual_bitop2_b32 v6, 7, v3 bitop3:0x40
	v_bfe_u32 v9, v3, 3, 4
	v_and_b32_e32 v1, 0x80000000, v1
	s_delay_alu instid0(VALU_DEP_3) | instskip(NEXT) | instid1(VALU_DEP_3)
	v_clz_i32_u32_e32 v7, v6
	v_cmp_eq_u32_e32 vcc_lo, 0, v9
	s_delay_alu instid0(VALU_DEP_2) | instskip(NEXT) | instid1(VALU_DEP_1)
	v_min_u32_e32 v7, 32, v7
	v_subrev_nc_u32_e32 v8, 28, v7
	v_sub_nc_u32_e32 v7, 29, v7
	s_delay_alu instid0(VALU_DEP_2) | instskip(NEXT) | instid1(VALU_DEP_2)
	v_lshlrev_b32_e32 v3, v8, v3
	v_cndmask_b32_e32 v7, v9, v7, vcc_lo
	s_delay_alu instid0(VALU_DEP_2) | instskip(NEXT) | instid1(VALU_DEP_1)
	v_and_b32_e32 v3, 7, v3
	v_cndmask_b32_e32 v3, v6, v3, vcc_lo
	s_delay_alu instid0(VALU_DEP_3) | instskip(NEXT) | instid1(VALU_DEP_2)
	v_lshl_add_u32 v6, v7, 23, 0x3b800000
	v_lshlrev_b32_e32 v3, 20, v3
	s_delay_alu instid0(VALU_DEP_1) | instskip(NEXT) | instid1(VALU_DEP_1)
	v_or3_b32 v1, v1, v6, v3
	v_cvt_i32_f32_e32 v6, v1
.LBB94_1812:
	s_or_b32 exec_lo, exec_lo, s27
.LBB94_1813:
	s_mov_b32 s27, -1
.LBB94_1814:
	s_branch .LBB94_1845
.LBB94_1815:
	s_cmp_gt_i32 s24, 22
	s_cbranch_scc0 .LBB94_1823
; %bb.1816:
	s_cmp_lt_i32 s24, 24
	s_cbranch_scc1 .LBB94_1826
; %bb.1817:
	s_cmp_gt_i32 s24, 24
	s_cbranch_scc0 .LBB94_1827
; %bb.1818:
	s_wait_loadcnt 0x0
	global_load_u8 v1, v[4:5], off
	s_mov_b32 s27, 0
	s_mov_b32 s26, exec_lo
	s_wait_loadcnt 0x0
	v_cmpx_lt_i16_e32 0x7f, v1
	s_xor_b32 s26, exec_lo, s26
	s_cbranch_execz .LBB94_1839
; %bb.1819:
	v_cmp_ne_u16_e32 vcc_lo, 0x80, v1
	s_and_b32 s27, vcc_lo, exec_lo
	s_and_not1_saveexec_b32 s26, s26
	s_cbranch_execnz .LBB94_1840
.LBB94_1820:
	s_or_b32 exec_lo, exec_lo, s26
	v_mov_b32_e32 v6, 0
	s_and_saveexec_b32 s26, s27
	s_cbranch_execz .LBB94_1822
.LBB94_1821:
	v_and_b32_e32 v3, 0xffff, v1
	s_delay_alu instid0(VALU_DEP_1) | instskip(SKIP_1) | instid1(VALU_DEP_2)
	v_dual_lshlrev_b32 v1, 24, v1 :: v_dual_bitop2_b32 v6, 3, v3 bitop3:0x40
	v_bfe_u32 v9, v3, 2, 5
	v_and_b32_e32 v1, 0x80000000, v1
	s_delay_alu instid0(VALU_DEP_3) | instskip(NEXT) | instid1(VALU_DEP_3)
	v_clz_i32_u32_e32 v7, v6
	v_cmp_eq_u32_e32 vcc_lo, 0, v9
	s_delay_alu instid0(VALU_DEP_2) | instskip(NEXT) | instid1(VALU_DEP_1)
	v_min_u32_e32 v7, 32, v7
	v_subrev_nc_u32_e32 v8, 29, v7
	v_sub_nc_u32_e32 v7, 30, v7
	s_delay_alu instid0(VALU_DEP_2) | instskip(NEXT) | instid1(VALU_DEP_2)
	v_lshlrev_b32_e32 v3, v8, v3
	v_cndmask_b32_e32 v7, v9, v7, vcc_lo
	s_delay_alu instid0(VALU_DEP_2) | instskip(NEXT) | instid1(VALU_DEP_1)
	v_and_b32_e32 v3, 3, v3
	v_cndmask_b32_e32 v3, v6, v3, vcc_lo
	s_delay_alu instid0(VALU_DEP_3) | instskip(NEXT) | instid1(VALU_DEP_2)
	v_lshl_add_u32 v6, v7, 23, 0x37800000
	v_lshlrev_b32_e32 v3, 21, v3
	s_delay_alu instid0(VALU_DEP_1) | instskip(NEXT) | instid1(VALU_DEP_1)
	v_or3_b32 v1, v1, v6, v3
	v_cvt_i32_f32_e32 v6, v1
.LBB94_1822:
	s_or_b32 exec_lo, exec_lo, s26
	s_mov_b32 s26, 0
	s_branch .LBB94_1828
.LBB94_1823:
	s_mov_b32 s26, -1
                                        ; implicit-def: $vgpr6
	s_branch .LBB94_1834
.LBB94_1824:
	s_and_not1_saveexec_b32 s27, s27
	s_cbranch_execz .LBB94_1810
.LBB94_1825:
	v_cmp_ne_u16_e32 vcc_lo, 0, v1
	s_and_not1_b32 s28, s28, exec_lo
	s_and_b32 s29, vcc_lo, exec_lo
	s_delay_alu instid0(SALU_CYCLE_1)
	s_or_b32 s28, s28, s29
	s_or_b32 exec_lo, exec_lo, s27
	v_mov_b32_e32 v6, 0
	s_and_saveexec_b32 s27, s28
	s_cbranch_execnz .LBB94_1811
	s_branch .LBB94_1812
.LBB94_1826:
	s_mov_b32 s26, -1
                                        ; implicit-def: $vgpr6
	s_branch .LBB94_1831
.LBB94_1827:
	s_mov_b32 s26, -1
                                        ; implicit-def: $vgpr6
.LBB94_1828:
	s_delay_alu instid0(SALU_CYCLE_1)
	s_and_b32 vcc_lo, exec_lo, s26
	s_cbranch_vccz .LBB94_1830
; %bb.1829:
	s_wait_loadcnt 0x0
	global_load_u8 v1, v[4:5], off
	s_wait_loadcnt 0x0
	v_lshlrev_b32_e32 v1, 24, v1
	s_delay_alu instid0(VALU_DEP_1) | instskip(NEXT) | instid1(VALU_DEP_1)
	v_and_b32_e32 v3, 0x7f000000, v1
	v_clz_i32_u32_e32 v6, v3
	v_cmp_ne_u32_e32 vcc_lo, 0, v3
	v_add_nc_u32_e32 v8, 0x1000000, v3
	s_delay_alu instid0(VALU_DEP_3) | instskip(NEXT) | instid1(VALU_DEP_1)
	v_min_u32_e32 v6, 32, v6
	v_sub_nc_u32_e64 v6, v6, 4 clamp
	s_delay_alu instid0(VALU_DEP_1) | instskip(NEXT) | instid1(VALU_DEP_1)
	v_dual_lshlrev_b32 v7, v6, v3 :: v_dual_lshlrev_b32 v6, 23, v6
	v_lshrrev_b32_e32 v7, 4, v7
	s_delay_alu instid0(VALU_DEP_1) | instskip(NEXT) | instid1(VALU_DEP_1)
	v_dual_sub_nc_u32 v6, v7, v6 :: v_dual_ashrrev_i32 v7, 8, v8
	v_add_nc_u32_e32 v6, 0x3c000000, v6
	s_delay_alu instid0(VALU_DEP_1) | instskip(NEXT) | instid1(VALU_DEP_1)
	v_and_or_b32 v6, 0x7f800000, v7, v6
	v_cndmask_b32_e32 v3, 0, v6, vcc_lo
	s_delay_alu instid0(VALU_DEP_1) | instskip(NEXT) | instid1(VALU_DEP_1)
	v_and_or_b32 v1, 0x80000000, v1, v3
	v_cvt_i32_f32_e32 v6, v1
.LBB94_1830:
	s_mov_b32 s26, 0
.LBB94_1831:
	s_delay_alu instid0(SALU_CYCLE_1)
	s_and_not1_b32 vcc_lo, exec_lo, s26
	s_cbranch_vccnz .LBB94_1833
; %bb.1832:
	s_wait_loadcnt 0x0
	global_load_u8 v1, v[4:5], off
	s_wait_loadcnt 0x0
	v_lshlrev_b32_e32 v3, 25, v1
	v_lshlrev_b16 v1, 8, v1
	s_delay_alu instid0(VALU_DEP_1) | instskip(SKIP_1) | instid1(VALU_DEP_2)
	v_and_or_b32 v7, 0x7f00, v1, 0.5
	v_bfe_i32 v1, v1, 0, 16
	v_add_f32_e32 v7, -0.5, v7
	v_lshrrev_b32_e32 v6, 4, v3
	v_cmp_gt_u32_e32 vcc_lo, 0x8000000, v3
	s_delay_alu instid0(VALU_DEP_2) | instskip(NEXT) | instid1(VALU_DEP_1)
	v_or_b32_e32 v6, 0x70000000, v6
	v_mul_f32_e32 v6, 0x7800000, v6
	s_delay_alu instid0(VALU_DEP_1) | instskip(NEXT) | instid1(VALU_DEP_1)
	v_cndmask_b32_e32 v3, v6, v7, vcc_lo
	v_and_or_b32 v1, 0x80000000, v1, v3
	s_delay_alu instid0(VALU_DEP_1)
	v_cvt_i32_f32_e32 v6, v1
.LBB94_1833:
	s_mov_b32 s26, 0
	s_mov_b32 s27, -1
.LBB94_1834:
	s_and_not1_b32 vcc_lo, exec_lo, s26
	s_mov_b32 s26, 0
	s_cbranch_vccnz .LBB94_1845
; %bb.1835:
	s_cmp_gt_i32 s24, 14
	s_cbranch_scc0 .LBB94_1838
; %bb.1836:
	s_cmp_eq_u32 s24, 15
	s_cbranch_scc0 .LBB94_1841
; %bb.1837:
	s_wait_loadcnt 0x0
	global_load_u16 v1, v[4:5], off
	s_mov_b32 s25, 0
	s_mov_b32 s27, -1
	s_wait_loadcnt 0x0
	v_lshlrev_b32_e32 v1, 16, v1
	s_delay_alu instid0(VALU_DEP_1)
	v_cvt_i32_f32_e32 v6, v1
	s_branch .LBB94_1843
.LBB94_1838:
	s_mov_b32 s26, -1
	s_branch .LBB94_1842
.LBB94_1839:
	s_and_not1_saveexec_b32 s26, s26
	s_cbranch_execz .LBB94_1820
.LBB94_1840:
	v_cmp_ne_u16_e32 vcc_lo, 0, v1
	s_and_not1_b32 s27, s27, exec_lo
	s_and_b32 s28, vcc_lo, exec_lo
	s_delay_alu instid0(SALU_CYCLE_1)
	s_or_b32 s27, s27, s28
	s_or_b32 exec_lo, exec_lo, s26
	v_mov_b32_e32 v6, 0
	s_and_saveexec_b32 s26, s27
	s_cbranch_execnz .LBB94_1821
	s_branch .LBB94_1822
.LBB94_1841:
	s_mov_b32 s25, -1
.LBB94_1842:
                                        ; implicit-def: $vgpr6
.LBB94_1843:
	s_and_b32 vcc_lo, exec_lo, s26
	s_mov_b32 s26, 0
	s_cbranch_vccz .LBB94_1845
; %bb.1844:
	s_cmp_lg_u32 s24, 11
	s_mov_b32 s26, -1
	s_cselect_b32 s24, -1, 0
	s_and_not1_b32 s25, s25, exec_lo
	s_and_b32 s24, s24, exec_lo
	s_delay_alu instid0(SALU_CYCLE_1)
	s_or_b32 s25, s25, s24
.LBB94_1845:
	s_mov_b32 s24, 0
.LBB94_1846:
	s_and_not1_b32 s23, s23, exec_lo
	s_and_b32 s28, s25, exec_lo
	s_and_b32 s27, s27, exec_lo
	;; [unrolled: 1-line block ×4, first 2 shown]
	s_or_b32 s23, s23, s28
	s_wait_xcnt 0x0
	s_or_b32 exec_lo, exec_lo, s0
	s_and_saveexec_b32 s0, s23
	s_cbranch_execz .LBB94_1779
.LBB94_1847:
	s_or_b32 s22, s22, exec_lo
	s_and_not1_b32 s25, s25, exec_lo
	s_trap 2
	s_or_b32 exec_lo, exec_lo, s0
	s_and_saveexec_b32 s0, s25
	s_delay_alu instid0(SALU_CYCLE_1)
	s_xor_b32 s0, exec_lo, s0
	s_cbranch_execnz .LBB94_1780
.LBB94_1848:
	s_or_b32 exec_lo, exec_lo, s0
	s_and_saveexec_b32 s0, s24
	s_cbranch_execz .LBB94_1894
.LBB94_1849:
	s_sext_i32_i16 s23, s16
	s_delay_alu instid0(SALU_CYCLE_1)
	s_cmp_lt_i32 s23, 5
	s_cbranch_scc1 .LBB94_1854
; %bb.1850:
	s_cmp_lt_i32 s23, 8
	s_cbranch_scc1 .LBB94_1855
; %bb.1851:
	;; [unrolled: 3-line block ×3, first 2 shown]
	s_cmp_gt_i32 s23, 9
	s_cbranch_scc0 .LBB94_1857
; %bb.1853:
	s_wait_loadcnt 0x0
	global_load_b64 v[6:7], v[4:5], off
	s_mov_b32 s23, 0
	s_wait_loadcnt 0x0
	v_cvt_i32_f64_e32 v6, v[6:7]
	s_branch .LBB94_1858
.LBB94_1854:
                                        ; implicit-def: $vgpr6
	s_branch .LBB94_1875
.LBB94_1855:
                                        ; implicit-def: $vgpr6
	s_branch .LBB94_1864
.LBB94_1856:
	s_mov_b32 s23, -1
                                        ; implicit-def: $vgpr6
	s_branch .LBB94_1861
.LBB94_1857:
	s_mov_b32 s23, -1
                                        ; implicit-def: $vgpr6
.LBB94_1858:
	s_delay_alu instid0(SALU_CYCLE_1)
	s_and_not1_b32 vcc_lo, exec_lo, s23
	s_cbranch_vccnz .LBB94_1860
; %bb.1859:
	s_wait_loadcnt 0x0
	global_load_b32 v1, v[4:5], off
	s_wait_loadcnt 0x0
	v_cvt_i32_f32_e32 v6, v1
.LBB94_1860:
	s_mov_b32 s23, 0
.LBB94_1861:
	s_delay_alu instid0(SALU_CYCLE_1)
	s_and_not1_b32 vcc_lo, exec_lo, s23
	s_cbranch_vccnz .LBB94_1863
; %bb.1862:
	s_wait_loadcnt 0x0
	global_load_b32 v1, v[4:5], off
	s_wait_loadcnt 0x0
	v_cvt_i16_f16_e32 v6, v1
.LBB94_1863:
	s_cbranch_execnz .LBB94_1874
.LBB94_1864:
	s_sext_i32_i16 s23, s16
	s_delay_alu instid0(SALU_CYCLE_1)
	s_cmp_lt_i32 s23, 6
	s_cbranch_scc1 .LBB94_1867
; %bb.1865:
	s_cmp_gt_i32 s23, 6
	s_cbranch_scc0 .LBB94_1868
; %bb.1866:
	s_wait_loadcnt 0x0
	global_load_b64 v[6:7], v[4:5], off
	s_mov_b32 s23, 0
	s_wait_loadcnt 0x0
	v_cvt_i32_f64_e32 v6, v[6:7]
	s_branch .LBB94_1869
.LBB94_1867:
	s_mov_b32 s23, -1
                                        ; implicit-def: $vgpr6
	s_branch .LBB94_1872
.LBB94_1868:
	s_mov_b32 s23, -1
                                        ; implicit-def: $vgpr6
.LBB94_1869:
	s_delay_alu instid0(SALU_CYCLE_1)
	s_and_not1_b32 vcc_lo, exec_lo, s23
	s_cbranch_vccnz .LBB94_1871
; %bb.1870:
	s_wait_loadcnt 0x0
	global_load_b32 v1, v[4:5], off
	s_wait_loadcnt 0x0
	v_cvt_i32_f32_e32 v6, v1
.LBB94_1871:
	s_mov_b32 s23, 0
.LBB94_1872:
	s_delay_alu instid0(SALU_CYCLE_1)
	s_and_not1_b32 vcc_lo, exec_lo, s23
	s_cbranch_vccnz .LBB94_1874
; %bb.1873:
	s_wait_loadcnt 0x0
	global_load_u16 v1, v[4:5], off
	s_wait_loadcnt 0x0
	v_cvt_i16_f16_e32 v6, v1
.LBB94_1874:
	s_cbranch_execnz .LBB94_1893
.LBB94_1875:
	s_sext_i32_i16 s23, s16
	s_delay_alu instid0(SALU_CYCLE_1)
	s_cmp_lt_i32 s23, 2
	s_cbranch_scc1 .LBB94_1879
; %bb.1876:
	s_cmp_lt_i32 s23, 3
	s_cbranch_scc1 .LBB94_1880
; %bb.1877:
	s_cmp_gt_i32 s23, 3
	s_cbranch_scc0 .LBB94_1881
; %bb.1878:
	s_wait_loadcnt 0x0
	global_load_b64 v[6:7], v[4:5], off
	s_mov_b32 s23, 0
	s_branch .LBB94_1882
.LBB94_1879:
                                        ; implicit-def: $vgpr6
	s_branch .LBB94_1888
.LBB94_1880:
	s_mov_b32 s23, -1
                                        ; implicit-def: $vgpr6
	s_branch .LBB94_1885
.LBB94_1881:
	s_mov_b32 s23, -1
                                        ; implicit-def: $vgpr6
.LBB94_1882:
	s_delay_alu instid0(SALU_CYCLE_1)
	s_and_not1_b32 vcc_lo, exec_lo, s23
	s_cbranch_vccnz .LBB94_1884
; %bb.1883:
	s_wait_loadcnt 0x0
	global_load_b32 v6, v[4:5], off
.LBB94_1884:
	s_mov_b32 s23, 0
.LBB94_1885:
	s_delay_alu instid0(SALU_CYCLE_1)
	s_and_not1_b32 vcc_lo, exec_lo, s23
	s_cbranch_vccnz .LBB94_1887
; %bb.1886:
	s_wait_loadcnt 0x0
	global_load_u16 v6, v[4:5], off
.LBB94_1887:
	s_cbranch_execnz .LBB94_1893
.LBB94_1888:
	s_sext_i32_i16 s23, s16
	s_delay_alu instid0(SALU_CYCLE_1)
	s_cmp_gt_i32 s23, 0
	s_mov_b32 s23, 0
	s_cbranch_scc0 .LBB94_1890
; %bb.1889:
	s_wait_loadcnt 0x0
	global_load_i8 v6, v[4:5], off
	s_branch .LBB94_1891
.LBB94_1890:
	s_mov_b32 s23, -1
                                        ; implicit-def: $vgpr6
.LBB94_1891:
	s_delay_alu instid0(SALU_CYCLE_1)
	s_and_not1_b32 vcc_lo, exec_lo, s23
	s_cbranch_vccnz .LBB94_1893
; %bb.1892:
	s_wait_loadcnt 0x0
	global_load_u8 v6, v[4:5], off
.LBB94_1893:
	s_or_b32 s27, s27, exec_lo
.LBB94_1894:
	s_wait_xcnt 0x0
	s_or_b32 exec_lo, exec_lo, s0
	s_mov_b32 s0, 0
	s_mov_b32 s25, 0
                                        ; implicit-def: $sgpr23
                                        ; implicit-def: $vgpr4_vgpr5
                                        ; implicit-def: $vgpr3
	s_and_saveexec_b32 s24, s27
	s_cbranch_execz .LBB94_1902
; %bb.1895:
	v_mul_lo_u32 v4, v26, s12
	s_wait_loadcnt 0x0
	v_mul_lo_u16 v0, v0, s2
	v_mul_lo_u16 v1, v2, s1
	s_and_b32 s23, s3, 0xff
	s_delay_alu instid0(SALU_CYCLE_1) | instskip(NEXT) | instid1(VALU_DEP_1)
	s_cmp_lt_i32 s23, 11
	v_mad_u16 v3, v1, v6, v0
	s_delay_alu instid0(VALU_DEP_4) | instskip(NEXT) | instid1(VALU_DEP_1)
	v_ashrrev_i32_e32 v5, 31, v4
	v_add_nc_u64_e32 v[4:5], s[4:5], v[4:5]
	s_cbranch_scc1 .LBB94_1905
; %bb.1896:
	s_and_b32 s25, 0xffff, s23
	s_mov_b32 s26, -1
	s_cmp_gt_i32 s25, 25
	s_mov_b32 s0, s21
	s_cbranch_scc0 .LBB94_1933
; %bb.1897:
	s_cmp_gt_i32 s25, 28
	s_mov_b32 s0, s21
	s_cbranch_scc0 .LBB94_1917
; %bb.1898:
	s_cmp_gt_i32 s25, 43
	s_mov_b32 s0, s21
	s_cbranch_scc0 .LBB94_1913
; %bb.1899:
	s_cmp_gt_i32 s25, 45
	s_mov_b32 s0, s21
	s_cbranch_scc0 .LBB94_1907
; %bb.1900:
	s_cmp_eq_u32 s25, 46
	s_mov_b32 s0, -1
	s_cbranch_scc0 .LBB94_1906
; %bb.1901:
	v_bfe_i32 v0, v3, 0, 16
	s_mov_b32 s0, 0
	s_mov_b32 s26, 0
	s_delay_alu instid0(VALU_DEP_1) | instskip(NEXT) | instid1(VALU_DEP_1)
	v_cvt_f32_i32_e32 v0, v0
	v_bfe_u32 v1, v0, 16, 1
	s_delay_alu instid0(VALU_DEP_1) | instskip(NEXT) | instid1(VALU_DEP_1)
	v_add3_u32 v0, v0, v1, 0x7fff
	v_lshrrev_b32_e32 v0, 16, v0
	global_store_b32 v[4:5], v0, off
	s_branch .LBB94_1907
.LBB94_1902:
	s_or_b32 exec_lo, exec_lo, s24
	s_and_saveexec_b32 s24, s21
	s_cbranch_execnz .LBB94_1975
.LBB94_1903:
	s_or_b32 exec_lo, exec_lo, s24
	s_and_saveexec_b32 s21, s0
	s_delay_alu instid0(SALU_CYCLE_1)
	s_xor_b32 s0, exec_lo, s21
	s_cbranch_execz .LBB94_1976
.LBB94_1904:
	s_wait_loadcnt 0x0
	v_cmp_ne_u16_e32 vcc_lo, 0, v3
	v_cndmask_b32_e64 v0, 0, 1, vcc_lo
	global_store_b8 v[4:5], v0, off
	s_wait_xcnt 0x0
	s_or_b32 exec_lo, exec_lo, s0
	s_and_saveexec_b32 s0, s25
	s_delay_alu instid0(SALU_CYCLE_1)
	s_xor_b32 s0, exec_lo, s0
	s_cbranch_execz .LBB94_2014
	s_branch .LBB94_1977
.LBB94_1905:
	s_mov_b32 s27, 0
	s_mov_b32 s26, -1
	s_mov_b32 s0, s21
	s_branch .LBB94_1974
.LBB94_1906:
	s_mov_b32 s26, 0
.LBB94_1907:
	s_delay_alu instid0(SALU_CYCLE_1)
	s_and_b32 vcc_lo, exec_lo, s26
	s_cbranch_vccz .LBB94_1912
; %bb.1908:
	s_cmp_eq_u32 s25, 44
	s_mov_b32 s0, -1
	s_cbranch_scc0 .LBB94_1912
; %bb.1909:
	s_wait_xcnt 0x0
	v_bfe_i32 v0, v3, 0, 16
	v_mov_b32_e32 v1, 0xff
	s_mov_b32 s26, exec_lo
	s_delay_alu instid0(VALU_DEP_2) | instskip(NEXT) | instid1(VALU_DEP_1)
	v_cvt_f32_i32_e32 v0, v0
	v_bfe_u32 v2, v0, 23, 8
	s_delay_alu instid0(VALU_DEP_1)
	v_cmpx_ne_u32_e32 0xff, v2
	s_cbranch_execz .LBB94_1911
; %bb.1910:
	v_and_b32_e32 v1, 0x400000, v0
	v_and_or_b32 v2, 0x3fffff, v0, v2
	v_lshrrev_b32_e32 v0, 23, v0
	s_delay_alu instid0(VALU_DEP_3) | instskip(NEXT) | instid1(VALU_DEP_3)
	v_cmp_ne_u32_e32 vcc_lo, 0, v1
	v_cmp_ne_u32_e64 s0, 0, v2
	s_and_b32 s0, vcc_lo, s0
	s_delay_alu instid0(SALU_CYCLE_1) | instskip(NEXT) | instid1(VALU_DEP_1)
	v_cndmask_b32_e64 v1, 0, 1, s0
	v_add_nc_u32_e32 v1, v0, v1
.LBB94_1911:
	s_or_b32 exec_lo, exec_lo, s26
	s_mov_b32 s0, 0
	global_store_b8 v[4:5], v1, off
.LBB94_1912:
	s_mov_b32 s26, 0
.LBB94_1913:
	s_delay_alu instid0(SALU_CYCLE_1)
	s_and_b32 vcc_lo, exec_lo, s26
	s_cbranch_vccz .LBB94_1916
; %bb.1914:
	s_cmp_eq_u32 s25, 29
	s_mov_b32 s0, -1
	s_cbranch_scc0 .LBB94_1916
; %bb.1915:
	s_wait_xcnt 0x0
	v_bfe_i32 v0, v3, 0, 16
	s_mov_b32 s0, 0
	s_mov_b32 s26, 0
	s_delay_alu instid0(VALU_DEP_1)
	v_ashrrev_i32_e32 v1, 31, v0
	global_store_b64 v[4:5], v[0:1], off
	s_branch .LBB94_1917
.LBB94_1916:
	s_mov_b32 s26, 0
.LBB94_1917:
	s_delay_alu instid0(SALU_CYCLE_1)
	s_and_b32 vcc_lo, exec_lo, s26
	s_cbranch_vccz .LBB94_1932
; %bb.1918:
	s_cmp_lt_i32 s25, 27
	s_mov_b32 s26, -1
	s_cbranch_scc1 .LBB94_1924
; %bb.1919:
	s_cmp_gt_i32 s25, 27
	s_cbranch_scc0 .LBB94_1921
; %bb.1920:
	s_wait_xcnt 0x0
	v_bfe_i32 v0, v3, 0, 16
	s_mov_b32 s26, 0
	global_store_b32 v[4:5], v0, off
.LBB94_1921:
	s_and_not1_b32 vcc_lo, exec_lo, s26
	s_cbranch_vccnz .LBB94_1923
; %bb.1922:
	global_store_b16 v[4:5], v3, off
.LBB94_1923:
	s_mov_b32 s26, 0
.LBB94_1924:
	s_delay_alu instid0(SALU_CYCLE_1)
	s_and_not1_b32 vcc_lo, exec_lo, s26
	s_cbranch_vccnz .LBB94_1932
; %bb.1925:
	s_wait_xcnt 0x0
	v_bfe_i32 v0, v3, 0, 16
	v_mov_b32_e32 v2, 0x80
	s_mov_b32 s26, exec_lo
	s_delay_alu instid0(VALU_DEP_2) | instskip(NEXT) | instid1(VALU_DEP_1)
	v_cvt_f32_i32_e32 v0, v0
	v_and_b32_e32 v1, 0x7fffffff, v0
	s_delay_alu instid0(VALU_DEP_1)
	v_cmpx_gt_u32_e32 0x43800000, v1
	s_cbranch_execz .LBB94_1931
; %bb.1926:
	v_cmp_lt_u32_e32 vcc_lo, 0x3bffffff, v1
	s_mov_b32 s27, 0
                                        ; implicit-def: $vgpr1
	s_and_saveexec_b32 s28, vcc_lo
	s_delay_alu instid0(SALU_CYCLE_1)
	s_xor_b32 s28, exec_lo, s28
	s_cbranch_execz .LBB94_2029
; %bb.1927:
	v_bfe_u32 v1, v0, 20, 1
	s_mov_b32 s27, exec_lo
	s_delay_alu instid0(VALU_DEP_1) | instskip(NEXT) | instid1(VALU_DEP_1)
	v_add3_u32 v1, v0, v1, 0x487ffff
	v_lshrrev_b32_e32 v1, 20, v1
	s_and_not1_saveexec_b32 s28, s28
	s_cbranch_execnz .LBB94_2030
.LBB94_1928:
	s_or_b32 exec_lo, exec_lo, s28
	v_mov_b32_e32 v2, 0
	s_and_saveexec_b32 s28, s27
.LBB94_1929:
	v_lshrrev_b32_e32 v0, 24, v0
	s_delay_alu instid0(VALU_DEP_1)
	v_and_or_b32 v2, 0x80, v0, v1
.LBB94_1930:
	s_or_b32 exec_lo, exec_lo, s28
.LBB94_1931:
	s_delay_alu instid0(SALU_CYCLE_1)
	s_or_b32 exec_lo, exec_lo, s26
	global_store_b8 v[4:5], v2, off
.LBB94_1932:
	s_mov_b32 s26, 0
.LBB94_1933:
	s_delay_alu instid0(SALU_CYCLE_1)
	s_and_b32 vcc_lo, exec_lo, s26
	s_mov_b32 s26, 0
	s_cbranch_vccz .LBB94_1973
; %bb.1934:
	s_cmp_gt_i32 s25, 22
	s_mov_b32 s27, -1
	s_cbranch_scc0 .LBB94_1966
; %bb.1935:
	s_cmp_lt_i32 s25, 24
	s_cbranch_scc1 .LBB94_1955
; %bb.1936:
	s_cmp_gt_i32 s25, 24
	s_cbranch_scc0 .LBB94_1944
; %bb.1937:
	s_wait_xcnt 0x0
	v_bfe_i32 v0, v3, 0, 16
	v_mov_b32_e32 v2, 0x80
	s_mov_b32 s27, exec_lo
	s_delay_alu instid0(VALU_DEP_2) | instskip(NEXT) | instid1(VALU_DEP_1)
	v_cvt_f32_i32_e32 v0, v0
	v_and_b32_e32 v1, 0x7fffffff, v0
	s_delay_alu instid0(VALU_DEP_1)
	v_cmpx_gt_u32_e32 0x47800000, v1
	s_cbranch_execz .LBB94_1943
; %bb.1938:
	v_cmp_lt_u32_e32 vcc_lo, 0x37ffffff, v1
	s_mov_b32 s28, 0
                                        ; implicit-def: $vgpr1
	s_and_saveexec_b32 s29, vcc_lo
	s_delay_alu instid0(SALU_CYCLE_1)
	s_xor_b32 s29, exec_lo, s29
	s_cbranch_execz .LBB94_2150
; %bb.1939:
	v_bfe_u32 v1, v0, 21, 1
	s_mov_b32 s28, exec_lo
	s_delay_alu instid0(VALU_DEP_1) | instskip(NEXT) | instid1(VALU_DEP_1)
	v_add3_u32 v1, v0, v1, 0x88fffff
	v_lshrrev_b32_e32 v1, 21, v1
	s_and_not1_saveexec_b32 s29, s29
	s_cbranch_execnz .LBB94_2151
.LBB94_1940:
	s_or_b32 exec_lo, exec_lo, s29
	v_mov_b32_e32 v2, 0
	s_and_saveexec_b32 s29, s28
.LBB94_1941:
	v_lshrrev_b32_e32 v0, 24, v0
	s_delay_alu instid0(VALU_DEP_1)
	v_and_or_b32 v2, 0x80, v0, v1
.LBB94_1942:
	s_or_b32 exec_lo, exec_lo, s29
.LBB94_1943:
	s_delay_alu instid0(SALU_CYCLE_1)
	s_or_b32 exec_lo, exec_lo, s27
	s_mov_b32 s27, 0
	global_store_b8 v[4:5], v2, off
.LBB94_1944:
	s_and_b32 vcc_lo, exec_lo, s27
	s_cbranch_vccz .LBB94_1954
; %bb.1945:
	s_wait_xcnt 0x0
	v_bfe_i32 v0, v3, 0, 16
	s_mov_b32 s27, exec_lo
                                        ; implicit-def: $vgpr1
	s_delay_alu instid0(VALU_DEP_1) | instskip(NEXT) | instid1(VALU_DEP_1)
	v_cvt_f32_i32_e32 v0, v0
	v_and_b32_e32 v2, 0x7fffffff, v0
	s_delay_alu instid0(VALU_DEP_1)
	v_cmpx_gt_u32_e32 0x43f00000, v2
	s_xor_b32 s27, exec_lo, s27
	s_cbranch_execz .LBB94_1951
; %bb.1946:
	s_mov_b32 s28, exec_lo
                                        ; implicit-def: $vgpr1
	v_cmpx_lt_u32_e32 0x3c7fffff, v2
	s_xor_b32 s28, exec_lo, s28
; %bb.1947:
	v_bfe_u32 v1, v0, 20, 1
	s_delay_alu instid0(VALU_DEP_1) | instskip(NEXT) | instid1(VALU_DEP_1)
	v_add3_u32 v1, v0, v1, 0x407ffff
	v_and_b32_e32 v2, 0xff00000, v1
	v_lshrrev_b32_e32 v1, 20, v1
	s_delay_alu instid0(VALU_DEP_2) | instskip(NEXT) | instid1(VALU_DEP_2)
	v_cmp_ne_u32_e32 vcc_lo, 0x7f00000, v2
	v_cndmask_b32_e32 v1, 0x7e, v1, vcc_lo
; %bb.1948:
	s_and_not1_saveexec_b32 s28, s28
; %bb.1949:
	v_add_f32_e64 v1, 0x46800000, |v0|
; %bb.1950:
	s_or_b32 exec_lo, exec_lo, s28
                                        ; implicit-def: $vgpr2
.LBB94_1951:
	s_and_not1_saveexec_b32 s27, s27
; %bb.1952:
	v_mov_b32_e32 v1, 0x7f
	v_cmp_lt_u32_e32 vcc_lo, 0x7f800000, v2
	s_delay_alu instid0(VALU_DEP_2)
	v_cndmask_b32_e32 v1, 0x7e, v1, vcc_lo
; %bb.1953:
	s_or_b32 exec_lo, exec_lo, s27
	v_lshrrev_b32_e32 v0, 24, v0
	s_delay_alu instid0(VALU_DEP_1)
	v_and_or_b32 v0, 0x80, v0, v1
	global_store_b8 v[4:5], v0, off
.LBB94_1954:
	s_mov_b32 s27, 0
.LBB94_1955:
	s_delay_alu instid0(SALU_CYCLE_1)
	s_and_not1_b32 vcc_lo, exec_lo, s27
	s_cbranch_vccnz .LBB94_1965
; %bb.1956:
	s_wait_xcnt 0x0
	v_bfe_i32 v0, v3, 0, 16
	s_mov_b32 s27, exec_lo
                                        ; implicit-def: $vgpr1
	s_delay_alu instid0(VALU_DEP_1) | instskip(NEXT) | instid1(VALU_DEP_1)
	v_cvt_f32_i32_e32 v0, v0
	v_and_b32_e32 v2, 0x7fffffff, v0
	s_delay_alu instid0(VALU_DEP_1)
	v_cmpx_gt_u32_e32 0x47800000, v2
	s_xor_b32 s27, exec_lo, s27
	s_cbranch_execz .LBB94_1962
; %bb.1957:
	s_mov_b32 s28, exec_lo
                                        ; implicit-def: $vgpr1
	v_cmpx_lt_u32_e32 0x387fffff, v2
	s_xor_b32 s28, exec_lo, s28
; %bb.1958:
	v_bfe_u32 v1, v0, 21, 1
	s_delay_alu instid0(VALU_DEP_1) | instskip(NEXT) | instid1(VALU_DEP_1)
	v_add3_u32 v1, v0, v1, 0x80fffff
	v_lshrrev_b32_e32 v1, 21, v1
; %bb.1959:
	s_and_not1_saveexec_b32 s28, s28
; %bb.1960:
	v_add_f32_e64 v1, 0x43000000, |v0|
; %bb.1961:
	s_or_b32 exec_lo, exec_lo, s28
                                        ; implicit-def: $vgpr2
.LBB94_1962:
	s_and_not1_saveexec_b32 s27, s27
; %bb.1963:
	v_mov_b32_e32 v1, 0x7f
	v_cmp_lt_u32_e32 vcc_lo, 0x7f800000, v2
	s_delay_alu instid0(VALU_DEP_2)
	v_cndmask_b32_e32 v1, 0x7c, v1, vcc_lo
; %bb.1964:
	s_or_b32 exec_lo, exec_lo, s27
	v_lshrrev_b32_e32 v0, 24, v0
	s_delay_alu instid0(VALU_DEP_1)
	v_and_or_b32 v0, 0x80, v0, v1
	global_store_b8 v[4:5], v0, off
.LBB94_1965:
	s_mov_b32 s27, 0
.LBB94_1966:
	s_delay_alu instid0(SALU_CYCLE_1)
	s_and_not1_b32 vcc_lo, exec_lo, s27
	s_mov_b32 s27, 0
	s_cbranch_vccnz .LBB94_1974
; %bb.1967:
	s_cmp_gt_i32 s25, 14
	s_mov_b32 s27, -1
	s_cbranch_scc0 .LBB94_1971
; %bb.1968:
	s_cmp_eq_u32 s25, 15
	s_mov_b32 s0, -1
	s_cbranch_scc0 .LBB94_1970
; %bb.1969:
	s_wait_xcnt 0x0
	v_bfe_i32 v0, v3, 0, 16
	s_mov_b32 s0, 0
	s_delay_alu instid0(VALU_DEP_1) | instskip(NEXT) | instid1(VALU_DEP_1)
	v_cvt_f32_i32_e32 v0, v0
	v_bfe_u32 v1, v0, 16, 1
	s_delay_alu instid0(VALU_DEP_1)
	v_add3_u32 v0, v0, v1, 0x7fff
	global_store_d16_hi_b16 v[4:5], v0, off
.LBB94_1970:
	s_mov_b32 s27, 0
.LBB94_1971:
	s_delay_alu instid0(SALU_CYCLE_1)
	s_and_b32 vcc_lo, exec_lo, s27
	s_mov_b32 s27, 0
	s_cbranch_vccz .LBB94_1974
; %bb.1972:
	s_cmp_lg_u32 s25, 11
	s_mov_b32 s27, -1
	s_cselect_b32 s25, -1, 0
	s_and_not1_b32 s0, s0, exec_lo
	s_and_b32 s25, s25, exec_lo
	s_delay_alu instid0(SALU_CYCLE_1)
	s_or_b32 s0, s0, s25
	s_branch .LBB94_1974
.LBB94_1973:
	s_mov_b32 s27, 0
.LBB94_1974:
	s_and_b32 s25, s26, exec_lo
	s_and_not1_b32 s21, s21, exec_lo
	s_and_b32 s26, s0, exec_lo
	s_and_b32 s0, s27, exec_lo
	s_or_b32 s21, s21, s26
	s_wait_xcnt 0x0
	s_or_b32 exec_lo, exec_lo, s24
	s_and_saveexec_b32 s24, s21
	s_cbranch_execz .LBB94_1903
.LBB94_1975:
	s_or_b32 s22, s22, exec_lo
	s_and_not1_b32 s0, s0, exec_lo
	s_trap 2
	s_or_b32 exec_lo, exec_lo, s24
	s_and_saveexec_b32 s21, s0
	s_delay_alu instid0(SALU_CYCLE_1)
	s_xor_b32 s0, exec_lo, s21
	s_cbranch_execnz .LBB94_1904
.LBB94_1976:
	s_or_b32 exec_lo, exec_lo, s0
	s_and_saveexec_b32 s0, s25
	s_delay_alu instid0(SALU_CYCLE_1)
	s_xor_b32 s0, exec_lo, s0
	s_cbranch_execz .LBB94_2014
.LBB94_1977:
	s_sext_i32_i16 s24, s23
	s_mov_b32 s21, -1
	s_cmp_lt_i32 s24, 5
	s_cbranch_scc1 .LBB94_1998
; %bb.1978:
	s_cmp_lt_i32 s24, 8
	s_cbranch_scc1 .LBB94_1988
; %bb.1979:
	;; [unrolled: 3-line block ×3, first 2 shown]
	s_cmp_gt_i32 s24, 9
	s_cbranch_scc0 .LBB94_1982
; %bb.1981:
	s_wait_loadcnt 0x0
	v_bfe_i32 v0, v3, 0, 16
	v_mov_b32_e32 v8, 0
	s_mov_b32 s21, 0
	s_delay_alu instid0(VALU_DEP_2) | instskip(NEXT) | instid1(VALU_DEP_2)
	v_cvt_f64_i32_e32 v[6:7], v0
	v_mov_b32_e32 v9, v8
	global_store_b128 v[4:5], v[6:9], off
.LBB94_1982:
	s_and_not1_b32 vcc_lo, exec_lo, s21
	s_cbranch_vccnz .LBB94_1984
; %bb.1983:
	s_wait_loadcnt 0x0
	v_bfe_i32 v0, v3, 0, 16
	v_mov_b32_e32 v1, 0
	s_delay_alu instid0(VALU_DEP_2)
	v_cvt_f32_i32_e32 v0, v0
	global_store_b64 v[4:5], v[0:1], off
.LBB94_1984:
	s_mov_b32 s21, 0
.LBB94_1985:
	s_delay_alu instid0(SALU_CYCLE_1)
	s_and_not1_b32 vcc_lo, exec_lo, s21
	s_cbranch_vccnz .LBB94_1987
; %bb.1986:
	s_wait_loadcnt 0x0
	v_cvt_f16_i16_e32 v0, v3
	s_delay_alu instid0(VALU_DEP_1)
	v_and_b32_e32 v0, 0xffff, v0
	global_store_b32 v[4:5], v0, off
.LBB94_1987:
	s_mov_b32 s21, 0
.LBB94_1988:
	s_delay_alu instid0(SALU_CYCLE_1)
	s_and_not1_b32 vcc_lo, exec_lo, s21
	s_cbranch_vccnz .LBB94_1997
; %bb.1989:
	s_sext_i32_i16 s24, s23
	s_mov_b32 s21, -1
	s_cmp_lt_i32 s24, 6
	s_cbranch_scc1 .LBB94_1995
; %bb.1990:
	s_cmp_gt_i32 s24, 6
	s_cbranch_scc0 .LBB94_1992
; %bb.1991:
	s_wait_loadcnt 0x0
	v_bfe_i32 v0, v3, 0, 16
	s_mov_b32 s21, 0
	s_delay_alu instid0(VALU_DEP_1)
	v_cvt_f64_i32_e32 v[0:1], v0
	global_store_b64 v[4:5], v[0:1], off
.LBB94_1992:
	s_and_not1_b32 vcc_lo, exec_lo, s21
	s_cbranch_vccnz .LBB94_1994
; %bb.1993:
	s_wait_loadcnt 0x0
	v_bfe_i32 v0, v3, 0, 16
	s_delay_alu instid0(VALU_DEP_1)
	v_cvt_f32_i32_e32 v0, v0
	global_store_b32 v[4:5], v0, off
.LBB94_1994:
	s_mov_b32 s21, 0
.LBB94_1995:
	s_delay_alu instid0(SALU_CYCLE_1)
	s_and_not1_b32 vcc_lo, exec_lo, s21
	s_cbranch_vccnz .LBB94_1997
; %bb.1996:
	s_wait_loadcnt 0x0
	v_cvt_f16_i16_e32 v0, v3
	global_store_b16 v[4:5], v0, off
.LBB94_1997:
	s_mov_b32 s21, 0
.LBB94_1998:
	s_delay_alu instid0(SALU_CYCLE_1)
	s_and_not1_b32 vcc_lo, exec_lo, s21
	s_cbranch_vccnz .LBB94_2014
; %bb.1999:
	s_sext_i32_i16 s24, s23
	s_mov_b32 s21, -1
	s_cmp_lt_i32 s24, 2
	s_cbranch_scc1 .LBB94_2009
; %bb.2000:
	s_cmp_lt_i32 s24, 3
	s_cbranch_scc1 .LBB94_2006
; %bb.2001:
	s_wait_loadcnt 0x0
	v_bfe_i32 v0, v3, 0, 16
	s_cmp_gt_i32 s24, 3
	s_cbranch_scc0 .LBB94_2003
; %bb.2002:
	s_delay_alu instid0(VALU_DEP_1)
	v_ashrrev_i32_e32 v1, 31, v0
	s_mov_b32 s21, 0
	global_store_b64 v[4:5], v[0:1], off
.LBB94_2003:
	s_and_not1_b32 vcc_lo, exec_lo, s21
	s_cbranch_vccnz .LBB94_2005
; %bb.2004:
	global_store_b32 v[4:5], v0, off
.LBB94_2005:
	s_mov_b32 s21, 0
.LBB94_2006:
	s_delay_alu instid0(SALU_CYCLE_1)
	s_and_not1_b32 vcc_lo, exec_lo, s21
	s_cbranch_vccnz .LBB94_2008
; %bb.2007:
	s_wait_loadcnt 0x0
	global_store_b16 v[4:5], v3, off
.LBB94_2008:
	s_mov_b32 s21, 0
.LBB94_2009:
	s_delay_alu instid0(SALU_CYCLE_1)
	s_and_not1_b32 vcc_lo, exec_lo, s21
	s_cbranch_vccnz .LBB94_2014
; %bb.2010:
	s_sext_i32_i16 s21, s23
	s_delay_alu instid0(SALU_CYCLE_1)
	s_cmp_gt_i32 s21, 0
	s_mov_b32 s21, -1
	s_cbranch_scc0 .LBB94_2012
; %bb.2011:
	s_mov_b32 s21, 0
	s_wait_loadcnt 0x0
	global_store_b8 v[4:5], v3, off
.LBB94_2012:
	s_and_not1_b32 vcc_lo, exec_lo, s21
	s_cbranch_vccnz .LBB94_2014
; %bb.2013:
	s_wait_loadcnt 0x0
	global_store_b8 v[4:5], v3, off
.LBB94_2014:
	s_wait_xcnt 0x0
	s_or_b32 exec_lo, exec_lo, s0
	s_delay_alu instid0(SALU_CYCLE_1)
	s_and_b32 s21, s22, exec_lo
                                        ; implicit-def: $vgpr26
.LBB94_2015:
	s_or_saveexec_b32 s20, s20
	s_mov_b32 s0, 0
                                        ; implicit-def: $sgpr22
                                        ; implicit-def: $vgpr0_vgpr1
                                        ; implicit-def: $vgpr4
	s_xor_b32 exec_lo, exec_lo, s20
	s_cbranch_execz .LBB94_3970
; %bb.2016:
	v_mul_lo_u32 v4, s13, v26
	s_and_b32 s19, s19, 0xff
	s_delay_alu instid0(SALU_CYCLE_1) | instskip(NEXT) | instid1(VALU_DEP_1)
	s_cmp_lt_i32 s19, 11
	v_ashrrev_i32_e32 v5, 31, v4
	s_wait_loadcnt 0x0
	s_delay_alu instid0(VALU_DEP_1)
	v_add_nc_u64_e32 v[2:3], s[6:7], v[4:5]
	s_cbranch_scc1 .LBB94_2023
; %bb.2017:
	s_and_b32 s0, 0xffff, s19
	s_mov_b32 s22, 0
	s_cmp_gt_i32 s0, 25
	s_cbranch_scc0 .LBB94_2025
; %bb.2018:
	s_cmp_gt_i32 s0, 28
	s_cbranch_scc0 .LBB94_2026
; %bb.2019:
	;; [unrolled: 3-line block ×4, first 2 shown]
	s_cmp_eq_u32 s0, 46
	s_mov_b32 s24, 0
	s_cbranch_scc0 .LBB94_2031
; %bb.2022:
	global_load_b32 v0, v[2:3], off
	s_mov_b32 s23, -1
	s_wait_loadcnt 0x0
	v_lshlrev_b32_e32 v0, 16, v0
	s_delay_alu instid0(VALU_DEP_1)
	v_cvt_i32_f32_e32 v0, v0
	s_branch .LBB94_2033
.LBB94_2023:
	s_mov_b32 s23, 0
	s_mov_b32 s18, s21
                                        ; implicit-def: $vgpr0
	s_cbranch_execnz .LBB94_2091
.LBB94_2024:
	s_and_not1_b32 vcc_lo, exec_lo, s23
	s_cbranch_vccz .LBB94_2136
	s_branch .LBB94_3968
.LBB94_2025:
	s_mov_b32 s23, 0
                                        ; implicit-def: $vgpr0
	s_cbranch_execnz .LBB94_2058
	s_branch .LBB94_2087
.LBB94_2026:
	s_mov_b32 s23, 0
                                        ; implicit-def: $vgpr0
	s_cbranch_execz .LBB94_2057
	s_branch .LBB94_2042
.LBB94_2027:
	s_mov_b32 s23, 0
                                        ; implicit-def: $vgpr0
	s_cbranch_execnz .LBB94_2038
	s_branch .LBB94_2041
.LBB94_2028:
	s_mov_b32 s24, -1
	s_branch .LBB94_2032
.LBB94_2029:
	s_and_not1_saveexec_b32 s28, s28
	s_cbranch_execz .LBB94_1928
.LBB94_2030:
	v_add_f32_e64 v1, 0x46000000, |v0|
	s_and_not1_b32 s27, s27, exec_lo
	s_delay_alu instid0(VALU_DEP_1) | instskip(NEXT) | instid1(VALU_DEP_1)
	v_and_b32_e32 v1, 0xff, v1
	v_cmp_ne_u32_e32 vcc_lo, 0, v1
	s_and_b32 s29, vcc_lo, exec_lo
	s_delay_alu instid0(SALU_CYCLE_1)
	s_or_b32 s27, s27, s29
	s_or_b32 exec_lo, exec_lo, s28
	v_mov_b32_e32 v2, 0
	s_and_saveexec_b32 s28, s27
	s_cbranch_execnz .LBB94_1929
	s_branch .LBB94_1930
.LBB94_2031:
	s_mov_b32 s18, -1
.LBB94_2032:
	s_mov_b32 s23, 0
                                        ; implicit-def: $vgpr0
.LBB94_2033:
	s_and_b32 vcc_lo, exec_lo, s24
	s_cbranch_vccz .LBB94_2036
; %bb.2034:
	s_cmp_eq_u32 s0, 44
	s_cbranch_scc0 .LBB94_2037
; %bb.2035:
	global_load_u8 v0, v[2:3], off
	s_mov_b32 s18, 0
	s_mov_b32 s23, -1
	s_wait_loadcnt 0x0
	v_lshlrev_b32_e32 v1, 23, v0
	v_cmp_ne_u32_e32 vcc_lo, 0, v0
	s_delay_alu instid0(VALU_DEP_2) | instskip(NEXT) | instid1(VALU_DEP_1)
	v_cvt_i32_f32_e32 v1, v1
	v_cndmask_b32_e32 v0, 0, v1, vcc_lo
.LBB94_2036:
	s_branch .LBB94_2041
.LBB94_2037:
	s_mov_b32 s18, -1
                                        ; implicit-def: $vgpr0
	s_branch .LBB94_2041
.LBB94_2038:
	s_cmp_eq_u32 s0, 29
	s_cbranch_scc0 .LBB94_2040
; %bb.2039:
	global_load_b64 v[0:1], v[2:3], off
	s_mov_b32 s18, 0
	s_mov_b32 s23, -1
	s_branch .LBB94_2041
.LBB94_2040:
	s_mov_b32 s18, -1
                                        ; implicit-def: $vgpr0
.LBB94_2041:
	s_branch .LBB94_2057
.LBB94_2042:
	s_cmp_lt_i32 s0, 27
	s_cbranch_scc1 .LBB94_2045
; %bb.2043:
	s_cmp_gt_i32 s0, 27
	s_cbranch_scc0 .LBB94_2046
; %bb.2044:
	s_wait_loadcnt 0x0
	global_load_b32 v0, v[2:3], off
	s_mov_b32 s23, 0
	s_branch .LBB94_2047
.LBB94_2045:
	s_mov_b32 s23, -1
                                        ; implicit-def: $vgpr0
	s_branch .LBB94_2050
.LBB94_2046:
	s_mov_b32 s23, -1
                                        ; implicit-def: $vgpr0
.LBB94_2047:
	s_delay_alu instid0(SALU_CYCLE_1)
	s_and_not1_b32 vcc_lo, exec_lo, s23
	s_cbranch_vccnz .LBB94_2049
; %bb.2048:
	s_wait_loadcnt 0x0
	global_load_u16 v0, v[2:3], off
.LBB94_2049:
	s_mov_b32 s23, 0
.LBB94_2050:
	s_delay_alu instid0(SALU_CYCLE_1)
	s_and_not1_b32 vcc_lo, exec_lo, s23
	s_cbranch_vccnz .LBB94_2056
; %bb.2051:
	s_wait_loadcnt 0x0
	global_load_u8 v1, v[2:3], off
	s_mov_b32 s24, 0
	s_mov_b32 s23, exec_lo
	s_wait_loadcnt 0x0
	v_cmpx_lt_i16_e32 0x7f, v1
	s_xor_b32 s23, exec_lo, s23
	s_cbranch_execz .LBB94_2067
; %bb.2052:
	v_cmp_ne_u16_e32 vcc_lo, 0x80, v1
	s_and_b32 s24, vcc_lo, exec_lo
	s_and_not1_saveexec_b32 s23, s23
	s_cbranch_execnz .LBB94_2068
.LBB94_2053:
	s_or_b32 exec_lo, exec_lo, s23
	v_mov_b32_e32 v0, 0
	s_and_saveexec_b32 s23, s24
	s_cbranch_execz .LBB94_2055
.LBB94_2054:
	v_and_b32_e32 v0, 0xffff, v1
	s_delay_alu instid0(VALU_DEP_1) | instskip(SKIP_1) | instid1(VALU_DEP_2)
	v_and_b32_e32 v5, 7, v0
	v_bfe_u32 v8, v0, 3, 4
	v_clz_i32_u32_e32 v6, v5
	s_delay_alu instid0(VALU_DEP_2) | instskip(NEXT) | instid1(VALU_DEP_2)
	v_cmp_eq_u32_e32 vcc_lo, 0, v8
	v_min_u32_e32 v6, 32, v6
	s_delay_alu instid0(VALU_DEP_1) | instskip(NEXT) | instid1(VALU_DEP_1)
	v_subrev_nc_u32_e32 v7, 28, v6
	v_dual_lshlrev_b32 v0, v7, v0 :: v_dual_sub_nc_u32 v6, 29, v6
	s_delay_alu instid0(VALU_DEP_1) | instskip(NEXT) | instid1(VALU_DEP_1)
	v_dual_lshlrev_b32 v1, 24, v1 :: v_dual_bitop2_b32 v0, 7, v0 bitop3:0x40
	v_dual_cndmask_b32 v6, v8, v6, vcc_lo :: v_dual_cndmask_b32 v0, v5, v0, vcc_lo
	s_delay_alu instid0(VALU_DEP_2) | instskip(NEXT) | instid1(VALU_DEP_2)
	v_and_b32_e32 v1, 0x80000000, v1
	v_lshl_add_u32 v5, v6, 23, 0x3b800000
	s_delay_alu instid0(VALU_DEP_3) | instskip(NEXT) | instid1(VALU_DEP_1)
	v_lshlrev_b32_e32 v0, 20, v0
	v_or3_b32 v0, v1, v5, v0
	s_delay_alu instid0(VALU_DEP_1)
	v_cvt_i32_f32_e32 v0, v0
.LBB94_2055:
	s_or_b32 exec_lo, exec_lo, s23
.LBB94_2056:
	s_mov_b32 s23, -1
.LBB94_2057:
	s_branch .LBB94_2087
.LBB94_2058:
	s_cmp_gt_i32 s0, 22
	s_cbranch_scc0 .LBB94_2066
; %bb.2059:
	s_cmp_lt_i32 s0, 24
	s_cbranch_scc1 .LBB94_2069
; %bb.2060:
	s_cmp_gt_i32 s0, 24
	s_cbranch_scc0 .LBB94_2070
; %bb.2061:
	s_wait_loadcnt 0x0
	global_load_u8 v1, v[2:3], off
	s_mov_b32 s23, 0
	s_mov_b32 s22, exec_lo
	s_wait_loadcnt 0x0
	v_cmpx_lt_i16_e32 0x7f, v1
	s_xor_b32 s22, exec_lo, s22
	s_cbranch_execz .LBB94_2081
; %bb.2062:
	v_cmp_ne_u16_e32 vcc_lo, 0x80, v1
	s_and_b32 s23, vcc_lo, exec_lo
	s_and_not1_saveexec_b32 s22, s22
	s_cbranch_execnz .LBB94_2082
.LBB94_2063:
	s_or_b32 exec_lo, exec_lo, s22
	v_mov_b32_e32 v0, 0
	s_and_saveexec_b32 s22, s23
	s_cbranch_execz .LBB94_2065
.LBB94_2064:
	v_and_b32_e32 v0, 0xffff, v1
	s_delay_alu instid0(VALU_DEP_1) | instskip(SKIP_1) | instid1(VALU_DEP_2)
	v_and_b32_e32 v5, 3, v0
	v_bfe_u32 v8, v0, 2, 5
	v_clz_i32_u32_e32 v6, v5
	s_delay_alu instid0(VALU_DEP_2) | instskip(NEXT) | instid1(VALU_DEP_2)
	v_cmp_eq_u32_e32 vcc_lo, 0, v8
	v_min_u32_e32 v6, 32, v6
	s_delay_alu instid0(VALU_DEP_1) | instskip(NEXT) | instid1(VALU_DEP_1)
	v_subrev_nc_u32_e32 v7, 29, v6
	v_dual_lshlrev_b32 v0, v7, v0 :: v_dual_sub_nc_u32 v6, 30, v6
	s_delay_alu instid0(VALU_DEP_1) | instskip(NEXT) | instid1(VALU_DEP_1)
	v_dual_lshlrev_b32 v1, 24, v1 :: v_dual_bitop2_b32 v0, 3, v0 bitop3:0x40
	v_dual_cndmask_b32 v6, v8, v6, vcc_lo :: v_dual_cndmask_b32 v0, v5, v0, vcc_lo
	s_delay_alu instid0(VALU_DEP_2) | instskip(NEXT) | instid1(VALU_DEP_2)
	v_and_b32_e32 v1, 0x80000000, v1
	v_lshl_add_u32 v5, v6, 23, 0x37800000
	s_delay_alu instid0(VALU_DEP_3) | instskip(NEXT) | instid1(VALU_DEP_1)
	v_lshlrev_b32_e32 v0, 21, v0
	v_or3_b32 v0, v1, v5, v0
	s_delay_alu instid0(VALU_DEP_1)
	v_cvt_i32_f32_e32 v0, v0
.LBB94_2065:
	s_or_b32 exec_lo, exec_lo, s22
	s_mov_b32 s22, 0
	s_branch .LBB94_2071
.LBB94_2066:
                                        ; implicit-def: $vgpr0
	s_mov_b32 s22, 0
	s_branch .LBB94_2077
.LBB94_2067:
	s_and_not1_saveexec_b32 s23, s23
	s_cbranch_execz .LBB94_2053
.LBB94_2068:
	v_cmp_ne_u16_e32 vcc_lo, 0, v1
	s_and_not1_b32 s24, s24, exec_lo
	s_and_b32 s25, vcc_lo, exec_lo
	s_delay_alu instid0(SALU_CYCLE_1)
	s_or_b32 s24, s24, s25
	s_or_b32 exec_lo, exec_lo, s23
	v_mov_b32_e32 v0, 0
	s_and_saveexec_b32 s23, s24
	s_cbranch_execnz .LBB94_2054
	s_branch .LBB94_2055
.LBB94_2069:
	s_mov_b32 s22, -1
                                        ; implicit-def: $vgpr0
	s_branch .LBB94_2074
.LBB94_2070:
	s_mov_b32 s22, -1
                                        ; implicit-def: $vgpr0
.LBB94_2071:
	s_delay_alu instid0(SALU_CYCLE_1)
	s_and_b32 vcc_lo, exec_lo, s22
	s_cbranch_vccz .LBB94_2073
; %bb.2072:
	s_wait_loadcnt 0x0
	global_load_u8 v0, v[2:3], off
	s_wait_loadcnt 0x0
	v_lshlrev_b32_e32 v0, 24, v0
	s_delay_alu instid0(VALU_DEP_1) | instskip(NEXT) | instid1(VALU_DEP_1)
	v_and_b32_e32 v1, 0x7f000000, v0
	v_clz_i32_u32_e32 v5, v1
	v_add_nc_u32_e32 v7, 0x1000000, v1
	v_cmp_ne_u32_e32 vcc_lo, 0, v1
	s_delay_alu instid0(VALU_DEP_3) | instskip(NEXT) | instid1(VALU_DEP_1)
	v_min_u32_e32 v5, 32, v5
	v_sub_nc_u32_e64 v5, v5, 4 clamp
	s_delay_alu instid0(VALU_DEP_1) | instskip(NEXT) | instid1(VALU_DEP_1)
	v_lshlrev_b32_e32 v6, v5, v1
	v_dual_lshlrev_b32 v5, 23, v5 :: v_dual_lshrrev_b32 v6, 4, v6
	s_delay_alu instid0(VALU_DEP_1) | instskip(NEXT) | instid1(VALU_DEP_1)
	v_dual_sub_nc_u32 v5, v6, v5 :: v_dual_ashrrev_i32 v6, 8, v7
	v_add_nc_u32_e32 v5, 0x3c000000, v5
	s_delay_alu instid0(VALU_DEP_1) | instskip(NEXT) | instid1(VALU_DEP_1)
	v_and_or_b32 v5, 0x7f800000, v6, v5
	v_cndmask_b32_e32 v1, 0, v5, vcc_lo
	s_delay_alu instid0(VALU_DEP_1) | instskip(NEXT) | instid1(VALU_DEP_1)
	v_and_or_b32 v0, 0x80000000, v0, v1
	v_cvt_i32_f32_e32 v0, v0
.LBB94_2073:
	s_mov_b32 s22, 0
.LBB94_2074:
	s_delay_alu instid0(SALU_CYCLE_1)
	s_and_not1_b32 vcc_lo, exec_lo, s22
	s_cbranch_vccnz .LBB94_2076
; %bb.2075:
	s_wait_loadcnt 0x0
	global_load_u8 v0, v[2:3], off
	s_wait_loadcnt 0x0
	v_lshlrev_b32_e32 v1, 25, v0
	v_lshlrev_b16 v0, 8, v0
	s_delay_alu instid0(VALU_DEP_1) | instskip(SKIP_1) | instid1(VALU_DEP_2)
	v_and_or_b32 v6, 0x7f00, v0, 0.5
	v_bfe_i32 v0, v0, 0, 16
	v_dual_add_f32 v6, -0.5, v6 :: v_dual_lshrrev_b32 v5, 4, v1
	v_cmp_gt_u32_e32 vcc_lo, 0x8000000, v1
	s_delay_alu instid0(VALU_DEP_2) | instskip(NEXT) | instid1(VALU_DEP_1)
	v_or_b32_e32 v5, 0x70000000, v5
	v_mul_f32_e32 v5, 0x7800000, v5
	s_delay_alu instid0(VALU_DEP_1) | instskip(NEXT) | instid1(VALU_DEP_1)
	v_cndmask_b32_e32 v1, v5, v6, vcc_lo
	v_and_or_b32 v0, 0x80000000, v0, v1
	s_delay_alu instid0(VALU_DEP_1)
	v_cvt_i32_f32_e32 v0, v0
.LBB94_2076:
	s_mov_b32 s23, -1
	s_mov_b32 s22, 0
	s_cbranch_execnz .LBB94_2087
.LBB94_2077:
	s_cmp_gt_i32 s0, 14
	s_cbranch_scc0 .LBB94_2080
; %bb.2078:
	s_cmp_eq_u32 s0, 15
	s_cbranch_scc0 .LBB94_2083
; %bb.2079:
	s_wait_loadcnt 0x0
	global_load_u16 v0, v[2:3], off
	s_mov_b32 s18, 0
	s_mov_b32 s23, -1
	s_wait_loadcnt 0x0
	v_lshlrev_b32_e32 v0, 16, v0
	s_delay_alu instid0(VALU_DEP_1)
	v_cvt_i32_f32_e32 v0, v0
	s_branch .LBB94_2085
.LBB94_2080:
	s_mov_b32 s22, -1
	s_branch .LBB94_2084
.LBB94_2081:
	s_and_not1_saveexec_b32 s22, s22
	s_cbranch_execz .LBB94_2063
.LBB94_2082:
	v_cmp_ne_u16_e32 vcc_lo, 0, v1
	s_and_not1_b32 s23, s23, exec_lo
	s_and_b32 s24, vcc_lo, exec_lo
	s_delay_alu instid0(SALU_CYCLE_1)
	s_or_b32 s23, s23, s24
	s_or_b32 exec_lo, exec_lo, s22
	v_mov_b32_e32 v0, 0
	s_and_saveexec_b32 s22, s23
	s_cbranch_execnz .LBB94_2064
	s_branch .LBB94_2065
.LBB94_2083:
	s_mov_b32 s18, -1
.LBB94_2084:
                                        ; implicit-def: $vgpr0
.LBB94_2085:
	s_and_b32 vcc_lo, exec_lo, s22
	s_mov_b32 s22, 0
	s_cbranch_vccz .LBB94_2087
; %bb.2086:
	s_cmp_lg_u32 s0, 11
	s_mov_b32 s22, -1
	s_cselect_b32 s18, -1, 0
.LBB94_2087:
	s_delay_alu instid0(SALU_CYCLE_1)
	s_and_b32 vcc_lo, exec_lo, s18
	s_mov_b32 s18, s21
	s_cbranch_vccnz .LBB94_2148
; %bb.2088:
	s_and_not1_b32 vcc_lo, exec_lo, s22
	s_cbranch_vccnz .LBB94_2090
.LBB94_2089:
	s_wait_loadcnt 0x0
	global_load_u8 v0, v[2:3], off
	s_mov_b32 s23, -1
	s_wait_loadcnt 0x0
	v_cmp_ne_u16_e32 vcc_lo, 0, v0
	v_cndmask_b32_e64 v0, 0, 1, vcc_lo
.LBB94_2090:
	s_branch .LBB94_2024
.LBB94_2091:
	s_and_b32 s0, 0xffff, s19
	s_delay_alu instid0(SALU_CYCLE_1)
	s_cmp_lt_i32 s0, 5
	s_cbranch_scc1 .LBB94_2096
; %bb.2092:
	s_cmp_lt_i32 s0, 8
	s_cbranch_scc1 .LBB94_2097
; %bb.2093:
	;; [unrolled: 3-line block ×3, first 2 shown]
	s_cmp_gt_i32 s0, 9
	s_cbranch_scc0 .LBB94_2099
; %bb.2095:
	s_wait_loadcnt 0x0
	global_load_b64 v[0:1], v[2:3], off
	s_mov_b32 s22, 0
	s_wait_loadcnt 0x0
	v_cvt_i32_f64_e32 v0, v[0:1]
	s_branch .LBB94_2100
.LBB94_2096:
                                        ; implicit-def: $vgpr0
	s_branch .LBB94_2117
.LBB94_2097:
                                        ; implicit-def: $vgpr0
	s_branch .LBB94_2106
.LBB94_2098:
	s_mov_b32 s22, -1
                                        ; implicit-def: $vgpr0
	s_branch .LBB94_2103
.LBB94_2099:
	s_mov_b32 s22, -1
                                        ; implicit-def: $vgpr0
.LBB94_2100:
	s_delay_alu instid0(SALU_CYCLE_1)
	s_and_not1_b32 vcc_lo, exec_lo, s22
	s_cbranch_vccnz .LBB94_2102
; %bb.2101:
	s_wait_loadcnt 0x0
	global_load_b32 v0, v[2:3], off
	s_wait_loadcnt 0x0
	v_cvt_i32_f32_e32 v0, v0
.LBB94_2102:
	s_mov_b32 s22, 0
.LBB94_2103:
	s_delay_alu instid0(SALU_CYCLE_1)
	s_and_not1_b32 vcc_lo, exec_lo, s22
	s_cbranch_vccnz .LBB94_2105
; %bb.2104:
	s_wait_loadcnt 0x0
	global_load_b32 v0, v[2:3], off
	s_wait_loadcnt 0x0
	v_cvt_i16_f16_e32 v0, v0
.LBB94_2105:
	s_cbranch_execnz .LBB94_2116
.LBB94_2106:
	s_cmp_lt_i32 s0, 6
	s_cbranch_scc1 .LBB94_2109
; %bb.2107:
	s_cmp_gt_i32 s0, 6
	s_cbranch_scc0 .LBB94_2110
; %bb.2108:
	s_wait_loadcnt 0x0
	global_load_b64 v[0:1], v[2:3], off
	s_mov_b32 s22, 0
	s_wait_loadcnt 0x0
	v_cvt_i32_f64_e32 v0, v[0:1]
	s_branch .LBB94_2111
.LBB94_2109:
	s_mov_b32 s22, -1
                                        ; implicit-def: $vgpr0
	s_branch .LBB94_2114
.LBB94_2110:
	s_mov_b32 s22, -1
                                        ; implicit-def: $vgpr0
.LBB94_2111:
	s_delay_alu instid0(SALU_CYCLE_1)
	s_and_not1_b32 vcc_lo, exec_lo, s22
	s_cbranch_vccnz .LBB94_2113
; %bb.2112:
	s_wait_loadcnt 0x0
	global_load_b32 v0, v[2:3], off
	s_wait_loadcnt 0x0
	v_cvt_i32_f32_e32 v0, v0
.LBB94_2113:
	s_mov_b32 s22, 0
.LBB94_2114:
	s_delay_alu instid0(SALU_CYCLE_1)
	s_and_not1_b32 vcc_lo, exec_lo, s22
	s_cbranch_vccnz .LBB94_2116
; %bb.2115:
	s_wait_loadcnt 0x0
	global_load_u16 v0, v[2:3], off
	s_wait_loadcnt 0x0
	v_cvt_i16_f16_e32 v0, v0
.LBB94_2116:
	s_cbranch_execnz .LBB94_2135
.LBB94_2117:
	s_cmp_lt_i32 s0, 2
	s_cbranch_scc1 .LBB94_2121
; %bb.2118:
	s_cmp_lt_i32 s0, 3
	s_cbranch_scc1 .LBB94_2122
; %bb.2119:
	s_cmp_gt_i32 s0, 3
	s_cbranch_scc0 .LBB94_2123
; %bb.2120:
	s_wait_loadcnt 0x0
	global_load_b64 v[0:1], v[2:3], off
	s_mov_b32 s22, 0
	s_branch .LBB94_2124
.LBB94_2121:
                                        ; implicit-def: $vgpr0
	s_branch .LBB94_2130
.LBB94_2122:
	s_mov_b32 s22, -1
                                        ; implicit-def: $vgpr0
	s_branch .LBB94_2127
.LBB94_2123:
	s_mov_b32 s22, -1
                                        ; implicit-def: $vgpr0
.LBB94_2124:
	s_delay_alu instid0(SALU_CYCLE_1)
	s_and_not1_b32 vcc_lo, exec_lo, s22
	s_cbranch_vccnz .LBB94_2126
; %bb.2125:
	s_wait_loadcnt 0x0
	global_load_b32 v0, v[2:3], off
.LBB94_2126:
	s_mov_b32 s22, 0
.LBB94_2127:
	s_delay_alu instid0(SALU_CYCLE_1)
	s_and_not1_b32 vcc_lo, exec_lo, s22
	s_cbranch_vccnz .LBB94_2129
; %bb.2128:
	s_wait_loadcnt 0x0
	global_load_u16 v0, v[2:3], off
.LBB94_2129:
	s_cbranch_execnz .LBB94_2135
.LBB94_2130:
	s_cmp_gt_i32 s0, 0
	s_mov_b32 s0, 0
	s_cbranch_scc0 .LBB94_2132
; %bb.2131:
	s_wait_loadcnt 0x0
	global_load_i8 v0, v[2:3], off
	s_branch .LBB94_2133
.LBB94_2132:
	s_mov_b32 s0, -1
                                        ; implicit-def: $vgpr0
.LBB94_2133:
	s_delay_alu instid0(SALU_CYCLE_1)
	s_and_not1_b32 vcc_lo, exec_lo, s0
	s_cbranch_vccnz .LBB94_2135
; %bb.2134:
	s_wait_loadcnt 0x0
	global_load_u8 v0, v[2:3], off
.LBB94_2135:
.LBB94_2136:
	v_mul_lo_u32 v8, s14, v26
	s_and_b32 s17, s17, 0xff
	s_delay_alu instid0(SALU_CYCLE_1) | instskip(NEXT) | instid1(VALU_DEP_1)
	s_cmp_lt_i32 s17, 11
	v_ashrrev_i32_e32 v9, 31, v8
	s_delay_alu instid0(VALU_DEP_1)
	v_add_nc_u64_e32 v[6:7], s[8:9], v[8:9]
	s_cbranch_scc1 .LBB94_2143
; %bb.2137:
	s_and_b32 s0, 0xffff, s17
	s_mov_b32 s23, 0
	s_cmp_gt_i32 s0, 25
	s_cbranch_scc0 .LBB94_2145
; %bb.2138:
	s_cmp_gt_i32 s0, 28
	s_cbranch_scc0 .LBB94_2146
; %bb.2139:
	s_cmp_gt_i32 s0, 43
	s_cbranch_scc0 .LBB94_2147
; %bb.2140:
	s_cmp_gt_i32 s0, 45
	s_cbranch_scc0 .LBB94_2149
; %bb.2141:
	s_cmp_eq_u32 s0, 46
	s_mov_b32 s25, 0
	s_cbranch_scc0 .LBB94_2152
; %bb.2142:
	s_wait_loadcnt 0x0
	global_load_b32 v1, v[6:7], off
	s_mov_b32 s22, 0
	s_mov_b32 s24, -1
	s_wait_loadcnt 0x0
	v_lshlrev_b32_e32 v1, 16, v1
	s_wait_xcnt 0x1
	s_delay_alu instid0(VALU_DEP_1)
	v_cvt_i32_f32_e32 v2, v1
	s_branch .LBB94_2154
.LBB94_2143:
	s_mov_b32 s24, 0
                                        ; implicit-def: $vgpr2
	s_cbranch_execnz .LBB94_2215
.LBB94_2144:
	s_and_not1_b32 vcc_lo, exec_lo, s24
	s_cbranch_vccnz .LBB94_3968
	s_branch .LBB94_2262
.LBB94_2145:
	s_mov_b32 s24, 0
	s_mov_b32 s22, 0
                                        ; implicit-def: $vgpr2
	s_cbranch_execnz .LBB94_2181
	s_branch .LBB94_2211
.LBB94_2146:
	s_mov_b32 s25, -1
	s_mov_b32 s24, 0
	s_mov_b32 s22, 0
                                        ; implicit-def: $vgpr2
	s_branch .LBB94_2164
.LBB94_2147:
	s_mov_b32 s25, -1
	s_mov_b32 s24, 0
	s_mov_b32 s22, 0
                                        ; implicit-def: $vgpr2
	s_branch .LBB94_2159
.LBB94_2148:
	s_or_b32 s18, s21, exec_lo
	s_trap 2
	s_cbranch_execz .LBB94_2089
	s_branch .LBB94_2090
.LBB94_2149:
	s_mov_b32 s25, -1
	s_mov_b32 s24, 0
	s_mov_b32 s22, 0
	s_branch .LBB94_2153
.LBB94_2150:
	s_and_not1_saveexec_b32 s29, s29
	s_cbranch_execz .LBB94_1940
.LBB94_2151:
	v_add_f32_e64 v1, 0x42800000, |v0|
	s_and_not1_b32 s28, s28, exec_lo
	s_delay_alu instid0(VALU_DEP_1) | instskip(NEXT) | instid1(VALU_DEP_1)
	v_and_b32_e32 v1, 0xff, v1
	v_cmp_ne_u32_e32 vcc_lo, 0, v1
	s_and_b32 s30, vcc_lo, exec_lo
	s_delay_alu instid0(SALU_CYCLE_1)
	s_or_b32 s28, s28, s30
	s_or_b32 exec_lo, exec_lo, s29
	v_mov_b32_e32 v2, 0
	s_and_saveexec_b32 s29, s28
	s_cbranch_execnz .LBB94_1941
	s_branch .LBB94_1942
.LBB94_2152:
	s_mov_b32 s22, -1
	s_mov_b32 s24, 0
.LBB94_2153:
                                        ; implicit-def: $vgpr2
.LBB94_2154:
	s_and_b32 vcc_lo, exec_lo, s25
	s_cbranch_vccz .LBB94_2158
; %bb.2155:
	s_cmp_eq_u32 s0, 44
	s_cbranch_scc0 .LBB94_2157
; %bb.2156:
	s_wait_loadcnt 0x0
	global_load_u8 v1, v[6:7], off
	s_mov_b32 s22, 0
	s_mov_b32 s24, -1
	s_wait_loadcnt 0x0
	s_wait_xcnt 0x1
	v_lshlrev_b32_e32 v2, 23, v1
	v_cmp_ne_u32_e32 vcc_lo, 0, v1
	s_delay_alu instid0(VALU_DEP_2) | instskip(NEXT) | instid1(VALU_DEP_1)
	v_cvt_i32_f32_e32 v2, v2
	v_cndmask_b32_e32 v2, 0, v2, vcc_lo
	s_branch .LBB94_2158
.LBB94_2157:
	s_mov_b32 s22, -1
                                        ; implicit-def: $vgpr2
.LBB94_2158:
	s_mov_b32 s25, 0
.LBB94_2159:
	s_delay_alu instid0(SALU_CYCLE_1)
	s_and_b32 vcc_lo, exec_lo, s25
	s_cbranch_vccz .LBB94_2163
; %bb.2160:
	s_cmp_eq_u32 s0, 29
	s_cbranch_scc0 .LBB94_2162
; %bb.2161:
	global_load_b64 v[2:3], v[6:7], off
	s_mov_b32 s22, 0
	s_mov_b32 s24, -1
	s_branch .LBB94_2163
.LBB94_2162:
	s_mov_b32 s22, -1
                                        ; implicit-def: $vgpr2
.LBB94_2163:
	s_mov_b32 s25, 0
.LBB94_2164:
	s_delay_alu instid0(SALU_CYCLE_1)
	s_and_b32 vcc_lo, exec_lo, s25
	s_cbranch_vccz .LBB94_2180
; %bb.2165:
	s_cmp_lt_i32 s0, 27
	s_cbranch_scc1 .LBB94_2168
; %bb.2166:
	s_cmp_gt_i32 s0, 27
	s_cbranch_scc0 .LBB94_2169
; %bb.2167:
	s_wait_loadcnt 0x0
	global_load_b32 v2, v[6:7], off
	s_mov_b32 s24, 0
	s_branch .LBB94_2170
.LBB94_2168:
	s_mov_b32 s24, -1
                                        ; implicit-def: $vgpr2
	s_branch .LBB94_2173
.LBB94_2169:
	s_mov_b32 s24, -1
                                        ; implicit-def: $vgpr2
.LBB94_2170:
	s_delay_alu instid0(SALU_CYCLE_1)
	s_and_not1_b32 vcc_lo, exec_lo, s24
	s_cbranch_vccnz .LBB94_2172
; %bb.2171:
	s_wait_loadcnt 0x0
	global_load_u16 v2, v[6:7], off
.LBB94_2172:
	s_mov_b32 s24, 0
.LBB94_2173:
	s_delay_alu instid0(SALU_CYCLE_1)
	s_and_not1_b32 vcc_lo, exec_lo, s24
	s_cbranch_vccnz .LBB94_2179
; %bb.2174:
	s_wait_loadcnt 0x0
	global_load_u8 v1, v[6:7], off
	s_mov_b32 s25, 0
	s_mov_b32 s24, exec_lo
	s_wait_loadcnt 0x0
	v_cmpx_lt_i16_e32 0x7f, v1
	s_xor_b32 s24, exec_lo, s24
	s_cbranch_execz .LBB94_2190
; %bb.2175:
	v_cmp_ne_u16_e32 vcc_lo, 0x80, v1
	s_and_b32 s25, vcc_lo, exec_lo
	s_and_not1_saveexec_b32 s24, s24
	s_cbranch_execnz .LBB94_2191
.LBB94_2176:
	s_or_b32 exec_lo, exec_lo, s24
	v_mov_b32_e32 v2, 0
	s_and_saveexec_b32 s24, s25
	s_cbranch_execz .LBB94_2178
.LBB94_2177:
	v_and_b32_e32 v2, 0xffff, v1
	s_delay_alu instid0(VALU_DEP_1) | instskip(SKIP_1) | instid1(VALU_DEP_2)
	v_and_b32_e32 v3, 7, v2
	v_bfe_u32 v10, v2, 3, 4
	v_clz_i32_u32_e32 v5, v3
	s_delay_alu instid0(VALU_DEP_2) | instskip(NEXT) | instid1(VALU_DEP_2)
	v_cmp_eq_u32_e32 vcc_lo, 0, v10
	v_min_u32_e32 v5, 32, v5
	s_delay_alu instid0(VALU_DEP_1) | instskip(NEXT) | instid1(VALU_DEP_1)
	v_subrev_nc_u32_e32 v9, 28, v5
	v_dual_lshlrev_b32 v2, v9, v2 :: v_dual_sub_nc_u32 v5, 29, v5
	s_delay_alu instid0(VALU_DEP_1) | instskip(NEXT) | instid1(VALU_DEP_1)
	v_dual_lshlrev_b32 v1, 24, v1 :: v_dual_bitop2_b32 v2, 7, v2 bitop3:0x40
	v_dual_cndmask_b32 v2, v3, v2 :: v_dual_cndmask_b32 v5, v10, v5
	s_delay_alu instid0(VALU_DEP_2) | instskip(NEXT) | instid1(VALU_DEP_2)
	v_and_b32_e32 v1, 0x80000000, v1
	v_lshlrev_b32_e32 v2, 20, v2
	s_delay_alu instid0(VALU_DEP_3) | instskip(NEXT) | instid1(VALU_DEP_1)
	v_lshl_add_u32 v3, v5, 23, 0x3b800000
	v_or3_b32 v1, v1, v3, v2
	s_delay_alu instid0(VALU_DEP_1)
	v_cvt_i32_f32_e32 v2, v1
.LBB94_2178:
	s_or_b32 exec_lo, exec_lo, s24
.LBB94_2179:
	s_mov_b32 s24, -1
.LBB94_2180:
	s_branch .LBB94_2211
.LBB94_2181:
	s_cmp_gt_i32 s0, 22
	s_cbranch_scc0 .LBB94_2189
; %bb.2182:
	s_cmp_lt_i32 s0, 24
	s_cbranch_scc1 .LBB94_2192
; %bb.2183:
	s_cmp_gt_i32 s0, 24
	s_cbranch_scc0 .LBB94_2193
; %bb.2184:
	s_wait_loadcnt 0x0
	global_load_u8 v1, v[6:7], off
	s_mov_b32 s24, 0
	s_mov_b32 s23, exec_lo
	s_wait_loadcnt 0x0
	v_cmpx_lt_i16_e32 0x7f, v1
	s_xor_b32 s23, exec_lo, s23
	s_cbranch_execz .LBB94_2205
; %bb.2185:
	v_cmp_ne_u16_e32 vcc_lo, 0x80, v1
	s_and_b32 s24, vcc_lo, exec_lo
	s_and_not1_saveexec_b32 s23, s23
	s_cbranch_execnz .LBB94_2206
.LBB94_2186:
	s_or_b32 exec_lo, exec_lo, s23
	v_mov_b32_e32 v2, 0
	s_and_saveexec_b32 s23, s24
	s_cbranch_execz .LBB94_2188
.LBB94_2187:
	v_and_b32_e32 v2, 0xffff, v1
	s_delay_alu instid0(VALU_DEP_1) | instskip(SKIP_1) | instid1(VALU_DEP_2)
	v_and_b32_e32 v3, 3, v2
	v_bfe_u32 v10, v2, 2, 5
	v_clz_i32_u32_e32 v5, v3
	s_delay_alu instid0(VALU_DEP_2) | instskip(NEXT) | instid1(VALU_DEP_2)
	v_cmp_eq_u32_e32 vcc_lo, 0, v10
	v_min_u32_e32 v5, 32, v5
	s_delay_alu instid0(VALU_DEP_1) | instskip(NEXT) | instid1(VALU_DEP_1)
	v_subrev_nc_u32_e32 v9, 29, v5
	v_dual_lshlrev_b32 v2, v9, v2 :: v_dual_sub_nc_u32 v5, 30, v5
	s_delay_alu instid0(VALU_DEP_1) | instskip(NEXT) | instid1(VALU_DEP_1)
	v_dual_lshlrev_b32 v1, 24, v1 :: v_dual_bitop2_b32 v2, 3, v2 bitop3:0x40
	v_dual_cndmask_b32 v2, v3, v2 :: v_dual_cndmask_b32 v5, v10, v5
	s_delay_alu instid0(VALU_DEP_2) | instskip(NEXT) | instid1(VALU_DEP_2)
	v_and_b32_e32 v1, 0x80000000, v1
	v_lshlrev_b32_e32 v2, 21, v2
	s_delay_alu instid0(VALU_DEP_3) | instskip(NEXT) | instid1(VALU_DEP_1)
	v_lshl_add_u32 v3, v5, 23, 0x37800000
	v_or3_b32 v1, v1, v3, v2
	s_delay_alu instid0(VALU_DEP_1)
	v_cvt_i32_f32_e32 v2, v1
.LBB94_2188:
	s_or_b32 exec_lo, exec_lo, s23
	s_mov_b32 s23, 0
	s_branch .LBB94_2194
.LBB94_2189:
	s_mov_b32 s23, -1
                                        ; implicit-def: $vgpr2
	s_branch .LBB94_2200
.LBB94_2190:
	s_and_not1_saveexec_b32 s24, s24
	s_cbranch_execz .LBB94_2176
.LBB94_2191:
	v_cmp_ne_u16_e32 vcc_lo, 0, v1
	s_and_not1_b32 s25, s25, exec_lo
	s_and_b32 s26, vcc_lo, exec_lo
	s_delay_alu instid0(SALU_CYCLE_1)
	s_or_b32 s25, s25, s26
	s_or_b32 exec_lo, exec_lo, s24
	v_mov_b32_e32 v2, 0
	s_and_saveexec_b32 s24, s25
	s_cbranch_execnz .LBB94_2177
	s_branch .LBB94_2178
.LBB94_2192:
	s_mov_b32 s23, -1
                                        ; implicit-def: $vgpr2
	s_branch .LBB94_2197
.LBB94_2193:
	s_mov_b32 s23, -1
                                        ; implicit-def: $vgpr2
.LBB94_2194:
	s_delay_alu instid0(SALU_CYCLE_1)
	s_and_b32 vcc_lo, exec_lo, s23
	s_cbranch_vccz .LBB94_2196
; %bb.2195:
	s_wait_loadcnt 0x0
	global_load_u8 v1, v[6:7], off
	s_wait_loadcnt 0x0
	v_lshlrev_b32_e32 v1, 24, v1
	s_wait_xcnt 0x1
	s_delay_alu instid0(VALU_DEP_1) | instskip(NEXT) | instid1(VALU_DEP_1)
	v_and_b32_e32 v2, 0x7f000000, v1
	v_clz_i32_u32_e32 v3, v2
	v_cmp_ne_u32_e32 vcc_lo, 0, v2
	v_add_nc_u32_e32 v9, 0x1000000, v2
	s_delay_alu instid0(VALU_DEP_3) | instskip(NEXT) | instid1(VALU_DEP_1)
	v_min_u32_e32 v3, 32, v3
	v_sub_nc_u32_e64 v3, v3, 4 clamp
	s_delay_alu instid0(VALU_DEP_1) | instskip(NEXT) | instid1(VALU_DEP_1)
	v_dual_lshlrev_b32 v5, v3, v2 :: v_dual_lshlrev_b32 v3, 23, v3
	v_lshrrev_b32_e32 v5, 4, v5
	s_delay_alu instid0(VALU_DEP_1) | instskip(NEXT) | instid1(VALU_DEP_1)
	v_dual_sub_nc_u32 v3, v5, v3 :: v_dual_ashrrev_i32 v5, 8, v9
	v_add_nc_u32_e32 v3, 0x3c000000, v3
	s_delay_alu instid0(VALU_DEP_1) | instskip(NEXT) | instid1(VALU_DEP_1)
	v_and_or_b32 v3, 0x7f800000, v5, v3
	v_cndmask_b32_e32 v2, 0, v3, vcc_lo
	s_delay_alu instid0(VALU_DEP_1) | instskip(NEXT) | instid1(VALU_DEP_1)
	v_and_or_b32 v1, 0x80000000, v1, v2
	v_cvt_i32_f32_e32 v2, v1
.LBB94_2196:
	s_mov_b32 s23, 0
.LBB94_2197:
	s_delay_alu instid0(SALU_CYCLE_1)
	s_and_not1_b32 vcc_lo, exec_lo, s23
	s_cbranch_vccnz .LBB94_2199
; %bb.2198:
	s_wait_loadcnt 0x0
	global_load_u8 v1, v[6:7], off
	s_wait_loadcnt 0x0
	s_wait_xcnt 0x1
	v_lshlrev_b32_e32 v2, 25, v1
	v_lshlrev_b16 v1, 8, v1
	s_delay_alu instid0(VALU_DEP_1) | instskip(NEXT) | instid1(VALU_DEP_3)
	v_and_or_b32 v5, 0x7f00, v1, 0.5
	v_lshrrev_b32_e32 v3, 4, v2
	v_bfe_i32 v1, v1, 0, 16
	s_delay_alu instid0(VALU_DEP_3) | instskip(NEXT) | instid1(VALU_DEP_3)
	v_add_f32_e32 v5, -0.5, v5
	v_or_b32_e32 v3, 0x70000000, v3
	s_delay_alu instid0(VALU_DEP_1) | instskip(SKIP_1) | instid1(VALU_DEP_2)
	v_mul_f32_e32 v3, 0x7800000, v3
	v_cmp_gt_u32_e32 vcc_lo, 0x8000000, v2
	v_cndmask_b32_e32 v2, v3, v5, vcc_lo
	s_delay_alu instid0(VALU_DEP_1) | instskip(NEXT) | instid1(VALU_DEP_1)
	v_and_or_b32 v1, 0x80000000, v1, v2
	v_cvt_i32_f32_e32 v2, v1
.LBB94_2199:
	s_mov_b32 s23, 0
	s_mov_b32 s24, -1
.LBB94_2200:
	s_and_not1_b32 vcc_lo, exec_lo, s23
	s_mov_b32 s23, 0
	s_cbranch_vccnz .LBB94_2211
; %bb.2201:
	s_cmp_gt_i32 s0, 14
	s_cbranch_scc0 .LBB94_2204
; %bb.2202:
	s_cmp_eq_u32 s0, 15
	s_cbranch_scc0 .LBB94_2207
; %bb.2203:
	s_wait_loadcnt 0x0
	global_load_u16 v1, v[6:7], off
	s_mov_b32 s22, 0
	s_mov_b32 s24, -1
	s_wait_loadcnt 0x0
	v_lshlrev_b32_e32 v1, 16, v1
	s_wait_xcnt 0x1
	s_delay_alu instid0(VALU_DEP_1)
	v_cvt_i32_f32_e32 v2, v1
	s_branch .LBB94_2209
.LBB94_2204:
	s_mov_b32 s23, -1
	s_branch .LBB94_2208
.LBB94_2205:
	s_and_not1_saveexec_b32 s23, s23
	s_cbranch_execz .LBB94_2186
.LBB94_2206:
	v_cmp_ne_u16_e32 vcc_lo, 0, v1
	s_and_not1_b32 s24, s24, exec_lo
	s_and_b32 s25, vcc_lo, exec_lo
	s_delay_alu instid0(SALU_CYCLE_1)
	s_or_b32 s24, s24, s25
	s_or_b32 exec_lo, exec_lo, s23
	v_mov_b32_e32 v2, 0
	s_and_saveexec_b32 s23, s24
	s_cbranch_execnz .LBB94_2187
	s_branch .LBB94_2188
.LBB94_2207:
	s_mov_b32 s22, -1
.LBB94_2208:
                                        ; implicit-def: $vgpr2
.LBB94_2209:
	s_and_b32 vcc_lo, exec_lo, s23
	s_mov_b32 s23, 0
	s_cbranch_vccz .LBB94_2211
; %bb.2210:
	s_cmp_lg_u32 s0, 11
	s_mov_b32 s23, -1
	s_cselect_b32 s22, -1, 0
.LBB94_2211:
	s_delay_alu instid0(SALU_CYCLE_1)
	s_and_b32 vcc_lo, exec_lo, s22
	s_cbranch_vccnz .LBB94_2274
; %bb.2212:
	s_and_not1_b32 vcc_lo, exec_lo, s23
	s_cbranch_vccnz .LBB94_2214
.LBB94_2213:
	s_wait_loadcnt 0x0
	global_load_u8 v1, v[6:7], off
	s_mov_b32 s24, -1
	s_wait_loadcnt 0x0
	v_cmp_ne_u16_e32 vcc_lo, 0, v1
	s_wait_xcnt 0x1
	v_cndmask_b32_e64 v2, 0, 1, vcc_lo
.LBB94_2214:
	s_branch .LBB94_2144
.LBB94_2215:
	s_and_b32 s0, 0xffff, s17
	s_delay_alu instid0(SALU_CYCLE_1)
	s_cmp_lt_i32 s0, 5
	s_cbranch_scc1 .LBB94_2220
; %bb.2216:
	s_cmp_lt_i32 s0, 8
	s_cbranch_scc1 .LBB94_2221
; %bb.2217:
	;; [unrolled: 3-line block ×3, first 2 shown]
	s_cmp_gt_i32 s0, 9
	s_cbranch_scc0 .LBB94_2223
; %bb.2219:
	s_wait_loadcnt 0x0
	global_load_b64 v[2:3], v[6:7], off
	s_mov_b32 s22, 0
	s_wait_loadcnt 0x0
	v_cvt_i32_f64_e32 v2, v[2:3]
	s_branch .LBB94_2224
.LBB94_2220:
                                        ; implicit-def: $vgpr2
	s_branch .LBB94_2242
.LBB94_2221:
	s_mov_b32 s22, -1
                                        ; implicit-def: $vgpr2
	s_branch .LBB94_2230
.LBB94_2222:
	s_mov_b32 s22, -1
                                        ; implicit-def: $vgpr2
	s_branch .LBB94_2227
.LBB94_2223:
	s_mov_b32 s22, -1
                                        ; implicit-def: $vgpr2
.LBB94_2224:
	s_delay_alu instid0(SALU_CYCLE_1)
	s_and_not1_b32 vcc_lo, exec_lo, s22
	s_cbranch_vccnz .LBB94_2226
; %bb.2225:
	s_wait_loadcnt 0x0
	global_load_b32 v1, v[6:7], off
	s_wait_loadcnt 0x0
	s_wait_xcnt 0x1
	v_cvt_i32_f32_e32 v2, v1
.LBB94_2226:
	s_mov_b32 s22, 0
.LBB94_2227:
	s_delay_alu instid0(SALU_CYCLE_1)
	s_and_not1_b32 vcc_lo, exec_lo, s22
	s_cbranch_vccnz .LBB94_2229
; %bb.2228:
	s_wait_loadcnt 0x0
	global_load_b32 v1, v[6:7], off
	s_wait_loadcnt 0x0
	s_wait_xcnt 0x1
	v_cvt_i16_f16_e32 v2, v1
.LBB94_2229:
	s_mov_b32 s22, 0
.LBB94_2230:
	s_delay_alu instid0(SALU_CYCLE_1)
	s_and_not1_b32 vcc_lo, exec_lo, s22
	s_cbranch_vccnz .LBB94_2241
; %bb.2231:
	s_cmp_lt_i32 s0, 6
	s_cbranch_scc1 .LBB94_2234
; %bb.2232:
	s_cmp_gt_i32 s0, 6
	s_cbranch_scc0 .LBB94_2235
; %bb.2233:
	s_wait_loadcnt 0x0
	global_load_b64 v[2:3], v[6:7], off
	s_mov_b32 s22, 0
	s_wait_loadcnt 0x0
	v_cvt_i32_f64_e32 v2, v[2:3]
	s_branch .LBB94_2236
.LBB94_2234:
	s_mov_b32 s22, -1
                                        ; implicit-def: $vgpr2
	s_branch .LBB94_2239
.LBB94_2235:
	s_mov_b32 s22, -1
                                        ; implicit-def: $vgpr2
.LBB94_2236:
	s_delay_alu instid0(SALU_CYCLE_1)
	s_and_not1_b32 vcc_lo, exec_lo, s22
	s_cbranch_vccnz .LBB94_2238
; %bb.2237:
	s_wait_loadcnt 0x0
	global_load_b32 v1, v[6:7], off
	s_wait_loadcnt 0x0
	s_wait_xcnt 0x1
	v_cvt_i32_f32_e32 v2, v1
.LBB94_2238:
	s_mov_b32 s22, 0
.LBB94_2239:
	s_delay_alu instid0(SALU_CYCLE_1)
	s_and_not1_b32 vcc_lo, exec_lo, s22
	s_cbranch_vccnz .LBB94_2241
; %bb.2240:
	s_wait_loadcnt 0x0
	global_load_u16 v1, v[6:7], off
	s_wait_loadcnt 0x0
	s_wait_xcnt 0x1
	v_cvt_i16_f16_e32 v2, v1
.LBB94_2241:
	s_cbranch_execnz .LBB94_2261
.LBB94_2242:
	s_cmp_lt_i32 s0, 2
	s_cbranch_scc1 .LBB94_2246
; %bb.2243:
	s_cmp_lt_i32 s0, 3
	s_cbranch_scc1 .LBB94_2247
; %bb.2244:
	s_cmp_gt_i32 s0, 3
	s_cbranch_scc0 .LBB94_2248
; %bb.2245:
	s_wait_loadcnt 0x0
	global_load_b64 v[2:3], v[6:7], off
	s_mov_b32 s22, 0
	s_branch .LBB94_2249
.LBB94_2246:
	s_mov_b32 s22, -1
                                        ; implicit-def: $vgpr2
	s_branch .LBB94_2255
.LBB94_2247:
	s_mov_b32 s22, -1
                                        ; implicit-def: $vgpr2
	s_branch .LBB94_2252
.LBB94_2248:
	s_mov_b32 s22, -1
                                        ; implicit-def: $vgpr2
.LBB94_2249:
	s_delay_alu instid0(SALU_CYCLE_1)
	s_and_not1_b32 vcc_lo, exec_lo, s22
	s_cbranch_vccnz .LBB94_2251
; %bb.2250:
	s_wait_loadcnt 0x0
	global_load_b32 v2, v[6:7], off
.LBB94_2251:
	s_mov_b32 s22, 0
.LBB94_2252:
	s_delay_alu instid0(SALU_CYCLE_1)
	s_and_not1_b32 vcc_lo, exec_lo, s22
	s_cbranch_vccnz .LBB94_2254
; %bb.2253:
	s_wait_loadcnt 0x0
	global_load_u16 v2, v[6:7], off
.LBB94_2254:
	s_mov_b32 s22, 0
.LBB94_2255:
	s_delay_alu instid0(SALU_CYCLE_1)
	s_and_not1_b32 vcc_lo, exec_lo, s22
	s_cbranch_vccnz .LBB94_2261
; %bb.2256:
	s_cmp_gt_i32 s0, 0
	s_mov_b32 s0, 0
	s_cbranch_scc0 .LBB94_2258
; %bb.2257:
	s_wait_loadcnt 0x0
	global_load_i8 v2, v[6:7], off
	s_branch .LBB94_2259
.LBB94_2258:
	s_mov_b32 s0, -1
                                        ; implicit-def: $vgpr2
.LBB94_2259:
	s_delay_alu instid0(SALU_CYCLE_1)
	s_and_not1_b32 vcc_lo, exec_lo, s0
	s_cbranch_vccnz .LBB94_2261
; %bb.2260:
	s_wait_loadcnt 0x0
	global_load_u8 v2, v[6:7], off
.LBB94_2261:
.LBB94_2262:
	v_mul_lo_u32 v10, s15, v26
	s_and_b32 s0, 0xffff, s16
	s_delay_alu instid0(SALU_CYCLE_1) | instskip(NEXT) | instid1(VALU_DEP_1)
	s_cmp_lt_i32 s0, 11
	v_ashrrev_i32_e32 v11, 31, v10
	s_delay_alu instid0(VALU_DEP_1)
	v_add_nc_u64_e32 v[12:13], s[10:11], v[10:11]
	s_cbranch_scc1 .LBB94_2269
; %bb.2263:
	s_cmp_gt_i32 s0, 25
	s_mov_b32 s22, 0
	s_cbranch_scc0 .LBB94_2271
; %bb.2264:
	s_cmp_gt_i32 s0, 28
	s_cbranch_scc0 .LBB94_2272
; %bb.2265:
	s_cmp_gt_i32 s0, 43
	;; [unrolled: 3-line block ×3, first 2 shown]
	s_cbranch_scc0 .LBB94_2275
; %bb.2267:
	s_cmp_eq_u32 s0, 46
	s_mov_b32 s24, 0
	s_cbranch_scc0 .LBB94_2276
; %bb.2268:
	s_wait_loadcnt 0x0
	global_load_b32 v1, v[12:13], off
	s_mov_b32 s16, 0
	s_mov_b32 s23, -1
	s_wait_loadcnt 0x0
	v_lshlrev_b32_e32 v1, 16, v1
	s_wait_xcnt 0x1
	s_delay_alu instid0(VALU_DEP_1)
	v_cvt_i32_f32_e32 v6, v1
	s_branch .LBB94_2278
.LBB94_2269:
	s_mov_b32 s23, 0
                                        ; implicit-def: $vgpr6
	s_cbranch_execnz .LBB94_2340
.LBB94_2270:
	s_and_not1_b32 vcc_lo, exec_lo, s23
	s_cbranch_vccnz .LBB94_3968
	s_branch .LBB94_2388
.LBB94_2271:
	s_mov_b32 s24, -1
	s_mov_b32 s23, 0
	s_mov_b32 s16, 0
                                        ; implicit-def: $vgpr6
	s_branch .LBB94_2305
.LBB94_2272:
	s_mov_b32 s24, -1
	s_mov_b32 s23, 0
	s_mov_b32 s16, 0
                                        ; implicit-def: $vgpr6
	s_branch .LBB94_2288
.LBB94_2273:
	s_mov_b32 s24, -1
	s_mov_b32 s23, 0
	s_mov_b32 s16, 0
                                        ; implicit-def: $vgpr6
	s_branch .LBB94_2283
.LBB94_2274:
	s_or_b32 s18, s18, exec_lo
	s_trap 2
	s_cbranch_execz .LBB94_2213
	s_branch .LBB94_2214
.LBB94_2275:
	s_mov_b32 s24, -1
	s_mov_b32 s23, 0
	s_mov_b32 s16, 0
	s_branch .LBB94_2277
.LBB94_2276:
	s_mov_b32 s16, -1
	s_mov_b32 s23, 0
.LBB94_2277:
                                        ; implicit-def: $vgpr6
.LBB94_2278:
	s_and_b32 vcc_lo, exec_lo, s24
	s_cbranch_vccz .LBB94_2282
; %bb.2279:
	s_cmp_eq_u32 s0, 44
	s_cbranch_scc0 .LBB94_2281
; %bb.2280:
	s_wait_loadcnt 0x0
	global_load_u8 v1, v[12:13], off
	s_mov_b32 s16, 0
	s_mov_b32 s23, -1
	s_wait_loadcnt 0x0
	s_wait_xcnt 0x1
	v_lshlrev_b32_e32 v3, 23, v1
	v_cmp_ne_u32_e32 vcc_lo, 0, v1
	s_delay_alu instid0(VALU_DEP_2) | instskip(NEXT) | instid1(VALU_DEP_1)
	v_cvt_i32_f32_e32 v3, v3
	v_cndmask_b32_e32 v6, 0, v3, vcc_lo
	s_branch .LBB94_2282
.LBB94_2281:
	s_mov_b32 s16, -1
                                        ; implicit-def: $vgpr6
.LBB94_2282:
	s_mov_b32 s24, 0
.LBB94_2283:
	s_delay_alu instid0(SALU_CYCLE_1)
	s_and_b32 vcc_lo, exec_lo, s24
	s_cbranch_vccz .LBB94_2287
; %bb.2284:
	s_cmp_eq_u32 s0, 29
	s_cbranch_scc0 .LBB94_2286
; %bb.2285:
	global_load_b64 v[6:7], v[12:13], off
	s_mov_b32 s16, 0
	s_mov_b32 s23, -1
	s_branch .LBB94_2287
.LBB94_2286:
	s_mov_b32 s16, -1
                                        ; implicit-def: $vgpr6
.LBB94_2287:
	s_mov_b32 s24, 0
.LBB94_2288:
	s_delay_alu instid0(SALU_CYCLE_1)
	s_and_b32 vcc_lo, exec_lo, s24
	s_cbranch_vccz .LBB94_2304
; %bb.2289:
	s_cmp_lt_i32 s0, 27
	s_cbranch_scc1 .LBB94_2292
; %bb.2290:
	s_cmp_gt_i32 s0, 27
	s_cbranch_scc0 .LBB94_2293
; %bb.2291:
	s_wait_loadcnt 0x0
	global_load_b32 v6, v[12:13], off
	s_mov_b32 s23, 0
	s_branch .LBB94_2294
.LBB94_2292:
	s_mov_b32 s23, -1
                                        ; implicit-def: $vgpr6
	s_branch .LBB94_2297
.LBB94_2293:
	s_mov_b32 s23, -1
                                        ; implicit-def: $vgpr6
.LBB94_2294:
	s_delay_alu instid0(SALU_CYCLE_1)
	s_and_not1_b32 vcc_lo, exec_lo, s23
	s_cbranch_vccnz .LBB94_2296
; %bb.2295:
	s_wait_loadcnt 0x0
	global_load_u16 v6, v[12:13], off
.LBB94_2296:
	s_mov_b32 s23, 0
.LBB94_2297:
	s_delay_alu instid0(SALU_CYCLE_1)
	s_and_not1_b32 vcc_lo, exec_lo, s23
	s_cbranch_vccnz .LBB94_2303
; %bb.2298:
	s_wait_loadcnt 0x0
	global_load_u8 v1, v[12:13], off
	s_mov_b32 s24, 0
	s_mov_b32 s23, exec_lo
	s_wait_loadcnt 0x0
	v_cmpx_lt_i16_e32 0x7f, v1
	s_xor_b32 s23, exec_lo, s23
	s_cbranch_execz .LBB94_2315
; %bb.2299:
	v_cmp_ne_u16_e32 vcc_lo, 0x80, v1
	s_and_b32 s24, vcc_lo, exec_lo
	s_and_not1_saveexec_b32 s23, s23
	s_cbranch_execnz .LBB94_2316
.LBB94_2300:
	s_or_b32 exec_lo, exec_lo, s23
	v_mov_b32_e32 v6, 0
	s_and_saveexec_b32 s23, s24
	s_cbranch_execz .LBB94_2302
.LBB94_2301:
	v_and_b32_e32 v3, 0xffff, v1
	s_delay_alu instid0(VALU_DEP_1) | instskip(SKIP_1) | instid1(VALU_DEP_2)
	v_and_b32_e32 v5, 7, v3
	v_bfe_u32 v9, v3, 3, 4
	v_clz_i32_u32_e32 v6, v5
	s_delay_alu instid0(VALU_DEP_2) | instskip(NEXT) | instid1(VALU_DEP_2)
	v_cmp_eq_u32_e32 vcc_lo, 0, v9
	v_min_u32_e32 v6, 32, v6
	s_delay_alu instid0(VALU_DEP_1) | instskip(NEXT) | instid1(VALU_DEP_1)
	v_subrev_nc_u32_e32 v7, 28, v6
	v_dual_lshlrev_b32 v3, v7, v3 :: v_dual_sub_nc_u32 v6, 29, v6
	s_delay_alu instid0(VALU_DEP_1) | instskip(NEXT) | instid1(VALU_DEP_2)
	v_dual_lshlrev_b32 v1, 24, v1 :: v_dual_bitop2_b32 v3, 7, v3 bitop3:0x40
	v_cndmask_b32_e32 v6, v9, v6, vcc_lo
	s_delay_alu instid0(VALU_DEP_2) | instskip(NEXT) | instid1(VALU_DEP_3)
	v_cndmask_b32_e32 v3, v5, v3, vcc_lo
	v_and_b32_e32 v1, 0x80000000, v1
	s_delay_alu instid0(VALU_DEP_3) | instskip(NEXT) | instid1(VALU_DEP_3)
	v_lshl_add_u32 v5, v6, 23, 0x3b800000
	v_lshlrev_b32_e32 v3, 20, v3
	s_delay_alu instid0(VALU_DEP_1) | instskip(NEXT) | instid1(VALU_DEP_1)
	v_or3_b32 v1, v1, v5, v3
	v_cvt_i32_f32_e32 v6, v1
.LBB94_2302:
	s_or_b32 exec_lo, exec_lo, s23
.LBB94_2303:
	s_mov_b32 s23, -1
.LBB94_2304:
	s_mov_b32 s24, 0
.LBB94_2305:
	s_delay_alu instid0(SALU_CYCLE_1)
	s_and_b32 vcc_lo, exec_lo, s24
	s_cbranch_vccz .LBB94_2336
; %bb.2306:
	s_cmp_gt_i32 s0, 22
	s_cbranch_scc0 .LBB94_2314
; %bb.2307:
	s_cmp_lt_i32 s0, 24
	s_cbranch_scc1 .LBB94_2317
; %bb.2308:
	s_cmp_gt_i32 s0, 24
	s_cbranch_scc0 .LBB94_2318
; %bb.2309:
	s_wait_loadcnt 0x0
	global_load_u8 v1, v[12:13], off
	s_mov_b32 s23, 0
	s_mov_b32 s22, exec_lo
	s_wait_loadcnt 0x0
	v_cmpx_lt_i16_e32 0x7f, v1
	s_xor_b32 s22, exec_lo, s22
	s_cbranch_execz .LBB94_2330
; %bb.2310:
	v_cmp_ne_u16_e32 vcc_lo, 0x80, v1
	s_and_b32 s23, vcc_lo, exec_lo
	s_and_not1_saveexec_b32 s22, s22
	s_cbranch_execnz .LBB94_2331
.LBB94_2311:
	s_or_b32 exec_lo, exec_lo, s22
	v_mov_b32_e32 v6, 0
	s_and_saveexec_b32 s22, s23
	s_cbranch_execz .LBB94_2313
.LBB94_2312:
	v_and_b32_e32 v3, 0xffff, v1
	s_delay_alu instid0(VALU_DEP_1) | instskip(SKIP_1) | instid1(VALU_DEP_2)
	v_and_b32_e32 v5, 3, v3
	v_bfe_u32 v9, v3, 2, 5
	v_clz_i32_u32_e32 v6, v5
	s_delay_alu instid0(VALU_DEP_2) | instskip(NEXT) | instid1(VALU_DEP_2)
	v_cmp_eq_u32_e32 vcc_lo, 0, v9
	v_min_u32_e32 v6, 32, v6
	s_delay_alu instid0(VALU_DEP_1) | instskip(NEXT) | instid1(VALU_DEP_1)
	v_subrev_nc_u32_e32 v7, 29, v6
	v_dual_lshlrev_b32 v3, v7, v3 :: v_dual_sub_nc_u32 v6, 30, v6
	s_delay_alu instid0(VALU_DEP_1) | instskip(NEXT) | instid1(VALU_DEP_2)
	v_dual_lshlrev_b32 v1, 24, v1 :: v_dual_bitop2_b32 v3, 3, v3 bitop3:0x40
	v_cndmask_b32_e32 v6, v9, v6, vcc_lo
	s_delay_alu instid0(VALU_DEP_2) | instskip(NEXT) | instid1(VALU_DEP_3)
	v_cndmask_b32_e32 v3, v5, v3, vcc_lo
	v_and_b32_e32 v1, 0x80000000, v1
	s_delay_alu instid0(VALU_DEP_3) | instskip(NEXT) | instid1(VALU_DEP_3)
	v_lshl_add_u32 v5, v6, 23, 0x37800000
	v_lshlrev_b32_e32 v3, 21, v3
	s_delay_alu instid0(VALU_DEP_1) | instskip(NEXT) | instid1(VALU_DEP_1)
	v_or3_b32 v1, v1, v5, v3
	v_cvt_i32_f32_e32 v6, v1
.LBB94_2313:
	s_or_b32 exec_lo, exec_lo, s22
	s_mov_b32 s22, 0
	s_branch .LBB94_2319
.LBB94_2314:
	s_mov_b32 s22, -1
                                        ; implicit-def: $vgpr6
	s_branch .LBB94_2325
.LBB94_2315:
	s_and_not1_saveexec_b32 s23, s23
	s_cbranch_execz .LBB94_2300
.LBB94_2316:
	v_cmp_ne_u16_e32 vcc_lo, 0, v1
	s_and_not1_b32 s24, s24, exec_lo
	s_and_b32 s25, vcc_lo, exec_lo
	s_delay_alu instid0(SALU_CYCLE_1)
	s_or_b32 s24, s24, s25
	s_or_b32 exec_lo, exec_lo, s23
	v_mov_b32_e32 v6, 0
	s_and_saveexec_b32 s23, s24
	s_cbranch_execnz .LBB94_2301
	s_branch .LBB94_2302
.LBB94_2317:
	s_mov_b32 s22, -1
                                        ; implicit-def: $vgpr6
	s_branch .LBB94_2322
.LBB94_2318:
	s_mov_b32 s22, -1
                                        ; implicit-def: $vgpr6
.LBB94_2319:
	s_delay_alu instid0(SALU_CYCLE_1)
	s_and_b32 vcc_lo, exec_lo, s22
	s_cbranch_vccz .LBB94_2321
; %bb.2320:
	s_wait_loadcnt 0x0
	global_load_u8 v1, v[12:13], off
	s_wait_loadcnt 0x0
	v_lshlrev_b32_e32 v1, 24, v1
	s_wait_xcnt 0x1
	s_delay_alu instid0(VALU_DEP_1) | instskip(NEXT) | instid1(VALU_DEP_1)
	v_and_b32_e32 v3, 0x7f000000, v1
	v_clz_i32_u32_e32 v5, v3
	v_add_nc_u32_e32 v7, 0x1000000, v3
	v_cmp_ne_u32_e32 vcc_lo, 0, v3
	s_delay_alu instid0(VALU_DEP_3) | instskip(NEXT) | instid1(VALU_DEP_1)
	v_min_u32_e32 v5, 32, v5
	v_sub_nc_u32_e64 v5, v5, 4 clamp
	s_delay_alu instid0(VALU_DEP_1) | instskip(NEXT) | instid1(VALU_DEP_1)
	v_dual_lshlrev_b32 v6, v5, v3 :: v_dual_lshlrev_b32 v5, 23, v5
	v_lshrrev_b32_e32 v6, 4, v6
	s_delay_alu instid0(VALU_DEP_1) | instskip(NEXT) | instid1(VALU_DEP_1)
	v_dual_sub_nc_u32 v5, v6, v5 :: v_dual_ashrrev_i32 v6, 8, v7
	v_add_nc_u32_e32 v5, 0x3c000000, v5
	s_delay_alu instid0(VALU_DEP_1) | instskip(NEXT) | instid1(VALU_DEP_1)
	v_and_or_b32 v5, 0x7f800000, v6, v5
	v_cndmask_b32_e32 v3, 0, v5, vcc_lo
	s_delay_alu instid0(VALU_DEP_1) | instskip(NEXT) | instid1(VALU_DEP_1)
	v_and_or_b32 v1, 0x80000000, v1, v3
	v_cvt_i32_f32_e32 v6, v1
.LBB94_2321:
	s_mov_b32 s22, 0
.LBB94_2322:
	s_delay_alu instid0(SALU_CYCLE_1)
	s_and_not1_b32 vcc_lo, exec_lo, s22
	s_cbranch_vccnz .LBB94_2324
; %bb.2323:
	s_wait_loadcnt 0x0
	global_load_u8 v1, v[12:13], off
	s_wait_loadcnt 0x0
	s_wait_xcnt 0x1
	v_lshlrev_b32_e32 v3, 25, v1
	v_lshlrev_b16 v1, 8, v1
	s_delay_alu instid0(VALU_DEP_1) | instskip(SKIP_1) | instid1(VALU_DEP_2)
	v_and_or_b32 v6, 0x7f00, v1, 0.5
	v_bfe_i32 v1, v1, 0, 16
	v_dual_add_f32 v6, -0.5, v6 :: v_dual_lshrrev_b32 v5, 4, v3
	v_cmp_gt_u32_e32 vcc_lo, 0x8000000, v3
	s_delay_alu instid0(VALU_DEP_2) | instskip(NEXT) | instid1(VALU_DEP_1)
	v_or_b32_e32 v5, 0x70000000, v5
	v_mul_f32_e32 v5, 0x7800000, v5
	s_delay_alu instid0(VALU_DEP_1) | instskip(NEXT) | instid1(VALU_DEP_1)
	v_cndmask_b32_e32 v3, v5, v6, vcc_lo
	v_and_or_b32 v1, 0x80000000, v1, v3
	s_delay_alu instid0(VALU_DEP_1)
	v_cvt_i32_f32_e32 v6, v1
.LBB94_2324:
	s_mov_b32 s22, 0
	s_mov_b32 s23, -1
.LBB94_2325:
	s_and_not1_b32 vcc_lo, exec_lo, s22
	s_mov_b32 s22, 0
	s_cbranch_vccnz .LBB94_2336
; %bb.2326:
	s_cmp_gt_i32 s0, 14
	s_cbranch_scc0 .LBB94_2329
; %bb.2327:
	s_cmp_eq_u32 s0, 15
	s_cbranch_scc0 .LBB94_2332
; %bb.2328:
	s_wait_loadcnt 0x0
	global_load_u16 v1, v[12:13], off
	s_mov_b32 s16, 0
	s_mov_b32 s23, -1
	s_wait_loadcnt 0x0
	v_lshlrev_b32_e32 v1, 16, v1
	s_wait_xcnt 0x1
	s_delay_alu instid0(VALU_DEP_1)
	v_cvt_i32_f32_e32 v6, v1
	s_branch .LBB94_2334
.LBB94_2329:
	s_mov_b32 s22, -1
	s_branch .LBB94_2333
.LBB94_2330:
	s_and_not1_saveexec_b32 s22, s22
	s_cbranch_execz .LBB94_2311
.LBB94_2331:
	v_cmp_ne_u16_e32 vcc_lo, 0, v1
	s_and_not1_b32 s23, s23, exec_lo
	s_and_b32 s24, vcc_lo, exec_lo
	s_delay_alu instid0(SALU_CYCLE_1)
	s_or_b32 s23, s23, s24
	s_or_b32 exec_lo, exec_lo, s22
	v_mov_b32_e32 v6, 0
	s_and_saveexec_b32 s22, s23
	s_cbranch_execnz .LBB94_2312
	s_branch .LBB94_2313
.LBB94_2332:
	s_mov_b32 s16, -1
.LBB94_2333:
                                        ; implicit-def: $vgpr6
.LBB94_2334:
	s_and_b32 vcc_lo, exec_lo, s22
	s_mov_b32 s22, 0
	s_cbranch_vccz .LBB94_2336
; %bb.2335:
	s_cmp_lg_u32 s0, 11
	s_mov_b32 s22, -1
	s_cselect_b32 s16, -1, 0
.LBB94_2336:
	s_delay_alu instid0(SALU_CYCLE_1)
	s_and_b32 vcc_lo, exec_lo, s16
	s_cbranch_vccnz .LBB94_2399
; %bb.2337:
	s_and_not1_b32 vcc_lo, exec_lo, s22
	s_cbranch_vccnz .LBB94_2339
.LBB94_2338:
	s_wait_loadcnt 0x0
	global_load_u8 v1, v[12:13], off
	s_mov_b32 s23, -1
	s_wait_loadcnt 0x0
	v_cmp_ne_u16_e32 vcc_lo, 0, v1
	s_wait_xcnt 0x1
	v_cndmask_b32_e64 v6, 0, 1, vcc_lo
.LBB94_2339:
	s_branch .LBB94_2270
.LBB94_2340:
	s_cmp_lt_i32 s0, 5
	s_cbranch_scc1 .LBB94_2345
; %bb.2341:
	s_cmp_lt_i32 s0, 8
	s_cbranch_scc1 .LBB94_2346
; %bb.2342:
	s_cmp_lt_i32 s0, 9
	s_cbranch_scc1 .LBB94_2347
; %bb.2343:
	s_cmp_gt_i32 s0, 9
	s_cbranch_scc0 .LBB94_2348
; %bb.2344:
	s_wait_loadcnt 0x0
	global_load_b64 v[6:7], v[12:13], off
	s_mov_b32 s16, 0
	s_wait_loadcnt 0x0
	v_cvt_i32_f64_e32 v6, v[6:7]
	s_branch .LBB94_2349
.LBB94_2345:
	s_mov_b32 s16, -1
                                        ; implicit-def: $vgpr6
	s_branch .LBB94_2367
.LBB94_2346:
	s_mov_b32 s16, -1
                                        ; implicit-def: $vgpr6
	s_branch .LBB94_2355
.LBB94_2347:
	s_mov_b32 s16, -1
                                        ; implicit-def: $vgpr6
	s_branch .LBB94_2352
.LBB94_2348:
	s_mov_b32 s16, -1
                                        ; implicit-def: $vgpr6
.LBB94_2349:
	s_delay_alu instid0(SALU_CYCLE_1)
	s_and_not1_b32 vcc_lo, exec_lo, s16
	s_cbranch_vccnz .LBB94_2351
; %bb.2350:
	s_wait_loadcnt 0x0
	global_load_b32 v1, v[12:13], off
	s_wait_loadcnt 0x0
	s_wait_xcnt 0x1
	v_cvt_i32_f32_e32 v6, v1
.LBB94_2351:
	s_mov_b32 s16, 0
.LBB94_2352:
	s_delay_alu instid0(SALU_CYCLE_1)
	s_and_not1_b32 vcc_lo, exec_lo, s16
	s_cbranch_vccnz .LBB94_2354
; %bb.2353:
	s_wait_loadcnt 0x0
	global_load_b32 v1, v[12:13], off
	s_wait_loadcnt 0x0
	s_wait_xcnt 0x1
	v_cvt_i16_f16_e32 v6, v1
.LBB94_2354:
	s_mov_b32 s16, 0
.LBB94_2355:
	s_delay_alu instid0(SALU_CYCLE_1)
	s_and_not1_b32 vcc_lo, exec_lo, s16
	s_cbranch_vccnz .LBB94_2366
; %bb.2356:
	s_cmp_lt_i32 s0, 6
	s_cbranch_scc1 .LBB94_2359
; %bb.2357:
	s_cmp_gt_i32 s0, 6
	s_cbranch_scc0 .LBB94_2360
; %bb.2358:
	s_wait_loadcnt 0x0
	global_load_b64 v[6:7], v[12:13], off
	s_mov_b32 s16, 0
	s_wait_loadcnt 0x0
	v_cvt_i32_f64_e32 v6, v[6:7]
	s_branch .LBB94_2361
.LBB94_2359:
	s_mov_b32 s16, -1
                                        ; implicit-def: $vgpr6
	s_branch .LBB94_2364
.LBB94_2360:
	s_mov_b32 s16, -1
                                        ; implicit-def: $vgpr6
.LBB94_2361:
	s_delay_alu instid0(SALU_CYCLE_1)
	s_and_not1_b32 vcc_lo, exec_lo, s16
	s_cbranch_vccnz .LBB94_2363
; %bb.2362:
	s_wait_loadcnt 0x0
	global_load_b32 v1, v[12:13], off
	s_wait_loadcnt 0x0
	s_wait_xcnt 0x1
	v_cvt_i32_f32_e32 v6, v1
.LBB94_2363:
	s_mov_b32 s16, 0
.LBB94_2364:
	s_delay_alu instid0(SALU_CYCLE_1)
	s_and_not1_b32 vcc_lo, exec_lo, s16
	s_cbranch_vccnz .LBB94_2366
; %bb.2365:
	s_wait_loadcnt 0x0
	global_load_u16 v1, v[12:13], off
	s_wait_loadcnt 0x0
	s_wait_xcnt 0x1
	v_cvt_i16_f16_e32 v6, v1
.LBB94_2366:
	s_mov_b32 s16, 0
.LBB94_2367:
	s_delay_alu instid0(SALU_CYCLE_1)
	s_and_not1_b32 vcc_lo, exec_lo, s16
	s_cbranch_vccnz .LBB94_2387
; %bb.2368:
	s_cmp_lt_i32 s0, 2
	s_cbranch_scc1 .LBB94_2372
; %bb.2369:
	s_cmp_lt_i32 s0, 3
	s_cbranch_scc1 .LBB94_2373
; %bb.2370:
	s_cmp_gt_i32 s0, 3
	s_cbranch_scc0 .LBB94_2374
; %bb.2371:
	s_wait_loadcnt 0x0
	global_load_b64 v[6:7], v[12:13], off
	s_mov_b32 s16, 0
	s_branch .LBB94_2375
.LBB94_2372:
	s_mov_b32 s16, -1
                                        ; implicit-def: $vgpr6
	s_branch .LBB94_2381
.LBB94_2373:
	s_mov_b32 s16, -1
                                        ; implicit-def: $vgpr6
	s_branch .LBB94_2378
.LBB94_2374:
	s_mov_b32 s16, -1
                                        ; implicit-def: $vgpr6
.LBB94_2375:
	s_delay_alu instid0(SALU_CYCLE_1)
	s_and_not1_b32 vcc_lo, exec_lo, s16
	s_cbranch_vccnz .LBB94_2377
; %bb.2376:
	s_wait_loadcnt 0x0
	global_load_b32 v6, v[12:13], off
.LBB94_2377:
	s_mov_b32 s16, 0
.LBB94_2378:
	s_delay_alu instid0(SALU_CYCLE_1)
	s_and_not1_b32 vcc_lo, exec_lo, s16
	s_cbranch_vccnz .LBB94_2380
; %bb.2379:
	s_wait_loadcnt 0x0
	global_load_u16 v6, v[12:13], off
.LBB94_2380:
	s_mov_b32 s16, 0
.LBB94_2381:
	s_delay_alu instid0(SALU_CYCLE_1)
	s_and_not1_b32 vcc_lo, exec_lo, s16
	s_cbranch_vccnz .LBB94_2387
; %bb.2382:
	s_cmp_gt_i32 s0, 0
	s_mov_b32 s16, 0
	s_cbranch_scc0 .LBB94_2384
; %bb.2383:
	s_wait_loadcnt 0x0
	global_load_i8 v6, v[12:13], off
	s_branch .LBB94_2385
.LBB94_2384:
	s_mov_b32 s16, -1
                                        ; implicit-def: $vgpr6
.LBB94_2385:
	s_delay_alu instid0(SALU_CYCLE_1)
	s_and_not1_b32 vcc_lo, exec_lo, s16
	s_cbranch_vccnz .LBB94_2387
; %bb.2386:
	s_wait_loadcnt 0x0
	global_load_u8 v6, v[12:13], off
.LBB94_2387:
.LBB94_2388:
	s_lshl_b32 s13, s13, 7
	s_cmp_lt_i32 s19, 11
	v_add_nc_u32_e32 v14, s13, v4
	s_delay_alu instid0(VALU_DEP_1) | instskip(SKIP_1) | instid1(VALU_DEP_1)
	v_ashrrev_i32_e32 v15, 31, v14
	s_wait_xcnt 0x0
	v_add_nc_u64_e32 v[12:13], s[6:7], v[14:15]
	s_cbranch_scc1 .LBB94_2395
; %bb.2389:
	s_and_b32 s16, 0xffff, s19
	s_mov_b32 s23, 0
	s_cmp_gt_i32 s16, 25
	s_cbranch_scc0 .LBB94_2396
; %bb.2390:
	s_cmp_gt_i32 s16, 28
	s_cbranch_scc0 .LBB94_2397
; %bb.2391:
	;; [unrolled: 3-line block ×4, first 2 shown]
	s_cmp_eq_u32 s16, 46
	s_mov_b32 s25, 0
	s_cbranch_scc0 .LBB94_2401
; %bb.2394:
	s_wait_loadcnt 0x0
	global_load_b32 v1, v[12:13], off
	s_mov_b32 s22, 0
	s_mov_b32 s24, -1
	s_wait_loadcnt 0x0
	v_lshlrev_b32_e32 v1, 16, v1
	s_delay_alu instid0(VALU_DEP_1)
	v_cvt_i32_f32_e32 v4, v1
	s_branch .LBB94_2403
.LBB94_2395:
	s_mov_b32 s16, -1
	s_mov_b32 s24, 0
                                        ; implicit-def: $vgpr4
	s_branch .LBB94_2465
.LBB94_2396:
	s_mov_b32 s25, -1
	s_mov_b32 s24, 0
	s_mov_b32 s22, 0
                                        ; implicit-def: $vgpr4
	s_branch .LBB94_2430
.LBB94_2397:
	s_mov_b32 s25, -1
	s_mov_b32 s24, 0
	s_mov_b32 s22, 0
                                        ; implicit-def: $vgpr4
	s_branch .LBB94_2413
.LBB94_2398:
	s_mov_b32 s25, -1
	s_mov_b32 s24, 0
	s_mov_b32 s22, 0
                                        ; implicit-def: $vgpr4
	s_branch .LBB94_2408
.LBB94_2399:
	s_or_b32 s18, s18, exec_lo
	s_trap 2
	s_cbranch_execz .LBB94_2338
	s_branch .LBB94_2339
.LBB94_2400:
	s_mov_b32 s25, -1
	s_mov_b32 s24, 0
	s_mov_b32 s22, 0
	s_branch .LBB94_2402
.LBB94_2401:
	s_mov_b32 s22, -1
	s_mov_b32 s24, 0
.LBB94_2402:
                                        ; implicit-def: $vgpr4
.LBB94_2403:
	s_and_b32 vcc_lo, exec_lo, s25
	s_cbranch_vccz .LBB94_2407
; %bb.2404:
	s_cmp_eq_u32 s16, 44
	s_cbranch_scc0 .LBB94_2406
; %bb.2405:
	s_wait_loadcnt 0x0
	global_load_u8 v1, v[12:13], off
	s_mov_b32 s22, 0
	s_mov_b32 s24, -1
	s_wait_loadcnt 0x0
	v_lshlrev_b32_e32 v3, 23, v1
	v_cmp_ne_u32_e32 vcc_lo, 0, v1
	s_delay_alu instid0(VALU_DEP_2) | instskip(NEXT) | instid1(VALU_DEP_1)
	v_cvt_i32_f32_e32 v3, v3
	v_cndmask_b32_e32 v4, 0, v3, vcc_lo
	s_branch .LBB94_2407
.LBB94_2406:
	s_mov_b32 s22, -1
                                        ; implicit-def: $vgpr4
.LBB94_2407:
	s_mov_b32 s25, 0
.LBB94_2408:
	s_delay_alu instid0(SALU_CYCLE_1)
	s_and_b32 vcc_lo, exec_lo, s25
	s_cbranch_vccz .LBB94_2412
; %bb.2409:
	s_cmp_eq_u32 s16, 29
	s_cbranch_scc0 .LBB94_2411
; %bb.2410:
	global_load_b64 v[4:5], v[12:13], off
	s_mov_b32 s22, 0
	s_mov_b32 s24, -1
	s_branch .LBB94_2412
.LBB94_2411:
	s_mov_b32 s22, -1
                                        ; implicit-def: $vgpr4
.LBB94_2412:
	s_mov_b32 s25, 0
.LBB94_2413:
	s_delay_alu instid0(SALU_CYCLE_1)
	s_and_b32 vcc_lo, exec_lo, s25
	s_cbranch_vccz .LBB94_2429
; %bb.2414:
	s_cmp_lt_i32 s16, 27
	s_cbranch_scc1 .LBB94_2417
; %bb.2415:
	s_cmp_gt_i32 s16, 27
	s_cbranch_scc0 .LBB94_2418
; %bb.2416:
	s_wait_loadcnt 0x0
	global_load_b32 v4, v[12:13], off
	s_mov_b32 s24, 0
	s_branch .LBB94_2419
.LBB94_2417:
	s_mov_b32 s24, -1
                                        ; implicit-def: $vgpr4
	s_branch .LBB94_2422
.LBB94_2418:
	s_mov_b32 s24, -1
                                        ; implicit-def: $vgpr4
.LBB94_2419:
	s_delay_alu instid0(SALU_CYCLE_1)
	s_and_not1_b32 vcc_lo, exec_lo, s24
	s_cbranch_vccnz .LBB94_2421
; %bb.2420:
	s_wait_loadcnt 0x0
	global_load_u16 v4, v[12:13], off
.LBB94_2421:
	s_mov_b32 s24, 0
.LBB94_2422:
	s_delay_alu instid0(SALU_CYCLE_1)
	s_and_not1_b32 vcc_lo, exec_lo, s24
	s_cbranch_vccnz .LBB94_2428
; %bb.2423:
	s_wait_loadcnt 0x0
	global_load_u8 v1, v[12:13], off
	s_mov_b32 s25, 0
	s_mov_b32 s24, exec_lo
	s_wait_loadcnt 0x0
	v_cmpx_lt_i16_e32 0x7f, v1
	s_xor_b32 s24, exec_lo, s24
	s_cbranch_execz .LBB94_2440
; %bb.2424:
	v_cmp_ne_u16_e32 vcc_lo, 0x80, v1
	s_and_b32 s25, vcc_lo, exec_lo
	s_and_not1_saveexec_b32 s24, s24
	s_cbranch_execnz .LBB94_2441
.LBB94_2425:
	s_or_b32 exec_lo, exec_lo, s24
	v_mov_b32_e32 v4, 0
	s_and_saveexec_b32 s24, s25
	s_cbranch_execz .LBB94_2427
.LBB94_2426:
	v_and_b32_e32 v3, 0xffff, v1
	s_delay_alu instid0(VALU_DEP_1) | instskip(SKIP_1) | instid1(VALU_DEP_2)
	v_and_b32_e32 v4, 7, v3
	v_bfe_u32 v9, v3, 3, 4
	v_clz_i32_u32_e32 v5, v4
	s_delay_alu instid0(VALU_DEP_2) | instskip(NEXT) | instid1(VALU_DEP_2)
	v_cmp_eq_u32_e32 vcc_lo, 0, v9
	v_min_u32_e32 v5, 32, v5
	s_delay_alu instid0(VALU_DEP_1) | instskip(NEXT) | instid1(VALU_DEP_1)
	v_subrev_nc_u32_e32 v7, 28, v5
	v_dual_lshlrev_b32 v3, v7, v3 :: v_dual_sub_nc_u32 v5, 29, v5
	s_delay_alu instid0(VALU_DEP_1) | instskip(NEXT) | instid1(VALU_DEP_1)
	v_dual_lshlrev_b32 v1, 24, v1 :: v_dual_bitop2_b32 v3, 7, v3 bitop3:0x40
	v_dual_cndmask_b32 v3, v4, v3, vcc_lo :: v_dual_cndmask_b32 v5, v9, v5, vcc_lo
	s_delay_alu instid0(VALU_DEP_2) | instskip(NEXT) | instid1(VALU_DEP_2)
	v_and_b32_e32 v1, 0x80000000, v1
	v_lshlrev_b32_e32 v3, 20, v3
	s_delay_alu instid0(VALU_DEP_3) | instskip(NEXT) | instid1(VALU_DEP_1)
	v_lshl_add_u32 v4, v5, 23, 0x3b800000
	v_or3_b32 v1, v1, v4, v3
	s_delay_alu instid0(VALU_DEP_1)
	v_cvt_i32_f32_e32 v4, v1
.LBB94_2427:
	s_or_b32 exec_lo, exec_lo, s24
.LBB94_2428:
	s_mov_b32 s24, -1
.LBB94_2429:
	s_mov_b32 s25, 0
.LBB94_2430:
	s_delay_alu instid0(SALU_CYCLE_1)
	s_and_b32 vcc_lo, exec_lo, s25
	s_cbranch_vccz .LBB94_2461
; %bb.2431:
	s_cmp_gt_i32 s16, 22
	s_cbranch_scc0 .LBB94_2439
; %bb.2432:
	s_cmp_lt_i32 s16, 24
	s_cbranch_scc1 .LBB94_2442
; %bb.2433:
	s_cmp_gt_i32 s16, 24
	s_cbranch_scc0 .LBB94_2443
; %bb.2434:
	s_wait_loadcnt 0x0
	global_load_u8 v1, v[12:13], off
	s_mov_b32 s24, 0
	s_mov_b32 s23, exec_lo
	s_wait_loadcnt 0x0
	v_cmpx_lt_i16_e32 0x7f, v1
	s_xor_b32 s23, exec_lo, s23
	s_cbranch_execz .LBB94_2455
; %bb.2435:
	v_cmp_ne_u16_e32 vcc_lo, 0x80, v1
	s_and_b32 s24, vcc_lo, exec_lo
	s_and_not1_saveexec_b32 s23, s23
	s_cbranch_execnz .LBB94_2456
.LBB94_2436:
	s_or_b32 exec_lo, exec_lo, s23
	v_mov_b32_e32 v4, 0
	s_and_saveexec_b32 s23, s24
	s_cbranch_execz .LBB94_2438
.LBB94_2437:
	v_and_b32_e32 v3, 0xffff, v1
	s_delay_alu instid0(VALU_DEP_1) | instskip(SKIP_1) | instid1(VALU_DEP_2)
	v_and_b32_e32 v4, 3, v3
	v_bfe_u32 v9, v3, 2, 5
	v_clz_i32_u32_e32 v5, v4
	s_delay_alu instid0(VALU_DEP_2) | instskip(NEXT) | instid1(VALU_DEP_2)
	v_cmp_eq_u32_e32 vcc_lo, 0, v9
	v_min_u32_e32 v5, 32, v5
	s_delay_alu instid0(VALU_DEP_1) | instskip(NEXT) | instid1(VALU_DEP_1)
	v_subrev_nc_u32_e32 v7, 29, v5
	v_dual_lshlrev_b32 v3, v7, v3 :: v_dual_sub_nc_u32 v5, 30, v5
	s_delay_alu instid0(VALU_DEP_1) | instskip(NEXT) | instid1(VALU_DEP_1)
	v_dual_lshlrev_b32 v1, 24, v1 :: v_dual_bitop2_b32 v3, 3, v3 bitop3:0x40
	v_dual_cndmask_b32 v3, v4, v3, vcc_lo :: v_dual_cndmask_b32 v5, v9, v5, vcc_lo
	s_delay_alu instid0(VALU_DEP_2) | instskip(NEXT) | instid1(VALU_DEP_2)
	v_and_b32_e32 v1, 0x80000000, v1
	v_lshlrev_b32_e32 v3, 21, v3
	s_delay_alu instid0(VALU_DEP_3) | instskip(NEXT) | instid1(VALU_DEP_1)
	v_lshl_add_u32 v4, v5, 23, 0x37800000
	v_or3_b32 v1, v1, v4, v3
	s_delay_alu instid0(VALU_DEP_1)
	v_cvt_i32_f32_e32 v4, v1
.LBB94_2438:
	s_or_b32 exec_lo, exec_lo, s23
	s_mov_b32 s23, 0
	s_branch .LBB94_2444
.LBB94_2439:
	s_mov_b32 s23, -1
                                        ; implicit-def: $vgpr4
	s_branch .LBB94_2450
.LBB94_2440:
	s_and_not1_saveexec_b32 s24, s24
	s_cbranch_execz .LBB94_2425
.LBB94_2441:
	v_cmp_ne_u16_e32 vcc_lo, 0, v1
	s_and_not1_b32 s25, s25, exec_lo
	s_and_b32 s26, vcc_lo, exec_lo
	s_delay_alu instid0(SALU_CYCLE_1)
	s_or_b32 s25, s25, s26
	s_or_b32 exec_lo, exec_lo, s24
	v_mov_b32_e32 v4, 0
	s_and_saveexec_b32 s24, s25
	s_cbranch_execnz .LBB94_2426
	s_branch .LBB94_2427
.LBB94_2442:
	s_mov_b32 s23, -1
                                        ; implicit-def: $vgpr4
	s_branch .LBB94_2447
.LBB94_2443:
	s_mov_b32 s23, -1
                                        ; implicit-def: $vgpr4
.LBB94_2444:
	s_delay_alu instid0(SALU_CYCLE_1)
	s_and_b32 vcc_lo, exec_lo, s23
	s_cbranch_vccz .LBB94_2446
; %bb.2445:
	s_wait_loadcnt 0x0
	global_load_u8 v1, v[12:13], off
	s_wait_loadcnt 0x0
	v_lshlrev_b32_e32 v1, 24, v1
	s_delay_alu instid0(VALU_DEP_1) | instskip(NEXT) | instid1(VALU_DEP_1)
	v_and_b32_e32 v3, 0x7f000000, v1
	v_clz_i32_u32_e32 v4, v3
	v_add_nc_u32_e32 v7, 0x1000000, v3
	v_cmp_ne_u32_e32 vcc_lo, 0, v3
	s_delay_alu instid0(VALU_DEP_3) | instskip(NEXT) | instid1(VALU_DEP_1)
	v_min_u32_e32 v4, 32, v4
	v_sub_nc_u32_e64 v4, v4, 4 clamp
	s_delay_alu instid0(VALU_DEP_1) | instskip(NEXT) | instid1(VALU_DEP_1)
	v_dual_lshlrev_b32 v5, v4, v3 :: v_dual_lshlrev_b32 v4, 23, v4
	v_lshrrev_b32_e32 v5, 4, v5
	s_delay_alu instid0(VALU_DEP_1) | instskip(NEXT) | instid1(VALU_DEP_1)
	v_dual_sub_nc_u32 v4, v5, v4 :: v_dual_ashrrev_i32 v5, 8, v7
	v_add_nc_u32_e32 v4, 0x3c000000, v4
	s_delay_alu instid0(VALU_DEP_1) | instskip(NEXT) | instid1(VALU_DEP_1)
	v_and_or_b32 v4, 0x7f800000, v5, v4
	v_cndmask_b32_e32 v3, 0, v4, vcc_lo
	s_delay_alu instid0(VALU_DEP_1) | instskip(NEXT) | instid1(VALU_DEP_1)
	v_and_or_b32 v1, 0x80000000, v1, v3
	v_cvt_i32_f32_e32 v4, v1
.LBB94_2446:
	s_mov_b32 s23, 0
.LBB94_2447:
	s_delay_alu instid0(SALU_CYCLE_1)
	s_and_not1_b32 vcc_lo, exec_lo, s23
	s_cbranch_vccnz .LBB94_2449
; %bb.2448:
	s_wait_loadcnt 0x0
	global_load_u8 v1, v[12:13], off
	s_wait_loadcnt 0x0
	v_lshlrev_b32_e32 v3, 25, v1
	v_lshlrev_b16 v1, 8, v1
	s_delay_alu instid0(VALU_DEP_1) | instskip(NEXT) | instid1(VALU_DEP_3)
	v_and_or_b32 v5, 0x7f00, v1, 0.5
	v_lshrrev_b32_e32 v4, 4, v3
	v_bfe_i32 v1, v1, 0, 16
	s_delay_alu instid0(VALU_DEP_3) | instskip(NEXT) | instid1(VALU_DEP_3)
	v_add_f32_e32 v5, -0.5, v5
	v_or_b32_e32 v4, 0x70000000, v4
	s_delay_alu instid0(VALU_DEP_1) | instskip(SKIP_1) | instid1(VALU_DEP_2)
	v_mul_f32_e32 v4, 0x7800000, v4
	v_cmp_gt_u32_e32 vcc_lo, 0x8000000, v3
	v_cndmask_b32_e32 v3, v4, v5, vcc_lo
	s_delay_alu instid0(VALU_DEP_1) | instskip(NEXT) | instid1(VALU_DEP_1)
	v_and_or_b32 v1, 0x80000000, v1, v3
	v_cvt_i32_f32_e32 v4, v1
.LBB94_2449:
	s_mov_b32 s23, 0
	s_mov_b32 s24, -1
.LBB94_2450:
	s_and_not1_b32 vcc_lo, exec_lo, s23
	s_mov_b32 s23, 0
	s_cbranch_vccnz .LBB94_2461
; %bb.2451:
	s_cmp_gt_i32 s16, 14
	s_cbranch_scc0 .LBB94_2454
; %bb.2452:
	s_cmp_eq_u32 s16, 15
	s_cbranch_scc0 .LBB94_2457
; %bb.2453:
	s_wait_loadcnt 0x0
	global_load_u16 v1, v[12:13], off
	s_mov_b32 s22, 0
	s_mov_b32 s24, -1
	s_wait_loadcnt 0x0
	v_lshlrev_b32_e32 v1, 16, v1
	s_delay_alu instid0(VALU_DEP_1)
	v_cvt_i32_f32_e32 v4, v1
	s_branch .LBB94_2459
.LBB94_2454:
	s_mov_b32 s23, -1
	s_branch .LBB94_2458
.LBB94_2455:
	s_and_not1_saveexec_b32 s23, s23
	s_cbranch_execz .LBB94_2436
.LBB94_2456:
	v_cmp_ne_u16_e32 vcc_lo, 0, v1
	s_and_not1_b32 s24, s24, exec_lo
	s_and_b32 s25, vcc_lo, exec_lo
	s_delay_alu instid0(SALU_CYCLE_1)
	s_or_b32 s24, s24, s25
	s_or_b32 exec_lo, exec_lo, s23
	v_mov_b32_e32 v4, 0
	s_and_saveexec_b32 s23, s24
	s_cbranch_execnz .LBB94_2437
	s_branch .LBB94_2438
.LBB94_2457:
	s_mov_b32 s22, -1
.LBB94_2458:
                                        ; implicit-def: $vgpr4
.LBB94_2459:
	s_and_b32 vcc_lo, exec_lo, s23
	s_mov_b32 s23, 0
	s_cbranch_vccz .LBB94_2461
; %bb.2460:
	s_cmp_lg_u32 s16, 11
	s_mov_b32 s23, -1
	s_cselect_b32 s22, -1, 0
.LBB94_2461:
	s_delay_alu instid0(SALU_CYCLE_1)
	s_and_b32 vcc_lo, exec_lo, s22
	s_cbranch_vccnz .LBB94_2526
; %bb.2462:
	s_and_not1_b32 vcc_lo, exec_lo, s23
	s_cbranch_vccnz .LBB94_2464
.LBB94_2463:
	s_wait_loadcnt 0x0
	global_load_u8 v1, v[12:13], off
	s_mov_b32 s24, -1
	s_wait_loadcnt 0x0
	v_cmp_ne_u16_e32 vcc_lo, 0, v1
	v_cndmask_b32_e64 v4, 0, 1, vcc_lo
.LBB94_2464:
	s_mov_b32 s16, 0
.LBB94_2465:
	s_delay_alu instid0(SALU_CYCLE_1)
	s_and_b32 vcc_lo, exec_lo, s16
	s_cbranch_vccz .LBB94_2514
; %bb.2466:
	s_and_b32 s16, 0xffff, s19
	s_delay_alu instid0(SALU_CYCLE_1)
	s_cmp_lt_i32 s16, 5
	s_cbranch_scc1 .LBB94_2471
; %bb.2467:
	s_cmp_lt_i32 s16, 8
	s_cbranch_scc1 .LBB94_2472
; %bb.2468:
	;; [unrolled: 3-line block ×3, first 2 shown]
	s_cmp_gt_i32 s16, 9
	s_cbranch_scc0 .LBB94_2474
; %bb.2470:
	s_wait_loadcnt 0x0
	global_load_b64 v[4:5], v[12:13], off
	s_mov_b32 s22, 0
	s_wait_loadcnt 0x0
	v_cvt_i32_f64_e32 v4, v[4:5]
	s_branch .LBB94_2475
.LBB94_2471:
	s_mov_b32 s22, -1
                                        ; implicit-def: $vgpr4
	s_branch .LBB94_2493
.LBB94_2472:
	s_mov_b32 s22, -1
                                        ; implicit-def: $vgpr4
	s_branch .LBB94_2481
.LBB94_2473:
	s_mov_b32 s22, -1
                                        ; implicit-def: $vgpr4
	s_branch .LBB94_2478
.LBB94_2474:
	s_mov_b32 s22, -1
                                        ; implicit-def: $vgpr4
.LBB94_2475:
	s_delay_alu instid0(SALU_CYCLE_1)
	s_and_not1_b32 vcc_lo, exec_lo, s22
	s_cbranch_vccnz .LBB94_2477
; %bb.2476:
	s_wait_loadcnt 0x0
	global_load_b32 v1, v[12:13], off
	s_wait_loadcnt 0x0
	v_cvt_i32_f32_e32 v4, v1
.LBB94_2477:
	s_mov_b32 s22, 0
.LBB94_2478:
	s_delay_alu instid0(SALU_CYCLE_1)
	s_and_not1_b32 vcc_lo, exec_lo, s22
	s_cbranch_vccnz .LBB94_2480
; %bb.2479:
	s_wait_loadcnt 0x0
	global_load_b32 v1, v[12:13], off
	s_wait_loadcnt 0x0
	v_cvt_i16_f16_e32 v4, v1
.LBB94_2480:
	s_mov_b32 s22, 0
.LBB94_2481:
	s_delay_alu instid0(SALU_CYCLE_1)
	s_and_not1_b32 vcc_lo, exec_lo, s22
	s_cbranch_vccnz .LBB94_2492
; %bb.2482:
	s_cmp_lt_i32 s16, 6
	s_cbranch_scc1 .LBB94_2485
; %bb.2483:
	s_cmp_gt_i32 s16, 6
	s_cbranch_scc0 .LBB94_2486
; %bb.2484:
	s_wait_loadcnt 0x0
	global_load_b64 v[4:5], v[12:13], off
	s_mov_b32 s22, 0
	s_wait_loadcnt 0x0
	v_cvt_i32_f64_e32 v4, v[4:5]
	s_branch .LBB94_2487
.LBB94_2485:
	s_mov_b32 s22, -1
                                        ; implicit-def: $vgpr4
	s_branch .LBB94_2490
.LBB94_2486:
	s_mov_b32 s22, -1
                                        ; implicit-def: $vgpr4
.LBB94_2487:
	s_delay_alu instid0(SALU_CYCLE_1)
	s_and_not1_b32 vcc_lo, exec_lo, s22
	s_cbranch_vccnz .LBB94_2489
; %bb.2488:
	s_wait_loadcnt 0x0
	global_load_b32 v1, v[12:13], off
	s_wait_loadcnt 0x0
	v_cvt_i32_f32_e32 v4, v1
.LBB94_2489:
	s_mov_b32 s22, 0
.LBB94_2490:
	s_delay_alu instid0(SALU_CYCLE_1)
	s_and_not1_b32 vcc_lo, exec_lo, s22
	s_cbranch_vccnz .LBB94_2492
; %bb.2491:
	s_wait_loadcnt 0x0
	global_load_u16 v1, v[12:13], off
	s_wait_loadcnt 0x0
	v_cvt_i16_f16_e32 v4, v1
.LBB94_2492:
	s_mov_b32 s22, 0
.LBB94_2493:
	s_delay_alu instid0(SALU_CYCLE_1)
	s_and_not1_b32 vcc_lo, exec_lo, s22
	s_cbranch_vccnz .LBB94_2513
; %bb.2494:
	s_cmp_lt_i32 s16, 2
	s_cbranch_scc1 .LBB94_2498
; %bb.2495:
	s_cmp_lt_i32 s16, 3
	s_cbranch_scc1 .LBB94_2499
; %bb.2496:
	s_cmp_gt_i32 s16, 3
	s_cbranch_scc0 .LBB94_2500
; %bb.2497:
	s_wait_loadcnt 0x0
	global_load_b64 v[4:5], v[12:13], off
	s_mov_b32 s22, 0
	s_branch .LBB94_2501
.LBB94_2498:
	s_mov_b32 s22, -1
                                        ; implicit-def: $vgpr4
	s_branch .LBB94_2507
.LBB94_2499:
	s_mov_b32 s22, -1
                                        ; implicit-def: $vgpr4
	s_branch .LBB94_2504
.LBB94_2500:
	s_mov_b32 s22, -1
                                        ; implicit-def: $vgpr4
.LBB94_2501:
	s_delay_alu instid0(SALU_CYCLE_1)
	s_and_not1_b32 vcc_lo, exec_lo, s22
	s_cbranch_vccnz .LBB94_2503
; %bb.2502:
	s_wait_loadcnt 0x0
	global_load_b32 v4, v[12:13], off
.LBB94_2503:
	s_mov_b32 s22, 0
.LBB94_2504:
	s_delay_alu instid0(SALU_CYCLE_1)
	s_and_not1_b32 vcc_lo, exec_lo, s22
	s_cbranch_vccnz .LBB94_2506
; %bb.2505:
	s_wait_loadcnt 0x0
	global_load_u16 v4, v[12:13], off
.LBB94_2506:
	s_mov_b32 s22, 0
.LBB94_2507:
	s_delay_alu instid0(SALU_CYCLE_1)
	s_and_not1_b32 vcc_lo, exec_lo, s22
	s_cbranch_vccnz .LBB94_2513
; %bb.2508:
	s_cmp_gt_i32 s16, 0
	s_mov_b32 s16, 0
	s_cbranch_scc0 .LBB94_2510
; %bb.2509:
	s_wait_loadcnt 0x0
	global_load_i8 v4, v[12:13], off
	s_branch .LBB94_2511
.LBB94_2510:
	s_mov_b32 s16, -1
                                        ; implicit-def: $vgpr4
.LBB94_2511:
	s_delay_alu instid0(SALU_CYCLE_1)
	s_and_not1_b32 vcc_lo, exec_lo, s16
	s_cbranch_vccnz .LBB94_2513
; %bb.2512:
	s_wait_loadcnt 0x0
	global_load_u8 v4, v[12:13], off
.LBB94_2513:
	s_mov_b32 s24, -1
.LBB94_2514:
	s_delay_alu instid0(SALU_CYCLE_1)
	s_and_not1_b32 vcc_lo, exec_lo, s24
	s_cbranch_vccnz .LBB94_3968
; %bb.2515:
	s_lshl_b32 s14, s14, 7
	s_cmp_lt_i32 s17, 11
	v_add_nc_u32_e32 v16, s14, v8
	s_delay_alu instid0(VALU_DEP_1) | instskip(SKIP_1) | instid1(VALU_DEP_1)
	v_ashrrev_i32_e32 v17, 31, v16
	s_wait_xcnt 0x0
	v_add_nc_u64_e32 v[12:13], s[8:9], v[16:17]
	s_cbranch_scc1 .LBB94_2522
; %bb.2516:
	s_and_b32 s16, 0xffff, s17
	s_mov_b32 s23, 0
	s_cmp_gt_i32 s16, 25
	s_cbranch_scc0 .LBB94_2523
; %bb.2517:
	s_cmp_gt_i32 s16, 28
	s_cbranch_scc0 .LBB94_2524
; %bb.2518:
	;; [unrolled: 3-line block ×4, first 2 shown]
	s_cmp_eq_u32 s16, 46
	s_mov_b32 s25, 0
	s_cbranch_scc0 .LBB94_2528
; %bb.2521:
	s_wait_loadcnt 0x0
	global_load_b32 v1, v[12:13], off
	s_mov_b32 s22, 0
	s_mov_b32 s24, -1
	s_wait_loadcnt 0x0
	v_lshlrev_b32_e32 v1, 16, v1
	s_delay_alu instid0(VALU_DEP_1)
	v_cvt_i32_f32_e32 v8, v1
	s_branch .LBB94_2530
.LBB94_2522:
	s_mov_b32 s16, -1
	s_mov_b32 s24, 0
                                        ; implicit-def: $vgpr8
	s_branch .LBB94_2592
.LBB94_2523:
	s_mov_b32 s25, -1
	s_mov_b32 s24, 0
	s_mov_b32 s22, 0
                                        ; implicit-def: $vgpr8
	s_branch .LBB94_2557
.LBB94_2524:
	s_mov_b32 s25, -1
	s_mov_b32 s24, 0
	s_mov_b32 s22, 0
                                        ; implicit-def: $vgpr8
	s_branch .LBB94_2540
.LBB94_2525:
	s_mov_b32 s25, -1
	s_mov_b32 s24, 0
	s_mov_b32 s22, 0
                                        ; implicit-def: $vgpr8
	s_branch .LBB94_2535
.LBB94_2526:
	s_or_b32 s18, s18, exec_lo
	s_trap 2
	s_cbranch_execz .LBB94_2463
	s_branch .LBB94_2464
.LBB94_2527:
	s_mov_b32 s25, -1
	s_mov_b32 s24, 0
	s_mov_b32 s22, 0
	s_branch .LBB94_2529
.LBB94_2528:
	s_mov_b32 s22, -1
	s_mov_b32 s24, 0
.LBB94_2529:
                                        ; implicit-def: $vgpr8
.LBB94_2530:
	s_and_b32 vcc_lo, exec_lo, s25
	s_cbranch_vccz .LBB94_2534
; %bb.2531:
	s_cmp_eq_u32 s16, 44
	s_cbranch_scc0 .LBB94_2533
; %bb.2532:
	s_wait_loadcnt 0x0
	global_load_u8 v1, v[12:13], off
	s_mov_b32 s22, 0
	s_mov_b32 s24, -1
	s_wait_loadcnt 0x0
	v_lshlrev_b32_e32 v3, 23, v1
	v_cmp_ne_u32_e32 vcc_lo, 0, v1
	s_delay_alu instid0(VALU_DEP_2) | instskip(NEXT) | instid1(VALU_DEP_1)
	v_cvt_i32_f32_e32 v3, v3
	v_cndmask_b32_e32 v8, 0, v3, vcc_lo
	s_branch .LBB94_2534
.LBB94_2533:
	s_mov_b32 s22, -1
                                        ; implicit-def: $vgpr8
.LBB94_2534:
	s_mov_b32 s25, 0
.LBB94_2535:
	s_delay_alu instid0(SALU_CYCLE_1)
	s_and_b32 vcc_lo, exec_lo, s25
	s_cbranch_vccz .LBB94_2539
; %bb.2536:
	s_cmp_eq_u32 s16, 29
	s_cbranch_scc0 .LBB94_2538
; %bb.2537:
	global_load_b64 v[8:9], v[12:13], off
	s_mov_b32 s22, 0
	s_mov_b32 s24, -1
	s_branch .LBB94_2539
.LBB94_2538:
	s_mov_b32 s22, -1
                                        ; implicit-def: $vgpr8
.LBB94_2539:
	s_mov_b32 s25, 0
.LBB94_2540:
	s_delay_alu instid0(SALU_CYCLE_1)
	s_and_b32 vcc_lo, exec_lo, s25
	s_cbranch_vccz .LBB94_2556
; %bb.2541:
	s_cmp_lt_i32 s16, 27
	s_cbranch_scc1 .LBB94_2544
; %bb.2542:
	s_cmp_gt_i32 s16, 27
	s_cbranch_scc0 .LBB94_2545
; %bb.2543:
	s_wait_loadcnt 0x0
	global_load_b32 v8, v[12:13], off
	s_mov_b32 s24, 0
	s_branch .LBB94_2546
.LBB94_2544:
	s_mov_b32 s24, -1
                                        ; implicit-def: $vgpr8
	s_branch .LBB94_2549
.LBB94_2545:
	s_mov_b32 s24, -1
                                        ; implicit-def: $vgpr8
.LBB94_2546:
	s_delay_alu instid0(SALU_CYCLE_1)
	s_and_not1_b32 vcc_lo, exec_lo, s24
	s_cbranch_vccnz .LBB94_2548
; %bb.2547:
	s_wait_loadcnt 0x0
	global_load_u16 v8, v[12:13], off
.LBB94_2548:
	s_mov_b32 s24, 0
.LBB94_2549:
	s_delay_alu instid0(SALU_CYCLE_1)
	s_and_not1_b32 vcc_lo, exec_lo, s24
	s_cbranch_vccnz .LBB94_2555
; %bb.2550:
	s_wait_loadcnt 0x0
	global_load_u8 v1, v[12:13], off
	s_mov_b32 s25, 0
	s_mov_b32 s24, exec_lo
	s_wait_loadcnt 0x0
	v_cmpx_lt_i16_e32 0x7f, v1
	s_xor_b32 s24, exec_lo, s24
	s_cbranch_execz .LBB94_2567
; %bb.2551:
	v_cmp_ne_u16_e32 vcc_lo, 0x80, v1
	s_and_b32 s25, vcc_lo, exec_lo
	s_and_not1_saveexec_b32 s24, s24
	s_cbranch_execnz .LBB94_2568
.LBB94_2552:
	s_or_b32 exec_lo, exec_lo, s24
	v_mov_b32_e32 v8, 0
	s_and_saveexec_b32 s24, s25
	s_cbranch_execz .LBB94_2554
.LBB94_2553:
	v_and_b32_e32 v3, 0xffff, v1
	s_delay_alu instid0(VALU_DEP_1) | instskip(SKIP_1) | instid1(VALU_DEP_2)
	v_dual_lshlrev_b32 v1, 24, v1 :: v_dual_bitop2_b32 v5, 7, v3 bitop3:0x40
	v_bfe_u32 v9, v3, 3, 4
	v_and_b32_e32 v1, 0x80000000, v1
	s_delay_alu instid0(VALU_DEP_3) | instskip(NEXT) | instid1(VALU_DEP_3)
	v_clz_i32_u32_e32 v7, v5
	v_cmp_eq_u32_e32 vcc_lo, 0, v9
	s_delay_alu instid0(VALU_DEP_2) | instskip(NEXT) | instid1(VALU_DEP_1)
	v_min_u32_e32 v7, 32, v7
	v_subrev_nc_u32_e32 v8, 28, v7
	v_sub_nc_u32_e32 v7, 29, v7
	s_delay_alu instid0(VALU_DEP_2) | instskip(NEXT) | instid1(VALU_DEP_2)
	v_lshlrev_b32_e32 v3, v8, v3
	v_cndmask_b32_e32 v7, v9, v7, vcc_lo
	s_delay_alu instid0(VALU_DEP_2) | instskip(NEXT) | instid1(VALU_DEP_1)
	v_and_b32_e32 v3, 7, v3
	v_cndmask_b32_e32 v3, v5, v3, vcc_lo
	s_delay_alu instid0(VALU_DEP_3) | instskip(NEXT) | instid1(VALU_DEP_2)
	v_lshl_add_u32 v5, v7, 23, 0x3b800000
	v_lshlrev_b32_e32 v3, 20, v3
	s_delay_alu instid0(VALU_DEP_1) | instskip(NEXT) | instid1(VALU_DEP_1)
	v_or3_b32 v1, v1, v5, v3
	v_cvt_i32_f32_e32 v8, v1
.LBB94_2554:
	s_or_b32 exec_lo, exec_lo, s24
.LBB94_2555:
	s_mov_b32 s24, -1
.LBB94_2556:
	s_mov_b32 s25, 0
.LBB94_2557:
	s_delay_alu instid0(SALU_CYCLE_1)
	s_and_b32 vcc_lo, exec_lo, s25
	s_cbranch_vccz .LBB94_2588
; %bb.2558:
	s_cmp_gt_i32 s16, 22
	s_cbranch_scc0 .LBB94_2566
; %bb.2559:
	s_cmp_lt_i32 s16, 24
	s_cbranch_scc1 .LBB94_2569
; %bb.2560:
	s_cmp_gt_i32 s16, 24
	s_cbranch_scc0 .LBB94_2570
; %bb.2561:
	s_wait_loadcnt 0x0
	global_load_u8 v1, v[12:13], off
	s_mov_b32 s24, 0
	s_mov_b32 s23, exec_lo
	s_wait_loadcnt 0x0
	v_cmpx_lt_i16_e32 0x7f, v1
	s_xor_b32 s23, exec_lo, s23
	s_cbranch_execz .LBB94_2582
; %bb.2562:
	v_cmp_ne_u16_e32 vcc_lo, 0x80, v1
	s_and_b32 s24, vcc_lo, exec_lo
	s_and_not1_saveexec_b32 s23, s23
	s_cbranch_execnz .LBB94_2583
.LBB94_2563:
	s_or_b32 exec_lo, exec_lo, s23
	v_mov_b32_e32 v8, 0
	s_and_saveexec_b32 s23, s24
	s_cbranch_execz .LBB94_2565
.LBB94_2564:
	v_and_b32_e32 v3, 0xffff, v1
	s_delay_alu instid0(VALU_DEP_1) | instskip(SKIP_1) | instid1(VALU_DEP_2)
	v_dual_lshlrev_b32 v1, 24, v1 :: v_dual_bitop2_b32 v5, 3, v3 bitop3:0x40
	v_bfe_u32 v9, v3, 2, 5
	v_and_b32_e32 v1, 0x80000000, v1
	s_delay_alu instid0(VALU_DEP_3) | instskip(NEXT) | instid1(VALU_DEP_3)
	v_clz_i32_u32_e32 v7, v5
	v_cmp_eq_u32_e32 vcc_lo, 0, v9
	s_delay_alu instid0(VALU_DEP_2) | instskip(NEXT) | instid1(VALU_DEP_1)
	v_min_u32_e32 v7, 32, v7
	v_subrev_nc_u32_e32 v8, 29, v7
	v_sub_nc_u32_e32 v7, 30, v7
	s_delay_alu instid0(VALU_DEP_2) | instskip(NEXT) | instid1(VALU_DEP_2)
	v_lshlrev_b32_e32 v3, v8, v3
	v_cndmask_b32_e32 v7, v9, v7, vcc_lo
	s_delay_alu instid0(VALU_DEP_2) | instskip(NEXT) | instid1(VALU_DEP_1)
	v_and_b32_e32 v3, 3, v3
	v_cndmask_b32_e32 v3, v5, v3, vcc_lo
	s_delay_alu instid0(VALU_DEP_3) | instskip(NEXT) | instid1(VALU_DEP_2)
	v_lshl_add_u32 v5, v7, 23, 0x37800000
	v_lshlrev_b32_e32 v3, 21, v3
	s_delay_alu instid0(VALU_DEP_1) | instskip(NEXT) | instid1(VALU_DEP_1)
	v_or3_b32 v1, v1, v5, v3
	v_cvt_i32_f32_e32 v8, v1
.LBB94_2565:
	s_or_b32 exec_lo, exec_lo, s23
	s_mov_b32 s23, 0
	s_branch .LBB94_2571
.LBB94_2566:
	s_mov_b32 s23, -1
                                        ; implicit-def: $vgpr8
	s_branch .LBB94_2577
.LBB94_2567:
	s_and_not1_saveexec_b32 s24, s24
	s_cbranch_execz .LBB94_2552
.LBB94_2568:
	v_cmp_ne_u16_e32 vcc_lo, 0, v1
	s_and_not1_b32 s25, s25, exec_lo
	s_and_b32 s26, vcc_lo, exec_lo
	s_delay_alu instid0(SALU_CYCLE_1)
	s_or_b32 s25, s25, s26
	s_or_b32 exec_lo, exec_lo, s24
	v_mov_b32_e32 v8, 0
	s_and_saveexec_b32 s24, s25
	s_cbranch_execnz .LBB94_2553
	s_branch .LBB94_2554
.LBB94_2569:
	s_mov_b32 s23, -1
                                        ; implicit-def: $vgpr8
	s_branch .LBB94_2574
.LBB94_2570:
	s_mov_b32 s23, -1
                                        ; implicit-def: $vgpr8
.LBB94_2571:
	s_delay_alu instid0(SALU_CYCLE_1)
	s_and_b32 vcc_lo, exec_lo, s23
	s_cbranch_vccz .LBB94_2573
; %bb.2572:
	s_wait_loadcnt 0x0
	global_load_u8 v1, v[12:13], off
	s_wait_loadcnt 0x0
	v_lshlrev_b32_e32 v1, 24, v1
	s_delay_alu instid0(VALU_DEP_1) | instskip(NEXT) | instid1(VALU_DEP_1)
	v_and_b32_e32 v3, 0x7f000000, v1
	v_clz_i32_u32_e32 v5, v3
	v_cmp_ne_u32_e32 vcc_lo, 0, v3
	v_add_nc_u32_e32 v8, 0x1000000, v3
	s_delay_alu instid0(VALU_DEP_3) | instskip(NEXT) | instid1(VALU_DEP_1)
	v_min_u32_e32 v5, 32, v5
	v_sub_nc_u32_e64 v5, v5, 4 clamp
	s_delay_alu instid0(VALU_DEP_1) | instskip(NEXT) | instid1(VALU_DEP_1)
	v_dual_lshlrev_b32 v7, v5, v3 :: v_dual_lshlrev_b32 v5, 23, v5
	v_lshrrev_b32_e32 v7, 4, v7
	s_delay_alu instid0(VALU_DEP_1) | instskip(NEXT) | instid1(VALU_DEP_1)
	v_dual_sub_nc_u32 v5, v7, v5 :: v_dual_ashrrev_i32 v7, 8, v8
	v_add_nc_u32_e32 v5, 0x3c000000, v5
	s_delay_alu instid0(VALU_DEP_1) | instskip(NEXT) | instid1(VALU_DEP_1)
	v_and_or_b32 v5, 0x7f800000, v7, v5
	v_cndmask_b32_e32 v3, 0, v5, vcc_lo
	s_delay_alu instid0(VALU_DEP_1) | instskip(NEXT) | instid1(VALU_DEP_1)
	v_and_or_b32 v1, 0x80000000, v1, v3
	v_cvt_i32_f32_e32 v8, v1
.LBB94_2573:
	s_mov_b32 s23, 0
.LBB94_2574:
	s_delay_alu instid0(SALU_CYCLE_1)
	s_and_not1_b32 vcc_lo, exec_lo, s23
	s_cbranch_vccnz .LBB94_2576
; %bb.2575:
	s_wait_loadcnt 0x0
	global_load_u8 v1, v[12:13], off
	s_wait_loadcnt 0x0
	v_lshlrev_b32_e32 v3, 25, v1
	v_lshlrev_b16 v1, 8, v1
	s_delay_alu instid0(VALU_DEP_1) | instskip(SKIP_1) | instid1(VALU_DEP_2)
	v_and_or_b32 v7, 0x7f00, v1, 0.5
	v_bfe_i32 v1, v1, 0, 16
	v_add_f32_e32 v7, -0.5, v7
	v_lshrrev_b32_e32 v5, 4, v3
	v_cmp_gt_u32_e32 vcc_lo, 0x8000000, v3
	s_delay_alu instid0(VALU_DEP_2) | instskip(NEXT) | instid1(VALU_DEP_1)
	v_or_b32_e32 v5, 0x70000000, v5
	v_mul_f32_e32 v5, 0x7800000, v5
	s_delay_alu instid0(VALU_DEP_1) | instskip(NEXT) | instid1(VALU_DEP_1)
	v_cndmask_b32_e32 v3, v5, v7, vcc_lo
	v_and_or_b32 v1, 0x80000000, v1, v3
	s_delay_alu instid0(VALU_DEP_1)
	v_cvt_i32_f32_e32 v8, v1
.LBB94_2576:
	s_mov_b32 s23, 0
	s_mov_b32 s24, -1
.LBB94_2577:
	s_and_not1_b32 vcc_lo, exec_lo, s23
	s_mov_b32 s23, 0
	s_cbranch_vccnz .LBB94_2588
; %bb.2578:
	s_cmp_gt_i32 s16, 14
	s_cbranch_scc0 .LBB94_2581
; %bb.2579:
	s_cmp_eq_u32 s16, 15
	s_cbranch_scc0 .LBB94_2584
; %bb.2580:
	s_wait_loadcnt 0x0
	global_load_u16 v1, v[12:13], off
	s_mov_b32 s22, 0
	s_mov_b32 s24, -1
	s_wait_loadcnt 0x0
	v_lshlrev_b32_e32 v1, 16, v1
	s_delay_alu instid0(VALU_DEP_1)
	v_cvt_i32_f32_e32 v8, v1
	s_branch .LBB94_2586
.LBB94_2581:
	s_mov_b32 s23, -1
	s_branch .LBB94_2585
.LBB94_2582:
	s_and_not1_saveexec_b32 s23, s23
	s_cbranch_execz .LBB94_2563
.LBB94_2583:
	v_cmp_ne_u16_e32 vcc_lo, 0, v1
	s_and_not1_b32 s24, s24, exec_lo
	s_and_b32 s25, vcc_lo, exec_lo
	s_delay_alu instid0(SALU_CYCLE_1)
	s_or_b32 s24, s24, s25
	s_or_b32 exec_lo, exec_lo, s23
	v_mov_b32_e32 v8, 0
	s_and_saveexec_b32 s23, s24
	s_cbranch_execnz .LBB94_2564
	s_branch .LBB94_2565
.LBB94_2584:
	s_mov_b32 s22, -1
.LBB94_2585:
                                        ; implicit-def: $vgpr8
.LBB94_2586:
	s_and_b32 vcc_lo, exec_lo, s23
	s_mov_b32 s23, 0
	s_cbranch_vccz .LBB94_2588
; %bb.2587:
	s_cmp_lg_u32 s16, 11
	s_mov_b32 s23, -1
	s_cselect_b32 s22, -1, 0
.LBB94_2588:
	s_delay_alu instid0(SALU_CYCLE_1)
	s_and_b32 vcc_lo, exec_lo, s22
	s_cbranch_vccnz .LBB94_2653
; %bb.2589:
	s_and_not1_b32 vcc_lo, exec_lo, s23
	s_cbranch_vccnz .LBB94_2591
.LBB94_2590:
	s_wait_loadcnt 0x0
	global_load_u8 v1, v[12:13], off
	s_mov_b32 s24, -1
	s_wait_loadcnt 0x0
	v_cmp_ne_u16_e32 vcc_lo, 0, v1
	v_cndmask_b32_e64 v8, 0, 1, vcc_lo
.LBB94_2591:
	s_mov_b32 s16, 0
.LBB94_2592:
	s_delay_alu instid0(SALU_CYCLE_1)
	s_and_b32 vcc_lo, exec_lo, s16
	s_cbranch_vccz .LBB94_2641
; %bb.2593:
	s_and_b32 s16, 0xffff, s17
	s_delay_alu instid0(SALU_CYCLE_1)
	s_cmp_lt_i32 s16, 5
	s_cbranch_scc1 .LBB94_2598
; %bb.2594:
	s_cmp_lt_i32 s16, 8
	s_cbranch_scc1 .LBB94_2599
; %bb.2595:
	s_cmp_lt_i32 s16, 9
	s_cbranch_scc1 .LBB94_2600
; %bb.2596:
	s_cmp_gt_i32 s16, 9
	s_cbranch_scc0 .LBB94_2601
; %bb.2597:
	s_wait_loadcnt 0x0
	global_load_b64 v[8:9], v[12:13], off
	s_mov_b32 s22, 0
	s_wait_loadcnt 0x0
	v_cvt_i32_f64_e32 v8, v[8:9]
	s_branch .LBB94_2602
.LBB94_2598:
	s_mov_b32 s22, -1
                                        ; implicit-def: $vgpr8
	s_branch .LBB94_2620
.LBB94_2599:
	s_mov_b32 s22, -1
                                        ; implicit-def: $vgpr8
	s_branch .LBB94_2608
.LBB94_2600:
	s_mov_b32 s22, -1
                                        ; implicit-def: $vgpr8
	s_branch .LBB94_2605
.LBB94_2601:
	s_mov_b32 s22, -1
                                        ; implicit-def: $vgpr8
.LBB94_2602:
	s_delay_alu instid0(SALU_CYCLE_1)
	s_and_not1_b32 vcc_lo, exec_lo, s22
	s_cbranch_vccnz .LBB94_2604
; %bb.2603:
	s_wait_loadcnt 0x0
	global_load_b32 v1, v[12:13], off
	s_wait_loadcnt 0x0
	v_cvt_i32_f32_e32 v8, v1
.LBB94_2604:
	s_mov_b32 s22, 0
.LBB94_2605:
	s_delay_alu instid0(SALU_CYCLE_1)
	s_and_not1_b32 vcc_lo, exec_lo, s22
	s_cbranch_vccnz .LBB94_2607
; %bb.2606:
	s_wait_loadcnt 0x0
	global_load_b32 v1, v[12:13], off
	s_wait_loadcnt 0x0
	v_cvt_i16_f16_e32 v8, v1
.LBB94_2607:
	s_mov_b32 s22, 0
.LBB94_2608:
	s_delay_alu instid0(SALU_CYCLE_1)
	s_and_not1_b32 vcc_lo, exec_lo, s22
	s_cbranch_vccnz .LBB94_2619
; %bb.2609:
	s_cmp_lt_i32 s16, 6
	s_cbranch_scc1 .LBB94_2612
; %bb.2610:
	s_cmp_gt_i32 s16, 6
	s_cbranch_scc0 .LBB94_2613
; %bb.2611:
	s_wait_loadcnt 0x0
	global_load_b64 v[8:9], v[12:13], off
	s_mov_b32 s22, 0
	s_wait_loadcnt 0x0
	v_cvt_i32_f64_e32 v8, v[8:9]
	s_branch .LBB94_2614
.LBB94_2612:
	s_mov_b32 s22, -1
                                        ; implicit-def: $vgpr8
	s_branch .LBB94_2617
.LBB94_2613:
	s_mov_b32 s22, -1
                                        ; implicit-def: $vgpr8
.LBB94_2614:
	s_delay_alu instid0(SALU_CYCLE_1)
	s_and_not1_b32 vcc_lo, exec_lo, s22
	s_cbranch_vccnz .LBB94_2616
; %bb.2615:
	s_wait_loadcnt 0x0
	global_load_b32 v1, v[12:13], off
	s_wait_loadcnt 0x0
	v_cvt_i32_f32_e32 v8, v1
.LBB94_2616:
	s_mov_b32 s22, 0
.LBB94_2617:
	s_delay_alu instid0(SALU_CYCLE_1)
	s_and_not1_b32 vcc_lo, exec_lo, s22
	s_cbranch_vccnz .LBB94_2619
; %bb.2618:
	s_wait_loadcnt 0x0
	global_load_u16 v1, v[12:13], off
	s_wait_loadcnt 0x0
	v_cvt_i16_f16_e32 v8, v1
.LBB94_2619:
	s_mov_b32 s22, 0
.LBB94_2620:
	s_delay_alu instid0(SALU_CYCLE_1)
	s_and_not1_b32 vcc_lo, exec_lo, s22
	s_cbranch_vccnz .LBB94_2640
; %bb.2621:
	s_cmp_lt_i32 s16, 2
	s_cbranch_scc1 .LBB94_2625
; %bb.2622:
	s_cmp_lt_i32 s16, 3
	s_cbranch_scc1 .LBB94_2626
; %bb.2623:
	s_cmp_gt_i32 s16, 3
	s_cbranch_scc0 .LBB94_2627
; %bb.2624:
	s_wait_loadcnt 0x0
	global_load_b64 v[8:9], v[12:13], off
	s_mov_b32 s22, 0
	s_branch .LBB94_2628
.LBB94_2625:
	s_mov_b32 s22, -1
                                        ; implicit-def: $vgpr8
	s_branch .LBB94_2634
.LBB94_2626:
	s_mov_b32 s22, -1
                                        ; implicit-def: $vgpr8
	s_branch .LBB94_2631
.LBB94_2627:
	s_mov_b32 s22, -1
                                        ; implicit-def: $vgpr8
.LBB94_2628:
	s_delay_alu instid0(SALU_CYCLE_1)
	s_and_not1_b32 vcc_lo, exec_lo, s22
	s_cbranch_vccnz .LBB94_2630
; %bb.2629:
	s_wait_loadcnt 0x0
	global_load_b32 v8, v[12:13], off
.LBB94_2630:
	s_mov_b32 s22, 0
.LBB94_2631:
	s_delay_alu instid0(SALU_CYCLE_1)
	s_and_not1_b32 vcc_lo, exec_lo, s22
	s_cbranch_vccnz .LBB94_2633
; %bb.2632:
	s_wait_loadcnt 0x0
	global_load_u16 v8, v[12:13], off
.LBB94_2633:
	s_mov_b32 s22, 0
.LBB94_2634:
	s_delay_alu instid0(SALU_CYCLE_1)
	s_and_not1_b32 vcc_lo, exec_lo, s22
	s_cbranch_vccnz .LBB94_2640
; %bb.2635:
	s_cmp_gt_i32 s16, 0
	s_mov_b32 s16, 0
	s_cbranch_scc0 .LBB94_2637
; %bb.2636:
	s_wait_loadcnt 0x0
	global_load_i8 v8, v[12:13], off
	s_branch .LBB94_2638
.LBB94_2637:
	s_mov_b32 s16, -1
                                        ; implicit-def: $vgpr8
.LBB94_2638:
	s_delay_alu instid0(SALU_CYCLE_1)
	s_and_not1_b32 vcc_lo, exec_lo, s16
	s_cbranch_vccnz .LBB94_2640
; %bb.2639:
	s_wait_loadcnt 0x0
	global_load_u8 v8, v[12:13], off
.LBB94_2640:
	s_mov_b32 s24, -1
.LBB94_2641:
	s_delay_alu instid0(SALU_CYCLE_1)
	s_and_not1_b32 vcc_lo, exec_lo, s24
	s_cbranch_vccnz .LBB94_3968
; %bb.2642:
	s_lshl_b32 s15, s15, 7
	s_cmp_lt_i32 s0, 11
	v_add_nc_u32_e32 v18, s15, v10
	s_delay_alu instid0(VALU_DEP_1) | instskip(NEXT) | instid1(VALU_DEP_1)
	v_ashrrev_i32_e32 v19, 31, v18
	v_add_nc_u64_e32 v[10:11], s[10:11], v[18:19]
	s_cbranch_scc1 .LBB94_2649
; %bb.2643:
	s_cmp_gt_i32 s0, 25
	s_mov_b32 s22, 0
	s_cbranch_scc0 .LBB94_2650
; %bb.2644:
	s_cmp_gt_i32 s0, 28
	s_cbranch_scc0 .LBB94_2651
; %bb.2645:
	s_cmp_gt_i32 s0, 43
	;; [unrolled: 3-line block ×3, first 2 shown]
	s_cbranch_scc0 .LBB94_2654
; %bb.2647:
	s_cmp_eq_u32 s0, 46
	s_mov_b32 s24, 0
	s_cbranch_scc0 .LBB94_2657
; %bb.2648:
	s_wait_loadcnt 0x0
	global_load_b32 v1, v[10:11], off
	s_mov_b32 s16, 0
	s_mov_b32 s23, -1
	s_wait_loadcnt 0x0
	v_lshlrev_b32_e32 v1, 16, v1
	s_wait_xcnt 0x1
	s_delay_alu instid0(VALU_DEP_1)
	v_cvt_i32_f32_e32 v12, v1
	s_branch .LBB94_2659
.LBB94_2649:
	s_mov_b32 s16, -1
	s_mov_b32 s23, 0
                                        ; implicit-def: $vgpr12
	s_branch .LBB94_2721
.LBB94_2650:
	s_mov_b32 s24, -1
	s_mov_b32 s23, 0
	s_mov_b32 s16, 0
                                        ; implicit-def: $vgpr12
	s_branch .LBB94_2686
.LBB94_2651:
	s_mov_b32 s24, -1
	s_mov_b32 s23, 0
	s_mov_b32 s16, 0
                                        ; implicit-def: $vgpr12
	s_branch .LBB94_2669
.LBB94_2652:
	s_mov_b32 s24, -1
	s_mov_b32 s23, 0
	s_mov_b32 s16, 0
                                        ; implicit-def: $vgpr12
	s_branch .LBB94_2664
.LBB94_2653:
	s_or_b32 s18, s18, exec_lo
	s_trap 2
	s_cbranch_execz .LBB94_2590
	s_branch .LBB94_2591
.LBB94_2654:
	s_mov_b32 s24, -1
	s_mov_b32 s23, 0
	s_mov_b32 s16, 0
	s_branch .LBB94_2658
.LBB94_2655:
	s_and_not1_saveexec_b32 s41, s41
	s_cbranch_execz .LBB94_1428
.LBB94_2656:
	v_add_f32_e64 v3, 0x46000000, |v2|
	s_and_not1_b32 s40, s40, exec_lo
	s_delay_alu instid0(VALU_DEP_1) | instskip(NEXT) | instid1(VALU_DEP_1)
	v_and_b32_e32 v3, 0xff, v3
	v_cmp_ne_u32_e32 vcc_lo, 0, v3
	s_and_b32 s42, vcc_lo, exec_lo
	s_delay_alu instid0(SALU_CYCLE_1)
	s_or_b32 s40, s40, s42
	s_or_b32 exec_lo, exec_lo, s41
	v_mov_b32_e32 v5, 0
	s_and_saveexec_b32 s41, s40
	s_cbranch_execnz .LBB94_1429
	s_branch .LBB94_1430
.LBB94_2657:
	s_mov_b32 s16, -1
	s_mov_b32 s23, 0
.LBB94_2658:
                                        ; implicit-def: $vgpr12
.LBB94_2659:
	s_and_b32 vcc_lo, exec_lo, s24
	s_cbranch_vccz .LBB94_2663
; %bb.2660:
	s_cmp_eq_u32 s0, 44
	s_cbranch_scc0 .LBB94_2662
; %bb.2661:
	s_wait_loadcnt 0x0
	global_load_u8 v1, v[10:11], off
	s_mov_b32 s16, 0
	s_mov_b32 s23, -1
	s_wait_loadcnt 0x0
	v_lshlrev_b32_e32 v3, 23, v1
	v_cmp_ne_u32_e32 vcc_lo, 0, v1
	s_delay_alu instid0(VALU_DEP_2) | instskip(SKIP_1) | instid1(VALU_DEP_1)
	v_cvt_i32_f32_e32 v3, v3
	s_wait_xcnt 0x1
	v_cndmask_b32_e32 v12, 0, v3, vcc_lo
	s_branch .LBB94_2663
.LBB94_2662:
	s_mov_b32 s16, -1
                                        ; implicit-def: $vgpr12
.LBB94_2663:
	s_mov_b32 s24, 0
.LBB94_2664:
	s_delay_alu instid0(SALU_CYCLE_1)
	s_and_b32 vcc_lo, exec_lo, s24
	s_cbranch_vccz .LBB94_2668
; %bb.2665:
	s_cmp_eq_u32 s0, 29
	s_cbranch_scc0 .LBB94_2667
; %bb.2666:
	global_load_b64 v[12:13], v[10:11], off
	s_mov_b32 s16, 0
	s_mov_b32 s23, -1
	s_branch .LBB94_2668
.LBB94_2667:
	s_mov_b32 s16, -1
                                        ; implicit-def: $vgpr12
.LBB94_2668:
	s_mov_b32 s24, 0
.LBB94_2669:
	s_delay_alu instid0(SALU_CYCLE_1)
	s_and_b32 vcc_lo, exec_lo, s24
	s_cbranch_vccz .LBB94_2685
; %bb.2670:
	s_cmp_lt_i32 s0, 27
	s_cbranch_scc1 .LBB94_2673
; %bb.2671:
	s_cmp_gt_i32 s0, 27
	s_cbranch_scc0 .LBB94_2674
; %bb.2672:
	s_wait_loadcnt 0x0
	global_load_b32 v12, v[10:11], off
	s_mov_b32 s23, 0
	s_branch .LBB94_2675
.LBB94_2673:
	s_mov_b32 s23, -1
                                        ; implicit-def: $vgpr12
	s_branch .LBB94_2678
.LBB94_2674:
	s_mov_b32 s23, -1
                                        ; implicit-def: $vgpr12
.LBB94_2675:
	s_delay_alu instid0(SALU_CYCLE_1)
	s_and_not1_b32 vcc_lo, exec_lo, s23
	s_cbranch_vccnz .LBB94_2677
; %bb.2676:
	s_wait_loadcnt 0x0
	global_load_u16 v12, v[10:11], off
.LBB94_2677:
	s_mov_b32 s23, 0
.LBB94_2678:
	s_delay_alu instid0(SALU_CYCLE_1)
	s_and_not1_b32 vcc_lo, exec_lo, s23
	s_cbranch_vccnz .LBB94_2684
; %bb.2679:
	s_wait_loadcnt 0x0
	global_load_u8 v1, v[10:11], off
	s_mov_b32 s24, 0
	s_mov_b32 s23, exec_lo
	s_wait_loadcnt 0x0
	v_cmpx_lt_i16_e32 0x7f, v1
	s_xor_b32 s23, exec_lo, s23
	s_cbranch_execz .LBB94_2696
; %bb.2680:
	v_cmp_ne_u16_e32 vcc_lo, 0x80, v1
	s_and_b32 s24, vcc_lo, exec_lo
	s_and_not1_saveexec_b32 s23, s23
	s_cbranch_execnz .LBB94_2697
.LBB94_2681:
	s_or_b32 exec_lo, exec_lo, s23
	v_mov_b32_e32 v12, 0
	s_and_saveexec_b32 s23, s24
	s_cbranch_execz .LBB94_2683
.LBB94_2682:
	v_and_b32_e32 v3, 0xffff, v1
	s_delay_alu instid0(VALU_DEP_1) | instskip(SKIP_1) | instid1(VALU_DEP_2)
	v_dual_lshlrev_b32 v1, 24, v1 :: v_dual_bitop2_b32 v5, 7, v3 bitop3:0x40
	v_bfe_u32 v12, v3, 3, 4
	v_and_b32_e32 v1, 0x80000000, v1
	s_delay_alu instid0(VALU_DEP_3) | instskip(NEXT) | instid1(VALU_DEP_3)
	v_clz_i32_u32_e32 v7, v5
	v_cmp_eq_u32_e32 vcc_lo, 0, v12
	s_delay_alu instid0(VALU_DEP_2) | instskip(NEXT) | instid1(VALU_DEP_1)
	v_min_u32_e32 v7, 32, v7
	v_subrev_nc_u32_e32 v9, 28, v7
	v_sub_nc_u32_e32 v7, 29, v7
	s_delay_alu instid0(VALU_DEP_2) | instskip(NEXT) | instid1(VALU_DEP_2)
	v_lshlrev_b32_e32 v3, v9, v3
	v_cndmask_b32_e32 v7, v12, v7, vcc_lo
	s_delay_alu instid0(VALU_DEP_2) | instskip(NEXT) | instid1(VALU_DEP_1)
	v_and_b32_e32 v3, 7, v3
	v_cndmask_b32_e32 v3, v5, v3, vcc_lo
	s_delay_alu instid0(VALU_DEP_3) | instskip(NEXT) | instid1(VALU_DEP_2)
	v_lshl_add_u32 v5, v7, 23, 0x3b800000
	v_lshlrev_b32_e32 v3, 20, v3
	s_delay_alu instid0(VALU_DEP_1) | instskip(NEXT) | instid1(VALU_DEP_1)
	v_or3_b32 v1, v1, v5, v3
	v_cvt_i32_f32_e32 v12, v1
.LBB94_2683:
	s_or_b32 exec_lo, exec_lo, s23
.LBB94_2684:
	s_mov_b32 s23, -1
.LBB94_2685:
	s_mov_b32 s24, 0
.LBB94_2686:
	s_delay_alu instid0(SALU_CYCLE_1)
	s_and_b32 vcc_lo, exec_lo, s24
	s_cbranch_vccz .LBB94_2717
; %bb.2687:
	s_cmp_gt_i32 s0, 22
	s_cbranch_scc0 .LBB94_2695
; %bb.2688:
	s_cmp_lt_i32 s0, 24
	s_cbranch_scc1 .LBB94_2698
; %bb.2689:
	s_cmp_gt_i32 s0, 24
	s_cbranch_scc0 .LBB94_2699
; %bb.2690:
	s_wait_loadcnt 0x0
	global_load_u8 v1, v[10:11], off
	s_mov_b32 s23, 0
	s_mov_b32 s22, exec_lo
	s_wait_loadcnt 0x0
	v_cmpx_lt_i16_e32 0x7f, v1
	s_xor_b32 s22, exec_lo, s22
	s_cbranch_execz .LBB94_2711
; %bb.2691:
	v_cmp_ne_u16_e32 vcc_lo, 0x80, v1
	s_and_b32 s23, vcc_lo, exec_lo
	s_and_not1_saveexec_b32 s22, s22
	s_cbranch_execnz .LBB94_2712
.LBB94_2692:
	s_or_b32 exec_lo, exec_lo, s22
	v_mov_b32_e32 v12, 0
	s_and_saveexec_b32 s22, s23
	s_cbranch_execz .LBB94_2694
.LBB94_2693:
	v_and_b32_e32 v3, 0xffff, v1
	s_delay_alu instid0(VALU_DEP_1) | instskip(SKIP_1) | instid1(VALU_DEP_2)
	v_dual_lshlrev_b32 v1, 24, v1 :: v_dual_bitop2_b32 v5, 3, v3 bitop3:0x40
	v_bfe_u32 v12, v3, 2, 5
	v_and_b32_e32 v1, 0x80000000, v1
	s_delay_alu instid0(VALU_DEP_3) | instskip(NEXT) | instid1(VALU_DEP_3)
	v_clz_i32_u32_e32 v7, v5
	v_cmp_eq_u32_e32 vcc_lo, 0, v12
	s_delay_alu instid0(VALU_DEP_2) | instskip(NEXT) | instid1(VALU_DEP_1)
	v_min_u32_e32 v7, 32, v7
	v_subrev_nc_u32_e32 v9, 29, v7
	v_sub_nc_u32_e32 v7, 30, v7
	s_delay_alu instid0(VALU_DEP_2) | instskip(NEXT) | instid1(VALU_DEP_2)
	v_lshlrev_b32_e32 v3, v9, v3
	v_cndmask_b32_e32 v7, v12, v7, vcc_lo
	s_delay_alu instid0(VALU_DEP_2) | instskip(NEXT) | instid1(VALU_DEP_1)
	v_and_b32_e32 v3, 3, v3
	v_cndmask_b32_e32 v3, v5, v3, vcc_lo
	s_delay_alu instid0(VALU_DEP_3) | instskip(NEXT) | instid1(VALU_DEP_2)
	v_lshl_add_u32 v5, v7, 23, 0x37800000
	v_lshlrev_b32_e32 v3, 21, v3
	s_delay_alu instid0(VALU_DEP_1) | instskip(NEXT) | instid1(VALU_DEP_1)
	v_or3_b32 v1, v1, v5, v3
	v_cvt_i32_f32_e32 v12, v1
.LBB94_2694:
	s_or_b32 exec_lo, exec_lo, s22
	s_mov_b32 s22, 0
	s_branch .LBB94_2700
.LBB94_2695:
	s_mov_b32 s22, -1
                                        ; implicit-def: $vgpr12
	s_branch .LBB94_2706
.LBB94_2696:
	s_and_not1_saveexec_b32 s23, s23
	s_cbranch_execz .LBB94_2681
.LBB94_2697:
	v_cmp_ne_u16_e32 vcc_lo, 0, v1
	s_and_not1_b32 s24, s24, exec_lo
	s_and_b32 s25, vcc_lo, exec_lo
	s_delay_alu instid0(SALU_CYCLE_1)
	s_or_b32 s24, s24, s25
	s_or_b32 exec_lo, exec_lo, s23
	v_mov_b32_e32 v12, 0
	s_and_saveexec_b32 s23, s24
	s_cbranch_execnz .LBB94_2682
	s_branch .LBB94_2683
.LBB94_2698:
	s_mov_b32 s22, -1
                                        ; implicit-def: $vgpr12
	s_branch .LBB94_2703
.LBB94_2699:
	s_mov_b32 s22, -1
                                        ; implicit-def: $vgpr12
.LBB94_2700:
	s_delay_alu instid0(SALU_CYCLE_1)
	s_and_b32 vcc_lo, exec_lo, s22
	s_cbranch_vccz .LBB94_2702
; %bb.2701:
	s_wait_loadcnt 0x0
	global_load_u8 v1, v[10:11], off
	s_wait_loadcnt 0x0
	v_lshlrev_b32_e32 v1, 24, v1
	s_delay_alu instid0(VALU_DEP_1) | instskip(NEXT) | instid1(VALU_DEP_1)
	v_and_b32_e32 v3, 0x7f000000, v1
	v_clz_i32_u32_e32 v5, v3
	v_add_nc_u32_e32 v9, 0x1000000, v3
	v_cmp_ne_u32_e32 vcc_lo, 0, v3
	s_delay_alu instid0(VALU_DEP_3) | instskip(NEXT) | instid1(VALU_DEP_1)
	v_min_u32_e32 v5, 32, v5
	v_sub_nc_u32_e64 v5, v5, 4 clamp
	s_delay_alu instid0(VALU_DEP_1) | instskip(NEXT) | instid1(VALU_DEP_1)
	v_dual_lshlrev_b32 v7, v5, v3 :: v_dual_lshlrev_b32 v5, 23, v5
	v_lshrrev_b32_e32 v7, 4, v7
	s_delay_alu instid0(VALU_DEP_1) | instskip(SKIP_1) | instid1(VALU_DEP_2)
	v_sub_nc_u32_e32 v5, v7, v5
	v_ashrrev_i32_e32 v7, 8, v9
	v_add_nc_u32_e32 v5, 0x3c000000, v5
	s_delay_alu instid0(VALU_DEP_1) | instskip(NEXT) | instid1(VALU_DEP_1)
	v_and_or_b32 v5, 0x7f800000, v7, v5
	v_cndmask_b32_e32 v3, 0, v5, vcc_lo
	s_delay_alu instid0(VALU_DEP_1) | instskip(SKIP_1) | instid1(VALU_DEP_1)
	v_and_or_b32 v1, 0x80000000, v1, v3
	s_wait_xcnt 0x1
	v_cvt_i32_f32_e32 v12, v1
.LBB94_2702:
	s_mov_b32 s22, 0
.LBB94_2703:
	s_delay_alu instid0(SALU_CYCLE_1)
	s_and_not1_b32 vcc_lo, exec_lo, s22
	s_cbranch_vccnz .LBB94_2705
; %bb.2704:
	s_wait_loadcnt 0x0
	global_load_u8 v1, v[10:11], off
	s_wait_loadcnt 0x0
	v_lshlrev_b32_e32 v3, 25, v1
	v_lshlrev_b16 v1, 8, v1
	s_delay_alu instid0(VALU_DEP_1) | instskip(SKIP_1) | instid1(VALU_DEP_2)
	v_and_or_b32 v7, 0x7f00, v1, 0.5
	v_bfe_i32 v1, v1, 0, 16
	v_add_f32_e32 v7, -0.5, v7
	v_lshrrev_b32_e32 v5, 4, v3
	v_cmp_gt_u32_e32 vcc_lo, 0x8000000, v3
	s_delay_alu instid0(VALU_DEP_2) | instskip(NEXT) | instid1(VALU_DEP_1)
	v_or_b32_e32 v5, 0x70000000, v5
	v_mul_f32_e32 v5, 0x7800000, v5
	s_delay_alu instid0(VALU_DEP_1) | instskip(NEXT) | instid1(VALU_DEP_1)
	v_cndmask_b32_e32 v3, v5, v7, vcc_lo
	v_and_or_b32 v1, 0x80000000, v1, v3
	s_wait_xcnt 0x1
	s_delay_alu instid0(VALU_DEP_1)
	v_cvt_i32_f32_e32 v12, v1
.LBB94_2705:
	s_mov_b32 s22, 0
	s_mov_b32 s23, -1
.LBB94_2706:
	s_and_not1_b32 vcc_lo, exec_lo, s22
	s_mov_b32 s22, 0
	s_cbranch_vccnz .LBB94_2717
; %bb.2707:
	s_cmp_gt_i32 s0, 14
	s_cbranch_scc0 .LBB94_2710
; %bb.2708:
	s_cmp_eq_u32 s0, 15
	s_cbranch_scc0 .LBB94_2713
; %bb.2709:
	s_wait_loadcnt 0x0
	global_load_u16 v1, v[10:11], off
	s_mov_b32 s16, 0
	s_mov_b32 s23, -1
	s_wait_loadcnt 0x0
	v_lshlrev_b32_e32 v1, 16, v1
	s_wait_xcnt 0x1
	s_delay_alu instid0(VALU_DEP_1)
	v_cvt_i32_f32_e32 v12, v1
	s_branch .LBB94_2715
.LBB94_2710:
	s_mov_b32 s22, -1
	s_branch .LBB94_2714
.LBB94_2711:
	s_and_not1_saveexec_b32 s22, s22
	s_cbranch_execz .LBB94_2692
.LBB94_2712:
	v_cmp_ne_u16_e32 vcc_lo, 0, v1
	s_and_not1_b32 s23, s23, exec_lo
	s_and_b32 s24, vcc_lo, exec_lo
	s_delay_alu instid0(SALU_CYCLE_1)
	s_or_b32 s23, s23, s24
	s_or_b32 exec_lo, exec_lo, s22
	v_mov_b32_e32 v12, 0
	s_and_saveexec_b32 s22, s23
	s_cbranch_execnz .LBB94_2693
	s_branch .LBB94_2694
.LBB94_2713:
	s_mov_b32 s16, -1
.LBB94_2714:
                                        ; implicit-def: $vgpr12
.LBB94_2715:
	s_and_b32 vcc_lo, exec_lo, s22
	s_mov_b32 s22, 0
	s_cbranch_vccz .LBB94_2717
; %bb.2716:
	s_cmp_lg_u32 s0, 11
	s_mov_b32 s22, -1
	s_cselect_b32 s16, -1, 0
.LBB94_2717:
	s_delay_alu instid0(SALU_CYCLE_1)
	s_and_b32 vcc_lo, exec_lo, s16
	s_cbranch_vccnz .LBB94_2782
; %bb.2718:
	s_and_not1_b32 vcc_lo, exec_lo, s22
	s_cbranch_vccnz .LBB94_2720
.LBB94_2719:
	s_wait_loadcnt 0x0
	global_load_u8 v1, v[10:11], off
	s_mov_b32 s23, -1
	s_wait_loadcnt 0x0
	v_cmp_ne_u16_e32 vcc_lo, 0, v1
	s_wait_xcnt 0x1
	v_cndmask_b32_e64 v12, 0, 1, vcc_lo
.LBB94_2720:
	s_mov_b32 s16, 0
.LBB94_2721:
	s_delay_alu instid0(SALU_CYCLE_1)
	s_and_b32 vcc_lo, exec_lo, s16
	s_cbranch_vccz .LBB94_2770
; %bb.2722:
	s_cmp_lt_i32 s0, 5
	s_cbranch_scc1 .LBB94_2727
; %bb.2723:
	s_cmp_lt_i32 s0, 8
	s_cbranch_scc1 .LBB94_2728
	;; [unrolled: 3-line block ×3, first 2 shown]
; %bb.2725:
	s_cmp_gt_i32 s0, 9
	s_cbranch_scc0 .LBB94_2730
; %bb.2726:
	s_wait_loadcnt 0x0
	global_load_b64 v[12:13], v[10:11], off
	s_mov_b32 s16, 0
	s_wait_loadcnt 0x0
	v_cvt_i32_f64_e32 v12, v[12:13]
	s_branch .LBB94_2731
.LBB94_2727:
	s_mov_b32 s16, -1
                                        ; implicit-def: $vgpr12
	s_branch .LBB94_2749
.LBB94_2728:
	s_mov_b32 s16, -1
                                        ; implicit-def: $vgpr12
	s_branch .LBB94_2737
.LBB94_2729:
	s_mov_b32 s16, -1
                                        ; implicit-def: $vgpr12
	s_branch .LBB94_2734
.LBB94_2730:
	s_mov_b32 s16, -1
                                        ; implicit-def: $vgpr12
.LBB94_2731:
	s_delay_alu instid0(SALU_CYCLE_1)
	s_and_not1_b32 vcc_lo, exec_lo, s16
	s_cbranch_vccnz .LBB94_2733
; %bb.2732:
	s_wait_loadcnt 0x0
	global_load_b32 v1, v[10:11], off
	s_wait_loadcnt 0x0
	s_wait_xcnt 0x1
	v_cvt_i32_f32_e32 v12, v1
.LBB94_2733:
	s_mov_b32 s16, 0
.LBB94_2734:
	s_delay_alu instid0(SALU_CYCLE_1)
	s_and_not1_b32 vcc_lo, exec_lo, s16
	s_cbranch_vccnz .LBB94_2736
; %bb.2735:
	s_wait_loadcnt 0x0
	global_load_b32 v1, v[10:11], off
	s_wait_loadcnt 0x0
	s_wait_xcnt 0x1
	v_cvt_i16_f16_e32 v12, v1
.LBB94_2736:
	s_mov_b32 s16, 0
.LBB94_2737:
	s_delay_alu instid0(SALU_CYCLE_1)
	s_and_not1_b32 vcc_lo, exec_lo, s16
	s_cbranch_vccnz .LBB94_2748
; %bb.2738:
	s_cmp_lt_i32 s0, 6
	s_cbranch_scc1 .LBB94_2741
; %bb.2739:
	s_cmp_gt_i32 s0, 6
	s_cbranch_scc0 .LBB94_2742
; %bb.2740:
	s_wait_loadcnt 0x0
	global_load_b64 v[12:13], v[10:11], off
	s_mov_b32 s16, 0
	s_wait_loadcnt 0x0
	v_cvt_i32_f64_e32 v12, v[12:13]
	s_branch .LBB94_2743
.LBB94_2741:
	s_mov_b32 s16, -1
                                        ; implicit-def: $vgpr12
	s_branch .LBB94_2746
.LBB94_2742:
	s_mov_b32 s16, -1
                                        ; implicit-def: $vgpr12
.LBB94_2743:
	s_delay_alu instid0(SALU_CYCLE_1)
	s_and_not1_b32 vcc_lo, exec_lo, s16
	s_cbranch_vccnz .LBB94_2745
; %bb.2744:
	s_wait_loadcnt 0x0
	global_load_b32 v1, v[10:11], off
	s_wait_loadcnt 0x0
	s_wait_xcnt 0x1
	v_cvt_i32_f32_e32 v12, v1
.LBB94_2745:
	s_mov_b32 s16, 0
.LBB94_2746:
	s_delay_alu instid0(SALU_CYCLE_1)
	s_and_not1_b32 vcc_lo, exec_lo, s16
	s_cbranch_vccnz .LBB94_2748
; %bb.2747:
	s_wait_loadcnt 0x0
	global_load_u16 v1, v[10:11], off
	s_wait_loadcnt 0x0
	s_wait_xcnt 0x1
	v_cvt_i16_f16_e32 v12, v1
.LBB94_2748:
	s_mov_b32 s16, 0
.LBB94_2749:
	s_delay_alu instid0(SALU_CYCLE_1)
	s_and_not1_b32 vcc_lo, exec_lo, s16
	s_cbranch_vccnz .LBB94_2769
; %bb.2750:
	s_cmp_lt_i32 s0, 2
	s_cbranch_scc1 .LBB94_2754
; %bb.2751:
	s_cmp_lt_i32 s0, 3
	s_cbranch_scc1 .LBB94_2755
; %bb.2752:
	s_cmp_gt_i32 s0, 3
	s_cbranch_scc0 .LBB94_2756
; %bb.2753:
	s_wait_loadcnt 0x0
	global_load_b64 v[12:13], v[10:11], off
	s_mov_b32 s16, 0
	s_branch .LBB94_2757
.LBB94_2754:
	s_mov_b32 s16, -1
                                        ; implicit-def: $vgpr12
	s_branch .LBB94_2763
.LBB94_2755:
	s_mov_b32 s16, -1
                                        ; implicit-def: $vgpr12
	s_branch .LBB94_2760
.LBB94_2756:
	s_mov_b32 s16, -1
                                        ; implicit-def: $vgpr12
.LBB94_2757:
	s_delay_alu instid0(SALU_CYCLE_1)
	s_and_not1_b32 vcc_lo, exec_lo, s16
	s_cbranch_vccnz .LBB94_2759
; %bb.2758:
	s_wait_loadcnt 0x0
	global_load_b32 v12, v[10:11], off
.LBB94_2759:
	s_mov_b32 s16, 0
.LBB94_2760:
	s_delay_alu instid0(SALU_CYCLE_1)
	s_and_not1_b32 vcc_lo, exec_lo, s16
	s_cbranch_vccnz .LBB94_2762
; %bb.2761:
	s_wait_loadcnt 0x0
	global_load_u16 v12, v[10:11], off
.LBB94_2762:
	s_mov_b32 s16, 0
.LBB94_2763:
	s_delay_alu instid0(SALU_CYCLE_1)
	s_and_not1_b32 vcc_lo, exec_lo, s16
	s_cbranch_vccnz .LBB94_2769
; %bb.2764:
	s_cmp_gt_i32 s0, 0
	s_mov_b32 s16, 0
	s_cbranch_scc0 .LBB94_2766
; %bb.2765:
	s_wait_loadcnt 0x0
	global_load_i8 v12, v[10:11], off
	s_branch .LBB94_2767
.LBB94_2766:
	s_mov_b32 s16, -1
                                        ; implicit-def: $vgpr12
.LBB94_2767:
	s_delay_alu instid0(SALU_CYCLE_1)
	s_and_not1_b32 vcc_lo, exec_lo, s16
	s_cbranch_vccnz .LBB94_2769
; %bb.2768:
	s_wait_loadcnt 0x0
	global_load_u8 v12, v[10:11], off
.LBB94_2769:
	s_mov_b32 s23, -1
.LBB94_2770:
	s_delay_alu instid0(SALU_CYCLE_1)
	s_and_not1_b32 vcc_lo, exec_lo, s23
	s_cbranch_vccnz .LBB94_3968
; %bb.2771:
	v_add_nc_u32_e32 v20, s13, v14
	s_cmp_lt_i32 s19, 11
	s_delay_alu instid0(VALU_DEP_1) | instskip(NEXT) | instid1(VALU_DEP_1)
	v_ashrrev_i32_e32 v21, 31, v20
	v_add_nc_u64_e32 v[14:15], s[6:7], v[20:21]
	s_cbranch_scc1 .LBB94_2778
; %bb.2772:
	s_and_b32 s16, 0xffff, s19
	s_mov_b32 s23, 0
	s_cmp_gt_i32 s16, 25
	s_cbranch_scc0 .LBB94_2779
; %bb.2773:
	s_cmp_gt_i32 s16, 28
	s_cbranch_scc0 .LBB94_2780
; %bb.2774:
	;; [unrolled: 3-line block ×4, first 2 shown]
	s_cmp_eq_u32 s16, 46
	s_mov_b32 s25, 0
	s_cbranch_scc0 .LBB94_2786
; %bb.2777:
	s_wait_loadcnt 0x0
	global_load_b32 v1, v[14:15], off
	s_mov_b32 s22, 0
	s_mov_b32 s24, -1
	s_wait_loadcnt 0x0
	v_lshlrev_b32_e32 v1, 16, v1
	s_wait_xcnt 0x1
	s_delay_alu instid0(VALU_DEP_1)
	v_cvt_i32_f32_e32 v10, v1
	s_branch .LBB94_2788
.LBB94_2778:
	s_mov_b32 s16, -1
	s_mov_b32 s24, 0
                                        ; implicit-def: $vgpr10
	s_branch .LBB94_2850
.LBB94_2779:
	s_mov_b32 s25, -1
	s_mov_b32 s24, 0
	s_mov_b32 s22, 0
                                        ; implicit-def: $vgpr10
	s_branch .LBB94_2815
.LBB94_2780:
	s_mov_b32 s25, -1
	s_mov_b32 s24, 0
	s_mov_b32 s22, 0
                                        ; implicit-def: $vgpr10
	s_branch .LBB94_2798
.LBB94_2781:
	s_mov_b32 s25, -1
	s_mov_b32 s24, 0
	s_mov_b32 s22, 0
                                        ; implicit-def: $vgpr10
	s_branch .LBB94_2793
.LBB94_2782:
	s_or_b32 s18, s18, exec_lo
	s_trap 2
	s_cbranch_execz .LBB94_2719
	s_branch .LBB94_2720
.LBB94_2783:
	s_mov_b32 s25, -1
	s_mov_b32 s24, 0
	s_mov_b32 s22, 0
	s_branch .LBB94_2787
.LBB94_2784:
	s_and_not1_saveexec_b32 s41, s41
	s_cbranch_execz .LBB94_1441
.LBB94_2785:
	v_add_f32_e64 v3, 0x42800000, |v2|
	s_and_not1_b32 s40, s40, exec_lo
	s_delay_alu instid0(VALU_DEP_1) | instskip(NEXT) | instid1(VALU_DEP_1)
	v_and_b32_e32 v3, 0xff, v3
	v_cmp_ne_u32_e32 vcc_lo, 0, v3
	s_and_b32 s42, vcc_lo, exec_lo
	s_delay_alu instid0(SALU_CYCLE_1)
	s_or_b32 s40, s40, s42
	s_or_b32 exec_lo, exec_lo, s41
	v_mov_b32_e32 v5, 0
	s_and_saveexec_b32 s41, s40
	s_cbranch_execnz .LBB94_1442
	s_branch .LBB94_1443
.LBB94_2786:
	s_mov_b32 s22, -1
	s_mov_b32 s24, 0
.LBB94_2787:
                                        ; implicit-def: $vgpr10
.LBB94_2788:
	s_and_b32 vcc_lo, exec_lo, s25
	s_cbranch_vccz .LBB94_2792
; %bb.2789:
	s_cmp_eq_u32 s16, 44
	s_cbranch_scc0 .LBB94_2791
; %bb.2790:
	s_wait_loadcnt 0x0
	global_load_u8 v1, v[14:15], off
	s_mov_b32 s22, 0
	s_mov_b32 s24, -1
	s_wait_loadcnt 0x0
	v_lshlrev_b32_e32 v3, 23, v1
	v_cmp_ne_u32_e32 vcc_lo, 0, v1
	s_delay_alu instid0(VALU_DEP_2) | instskip(SKIP_1) | instid1(VALU_DEP_1)
	v_cvt_i32_f32_e32 v3, v3
	s_wait_xcnt 0x1
	v_cndmask_b32_e32 v10, 0, v3, vcc_lo
	s_branch .LBB94_2792
.LBB94_2791:
	s_mov_b32 s22, -1
                                        ; implicit-def: $vgpr10
.LBB94_2792:
	s_mov_b32 s25, 0
.LBB94_2793:
	s_delay_alu instid0(SALU_CYCLE_1)
	s_and_b32 vcc_lo, exec_lo, s25
	s_cbranch_vccz .LBB94_2797
; %bb.2794:
	s_cmp_eq_u32 s16, 29
	s_cbranch_scc0 .LBB94_2796
; %bb.2795:
	global_load_b64 v[10:11], v[14:15], off
	s_mov_b32 s22, 0
	s_mov_b32 s24, -1
	s_branch .LBB94_2797
.LBB94_2796:
	s_mov_b32 s22, -1
                                        ; implicit-def: $vgpr10
.LBB94_2797:
	s_mov_b32 s25, 0
.LBB94_2798:
	s_delay_alu instid0(SALU_CYCLE_1)
	s_and_b32 vcc_lo, exec_lo, s25
	s_cbranch_vccz .LBB94_2814
; %bb.2799:
	s_cmp_lt_i32 s16, 27
	s_cbranch_scc1 .LBB94_2802
; %bb.2800:
	s_cmp_gt_i32 s16, 27
	s_cbranch_scc0 .LBB94_2803
; %bb.2801:
	s_wait_loadcnt 0x0
	global_load_b32 v10, v[14:15], off
	s_mov_b32 s24, 0
	s_branch .LBB94_2804
.LBB94_2802:
	s_mov_b32 s24, -1
                                        ; implicit-def: $vgpr10
	s_branch .LBB94_2807
.LBB94_2803:
	s_mov_b32 s24, -1
                                        ; implicit-def: $vgpr10
.LBB94_2804:
	s_delay_alu instid0(SALU_CYCLE_1)
	s_and_not1_b32 vcc_lo, exec_lo, s24
	s_cbranch_vccnz .LBB94_2806
; %bb.2805:
	s_wait_loadcnt 0x0
	global_load_u16 v10, v[14:15], off
.LBB94_2806:
	s_mov_b32 s24, 0
.LBB94_2807:
	s_delay_alu instid0(SALU_CYCLE_1)
	s_and_not1_b32 vcc_lo, exec_lo, s24
	s_cbranch_vccnz .LBB94_2813
; %bb.2808:
	s_wait_loadcnt 0x0
	global_load_u8 v1, v[14:15], off
	s_mov_b32 s25, 0
	s_mov_b32 s24, exec_lo
	s_wait_loadcnt 0x0
	v_cmpx_lt_i16_e32 0x7f, v1
	s_xor_b32 s24, exec_lo, s24
	s_cbranch_execz .LBB94_2825
; %bb.2809:
	v_cmp_ne_u16_e32 vcc_lo, 0x80, v1
	s_and_b32 s25, vcc_lo, exec_lo
	s_and_not1_saveexec_b32 s24, s24
	s_cbranch_execnz .LBB94_2826
.LBB94_2810:
	s_or_b32 exec_lo, exec_lo, s24
	v_mov_b32_e32 v10, 0
	s_and_saveexec_b32 s24, s25
	s_cbranch_execz .LBB94_2812
.LBB94_2811:
	v_and_b32_e32 v3, 0xffff, v1
	s_delay_alu instid0(VALU_DEP_1) | instskip(SKIP_1) | instid1(VALU_DEP_2)
	v_dual_lshlrev_b32 v1, 24, v1 :: v_dual_bitop2_b32 v5, 7, v3 bitop3:0x40
	v_bfe_u32 v10, v3, 3, 4
	v_and_b32_e32 v1, 0x80000000, v1
	s_delay_alu instid0(VALU_DEP_3) | instskip(NEXT) | instid1(VALU_DEP_3)
	v_clz_i32_u32_e32 v7, v5
	v_cmp_eq_u32_e32 vcc_lo, 0, v10
	s_delay_alu instid0(VALU_DEP_2) | instskip(NEXT) | instid1(VALU_DEP_1)
	v_min_u32_e32 v7, 32, v7
	v_subrev_nc_u32_e32 v9, 28, v7
	v_sub_nc_u32_e32 v7, 29, v7
	s_delay_alu instid0(VALU_DEP_2) | instskip(NEXT) | instid1(VALU_DEP_2)
	v_lshlrev_b32_e32 v3, v9, v3
	v_cndmask_b32_e32 v7, v10, v7, vcc_lo
	s_delay_alu instid0(VALU_DEP_2) | instskip(NEXT) | instid1(VALU_DEP_1)
	v_and_b32_e32 v3, 7, v3
	v_cndmask_b32_e32 v3, v5, v3, vcc_lo
	s_delay_alu instid0(VALU_DEP_3) | instskip(NEXT) | instid1(VALU_DEP_2)
	v_lshl_add_u32 v5, v7, 23, 0x3b800000
	v_lshlrev_b32_e32 v3, 20, v3
	s_delay_alu instid0(VALU_DEP_1) | instskip(NEXT) | instid1(VALU_DEP_1)
	v_or3_b32 v1, v1, v5, v3
	v_cvt_i32_f32_e32 v10, v1
.LBB94_2812:
	s_or_b32 exec_lo, exec_lo, s24
.LBB94_2813:
	s_mov_b32 s24, -1
.LBB94_2814:
	s_mov_b32 s25, 0
.LBB94_2815:
	s_delay_alu instid0(SALU_CYCLE_1)
	s_and_b32 vcc_lo, exec_lo, s25
	s_cbranch_vccz .LBB94_2846
; %bb.2816:
	s_cmp_gt_i32 s16, 22
	s_cbranch_scc0 .LBB94_2824
; %bb.2817:
	s_cmp_lt_i32 s16, 24
	s_cbranch_scc1 .LBB94_2827
; %bb.2818:
	s_cmp_gt_i32 s16, 24
	s_cbranch_scc0 .LBB94_2828
; %bb.2819:
	s_wait_loadcnt 0x0
	global_load_u8 v1, v[14:15], off
	s_mov_b32 s24, 0
	s_mov_b32 s23, exec_lo
	s_wait_loadcnt 0x0
	v_cmpx_lt_i16_e32 0x7f, v1
	s_xor_b32 s23, exec_lo, s23
	s_cbranch_execz .LBB94_2840
; %bb.2820:
	v_cmp_ne_u16_e32 vcc_lo, 0x80, v1
	s_and_b32 s24, vcc_lo, exec_lo
	s_and_not1_saveexec_b32 s23, s23
	s_cbranch_execnz .LBB94_2841
.LBB94_2821:
	s_or_b32 exec_lo, exec_lo, s23
	v_mov_b32_e32 v10, 0
	s_and_saveexec_b32 s23, s24
	s_cbranch_execz .LBB94_2823
.LBB94_2822:
	v_and_b32_e32 v3, 0xffff, v1
	s_delay_alu instid0(VALU_DEP_1) | instskip(SKIP_1) | instid1(VALU_DEP_2)
	v_dual_lshlrev_b32 v1, 24, v1 :: v_dual_bitop2_b32 v5, 3, v3 bitop3:0x40
	v_bfe_u32 v10, v3, 2, 5
	v_and_b32_e32 v1, 0x80000000, v1
	s_delay_alu instid0(VALU_DEP_3) | instskip(NEXT) | instid1(VALU_DEP_3)
	v_clz_i32_u32_e32 v7, v5
	v_cmp_eq_u32_e32 vcc_lo, 0, v10
	s_delay_alu instid0(VALU_DEP_2) | instskip(NEXT) | instid1(VALU_DEP_1)
	v_min_u32_e32 v7, 32, v7
	v_subrev_nc_u32_e32 v9, 29, v7
	v_sub_nc_u32_e32 v7, 30, v7
	s_delay_alu instid0(VALU_DEP_2) | instskip(NEXT) | instid1(VALU_DEP_2)
	v_lshlrev_b32_e32 v3, v9, v3
	v_cndmask_b32_e32 v7, v10, v7, vcc_lo
	s_delay_alu instid0(VALU_DEP_2) | instskip(NEXT) | instid1(VALU_DEP_1)
	v_and_b32_e32 v3, 3, v3
	v_cndmask_b32_e32 v3, v5, v3, vcc_lo
	s_delay_alu instid0(VALU_DEP_3) | instskip(NEXT) | instid1(VALU_DEP_2)
	v_lshl_add_u32 v5, v7, 23, 0x37800000
	v_lshlrev_b32_e32 v3, 21, v3
	s_delay_alu instid0(VALU_DEP_1) | instskip(NEXT) | instid1(VALU_DEP_1)
	v_or3_b32 v1, v1, v5, v3
	v_cvt_i32_f32_e32 v10, v1
.LBB94_2823:
	s_or_b32 exec_lo, exec_lo, s23
	s_mov_b32 s23, 0
	s_branch .LBB94_2829
.LBB94_2824:
	s_mov_b32 s23, -1
                                        ; implicit-def: $vgpr10
	s_branch .LBB94_2835
.LBB94_2825:
	s_and_not1_saveexec_b32 s24, s24
	s_cbranch_execz .LBB94_2810
.LBB94_2826:
	v_cmp_ne_u16_e32 vcc_lo, 0, v1
	s_and_not1_b32 s25, s25, exec_lo
	s_and_b32 s26, vcc_lo, exec_lo
	s_delay_alu instid0(SALU_CYCLE_1)
	s_or_b32 s25, s25, s26
	s_or_b32 exec_lo, exec_lo, s24
	v_mov_b32_e32 v10, 0
	s_and_saveexec_b32 s24, s25
	s_cbranch_execnz .LBB94_2811
	s_branch .LBB94_2812
.LBB94_2827:
	s_mov_b32 s23, -1
                                        ; implicit-def: $vgpr10
	s_branch .LBB94_2832
.LBB94_2828:
	s_mov_b32 s23, -1
                                        ; implicit-def: $vgpr10
.LBB94_2829:
	s_delay_alu instid0(SALU_CYCLE_1)
	s_and_b32 vcc_lo, exec_lo, s23
	s_cbranch_vccz .LBB94_2831
; %bb.2830:
	s_wait_loadcnt 0x0
	global_load_u8 v1, v[14:15], off
	s_wait_loadcnt 0x0
	v_lshlrev_b32_e32 v1, 24, v1
	s_delay_alu instid0(VALU_DEP_1) | instskip(NEXT) | instid1(VALU_DEP_1)
	v_and_b32_e32 v3, 0x7f000000, v1
	v_clz_i32_u32_e32 v5, v3
	v_add_nc_u32_e32 v9, 0x1000000, v3
	v_cmp_ne_u32_e32 vcc_lo, 0, v3
	s_delay_alu instid0(VALU_DEP_3) | instskip(NEXT) | instid1(VALU_DEP_1)
	v_min_u32_e32 v5, 32, v5
	v_sub_nc_u32_e64 v5, v5, 4 clamp
	s_delay_alu instid0(VALU_DEP_1) | instskip(NEXT) | instid1(VALU_DEP_1)
	v_dual_lshlrev_b32 v7, v5, v3 :: v_dual_lshlrev_b32 v5, 23, v5
	v_lshrrev_b32_e32 v7, 4, v7
	s_delay_alu instid0(VALU_DEP_1) | instskip(SKIP_1) | instid1(VALU_DEP_2)
	v_sub_nc_u32_e32 v5, v7, v5
	v_ashrrev_i32_e32 v7, 8, v9
	v_add_nc_u32_e32 v5, 0x3c000000, v5
	s_delay_alu instid0(VALU_DEP_1) | instskip(NEXT) | instid1(VALU_DEP_1)
	v_and_or_b32 v5, 0x7f800000, v7, v5
	v_cndmask_b32_e32 v3, 0, v5, vcc_lo
	s_delay_alu instid0(VALU_DEP_1) | instskip(SKIP_1) | instid1(VALU_DEP_1)
	v_and_or_b32 v1, 0x80000000, v1, v3
	s_wait_xcnt 0x1
	v_cvt_i32_f32_e32 v10, v1
.LBB94_2831:
	s_mov_b32 s23, 0
.LBB94_2832:
	s_delay_alu instid0(SALU_CYCLE_1)
	s_and_not1_b32 vcc_lo, exec_lo, s23
	s_cbranch_vccnz .LBB94_2834
; %bb.2833:
	s_wait_loadcnt 0x0
	global_load_u8 v1, v[14:15], off
	s_wait_loadcnt 0x0
	v_lshlrev_b32_e32 v3, 25, v1
	v_lshlrev_b16 v1, 8, v1
	s_delay_alu instid0(VALU_DEP_1) | instskip(SKIP_1) | instid1(VALU_DEP_2)
	v_and_or_b32 v7, 0x7f00, v1, 0.5
	v_bfe_i32 v1, v1, 0, 16
	v_add_f32_e32 v7, -0.5, v7
	v_lshrrev_b32_e32 v5, 4, v3
	v_cmp_gt_u32_e32 vcc_lo, 0x8000000, v3
	s_delay_alu instid0(VALU_DEP_2) | instskip(NEXT) | instid1(VALU_DEP_1)
	v_or_b32_e32 v5, 0x70000000, v5
	v_mul_f32_e32 v5, 0x7800000, v5
	s_delay_alu instid0(VALU_DEP_1) | instskip(NEXT) | instid1(VALU_DEP_1)
	v_cndmask_b32_e32 v3, v5, v7, vcc_lo
	v_and_or_b32 v1, 0x80000000, v1, v3
	s_wait_xcnt 0x1
	s_delay_alu instid0(VALU_DEP_1)
	v_cvt_i32_f32_e32 v10, v1
.LBB94_2834:
	s_mov_b32 s23, 0
	s_mov_b32 s24, -1
.LBB94_2835:
	s_and_not1_b32 vcc_lo, exec_lo, s23
	s_mov_b32 s23, 0
	s_cbranch_vccnz .LBB94_2846
; %bb.2836:
	s_cmp_gt_i32 s16, 14
	s_cbranch_scc0 .LBB94_2839
; %bb.2837:
	s_cmp_eq_u32 s16, 15
	s_cbranch_scc0 .LBB94_2842
; %bb.2838:
	s_wait_loadcnt 0x0
	global_load_u16 v1, v[14:15], off
	s_mov_b32 s22, 0
	s_mov_b32 s24, -1
	s_wait_loadcnt 0x0
	v_lshlrev_b32_e32 v1, 16, v1
	s_wait_xcnt 0x1
	s_delay_alu instid0(VALU_DEP_1)
	v_cvt_i32_f32_e32 v10, v1
	s_branch .LBB94_2844
.LBB94_2839:
	s_mov_b32 s23, -1
	s_branch .LBB94_2843
.LBB94_2840:
	s_and_not1_saveexec_b32 s23, s23
	s_cbranch_execz .LBB94_2821
.LBB94_2841:
	v_cmp_ne_u16_e32 vcc_lo, 0, v1
	s_and_not1_b32 s24, s24, exec_lo
	s_and_b32 s25, vcc_lo, exec_lo
	s_delay_alu instid0(SALU_CYCLE_1)
	s_or_b32 s24, s24, s25
	s_or_b32 exec_lo, exec_lo, s23
	v_mov_b32_e32 v10, 0
	s_and_saveexec_b32 s23, s24
	s_cbranch_execnz .LBB94_2822
	s_branch .LBB94_2823
.LBB94_2842:
	s_mov_b32 s22, -1
.LBB94_2843:
                                        ; implicit-def: $vgpr10
.LBB94_2844:
	s_and_b32 vcc_lo, exec_lo, s23
	s_mov_b32 s23, 0
	s_cbranch_vccz .LBB94_2846
; %bb.2845:
	s_cmp_lg_u32 s16, 11
	s_mov_b32 s23, -1
	s_cselect_b32 s22, -1, 0
.LBB94_2846:
	s_delay_alu instid0(SALU_CYCLE_1)
	s_and_b32 vcc_lo, exec_lo, s22
	s_cbranch_vccnz .LBB94_2911
; %bb.2847:
	s_and_not1_b32 vcc_lo, exec_lo, s23
	s_cbranch_vccnz .LBB94_2849
.LBB94_2848:
	s_wait_loadcnt 0x0
	global_load_u8 v1, v[14:15], off
	s_mov_b32 s24, -1
	s_wait_loadcnt 0x0
	v_cmp_ne_u16_e32 vcc_lo, 0, v1
	s_wait_xcnt 0x1
	v_cndmask_b32_e64 v10, 0, 1, vcc_lo
.LBB94_2849:
	s_mov_b32 s16, 0
.LBB94_2850:
	s_delay_alu instid0(SALU_CYCLE_1)
	s_and_b32 vcc_lo, exec_lo, s16
	s_cbranch_vccz .LBB94_2899
; %bb.2851:
	s_and_b32 s16, 0xffff, s19
	s_delay_alu instid0(SALU_CYCLE_1)
	s_cmp_lt_i32 s16, 5
	s_cbranch_scc1 .LBB94_2856
; %bb.2852:
	s_cmp_lt_i32 s16, 8
	s_cbranch_scc1 .LBB94_2857
; %bb.2853:
	;; [unrolled: 3-line block ×3, first 2 shown]
	s_cmp_gt_i32 s16, 9
	s_cbranch_scc0 .LBB94_2859
; %bb.2855:
	s_wait_loadcnt 0x0
	global_load_b64 v[10:11], v[14:15], off
	s_mov_b32 s22, 0
	s_wait_loadcnt 0x0
	v_cvt_i32_f64_e32 v10, v[10:11]
	s_branch .LBB94_2860
.LBB94_2856:
	s_mov_b32 s22, -1
                                        ; implicit-def: $vgpr10
	s_branch .LBB94_2878
.LBB94_2857:
	s_mov_b32 s22, -1
                                        ; implicit-def: $vgpr10
	s_branch .LBB94_2866
.LBB94_2858:
	s_mov_b32 s22, -1
                                        ; implicit-def: $vgpr10
	s_branch .LBB94_2863
.LBB94_2859:
	s_mov_b32 s22, -1
                                        ; implicit-def: $vgpr10
.LBB94_2860:
	s_delay_alu instid0(SALU_CYCLE_1)
	s_and_not1_b32 vcc_lo, exec_lo, s22
	s_cbranch_vccnz .LBB94_2862
; %bb.2861:
	s_wait_loadcnt 0x0
	global_load_b32 v1, v[14:15], off
	s_wait_loadcnt 0x0
	s_wait_xcnt 0x1
	v_cvt_i32_f32_e32 v10, v1
.LBB94_2862:
	s_mov_b32 s22, 0
.LBB94_2863:
	s_delay_alu instid0(SALU_CYCLE_1)
	s_and_not1_b32 vcc_lo, exec_lo, s22
	s_cbranch_vccnz .LBB94_2865
; %bb.2864:
	s_wait_loadcnt 0x0
	global_load_b32 v1, v[14:15], off
	s_wait_loadcnt 0x0
	s_wait_xcnt 0x1
	v_cvt_i16_f16_e32 v10, v1
.LBB94_2865:
	s_mov_b32 s22, 0
.LBB94_2866:
	s_delay_alu instid0(SALU_CYCLE_1)
	s_and_not1_b32 vcc_lo, exec_lo, s22
	s_cbranch_vccnz .LBB94_2877
; %bb.2867:
	s_cmp_lt_i32 s16, 6
	s_cbranch_scc1 .LBB94_2870
; %bb.2868:
	s_cmp_gt_i32 s16, 6
	s_cbranch_scc0 .LBB94_2871
; %bb.2869:
	s_wait_loadcnt 0x0
	global_load_b64 v[10:11], v[14:15], off
	s_mov_b32 s22, 0
	s_wait_loadcnt 0x0
	v_cvt_i32_f64_e32 v10, v[10:11]
	s_branch .LBB94_2872
.LBB94_2870:
	s_mov_b32 s22, -1
                                        ; implicit-def: $vgpr10
	s_branch .LBB94_2875
.LBB94_2871:
	s_mov_b32 s22, -1
                                        ; implicit-def: $vgpr10
.LBB94_2872:
	s_delay_alu instid0(SALU_CYCLE_1)
	s_and_not1_b32 vcc_lo, exec_lo, s22
	s_cbranch_vccnz .LBB94_2874
; %bb.2873:
	s_wait_loadcnt 0x0
	global_load_b32 v1, v[14:15], off
	s_wait_loadcnt 0x0
	s_wait_xcnt 0x1
	v_cvt_i32_f32_e32 v10, v1
.LBB94_2874:
	s_mov_b32 s22, 0
.LBB94_2875:
	s_delay_alu instid0(SALU_CYCLE_1)
	s_and_not1_b32 vcc_lo, exec_lo, s22
	s_cbranch_vccnz .LBB94_2877
; %bb.2876:
	s_wait_loadcnt 0x0
	global_load_u16 v1, v[14:15], off
	s_wait_loadcnt 0x0
	s_wait_xcnt 0x1
	v_cvt_i16_f16_e32 v10, v1
.LBB94_2877:
	s_mov_b32 s22, 0
.LBB94_2878:
	s_delay_alu instid0(SALU_CYCLE_1)
	s_and_not1_b32 vcc_lo, exec_lo, s22
	s_cbranch_vccnz .LBB94_2898
; %bb.2879:
	s_cmp_lt_i32 s16, 2
	s_cbranch_scc1 .LBB94_2883
; %bb.2880:
	s_cmp_lt_i32 s16, 3
	s_cbranch_scc1 .LBB94_2884
; %bb.2881:
	s_cmp_gt_i32 s16, 3
	s_cbranch_scc0 .LBB94_2885
; %bb.2882:
	s_wait_loadcnt 0x0
	global_load_b64 v[10:11], v[14:15], off
	s_mov_b32 s22, 0
	s_branch .LBB94_2886
.LBB94_2883:
	s_mov_b32 s22, -1
                                        ; implicit-def: $vgpr10
	s_branch .LBB94_2892
.LBB94_2884:
	s_mov_b32 s22, -1
                                        ; implicit-def: $vgpr10
	s_branch .LBB94_2889
.LBB94_2885:
	s_mov_b32 s22, -1
                                        ; implicit-def: $vgpr10
.LBB94_2886:
	s_delay_alu instid0(SALU_CYCLE_1)
	s_and_not1_b32 vcc_lo, exec_lo, s22
	s_cbranch_vccnz .LBB94_2888
; %bb.2887:
	s_wait_loadcnt 0x0
	global_load_b32 v10, v[14:15], off
.LBB94_2888:
	s_mov_b32 s22, 0
.LBB94_2889:
	s_delay_alu instid0(SALU_CYCLE_1)
	s_and_not1_b32 vcc_lo, exec_lo, s22
	s_cbranch_vccnz .LBB94_2891
; %bb.2890:
	s_wait_loadcnt 0x0
	global_load_u16 v10, v[14:15], off
.LBB94_2891:
	s_mov_b32 s22, 0
.LBB94_2892:
	s_delay_alu instid0(SALU_CYCLE_1)
	s_and_not1_b32 vcc_lo, exec_lo, s22
	s_cbranch_vccnz .LBB94_2898
; %bb.2893:
	s_cmp_gt_i32 s16, 0
	s_mov_b32 s16, 0
	s_cbranch_scc0 .LBB94_2895
; %bb.2894:
	s_wait_loadcnt 0x0
	global_load_i8 v10, v[14:15], off
	s_branch .LBB94_2896
.LBB94_2895:
	s_mov_b32 s16, -1
                                        ; implicit-def: $vgpr10
.LBB94_2896:
	s_delay_alu instid0(SALU_CYCLE_1)
	s_and_not1_b32 vcc_lo, exec_lo, s16
	s_cbranch_vccnz .LBB94_2898
; %bb.2897:
	s_wait_loadcnt 0x0
	global_load_u8 v10, v[14:15], off
.LBB94_2898:
	s_mov_b32 s24, -1
.LBB94_2899:
	s_delay_alu instid0(SALU_CYCLE_1)
	s_and_not1_b32 vcc_lo, exec_lo, s24
	s_cbranch_vccnz .LBB94_3968
; %bb.2900:
	v_add_nc_u32_e32 v22, s14, v16
	s_cmp_lt_i32 s17, 11
	s_delay_alu instid0(VALU_DEP_1) | instskip(NEXT) | instid1(VALU_DEP_1)
	v_ashrrev_i32_e32 v23, 31, v22
	v_add_nc_u64_e32 v[16:17], s[8:9], v[22:23]
	s_cbranch_scc1 .LBB94_2907
; %bb.2901:
	s_and_b32 s16, 0xffff, s17
	s_mov_b32 s23, 0
	s_cmp_gt_i32 s16, 25
	s_cbranch_scc0 .LBB94_2908
; %bb.2902:
	s_cmp_gt_i32 s16, 28
	s_cbranch_scc0 .LBB94_2909
; %bb.2903:
	;; [unrolled: 3-line block ×4, first 2 shown]
	s_cmp_eq_u32 s16, 46
	s_mov_b32 s25, 0
	s_cbranch_scc0 .LBB94_2913
; %bb.2906:
	s_wait_loadcnt 0x0
	global_load_b32 v1, v[16:17], off
	s_mov_b32 s22, 0
	s_mov_b32 s24, -1
	s_wait_loadcnt 0x0
	v_lshlrev_b32_e32 v1, 16, v1
	s_wait_xcnt 0x1
	s_delay_alu instid0(VALU_DEP_1)
	v_cvt_i32_f32_e32 v14, v1
	s_branch .LBB94_2915
.LBB94_2907:
	s_mov_b32 s16, -1
	s_mov_b32 s24, 0
                                        ; implicit-def: $vgpr14
	s_branch .LBB94_2977
.LBB94_2908:
	s_mov_b32 s25, -1
	s_mov_b32 s24, 0
	s_mov_b32 s22, 0
                                        ; implicit-def: $vgpr14
	s_branch .LBB94_2942
.LBB94_2909:
	s_mov_b32 s25, -1
	s_mov_b32 s24, 0
	s_mov_b32 s22, 0
                                        ; implicit-def: $vgpr14
	s_branch .LBB94_2925
.LBB94_2910:
	s_mov_b32 s25, -1
	s_mov_b32 s24, 0
	s_mov_b32 s22, 0
                                        ; implicit-def: $vgpr14
	s_branch .LBB94_2920
.LBB94_2911:
	s_or_b32 s18, s18, exec_lo
	s_trap 2
	s_cbranch_execz .LBB94_2848
	s_branch .LBB94_2849
.LBB94_2912:
	s_mov_b32 s25, -1
	s_mov_b32 s24, 0
	s_mov_b32 s22, 0
	s_branch .LBB94_2914
.LBB94_2913:
	s_mov_b32 s22, -1
	s_mov_b32 s24, 0
.LBB94_2914:
                                        ; implicit-def: $vgpr14
.LBB94_2915:
	s_and_b32 vcc_lo, exec_lo, s25
	s_cbranch_vccz .LBB94_2919
; %bb.2916:
	s_cmp_eq_u32 s16, 44
	s_cbranch_scc0 .LBB94_2918
; %bb.2917:
	s_wait_loadcnt 0x0
	global_load_u8 v1, v[16:17], off
	s_mov_b32 s22, 0
	s_mov_b32 s24, -1
	s_wait_loadcnt 0x0
	v_lshlrev_b32_e32 v3, 23, v1
	v_cmp_ne_u32_e32 vcc_lo, 0, v1
	s_delay_alu instid0(VALU_DEP_2) | instskip(SKIP_1) | instid1(VALU_DEP_1)
	v_cvt_i32_f32_e32 v3, v3
	s_wait_xcnt 0x1
	v_cndmask_b32_e32 v14, 0, v3, vcc_lo
	s_branch .LBB94_2919
.LBB94_2918:
	s_mov_b32 s22, -1
                                        ; implicit-def: $vgpr14
.LBB94_2919:
	s_mov_b32 s25, 0
.LBB94_2920:
	s_delay_alu instid0(SALU_CYCLE_1)
	s_and_b32 vcc_lo, exec_lo, s25
	s_cbranch_vccz .LBB94_2924
; %bb.2921:
	s_cmp_eq_u32 s16, 29
	s_cbranch_scc0 .LBB94_2923
; %bb.2922:
	global_load_b64 v[14:15], v[16:17], off
	s_mov_b32 s22, 0
	s_mov_b32 s24, -1
	s_branch .LBB94_2924
.LBB94_2923:
	s_mov_b32 s22, -1
                                        ; implicit-def: $vgpr14
.LBB94_2924:
	s_mov_b32 s25, 0
.LBB94_2925:
	s_delay_alu instid0(SALU_CYCLE_1)
	s_and_b32 vcc_lo, exec_lo, s25
	s_cbranch_vccz .LBB94_2941
; %bb.2926:
	s_cmp_lt_i32 s16, 27
	s_cbranch_scc1 .LBB94_2929
; %bb.2927:
	s_cmp_gt_i32 s16, 27
	s_cbranch_scc0 .LBB94_2930
; %bb.2928:
	s_wait_loadcnt 0x0
	global_load_b32 v14, v[16:17], off
	s_mov_b32 s24, 0
	s_branch .LBB94_2931
.LBB94_2929:
	s_mov_b32 s24, -1
                                        ; implicit-def: $vgpr14
	s_branch .LBB94_2934
.LBB94_2930:
	s_mov_b32 s24, -1
                                        ; implicit-def: $vgpr14
.LBB94_2931:
	s_delay_alu instid0(SALU_CYCLE_1)
	s_and_not1_b32 vcc_lo, exec_lo, s24
	s_cbranch_vccnz .LBB94_2933
; %bb.2932:
	s_wait_loadcnt 0x0
	global_load_u16 v14, v[16:17], off
.LBB94_2933:
	s_mov_b32 s24, 0
.LBB94_2934:
	s_delay_alu instid0(SALU_CYCLE_1)
	s_and_not1_b32 vcc_lo, exec_lo, s24
	s_cbranch_vccnz .LBB94_2940
; %bb.2935:
	s_wait_loadcnt 0x0
	global_load_u8 v1, v[16:17], off
	s_mov_b32 s25, 0
	s_mov_b32 s24, exec_lo
	s_wait_loadcnt 0x0
	v_cmpx_lt_i16_e32 0x7f, v1
	s_xor_b32 s24, exec_lo, s24
	s_cbranch_execz .LBB94_2952
; %bb.2936:
	v_cmp_ne_u16_e32 vcc_lo, 0x80, v1
	s_and_b32 s25, vcc_lo, exec_lo
	s_and_not1_saveexec_b32 s24, s24
	s_cbranch_execnz .LBB94_2953
.LBB94_2937:
	s_or_b32 exec_lo, exec_lo, s24
	v_mov_b32_e32 v14, 0
	s_and_saveexec_b32 s24, s25
	s_cbranch_execz .LBB94_2939
.LBB94_2938:
	v_and_b32_e32 v3, 0xffff, v1
	s_delay_alu instid0(VALU_DEP_1) | instskip(SKIP_1) | instid1(VALU_DEP_2)
	v_dual_lshlrev_b32 v1, 24, v1 :: v_dual_bitop2_b32 v5, 7, v3 bitop3:0x40
	v_bfe_u32 v11, v3, 3, 4
	v_and_b32_e32 v1, 0x80000000, v1
	s_delay_alu instid0(VALU_DEP_3) | instskip(NEXT) | instid1(VALU_DEP_3)
	v_clz_i32_u32_e32 v7, v5
	v_cmp_eq_u32_e32 vcc_lo, 0, v11
	s_delay_alu instid0(VALU_DEP_2) | instskip(NEXT) | instid1(VALU_DEP_1)
	v_min_u32_e32 v7, 32, v7
	v_subrev_nc_u32_e32 v9, 28, v7
	v_sub_nc_u32_e32 v7, 29, v7
	s_delay_alu instid0(VALU_DEP_2) | instskip(NEXT) | instid1(VALU_DEP_2)
	v_lshlrev_b32_e32 v3, v9, v3
	v_cndmask_b32_e32 v7, v11, v7, vcc_lo
	s_delay_alu instid0(VALU_DEP_2) | instskip(NEXT) | instid1(VALU_DEP_1)
	v_and_b32_e32 v3, 7, v3
	v_cndmask_b32_e32 v3, v5, v3, vcc_lo
	s_delay_alu instid0(VALU_DEP_3) | instskip(NEXT) | instid1(VALU_DEP_2)
	v_lshl_add_u32 v5, v7, 23, 0x3b800000
	v_lshlrev_b32_e32 v3, 20, v3
	s_delay_alu instid0(VALU_DEP_1) | instskip(NEXT) | instid1(VALU_DEP_1)
	v_or3_b32 v1, v1, v5, v3
	v_cvt_i32_f32_e32 v14, v1
.LBB94_2939:
	s_or_b32 exec_lo, exec_lo, s24
.LBB94_2940:
	s_mov_b32 s24, -1
.LBB94_2941:
	s_mov_b32 s25, 0
.LBB94_2942:
	s_delay_alu instid0(SALU_CYCLE_1)
	s_and_b32 vcc_lo, exec_lo, s25
	s_cbranch_vccz .LBB94_2973
; %bb.2943:
	s_cmp_gt_i32 s16, 22
	s_cbranch_scc0 .LBB94_2951
; %bb.2944:
	s_cmp_lt_i32 s16, 24
	s_cbranch_scc1 .LBB94_2954
; %bb.2945:
	s_cmp_gt_i32 s16, 24
	s_cbranch_scc0 .LBB94_2955
; %bb.2946:
	s_wait_loadcnt 0x0
	global_load_u8 v1, v[16:17], off
	s_mov_b32 s24, 0
	s_mov_b32 s23, exec_lo
	s_wait_loadcnt 0x0
	v_cmpx_lt_i16_e32 0x7f, v1
	s_xor_b32 s23, exec_lo, s23
	s_cbranch_execz .LBB94_2967
; %bb.2947:
	v_cmp_ne_u16_e32 vcc_lo, 0x80, v1
	s_and_b32 s24, vcc_lo, exec_lo
	s_and_not1_saveexec_b32 s23, s23
	s_cbranch_execnz .LBB94_2968
.LBB94_2948:
	s_or_b32 exec_lo, exec_lo, s23
	v_mov_b32_e32 v14, 0
	s_and_saveexec_b32 s23, s24
	s_cbranch_execz .LBB94_2950
.LBB94_2949:
	v_and_b32_e32 v3, 0xffff, v1
	s_delay_alu instid0(VALU_DEP_1) | instskip(SKIP_1) | instid1(VALU_DEP_2)
	v_dual_lshlrev_b32 v1, 24, v1 :: v_dual_bitop2_b32 v5, 3, v3 bitop3:0x40
	v_bfe_u32 v11, v3, 2, 5
	v_and_b32_e32 v1, 0x80000000, v1
	s_delay_alu instid0(VALU_DEP_3) | instskip(NEXT) | instid1(VALU_DEP_3)
	v_clz_i32_u32_e32 v7, v5
	v_cmp_eq_u32_e32 vcc_lo, 0, v11
	s_delay_alu instid0(VALU_DEP_2) | instskip(NEXT) | instid1(VALU_DEP_1)
	v_min_u32_e32 v7, 32, v7
	v_subrev_nc_u32_e32 v9, 29, v7
	v_sub_nc_u32_e32 v7, 30, v7
	s_delay_alu instid0(VALU_DEP_2) | instskip(NEXT) | instid1(VALU_DEP_2)
	v_lshlrev_b32_e32 v3, v9, v3
	v_cndmask_b32_e32 v7, v11, v7, vcc_lo
	s_delay_alu instid0(VALU_DEP_2) | instskip(NEXT) | instid1(VALU_DEP_1)
	v_and_b32_e32 v3, 3, v3
	v_cndmask_b32_e32 v3, v5, v3, vcc_lo
	s_delay_alu instid0(VALU_DEP_3) | instskip(NEXT) | instid1(VALU_DEP_2)
	v_lshl_add_u32 v5, v7, 23, 0x37800000
	v_lshlrev_b32_e32 v3, 21, v3
	s_delay_alu instid0(VALU_DEP_1) | instskip(NEXT) | instid1(VALU_DEP_1)
	v_or3_b32 v1, v1, v5, v3
	v_cvt_i32_f32_e32 v14, v1
.LBB94_2950:
	s_or_b32 exec_lo, exec_lo, s23
	s_mov_b32 s23, 0
	s_branch .LBB94_2956
.LBB94_2951:
	s_mov_b32 s23, -1
                                        ; implicit-def: $vgpr14
	s_branch .LBB94_2962
.LBB94_2952:
	s_and_not1_saveexec_b32 s24, s24
	s_cbranch_execz .LBB94_2937
.LBB94_2953:
	v_cmp_ne_u16_e32 vcc_lo, 0, v1
	s_and_not1_b32 s25, s25, exec_lo
	s_and_b32 s26, vcc_lo, exec_lo
	s_delay_alu instid0(SALU_CYCLE_1)
	s_or_b32 s25, s25, s26
	s_or_b32 exec_lo, exec_lo, s24
	v_mov_b32_e32 v14, 0
	s_and_saveexec_b32 s24, s25
	s_cbranch_execnz .LBB94_2938
	s_branch .LBB94_2939
.LBB94_2954:
	s_mov_b32 s23, -1
                                        ; implicit-def: $vgpr14
	s_branch .LBB94_2959
.LBB94_2955:
	s_mov_b32 s23, -1
                                        ; implicit-def: $vgpr14
.LBB94_2956:
	s_delay_alu instid0(SALU_CYCLE_1)
	s_and_b32 vcc_lo, exec_lo, s23
	s_cbranch_vccz .LBB94_2958
; %bb.2957:
	s_wait_loadcnt 0x0
	global_load_u8 v1, v[16:17], off
	s_wait_loadcnt 0x0
	v_lshlrev_b32_e32 v1, 24, v1
	s_delay_alu instid0(VALU_DEP_1) | instskip(NEXT) | instid1(VALU_DEP_1)
	v_and_b32_e32 v3, 0x7f000000, v1
	v_clz_i32_u32_e32 v5, v3
	v_add_nc_u32_e32 v9, 0x1000000, v3
	v_cmp_ne_u32_e32 vcc_lo, 0, v3
	s_delay_alu instid0(VALU_DEP_3) | instskip(NEXT) | instid1(VALU_DEP_1)
	v_min_u32_e32 v5, 32, v5
	v_sub_nc_u32_e64 v5, v5, 4 clamp
	s_delay_alu instid0(VALU_DEP_1) | instskip(NEXT) | instid1(VALU_DEP_1)
	v_dual_lshlrev_b32 v7, v5, v3 :: v_dual_lshlrev_b32 v5, 23, v5
	v_lshrrev_b32_e32 v7, 4, v7
	s_delay_alu instid0(VALU_DEP_1) | instskip(SKIP_1) | instid1(VALU_DEP_2)
	v_sub_nc_u32_e32 v5, v7, v5
	v_ashrrev_i32_e32 v7, 8, v9
	v_add_nc_u32_e32 v5, 0x3c000000, v5
	s_delay_alu instid0(VALU_DEP_1) | instskip(NEXT) | instid1(VALU_DEP_1)
	v_and_or_b32 v5, 0x7f800000, v7, v5
	v_cndmask_b32_e32 v3, 0, v5, vcc_lo
	s_delay_alu instid0(VALU_DEP_1) | instskip(SKIP_1) | instid1(VALU_DEP_1)
	v_and_or_b32 v1, 0x80000000, v1, v3
	s_wait_xcnt 0x1
	v_cvt_i32_f32_e32 v14, v1
.LBB94_2958:
	s_mov_b32 s23, 0
.LBB94_2959:
	s_delay_alu instid0(SALU_CYCLE_1)
	s_and_not1_b32 vcc_lo, exec_lo, s23
	s_cbranch_vccnz .LBB94_2961
; %bb.2960:
	s_wait_loadcnt 0x0
	global_load_u8 v1, v[16:17], off
	s_wait_loadcnt 0x0
	v_lshlrev_b32_e32 v3, 25, v1
	v_lshlrev_b16 v1, 8, v1
	s_delay_alu instid0(VALU_DEP_1) | instskip(SKIP_1) | instid1(VALU_DEP_2)
	v_and_or_b32 v7, 0x7f00, v1, 0.5
	v_bfe_i32 v1, v1, 0, 16
	v_add_f32_e32 v7, -0.5, v7
	v_lshrrev_b32_e32 v5, 4, v3
	v_cmp_gt_u32_e32 vcc_lo, 0x8000000, v3
	s_delay_alu instid0(VALU_DEP_2) | instskip(NEXT) | instid1(VALU_DEP_1)
	v_or_b32_e32 v5, 0x70000000, v5
	v_mul_f32_e32 v5, 0x7800000, v5
	s_delay_alu instid0(VALU_DEP_1) | instskip(NEXT) | instid1(VALU_DEP_1)
	v_cndmask_b32_e32 v3, v5, v7, vcc_lo
	v_and_or_b32 v1, 0x80000000, v1, v3
	s_wait_xcnt 0x1
	s_delay_alu instid0(VALU_DEP_1)
	v_cvt_i32_f32_e32 v14, v1
.LBB94_2961:
	s_mov_b32 s23, 0
	s_mov_b32 s24, -1
.LBB94_2962:
	s_and_not1_b32 vcc_lo, exec_lo, s23
	s_mov_b32 s23, 0
	s_cbranch_vccnz .LBB94_2973
; %bb.2963:
	s_cmp_gt_i32 s16, 14
	s_cbranch_scc0 .LBB94_2966
; %bb.2964:
	s_cmp_eq_u32 s16, 15
	s_cbranch_scc0 .LBB94_2969
; %bb.2965:
	s_wait_loadcnt 0x0
	global_load_u16 v1, v[16:17], off
	s_mov_b32 s22, 0
	s_mov_b32 s24, -1
	s_wait_loadcnt 0x0
	v_lshlrev_b32_e32 v1, 16, v1
	s_wait_xcnt 0x1
	s_delay_alu instid0(VALU_DEP_1)
	v_cvt_i32_f32_e32 v14, v1
	s_branch .LBB94_2971
.LBB94_2966:
	s_mov_b32 s23, -1
	s_branch .LBB94_2970
.LBB94_2967:
	s_and_not1_saveexec_b32 s23, s23
	s_cbranch_execz .LBB94_2948
.LBB94_2968:
	v_cmp_ne_u16_e32 vcc_lo, 0, v1
	s_and_not1_b32 s24, s24, exec_lo
	s_and_b32 s25, vcc_lo, exec_lo
	s_delay_alu instid0(SALU_CYCLE_1)
	s_or_b32 s24, s24, s25
	s_or_b32 exec_lo, exec_lo, s23
	v_mov_b32_e32 v14, 0
	s_and_saveexec_b32 s23, s24
	s_cbranch_execnz .LBB94_2949
	s_branch .LBB94_2950
.LBB94_2969:
	s_mov_b32 s22, -1
.LBB94_2970:
                                        ; implicit-def: $vgpr14
.LBB94_2971:
	s_and_b32 vcc_lo, exec_lo, s23
	s_mov_b32 s23, 0
	s_cbranch_vccz .LBB94_2973
; %bb.2972:
	s_cmp_lg_u32 s16, 11
	s_mov_b32 s23, -1
	s_cselect_b32 s22, -1, 0
.LBB94_2973:
	s_delay_alu instid0(SALU_CYCLE_1)
	s_and_b32 vcc_lo, exec_lo, s22
	s_cbranch_vccnz .LBB94_3038
; %bb.2974:
	s_and_not1_b32 vcc_lo, exec_lo, s23
	s_cbranch_vccnz .LBB94_2976
.LBB94_2975:
	s_wait_loadcnt 0x0
	global_load_u8 v1, v[16:17], off
	s_mov_b32 s24, -1
	s_wait_loadcnt 0x0
	v_cmp_ne_u16_e32 vcc_lo, 0, v1
	s_wait_xcnt 0x1
	v_cndmask_b32_e64 v14, 0, 1, vcc_lo
.LBB94_2976:
	s_mov_b32 s16, 0
.LBB94_2977:
	s_delay_alu instid0(SALU_CYCLE_1)
	s_and_b32 vcc_lo, exec_lo, s16
	s_cbranch_vccz .LBB94_3026
; %bb.2978:
	s_and_b32 s16, 0xffff, s17
	s_delay_alu instid0(SALU_CYCLE_1)
	s_cmp_lt_i32 s16, 5
	s_cbranch_scc1 .LBB94_2983
; %bb.2979:
	s_cmp_lt_i32 s16, 8
	s_cbranch_scc1 .LBB94_2984
; %bb.2980:
	;; [unrolled: 3-line block ×3, first 2 shown]
	s_cmp_gt_i32 s16, 9
	s_cbranch_scc0 .LBB94_2986
; %bb.2982:
	s_wait_loadcnt 0x0
	global_load_b64 v[14:15], v[16:17], off
	s_mov_b32 s22, 0
	s_wait_loadcnt 0x0
	v_cvt_i32_f64_e32 v14, v[14:15]
	s_branch .LBB94_2987
.LBB94_2983:
	s_mov_b32 s22, -1
                                        ; implicit-def: $vgpr14
	s_branch .LBB94_3005
.LBB94_2984:
	s_mov_b32 s22, -1
                                        ; implicit-def: $vgpr14
	s_branch .LBB94_2993
.LBB94_2985:
	s_mov_b32 s22, -1
                                        ; implicit-def: $vgpr14
	s_branch .LBB94_2990
.LBB94_2986:
	s_mov_b32 s22, -1
                                        ; implicit-def: $vgpr14
.LBB94_2987:
	s_delay_alu instid0(SALU_CYCLE_1)
	s_and_not1_b32 vcc_lo, exec_lo, s22
	s_cbranch_vccnz .LBB94_2989
; %bb.2988:
	s_wait_loadcnt 0x0
	global_load_b32 v1, v[16:17], off
	s_wait_loadcnt 0x0
	s_wait_xcnt 0x1
	v_cvt_i32_f32_e32 v14, v1
.LBB94_2989:
	s_mov_b32 s22, 0
.LBB94_2990:
	s_delay_alu instid0(SALU_CYCLE_1)
	s_and_not1_b32 vcc_lo, exec_lo, s22
	s_cbranch_vccnz .LBB94_2992
; %bb.2991:
	s_wait_loadcnt 0x0
	global_load_b32 v1, v[16:17], off
	s_wait_loadcnt 0x0
	s_wait_xcnt 0x1
	v_cvt_i16_f16_e32 v14, v1
.LBB94_2992:
	s_mov_b32 s22, 0
.LBB94_2993:
	s_delay_alu instid0(SALU_CYCLE_1)
	s_and_not1_b32 vcc_lo, exec_lo, s22
	s_cbranch_vccnz .LBB94_3004
; %bb.2994:
	s_cmp_lt_i32 s16, 6
	s_cbranch_scc1 .LBB94_2997
; %bb.2995:
	s_cmp_gt_i32 s16, 6
	s_cbranch_scc0 .LBB94_2998
; %bb.2996:
	s_wait_loadcnt 0x0
	global_load_b64 v[14:15], v[16:17], off
	s_mov_b32 s22, 0
	s_wait_loadcnt 0x0
	v_cvt_i32_f64_e32 v14, v[14:15]
	s_branch .LBB94_2999
.LBB94_2997:
	s_mov_b32 s22, -1
                                        ; implicit-def: $vgpr14
	s_branch .LBB94_3002
.LBB94_2998:
	s_mov_b32 s22, -1
                                        ; implicit-def: $vgpr14
.LBB94_2999:
	s_delay_alu instid0(SALU_CYCLE_1)
	s_and_not1_b32 vcc_lo, exec_lo, s22
	s_cbranch_vccnz .LBB94_3001
; %bb.3000:
	s_wait_loadcnt 0x0
	global_load_b32 v1, v[16:17], off
	s_wait_loadcnt 0x0
	s_wait_xcnt 0x1
	v_cvt_i32_f32_e32 v14, v1
.LBB94_3001:
	s_mov_b32 s22, 0
.LBB94_3002:
	s_delay_alu instid0(SALU_CYCLE_1)
	s_and_not1_b32 vcc_lo, exec_lo, s22
	s_cbranch_vccnz .LBB94_3004
; %bb.3003:
	s_wait_loadcnt 0x0
	global_load_u16 v1, v[16:17], off
	s_wait_loadcnt 0x0
	s_wait_xcnt 0x1
	v_cvt_i16_f16_e32 v14, v1
.LBB94_3004:
	s_mov_b32 s22, 0
.LBB94_3005:
	s_delay_alu instid0(SALU_CYCLE_1)
	s_and_not1_b32 vcc_lo, exec_lo, s22
	s_cbranch_vccnz .LBB94_3025
; %bb.3006:
	s_cmp_lt_i32 s16, 2
	s_cbranch_scc1 .LBB94_3010
; %bb.3007:
	s_cmp_lt_i32 s16, 3
	s_cbranch_scc1 .LBB94_3011
; %bb.3008:
	s_cmp_gt_i32 s16, 3
	s_cbranch_scc0 .LBB94_3012
; %bb.3009:
	s_wait_loadcnt 0x0
	global_load_b64 v[14:15], v[16:17], off
	s_mov_b32 s22, 0
	s_branch .LBB94_3013
.LBB94_3010:
	s_mov_b32 s22, -1
                                        ; implicit-def: $vgpr14
	s_branch .LBB94_3019
.LBB94_3011:
	s_mov_b32 s22, -1
                                        ; implicit-def: $vgpr14
	s_branch .LBB94_3016
.LBB94_3012:
	s_mov_b32 s22, -1
                                        ; implicit-def: $vgpr14
.LBB94_3013:
	s_delay_alu instid0(SALU_CYCLE_1)
	s_and_not1_b32 vcc_lo, exec_lo, s22
	s_cbranch_vccnz .LBB94_3015
; %bb.3014:
	s_wait_loadcnt 0x0
	global_load_b32 v14, v[16:17], off
.LBB94_3015:
	s_mov_b32 s22, 0
.LBB94_3016:
	s_delay_alu instid0(SALU_CYCLE_1)
	s_and_not1_b32 vcc_lo, exec_lo, s22
	s_cbranch_vccnz .LBB94_3018
; %bb.3017:
	s_wait_loadcnt 0x0
	global_load_u16 v14, v[16:17], off
.LBB94_3018:
	s_mov_b32 s22, 0
.LBB94_3019:
	s_delay_alu instid0(SALU_CYCLE_1)
	s_and_not1_b32 vcc_lo, exec_lo, s22
	s_cbranch_vccnz .LBB94_3025
; %bb.3020:
	s_cmp_gt_i32 s16, 0
	s_mov_b32 s16, 0
	s_cbranch_scc0 .LBB94_3022
; %bb.3021:
	s_wait_loadcnt 0x0
	global_load_i8 v14, v[16:17], off
	s_branch .LBB94_3023
.LBB94_3022:
	s_mov_b32 s16, -1
                                        ; implicit-def: $vgpr14
.LBB94_3023:
	s_delay_alu instid0(SALU_CYCLE_1)
	s_and_not1_b32 vcc_lo, exec_lo, s16
	s_cbranch_vccnz .LBB94_3025
; %bb.3024:
	s_wait_loadcnt 0x0
	global_load_u8 v14, v[16:17], off
.LBB94_3025:
	s_mov_b32 s24, -1
.LBB94_3026:
	s_delay_alu instid0(SALU_CYCLE_1)
	s_and_not1_b32 vcc_lo, exec_lo, s24
	s_cbranch_vccnz .LBB94_3968
; %bb.3027:
	v_add_nc_u32_e32 v24, s15, v18
	s_cmp_lt_i32 s0, 11
	s_delay_alu instid0(VALU_DEP_1) | instskip(SKIP_1) | instid1(VALU_DEP_1)
	v_ashrrev_i32_e32 v25, 31, v24
	s_wait_xcnt 0x0
	v_add_nc_u64_e32 v[16:17], s[10:11], v[24:25]
	s_cbranch_scc1 .LBB94_3034
; %bb.3028:
	s_cmp_gt_i32 s0, 25
	s_mov_b32 s22, 0
	s_cbranch_scc0 .LBB94_3035
; %bb.3029:
	s_cmp_gt_i32 s0, 28
	s_cbranch_scc0 .LBB94_3036
; %bb.3030:
	s_cmp_gt_i32 s0, 43
	;; [unrolled: 3-line block ×3, first 2 shown]
	s_cbranch_scc0 .LBB94_3039
; %bb.3032:
	s_cmp_eq_u32 s0, 46
	s_mov_b32 s24, 0
	s_cbranch_scc0 .LBB94_3040
; %bb.3033:
	s_wait_loadcnt 0x0
	global_load_b32 v1, v[16:17], off
	s_mov_b32 s16, 0
	s_mov_b32 s23, -1
	s_wait_loadcnt 0x0
	v_lshlrev_b32_e32 v1, 16, v1
	s_delay_alu instid0(VALU_DEP_1)
	v_cvt_i32_f32_e32 v18, v1
	s_branch .LBB94_3042
.LBB94_3034:
	s_mov_b32 s16, -1
	s_mov_b32 s23, 0
                                        ; implicit-def: $vgpr18
	s_branch .LBB94_3104
.LBB94_3035:
	s_mov_b32 s24, -1
	s_mov_b32 s23, 0
	s_mov_b32 s16, 0
                                        ; implicit-def: $vgpr18
	s_branch .LBB94_3069
.LBB94_3036:
	s_mov_b32 s24, -1
	s_mov_b32 s23, 0
	s_mov_b32 s16, 0
                                        ; implicit-def: $vgpr18
	s_branch .LBB94_3052
.LBB94_3037:
	s_mov_b32 s24, -1
	s_mov_b32 s23, 0
	s_mov_b32 s16, 0
                                        ; implicit-def: $vgpr18
	s_branch .LBB94_3047
.LBB94_3038:
	s_or_b32 s18, s18, exec_lo
	s_trap 2
	s_cbranch_execz .LBB94_2975
	s_branch .LBB94_2976
.LBB94_3039:
	s_mov_b32 s24, -1
	s_mov_b32 s23, 0
	s_mov_b32 s16, 0
	s_branch .LBB94_3041
.LBB94_3040:
	s_mov_b32 s16, -1
	s_mov_b32 s23, 0
.LBB94_3041:
                                        ; implicit-def: $vgpr18
.LBB94_3042:
	s_and_b32 vcc_lo, exec_lo, s24
	s_cbranch_vccz .LBB94_3046
; %bb.3043:
	s_cmp_eq_u32 s0, 44
	s_cbranch_scc0 .LBB94_3045
; %bb.3044:
	s_wait_loadcnt 0x0
	global_load_u8 v1, v[16:17], off
	s_mov_b32 s16, 0
	s_mov_b32 s23, -1
	s_wait_loadcnt 0x0
	v_lshlrev_b32_e32 v3, 23, v1
	v_cmp_ne_u32_e32 vcc_lo, 0, v1
	s_delay_alu instid0(VALU_DEP_2) | instskip(NEXT) | instid1(VALU_DEP_1)
	v_cvt_i32_f32_e32 v3, v3
	v_cndmask_b32_e32 v18, 0, v3, vcc_lo
	s_branch .LBB94_3046
.LBB94_3045:
	s_mov_b32 s16, -1
                                        ; implicit-def: $vgpr18
.LBB94_3046:
	s_mov_b32 s24, 0
.LBB94_3047:
	s_delay_alu instid0(SALU_CYCLE_1)
	s_and_b32 vcc_lo, exec_lo, s24
	s_cbranch_vccz .LBB94_3051
; %bb.3048:
	s_cmp_eq_u32 s0, 29
	s_cbranch_scc0 .LBB94_3050
; %bb.3049:
	global_load_b64 v[18:19], v[16:17], off
	s_mov_b32 s16, 0
	s_mov_b32 s23, -1
	s_branch .LBB94_3051
.LBB94_3050:
	s_mov_b32 s16, -1
                                        ; implicit-def: $vgpr18
.LBB94_3051:
	s_mov_b32 s24, 0
.LBB94_3052:
	s_delay_alu instid0(SALU_CYCLE_1)
	s_and_b32 vcc_lo, exec_lo, s24
	s_cbranch_vccz .LBB94_3068
; %bb.3053:
	s_cmp_lt_i32 s0, 27
	s_cbranch_scc1 .LBB94_3056
; %bb.3054:
	s_cmp_gt_i32 s0, 27
	s_cbranch_scc0 .LBB94_3057
; %bb.3055:
	s_wait_loadcnt 0x0
	global_load_b32 v18, v[16:17], off
	s_mov_b32 s23, 0
	s_branch .LBB94_3058
.LBB94_3056:
	s_mov_b32 s23, -1
                                        ; implicit-def: $vgpr18
	s_branch .LBB94_3061
.LBB94_3057:
	s_mov_b32 s23, -1
                                        ; implicit-def: $vgpr18
.LBB94_3058:
	s_delay_alu instid0(SALU_CYCLE_1)
	s_and_not1_b32 vcc_lo, exec_lo, s23
	s_cbranch_vccnz .LBB94_3060
; %bb.3059:
	s_wait_loadcnt 0x0
	global_load_u16 v18, v[16:17], off
.LBB94_3060:
	s_mov_b32 s23, 0
.LBB94_3061:
	s_delay_alu instid0(SALU_CYCLE_1)
	s_and_not1_b32 vcc_lo, exec_lo, s23
	s_cbranch_vccnz .LBB94_3067
; %bb.3062:
	s_wait_loadcnt 0x0
	global_load_u8 v1, v[16:17], off
	s_mov_b32 s24, 0
	s_mov_b32 s23, exec_lo
	s_wait_loadcnt 0x0
	v_cmpx_lt_i16_e32 0x7f, v1
	s_xor_b32 s23, exec_lo, s23
	s_cbranch_execz .LBB94_3079
; %bb.3063:
	v_cmp_ne_u16_e32 vcc_lo, 0x80, v1
	s_and_b32 s24, vcc_lo, exec_lo
	s_and_not1_saveexec_b32 s23, s23
	s_cbranch_execnz .LBB94_3080
.LBB94_3064:
	s_or_b32 exec_lo, exec_lo, s23
	v_mov_b32_e32 v18, 0
	s_and_saveexec_b32 s23, s24
	s_cbranch_execz .LBB94_3066
.LBB94_3065:
	v_and_b32_e32 v3, 0xffff, v1
	s_delay_alu instid0(VALU_DEP_1) | instskip(SKIP_1) | instid1(VALU_DEP_2)
	v_dual_lshlrev_b32 v1, 24, v1 :: v_dual_bitop2_b32 v5, 7, v3 bitop3:0x40
	v_bfe_u32 v11, v3, 3, 4
	v_and_b32_e32 v1, 0x80000000, v1
	s_delay_alu instid0(VALU_DEP_3) | instskip(NEXT) | instid1(VALU_DEP_3)
	v_clz_i32_u32_e32 v7, v5
	v_cmp_eq_u32_e32 vcc_lo, 0, v11
	s_delay_alu instid0(VALU_DEP_2) | instskip(NEXT) | instid1(VALU_DEP_1)
	v_min_u32_e32 v7, 32, v7
	v_subrev_nc_u32_e32 v9, 28, v7
	v_sub_nc_u32_e32 v7, 29, v7
	s_delay_alu instid0(VALU_DEP_2) | instskip(NEXT) | instid1(VALU_DEP_2)
	v_lshlrev_b32_e32 v3, v9, v3
	v_cndmask_b32_e32 v7, v11, v7, vcc_lo
	s_delay_alu instid0(VALU_DEP_2) | instskip(NEXT) | instid1(VALU_DEP_1)
	v_and_b32_e32 v3, 7, v3
	v_cndmask_b32_e32 v3, v5, v3, vcc_lo
	s_delay_alu instid0(VALU_DEP_3) | instskip(NEXT) | instid1(VALU_DEP_2)
	v_lshl_add_u32 v5, v7, 23, 0x3b800000
	v_lshlrev_b32_e32 v3, 20, v3
	s_delay_alu instid0(VALU_DEP_1) | instskip(NEXT) | instid1(VALU_DEP_1)
	v_or3_b32 v1, v1, v5, v3
	v_cvt_i32_f32_e32 v18, v1
.LBB94_3066:
	s_or_b32 exec_lo, exec_lo, s23
.LBB94_3067:
	s_mov_b32 s23, -1
.LBB94_3068:
	s_mov_b32 s24, 0
.LBB94_3069:
	s_delay_alu instid0(SALU_CYCLE_1)
	s_and_b32 vcc_lo, exec_lo, s24
	s_cbranch_vccz .LBB94_3100
; %bb.3070:
	s_cmp_gt_i32 s0, 22
	s_cbranch_scc0 .LBB94_3078
; %bb.3071:
	s_cmp_lt_i32 s0, 24
	s_cbranch_scc1 .LBB94_3081
; %bb.3072:
	s_cmp_gt_i32 s0, 24
	s_cbranch_scc0 .LBB94_3082
; %bb.3073:
	s_wait_loadcnt 0x0
	global_load_u8 v1, v[16:17], off
	s_mov_b32 s23, 0
	s_mov_b32 s22, exec_lo
	s_wait_loadcnt 0x0
	v_cmpx_lt_i16_e32 0x7f, v1
	s_xor_b32 s22, exec_lo, s22
	s_cbranch_execz .LBB94_3094
; %bb.3074:
	v_cmp_ne_u16_e32 vcc_lo, 0x80, v1
	s_and_b32 s23, vcc_lo, exec_lo
	s_and_not1_saveexec_b32 s22, s22
	s_cbranch_execnz .LBB94_3095
.LBB94_3075:
	s_or_b32 exec_lo, exec_lo, s22
	v_mov_b32_e32 v18, 0
	s_and_saveexec_b32 s22, s23
	s_cbranch_execz .LBB94_3077
.LBB94_3076:
	v_and_b32_e32 v3, 0xffff, v1
	s_delay_alu instid0(VALU_DEP_1) | instskip(SKIP_1) | instid1(VALU_DEP_2)
	v_dual_lshlrev_b32 v1, 24, v1 :: v_dual_bitop2_b32 v5, 3, v3 bitop3:0x40
	v_bfe_u32 v11, v3, 2, 5
	v_and_b32_e32 v1, 0x80000000, v1
	s_delay_alu instid0(VALU_DEP_3) | instskip(NEXT) | instid1(VALU_DEP_3)
	v_clz_i32_u32_e32 v7, v5
	v_cmp_eq_u32_e32 vcc_lo, 0, v11
	s_delay_alu instid0(VALU_DEP_2) | instskip(NEXT) | instid1(VALU_DEP_1)
	v_min_u32_e32 v7, 32, v7
	v_subrev_nc_u32_e32 v9, 29, v7
	v_sub_nc_u32_e32 v7, 30, v7
	s_delay_alu instid0(VALU_DEP_2) | instskip(NEXT) | instid1(VALU_DEP_2)
	v_lshlrev_b32_e32 v3, v9, v3
	v_cndmask_b32_e32 v7, v11, v7, vcc_lo
	s_delay_alu instid0(VALU_DEP_2) | instskip(NEXT) | instid1(VALU_DEP_1)
	v_and_b32_e32 v3, 3, v3
	v_cndmask_b32_e32 v3, v5, v3, vcc_lo
	s_delay_alu instid0(VALU_DEP_3) | instskip(NEXT) | instid1(VALU_DEP_2)
	v_lshl_add_u32 v5, v7, 23, 0x37800000
	v_lshlrev_b32_e32 v3, 21, v3
	s_delay_alu instid0(VALU_DEP_1) | instskip(NEXT) | instid1(VALU_DEP_1)
	v_or3_b32 v1, v1, v5, v3
	v_cvt_i32_f32_e32 v18, v1
.LBB94_3077:
	s_or_b32 exec_lo, exec_lo, s22
	s_mov_b32 s22, 0
	s_branch .LBB94_3083
.LBB94_3078:
	s_mov_b32 s22, -1
                                        ; implicit-def: $vgpr18
	s_branch .LBB94_3089
.LBB94_3079:
	s_and_not1_saveexec_b32 s23, s23
	s_cbranch_execz .LBB94_3064
.LBB94_3080:
	v_cmp_ne_u16_e32 vcc_lo, 0, v1
	s_and_not1_b32 s24, s24, exec_lo
	s_and_b32 s25, vcc_lo, exec_lo
	s_delay_alu instid0(SALU_CYCLE_1)
	s_or_b32 s24, s24, s25
	s_or_b32 exec_lo, exec_lo, s23
	v_mov_b32_e32 v18, 0
	s_and_saveexec_b32 s23, s24
	s_cbranch_execnz .LBB94_3065
	s_branch .LBB94_3066
.LBB94_3081:
	s_mov_b32 s22, -1
                                        ; implicit-def: $vgpr18
	s_branch .LBB94_3086
.LBB94_3082:
	s_mov_b32 s22, -1
                                        ; implicit-def: $vgpr18
.LBB94_3083:
	s_delay_alu instid0(SALU_CYCLE_1)
	s_and_b32 vcc_lo, exec_lo, s22
	s_cbranch_vccz .LBB94_3085
; %bb.3084:
	s_wait_loadcnt 0x0
	global_load_u8 v1, v[16:17], off
	s_wait_loadcnt 0x0
	v_lshlrev_b32_e32 v1, 24, v1
	s_delay_alu instid0(VALU_DEP_1) | instskip(NEXT) | instid1(VALU_DEP_1)
	v_and_b32_e32 v3, 0x7f000000, v1
	v_clz_i32_u32_e32 v5, v3
	v_add_nc_u32_e32 v9, 0x1000000, v3
	v_cmp_ne_u32_e32 vcc_lo, 0, v3
	s_delay_alu instid0(VALU_DEP_3) | instskip(NEXT) | instid1(VALU_DEP_1)
	v_min_u32_e32 v5, 32, v5
	v_sub_nc_u32_e64 v5, v5, 4 clamp
	s_delay_alu instid0(VALU_DEP_1) | instskip(NEXT) | instid1(VALU_DEP_1)
	v_dual_lshlrev_b32 v7, v5, v3 :: v_dual_lshlrev_b32 v5, 23, v5
	v_lshrrev_b32_e32 v7, 4, v7
	s_delay_alu instid0(VALU_DEP_1) | instskip(SKIP_1) | instid1(VALU_DEP_2)
	v_sub_nc_u32_e32 v5, v7, v5
	v_ashrrev_i32_e32 v7, 8, v9
	v_add_nc_u32_e32 v5, 0x3c000000, v5
	s_delay_alu instid0(VALU_DEP_1) | instskip(NEXT) | instid1(VALU_DEP_1)
	v_and_or_b32 v5, 0x7f800000, v7, v5
	v_cndmask_b32_e32 v3, 0, v5, vcc_lo
	s_delay_alu instid0(VALU_DEP_1) | instskip(NEXT) | instid1(VALU_DEP_1)
	v_and_or_b32 v1, 0x80000000, v1, v3
	v_cvt_i32_f32_e32 v18, v1
.LBB94_3085:
	s_mov_b32 s22, 0
.LBB94_3086:
	s_delay_alu instid0(SALU_CYCLE_1)
	s_and_not1_b32 vcc_lo, exec_lo, s22
	s_cbranch_vccnz .LBB94_3088
; %bb.3087:
	s_wait_loadcnt 0x0
	global_load_u8 v1, v[16:17], off
	s_wait_loadcnt 0x0
	v_lshlrev_b32_e32 v3, 25, v1
	v_lshlrev_b16 v1, 8, v1
	s_delay_alu instid0(VALU_DEP_1) | instskip(SKIP_1) | instid1(VALU_DEP_2)
	v_and_or_b32 v7, 0x7f00, v1, 0.5
	v_bfe_i32 v1, v1, 0, 16
	v_add_f32_e32 v7, -0.5, v7
	v_lshrrev_b32_e32 v5, 4, v3
	v_cmp_gt_u32_e32 vcc_lo, 0x8000000, v3
	s_delay_alu instid0(VALU_DEP_2) | instskip(NEXT) | instid1(VALU_DEP_1)
	v_or_b32_e32 v5, 0x70000000, v5
	v_mul_f32_e32 v5, 0x7800000, v5
	s_delay_alu instid0(VALU_DEP_1) | instskip(NEXT) | instid1(VALU_DEP_1)
	v_cndmask_b32_e32 v3, v5, v7, vcc_lo
	v_and_or_b32 v1, 0x80000000, v1, v3
	s_delay_alu instid0(VALU_DEP_1)
	v_cvt_i32_f32_e32 v18, v1
.LBB94_3088:
	s_mov_b32 s22, 0
	s_mov_b32 s23, -1
.LBB94_3089:
	s_and_not1_b32 vcc_lo, exec_lo, s22
	s_mov_b32 s22, 0
	s_cbranch_vccnz .LBB94_3100
; %bb.3090:
	s_cmp_gt_i32 s0, 14
	s_cbranch_scc0 .LBB94_3093
; %bb.3091:
	s_cmp_eq_u32 s0, 15
	s_cbranch_scc0 .LBB94_3096
; %bb.3092:
	s_wait_loadcnt 0x0
	global_load_u16 v1, v[16:17], off
	s_mov_b32 s16, 0
	s_mov_b32 s23, -1
	s_wait_loadcnt 0x0
	v_lshlrev_b32_e32 v1, 16, v1
	s_delay_alu instid0(VALU_DEP_1)
	v_cvt_i32_f32_e32 v18, v1
	s_branch .LBB94_3098
.LBB94_3093:
	s_mov_b32 s22, -1
	s_branch .LBB94_3097
.LBB94_3094:
	s_and_not1_saveexec_b32 s22, s22
	s_cbranch_execz .LBB94_3075
.LBB94_3095:
	v_cmp_ne_u16_e32 vcc_lo, 0, v1
	s_and_not1_b32 s23, s23, exec_lo
	s_and_b32 s24, vcc_lo, exec_lo
	s_delay_alu instid0(SALU_CYCLE_1)
	s_or_b32 s23, s23, s24
	s_or_b32 exec_lo, exec_lo, s22
	v_mov_b32_e32 v18, 0
	s_and_saveexec_b32 s22, s23
	s_cbranch_execnz .LBB94_3076
	s_branch .LBB94_3077
.LBB94_3096:
	s_mov_b32 s16, -1
.LBB94_3097:
                                        ; implicit-def: $vgpr18
.LBB94_3098:
	s_and_b32 vcc_lo, exec_lo, s22
	s_mov_b32 s22, 0
	s_cbranch_vccz .LBB94_3100
; %bb.3099:
	s_cmp_lg_u32 s0, 11
	s_mov_b32 s22, -1
	s_cselect_b32 s16, -1, 0
.LBB94_3100:
	s_delay_alu instid0(SALU_CYCLE_1)
	s_and_b32 vcc_lo, exec_lo, s16
	s_cbranch_vccnz .LBB94_3165
; %bb.3101:
	s_and_not1_b32 vcc_lo, exec_lo, s22
	s_cbranch_vccnz .LBB94_3103
.LBB94_3102:
	s_wait_loadcnt 0x0
	global_load_u8 v1, v[16:17], off
	s_mov_b32 s23, -1
	s_wait_loadcnt 0x0
	v_cmp_ne_u16_e32 vcc_lo, 0, v1
	v_cndmask_b32_e64 v18, 0, 1, vcc_lo
.LBB94_3103:
	s_mov_b32 s16, 0
.LBB94_3104:
	s_delay_alu instid0(SALU_CYCLE_1)
	s_and_b32 vcc_lo, exec_lo, s16
	s_cbranch_vccz .LBB94_3153
; %bb.3105:
	s_cmp_lt_i32 s0, 5
	s_cbranch_scc1 .LBB94_3110
; %bb.3106:
	s_cmp_lt_i32 s0, 8
	s_cbranch_scc1 .LBB94_3111
	;; [unrolled: 3-line block ×3, first 2 shown]
; %bb.3108:
	s_cmp_gt_i32 s0, 9
	s_cbranch_scc0 .LBB94_3113
; %bb.3109:
	s_wait_loadcnt 0x0
	global_load_b64 v[18:19], v[16:17], off
	s_mov_b32 s16, 0
	s_wait_loadcnt 0x0
	v_cvt_i32_f64_e32 v18, v[18:19]
	s_branch .LBB94_3114
.LBB94_3110:
	s_mov_b32 s16, -1
                                        ; implicit-def: $vgpr18
	s_branch .LBB94_3132
.LBB94_3111:
	s_mov_b32 s16, -1
                                        ; implicit-def: $vgpr18
	s_branch .LBB94_3120
.LBB94_3112:
	s_mov_b32 s16, -1
                                        ; implicit-def: $vgpr18
	s_branch .LBB94_3117
.LBB94_3113:
	s_mov_b32 s16, -1
                                        ; implicit-def: $vgpr18
.LBB94_3114:
	s_delay_alu instid0(SALU_CYCLE_1)
	s_and_not1_b32 vcc_lo, exec_lo, s16
	s_cbranch_vccnz .LBB94_3116
; %bb.3115:
	s_wait_loadcnt 0x0
	global_load_b32 v1, v[16:17], off
	s_wait_loadcnt 0x0
	v_cvt_i32_f32_e32 v18, v1
.LBB94_3116:
	s_mov_b32 s16, 0
.LBB94_3117:
	s_delay_alu instid0(SALU_CYCLE_1)
	s_and_not1_b32 vcc_lo, exec_lo, s16
	s_cbranch_vccnz .LBB94_3119
; %bb.3118:
	s_wait_loadcnt 0x0
	global_load_b32 v1, v[16:17], off
	s_wait_loadcnt 0x0
	v_cvt_i16_f16_e32 v18, v1
.LBB94_3119:
	s_mov_b32 s16, 0
.LBB94_3120:
	s_delay_alu instid0(SALU_CYCLE_1)
	s_and_not1_b32 vcc_lo, exec_lo, s16
	s_cbranch_vccnz .LBB94_3131
; %bb.3121:
	s_cmp_lt_i32 s0, 6
	s_cbranch_scc1 .LBB94_3124
; %bb.3122:
	s_cmp_gt_i32 s0, 6
	s_cbranch_scc0 .LBB94_3125
; %bb.3123:
	s_wait_loadcnt 0x0
	global_load_b64 v[18:19], v[16:17], off
	s_mov_b32 s16, 0
	s_wait_loadcnt 0x0
	v_cvt_i32_f64_e32 v18, v[18:19]
	s_branch .LBB94_3126
.LBB94_3124:
	s_mov_b32 s16, -1
                                        ; implicit-def: $vgpr18
	s_branch .LBB94_3129
.LBB94_3125:
	s_mov_b32 s16, -1
                                        ; implicit-def: $vgpr18
.LBB94_3126:
	s_delay_alu instid0(SALU_CYCLE_1)
	s_and_not1_b32 vcc_lo, exec_lo, s16
	s_cbranch_vccnz .LBB94_3128
; %bb.3127:
	s_wait_loadcnt 0x0
	global_load_b32 v1, v[16:17], off
	s_wait_loadcnt 0x0
	v_cvt_i32_f32_e32 v18, v1
.LBB94_3128:
	s_mov_b32 s16, 0
.LBB94_3129:
	s_delay_alu instid0(SALU_CYCLE_1)
	s_and_not1_b32 vcc_lo, exec_lo, s16
	s_cbranch_vccnz .LBB94_3131
; %bb.3130:
	s_wait_loadcnt 0x0
	global_load_u16 v1, v[16:17], off
	s_wait_loadcnt 0x0
	v_cvt_i16_f16_e32 v18, v1
.LBB94_3131:
	s_mov_b32 s16, 0
.LBB94_3132:
	s_delay_alu instid0(SALU_CYCLE_1)
	s_and_not1_b32 vcc_lo, exec_lo, s16
	s_cbranch_vccnz .LBB94_3152
; %bb.3133:
	s_cmp_lt_i32 s0, 2
	s_cbranch_scc1 .LBB94_3137
; %bb.3134:
	s_cmp_lt_i32 s0, 3
	s_cbranch_scc1 .LBB94_3138
; %bb.3135:
	s_cmp_gt_i32 s0, 3
	s_cbranch_scc0 .LBB94_3139
; %bb.3136:
	s_wait_loadcnt 0x0
	global_load_b64 v[18:19], v[16:17], off
	s_mov_b32 s16, 0
	s_branch .LBB94_3140
.LBB94_3137:
	s_mov_b32 s16, -1
                                        ; implicit-def: $vgpr18
	s_branch .LBB94_3146
.LBB94_3138:
	s_mov_b32 s16, -1
                                        ; implicit-def: $vgpr18
	s_branch .LBB94_3143
.LBB94_3139:
	s_mov_b32 s16, -1
                                        ; implicit-def: $vgpr18
.LBB94_3140:
	s_delay_alu instid0(SALU_CYCLE_1)
	s_and_not1_b32 vcc_lo, exec_lo, s16
	s_cbranch_vccnz .LBB94_3142
; %bb.3141:
	s_wait_loadcnt 0x0
	global_load_b32 v18, v[16:17], off
.LBB94_3142:
	s_mov_b32 s16, 0
.LBB94_3143:
	s_delay_alu instid0(SALU_CYCLE_1)
	s_and_not1_b32 vcc_lo, exec_lo, s16
	s_cbranch_vccnz .LBB94_3145
; %bb.3144:
	s_wait_loadcnt 0x0
	global_load_u16 v18, v[16:17], off
.LBB94_3145:
	s_mov_b32 s16, 0
.LBB94_3146:
	s_delay_alu instid0(SALU_CYCLE_1)
	s_and_not1_b32 vcc_lo, exec_lo, s16
	s_cbranch_vccnz .LBB94_3152
; %bb.3147:
	s_cmp_gt_i32 s0, 0
	s_mov_b32 s16, 0
	s_cbranch_scc0 .LBB94_3149
; %bb.3148:
	s_wait_loadcnt 0x0
	global_load_i8 v18, v[16:17], off
	s_branch .LBB94_3150
.LBB94_3149:
	s_mov_b32 s16, -1
                                        ; implicit-def: $vgpr18
.LBB94_3150:
	s_delay_alu instid0(SALU_CYCLE_1)
	s_and_not1_b32 vcc_lo, exec_lo, s16
	s_cbranch_vccnz .LBB94_3152
; %bb.3151:
	s_wait_loadcnt 0x0
	global_load_u8 v18, v[16:17], off
.LBB94_3152:
	s_mov_b32 s23, -1
.LBB94_3153:
	s_delay_alu instid0(SALU_CYCLE_1)
	s_and_not1_b32 vcc_lo, exec_lo, s23
	s_cbranch_vccnz .LBB94_3968
; %bb.3154:
	s_wait_xcnt 0x0
	v_add_nc_u32_e32 v16, s13, v20
	s_cmp_lt_i32 s19, 11
	s_delay_alu instid0(VALU_DEP_1) | instskip(NEXT) | instid1(VALU_DEP_1)
	v_ashrrev_i32_e32 v17, 31, v16
	v_add_nc_u64_e32 v[20:21], s[6:7], v[16:17]
	s_cbranch_scc1 .LBB94_3161
; %bb.3155:
	s_and_b32 s6, 0xffff, s19
	s_mov_b32 s13, 0
	s_cmp_gt_i32 s6, 25
	s_cbranch_scc0 .LBB94_3162
; %bb.3156:
	s_cmp_gt_i32 s6, 28
	s_cbranch_scc0 .LBB94_3163
; %bb.3157:
	;; [unrolled: 3-line block ×4, first 2 shown]
	s_cmp_eq_u32 s6, 46
	s_mov_b32 s22, 0
	s_cbranch_scc0 .LBB94_3167
; %bb.3160:
	s_wait_loadcnt 0x0
	global_load_b32 v1, v[20:21], off
	s_mov_b32 s7, 0
	s_mov_b32 s16, -1
	s_wait_loadcnt 0x0
	v_lshlrev_b32_e32 v1, 16, v1
	s_delay_alu instid0(VALU_DEP_1)
	v_cvt_i32_f32_e32 v16, v1
	s_branch .LBB94_3169
.LBB94_3161:
	s_mov_b32 s6, -1
	s_mov_b32 s16, 0
                                        ; implicit-def: $vgpr16
	s_branch .LBB94_3231
.LBB94_3162:
	s_mov_b32 s22, -1
	s_mov_b32 s16, 0
	s_mov_b32 s7, 0
                                        ; implicit-def: $vgpr16
	s_branch .LBB94_3196
.LBB94_3163:
	s_mov_b32 s22, -1
	s_mov_b32 s16, 0
	s_mov_b32 s7, 0
                                        ; implicit-def: $vgpr16
	s_branch .LBB94_3179
.LBB94_3164:
	s_mov_b32 s22, -1
	s_mov_b32 s16, 0
	s_mov_b32 s7, 0
                                        ; implicit-def: $vgpr16
	s_branch .LBB94_3174
.LBB94_3165:
	s_or_b32 s18, s18, exec_lo
	s_trap 2
	s_cbranch_execz .LBB94_3102
	s_branch .LBB94_3103
.LBB94_3166:
	s_mov_b32 s22, -1
	s_mov_b32 s16, 0
	s_mov_b32 s7, 0
	s_branch .LBB94_3168
.LBB94_3167:
	s_mov_b32 s7, -1
	s_mov_b32 s16, 0
.LBB94_3168:
                                        ; implicit-def: $vgpr16
.LBB94_3169:
	s_and_b32 vcc_lo, exec_lo, s22
	s_cbranch_vccz .LBB94_3173
; %bb.3170:
	s_cmp_eq_u32 s6, 44
	s_cbranch_scc0 .LBB94_3172
; %bb.3171:
	s_wait_loadcnt 0x0
	global_load_u8 v1, v[20:21], off
	s_mov_b32 s7, 0
	s_mov_b32 s16, -1
	s_wait_loadcnt 0x0
	v_lshlrev_b32_e32 v3, 23, v1
	v_cmp_ne_u32_e32 vcc_lo, 0, v1
	s_delay_alu instid0(VALU_DEP_2) | instskip(NEXT) | instid1(VALU_DEP_1)
	v_cvt_i32_f32_e32 v3, v3
	v_cndmask_b32_e32 v16, 0, v3, vcc_lo
	s_branch .LBB94_3173
.LBB94_3172:
	s_mov_b32 s7, -1
                                        ; implicit-def: $vgpr16
.LBB94_3173:
	s_mov_b32 s22, 0
.LBB94_3174:
	s_delay_alu instid0(SALU_CYCLE_1)
	s_and_b32 vcc_lo, exec_lo, s22
	s_cbranch_vccz .LBB94_3178
; %bb.3175:
	s_cmp_eq_u32 s6, 29
	s_cbranch_scc0 .LBB94_3177
; %bb.3176:
	global_load_b64 v[16:17], v[20:21], off
	s_mov_b32 s7, 0
	s_mov_b32 s16, -1
	s_branch .LBB94_3178
.LBB94_3177:
	s_mov_b32 s7, -1
                                        ; implicit-def: $vgpr16
.LBB94_3178:
	s_mov_b32 s22, 0
.LBB94_3179:
	s_delay_alu instid0(SALU_CYCLE_1)
	s_and_b32 vcc_lo, exec_lo, s22
	s_cbranch_vccz .LBB94_3195
; %bb.3180:
	s_cmp_lt_i32 s6, 27
	s_cbranch_scc1 .LBB94_3183
; %bb.3181:
	s_cmp_gt_i32 s6, 27
	s_cbranch_scc0 .LBB94_3184
; %bb.3182:
	s_wait_loadcnt 0x0
	global_load_b32 v16, v[20:21], off
	s_mov_b32 s16, 0
	s_branch .LBB94_3185
.LBB94_3183:
	s_mov_b32 s16, -1
                                        ; implicit-def: $vgpr16
	s_branch .LBB94_3188
.LBB94_3184:
	s_mov_b32 s16, -1
                                        ; implicit-def: $vgpr16
.LBB94_3185:
	s_delay_alu instid0(SALU_CYCLE_1)
	s_and_not1_b32 vcc_lo, exec_lo, s16
	s_cbranch_vccnz .LBB94_3187
; %bb.3186:
	s_wait_loadcnt 0x0
	global_load_u16 v16, v[20:21], off
.LBB94_3187:
	s_mov_b32 s16, 0
.LBB94_3188:
	s_delay_alu instid0(SALU_CYCLE_1)
	s_and_not1_b32 vcc_lo, exec_lo, s16
	s_cbranch_vccnz .LBB94_3194
; %bb.3189:
	s_wait_loadcnt 0x0
	global_load_u8 v1, v[20:21], off
	s_mov_b32 s22, 0
	s_mov_b32 s16, exec_lo
	s_wait_loadcnt 0x0
	v_cmpx_lt_i16_e32 0x7f, v1
	s_xor_b32 s16, exec_lo, s16
	s_cbranch_execz .LBB94_3206
; %bb.3190:
	v_cmp_ne_u16_e32 vcc_lo, 0x80, v1
	s_and_b32 s22, vcc_lo, exec_lo
	s_and_not1_saveexec_b32 s16, s16
	s_cbranch_execnz .LBB94_3207
.LBB94_3191:
	s_or_b32 exec_lo, exec_lo, s16
	v_mov_b32_e32 v16, 0
	s_and_saveexec_b32 s16, s22
	s_cbranch_execz .LBB94_3193
.LBB94_3192:
	v_and_b32_e32 v3, 0xffff, v1
	s_delay_alu instid0(VALU_DEP_1) | instskip(SKIP_1) | instid1(VALU_DEP_2)
	v_dual_lshlrev_b32 v1, 24, v1 :: v_dual_bitop2_b32 v5, 7, v3 bitop3:0x40
	v_bfe_u32 v11, v3, 3, 4
	v_and_b32_e32 v1, 0x80000000, v1
	s_delay_alu instid0(VALU_DEP_3) | instskip(NEXT) | instid1(VALU_DEP_3)
	v_clz_i32_u32_e32 v7, v5
	v_cmp_eq_u32_e32 vcc_lo, 0, v11
	s_delay_alu instid0(VALU_DEP_2) | instskip(NEXT) | instid1(VALU_DEP_1)
	v_min_u32_e32 v7, 32, v7
	v_subrev_nc_u32_e32 v9, 28, v7
	v_sub_nc_u32_e32 v7, 29, v7
	s_delay_alu instid0(VALU_DEP_2) | instskip(NEXT) | instid1(VALU_DEP_2)
	v_lshlrev_b32_e32 v3, v9, v3
	v_cndmask_b32_e32 v7, v11, v7, vcc_lo
	s_delay_alu instid0(VALU_DEP_2) | instskip(NEXT) | instid1(VALU_DEP_1)
	v_and_b32_e32 v3, 7, v3
	v_cndmask_b32_e32 v3, v5, v3, vcc_lo
	s_delay_alu instid0(VALU_DEP_3) | instskip(NEXT) | instid1(VALU_DEP_2)
	v_lshl_add_u32 v5, v7, 23, 0x3b800000
	v_lshlrev_b32_e32 v3, 20, v3
	s_delay_alu instid0(VALU_DEP_1) | instskip(NEXT) | instid1(VALU_DEP_1)
	v_or3_b32 v1, v1, v5, v3
	v_cvt_i32_f32_e32 v16, v1
.LBB94_3193:
	s_or_b32 exec_lo, exec_lo, s16
.LBB94_3194:
	s_mov_b32 s16, -1
.LBB94_3195:
	s_mov_b32 s22, 0
.LBB94_3196:
	s_delay_alu instid0(SALU_CYCLE_1)
	s_and_b32 vcc_lo, exec_lo, s22
	s_cbranch_vccz .LBB94_3227
; %bb.3197:
	s_cmp_gt_i32 s6, 22
	s_cbranch_scc0 .LBB94_3205
; %bb.3198:
	s_cmp_lt_i32 s6, 24
	s_cbranch_scc1 .LBB94_3208
; %bb.3199:
	s_cmp_gt_i32 s6, 24
	s_cbranch_scc0 .LBB94_3209
; %bb.3200:
	s_wait_loadcnt 0x0
	global_load_u8 v1, v[20:21], off
	s_mov_b32 s16, 0
	s_mov_b32 s13, exec_lo
	s_wait_loadcnt 0x0
	v_cmpx_lt_i16_e32 0x7f, v1
	s_xor_b32 s13, exec_lo, s13
	s_cbranch_execz .LBB94_3221
; %bb.3201:
	v_cmp_ne_u16_e32 vcc_lo, 0x80, v1
	s_and_b32 s16, vcc_lo, exec_lo
	s_and_not1_saveexec_b32 s13, s13
	s_cbranch_execnz .LBB94_3222
.LBB94_3202:
	s_or_b32 exec_lo, exec_lo, s13
	v_mov_b32_e32 v16, 0
	s_and_saveexec_b32 s13, s16
	s_cbranch_execz .LBB94_3204
.LBB94_3203:
	v_and_b32_e32 v3, 0xffff, v1
	s_delay_alu instid0(VALU_DEP_1) | instskip(SKIP_1) | instid1(VALU_DEP_2)
	v_dual_lshlrev_b32 v1, 24, v1 :: v_dual_bitop2_b32 v5, 3, v3 bitop3:0x40
	v_bfe_u32 v11, v3, 2, 5
	v_and_b32_e32 v1, 0x80000000, v1
	s_delay_alu instid0(VALU_DEP_3) | instskip(NEXT) | instid1(VALU_DEP_3)
	v_clz_i32_u32_e32 v7, v5
	v_cmp_eq_u32_e32 vcc_lo, 0, v11
	s_delay_alu instid0(VALU_DEP_2) | instskip(NEXT) | instid1(VALU_DEP_1)
	v_min_u32_e32 v7, 32, v7
	v_subrev_nc_u32_e32 v9, 29, v7
	v_sub_nc_u32_e32 v7, 30, v7
	s_delay_alu instid0(VALU_DEP_2) | instskip(NEXT) | instid1(VALU_DEP_2)
	v_lshlrev_b32_e32 v3, v9, v3
	v_cndmask_b32_e32 v7, v11, v7, vcc_lo
	s_delay_alu instid0(VALU_DEP_2) | instskip(NEXT) | instid1(VALU_DEP_1)
	v_and_b32_e32 v3, 3, v3
	v_cndmask_b32_e32 v3, v5, v3, vcc_lo
	s_delay_alu instid0(VALU_DEP_3) | instskip(NEXT) | instid1(VALU_DEP_2)
	v_lshl_add_u32 v5, v7, 23, 0x37800000
	v_lshlrev_b32_e32 v3, 21, v3
	s_delay_alu instid0(VALU_DEP_1) | instskip(NEXT) | instid1(VALU_DEP_1)
	v_or3_b32 v1, v1, v5, v3
	v_cvt_i32_f32_e32 v16, v1
.LBB94_3204:
	s_or_b32 exec_lo, exec_lo, s13
	s_mov_b32 s13, 0
	s_branch .LBB94_3210
.LBB94_3205:
	s_mov_b32 s13, -1
                                        ; implicit-def: $vgpr16
	s_branch .LBB94_3216
.LBB94_3206:
	s_and_not1_saveexec_b32 s16, s16
	s_cbranch_execz .LBB94_3191
.LBB94_3207:
	v_cmp_ne_u16_e32 vcc_lo, 0, v1
	s_and_not1_b32 s22, s22, exec_lo
	s_and_b32 s23, vcc_lo, exec_lo
	s_delay_alu instid0(SALU_CYCLE_1)
	s_or_b32 s22, s22, s23
	s_or_b32 exec_lo, exec_lo, s16
	v_mov_b32_e32 v16, 0
	s_and_saveexec_b32 s16, s22
	s_cbranch_execnz .LBB94_3192
	s_branch .LBB94_3193
.LBB94_3208:
	s_mov_b32 s13, -1
                                        ; implicit-def: $vgpr16
	s_branch .LBB94_3213
.LBB94_3209:
	s_mov_b32 s13, -1
                                        ; implicit-def: $vgpr16
.LBB94_3210:
	s_delay_alu instid0(SALU_CYCLE_1)
	s_and_b32 vcc_lo, exec_lo, s13
	s_cbranch_vccz .LBB94_3212
; %bb.3211:
	s_wait_loadcnt 0x0
	global_load_u8 v1, v[20:21], off
	s_wait_loadcnt 0x0
	v_lshlrev_b32_e32 v1, 24, v1
	s_delay_alu instid0(VALU_DEP_1) | instskip(NEXT) | instid1(VALU_DEP_1)
	v_and_b32_e32 v3, 0x7f000000, v1
	v_clz_i32_u32_e32 v5, v3
	v_add_nc_u32_e32 v9, 0x1000000, v3
	v_cmp_ne_u32_e32 vcc_lo, 0, v3
	s_delay_alu instid0(VALU_DEP_3) | instskip(NEXT) | instid1(VALU_DEP_1)
	v_min_u32_e32 v5, 32, v5
	v_sub_nc_u32_e64 v5, v5, 4 clamp
	s_delay_alu instid0(VALU_DEP_1) | instskip(NEXT) | instid1(VALU_DEP_1)
	v_dual_lshlrev_b32 v7, v5, v3 :: v_dual_lshlrev_b32 v5, 23, v5
	v_lshrrev_b32_e32 v7, 4, v7
	s_delay_alu instid0(VALU_DEP_1) | instskip(SKIP_1) | instid1(VALU_DEP_2)
	v_sub_nc_u32_e32 v5, v7, v5
	v_ashrrev_i32_e32 v7, 8, v9
	v_add_nc_u32_e32 v5, 0x3c000000, v5
	s_delay_alu instid0(VALU_DEP_1) | instskip(NEXT) | instid1(VALU_DEP_1)
	v_and_or_b32 v5, 0x7f800000, v7, v5
	v_cndmask_b32_e32 v3, 0, v5, vcc_lo
	s_delay_alu instid0(VALU_DEP_1) | instskip(NEXT) | instid1(VALU_DEP_1)
	v_and_or_b32 v1, 0x80000000, v1, v3
	v_cvt_i32_f32_e32 v16, v1
.LBB94_3212:
	s_mov_b32 s13, 0
.LBB94_3213:
	s_delay_alu instid0(SALU_CYCLE_1)
	s_and_not1_b32 vcc_lo, exec_lo, s13
	s_cbranch_vccnz .LBB94_3215
; %bb.3214:
	s_wait_loadcnt 0x0
	global_load_u8 v1, v[20:21], off
	s_wait_loadcnt 0x0
	v_lshlrev_b32_e32 v3, 25, v1
	v_lshlrev_b16 v1, 8, v1
	s_delay_alu instid0(VALU_DEP_1) | instskip(SKIP_1) | instid1(VALU_DEP_2)
	v_and_or_b32 v7, 0x7f00, v1, 0.5
	v_bfe_i32 v1, v1, 0, 16
	v_add_f32_e32 v7, -0.5, v7
	v_lshrrev_b32_e32 v5, 4, v3
	v_cmp_gt_u32_e32 vcc_lo, 0x8000000, v3
	s_delay_alu instid0(VALU_DEP_2) | instskip(NEXT) | instid1(VALU_DEP_1)
	v_or_b32_e32 v5, 0x70000000, v5
	v_mul_f32_e32 v5, 0x7800000, v5
	s_delay_alu instid0(VALU_DEP_1) | instskip(NEXT) | instid1(VALU_DEP_1)
	v_cndmask_b32_e32 v3, v5, v7, vcc_lo
	v_and_or_b32 v1, 0x80000000, v1, v3
	s_delay_alu instid0(VALU_DEP_1)
	v_cvt_i32_f32_e32 v16, v1
.LBB94_3215:
	s_mov_b32 s13, 0
	s_mov_b32 s16, -1
.LBB94_3216:
	s_and_not1_b32 vcc_lo, exec_lo, s13
	s_mov_b32 s13, 0
	s_cbranch_vccnz .LBB94_3227
; %bb.3217:
	s_cmp_gt_i32 s6, 14
	s_cbranch_scc0 .LBB94_3220
; %bb.3218:
	s_cmp_eq_u32 s6, 15
	s_cbranch_scc0 .LBB94_3223
; %bb.3219:
	s_wait_loadcnt 0x0
	global_load_u16 v1, v[20:21], off
	s_mov_b32 s7, 0
	s_mov_b32 s16, -1
	s_wait_loadcnt 0x0
	v_lshlrev_b32_e32 v1, 16, v1
	s_delay_alu instid0(VALU_DEP_1)
	v_cvt_i32_f32_e32 v16, v1
	s_branch .LBB94_3225
.LBB94_3220:
	s_mov_b32 s13, -1
	s_branch .LBB94_3224
.LBB94_3221:
	s_and_not1_saveexec_b32 s13, s13
	s_cbranch_execz .LBB94_3202
.LBB94_3222:
	v_cmp_ne_u16_e32 vcc_lo, 0, v1
	s_and_not1_b32 s16, s16, exec_lo
	s_and_b32 s22, vcc_lo, exec_lo
	s_delay_alu instid0(SALU_CYCLE_1)
	s_or_b32 s16, s16, s22
	s_or_b32 exec_lo, exec_lo, s13
	v_mov_b32_e32 v16, 0
	s_and_saveexec_b32 s13, s16
	s_cbranch_execnz .LBB94_3203
	s_branch .LBB94_3204
.LBB94_3223:
	s_mov_b32 s7, -1
.LBB94_3224:
                                        ; implicit-def: $vgpr16
.LBB94_3225:
	s_and_b32 vcc_lo, exec_lo, s13
	s_mov_b32 s13, 0
	s_cbranch_vccz .LBB94_3227
; %bb.3226:
	s_cmp_lg_u32 s6, 11
	s_mov_b32 s13, -1
	s_cselect_b32 s7, -1, 0
.LBB94_3227:
	s_delay_alu instid0(SALU_CYCLE_1)
	s_and_b32 vcc_lo, exec_lo, s7
	s_cbranch_vccnz .LBB94_3292
; %bb.3228:
	s_and_not1_b32 vcc_lo, exec_lo, s13
	s_cbranch_vccnz .LBB94_3230
.LBB94_3229:
	s_wait_loadcnt 0x0
	global_load_u8 v1, v[20:21], off
	s_mov_b32 s16, -1
	s_wait_loadcnt 0x0
	v_cmp_ne_u16_e32 vcc_lo, 0, v1
	v_cndmask_b32_e64 v16, 0, 1, vcc_lo
.LBB94_3230:
	s_mov_b32 s6, 0
.LBB94_3231:
	s_delay_alu instid0(SALU_CYCLE_1)
	s_and_b32 vcc_lo, exec_lo, s6
	s_cbranch_vccz .LBB94_3280
; %bb.3232:
	s_and_b32 s6, 0xffff, s19
	s_delay_alu instid0(SALU_CYCLE_1)
	s_cmp_lt_i32 s6, 5
	s_cbranch_scc1 .LBB94_3237
; %bb.3233:
	s_cmp_lt_i32 s6, 8
	s_cbranch_scc1 .LBB94_3238
; %bb.3234:
	;; [unrolled: 3-line block ×3, first 2 shown]
	s_cmp_gt_i32 s6, 9
	s_cbranch_scc0 .LBB94_3240
; %bb.3236:
	s_wait_loadcnt 0x0
	global_load_b64 v[16:17], v[20:21], off
	s_mov_b32 s7, 0
	s_wait_loadcnt 0x0
	v_cvt_i32_f64_e32 v16, v[16:17]
	s_branch .LBB94_3241
.LBB94_3237:
	s_mov_b32 s7, -1
                                        ; implicit-def: $vgpr16
	s_branch .LBB94_3259
.LBB94_3238:
	s_mov_b32 s7, -1
                                        ; implicit-def: $vgpr16
	s_branch .LBB94_3247
.LBB94_3239:
	s_mov_b32 s7, -1
                                        ; implicit-def: $vgpr16
	s_branch .LBB94_3244
.LBB94_3240:
	s_mov_b32 s7, -1
                                        ; implicit-def: $vgpr16
.LBB94_3241:
	s_delay_alu instid0(SALU_CYCLE_1)
	s_and_not1_b32 vcc_lo, exec_lo, s7
	s_cbranch_vccnz .LBB94_3243
; %bb.3242:
	s_wait_loadcnt 0x0
	global_load_b32 v1, v[20:21], off
	s_wait_loadcnt 0x0
	v_cvt_i32_f32_e32 v16, v1
.LBB94_3243:
	s_mov_b32 s7, 0
.LBB94_3244:
	s_delay_alu instid0(SALU_CYCLE_1)
	s_and_not1_b32 vcc_lo, exec_lo, s7
	s_cbranch_vccnz .LBB94_3246
; %bb.3245:
	s_wait_loadcnt 0x0
	global_load_b32 v1, v[20:21], off
	s_wait_loadcnt 0x0
	v_cvt_i16_f16_e32 v16, v1
.LBB94_3246:
	s_mov_b32 s7, 0
.LBB94_3247:
	s_delay_alu instid0(SALU_CYCLE_1)
	s_and_not1_b32 vcc_lo, exec_lo, s7
	s_cbranch_vccnz .LBB94_3258
; %bb.3248:
	s_cmp_lt_i32 s6, 6
	s_cbranch_scc1 .LBB94_3251
; %bb.3249:
	s_cmp_gt_i32 s6, 6
	s_cbranch_scc0 .LBB94_3252
; %bb.3250:
	s_wait_loadcnt 0x0
	global_load_b64 v[16:17], v[20:21], off
	s_mov_b32 s7, 0
	s_wait_loadcnt 0x0
	v_cvt_i32_f64_e32 v16, v[16:17]
	s_branch .LBB94_3253
.LBB94_3251:
	s_mov_b32 s7, -1
                                        ; implicit-def: $vgpr16
	s_branch .LBB94_3256
.LBB94_3252:
	s_mov_b32 s7, -1
                                        ; implicit-def: $vgpr16
.LBB94_3253:
	s_delay_alu instid0(SALU_CYCLE_1)
	s_and_not1_b32 vcc_lo, exec_lo, s7
	s_cbranch_vccnz .LBB94_3255
; %bb.3254:
	s_wait_loadcnt 0x0
	global_load_b32 v1, v[20:21], off
	s_wait_loadcnt 0x0
	v_cvt_i32_f32_e32 v16, v1
.LBB94_3255:
	s_mov_b32 s7, 0
.LBB94_3256:
	s_delay_alu instid0(SALU_CYCLE_1)
	s_and_not1_b32 vcc_lo, exec_lo, s7
	s_cbranch_vccnz .LBB94_3258
; %bb.3257:
	s_wait_loadcnt 0x0
	global_load_u16 v1, v[20:21], off
	s_wait_loadcnt 0x0
	v_cvt_i16_f16_e32 v16, v1
.LBB94_3258:
	s_mov_b32 s7, 0
.LBB94_3259:
	s_delay_alu instid0(SALU_CYCLE_1)
	s_and_not1_b32 vcc_lo, exec_lo, s7
	s_cbranch_vccnz .LBB94_3279
; %bb.3260:
	s_cmp_lt_i32 s6, 2
	s_cbranch_scc1 .LBB94_3264
; %bb.3261:
	s_cmp_lt_i32 s6, 3
	s_cbranch_scc1 .LBB94_3265
; %bb.3262:
	s_cmp_gt_i32 s6, 3
	s_cbranch_scc0 .LBB94_3266
; %bb.3263:
	s_wait_loadcnt 0x0
	global_load_b64 v[16:17], v[20:21], off
	s_mov_b32 s7, 0
	s_branch .LBB94_3267
.LBB94_3264:
	s_mov_b32 s7, -1
                                        ; implicit-def: $vgpr16
	s_branch .LBB94_3273
.LBB94_3265:
	s_mov_b32 s7, -1
                                        ; implicit-def: $vgpr16
	s_branch .LBB94_3270
.LBB94_3266:
	s_mov_b32 s7, -1
                                        ; implicit-def: $vgpr16
.LBB94_3267:
	s_delay_alu instid0(SALU_CYCLE_1)
	s_and_not1_b32 vcc_lo, exec_lo, s7
	s_cbranch_vccnz .LBB94_3269
; %bb.3268:
	s_wait_loadcnt 0x0
	global_load_b32 v16, v[20:21], off
.LBB94_3269:
	s_mov_b32 s7, 0
.LBB94_3270:
	s_delay_alu instid0(SALU_CYCLE_1)
	s_and_not1_b32 vcc_lo, exec_lo, s7
	s_cbranch_vccnz .LBB94_3272
; %bb.3271:
	s_wait_loadcnt 0x0
	global_load_u16 v16, v[20:21], off
.LBB94_3272:
	s_mov_b32 s7, 0
.LBB94_3273:
	s_delay_alu instid0(SALU_CYCLE_1)
	s_and_not1_b32 vcc_lo, exec_lo, s7
	s_cbranch_vccnz .LBB94_3279
; %bb.3274:
	s_cmp_gt_i32 s6, 0
	s_mov_b32 s6, 0
	s_cbranch_scc0 .LBB94_3276
; %bb.3275:
	s_wait_loadcnt 0x0
	global_load_i8 v16, v[20:21], off
	s_branch .LBB94_3277
.LBB94_3276:
	s_mov_b32 s6, -1
                                        ; implicit-def: $vgpr16
.LBB94_3277:
	s_delay_alu instid0(SALU_CYCLE_1)
	s_and_not1_b32 vcc_lo, exec_lo, s6
	s_cbranch_vccnz .LBB94_3279
; %bb.3278:
	s_wait_loadcnt 0x0
	global_load_u8 v16, v[20:21], off
.LBB94_3279:
	s_mov_b32 s16, -1
.LBB94_3280:
	s_delay_alu instid0(SALU_CYCLE_1)
	s_and_not1_b32 vcc_lo, exec_lo, s16
	s_cbranch_vccnz .LBB94_3968
; %bb.3281:
	s_wait_xcnt 0x0
	v_add_nc_u32_e32 v20, s14, v22
	s_cmp_lt_i32 s17, 11
	s_delay_alu instid0(VALU_DEP_1) | instskip(NEXT) | instid1(VALU_DEP_1)
	v_ashrrev_i32_e32 v21, 31, v20
	v_add_nc_u64_e32 v[22:23], s[8:9], v[20:21]
	s_cbranch_scc1 .LBB94_3288
; %bb.3282:
	s_and_b32 s6, 0xffff, s17
	s_mov_b32 s8, 0
	s_cmp_gt_i32 s6, 25
	s_cbranch_scc0 .LBB94_3289
; %bb.3283:
	s_cmp_gt_i32 s6, 28
	s_cbranch_scc0 .LBB94_3290
; %bb.3284:
	;; [unrolled: 3-line block ×4, first 2 shown]
	s_cmp_eq_u32 s6, 46
	s_mov_b32 s13, 0
	s_cbranch_scc0 .LBB94_3294
; %bb.3287:
	s_wait_loadcnt 0x0
	global_load_b32 v1, v[22:23], off
	s_mov_b32 s7, 0
	s_mov_b32 s9, -1
	s_wait_loadcnt 0x0
	v_lshlrev_b32_e32 v1, 16, v1
	s_delay_alu instid0(VALU_DEP_1)
	v_cvt_i32_f32_e32 v20, v1
	s_branch .LBB94_3296
.LBB94_3288:
	s_mov_b32 s6, -1
	s_mov_b32 s9, 0
                                        ; implicit-def: $vgpr20
	s_branch .LBB94_3358
.LBB94_3289:
	s_mov_b32 s13, -1
	s_mov_b32 s9, 0
	s_mov_b32 s7, 0
                                        ; implicit-def: $vgpr20
	s_branch .LBB94_3323
.LBB94_3290:
	s_mov_b32 s13, -1
	s_mov_b32 s9, 0
	s_mov_b32 s7, 0
                                        ; implicit-def: $vgpr20
	s_branch .LBB94_3306
.LBB94_3291:
	s_mov_b32 s13, -1
	s_mov_b32 s9, 0
	s_mov_b32 s7, 0
                                        ; implicit-def: $vgpr20
	s_branch .LBB94_3301
.LBB94_3292:
	s_or_b32 s18, s18, exec_lo
	s_trap 2
	s_cbranch_execz .LBB94_3229
	s_branch .LBB94_3230
.LBB94_3293:
	s_mov_b32 s13, -1
	s_mov_b32 s9, 0
	s_mov_b32 s7, 0
	s_branch .LBB94_3295
.LBB94_3294:
	s_mov_b32 s7, -1
	s_mov_b32 s9, 0
.LBB94_3295:
                                        ; implicit-def: $vgpr20
.LBB94_3296:
	s_and_b32 vcc_lo, exec_lo, s13
	s_cbranch_vccz .LBB94_3300
; %bb.3297:
	s_cmp_eq_u32 s6, 44
	s_cbranch_scc0 .LBB94_3299
; %bb.3298:
	s_wait_loadcnt 0x0
	global_load_u8 v1, v[22:23], off
	s_mov_b32 s7, 0
	s_mov_b32 s9, -1
	s_wait_loadcnt 0x0
	v_lshlrev_b32_e32 v3, 23, v1
	v_cmp_ne_u32_e32 vcc_lo, 0, v1
	s_delay_alu instid0(VALU_DEP_2) | instskip(NEXT) | instid1(VALU_DEP_1)
	v_cvt_i32_f32_e32 v3, v3
	v_cndmask_b32_e32 v20, 0, v3, vcc_lo
	s_branch .LBB94_3300
.LBB94_3299:
	s_mov_b32 s7, -1
                                        ; implicit-def: $vgpr20
.LBB94_3300:
	s_mov_b32 s13, 0
.LBB94_3301:
	s_delay_alu instid0(SALU_CYCLE_1)
	s_and_b32 vcc_lo, exec_lo, s13
	s_cbranch_vccz .LBB94_3305
; %bb.3302:
	s_cmp_eq_u32 s6, 29
	s_cbranch_scc0 .LBB94_3304
; %bb.3303:
	global_load_b64 v[20:21], v[22:23], off
	s_mov_b32 s7, 0
	s_mov_b32 s9, -1
	s_branch .LBB94_3305
.LBB94_3304:
	s_mov_b32 s7, -1
                                        ; implicit-def: $vgpr20
.LBB94_3305:
	s_mov_b32 s13, 0
.LBB94_3306:
	s_delay_alu instid0(SALU_CYCLE_1)
	s_and_b32 vcc_lo, exec_lo, s13
	s_cbranch_vccz .LBB94_3322
; %bb.3307:
	s_cmp_lt_i32 s6, 27
	s_cbranch_scc1 .LBB94_3310
; %bb.3308:
	s_cmp_gt_i32 s6, 27
	s_cbranch_scc0 .LBB94_3311
; %bb.3309:
	s_wait_loadcnt 0x0
	global_load_b32 v20, v[22:23], off
	s_mov_b32 s9, 0
	s_branch .LBB94_3312
.LBB94_3310:
	s_mov_b32 s9, -1
                                        ; implicit-def: $vgpr20
	s_branch .LBB94_3315
.LBB94_3311:
	s_mov_b32 s9, -1
                                        ; implicit-def: $vgpr20
.LBB94_3312:
	s_delay_alu instid0(SALU_CYCLE_1)
	s_and_not1_b32 vcc_lo, exec_lo, s9
	s_cbranch_vccnz .LBB94_3314
; %bb.3313:
	s_wait_loadcnt 0x0
	global_load_u16 v20, v[22:23], off
.LBB94_3314:
	s_mov_b32 s9, 0
.LBB94_3315:
	s_delay_alu instid0(SALU_CYCLE_1)
	s_and_not1_b32 vcc_lo, exec_lo, s9
	s_cbranch_vccnz .LBB94_3321
; %bb.3316:
	s_wait_loadcnt 0x0
	global_load_u8 v1, v[22:23], off
	s_mov_b32 s13, 0
	s_mov_b32 s9, exec_lo
	s_wait_loadcnt 0x0
	v_cmpx_lt_i16_e32 0x7f, v1
	s_xor_b32 s9, exec_lo, s9
	s_cbranch_execz .LBB94_3333
; %bb.3317:
	v_cmp_ne_u16_e32 vcc_lo, 0x80, v1
	s_and_b32 s13, vcc_lo, exec_lo
	s_and_not1_saveexec_b32 s9, s9
	s_cbranch_execnz .LBB94_3334
.LBB94_3318:
	s_or_b32 exec_lo, exec_lo, s9
	v_mov_b32_e32 v20, 0
	s_and_saveexec_b32 s9, s13
	s_cbranch_execz .LBB94_3320
.LBB94_3319:
	v_and_b32_e32 v3, 0xffff, v1
	s_delay_alu instid0(VALU_DEP_1) | instskip(SKIP_1) | instid1(VALU_DEP_2)
	v_dual_lshlrev_b32 v1, 24, v1 :: v_dual_bitop2_b32 v5, 7, v3 bitop3:0x40
	v_bfe_u32 v11, v3, 3, 4
	v_and_b32_e32 v1, 0x80000000, v1
	s_delay_alu instid0(VALU_DEP_3) | instskip(NEXT) | instid1(VALU_DEP_3)
	v_clz_i32_u32_e32 v7, v5
	v_cmp_eq_u32_e32 vcc_lo, 0, v11
	s_delay_alu instid0(VALU_DEP_2) | instskip(NEXT) | instid1(VALU_DEP_1)
	v_min_u32_e32 v7, 32, v7
	v_subrev_nc_u32_e32 v9, 28, v7
	v_sub_nc_u32_e32 v7, 29, v7
	s_delay_alu instid0(VALU_DEP_2) | instskip(NEXT) | instid1(VALU_DEP_2)
	v_lshlrev_b32_e32 v3, v9, v3
	v_cndmask_b32_e32 v7, v11, v7, vcc_lo
	s_delay_alu instid0(VALU_DEP_2) | instskip(NEXT) | instid1(VALU_DEP_1)
	v_and_b32_e32 v3, 7, v3
	v_cndmask_b32_e32 v3, v5, v3, vcc_lo
	s_delay_alu instid0(VALU_DEP_3) | instskip(NEXT) | instid1(VALU_DEP_2)
	v_lshl_add_u32 v5, v7, 23, 0x3b800000
	v_lshlrev_b32_e32 v3, 20, v3
	s_delay_alu instid0(VALU_DEP_1) | instskip(NEXT) | instid1(VALU_DEP_1)
	v_or3_b32 v1, v1, v5, v3
	v_cvt_i32_f32_e32 v20, v1
.LBB94_3320:
	s_or_b32 exec_lo, exec_lo, s9
.LBB94_3321:
	s_mov_b32 s9, -1
.LBB94_3322:
	s_mov_b32 s13, 0
.LBB94_3323:
	s_delay_alu instid0(SALU_CYCLE_1)
	s_and_b32 vcc_lo, exec_lo, s13
	s_cbranch_vccz .LBB94_3354
; %bb.3324:
	s_cmp_gt_i32 s6, 22
	s_cbranch_scc0 .LBB94_3332
; %bb.3325:
	s_cmp_lt_i32 s6, 24
	s_cbranch_scc1 .LBB94_3335
; %bb.3326:
	s_cmp_gt_i32 s6, 24
	s_cbranch_scc0 .LBB94_3336
; %bb.3327:
	s_wait_loadcnt 0x0
	global_load_u8 v1, v[22:23], off
	s_mov_b32 s9, 0
	s_mov_b32 s8, exec_lo
	s_wait_loadcnt 0x0
	v_cmpx_lt_i16_e32 0x7f, v1
	s_xor_b32 s8, exec_lo, s8
	s_cbranch_execz .LBB94_3348
; %bb.3328:
	v_cmp_ne_u16_e32 vcc_lo, 0x80, v1
	s_and_b32 s9, vcc_lo, exec_lo
	s_and_not1_saveexec_b32 s8, s8
	s_cbranch_execnz .LBB94_3349
.LBB94_3329:
	s_or_b32 exec_lo, exec_lo, s8
	v_mov_b32_e32 v20, 0
	s_and_saveexec_b32 s8, s9
	s_cbranch_execz .LBB94_3331
.LBB94_3330:
	v_and_b32_e32 v3, 0xffff, v1
	s_delay_alu instid0(VALU_DEP_1) | instskip(SKIP_1) | instid1(VALU_DEP_2)
	v_dual_lshlrev_b32 v1, 24, v1 :: v_dual_bitop2_b32 v5, 3, v3 bitop3:0x40
	v_bfe_u32 v11, v3, 2, 5
	v_and_b32_e32 v1, 0x80000000, v1
	s_delay_alu instid0(VALU_DEP_3) | instskip(NEXT) | instid1(VALU_DEP_3)
	v_clz_i32_u32_e32 v7, v5
	v_cmp_eq_u32_e32 vcc_lo, 0, v11
	s_delay_alu instid0(VALU_DEP_2) | instskip(NEXT) | instid1(VALU_DEP_1)
	v_min_u32_e32 v7, 32, v7
	v_subrev_nc_u32_e32 v9, 29, v7
	v_sub_nc_u32_e32 v7, 30, v7
	s_delay_alu instid0(VALU_DEP_2) | instskip(NEXT) | instid1(VALU_DEP_2)
	v_lshlrev_b32_e32 v3, v9, v3
	v_cndmask_b32_e32 v7, v11, v7, vcc_lo
	s_delay_alu instid0(VALU_DEP_2) | instskip(NEXT) | instid1(VALU_DEP_1)
	v_and_b32_e32 v3, 3, v3
	v_cndmask_b32_e32 v3, v5, v3, vcc_lo
	s_delay_alu instid0(VALU_DEP_3) | instskip(NEXT) | instid1(VALU_DEP_2)
	v_lshl_add_u32 v5, v7, 23, 0x37800000
	v_lshlrev_b32_e32 v3, 21, v3
	s_delay_alu instid0(VALU_DEP_1) | instskip(NEXT) | instid1(VALU_DEP_1)
	v_or3_b32 v1, v1, v5, v3
	v_cvt_i32_f32_e32 v20, v1
.LBB94_3331:
	s_or_b32 exec_lo, exec_lo, s8
	s_mov_b32 s8, 0
	s_branch .LBB94_3337
.LBB94_3332:
	s_mov_b32 s8, -1
                                        ; implicit-def: $vgpr20
	s_branch .LBB94_3343
.LBB94_3333:
	s_and_not1_saveexec_b32 s9, s9
	s_cbranch_execz .LBB94_3318
.LBB94_3334:
	v_cmp_ne_u16_e32 vcc_lo, 0, v1
	s_and_not1_b32 s13, s13, exec_lo
	s_and_b32 s14, vcc_lo, exec_lo
	s_delay_alu instid0(SALU_CYCLE_1)
	s_or_b32 s13, s13, s14
	s_or_b32 exec_lo, exec_lo, s9
	v_mov_b32_e32 v20, 0
	s_and_saveexec_b32 s9, s13
	s_cbranch_execnz .LBB94_3319
	s_branch .LBB94_3320
.LBB94_3335:
	s_mov_b32 s8, -1
                                        ; implicit-def: $vgpr20
	s_branch .LBB94_3340
.LBB94_3336:
	s_mov_b32 s8, -1
                                        ; implicit-def: $vgpr20
.LBB94_3337:
	s_delay_alu instid0(SALU_CYCLE_1)
	s_and_b32 vcc_lo, exec_lo, s8
	s_cbranch_vccz .LBB94_3339
; %bb.3338:
	s_wait_loadcnt 0x0
	global_load_u8 v1, v[22:23], off
	s_wait_loadcnt 0x0
	v_lshlrev_b32_e32 v1, 24, v1
	s_delay_alu instid0(VALU_DEP_1) | instskip(NEXT) | instid1(VALU_DEP_1)
	v_and_b32_e32 v3, 0x7f000000, v1
	v_clz_i32_u32_e32 v5, v3
	v_add_nc_u32_e32 v9, 0x1000000, v3
	v_cmp_ne_u32_e32 vcc_lo, 0, v3
	s_delay_alu instid0(VALU_DEP_3) | instskip(NEXT) | instid1(VALU_DEP_1)
	v_min_u32_e32 v5, 32, v5
	v_sub_nc_u32_e64 v5, v5, 4 clamp
	s_delay_alu instid0(VALU_DEP_1) | instskip(NEXT) | instid1(VALU_DEP_1)
	v_dual_lshlrev_b32 v7, v5, v3 :: v_dual_lshlrev_b32 v5, 23, v5
	v_lshrrev_b32_e32 v7, 4, v7
	s_delay_alu instid0(VALU_DEP_1) | instskip(SKIP_1) | instid1(VALU_DEP_2)
	v_sub_nc_u32_e32 v5, v7, v5
	v_ashrrev_i32_e32 v7, 8, v9
	v_add_nc_u32_e32 v5, 0x3c000000, v5
	s_delay_alu instid0(VALU_DEP_1) | instskip(NEXT) | instid1(VALU_DEP_1)
	v_and_or_b32 v5, 0x7f800000, v7, v5
	v_cndmask_b32_e32 v3, 0, v5, vcc_lo
	s_delay_alu instid0(VALU_DEP_1) | instskip(NEXT) | instid1(VALU_DEP_1)
	v_and_or_b32 v1, 0x80000000, v1, v3
	v_cvt_i32_f32_e32 v20, v1
.LBB94_3339:
	s_mov_b32 s8, 0
.LBB94_3340:
	s_delay_alu instid0(SALU_CYCLE_1)
	s_and_not1_b32 vcc_lo, exec_lo, s8
	s_cbranch_vccnz .LBB94_3342
; %bb.3341:
	s_wait_loadcnt 0x0
	global_load_u8 v1, v[22:23], off
	s_wait_loadcnt 0x0
	v_lshlrev_b32_e32 v3, 25, v1
	v_lshlrev_b16 v1, 8, v1
	s_delay_alu instid0(VALU_DEP_1) | instskip(SKIP_1) | instid1(VALU_DEP_2)
	v_and_or_b32 v7, 0x7f00, v1, 0.5
	v_bfe_i32 v1, v1, 0, 16
	v_add_f32_e32 v7, -0.5, v7
	v_lshrrev_b32_e32 v5, 4, v3
	v_cmp_gt_u32_e32 vcc_lo, 0x8000000, v3
	s_delay_alu instid0(VALU_DEP_2) | instskip(NEXT) | instid1(VALU_DEP_1)
	v_or_b32_e32 v5, 0x70000000, v5
	v_mul_f32_e32 v5, 0x7800000, v5
	s_delay_alu instid0(VALU_DEP_1) | instskip(NEXT) | instid1(VALU_DEP_1)
	v_cndmask_b32_e32 v3, v5, v7, vcc_lo
	v_and_or_b32 v1, 0x80000000, v1, v3
	s_delay_alu instid0(VALU_DEP_1)
	v_cvt_i32_f32_e32 v20, v1
.LBB94_3342:
	s_mov_b32 s8, 0
	s_mov_b32 s9, -1
.LBB94_3343:
	s_and_not1_b32 vcc_lo, exec_lo, s8
	s_mov_b32 s8, 0
	s_cbranch_vccnz .LBB94_3354
; %bb.3344:
	s_cmp_gt_i32 s6, 14
	s_cbranch_scc0 .LBB94_3347
; %bb.3345:
	s_cmp_eq_u32 s6, 15
	s_cbranch_scc0 .LBB94_3350
; %bb.3346:
	s_wait_loadcnt 0x0
	global_load_u16 v1, v[22:23], off
	s_mov_b32 s7, 0
	s_mov_b32 s9, -1
	s_wait_loadcnt 0x0
	v_lshlrev_b32_e32 v1, 16, v1
	s_delay_alu instid0(VALU_DEP_1)
	v_cvt_i32_f32_e32 v20, v1
	s_branch .LBB94_3352
.LBB94_3347:
	s_mov_b32 s8, -1
	s_branch .LBB94_3351
.LBB94_3348:
	s_and_not1_saveexec_b32 s8, s8
	s_cbranch_execz .LBB94_3329
.LBB94_3349:
	v_cmp_ne_u16_e32 vcc_lo, 0, v1
	s_and_not1_b32 s9, s9, exec_lo
	s_and_b32 s13, vcc_lo, exec_lo
	s_delay_alu instid0(SALU_CYCLE_1)
	s_or_b32 s9, s9, s13
	s_or_b32 exec_lo, exec_lo, s8
	v_mov_b32_e32 v20, 0
	s_and_saveexec_b32 s8, s9
	s_cbranch_execnz .LBB94_3330
	s_branch .LBB94_3331
.LBB94_3350:
	s_mov_b32 s7, -1
.LBB94_3351:
                                        ; implicit-def: $vgpr20
.LBB94_3352:
	s_and_b32 vcc_lo, exec_lo, s8
	s_mov_b32 s8, 0
	s_cbranch_vccz .LBB94_3354
; %bb.3353:
	s_cmp_lg_u32 s6, 11
	s_mov_b32 s8, -1
	s_cselect_b32 s7, -1, 0
.LBB94_3354:
	s_delay_alu instid0(SALU_CYCLE_1)
	s_and_b32 vcc_lo, exec_lo, s7
	s_cbranch_vccnz .LBB94_3419
; %bb.3355:
	s_and_not1_b32 vcc_lo, exec_lo, s8
	s_cbranch_vccnz .LBB94_3357
.LBB94_3356:
	s_wait_loadcnt 0x0
	global_load_u8 v1, v[22:23], off
	s_mov_b32 s9, -1
	s_wait_loadcnt 0x0
	v_cmp_ne_u16_e32 vcc_lo, 0, v1
	v_cndmask_b32_e64 v20, 0, 1, vcc_lo
.LBB94_3357:
	s_mov_b32 s6, 0
.LBB94_3358:
	s_delay_alu instid0(SALU_CYCLE_1)
	s_and_b32 vcc_lo, exec_lo, s6
	s_cbranch_vccz .LBB94_3407
; %bb.3359:
	s_and_b32 s6, 0xffff, s17
	s_delay_alu instid0(SALU_CYCLE_1)
	s_cmp_lt_i32 s6, 5
	s_cbranch_scc1 .LBB94_3364
; %bb.3360:
	s_cmp_lt_i32 s6, 8
	s_cbranch_scc1 .LBB94_3365
; %bb.3361:
	;; [unrolled: 3-line block ×3, first 2 shown]
	s_cmp_gt_i32 s6, 9
	s_cbranch_scc0 .LBB94_3367
; %bb.3363:
	s_wait_loadcnt 0x0
	global_load_b64 v[20:21], v[22:23], off
	s_mov_b32 s7, 0
	s_wait_loadcnt 0x0
	v_cvt_i32_f64_e32 v20, v[20:21]
	s_branch .LBB94_3368
.LBB94_3364:
	s_mov_b32 s7, -1
                                        ; implicit-def: $vgpr20
	s_branch .LBB94_3386
.LBB94_3365:
	s_mov_b32 s7, -1
                                        ; implicit-def: $vgpr20
	s_branch .LBB94_3374
.LBB94_3366:
	s_mov_b32 s7, -1
                                        ; implicit-def: $vgpr20
	s_branch .LBB94_3371
.LBB94_3367:
	s_mov_b32 s7, -1
                                        ; implicit-def: $vgpr20
.LBB94_3368:
	s_delay_alu instid0(SALU_CYCLE_1)
	s_and_not1_b32 vcc_lo, exec_lo, s7
	s_cbranch_vccnz .LBB94_3370
; %bb.3369:
	s_wait_loadcnt 0x0
	global_load_b32 v1, v[22:23], off
	s_wait_loadcnt 0x0
	v_cvt_i32_f32_e32 v20, v1
.LBB94_3370:
	s_mov_b32 s7, 0
.LBB94_3371:
	s_delay_alu instid0(SALU_CYCLE_1)
	s_and_not1_b32 vcc_lo, exec_lo, s7
	s_cbranch_vccnz .LBB94_3373
; %bb.3372:
	s_wait_loadcnt 0x0
	global_load_b32 v1, v[22:23], off
	s_wait_loadcnt 0x0
	v_cvt_i16_f16_e32 v20, v1
.LBB94_3373:
	s_mov_b32 s7, 0
.LBB94_3374:
	s_delay_alu instid0(SALU_CYCLE_1)
	s_and_not1_b32 vcc_lo, exec_lo, s7
	s_cbranch_vccnz .LBB94_3385
; %bb.3375:
	s_cmp_lt_i32 s6, 6
	s_cbranch_scc1 .LBB94_3378
; %bb.3376:
	s_cmp_gt_i32 s6, 6
	s_cbranch_scc0 .LBB94_3379
; %bb.3377:
	s_wait_loadcnt 0x0
	global_load_b64 v[20:21], v[22:23], off
	s_mov_b32 s7, 0
	s_wait_loadcnt 0x0
	v_cvt_i32_f64_e32 v20, v[20:21]
	s_branch .LBB94_3380
.LBB94_3378:
	s_mov_b32 s7, -1
                                        ; implicit-def: $vgpr20
	s_branch .LBB94_3383
.LBB94_3379:
	s_mov_b32 s7, -1
                                        ; implicit-def: $vgpr20
.LBB94_3380:
	s_delay_alu instid0(SALU_CYCLE_1)
	s_and_not1_b32 vcc_lo, exec_lo, s7
	s_cbranch_vccnz .LBB94_3382
; %bb.3381:
	s_wait_loadcnt 0x0
	global_load_b32 v1, v[22:23], off
	s_wait_loadcnt 0x0
	v_cvt_i32_f32_e32 v20, v1
.LBB94_3382:
	s_mov_b32 s7, 0
.LBB94_3383:
	s_delay_alu instid0(SALU_CYCLE_1)
	s_and_not1_b32 vcc_lo, exec_lo, s7
	s_cbranch_vccnz .LBB94_3385
; %bb.3384:
	s_wait_loadcnt 0x0
	global_load_u16 v1, v[22:23], off
	s_wait_loadcnt 0x0
	v_cvt_i16_f16_e32 v20, v1
.LBB94_3385:
	s_mov_b32 s7, 0
.LBB94_3386:
	s_delay_alu instid0(SALU_CYCLE_1)
	s_and_not1_b32 vcc_lo, exec_lo, s7
	s_cbranch_vccnz .LBB94_3406
; %bb.3387:
	s_cmp_lt_i32 s6, 2
	s_cbranch_scc1 .LBB94_3391
; %bb.3388:
	s_cmp_lt_i32 s6, 3
	s_cbranch_scc1 .LBB94_3392
; %bb.3389:
	s_cmp_gt_i32 s6, 3
	s_cbranch_scc0 .LBB94_3393
; %bb.3390:
	s_wait_loadcnt 0x0
	global_load_b64 v[20:21], v[22:23], off
	s_mov_b32 s7, 0
	s_branch .LBB94_3394
.LBB94_3391:
	s_mov_b32 s7, -1
                                        ; implicit-def: $vgpr20
	s_branch .LBB94_3400
.LBB94_3392:
	s_mov_b32 s7, -1
                                        ; implicit-def: $vgpr20
	s_branch .LBB94_3397
.LBB94_3393:
	s_mov_b32 s7, -1
                                        ; implicit-def: $vgpr20
.LBB94_3394:
	s_delay_alu instid0(SALU_CYCLE_1)
	s_and_not1_b32 vcc_lo, exec_lo, s7
	s_cbranch_vccnz .LBB94_3396
; %bb.3395:
	s_wait_loadcnt 0x0
	global_load_b32 v20, v[22:23], off
.LBB94_3396:
	s_mov_b32 s7, 0
.LBB94_3397:
	s_delay_alu instid0(SALU_CYCLE_1)
	s_and_not1_b32 vcc_lo, exec_lo, s7
	s_cbranch_vccnz .LBB94_3399
; %bb.3398:
	s_wait_loadcnt 0x0
	global_load_u16 v20, v[22:23], off
.LBB94_3399:
	s_mov_b32 s7, 0
.LBB94_3400:
	s_delay_alu instid0(SALU_CYCLE_1)
	s_and_not1_b32 vcc_lo, exec_lo, s7
	s_cbranch_vccnz .LBB94_3406
; %bb.3401:
	s_cmp_gt_i32 s6, 0
	s_mov_b32 s6, 0
	s_cbranch_scc0 .LBB94_3403
; %bb.3402:
	s_wait_loadcnt 0x0
	global_load_i8 v20, v[22:23], off
	s_branch .LBB94_3404
.LBB94_3403:
	s_mov_b32 s6, -1
                                        ; implicit-def: $vgpr20
.LBB94_3404:
	s_delay_alu instid0(SALU_CYCLE_1)
	s_and_not1_b32 vcc_lo, exec_lo, s6
	s_cbranch_vccnz .LBB94_3406
; %bb.3405:
	s_wait_loadcnt 0x0
	global_load_u8 v20, v[22:23], off
.LBB94_3406:
	s_mov_b32 s9, -1
.LBB94_3407:
	s_delay_alu instid0(SALU_CYCLE_1)
	s_and_not1_b32 vcc_lo, exec_lo, s9
	s_cbranch_vccnz .LBB94_3968
; %bb.3408:
	s_wait_xcnt 0x0
	v_add_nc_u32_e32 v22, s15, v24
	s_cmp_lt_i32 s0, 11
	s_delay_alu instid0(VALU_DEP_1) | instskip(NEXT) | instid1(VALU_DEP_1)
	v_ashrrev_i32_e32 v23, 31, v22
	v_add_nc_u64_e32 v[24:25], s[10:11], v[22:23]
	s_cbranch_scc1 .LBB94_3415
; %bb.3409:
	s_cmp_gt_i32 s0, 25
	s_mov_b32 s7, 0
	s_cbranch_scc0 .LBB94_3416
; %bb.3410:
	s_cmp_gt_i32 s0, 28
	s_cbranch_scc0 .LBB94_3417
; %bb.3411:
	s_cmp_gt_i32 s0, 43
	;; [unrolled: 3-line block ×3, first 2 shown]
	s_cbranch_scc0 .LBB94_3420
; %bb.3413:
	s_cmp_eq_u32 s0, 46
	s_mov_b32 s9, 0
	s_cbranch_scc0 .LBB94_3421
; %bb.3414:
	s_wait_loadcnt 0x0
	global_load_b32 v1, v[24:25], off
	s_mov_b32 s6, 0
	s_mov_b32 s8, -1
	s_wait_loadcnt 0x0
	v_lshlrev_b32_e32 v1, 16, v1
	s_delay_alu instid0(VALU_DEP_1)
	v_cvt_i32_f32_e32 v22, v1
	s_branch .LBB94_3423
.LBB94_3415:
	s_mov_b32 s6, -1
	s_mov_b32 s8, 0
                                        ; implicit-def: $vgpr22
	s_branch .LBB94_3485
.LBB94_3416:
	s_mov_b32 s9, -1
	s_mov_b32 s8, 0
	s_mov_b32 s6, 0
                                        ; implicit-def: $vgpr22
	s_branch .LBB94_3450
.LBB94_3417:
	s_mov_b32 s9, -1
	s_mov_b32 s8, 0
	s_mov_b32 s6, 0
                                        ; implicit-def: $vgpr22
	s_branch .LBB94_3433
.LBB94_3418:
	s_mov_b32 s9, -1
	s_mov_b32 s8, 0
	s_mov_b32 s6, 0
                                        ; implicit-def: $vgpr22
	s_branch .LBB94_3428
.LBB94_3419:
	s_or_b32 s18, s18, exec_lo
	s_trap 2
	s_cbranch_execz .LBB94_3356
	s_branch .LBB94_3357
.LBB94_3420:
	s_mov_b32 s9, -1
	s_mov_b32 s8, 0
	s_mov_b32 s6, 0
	s_branch .LBB94_3422
.LBB94_3421:
	s_mov_b32 s6, -1
	s_mov_b32 s8, 0
.LBB94_3422:
                                        ; implicit-def: $vgpr22
.LBB94_3423:
	s_and_b32 vcc_lo, exec_lo, s9
	s_cbranch_vccz .LBB94_3427
; %bb.3424:
	s_cmp_eq_u32 s0, 44
	s_cbranch_scc0 .LBB94_3426
; %bb.3425:
	s_wait_loadcnt 0x0
	global_load_u8 v1, v[24:25], off
	s_mov_b32 s6, 0
	s_mov_b32 s8, -1
	s_wait_loadcnt 0x0
	v_lshlrev_b32_e32 v3, 23, v1
	v_cmp_ne_u32_e32 vcc_lo, 0, v1
	s_delay_alu instid0(VALU_DEP_2) | instskip(NEXT) | instid1(VALU_DEP_1)
	v_cvt_i32_f32_e32 v3, v3
	v_cndmask_b32_e32 v22, 0, v3, vcc_lo
	s_branch .LBB94_3427
.LBB94_3426:
	s_mov_b32 s6, -1
                                        ; implicit-def: $vgpr22
.LBB94_3427:
	s_mov_b32 s9, 0
.LBB94_3428:
	s_delay_alu instid0(SALU_CYCLE_1)
	s_and_b32 vcc_lo, exec_lo, s9
	s_cbranch_vccz .LBB94_3432
; %bb.3429:
	s_cmp_eq_u32 s0, 29
	s_cbranch_scc0 .LBB94_3431
; %bb.3430:
	global_load_b64 v[22:23], v[24:25], off
	s_mov_b32 s6, 0
	s_mov_b32 s8, -1
	s_branch .LBB94_3432
.LBB94_3431:
	s_mov_b32 s6, -1
                                        ; implicit-def: $vgpr22
.LBB94_3432:
	s_mov_b32 s9, 0
.LBB94_3433:
	s_delay_alu instid0(SALU_CYCLE_1)
	s_and_b32 vcc_lo, exec_lo, s9
	s_cbranch_vccz .LBB94_3449
; %bb.3434:
	s_cmp_lt_i32 s0, 27
	s_cbranch_scc1 .LBB94_3437
; %bb.3435:
	s_cmp_gt_i32 s0, 27
	s_cbranch_scc0 .LBB94_3438
; %bb.3436:
	s_wait_loadcnt 0x0
	global_load_b32 v22, v[24:25], off
	s_mov_b32 s8, 0
	s_branch .LBB94_3439
.LBB94_3437:
	s_mov_b32 s8, -1
                                        ; implicit-def: $vgpr22
	s_branch .LBB94_3442
.LBB94_3438:
	s_mov_b32 s8, -1
                                        ; implicit-def: $vgpr22
.LBB94_3439:
	s_delay_alu instid0(SALU_CYCLE_1)
	s_and_not1_b32 vcc_lo, exec_lo, s8
	s_cbranch_vccnz .LBB94_3441
; %bb.3440:
	s_wait_loadcnt 0x0
	global_load_u16 v22, v[24:25], off
.LBB94_3441:
	s_mov_b32 s8, 0
.LBB94_3442:
	s_delay_alu instid0(SALU_CYCLE_1)
	s_and_not1_b32 vcc_lo, exec_lo, s8
	s_cbranch_vccnz .LBB94_3448
; %bb.3443:
	s_wait_loadcnt 0x0
	global_load_u8 v1, v[24:25], off
	s_mov_b32 s9, 0
	s_mov_b32 s8, exec_lo
	s_wait_loadcnt 0x0
	v_cmpx_lt_i16_e32 0x7f, v1
	s_xor_b32 s8, exec_lo, s8
	s_cbranch_execz .LBB94_3460
; %bb.3444:
	v_cmp_ne_u16_e32 vcc_lo, 0x80, v1
	s_and_b32 s9, vcc_lo, exec_lo
	s_and_not1_saveexec_b32 s8, s8
	s_cbranch_execnz .LBB94_3461
.LBB94_3445:
	s_or_b32 exec_lo, exec_lo, s8
	v_mov_b32_e32 v22, 0
	s_and_saveexec_b32 s8, s9
	s_cbranch_execz .LBB94_3447
.LBB94_3446:
	v_and_b32_e32 v3, 0xffff, v1
	s_delay_alu instid0(VALU_DEP_1) | instskip(SKIP_1) | instid1(VALU_DEP_2)
	v_dual_lshlrev_b32 v1, 24, v1 :: v_dual_bitop2_b32 v5, 7, v3 bitop3:0x40
	v_bfe_u32 v11, v3, 3, 4
	v_and_b32_e32 v1, 0x80000000, v1
	s_delay_alu instid0(VALU_DEP_3) | instskip(NEXT) | instid1(VALU_DEP_3)
	v_clz_i32_u32_e32 v7, v5
	v_cmp_eq_u32_e32 vcc_lo, 0, v11
	s_delay_alu instid0(VALU_DEP_2) | instskip(NEXT) | instid1(VALU_DEP_1)
	v_min_u32_e32 v7, 32, v7
	v_subrev_nc_u32_e32 v9, 28, v7
	v_sub_nc_u32_e32 v7, 29, v7
	s_delay_alu instid0(VALU_DEP_2) | instskip(NEXT) | instid1(VALU_DEP_2)
	v_lshlrev_b32_e32 v3, v9, v3
	v_cndmask_b32_e32 v7, v11, v7, vcc_lo
	s_delay_alu instid0(VALU_DEP_2) | instskip(NEXT) | instid1(VALU_DEP_1)
	v_and_b32_e32 v3, 7, v3
	v_cndmask_b32_e32 v3, v5, v3, vcc_lo
	s_delay_alu instid0(VALU_DEP_3) | instskip(NEXT) | instid1(VALU_DEP_2)
	v_lshl_add_u32 v5, v7, 23, 0x3b800000
	v_lshlrev_b32_e32 v3, 20, v3
	s_delay_alu instid0(VALU_DEP_1) | instskip(NEXT) | instid1(VALU_DEP_1)
	v_or3_b32 v1, v1, v5, v3
	v_cvt_i32_f32_e32 v22, v1
.LBB94_3447:
	s_or_b32 exec_lo, exec_lo, s8
.LBB94_3448:
	s_mov_b32 s8, -1
.LBB94_3449:
	s_mov_b32 s9, 0
.LBB94_3450:
	s_delay_alu instid0(SALU_CYCLE_1)
	s_and_b32 vcc_lo, exec_lo, s9
	s_cbranch_vccz .LBB94_3481
; %bb.3451:
	s_cmp_gt_i32 s0, 22
	s_cbranch_scc0 .LBB94_3459
; %bb.3452:
	s_cmp_lt_i32 s0, 24
	s_cbranch_scc1 .LBB94_3462
; %bb.3453:
	s_cmp_gt_i32 s0, 24
	s_cbranch_scc0 .LBB94_3463
; %bb.3454:
	s_wait_loadcnt 0x0
	global_load_u8 v1, v[24:25], off
	s_mov_b32 s8, 0
	s_mov_b32 s7, exec_lo
	s_wait_loadcnt 0x0
	v_cmpx_lt_i16_e32 0x7f, v1
	s_xor_b32 s7, exec_lo, s7
	s_cbranch_execz .LBB94_3475
; %bb.3455:
	v_cmp_ne_u16_e32 vcc_lo, 0x80, v1
	s_and_b32 s8, vcc_lo, exec_lo
	s_and_not1_saveexec_b32 s7, s7
	s_cbranch_execnz .LBB94_3476
.LBB94_3456:
	s_or_b32 exec_lo, exec_lo, s7
	v_mov_b32_e32 v22, 0
	s_and_saveexec_b32 s7, s8
	s_cbranch_execz .LBB94_3458
.LBB94_3457:
	v_and_b32_e32 v3, 0xffff, v1
	s_delay_alu instid0(VALU_DEP_1) | instskip(SKIP_1) | instid1(VALU_DEP_2)
	v_dual_lshlrev_b32 v1, 24, v1 :: v_dual_bitop2_b32 v5, 3, v3 bitop3:0x40
	v_bfe_u32 v11, v3, 2, 5
	v_and_b32_e32 v1, 0x80000000, v1
	s_delay_alu instid0(VALU_DEP_3) | instskip(NEXT) | instid1(VALU_DEP_3)
	v_clz_i32_u32_e32 v7, v5
	v_cmp_eq_u32_e32 vcc_lo, 0, v11
	s_delay_alu instid0(VALU_DEP_2) | instskip(NEXT) | instid1(VALU_DEP_1)
	v_min_u32_e32 v7, 32, v7
	v_subrev_nc_u32_e32 v9, 29, v7
	v_sub_nc_u32_e32 v7, 30, v7
	s_delay_alu instid0(VALU_DEP_2) | instskip(NEXT) | instid1(VALU_DEP_2)
	v_lshlrev_b32_e32 v3, v9, v3
	v_cndmask_b32_e32 v7, v11, v7, vcc_lo
	s_delay_alu instid0(VALU_DEP_2) | instskip(NEXT) | instid1(VALU_DEP_1)
	v_and_b32_e32 v3, 3, v3
	v_cndmask_b32_e32 v3, v5, v3, vcc_lo
	s_delay_alu instid0(VALU_DEP_3) | instskip(NEXT) | instid1(VALU_DEP_2)
	v_lshl_add_u32 v5, v7, 23, 0x37800000
	v_lshlrev_b32_e32 v3, 21, v3
	s_delay_alu instid0(VALU_DEP_1) | instskip(NEXT) | instid1(VALU_DEP_1)
	v_or3_b32 v1, v1, v5, v3
	v_cvt_i32_f32_e32 v22, v1
.LBB94_3458:
	s_or_b32 exec_lo, exec_lo, s7
	s_mov_b32 s7, 0
	s_branch .LBB94_3464
.LBB94_3459:
	s_mov_b32 s7, -1
                                        ; implicit-def: $vgpr22
	s_branch .LBB94_3470
.LBB94_3460:
	s_and_not1_saveexec_b32 s8, s8
	s_cbranch_execz .LBB94_3445
.LBB94_3461:
	v_cmp_ne_u16_e32 vcc_lo, 0, v1
	s_and_not1_b32 s9, s9, exec_lo
	s_and_b32 s10, vcc_lo, exec_lo
	s_delay_alu instid0(SALU_CYCLE_1)
	s_or_b32 s9, s9, s10
	s_or_b32 exec_lo, exec_lo, s8
	v_mov_b32_e32 v22, 0
	s_and_saveexec_b32 s8, s9
	s_cbranch_execnz .LBB94_3446
	s_branch .LBB94_3447
.LBB94_3462:
	s_mov_b32 s7, -1
                                        ; implicit-def: $vgpr22
	s_branch .LBB94_3467
.LBB94_3463:
	s_mov_b32 s7, -1
                                        ; implicit-def: $vgpr22
.LBB94_3464:
	s_delay_alu instid0(SALU_CYCLE_1)
	s_and_b32 vcc_lo, exec_lo, s7
	s_cbranch_vccz .LBB94_3466
; %bb.3465:
	s_wait_loadcnt 0x0
	global_load_u8 v1, v[24:25], off
	s_wait_loadcnt 0x0
	v_lshlrev_b32_e32 v1, 24, v1
	s_delay_alu instid0(VALU_DEP_1) | instskip(NEXT) | instid1(VALU_DEP_1)
	v_and_b32_e32 v3, 0x7f000000, v1
	v_clz_i32_u32_e32 v5, v3
	v_add_nc_u32_e32 v9, 0x1000000, v3
	v_cmp_ne_u32_e32 vcc_lo, 0, v3
	s_delay_alu instid0(VALU_DEP_3) | instskip(NEXT) | instid1(VALU_DEP_1)
	v_min_u32_e32 v5, 32, v5
	v_sub_nc_u32_e64 v5, v5, 4 clamp
	s_delay_alu instid0(VALU_DEP_1) | instskip(NEXT) | instid1(VALU_DEP_1)
	v_dual_lshlrev_b32 v7, v5, v3 :: v_dual_lshlrev_b32 v5, 23, v5
	v_lshrrev_b32_e32 v7, 4, v7
	s_delay_alu instid0(VALU_DEP_1) | instskip(SKIP_1) | instid1(VALU_DEP_2)
	v_sub_nc_u32_e32 v5, v7, v5
	v_ashrrev_i32_e32 v7, 8, v9
	v_add_nc_u32_e32 v5, 0x3c000000, v5
	s_delay_alu instid0(VALU_DEP_1) | instskip(NEXT) | instid1(VALU_DEP_1)
	v_and_or_b32 v5, 0x7f800000, v7, v5
	v_cndmask_b32_e32 v3, 0, v5, vcc_lo
	s_delay_alu instid0(VALU_DEP_1) | instskip(NEXT) | instid1(VALU_DEP_1)
	v_and_or_b32 v1, 0x80000000, v1, v3
	v_cvt_i32_f32_e32 v22, v1
.LBB94_3466:
	s_mov_b32 s7, 0
.LBB94_3467:
	s_delay_alu instid0(SALU_CYCLE_1)
	s_and_not1_b32 vcc_lo, exec_lo, s7
	s_cbranch_vccnz .LBB94_3469
; %bb.3468:
	s_wait_loadcnt 0x0
	global_load_u8 v1, v[24:25], off
	s_wait_loadcnt 0x0
	v_lshlrev_b32_e32 v3, 25, v1
	v_lshlrev_b16 v1, 8, v1
	s_delay_alu instid0(VALU_DEP_1) | instskip(SKIP_1) | instid1(VALU_DEP_2)
	v_and_or_b32 v7, 0x7f00, v1, 0.5
	v_bfe_i32 v1, v1, 0, 16
	v_add_f32_e32 v7, -0.5, v7
	v_lshrrev_b32_e32 v5, 4, v3
	v_cmp_gt_u32_e32 vcc_lo, 0x8000000, v3
	s_delay_alu instid0(VALU_DEP_2) | instskip(NEXT) | instid1(VALU_DEP_1)
	v_or_b32_e32 v5, 0x70000000, v5
	v_mul_f32_e32 v5, 0x7800000, v5
	s_delay_alu instid0(VALU_DEP_1) | instskip(NEXT) | instid1(VALU_DEP_1)
	v_cndmask_b32_e32 v3, v5, v7, vcc_lo
	v_and_or_b32 v1, 0x80000000, v1, v3
	s_delay_alu instid0(VALU_DEP_1)
	v_cvt_i32_f32_e32 v22, v1
.LBB94_3469:
	s_mov_b32 s7, 0
	s_mov_b32 s8, -1
.LBB94_3470:
	s_and_not1_b32 vcc_lo, exec_lo, s7
	s_mov_b32 s7, 0
	s_cbranch_vccnz .LBB94_3481
; %bb.3471:
	s_cmp_gt_i32 s0, 14
	s_cbranch_scc0 .LBB94_3474
; %bb.3472:
	s_cmp_eq_u32 s0, 15
	s_cbranch_scc0 .LBB94_3477
; %bb.3473:
	s_wait_loadcnt 0x0
	global_load_u16 v1, v[24:25], off
	s_mov_b32 s6, 0
	s_mov_b32 s8, -1
	s_wait_loadcnt 0x0
	v_lshlrev_b32_e32 v1, 16, v1
	s_delay_alu instid0(VALU_DEP_1)
	v_cvt_i32_f32_e32 v22, v1
	s_branch .LBB94_3479
.LBB94_3474:
	s_mov_b32 s7, -1
	s_branch .LBB94_3478
.LBB94_3475:
	s_and_not1_saveexec_b32 s7, s7
	s_cbranch_execz .LBB94_3456
.LBB94_3476:
	v_cmp_ne_u16_e32 vcc_lo, 0, v1
	s_and_not1_b32 s8, s8, exec_lo
	s_and_b32 s9, vcc_lo, exec_lo
	s_delay_alu instid0(SALU_CYCLE_1)
	s_or_b32 s8, s8, s9
	s_or_b32 exec_lo, exec_lo, s7
	v_mov_b32_e32 v22, 0
	s_and_saveexec_b32 s7, s8
	s_cbranch_execnz .LBB94_3457
	s_branch .LBB94_3458
.LBB94_3477:
	s_mov_b32 s6, -1
.LBB94_3478:
                                        ; implicit-def: $vgpr22
.LBB94_3479:
	s_and_b32 vcc_lo, exec_lo, s7
	s_mov_b32 s7, 0
	s_cbranch_vccz .LBB94_3481
; %bb.3480:
	s_cmp_lg_u32 s0, 11
	s_mov_b32 s7, -1
	s_cselect_b32 s6, -1, 0
.LBB94_3481:
	s_delay_alu instid0(SALU_CYCLE_1)
	s_and_b32 vcc_lo, exec_lo, s6
	s_cbranch_vccnz .LBB94_4014
; %bb.3482:
	s_and_not1_b32 vcc_lo, exec_lo, s7
	s_cbranch_vccnz .LBB94_3484
.LBB94_3483:
	s_wait_loadcnt 0x0
	global_load_u8 v1, v[24:25], off
	s_mov_b32 s8, -1
	s_wait_loadcnt 0x0
	v_cmp_ne_u16_e32 vcc_lo, 0, v1
	v_cndmask_b32_e64 v22, 0, 1, vcc_lo
.LBB94_3484:
	s_mov_b32 s6, 0
.LBB94_3485:
	s_delay_alu instid0(SALU_CYCLE_1)
	s_and_b32 vcc_lo, exec_lo, s6
	s_cbranch_vccz .LBB94_3534
; %bb.3486:
	s_cmp_lt_i32 s0, 5
	s_cbranch_scc1 .LBB94_3491
; %bb.3487:
	s_cmp_lt_i32 s0, 8
	s_cbranch_scc1 .LBB94_3492
; %bb.3488:
	s_cmp_lt_i32 s0, 9
	s_cbranch_scc1 .LBB94_3493
; %bb.3489:
	s_cmp_gt_i32 s0, 9
	s_cbranch_scc0 .LBB94_3494
; %bb.3490:
	s_wait_loadcnt 0x0
	global_load_b64 v[22:23], v[24:25], off
	s_mov_b32 s6, 0
	s_wait_loadcnt 0x0
	v_cvt_i32_f64_e32 v22, v[22:23]
	s_branch .LBB94_3495
.LBB94_3491:
	s_mov_b32 s6, -1
                                        ; implicit-def: $vgpr22
	s_branch .LBB94_3513
.LBB94_3492:
	s_mov_b32 s6, -1
                                        ; implicit-def: $vgpr22
	s_branch .LBB94_3501
.LBB94_3493:
	s_mov_b32 s6, -1
                                        ; implicit-def: $vgpr22
	s_branch .LBB94_3498
.LBB94_3494:
	s_mov_b32 s6, -1
                                        ; implicit-def: $vgpr22
.LBB94_3495:
	s_delay_alu instid0(SALU_CYCLE_1)
	s_and_not1_b32 vcc_lo, exec_lo, s6
	s_cbranch_vccnz .LBB94_3497
; %bb.3496:
	s_wait_loadcnt 0x0
	global_load_b32 v1, v[24:25], off
	s_wait_loadcnt 0x0
	v_cvt_i32_f32_e32 v22, v1
.LBB94_3497:
	s_mov_b32 s6, 0
.LBB94_3498:
	s_delay_alu instid0(SALU_CYCLE_1)
	s_and_not1_b32 vcc_lo, exec_lo, s6
	s_cbranch_vccnz .LBB94_3500
; %bb.3499:
	s_wait_loadcnt 0x0
	global_load_b32 v1, v[24:25], off
	s_wait_loadcnt 0x0
	v_cvt_i16_f16_e32 v22, v1
.LBB94_3500:
	s_mov_b32 s6, 0
.LBB94_3501:
	s_delay_alu instid0(SALU_CYCLE_1)
	s_and_not1_b32 vcc_lo, exec_lo, s6
	s_cbranch_vccnz .LBB94_3512
; %bb.3502:
	s_cmp_lt_i32 s0, 6
	s_cbranch_scc1 .LBB94_3505
; %bb.3503:
	s_cmp_gt_i32 s0, 6
	s_cbranch_scc0 .LBB94_3506
; %bb.3504:
	s_wait_loadcnt 0x0
	global_load_b64 v[22:23], v[24:25], off
	s_mov_b32 s6, 0
	s_wait_loadcnt 0x0
	v_cvt_i32_f64_e32 v22, v[22:23]
	s_branch .LBB94_3507
.LBB94_3505:
	s_mov_b32 s6, -1
                                        ; implicit-def: $vgpr22
	s_branch .LBB94_3510
.LBB94_3506:
	s_mov_b32 s6, -1
                                        ; implicit-def: $vgpr22
.LBB94_3507:
	s_delay_alu instid0(SALU_CYCLE_1)
	s_and_not1_b32 vcc_lo, exec_lo, s6
	s_cbranch_vccnz .LBB94_3509
; %bb.3508:
	s_wait_loadcnt 0x0
	global_load_b32 v1, v[24:25], off
	s_wait_loadcnt 0x0
	v_cvt_i32_f32_e32 v22, v1
.LBB94_3509:
	s_mov_b32 s6, 0
.LBB94_3510:
	s_delay_alu instid0(SALU_CYCLE_1)
	s_and_not1_b32 vcc_lo, exec_lo, s6
	s_cbranch_vccnz .LBB94_3512
; %bb.3511:
	s_wait_loadcnt 0x0
	global_load_u16 v1, v[24:25], off
	s_wait_loadcnt 0x0
	v_cvt_i16_f16_e32 v22, v1
.LBB94_3512:
	s_mov_b32 s6, 0
.LBB94_3513:
	s_delay_alu instid0(SALU_CYCLE_1)
	s_and_not1_b32 vcc_lo, exec_lo, s6
	s_cbranch_vccnz .LBB94_3533
; %bb.3514:
	s_cmp_lt_i32 s0, 2
	s_cbranch_scc1 .LBB94_3518
; %bb.3515:
	s_cmp_lt_i32 s0, 3
	s_cbranch_scc1 .LBB94_3519
; %bb.3516:
	s_cmp_gt_i32 s0, 3
	s_cbranch_scc0 .LBB94_3520
; %bb.3517:
	s_wait_loadcnt 0x0
	global_load_b64 v[22:23], v[24:25], off
	s_mov_b32 s6, 0
	s_branch .LBB94_3521
.LBB94_3518:
	s_mov_b32 s6, -1
                                        ; implicit-def: $vgpr22
	s_branch .LBB94_3527
.LBB94_3519:
	s_mov_b32 s6, -1
                                        ; implicit-def: $vgpr22
	s_branch .LBB94_3524
.LBB94_3520:
	s_mov_b32 s6, -1
                                        ; implicit-def: $vgpr22
.LBB94_3521:
	s_delay_alu instid0(SALU_CYCLE_1)
	s_and_not1_b32 vcc_lo, exec_lo, s6
	s_cbranch_vccnz .LBB94_3523
; %bb.3522:
	s_wait_loadcnt 0x0
	global_load_b32 v22, v[24:25], off
.LBB94_3523:
	s_mov_b32 s6, 0
.LBB94_3524:
	s_delay_alu instid0(SALU_CYCLE_1)
	s_and_not1_b32 vcc_lo, exec_lo, s6
	s_cbranch_vccnz .LBB94_3526
; %bb.3525:
	s_wait_loadcnt 0x0
	global_load_u16 v22, v[24:25], off
.LBB94_3526:
	s_mov_b32 s6, 0
.LBB94_3527:
	s_delay_alu instid0(SALU_CYCLE_1)
	s_and_not1_b32 vcc_lo, exec_lo, s6
	s_cbranch_vccnz .LBB94_3533
; %bb.3528:
	s_cmp_gt_i32 s0, 0
	s_mov_b32 s0, 0
	s_cbranch_scc0 .LBB94_3530
; %bb.3529:
	s_wait_loadcnt 0x0
	global_load_i8 v22, v[24:25], off
	s_branch .LBB94_3531
.LBB94_3530:
	s_mov_b32 s0, -1
                                        ; implicit-def: $vgpr22
.LBB94_3531:
	s_delay_alu instid0(SALU_CYCLE_1)
	s_and_not1_b32 vcc_lo, exec_lo, s0
	s_cbranch_vccnz .LBB94_3533
; %bb.3532:
	s_wait_loadcnt 0x0
	global_load_u8 v22, v[24:25], off
.LBB94_3533:
	s_mov_b32 s8, -1
.LBB94_3534:
	s_delay_alu instid0(SALU_CYCLE_1)
	s_and_not1_b32 vcc_lo, exec_lo, s8
	s_cbranch_vccnz .LBB94_3968
; %bb.3535:
	s_wait_xcnt 0x0
	v_mul_lo_u32 v24, s12, v26
	s_wait_loadcnt 0x0
	v_mul_lo_u16 v3, v0, s2
	v_mul_lo_u16 v2, v2, s1
	s_and_b32 s22, s3, 0xff
	s_delay_alu instid0(SALU_CYCLE_1) | instskip(NEXT) | instid1(VALU_DEP_1)
	s_cmp_lt_i32 s22, 11
	v_mad_u16 v5, v2, v6, v3
	s_delay_alu instid0(VALU_DEP_4) | instskip(NEXT) | instid1(VALU_DEP_1)
	v_ashrrev_i32_e32 v25, 31, v24
	v_add_nc_u64_e32 v[0:1], s[4:5], v[24:25]
	s_cbranch_scc1 .LBB94_3613
; %bb.3536:
	s_and_b32 s3, 0xffff, s22
	s_mov_b32 s8, -1
	s_mov_b32 s6, 0
	s_cmp_gt_i32 s3, 25
	s_mov_b32 s7, 0
	s_mov_b32 s0, 0
	s_cbranch_scc0 .LBB94_3569
; %bb.3537:
	s_cmp_gt_i32 s3, 28
	s_cbranch_scc0 .LBB94_3552
; %bb.3538:
	s_cmp_gt_i32 s3, 43
	;; [unrolled: 3-line block ×3, first 2 shown]
	s_cbranch_scc0 .LBB94_3542
; %bb.3540:
	s_mov_b32 s0, -1
	s_mov_b32 s8, 0
	s_cmp_eq_u32 s3, 46
	s_cbranch_scc0 .LBB94_3542
; %bb.3541:
	v_bfe_i32 v2, v5, 0, 16
	s_mov_b32 s0, 0
	s_mov_b32 s7, -1
	s_delay_alu instid0(VALU_DEP_1) | instskip(NEXT) | instid1(VALU_DEP_1)
	v_cvt_f32_i32_e32 v2, v2
	v_bfe_u32 v3, v2, 16, 1
	s_delay_alu instid0(VALU_DEP_1) | instskip(NEXT) | instid1(VALU_DEP_1)
	v_add3_u32 v2, v2, v3, 0x7fff
	v_lshrrev_b32_e32 v2, 16, v2
	global_store_b32 v[0:1], v2, off
.LBB94_3542:
	s_and_b32 vcc_lo, exec_lo, s8
	s_cbranch_vccz .LBB94_3547
; %bb.3543:
	s_cmp_eq_u32 s3, 44
	s_mov_b32 s0, -1
	s_cbranch_scc0 .LBB94_3547
; %bb.3544:
	s_wait_xcnt 0x0
	v_bfe_i32 v2, v5, 0, 16
	v_mov_b32_e32 v3, 0xff
	s_mov_b32 s7, exec_lo
	s_delay_alu instid0(VALU_DEP_2) | instskip(NEXT) | instid1(VALU_DEP_1)
	v_cvt_f32_i32_e32 v2, v2
	v_bfe_u32 v6, v2, 23, 8
	s_delay_alu instid0(VALU_DEP_1)
	v_cmpx_ne_u32_e32 0xff, v6
	s_cbranch_execz .LBB94_3546
; %bb.3545:
	v_and_b32_e32 v3, 0x400000, v2
	v_and_or_b32 v6, 0x3fffff, v2, v6
	v_lshrrev_b32_e32 v2, 23, v2
	s_delay_alu instid0(VALU_DEP_3) | instskip(NEXT) | instid1(VALU_DEP_3)
	v_cmp_ne_u32_e32 vcc_lo, 0, v3
	v_cmp_ne_u32_e64 s0, 0, v6
	s_and_b32 s0, vcc_lo, s0
	s_delay_alu instid0(SALU_CYCLE_1) | instskip(NEXT) | instid1(VALU_DEP_1)
	v_cndmask_b32_e64 v3, 0, 1, s0
	v_add_nc_u32_e32 v3, v2, v3
.LBB94_3546:
	s_or_b32 exec_lo, exec_lo, s7
	s_mov_b32 s0, 0
	s_mov_b32 s7, -1
	global_store_b8 v[0:1], v3, off
.LBB94_3547:
	s_mov_b32 s8, 0
.LBB94_3548:
	s_delay_alu instid0(SALU_CYCLE_1)
	s_and_b32 vcc_lo, exec_lo, s8
	s_cbranch_vccz .LBB94_3551
; %bb.3549:
	s_cmp_eq_u32 s3, 29
	s_mov_b32 s0, -1
	s_cbranch_scc0 .LBB94_3551
; %bb.3550:
	s_wait_xcnt 0x0
	v_bfe_i32 v2, v5, 0, 16
	s_mov_b32 s0, 0
	s_mov_b32 s7, -1
	s_delay_alu instid0(VALU_DEP_1)
	v_ashrrev_i32_e32 v3, 31, v2
	global_store_b64 v[0:1], v[2:3], off
.LBB94_3551:
	s_mov_b32 s8, 0
.LBB94_3552:
	s_delay_alu instid0(SALU_CYCLE_1)
	s_and_b32 vcc_lo, exec_lo, s8
	s_cbranch_vccz .LBB94_3568
; %bb.3553:
	s_cmp_lt_i32 s3, 27
	s_mov_b32 s7, -1
	s_cbranch_scc1 .LBB94_3559
; %bb.3554:
	s_cmp_gt_i32 s3, 27
	s_cbranch_scc0 .LBB94_3556
; %bb.3555:
	s_wait_xcnt 0x0
	v_bfe_i32 v2, v5, 0, 16
	s_mov_b32 s7, 0
	global_store_b32 v[0:1], v2, off
.LBB94_3556:
	s_and_not1_b32 vcc_lo, exec_lo, s7
	s_cbranch_vccnz .LBB94_3558
; %bb.3557:
	global_store_b16 v[0:1], v5, off
.LBB94_3558:
	s_mov_b32 s7, 0
.LBB94_3559:
	s_delay_alu instid0(SALU_CYCLE_1)
	s_and_not1_b32 vcc_lo, exec_lo, s7
	s_cbranch_vccnz .LBB94_3567
; %bb.3560:
	s_wait_xcnt 0x0
	v_bfe_i32 v2, v5, 0, 16
	v_mov_b32_e32 v6, 0x80
	s_mov_b32 s7, exec_lo
	s_delay_alu instid0(VALU_DEP_2) | instskip(NEXT) | instid1(VALU_DEP_1)
	v_cvt_f32_i32_e32 v2, v2
	v_and_b32_e32 v3, 0x7fffffff, v2
	s_delay_alu instid0(VALU_DEP_1)
	v_cmpx_gt_u32_e32 0x43800000, v3
	s_cbranch_execz .LBB94_3566
; %bb.3561:
	v_cmp_lt_u32_e32 vcc_lo, 0x3bffffff, v3
	s_mov_b32 s8, 0
                                        ; implicit-def: $vgpr3
	s_and_saveexec_b32 s9, vcc_lo
	s_delay_alu instid0(SALU_CYCLE_1)
	s_xor_b32 s9, exec_lo, s9
	s_cbranch_execz .LBB94_4015
; %bb.3562:
	v_bfe_u32 v3, v2, 20, 1
	s_mov_b32 s8, exec_lo
	s_delay_alu instid0(VALU_DEP_1) | instskip(NEXT) | instid1(VALU_DEP_1)
	v_add3_u32 v3, v2, v3, 0x487ffff
	v_lshrrev_b32_e32 v3, 20, v3
	s_and_not1_saveexec_b32 s9, s9
	s_cbranch_execnz .LBB94_4016
.LBB94_3563:
	s_or_b32 exec_lo, exec_lo, s9
	v_mov_b32_e32 v6, 0
	s_and_saveexec_b32 s9, s8
.LBB94_3564:
	v_lshrrev_b32_e32 v2, 24, v2
	s_delay_alu instid0(VALU_DEP_1)
	v_and_or_b32 v6, 0x80, v2, v3
.LBB94_3565:
	s_or_b32 exec_lo, exec_lo, s9
.LBB94_3566:
	s_delay_alu instid0(SALU_CYCLE_1)
	s_or_b32 exec_lo, exec_lo, s7
	global_store_b8 v[0:1], v6, off
.LBB94_3567:
	s_mov_b32 s7, -1
.LBB94_3568:
	s_mov_b32 s8, 0
.LBB94_3569:
	s_delay_alu instid0(SALU_CYCLE_1)
	s_and_b32 vcc_lo, exec_lo, s8
	s_cbranch_vccz .LBB94_3609
; %bb.3570:
	s_cmp_gt_i32 s3, 22
	s_mov_b32 s6, -1
	s_cbranch_scc0 .LBB94_3602
; %bb.3571:
	s_cmp_lt_i32 s3, 24
	s_cbranch_scc1 .LBB94_3591
; %bb.3572:
	s_cmp_gt_i32 s3, 24
	s_cbranch_scc0 .LBB94_3580
; %bb.3573:
	s_wait_xcnt 0x0
	v_bfe_i32 v2, v5, 0, 16
	v_mov_b32_e32 v6, 0x80
	s_mov_b32 s6, exec_lo
	s_delay_alu instid0(VALU_DEP_2) | instskip(NEXT) | instid1(VALU_DEP_1)
	v_cvt_f32_i32_e32 v2, v2
	v_and_b32_e32 v3, 0x7fffffff, v2
	s_delay_alu instid0(VALU_DEP_1)
	v_cmpx_gt_u32_e32 0x47800000, v3
	s_cbranch_execz .LBB94_3579
; %bb.3574:
	v_cmp_lt_u32_e32 vcc_lo, 0x37ffffff, v3
	s_mov_b32 s7, 0
                                        ; implicit-def: $vgpr3
	s_and_saveexec_b32 s8, vcc_lo
	s_delay_alu instid0(SALU_CYCLE_1)
	s_xor_b32 s8, exec_lo, s8
	s_cbranch_execz .LBB94_4018
; %bb.3575:
	v_bfe_u32 v3, v2, 21, 1
	s_mov_b32 s7, exec_lo
	s_delay_alu instid0(VALU_DEP_1) | instskip(NEXT) | instid1(VALU_DEP_1)
	v_add3_u32 v3, v2, v3, 0x88fffff
	v_lshrrev_b32_e32 v3, 21, v3
	s_and_not1_saveexec_b32 s8, s8
	s_cbranch_execnz .LBB94_4019
.LBB94_3576:
	s_or_b32 exec_lo, exec_lo, s8
	v_mov_b32_e32 v6, 0
	s_and_saveexec_b32 s8, s7
.LBB94_3577:
	v_lshrrev_b32_e32 v2, 24, v2
	s_delay_alu instid0(VALU_DEP_1)
	v_and_or_b32 v6, 0x80, v2, v3
.LBB94_3578:
	s_or_b32 exec_lo, exec_lo, s8
.LBB94_3579:
	s_delay_alu instid0(SALU_CYCLE_1)
	s_or_b32 exec_lo, exec_lo, s6
	s_mov_b32 s6, 0
	global_store_b8 v[0:1], v6, off
.LBB94_3580:
	s_and_b32 vcc_lo, exec_lo, s6
	s_cbranch_vccz .LBB94_3590
; %bb.3581:
	s_wait_xcnt 0x0
	v_bfe_i32 v2, v5, 0, 16
	s_mov_b32 s6, exec_lo
                                        ; implicit-def: $vgpr3
	s_delay_alu instid0(VALU_DEP_1) | instskip(NEXT) | instid1(VALU_DEP_1)
	v_cvt_f32_i32_e32 v2, v2
	v_and_b32_e32 v6, 0x7fffffff, v2
	s_delay_alu instid0(VALU_DEP_1)
	v_cmpx_gt_u32_e32 0x43f00000, v6
	s_xor_b32 s6, exec_lo, s6
	s_cbranch_execz .LBB94_3587
; %bb.3582:
	s_mov_b32 s7, exec_lo
                                        ; implicit-def: $vgpr3
	v_cmpx_lt_u32_e32 0x3c7fffff, v6
	s_xor_b32 s7, exec_lo, s7
; %bb.3583:
	v_bfe_u32 v3, v2, 20, 1
	s_delay_alu instid0(VALU_DEP_1) | instskip(NEXT) | instid1(VALU_DEP_1)
	v_add3_u32 v3, v2, v3, 0x407ffff
	v_and_b32_e32 v6, 0xff00000, v3
	v_lshrrev_b32_e32 v3, 20, v3
	s_delay_alu instid0(VALU_DEP_2) | instskip(NEXT) | instid1(VALU_DEP_2)
	v_cmp_ne_u32_e32 vcc_lo, 0x7f00000, v6
	v_cndmask_b32_e32 v3, 0x7e, v3, vcc_lo
; %bb.3584:
	s_and_not1_saveexec_b32 s7, s7
; %bb.3585:
	v_add_f32_e64 v3, 0x46800000, |v2|
; %bb.3586:
	s_or_b32 exec_lo, exec_lo, s7
                                        ; implicit-def: $vgpr6
.LBB94_3587:
	s_and_not1_saveexec_b32 s6, s6
; %bb.3588:
	v_mov_b32_e32 v3, 0x7f
	v_cmp_lt_u32_e32 vcc_lo, 0x7f800000, v6
	s_delay_alu instid0(VALU_DEP_2)
	v_cndmask_b32_e32 v3, 0x7e, v3, vcc_lo
; %bb.3589:
	s_or_b32 exec_lo, exec_lo, s6
	v_lshrrev_b32_e32 v2, 24, v2
	s_delay_alu instid0(VALU_DEP_1)
	v_and_or_b32 v2, 0x80, v2, v3
	global_store_b8 v[0:1], v2, off
.LBB94_3590:
	s_mov_b32 s6, 0
.LBB94_3591:
	s_delay_alu instid0(SALU_CYCLE_1)
	s_and_not1_b32 vcc_lo, exec_lo, s6
	s_cbranch_vccnz .LBB94_3601
; %bb.3592:
	s_wait_xcnt 0x0
	v_bfe_i32 v2, v5, 0, 16
	s_mov_b32 s6, exec_lo
                                        ; implicit-def: $vgpr3
	s_delay_alu instid0(VALU_DEP_1) | instskip(NEXT) | instid1(VALU_DEP_1)
	v_cvt_f32_i32_e32 v2, v2
	v_and_b32_e32 v6, 0x7fffffff, v2
	s_delay_alu instid0(VALU_DEP_1)
	v_cmpx_gt_u32_e32 0x47800000, v6
	s_xor_b32 s6, exec_lo, s6
	s_cbranch_execz .LBB94_3598
; %bb.3593:
	s_mov_b32 s7, exec_lo
                                        ; implicit-def: $vgpr3
	v_cmpx_lt_u32_e32 0x387fffff, v6
	s_xor_b32 s7, exec_lo, s7
; %bb.3594:
	v_bfe_u32 v3, v2, 21, 1
	s_delay_alu instid0(VALU_DEP_1) | instskip(NEXT) | instid1(VALU_DEP_1)
	v_add3_u32 v3, v2, v3, 0x80fffff
	v_lshrrev_b32_e32 v3, 21, v3
; %bb.3595:
	s_and_not1_saveexec_b32 s7, s7
; %bb.3596:
	v_add_f32_e64 v3, 0x43000000, |v2|
; %bb.3597:
	s_or_b32 exec_lo, exec_lo, s7
                                        ; implicit-def: $vgpr6
.LBB94_3598:
	s_and_not1_saveexec_b32 s6, s6
; %bb.3599:
	v_mov_b32_e32 v3, 0x7f
	v_cmp_lt_u32_e32 vcc_lo, 0x7f800000, v6
	s_delay_alu instid0(VALU_DEP_2)
	v_cndmask_b32_e32 v3, 0x7c, v3, vcc_lo
; %bb.3600:
	s_or_b32 exec_lo, exec_lo, s6
	v_lshrrev_b32_e32 v2, 24, v2
	s_delay_alu instid0(VALU_DEP_1)
	v_and_or_b32 v2, 0x80, v2, v3
	global_store_b8 v[0:1], v2, off
.LBB94_3601:
	s_mov_b32 s6, 0
	s_mov_b32 s7, -1
.LBB94_3602:
	s_and_not1_b32 vcc_lo, exec_lo, s6
	s_mov_b32 s6, 0
	s_cbranch_vccnz .LBB94_3609
; %bb.3603:
	s_cmp_gt_i32 s3, 14
	s_mov_b32 s6, -1
	s_cbranch_scc0 .LBB94_3607
; %bb.3604:
	s_cmp_eq_u32 s3, 15
	s_mov_b32 s0, -1
	s_cbranch_scc0 .LBB94_3606
; %bb.3605:
	s_wait_xcnt 0x0
	v_bfe_i32 v2, v5, 0, 16
	s_mov_b32 s0, 0
	s_mov_b32 s7, -1
	s_delay_alu instid0(VALU_DEP_1) | instskip(NEXT) | instid1(VALU_DEP_1)
	v_cvt_f32_i32_e32 v2, v2
	v_bfe_u32 v3, v2, 16, 1
	s_delay_alu instid0(VALU_DEP_1)
	v_add3_u32 v2, v2, v3, 0x7fff
	global_store_d16_hi_b16 v[0:1], v2, off
.LBB94_3606:
	s_mov_b32 s6, 0
.LBB94_3607:
	s_delay_alu instid0(SALU_CYCLE_1)
	s_and_b32 vcc_lo, exec_lo, s6
	s_mov_b32 s6, 0
	s_cbranch_vccz .LBB94_3609
; %bb.3608:
	s_cmp_lg_u32 s3, 11
	s_mov_b32 s6, -1
	s_cselect_b32 s0, -1, 0
.LBB94_3609:
	s_delay_alu instid0(SALU_CYCLE_1)
	s_and_b32 vcc_lo, exec_lo, s0
	s_cbranch_vccnz .LBB94_4017
; %bb.3610:
	s_and_not1_b32 vcc_lo, exec_lo, s6
	s_cbranch_vccnz .LBB94_3612
.LBB94_3611:
	v_cmp_ne_u16_e32 vcc_lo, 0, v5
	s_mov_b32 s7, -1
	s_wait_xcnt 0x0
	v_cndmask_b32_e64 v2, 0, 1, vcc_lo
	global_store_b8 v[0:1], v2, off
.LBB94_3612:
	s_mov_b32 s0, 0
	s_branch .LBB94_3614
.LBB94_3613:
	s_mov_b32 s0, -1
	s_mov_b32 s7, 0
.LBB94_3614:
	s_and_b32 vcc_lo, exec_lo, s0
	s_cbranch_vccz .LBB94_3653
; %bb.3615:
	s_and_b32 s0, 0xffff, s22
	s_mov_b32 s3, -1
	s_cmp_lt_i32 s0, 5
	s_cbranch_scc1 .LBB94_3636
; %bb.3616:
	s_cmp_lt_i32 s0, 8
	s_cbranch_scc1 .LBB94_3626
; %bb.3617:
	;; [unrolled: 3-line block ×3, first 2 shown]
	s_cmp_gt_i32 s0, 9
	s_cbranch_scc0 .LBB94_3620
; %bb.3619:
	s_wait_xcnt 0x0
	v_bfe_i32 v2, v5, 0, 16
	v_mov_b32_e32 v28, 0
	s_mov_b32 s3, 0
	s_delay_alu instid0(VALU_DEP_2) | instskip(NEXT) | instid1(VALU_DEP_2)
	v_cvt_f64_i32_e32 v[26:27], v2
	v_mov_b32_e32 v29, v28
	global_store_b128 v[0:1], v[26:29], off
.LBB94_3620:
	s_and_not1_b32 vcc_lo, exec_lo, s3
	s_cbranch_vccnz .LBB94_3622
; %bb.3621:
	s_wait_xcnt 0x0
	v_bfe_i32 v2, v5, 0, 16
	v_mov_b32_e32 v3, 0
	s_delay_alu instid0(VALU_DEP_2)
	v_cvt_f32_i32_e32 v2, v2
	global_store_b64 v[0:1], v[2:3], off
.LBB94_3622:
	s_mov_b32 s3, 0
.LBB94_3623:
	s_delay_alu instid0(SALU_CYCLE_1)
	s_and_not1_b32 vcc_lo, exec_lo, s3
	s_cbranch_vccnz .LBB94_3625
; %bb.3624:
	s_wait_xcnt 0x0
	v_cvt_f16_i16_e32 v2, v5
	s_delay_alu instid0(VALU_DEP_1)
	v_and_b32_e32 v2, 0xffff, v2
	global_store_b32 v[0:1], v2, off
.LBB94_3625:
	s_mov_b32 s3, 0
.LBB94_3626:
	s_delay_alu instid0(SALU_CYCLE_1)
	s_and_not1_b32 vcc_lo, exec_lo, s3
	s_cbranch_vccnz .LBB94_3635
; %bb.3627:
	s_cmp_lt_i32 s0, 6
	s_mov_b32 s3, -1
	s_cbranch_scc1 .LBB94_3633
; %bb.3628:
	s_cmp_gt_i32 s0, 6
	s_cbranch_scc0 .LBB94_3630
; %bb.3629:
	s_wait_xcnt 0x0
	v_bfe_i32 v2, v5, 0, 16
	s_mov_b32 s3, 0
	s_delay_alu instid0(VALU_DEP_1)
	v_cvt_f64_i32_e32 v[2:3], v2
	global_store_b64 v[0:1], v[2:3], off
.LBB94_3630:
	s_and_not1_b32 vcc_lo, exec_lo, s3
	s_cbranch_vccnz .LBB94_3632
; %bb.3631:
	s_wait_xcnt 0x0
	v_bfe_i32 v2, v5, 0, 16
	s_delay_alu instid0(VALU_DEP_1)
	v_cvt_f32_i32_e32 v2, v2
	global_store_b32 v[0:1], v2, off
.LBB94_3632:
	s_mov_b32 s3, 0
.LBB94_3633:
	s_delay_alu instid0(SALU_CYCLE_1)
	s_and_not1_b32 vcc_lo, exec_lo, s3
	s_cbranch_vccnz .LBB94_3635
; %bb.3634:
	s_wait_xcnt 0x0
	v_cvt_f16_i16_e32 v2, v5
	global_store_b16 v[0:1], v2, off
.LBB94_3635:
	s_mov_b32 s3, 0
.LBB94_3636:
	s_delay_alu instid0(SALU_CYCLE_1)
	s_and_not1_b32 vcc_lo, exec_lo, s3
	s_cbranch_vccnz .LBB94_3652
; %bb.3637:
	s_cmp_lt_i32 s0, 2
	s_mov_b32 s3, -1
	s_cbranch_scc1 .LBB94_3647
; %bb.3638:
	s_cmp_lt_i32 s0, 3
	s_cbranch_scc1 .LBB94_3644
; %bb.3639:
	s_wait_xcnt 0x0
	v_bfe_i32 v2, v5, 0, 16
	s_cmp_gt_i32 s0, 3
	s_cbranch_scc0 .LBB94_3641
; %bb.3640:
	s_delay_alu instid0(VALU_DEP_1)
	v_ashrrev_i32_e32 v3, 31, v2
	s_mov_b32 s3, 0
	global_store_b64 v[0:1], v[2:3], off
.LBB94_3641:
	s_and_not1_b32 vcc_lo, exec_lo, s3
	s_cbranch_vccnz .LBB94_3643
; %bb.3642:
	global_store_b32 v[0:1], v2, off
.LBB94_3643:
	s_mov_b32 s3, 0
.LBB94_3644:
	s_delay_alu instid0(SALU_CYCLE_1)
	s_and_not1_b32 vcc_lo, exec_lo, s3
	s_cbranch_vccnz .LBB94_3646
; %bb.3645:
	global_store_b16 v[0:1], v5, off
.LBB94_3646:
	s_mov_b32 s3, 0
.LBB94_3647:
	s_delay_alu instid0(SALU_CYCLE_1)
	s_and_not1_b32 vcc_lo, exec_lo, s3
	s_cbranch_vccnz .LBB94_3652
; %bb.3648:
	s_cmp_gt_i32 s0, 0
	s_mov_b32 s0, -1
	s_cbranch_scc0 .LBB94_3650
; %bb.3649:
	s_mov_b32 s0, 0
	global_store_b8 v[0:1], v5, off
.LBB94_3650:
	s_and_not1_b32 vcc_lo, exec_lo, s0
	s_cbranch_vccnz .LBB94_3652
; %bb.3651:
	global_store_b8 v[0:1], v5, off
.LBB94_3652:
	s_mov_b32 s7, -1
.LBB94_3653:
	s_delay_alu instid0(SALU_CYCLE_1)
	s_and_not1_b32 vcc_lo, exec_lo, s7
	s_cbranch_vccnz .LBB94_3968
; %bb.3654:
	s_lshl_b32 s3, s12, 7
	v_mul_lo_u16 v4, v4, s2
	s_wait_xcnt 0x0
	v_add_nc_u32_e32 v0, s3, v24
	v_mul_lo_u16 v5, v8, s1
	s_cmp_lt_i32 s22, 11
	s_delay_alu instid0(VALU_DEP_2) | instskip(NEXT) | instid1(VALU_DEP_1)
	v_ashrrev_i32_e32 v1, 31, v0
	v_add_nc_u64_e32 v[2:3], s[4:5], v[0:1]
	s_delay_alu instid0(VALU_DEP_3)
	v_mad_u16 v1, v5, v12, v4
	s_cbranch_scc1 .LBB94_3732
; %bb.3655:
	s_and_b32 s6, 0xffff, s22
	s_mov_b32 s9, -1
	s_mov_b32 s7, 0
	s_cmp_gt_i32 s6, 25
	s_mov_b32 s8, 0
	s_mov_b32 s0, 0
	s_cbranch_scc0 .LBB94_3688
; %bb.3656:
	s_cmp_gt_i32 s6, 28
	s_cbranch_scc0 .LBB94_3671
; %bb.3657:
	s_cmp_gt_i32 s6, 43
	s_cbranch_scc0 .LBB94_3667
; %bb.3658:
	s_cmp_gt_i32 s6, 45
	s_cbranch_scc0 .LBB94_3661
; %bb.3659:
	s_mov_b32 s0, -1
	s_mov_b32 s9, 0
	s_cmp_eq_u32 s6, 46
	s_cbranch_scc0 .LBB94_3661
; %bb.3660:
	v_bfe_i32 v4, v1, 0, 16
	s_mov_b32 s0, 0
	s_mov_b32 s8, -1
	s_delay_alu instid0(VALU_DEP_1) | instskip(NEXT) | instid1(VALU_DEP_1)
	v_cvt_f32_i32_e32 v4, v4
	v_bfe_u32 v5, v4, 16, 1
	s_delay_alu instid0(VALU_DEP_1) | instskip(NEXT) | instid1(VALU_DEP_1)
	v_add3_u32 v4, v4, v5, 0x7fff
	v_lshrrev_b32_e32 v4, 16, v4
	global_store_b32 v[2:3], v4, off
.LBB94_3661:
	s_and_b32 vcc_lo, exec_lo, s9
	s_cbranch_vccz .LBB94_3666
; %bb.3662:
	s_cmp_eq_u32 s6, 44
	s_mov_b32 s0, -1
	s_cbranch_scc0 .LBB94_3666
; %bb.3663:
	s_wait_xcnt 0x0
	v_bfe_i32 v4, v1, 0, 16
	v_mov_b32_e32 v5, 0xff
	s_mov_b32 s8, exec_lo
	s_delay_alu instid0(VALU_DEP_2) | instskip(NEXT) | instid1(VALU_DEP_1)
	v_cvt_f32_i32_e32 v4, v4
	v_bfe_u32 v6, v4, 23, 8
	s_delay_alu instid0(VALU_DEP_1)
	v_cmpx_ne_u32_e32 0xff, v6
	s_cbranch_execz .LBB94_3665
; %bb.3664:
	v_and_b32_e32 v5, 0x400000, v4
	v_and_or_b32 v6, 0x3fffff, v4, v6
	v_lshrrev_b32_e32 v4, 23, v4
	s_delay_alu instid0(VALU_DEP_3) | instskip(NEXT) | instid1(VALU_DEP_3)
	v_cmp_ne_u32_e32 vcc_lo, 0, v5
	v_cmp_ne_u32_e64 s0, 0, v6
	s_and_b32 s0, vcc_lo, s0
	s_delay_alu instid0(SALU_CYCLE_1) | instskip(NEXT) | instid1(VALU_DEP_1)
	v_cndmask_b32_e64 v5, 0, 1, s0
	v_add_nc_u32_e32 v5, v4, v5
.LBB94_3665:
	s_or_b32 exec_lo, exec_lo, s8
	s_mov_b32 s0, 0
	s_mov_b32 s8, -1
	global_store_b8 v[2:3], v5, off
.LBB94_3666:
	s_mov_b32 s9, 0
.LBB94_3667:
	s_delay_alu instid0(SALU_CYCLE_1)
	s_and_b32 vcc_lo, exec_lo, s9
	s_cbranch_vccz .LBB94_3670
; %bb.3668:
	s_cmp_eq_u32 s6, 29
	s_mov_b32 s0, -1
	s_cbranch_scc0 .LBB94_3670
; %bb.3669:
	s_wait_xcnt 0x0
	v_bfe_i32 v4, v1, 0, 16
	s_mov_b32 s0, 0
	s_mov_b32 s8, -1
	s_delay_alu instid0(VALU_DEP_1)
	v_ashrrev_i32_e32 v5, 31, v4
	global_store_b64 v[2:3], v[4:5], off
.LBB94_3670:
	s_mov_b32 s9, 0
.LBB94_3671:
	s_delay_alu instid0(SALU_CYCLE_1)
	s_and_b32 vcc_lo, exec_lo, s9
	s_cbranch_vccz .LBB94_3687
; %bb.3672:
	s_cmp_lt_i32 s6, 27
	s_mov_b32 s8, -1
	s_cbranch_scc1 .LBB94_3678
; %bb.3673:
	s_cmp_gt_i32 s6, 27
	s_cbranch_scc0 .LBB94_3675
; %bb.3674:
	s_wait_xcnt 0x0
	v_bfe_i32 v4, v1, 0, 16
	s_mov_b32 s8, 0
	global_store_b32 v[2:3], v4, off
.LBB94_3675:
	s_and_not1_b32 vcc_lo, exec_lo, s8
	s_cbranch_vccnz .LBB94_3677
; %bb.3676:
	global_store_b16 v[2:3], v1, off
.LBB94_3677:
	s_mov_b32 s8, 0
.LBB94_3678:
	s_delay_alu instid0(SALU_CYCLE_1)
	s_and_not1_b32 vcc_lo, exec_lo, s8
	s_cbranch_vccnz .LBB94_3686
; %bb.3679:
	s_wait_xcnt 0x0
	v_bfe_i32 v4, v1, 0, 16
	v_mov_b32_e32 v6, 0x80
	s_mov_b32 s8, exec_lo
	s_delay_alu instid0(VALU_DEP_2) | instskip(NEXT) | instid1(VALU_DEP_1)
	v_cvt_f32_i32_e32 v4, v4
	v_and_b32_e32 v5, 0x7fffffff, v4
	s_delay_alu instid0(VALU_DEP_1)
	v_cmpx_gt_u32_e32 0x43800000, v5
	s_cbranch_execz .LBB94_3685
; %bb.3680:
	v_cmp_lt_u32_e32 vcc_lo, 0x3bffffff, v5
	s_mov_b32 s9, 0
                                        ; implicit-def: $vgpr5
	s_and_saveexec_b32 s10, vcc_lo
	s_delay_alu instid0(SALU_CYCLE_1)
	s_xor_b32 s10, exec_lo, s10
	s_cbranch_execz .LBB94_4020
; %bb.3681:
	v_bfe_u32 v5, v4, 20, 1
	s_mov_b32 s9, exec_lo
	s_delay_alu instid0(VALU_DEP_1) | instskip(NEXT) | instid1(VALU_DEP_1)
	v_add3_u32 v5, v4, v5, 0x487ffff
	v_lshrrev_b32_e32 v5, 20, v5
	s_and_not1_saveexec_b32 s10, s10
	s_cbranch_execnz .LBB94_4021
.LBB94_3682:
	s_or_b32 exec_lo, exec_lo, s10
	v_mov_b32_e32 v6, 0
	s_and_saveexec_b32 s10, s9
.LBB94_3683:
	v_lshrrev_b32_e32 v4, 24, v4
	s_delay_alu instid0(VALU_DEP_1)
	v_and_or_b32 v6, 0x80, v4, v5
.LBB94_3684:
	s_or_b32 exec_lo, exec_lo, s10
.LBB94_3685:
	s_delay_alu instid0(SALU_CYCLE_1)
	s_or_b32 exec_lo, exec_lo, s8
	global_store_b8 v[2:3], v6, off
.LBB94_3686:
	s_mov_b32 s8, -1
.LBB94_3687:
	s_mov_b32 s9, 0
.LBB94_3688:
	s_delay_alu instid0(SALU_CYCLE_1)
	s_and_b32 vcc_lo, exec_lo, s9
	s_cbranch_vccz .LBB94_3728
; %bb.3689:
	s_cmp_gt_i32 s6, 22
	s_mov_b32 s7, -1
	s_cbranch_scc0 .LBB94_3721
; %bb.3690:
	s_cmp_lt_i32 s6, 24
	s_cbranch_scc1 .LBB94_3710
; %bb.3691:
	s_cmp_gt_i32 s6, 24
	s_cbranch_scc0 .LBB94_3699
; %bb.3692:
	s_wait_xcnt 0x0
	v_bfe_i32 v4, v1, 0, 16
	v_mov_b32_e32 v6, 0x80
	s_mov_b32 s7, exec_lo
	s_delay_alu instid0(VALU_DEP_2) | instskip(NEXT) | instid1(VALU_DEP_1)
	v_cvt_f32_i32_e32 v4, v4
	v_and_b32_e32 v5, 0x7fffffff, v4
	s_delay_alu instid0(VALU_DEP_1)
	v_cmpx_gt_u32_e32 0x47800000, v5
	s_cbranch_execz .LBB94_3698
; %bb.3693:
	v_cmp_lt_u32_e32 vcc_lo, 0x37ffffff, v5
	s_mov_b32 s8, 0
                                        ; implicit-def: $vgpr5
	s_and_saveexec_b32 s9, vcc_lo
	s_delay_alu instid0(SALU_CYCLE_1)
	s_xor_b32 s9, exec_lo, s9
	s_cbranch_execz .LBB94_4023
; %bb.3694:
	v_bfe_u32 v5, v4, 21, 1
	s_mov_b32 s8, exec_lo
	s_delay_alu instid0(VALU_DEP_1) | instskip(NEXT) | instid1(VALU_DEP_1)
	v_add3_u32 v5, v4, v5, 0x88fffff
	v_lshrrev_b32_e32 v5, 21, v5
	s_and_not1_saveexec_b32 s9, s9
	s_cbranch_execnz .LBB94_4024
.LBB94_3695:
	s_or_b32 exec_lo, exec_lo, s9
	v_mov_b32_e32 v6, 0
	s_and_saveexec_b32 s9, s8
.LBB94_3696:
	v_lshrrev_b32_e32 v4, 24, v4
	s_delay_alu instid0(VALU_DEP_1)
	v_and_or_b32 v6, 0x80, v4, v5
.LBB94_3697:
	s_or_b32 exec_lo, exec_lo, s9
.LBB94_3698:
	s_delay_alu instid0(SALU_CYCLE_1)
	s_or_b32 exec_lo, exec_lo, s7
	s_mov_b32 s7, 0
	global_store_b8 v[2:3], v6, off
.LBB94_3699:
	s_and_b32 vcc_lo, exec_lo, s7
	s_cbranch_vccz .LBB94_3709
; %bb.3700:
	s_wait_xcnt 0x0
	v_bfe_i32 v4, v1, 0, 16
	s_mov_b32 s7, exec_lo
                                        ; implicit-def: $vgpr5
	s_delay_alu instid0(VALU_DEP_1) | instskip(NEXT) | instid1(VALU_DEP_1)
	v_cvt_f32_i32_e32 v4, v4
	v_and_b32_e32 v6, 0x7fffffff, v4
	s_delay_alu instid0(VALU_DEP_1)
	v_cmpx_gt_u32_e32 0x43f00000, v6
	s_xor_b32 s7, exec_lo, s7
	s_cbranch_execz .LBB94_3706
; %bb.3701:
	s_mov_b32 s8, exec_lo
                                        ; implicit-def: $vgpr5
	v_cmpx_lt_u32_e32 0x3c7fffff, v6
	s_xor_b32 s8, exec_lo, s8
; %bb.3702:
	v_bfe_u32 v5, v4, 20, 1
	s_delay_alu instid0(VALU_DEP_1) | instskip(NEXT) | instid1(VALU_DEP_1)
	v_add3_u32 v5, v4, v5, 0x407ffff
	v_and_b32_e32 v6, 0xff00000, v5
	v_lshrrev_b32_e32 v5, 20, v5
	s_delay_alu instid0(VALU_DEP_2) | instskip(NEXT) | instid1(VALU_DEP_2)
	v_cmp_ne_u32_e32 vcc_lo, 0x7f00000, v6
	v_cndmask_b32_e32 v5, 0x7e, v5, vcc_lo
; %bb.3703:
	s_and_not1_saveexec_b32 s8, s8
; %bb.3704:
	v_add_f32_e64 v5, 0x46800000, |v4|
; %bb.3705:
	s_or_b32 exec_lo, exec_lo, s8
                                        ; implicit-def: $vgpr6
.LBB94_3706:
	s_and_not1_saveexec_b32 s7, s7
; %bb.3707:
	v_mov_b32_e32 v5, 0x7f
	v_cmp_lt_u32_e32 vcc_lo, 0x7f800000, v6
	s_delay_alu instid0(VALU_DEP_2)
	v_cndmask_b32_e32 v5, 0x7e, v5, vcc_lo
; %bb.3708:
	s_or_b32 exec_lo, exec_lo, s7
	v_lshrrev_b32_e32 v4, 24, v4
	s_delay_alu instid0(VALU_DEP_1)
	v_and_or_b32 v4, 0x80, v4, v5
	global_store_b8 v[2:3], v4, off
.LBB94_3709:
	s_mov_b32 s7, 0
.LBB94_3710:
	s_delay_alu instid0(SALU_CYCLE_1)
	s_and_not1_b32 vcc_lo, exec_lo, s7
	s_cbranch_vccnz .LBB94_3720
; %bb.3711:
	s_wait_xcnt 0x0
	v_bfe_i32 v4, v1, 0, 16
	s_mov_b32 s7, exec_lo
                                        ; implicit-def: $vgpr5
	s_delay_alu instid0(VALU_DEP_1) | instskip(NEXT) | instid1(VALU_DEP_1)
	v_cvt_f32_i32_e32 v4, v4
	v_and_b32_e32 v6, 0x7fffffff, v4
	s_delay_alu instid0(VALU_DEP_1)
	v_cmpx_gt_u32_e32 0x47800000, v6
	s_xor_b32 s7, exec_lo, s7
	s_cbranch_execz .LBB94_3717
; %bb.3712:
	s_mov_b32 s8, exec_lo
                                        ; implicit-def: $vgpr5
	v_cmpx_lt_u32_e32 0x387fffff, v6
	s_xor_b32 s8, exec_lo, s8
; %bb.3713:
	v_bfe_u32 v5, v4, 21, 1
	s_delay_alu instid0(VALU_DEP_1) | instskip(NEXT) | instid1(VALU_DEP_1)
	v_add3_u32 v5, v4, v5, 0x80fffff
	v_lshrrev_b32_e32 v5, 21, v5
; %bb.3714:
	s_and_not1_saveexec_b32 s8, s8
; %bb.3715:
	v_add_f32_e64 v5, 0x43000000, |v4|
; %bb.3716:
	s_or_b32 exec_lo, exec_lo, s8
                                        ; implicit-def: $vgpr6
.LBB94_3717:
	s_and_not1_saveexec_b32 s7, s7
; %bb.3718:
	v_mov_b32_e32 v5, 0x7f
	v_cmp_lt_u32_e32 vcc_lo, 0x7f800000, v6
	s_delay_alu instid0(VALU_DEP_2)
	v_cndmask_b32_e32 v5, 0x7c, v5, vcc_lo
; %bb.3719:
	s_or_b32 exec_lo, exec_lo, s7
	v_lshrrev_b32_e32 v4, 24, v4
	s_delay_alu instid0(VALU_DEP_1)
	v_and_or_b32 v4, 0x80, v4, v5
	global_store_b8 v[2:3], v4, off
.LBB94_3720:
	s_mov_b32 s7, 0
	s_mov_b32 s8, -1
.LBB94_3721:
	s_and_not1_b32 vcc_lo, exec_lo, s7
	s_mov_b32 s7, 0
	s_cbranch_vccnz .LBB94_3728
; %bb.3722:
	s_cmp_gt_i32 s6, 14
	s_mov_b32 s7, -1
	s_cbranch_scc0 .LBB94_3726
; %bb.3723:
	s_cmp_eq_u32 s6, 15
	s_mov_b32 s0, -1
	s_cbranch_scc0 .LBB94_3725
; %bb.3724:
	s_wait_xcnt 0x0
	v_bfe_i32 v4, v1, 0, 16
	s_mov_b32 s0, 0
	s_mov_b32 s8, -1
	s_delay_alu instid0(VALU_DEP_1) | instskip(NEXT) | instid1(VALU_DEP_1)
	v_cvt_f32_i32_e32 v4, v4
	v_bfe_u32 v5, v4, 16, 1
	s_delay_alu instid0(VALU_DEP_1)
	v_add3_u32 v4, v4, v5, 0x7fff
	global_store_d16_hi_b16 v[2:3], v4, off
.LBB94_3725:
	s_mov_b32 s7, 0
.LBB94_3726:
	s_delay_alu instid0(SALU_CYCLE_1)
	s_and_b32 vcc_lo, exec_lo, s7
	s_mov_b32 s7, 0
	s_cbranch_vccz .LBB94_3728
; %bb.3727:
	s_cmp_lg_u32 s6, 11
	s_mov_b32 s7, -1
	s_cselect_b32 s0, -1, 0
.LBB94_3728:
	s_delay_alu instid0(SALU_CYCLE_1)
	s_and_b32 vcc_lo, exec_lo, s0
	s_cbranch_vccnz .LBB94_4022
; %bb.3729:
	s_and_not1_b32 vcc_lo, exec_lo, s7
	s_cbranch_vccnz .LBB94_3731
.LBB94_3730:
	v_cmp_ne_u16_e32 vcc_lo, 0, v1
	s_mov_b32 s8, -1
	s_wait_xcnt 0x0
	v_cndmask_b32_e64 v4, 0, 1, vcc_lo
	global_store_b8 v[2:3], v4, off
.LBB94_3731:
	s_mov_b32 s0, 0
	s_branch .LBB94_3733
.LBB94_3732:
	s_mov_b32 s0, -1
	s_mov_b32 s8, 0
.LBB94_3733:
	s_and_b32 vcc_lo, exec_lo, s0
	s_cbranch_vccz .LBB94_3772
; %bb.3734:
	s_and_b32 s0, 0xffff, s22
	s_mov_b32 s6, -1
	s_cmp_lt_i32 s0, 5
	s_cbranch_scc1 .LBB94_3755
; %bb.3735:
	s_cmp_lt_i32 s0, 8
	s_cbranch_scc1 .LBB94_3745
; %bb.3736:
	;; [unrolled: 3-line block ×3, first 2 shown]
	s_cmp_gt_i32 s0, 9
	s_cbranch_scc0 .LBB94_3739
; %bb.3738:
	s_wait_xcnt 0x0
	v_bfe_i32 v4, v1, 0, 16
	v_mov_b32_e32 v6, 0
	s_mov_b32 s6, 0
	s_delay_alu instid0(VALU_DEP_2) | instskip(NEXT) | instid1(VALU_DEP_2)
	v_cvt_f64_i32_e32 v[4:5], v4
	v_mov_b32_e32 v7, v6
	global_store_b128 v[2:3], v[4:7], off
.LBB94_3739:
	s_and_not1_b32 vcc_lo, exec_lo, s6
	s_cbranch_vccnz .LBB94_3741
; %bb.3740:
	s_wait_xcnt 0x0
	v_bfe_i32 v4, v1, 0, 16
	v_mov_b32_e32 v5, 0
	s_delay_alu instid0(VALU_DEP_2)
	v_cvt_f32_i32_e32 v4, v4
	global_store_b64 v[2:3], v[4:5], off
.LBB94_3741:
	s_mov_b32 s6, 0
.LBB94_3742:
	s_delay_alu instid0(SALU_CYCLE_1)
	s_and_not1_b32 vcc_lo, exec_lo, s6
	s_cbranch_vccnz .LBB94_3744
; %bb.3743:
	s_wait_xcnt 0x0
	v_cvt_f16_i16_e32 v4, v1
	s_delay_alu instid0(VALU_DEP_1)
	v_and_b32_e32 v4, 0xffff, v4
	global_store_b32 v[2:3], v4, off
.LBB94_3744:
	s_mov_b32 s6, 0
.LBB94_3745:
	s_delay_alu instid0(SALU_CYCLE_1)
	s_and_not1_b32 vcc_lo, exec_lo, s6
	s_cbranch_vccnz .LBB94_3754
; %bb.3746:
	s_cmp_lt_i32 s0, 6
	s_mov_b32 s6, -1
	s_cbranch_scc1 .LBB94_3752
; %bb.3747:
	s_cmp_gt_i32 s0, 6
	s_cbranch_scc0 .LBB94_3749
; %bb.3748:
	s_wait_xcnt 0x0
	v_bfe_i32 v4, v1, 0, 16
	s_mov_b32 s6, 0
	s_delay_alu instid0(VALU_DEP_1)
	v_cvt_f64_i32_e32 v[4:5], v4
	global_store_b64 v[2:3], v[4:5], off
.LBB94_3749:
	s_and_not1_b32 vcc_lo, exec_lo, s6
	s_cbranch_vccnz .LBB94_3751
; %bb.3750:
	s_wait_xcnt 0x0
	v_bfe_i32 v4, v1, 0, 16
	s_delay_alu instid0(VALU_DEP_1)
	v_cvt_f32_i32_e32 v4, v4
	global_store_b32 v[2:3], v4, off
.LBB94_3751:
	s_mov_b32 s6, 0
.LBB94_3752:
	s_delay_alu instid0(SALU_CYCLE_1)
	s_and_not1_b32 vcc_lo, exec_lo, s6
	s_cbranch_vccnz .LBB94_3754
; %bb.3753:
	s_wait_xcnt 0x0
	v_cvt_f16_i16_e32 v4, v1
	global_store_b16 v[2:3], v4, off
.LBB94_3754:
	s_mov_b32 s6, 0
.LBB94_3755:
	s_delay_alu instid0(SALU_CYCLE_1)
	s_and_not1_b32 vcc_lo, exec_lo, s6
	s_cbranch_vccnz .LBB94_3771
; %bb.3756:
	s_cmp_lt_i32 s0, 2
	s_mov_b32 s6, -1
	s_cbranch_scc1 .LBB94_3766
; %bb.3757:
	s_cmp_lt_i32 s0, 3
	s_cbranch_scc1 .LBB94_3763
; %bb.3758:
	s_wait_xcnt 0x0
	v_bfe_i32 v4, v1, 0, 16
	s_cmp_gt_i32 s0, 3
	s_cbranch_scc0 .LBB94_3760
; %bb.3759:
	s_delay_alu instid0(VALU_DEP_1)
	v_ashrrev_i32_e32 v5, 31, v4
	s_mov_b32 s6, 0
	global_store_b64 v[2:3], v[4:5], off
.LBB94_3760:
	s_and_not1_b32 vcc_lo, exec_lo, s6
	s_cbranch_vccnz .LBB94_3762
; %bb.3761:
	global_store_b32 v[2:3], v4, off
.LBB94_3762:
	s_mov_b32 s6, 0
.LBB94_3763:
	s_delay_alu instid0(SALU_CYCLE_1)
	s_and_not1_b32 vcc_lo, exec_lo, s6
	s_cbranch_vccnz .LBB94_3765
; %bb.3764:
	global_store_b16 v[2:3], v1, off
.LBB94_3765:
	s_mov_b32 s6, 0
.LBB94_3766:
	s_delay_alu instid0(SALU_CYCLE_1)
	s_and_not1_b32 vcc_lo, exec_lo, s6
	s_cbranch_vccnz .LBB94_3771
; %bb.3767:
	s_cmp_gt_i32 s0, 0
	s_mov_b32 s0, -1
	s_cbranch_scc0 .LBB94_3769
; %bb.3768:
	s_mov_b32 s0, 0
	global_store_b8 v[2:3], v1, off
.LBB94_3769:
	s_and_not1_b32 vcc_lo, exec_lo, s0
	s_cbranch_vccnz .LBB94_3771
; %bb.3770:
	global_store_b8 v[2:3], v1, off
.LBB94_3771:
	s_mov_b32 s8, -1
.LBB94_3772:
	s_delay_alu instid0(SALU_CYCLE_1)
	s_and_not1_b32 vcc_lo, exec_lo, s8
	s_cbranch_vccnz .LBB94_3968
; %bb.3773:
	v_add_nc_u32_e32 v0, s3, v0
	s_wait_xcnt 0x0
	v_mul_lo_u16 v4, v10, s2
	v_mul_lo_u16 v5, v14, s1
	s_cmp_lt_i32 s22, 11
	v_ashrrev_i32_e32 v1, 31, v0
	s_delay_alu instid0(VALU_DEP_1) | instskip(NEXT) | instid1(VALU_DEP_3)
	v_add_nc_u64_e32 v[2:3], s[4:5], v[0:1]
	v_mad_u16 v1, v5, v18, v4
	s_cbranch_scc1 .LBB94_3851
; %bb.3774:
	s_and_b32 s6, 0xffff, s22
	s_mov_b32 s9, -1
	s_mov_b32 s7, 0
	s_cmp_gt_i32 s6, 25
	s_mov_b32 s8, 0
	s_mov_b32 s0, 0
	s_cbranch_scc0 .LBB94_3807
; %bb.3775:
	s_cmp_gt_i32 s6, 28
	s_cbranch_scc0 .LBB94_3790
; %bb.3776:
	s_cmp_gt_i32 s6, 43
	;; [unrolled: 3-line block ×3, first 2 shown]
	s_cbranch_scc0 .LBB94_3780
; %bb.3778:
	s_mov_b32 s0, -1
	s_mov_b32 s9, 0
	s_cmp_eq_u32 s6, 46
	s_cbranch_scc0 .LBB94_3780
; %bb.3779:
	v_bfe_i32 v4, v1, 0, 16
	s_mov_b32 s0, 0
	s_mov_b32 s8, -1
	s_delay_alu instid0(VALU_DEP_1) | instskip(NEXT) | instid1(VALU_DEP_1)
	v_cvt_f32_i32_e32 v4, v4
	v_bfe_u32 v5, v4, 16, 1
	s_delay_alu instid0(VALU_DEP_1) | instskip(NEXT) | instid1(VALU_DEP_1)
	v_add3_u32 v4, v4, v5, 0x7fff
	v_lshrrev_b32_e32 v4, 16, v4
	global_store_b32 v[2:3], v4, off
.LBB94_3780:
	s_and_b32 vcc_lo, exec_lo, s9
	s_cbranch_vccz .LBB94_3785
; %bb.3781:
	s_cmp_eq_u32 s6, 44
	s_mov_b32 s0, -1
	s_cbranch_scc0 .LBB94_3785
; %bb.3782:
	s_wait_xcnt 0x0
	v_bfe_i32 v4, v1, 0, 16
	v_mov_b32_e32 v5, 0xff
	s_mov_b32 s8, exec_lo
	s_delay_alu instid0(VALU_DEP_2) | instskip(NEXT) | instid1(VALU_DEP_1)
	v_cvt_f32_i32_e32 v4, v4
	v_bfe_u32 v6, v4, 23, 8
	s_delay_alu instid0(VALU_DEP_1)
	v_cmpx_ne_u32_e32 0xff, v6
	s_cbranch_execz .LBB94_3784
; %bb.3783:
	v_and_b32_e32 v5, 0x400000, v4
	v_and_or_b32 v6, 0x3fffff, v4, v6
	v_lshrrev_b32_e32 v4, 23, v4
	s_delay_alu instid0(VALU_DEP_3) | instskip(NEXT) | instid1(VALU_DEP_3)
	v_cmp_ne_u32_e32 vcc_lo, 0, v5
	v_cmp_ne_u32_e64 s0, 0, v6
	s_and_b32 s0, vcc_lo, s0
	s_delay_alu instid0(SALU_CYCLE_1) | instskip(NEXT) | instid1(VALU_DEP_1)
	v_cndmask_b32_e64 v5, 0, 1, s0
	v_add_nc_u32_e32 v5, v4, v5
.LBB94_3784:
	s_or_b32 exec_lo, exec_lo, s8
	s_mov_b32 s0, 0
	s_mov_b32 s8, -1
	global_store_b8 v[2:3], v5, off
.LBB94_3785:
	s_mov_b32 s9, 0
.LBB94_3786:
	s_delay_alu instid0(SALU_CYCLE_1)
	s_and_b32 vcc_lo, exec_lo, s9
	s_cbranch_vccz .LBB94_3789
; %bb.3787:
	s_cmp_eq_u32 s6, 29
	s_mov_b32 s0, -1
	s_cbranch_scc0 .LBB94_3789
; %bb.3788:
	s_wait_xcnt 0x0
	v_bfe_i32 v4, v1, 0, 16
	s_mov_b32 s0, 0
	s_mov_b32 s8, -1
	s_delay_alu instid0(VALU_DEP_1)
	v_ashrrev_i32_e32 v5, 31, v4
	global_store_b64 v[2:3], v[4:5], off
.LBB94_3789:
	s_mov_b32 s9, 0
.LBB94_3790:
	s_delay_alu instid0(SALU_CYCLE_1)
	s_and_b32 vcc_lo, exec_lo, s9
	s_cbranch_vccz .LBB94_3806
; %bb.3791:
	s_cmp_lt_i32 s6, 27
	s_mov_b32 s8, -1
	s_cbranch_scc1 .LBB94_3797
; %bb.3792:
	s_cmp_gt_i32 s6, 27
	s_cbranch_scc0 .LBB94_3794
; %bb.3793:
	s_wait_xcnt 0x0
	v_bfe_i32 v4, v1, 0, 16
	s_mov_b32 s8, 0
	global_store_b32 v[2:3], v4, off
.LBB94_3794:
	s_and_not1_b32 vcc_lo, exec_lo, s8
	s_cbranch_vccnz .LBB94_3796
; %bb.3795:
	global_store_b16 v[2:3], v1, off
.LBB94_3796:
	s_mov_b32 s8, 0
.LBB94_3797:
	s_delay_alu instid0(SALU_CYCLE_1)
	s_and_not1_b32 vcc_lo, exec_lo, s8
	s_cbranch_vccnz .LBB94_3805
; %bb.3798:
	s_wait_xcnt 0x0
	v_bfe_i32 v4, v1, 0, 16
	v_mov_b32_e32 v6, 0x80
	s_mov_b32 s8, exec_lo
	s_delay_alu instid0(VALU_DEP_2) | instskip(NEXT) | instid1(VALU_DEP_1)
	v_cvt_f32_i32_e32 v4, v4
	v_and_b32_e32 v5, 0x7fffffff, v4
	s_delay_alu instid0(VALU_DEP_1)
	v_cmpx_gt_u32_e32 0x43800000, v5
	s_cbranch_execz .LBB94_3804
; %bb.3799:
	v_cmp_lt_u32_e32 vcc_lo, 0x3bffffff, v5
	s_mov_b32 s9, 0
                                        ; implicit-def: $vgpr5
	s_and_saveexec_b32 s10, vcc_lo
	s_delay_alu instid0(SALU_CYCLE_1)
	s_xor_b32 s10, exec_lo, s10
	s_cbranch_execz .LBB94_4025
; %bb.3800:
	v_bfe_u32 v5, v4, 20, 1
	s_mov_b32 s9, exec_lo
	s_delay_alu instid0(VALU_DEP_1) | instskip(NEXT) | instid1(VALU_DEP_1)
	v_add3_u32 v5, v4, v5, 0x487ffff
	v_lshrrev_b32_e32 v5, 20, v5
	s_and_not1_saveexec_b32 s10, s10
	s_cbranch_execnz .LBB94_4026
.LBB94_3801:
	s_or_b32 exec_lo, exec_lo, s10
	v_mov_b32_e32 v6, 0
	s_and_saveexec_b32 s10, s9
.LBB94_3802:
	v_lshrrev_b32_e32 v4, 24, v4
	s_delay_alu instid0(VALU_DEP_1)
	v_and_or_b32 v6, 0x80, v4, v5
.LBB94_3803:
	s_or_b32 exec_lo, exec_lo, s10
.LBB94_3804:
	s_delay_alu instid0(SALU_CYCLE_1)
	s_or_b32 exec_lo, exec_lo, s8
	global_store_b8 v[2:3], v6, off
.LBB94_3805:
	s_mov_b32 s8, -1
.LBB94_3806:
	s_mov_b32 s9, 0
.LBB94_3807:
	s_delay_alu instid0(SALU_CYCLE_1)
	s_and_b32 vcc_lo, exec_lo, s9
	s_cbranch_vccz .LBB94_3847
; %bb.3808:
	s_cmp_gt_i32 s6, 22
	s_mov_b32 s7, -1
	s_cbranch_scc0 .LBB94_3840
; %bb.3809:
	s_cmp_lt_i32 s6, 24
	s_cbranch_scc1 .LBB94_3829
; %bb.3810:
	s_cmp_gt_i32 s6, 24
	s_cbranch_scc0 .LBB94_3818
; %bb.3811:
	s_wait_xcnt 0x0
	v_bfe_i32 v4, v1, 0, 16
	v_mov_b32_e32 v6, 0x80
	s_mov_b32 s7, exec_lo
	s_delay_alu instid0(VALU_DEP_2) | instskip(NEXT) | instid1(VALU_DEP_1)
	v_cvt_f32_i32_e32 v4, v4
	v_and_b32_e32 v5, 0x7fffffff, v4
	s_delay_alu instid0(VALU_DEP_1)
	v_cmpx_gt_u32_e32 0x47800000, v5
	s_cbranch_execz .LBB94_3817
; %bb.3812:
	v_cmp_lt_u32_e32 vcc_lo, 0x37ffffff, v5
	s_mov_b32 s8, 0
                                        ; implicit-def: $vgpr5
	s_and_saveexec_b32 s9, vcc_lo
	s_delay_alu instid0(SALU_CYCLE_1)
	s_xor_b32 s9, exec_lo, s9
	s_cbranch_execz .LBB94_4028
; %bb.3813:
	v_bfe_u32 v5, v4, 21, 1
	s_mov_b32 s8, exec_lo
	s_delay_alu instid0(VALU_DEP_1) | instskip(NEXT) | instid1(VALU_DEP_1)
	v_add3_u32 v5, v4, v5, 0x88fffff
	v_lshrrev_b32_e32 v5, 21, v5
	s_and_not1_saveexec_b32 s9, s9
	s_cbranch_execnz .LBB94_4029
.LBB94_3814:
	s_or_b32 exec_lo, exec_lo, s9
	v_mov_b32_e32 v6, 0
	s_and_saveexec_b32 s9, s8
.LBB94_3815:
	v_lshrrev_b32_e32 v4, 24, v4
	s_delay_alu instid0(VALU_DEP_1)
	v_and_or_b32 v6, 0x80, v4, v5
.LBB94_3816:
	s_or_b32 exec_lo, exec_lo, s9
.LBB94_3817:
	s_delay_alu instid0(SALU_CYCLE_1)
	s_or_b32 exec_lo, exec_lo, s7
	s_mov_b32 s7, 0
	global_store_b8 v[2:3], v6, off
.LBB94_3818:
	s_and_b32 vcc_lo, exec_lo, s7
	s_cbranch_vccz .LBB94_3828
; %bb.3819:
	s_wait_xcnt 0x0
	v_bfe_i32 v4, v1, 0, 16
	s_mov_b32 s7, exec_lo
                                        ; implicit-def: $vgpr5
	s_delay_alu instid0(VALU_DEP_1) | instskip(NEXT) | instid1(VALU_DEP_1)
	v_cvt_f32_i32_e32 v4, v4
	v_and_b32_e32 v6, 0x7fffffff, v4
	s_delay_alu instid0(VALU_DEP_1)
	v_cmpx_gt_u32_e32 0x43f00000, v6
	s_xor_b32 s7, exec_lo, s7
	s_cbranch_execz .LBB94_3825
; %bb.3820:
	s_mov_b32 s8, exec_lo
                                        ; implicit-def: $vgpr5
	v_cmpx_lt_u32_e32 0x3c7fffff, v6
	s_xor_b32 s8, exec_lo, s8
; %bb.3821:
	v_bfe_u32 v5, v4, 20, 1
	s_delay_alu instid0(VALU_DEP_1) | instskip(NEXT) | instid1(VALU_DEP_1)
	v_add3_u32 v5, v4, v5, 0x407ffff
	v_and_b32_e32 v6, 0xff00000, v5
	v_lshrrev_b32_e32 v5, 20, v5
	s_delay_alu instid0(VALU_DEP_2) | instskip(NEXT) | instid1(VALU_DEP_2)
	v_cmp_ne_u32_e32 vcc_lo, 0x7f00000, v6
	v_cndmask_b32_e32 v5, 0x7e, v5, vcc_lo
; %bb.3822:
	s_and_not1_saveexec_b32 s8, s8
; %bb.3823:
	v_add_f32_e64 v5, 0x46800000, |v4|
; %bb.3824:
	s_or_b32 exec_lo, exec_lo, s8
                                        ; implicit-def: $vgpr6
.LBB94_3825:
	s_and_not1_saveexec_b32 s7, s7
; %bb.3826:
	v_mov_b32_e32 v5, 0x7f
	v_cmp_lt_u32_e32 vcc_lo, 0x7f800000, v6
	s_delay_alu instid0(VALU_DEP_2)
	v_cndmask_b32_e32 v5, 0x7e, v5, vcc_lo
; %bb.3827:
	s_or_b32 exec_lo, exec_lo, s7
	v_lshrrev_b32_e32 v4, 24, v4
	s_delay_alu instid0(VALU_DEP_1)
	v_and_or_b32 v4, 0x80, v4, v5
	global_store_b8 v[2:3], v4, off
.LBB94_3828:
	s_mov_b32 s7, 0
.LBB94_3829:
	s_delay_alu instid0(SALU_CYCLE_1)
	s_and_not1_b32 vcc_lo, exec_lo, s7
	s_cbranch_vccnz .LBB94_3839
; %bb.3830:
	s_wait_xcnt 0x0
	v_bfe_i32 v4, v1, 0, 16
	s_mov_b32 s7, exec_lo
                                        ; implicit-def: $vgpr5
	s_delay_alu instid0(VALU_DEP_1) | instskip(NEXT) | instid1(VALU_DEP_1)
	v_cvt_f32_i32_e32 v4, v4
	v_and_b32_e32 v6, 0x7fffffff, v4
	s_delay_alu instid0(VALU_DEP_1)
	v_cmpx_gt_u32_e32 0x47800000, v6
	s_xor_b32 s7, exec_lo, s7
	s_cbranch_execz .LBB94_3836
; %bb.3831:
	s_mov_b32 s8, exec_lo
                                        ; implicit-def: $vgpr5
	v_cmpx_lt_u32_e32 0x387fffff, v6
	s_xor_b32 s8, exec_lo, s8
; %bb.3832:
	v_bfe_u32 v5, v4, 21, 1
	s_delay_alu instid0(VALU_DEP_1) | instskip(NEXT) | instid1(VALU_DEP_1)
	v_add3_u32 v5, v4, v5, 0x80fffff
	v_lshrrev_b32_e32 v5, 21, v5
; %bb.3833:
	s_and_not1_saveexec_b32 s8, s8
; %bb.3834:
	v_add_f32_e64 v5, 0x43000000, |v4|
; %bb.3835:
	s_or_b32 exec_lo, exec_lo, s8
                                        ; implicit-def: $vgpr6
.LBB94_3836:
	s_and_not1_saveexec_b32 s7, s7
; %bb.3837:
	v_mov_b32_e32 v5, 0x7f
	v_cmp_lt_u32_e32 vcc_lo, 0x7f800000, v6
	s_delay_alu instid0(VALU_DEP_2)
	v_cndmask_b32_e32 v5, 0x7c, v5, vcc_lo
; %bb.3838:
	s_or_b32 exec_lo, exec_lo, s7
	v_lshrrev_b32_e32 v4, 24, v4
	s_delay_alu instid0(VALU_DEP_1)
	v_and_or_b32 v4, 0x80, v4, v5
	global_store_b8 v[2:3], v4, off
.LBB94_3839:
	s_mov_b32 s7, 0
	s_mov_b32 s8, -1
.LBB94_3840:
	s_and_not1_b32 vcc_lo, exec_lo, s7
	s_mov_b32 s7, 0
	s_cbranch_vccnz .LBB94_3847
; %bb.3841:
	s_cmp_gt_i32 s6, 14
	s_mov_b32 s7, -1
	s_cbranch_scc0 .LBB94_3845
; %bb.3842:
	s_cmp_eq_u32 s6, 15
	s_mov_b32 s0, -1
	s_cbranch_scc0 .LBB94_3844
; %bb.3843:
	s_wait_xcnt 0x0
	v_bfe_i32 v4, v1, 0, 16
	s_mov_b32 s0, 0
	s_mov_b32 s8, -1
	s_delay_alu instid0(VALU_DEP_1) | instskip(NEXT) | instid1(VALU_DEP_1)
	v_cvt_f32_i32_e32 v4, v4
	v_bfe_u32 v5, v4, 16, 1
	s_delay_alu instid0(VALU_DEP_1)
	v_add3_u32 v4, v4, v5, 0x7fff
	global_store_d16_hi_b16 v[2:3], v4, off
.LBB94_3844:
	s_mov_b32 s7, 0
.LBB94_3845:
	s_delay_alu instid0(SALU_CYCLE_1)
	s_and_b32 vcc_lo, exec_lo, s7
	s_mov_b32 s7, 0
	s_cbranch_vccz .LBB94_3847
; %bb.3846:
	s_cmp_lg_u32 s6, 11
	s_mov_b32 s7, -1
	s_cselect_b32 s0, -1, 0
.LBB94_3847:
	s_delay_alu instid0(SALU_CYCLE_1)
	s_and_b32 vcc_lo, exec_lo, s0
	s_cbranch_vccnz .LBB94_4027
; %bb.3848:
	s_and_not1_b32 vcc_lo, exec_lo, s7
	s_cbranch_vccnz .LBB94_3850
.LBB94_3849:
	v_cmp_ne_u16_e32 vcc_lo, 0, v1
	s_mov_b32 s8, -1
	s_wait_xcnt 0x0
	v_cndmask_b32_e64 v4, 0, 1, vcc_lo
	global_store_b8 v[2:3], v4, off
.LBB94_3850:
	s_mov_b32 s0, 0
	s_branch .LBB94_3852
.LBB94_3851:
	s_mov_b32 s0, -1
	s_mov_b32 s8, 0
.LBB94_3852:
	s_and_b32 vcc_lo, exec_lo, s0
	s_cbranch_vccz .LBB94_3891
; %bb.3853:
	s_and_b32 s0, 0xffff, s22
	s_mov_b32 s6, -1
	s_cmp_lt_i32 s0, 5
	s_cbranch_scc1 .LBB94_3874
; %bb.3854:
	s_cmp_lt_i32 s0, 8
	s_cbranch_scc1 .LBB94_3864
; %bb.3855:
	;; [unrolled: 3-line block ×3, first 2 shown]
	s_cmp_gt_i32 s0, 9
	s_cbranch_scc0 .LBB94_3858
; %bb.3857:
	s_wait_xcnt 0x0
	v_bfe_i32 v4, v1, 0, 16
	v_mov_b32_e32 v6, 0
	s_mov_b32 s6, 0
	s_delay_alu instid0(VALU_DEP_2) | instskip(NEXT) | instid1(VALU_DEP_2)
	v_cvt_f64_i32_e32 v[4:5], v4
	v_mov_b32_e32 v7, v6
	global_store_b128 v[2:3], v[4:7], off
.LBB94_3858:
	s_and_not1_b32 vcc_lo, exec_lo, s6
	s_cbranch_vccnz .LBB94_3860
; %bb.3859:
	s_wait_xcnt 0x0
	v_bfe_i32 v4, v1, 0, 16
	v_mov_b32_e32 v5, 0
	s_delay_alu instid0(VALU_DEP_2)
	v_cvt_f32_i32_e32 v4, v4
	global_store_b64 v[2:3], v[4:5], off
.LBB94_3860:
	s_mov_b32 s6, 0
.LBB94_3861:
	s_delay_alu instid0(SALU_CYCLE_1)
	s_and_not1_b32 vcc_lo, exec_lo, s6
	s_cbranch_vccnz .LBB94_3863
; %bb.3862:
	s_wait_xcnt 0x0
	v_cvt_f16_i16_e32 v4, v1
	s_delay_alu instid0(VALU_DEP_1)
	v_and_b32_e32 v4, 0xffff, v4
	global_store_b32 v[2:3], v4, off
.LBB94_3863:
	s_mov_b32 s6, 0
.LBB94_3864:
	s_delay_alu instid0(SALU_CYCLE_1)
	s_and_not1_b32 vcc_lo, exec_lo, s6
	s_cbranch_vccnz .LBB94_3873
; %bb.3865:
	s_cmp_lt_i32 s0, 6
	s_mov_b32 s6, -1
	s_cbranch_scc1 .LBB94_3871
; %bb.3866:
	s_cmp_gt_i32 s0, 6
	s_cbranch_scc0 .LBB94_3868
; %bb.3867:
	s_wait_xcnt 0x0
	v_bfe_i32 v4, v1, 0, 16
	s_mov_b32 s6, 0
	s_delay_alu instid0(VALU_DEP_1)
	v_cvt_f64_i32_e32 v[4:5], v4
	global_store_b64 v[2:3], v[4:5], off
.LBB94_3868:
	s_and_not1_b32 vcc_lo, exec_lo, s6
	s_cbranch_vccnz .LBB94_3870
; %bb.3869:
	s_wait_xcnt 0x0
	v_bfe_i32 v4, v1, 0, 16
	s_delay_alu instid0(VALU_DEP_1)
	v_cvt_f32_i32_e32 v4, v4
	global_store_b32 v[2:3], v4, off
.LBB94_3870:
	s_mov_b32 s6, 0
.LBB94_3871:
	s_delay_alu instid0(SALU_CYCLE_1)
	s_and_not1_b32 vcc_lo, exec_lo, s6
	s_cbranch_vccnz .LBB94_3873
; %bb.3872:
	s_wait_xcnt 0x0
	v_cvt_f16_i16_e32 v4, v1
	global_store_b16 v[2:3], v4, off
.LBB94_3873:
	s_mov_b32 s6, 0
.LBB94_3874:
	s_delay_alu instid0(SALU_CYCLE_1)
	s_and_not1_b32 vcc_lo, exec_lo, s6
	s_cbranch_vccnz .LBB94_3890
; %bb.3875:
	s_cmp_lt_i32 s0, 2
	s_mov_b32 s6, -1
	s_cbranch_scc1 .LBB94_3885
; %bb.3876:
	s_cmp_lt_i32 s0, 3
	s_cbranch_scc1 .LBB94_3882
; %bb.3877:
	s_wait_xcnt 0x0
	v_bfe_i32 v4, v1, 0, 16
	s_cmp_gt_i32 s0, 3
	s_cbranch_scc0 .LBB94_3879
; %bb.3878:
	s_delay_alu instid0(VALU_DEP_1)
	v_ashrrev_i32_e32 v5, 31, v4
	s_mov_b32 s6, 0
	global_store_b64 v[2:3], v[4:5], off
.LBB94_3879:
	s_and_not1_b32 vcc_lo, exec_lo, s6
	s_cbranch_vccnz .LBB94_3881
; %bb.3880:
	global_store_b32 v[2:3], v4, off
.LBB94_3881:
	s_mov_b32 s6, 0
.LBB94_3882:
	s_delay_alu instid0(SALU_CYCLE_1)
	s_and_not1_b32 vcc_lo, exec_lo, s6
	s_cbranch_vccnz .LBB94_3884
; %bb.3883:
	global_store_b16 v[2:3], v1, off
.LBB94_3884:
	s_mov_b32 s6, 0
.LBB94_3885:
	s_delay_alu instid0(SALU_CYCLE_1)
	s_and_not1_b32 vcc_lo, exec_lo, s6
	s_cbranch_vccnz .LBB94_3890
; %bb.3886:
	s_cmp_gt_i32 s0, 0
	s_mov_b32 s0, -1
	s_cbranch_scc0 .LBB94_3888
; %bb.3887:
	s_mov_b32 s0, 0
	global_store_b8 v[2:3], v1, off
.LBB94_3888:
	s_and_not1_b32 vcc_lo, exec_lo, s0
	s_cbranch_vccnz .LBB94_3890
; %bb.3889:
	global_store_b8 v[2:3], v1, off
.LBB94_3890:
	s_mov_b32 s8, -1
.LBB94_3891:
	s_delay_alu instid0(SALU_CYCLE_1)
	s_and_not1_b32 vcc_lo, exec_lo, s8
	s_cbranch_vccnz .LBB94_3968
; %bb.3892:
	v_add_nc_u32_e32 v0, s3, v0
	s_wait_xcnt 0x0
	v_mul_lo_u16 v2, v16, s2
	v_mul_lo_u16 v3, v20, s1
	s_cmp_lt_i32 s22, 11
	v_ashrrev_i32_e32 v1, 31, v0
	s_delay_alu instid0(VALU_DEP_2) | instskip(NEXT) | instid1(VALU_DEP_2)
	v_mad_u16 v4, v3, v22, v2
	v_add_nc_u64_e32 v[0:1], s[4:5], v[0:1]
	s_cbranch_scc1 .LBB94_4013
; %bb.3893:
	s_and_b32 s2, 0xffff, s22
	s_mov_b32 s3, -1
	s_mov_b32 s1, 0
	s_cmp_gt_i32 s2, 25
	s_mov_b32 s0, 0
	s_cbranch_scc0 .LBB94_3926
; %bb.3894:
	s_cmp_gt_i32 s2, 28
	s_cbranch_scc0 .LBB94_3910
; %bb.3895:
	s_cmp_gt_i32 s2, 43
	;; [unrolled: 3-line block ×3, first 2 shown]
	s_cbranch_scc0 .LBB94_3900
; %bb.3897:
	s_cmp_eq_u32 s2, 46
	s_mov_b32 s0, -1
	s_cbranch_scc0 .LBB94_3899
; %bb.3898:
	v_bfe_i32 v2, v4, 0, 16
	s_mov_b32 s0, 0
	s_delay_alu instid0(VALU_DEP_1) | instskip(NEXT) | instid1(VALU_DEP_1)
	v_cvt_f32_i32_e32 v2, v2
	v_bfe_u32 v3, v2, 16, 1
	s_delay_alu instid0(VALU_DEP_1) | instskip(NEXT) | instid1(VALU_DEP_1)
	v_add3_u32 v2, v2, v3, 0x7fff
	v_lshrrev_b32_e32 v2, 16, v2
	global_store_b32 v[0:1], v2, off
.LBB94_3899:
	s_mov_b32 s3, 0
.LBB94_3900:
	s_delay_alu instid0(SALU_CYCLE_1)
	s_and_b32 vcc_lo, exec_lo, s3
	s_cbranch_vccz .LBB94_3905
; %bb.3901:
	s_cmp_eq_u32 s2, 44
	s_mov_b32 s0, -1
	s_cbranch_scc0 .LBB94_3905
; %bb.3902:
	s_wait_xcnt 0x0
	v_bfe_i32 v2, v4, 0, 16
	v_mov_b32_e32 v3, 0xff
	s_mov_b32 s3, exec_lo
	s_delay_alu instid0(VALU_DEP_2) | instskip(NEXT) | instid1(VALU_DEP_1)
	v_cvt_f32_i32_e32 v2, v2
	v_bfe_u32 v5, v2, 23, 8
	s_delay_alu instid0(VALU_DEP_1)
	v_cmpx_ne_u32_e32 0xff, v5
	s_cbranch_execz .LBB94_3904
; %bb.3903:
	v_and_b32_e32 v3, 0x400000, v2
	v_and_or_b32 v5, 0x3fffff, v2, v5
	v_lshrrev_b32_e32 v2, 23, v2
	s_delay_alu instid0(VALU_DEP_3) | instskip(NEXT) | instid1(VALU_DEP_3)
	v_cmp_ne_u32_e32 vcc_lo, 0, v3
	v_cmp_ne_u32_e64 s0, 0, v5
	s_and_b32 s0, vcc_lo, s0
	s_delay_alu instid0(SALU_CYCLE_1) | instskip(NEXT) | instid1(VALU_DEP_1)
	v_cndmask_b32_e64 v3, 0, 1, s0
	v_add_nc_u32_e32 v3, v2, v3
.LBB94_3904:
	s_or_b32 exec_lo, exec_lo, s3
	s_mov_b32 s0, 0
	global_store_b8 v[0:1], v3, off
.LBB94_3905:
	s_mov_b32 s3, 0
.LBB94_3906:
	s_delay_alu instid0(SALU_CYCLE_1)
	s_and_b32 vcc_lo, exec_lo, s3
	s_cbranch_vccz .LBB94_3909
; %bb.3907:
	s_cmp_eq_u32 s2, 29
	s_mov_b32 s0, -1
	s_cbranch_scc0 .LBB94_3909
; %bb.3908:
	s_wait_xcnt 0x0
	v_bfe_i32 v2, v4, 0, 16
	s_mov_b32 s0, 0
	s_delay_alu instid0(VALU_DEP_1)
	v_ashrrev_i32_e32 v3, 31, v2
	global_store_b64 v[0:1], v[2:3], off
.LBB94_3909:
	s_mov_b32 s3, 0
.LBB94_3910:
	s_delay_alu instid0(SALU_CYCLE_1)
	s_and_b32 vcc_lo, exec_lo, s3
	s_cbranch_vccz .LBB94_3925
; %bb.3911:
	s_cmp_lt_i32 s2, 27
	s_mov_b32 s3, -1
	s_cbranch_scc1 .LBB94_3917
; %bb.3912:
	s_cmp_gt_i32 s2, 27
	s_cbranch_scc0 .LBB94_3914
; %bb.3913:
	s_wait_xcnt 0x0
	v_bfe_i32 v2, v4, 0, 16
	s_mov_b32 s3, 0
	global_store_b32 v[0:1], v2, off
.LBB94_3914:
	s_and_not1_b32 vcc_lo, exec_lo, s3
	s_cbranch_vccnz .LBB94_3916
; %bb.3915:
	global_store_b16 v[0:1], v4, off
.LBB94_3916:
	s_mov_b32 s3, 0
.LBB94_3917:
	s_delay_alu instid0(SALU_CYCLE_1)
	s_and_not1_b32 vcc_lo, exec_lo, s3
	s_cbranch_vccnz .LBB94_3925
; %bb.3918:
	s_wait_xcnt 0x0
	v_bfe_i32 v2, v4, 0, 16
	v_mov_b32_e32 v5, 0x80
	s_mov_b32 s3, exec_lo
	s_delay_alu instid0(VALU_DEP_2) | instskip(NEXT) | instid1(VALU_DEP_1)
	v_cvt_f32_i32_e32 v2, v2
	v_and_b32_e32 v3, 0x7fffffff, v2
	s_delay_alu instid0(VALU_DEP_1)
	v_cmpx_gt_u32_e32 0x43800000, v3
	s_cbranch_execz .LBB94_3924
; %bb.3919:
	v_cmp_lt_u32_e32 vcc_lo, 0x3bffffff, v3
	s_mov_b32 s4, 0
                                        ; implicit-def: $vgpr3
	s_and_saveexec_b32 s5, vcc_lo
	s_delay_alu instid0(SALU_CYCLE_1)
	s_xor_b32 s5, exec_lo, s5
	s_cbranch_execz .LBB94_4030
; %bb.3920:
	v_bfe_u32 v3, v2, 20, 1
	s_mov_b32 s4, exec_lo
	s_delay_alu instid0(VALU_DEP_1) | instskip(NEXT) | instid1(VALU_DEP_1)
	v_add3_u32 v3, v2, v3, 0x487ffff
	v_lshrrev_b32_e32 v3, 20, v3
	s_and_not1_saveexec_b32 s5, s5
	s_cbranch_execnz .LBB94_4031
.LBB94_3921:
	s_or_b32 exec_lo, exec_lo, s5
	v_mov_b32_e32 v5, 0
	s_and_saveexec_b32 s5, s4
.LBB94_3922:
	v_lshrrev_b32_e32 v2, 24, v2
	s_delay_alu instid0(VALU_DEP_1)
	v_and_or_b32 v5, 0x80, v2, v3
.LBB94_3923:
	s_or_b32 exec_lo, exec_lo, s5
.LBB94_3924:
	s_delay_alu instid0(SALU_CYCLE_1)
	s_or_b32 exec_lo, exec_lo, s3
	global_store_b8 v[0:1], v5, off
.LBB94_3925:
	s_mov_b32 s3, 0
.LBB94_3926:
	s_delay_alu instid0(SALU_CYCLE_1)
	s_and_b32 vcc_lo, exec_lo, s3
	s_cbranch_vccz .LBB94_3966
; %bb.3927:
	s_cmp_gt_i32 s2, 22
	s_mov_b32 s1, -1
	s_cbranch_scc0 .LBB94_3959
; %bb.3928:
	s_cmp_lt_i32 s2, 24
	s_cbranch_scc1 .LBB94_3948
; %bb.3929:
	s_cmp_gt_i32 s2, 24
	s_cbranch_scc0 .LBB94_3937
; %bb.3930:
	s_wait_xcnt 0x0
	v_bfe_i32 v2, v4, 0, 16
	v_mov_b32_e32 v5, 0x80
	s_mov_b32 s1, exec_lo
	s_delay_alu instid0(VALU_DEP_2) | instskip(NEXT) | instid1(VALU_DEP_1)
	v_cvt_f32_i32_e32 v2, v2
	v_and_b32_e32 v3, 0x7fffffff, v2
	s_delay_alu instid0(VALU_DEP_1)
	v_cmpx_gt_u32_e32 0x47800000, v3
	s_cbranch_execz .LBB94_3936
; %bb.3931:
	v_cmp_lt_u32_e32 vcc_lo, 0x37ffffff, v3
	s_mov_b32 s3, 0
                                        ; implicit-def: $vgpr3
	s_and_saveexec_b32 s4, vcc_lo
	s_delay_alu instid0(SALU_CYCLE_1)
	s_xor_b32 s4, exec_lo, s4
	s_cbranch_execz .LBB94_4033
; %bb.3932:
	v_bfe_u32 v3, v2, 21, 1
	s_mov_b32 s3, exec_lo
	s_delay_alu instid0(VALU_DEP_1) | instskip(NEXT) | instid1(VALU_DEP_1)
	v_add3_u32 v3, v2, v3, 0x88fffff
	v_lshrrev_b32_e32 v3, 21, v3
	s_and_not1_saveexec_b32 s4, s4
	s_cbranch_execnz .LBB94_4034
.LBB94_3933:
	s_or_b32 exec_lo, exec_lo, s4
	v_mov_b32_e32 v5, 0
	s_and_saveexec_b32 s4, s3
.LBB94_3934:
	v_lshrrev_b32_e32 v2, 24, v2
	s_delay_alu instid0(VALU_DEP_1)
	v_and_or_b32 v5, 0x80, v2, v3
.LBB94_3935:
	s_or_b32 exec_lo, exec_lo, s4
.LBB94_3936:
	s_delay_alu instid0(SALU_CYCLE_1)
	s_or_b32 exec_lo, exec_lo, s1
	s_mov_b32 s1, 0
	global_store_b8 v[0:1], v5, off
.LBB94_3937:
	s_and_b32 vcc_lo, exec_lo, s1
	s_cbranch_vccz .LBB94_3947
; %bb.3938:
	s_wait_xcnt 0x0
	v_bfe_i32 v2, v4, 0, 16
	s_mov_b32 s1, exec_lo
                                        ; implicit-def: $vgpr3
	s_delay_alu instid0(VALU_DEP_1) | instskip(NEXT) | instid1(VALU_DEP_1)
	v_cvt_f32_i32_e32 v2, v2
	v_and_b32_e32 v5, 0x7fffffff, v2
	s_delay_alu instid0(VALU_DEP_1)
	v_cmpx_gt_u32_e32 0x43f00000, v5
	s_xor_b32 s1, exec_lo, s1
	s_cbranch_execz .LBB94_3944
; %bb.3939:
	s_mov_b32 s3, exec_lo
                                        ; implicit-def: $vgpr3
	v_cmpx_lt_u32_e32 0x3c7fffff, v5
	s_xor_b32 s3, exec_lo, s3
; %bb.3940:
	v_bfe_u32 v3, v2, 20, 1
	s_delay_alu instid0(VALU_DEP_1) | instskip(NEXT) | instid1(VALU_DEP_1)
	v_add3_u32 v3, v2, v3, 0x407ffff
	v_and_b32_e32 v5, 0xff00000, v3
	v_lshrrev_b32_e32 v3, 20, v3
	s_delay_alu instid0(VALU_DEP_2) | instskip(NEXT) | instid1(VALU_DEP_2)
	v_cmp_ne_u32_e32 vcc_lo, 0x7f00000, v5
	v_cndmask_b32_e32 v3, 0x7e, v3, vcc_lo
; %bb.3941:
	s_and_not1_saveexec_b32 s3, s3
; %bb.3942:
	v_add_f32_e64 v3, 0x46800000, |v2|
; %bb.3943:
	s_or_b32 exec_lo, exec_lo, s3
                                        ; implicit-def: $vgpr5
.LBB94_3944:
	s_and_not1_saveexec_b32 s1, s1
; %bb.3945:
	v_mov_b32_e32 v3, 0x7f
	v_cmp_lt_u32_e32 vcc_lo, 0x7f800000, v5
	s_delay_alu instid0(VALU_DEP_2)
	v_cndmask_b32_e32 v3, 0x7e, v3, vcc_lo
; %bb.3946:
	s_or_b32 exec_lo, exec_lo, s1
	v_lshrrev_b32_e32 v2, 24, v2
	s_delay_alu instid0(VALU_DEP_1)
	v_and_or_b32 v2, 0x80, v2, v3
	global_store_b8 v[0:1], v2, off
.LBB94_3947:
	s_mov_b32 s1, 0
.LBB94_3948:
	s_delay_alu instid0(SALU_CYCLE_1)
	s_and_not1_b32 vcc_lo, exec_lo, s1
	s_cbranch_vccnz .LBB94_3958
; %bb.3949:
	s_wait_xcnt 0x0
	v_bfe_i32 v2, v4, 0, 16
	s_mov_b32 s1, exec_lo
                                        ; implicit-def: $vgpr3
	s_delay_alu instid0(VALU_DEP_1) | instskip(NEXT) | instid1(VALU_DEP_1)
	v_cvt_f32_i32_e32 v2, v2
	v_and_b32_e32 v5, 0x7fffffff, v2
	s_delay_alu instid0(VALU_DEP_1)
	v_cmpx_gt_u32_e32 0x47800000, v5
	s_xor_b32 s1, exec_lo, s1
	s_cbranch_execz .LBB94_3955
; %bb.3950:
	s_mov_b32 s3, exec_lo
                                        ; implicit-def: $vgpr3
	v_cmpx_lt_u32_e32 0x387fffff, v5
	s_xor_b32 s3, exec_lo, s3
; %bb.3951:
	v_bfe_u32 v3, v2, 21, 1
	s_delay_alu instid0(VALU_DEP_1) | instskip(NEXT) | instid1(VALU_DEP_1)
	v_add3_u32 v3, v2, v3, 0x80fffff
	v_lshrrev_b32_e32 v3, 21, v3
; %bb.3952:
	s_and_not1_saveexec_b32 s3, s3
; %bb.3953:
	v_add_f32_e64 v3, 0x43000000, |v2|
; %bb.3954:
	s_or_b32 exec_lo, exec_lo, s3
                                        ; implicit-def: $vgpr5
.LBB94_3955:
	s_and_not1_saveexec_b32 s1, s1
; %bb.3956:
	v_mov_b32_e32 v3, 0x7f
	v_cmp_lt_u32_e32 vcc_lo, 0x7f800000, v5
	s_delay_alu instid0(VALU_DEP_2)
	v_cndmask_b32_e32 v3, 0x7c, v3, vcc_lo
; %bb.3957:
	s_or_b32 exec_lo, exec_lo, s1
	v_lshrrev_b32_e32 v2, 24, v2
	s_delay_alu instid0(VALU_DEP_1)
	v_and_or_b32 v2, 0x80, v2, v3
	global_store_b8 v[0:1], v2, off
.LBB94_3958:
	s_mov_b32 s1, 0
.LBB94_3959:
	s_delay_alu instid0(SALU_CYCLE_1)
	s_and_not1_b32 vcc_lo, exec_lo, s1
	s_mov_b32 s1, 0
	s_cbranch_vccnz .LBB94_3966
; %bb.3960:
	s_cmp_gt_i32 s2, 14
	s_mov_b32 s1, -1
	s_cbranch_scc0 .LBB94_3964
; %bb.3961:
	s_cmp_eq_u32 s2, 15
	s_mov_b32 s0, -1
	s_cbranch_scc0 .LBB94_3963
; %bb.3962:
	s_wait_xcnt 0x0
	v_bfe_i32 v2, v4, 0, 16
	s_mov_b32 s0, 0
	s_delay_alu instid0(VALU_DEP_1) | instskip(NEXT) | instid1(VALU_DEP_1)
	v_cvt_f32_i32_e32 v2, v2
	v_bfe_u32 v3, v2, 16, 1
	s_delay_alu instid0(VALU_DEP_1)
	v_add3_u32 v2, v2, v3, 0x7fff
	global_store_d16_hi_b16 v[0:1], v2, off
.LBB94_3963:
	s_mov_b32 s1, 0
.LBB94_3964:
	s_delay_alu instid0(SALU_CYCLE_1)
	s_and_b32 vcc_lo, exec_lo, s1
	s_mov_b32 s1, 0
	s_cbranch_vccz .LBB94_3966
; %bb.3965:
	s_cmp_lg_u32 s2, 11
	s_mov_b32 s1, -1
	s_cselect_b32 s0, -1, 0
.LBB94_3966:
	s_delay_alu instid0(SALU_CYCLE_1)
	s_and_b32 vcc_lo, exec_lo, s0
	s_cbranch_vccnz .LBB94_4032
.LBB94_3967:
	s_mov_b32 s0, 0
	s_branch .LBB94_3969
.LBB94_3968:
	s_mov_b32 s0, 0
	s_mov_b32 s1, 0
                                        ; implicit-def: $sgpr22
                                        ; implicit-def: $vgpr0_vgpr1
                                        ; implicit-def: $vgpr4
.LBB94_3969:
	s_and_not1_b32 s2, s21, exec_lo
	s_and_b32 s3, s18, exec_lo
	s_and_b32 s0, s0, exec_lo
	;; [unrolled: 1-line block ×3, first 2 shown]
	s_or_b32 s21, s2, s3
.LBB94_3970:
	s_wait_xcnt 0x0
	s_or_b32 exec_lo, exec_lo, s20
	s_and_saveexec_b32 s1, s21
	s_cbranch_execz .LBB94_3973
; %bb.3971:
	; divergent unreachable
	s_or_b32 exec_lo, exec_lo, s1
	s_and_saveexec_b32 s1, s18
	s_delay_alu instid0(SALU_CYCLE_1)
	s_xor_b32 s1, exec_lo, s1
	s_cbranch_execnz .LBB94_3974
.LBB94_3972:
	s_or_b32 exec_lo, exec_lo, s1
	s_and_saveexec_b32 s1, s0
	s_cbranch_execnz .LBB94_3975
	s_branch .LBB94_4012
.LBB94_3973:
	s_or_b32 exec_lo, exec_lo, s1
	s_and_saveexec_b32 s1, s18
	s_delay_alu instid0(SALU_CYCLE_1)
	s_xor_b32 s1, exec_lo, s1
	s_cbranch_execz .LBB94_3972
.LBB94_3974:
	s_wait_loadcnt 0x0
	s_delay_alu instid0(VALU_DEP_1)
	v_cmp_ne_u16_e32 vcc_lo, 0, v4
	v_cndmask_b32_e64 v2, 0, 1, vcc_lo
	global_store_b8 v[0:1], v2, off
	s_wait_xcnt 0x0
	s_or_b32 exec_lo, exec_lo, s1
	s_and_saveexec_b32 s1, s0
	s_cbranch_execz .LBB94_4012
.LBB94_3975:
	s_sext_i32_i16 s1, s22
	s_mov_b32 s0, -1
	s_cmp_lt_i32 s1, 5
	s_cbranch_scc1 .LBB94_3996
; %bb.3976:
	s_cmp_lt_i32 s1, 8
	s_cbranch_scc1 .LBB94_3986
; %bb.3977:
	;; [unrolled: 3-line block ×3, first 2 shown]
	s_wait_loadcnt 0x0
	v_bfe_i32 v2, v4, 0, 16
	s_cmp_gt_i32 s1, 9
	s_cbranch_scc0 .LBB94_3980
; %bb.3979:
	s_delay_alu instid0(VALU_DEP_1) | instskip(SKIP_2) | instid1(VALU_DEP_1)
	v_cvt_f64_i32_e32 v[6:7], v2
	v_mov_b32_e32 v8, 0
	s_mov_b32 s0, 0
	v_mov_b32_e32 v9, v8
	global_store_b128 v[0:1], v[6:9], off
.LBB94_3980:
	s_and_not1_b32 vcc_lo, exec_lo, s0
	s_cbranch_vccnz .LBB94_3982
; %bb.3981:
	v_cvt_f32_i32_e32 v2, v2
	v_mov_b32_e32 v3, 0
	global_store_b64 v[0:1], v[2:3], off
.LBB94_3982:
	s_mov_b32 s0, 0
.LBB94_3983:
	s_delay_alu instid0(SALU_CYCLE_1)
	s_and_not1_b32 vcc_lo, exec_lo, s0
	s_cbranch_vccnz .LBB94_3985
; %bb.3984:
	s_wait_loadcnt 0x0
	v_cvt_f16_i16_e32 v2, v4
	s_delay_alu instid0(VALU_DEP_1)
	v_and_b32_e32 v2, 0xffff, v2
	global_store_b32 v[0:1], v2, off
.LBB94_3985:
	s_mov_b32 s0, 0
.LBB94_3986:
	s_delay_alu instid0(SALU_CYCLE_1)
	s_and_not1_b32 vcc_lo, exec_lo, s0
	s_cbranch_vccnz .LBB94_3995
; %bb.3987:
	s_sext_i32_i16 s1, s22
	s_mov_b32 s0, -1
	s_cmp_lt_i32 s1, 6
	s_cbranch_scc1 .LBB94_3993
; %bb.3988:
	s_wait_loadcnt 0x0
	v_bfe_i32 v2, v4, 0, 16
	s_cmp_gt_i32 s1, 6
	s_cbranch_scc0 .LBB94_3990
; %bb.3989:
	s_delay_alu instid0(VALU_DEP_1)
	v_cvt_f64_i32_e32 v[6:7], v2
	s_mov_b32 s0, 0
	global_store_b64 v[0:1], v[6:7], off
.LBB94_3990:
	s_and_not1_b32 vcc_lo, exec_lo, s0
	s_cbranch_vccnz .LBB94_3992
; %bb.3991:
	v_cvt_f32_i32_e32 v2, v2
	global_store_b32 v[0:1], v2, off
.LBB94_3992:
	s_mov_b32 s0, 0
.LBB94_3993:
	s_delay_alu instid0(SALU_CYCLE_1)
	s_and_not1_b32 vcc_lo, exec_lo, s0
	s_cbranch_vccnz .LBB94_3995
; %bb.3994:
	s_wait_loadcnt 0x0
	v_cvt_f16_i16_e32 v2, v4
	global_store_b16 v[0:1], v2, off
.LBB94_3995:
	s_mov_b32 s0, 0
.LBB94_3996:
	s_delay_alu instid0(SALU_CYCLE_1)
	s_and_not1_b32 vcc_lo, exec_lo, s0
	s_cbranch_vccnz .LBB94_4012
; %bb.3997:
	s_sext_i32_i16 s1, s22
	s_mov_b32 s0, -1
	s_cmp_lt_i32 s1, 2
	s_cbranch_scc1 .LBB94_4007
; %bb.3998:
	s_cmp_lt_i32 s1, 3
	s_cbranch_scc1 .LBB94_4004
; %bb.3999:
	s_wait_loadcnt 0x0
	v_bfe_i32 v2, v4, 0, 16
	s_cmp_gt_i32 s1, 3
	s_cbranch_scc0 .LBB94_4001
; %bb.4000:
	s_delay_alu instid0(VALU_DEP_1)
	v_ashrrev_i32_e32 v3, 31, v2
	s_mov_b32 s0, 0
	global_store_b64 v[0:1], v[2:3], off
.LBB94_4001:
	s_and_not1_b32 vcc_lo, exec_lo, s0
	s_cbranch_vccnz .LBB94_4003
; %bb.4002:
	global_store_b32 v[0:1], v2, off
.LBB94_4003:
	s_mov_b32 s0, 0
.LBB94_4004:
	s_delay_alu instid0(SALU_CYCLE_1)
	s_and_not1_b32 vcc_lo, exec_lo, s0
	s_cbranch_vccnz .LBB94_4006
; %bb.4005:
	s_wait_loadcnt 0x0
	global_store_b16 v[0:1], v4, off
.LBB94_4006:
	s_mov_b32 s0, 0
.LBB94_4007:
	s_delay_alu instid0(SALU_CYCLE_1)
	s_and_not1_b32 vcc_lo, exec_lo, s0
	s_cbranch_vccnz .LBB94_4012
; %bb.4008:
	s_sext_i32_i16 s0, s22
	s_delay_alu instid0(SALU_CYCLE_1)
	s_cmp_gt_i32 s0, 0
	s_mov_b32 s0, -1
	s_cbranch_scc0 .LBB94_4010
; %bb.4009:
	s_mov_b32 s0, 0
	s_wait_loadcnt 0x0
	global_store_b8 v[0:1], v4, off
.LBB94_4010:
	s_and_not1_b32 vcc_lo, exec_lo, s0
	s_cbranch_vccnz .LBB94_4012
; %bb.4011:
	s_wait_loadcnt 0x0
	global_store_b8 v[0:1], v4, off
	s_endpgm
.LBB94_4012:
	s_endpgm
.LBB94_4013:
	s_mov_b32 s1, 0
	s_mov_b32 s0, -1
	s_branch .LBB94_3969
.LBB94_4014:
	s_or_b32 s18, s18, exec_lo
	s_trap 2
	s_cbranch_execz .LBB94_3483
	s_branch .LBB94_3484
.LBB94_4015:
	s_and_not1_saveexec_b32 s9, s9
	s_cbranch_execz .LBB94_3563
.LBB94_4016:
	v_add_f32_e64 v3, 0x46000000, |v2|
	s_and_not1_b32 s8, s8, exec_lo
	s_delay_alu instid0(VALU_DEP_1) | instskip(NEXT) | instid1(VALU_DEP_1)
	v_and_b32_e32 v3, 0xff, v3
	v_cmp_ne_u32_e32 vcc_lo, 0, v3
	s_and_b32 s10, vcc_lo, exec_lo
	s_delay_alu instid0(SALU_CYCLE_1)
	s_or_b32 s8, s8, s10
	s_or_b32 exec_lo, exec_lo, s9
	v_mov_b32_e32 v6, 0
	s_and_saveexec_b32 s9, s8
	s_cbranch_execnz .LBB94_3564
	s_branch .LBB94_3565
.LBB94_4017:
	s_or_b32 s18, s18, exec_lo
	s_trap 2
	s_cbranch_execz .LBB94_3611
	s_branch .LBB94_3612
.LBB94_4018:
	s_and_not1_saveexec_b32 s8, s8
	s_cbranch_execz .LBB94_3576
.LBB94_4019:
	v_add_f32_e64 v3, 0x42800000, |v2|
	s_and_not1_b32 s7, s7, exec_lo
	s_delay_alu instid0(VALU_DEP_1) | instskip(NEXT) | instid1(VALU_DEP_1)
	v_and_b32_e32 v3, 0xff, v3
	v_cmp_ne_u32_e32 vcc_lo, 0, v3
	s_and_b32 s9, vcc_lo, exec_lo
	s_delay_alu instid0(SALU_CYCLE_1)
	s_or_b32 s7, s7, s9
	s_or_b32 exec_lo, exec_lo, s8
	v_mov_b32_e32 v6, 0
	s_and_saveexec_b32 s8, s7
	s_cbranch_execnz .LBB94_3577
	s_branch .LBB94_3578
.LBB94_4020:
	s_and_not1_saveexec_b32 s10, s10
	s_cbranch_execz .LBB94_3682
.LBB94_4021:
	v_add_f32_e64 v5, 0x46000000, |v4|
	s_and_not1_b32 s9, s9, exec_lo
	s_delay_alu instid0(VALU_DEP_1) | instskip(NEXT) | instid1(VALU_DEP_1)
	v_and_b32_e32 v5, 0xff, v5
	v_cmp_ne_u32_e32 vcc_lo, 0, v5
	s_and_b32 s11, vcc_lo, exec_lo
	s_delay_alu instid0(SALU_CYCLE_1)
	s_or_b32 s9, s9, s11
	s_or_b32 exec_lo, exec_lo, s10
	v_mov_b32_e32 v6, 0
	s_and_saveexec_b32 s10, s9
	s_cbranch_execnz .LBB94_3683
	s_branch .LBB94_3684
.LBB94_4022:
	s_or_b32 s18, s18, exec_lo
	s_trap 2
	s_cbranch_execz .LBB94_3730
	s_branch .LBB94_3731
.LBB94_4023:
	s_and_not1_saveexec_b32 s9, s9
	s_cbranch_execz .LBB94_3695
.LBB94_4024:
	v_add_f32_e64 v5, 0x42800000, |v4|
	s_and_not1_b32 s8, s8, exec_lo
	s_delay_alu instid0(VALU_DEP_1) | instskip(NEXT) | instid1(VALU_DEP_1)
	v_and_b32_e32 v5, 0xff, v5
	v_cmp_ne_u32_e32 vcc_lo, 0, v5
	s_and_b32 s10, vcc_lo, exec_lo
	s_delay_alu instid0(SALU_CYCLE_1)
	s_or_b32 s8, s8, s10
	s_or_b32 exec_lo, exec_lo, s9
	v_mov_b32_e32 v6, 0
	s_and_saveexec_b32 s9, s8
	s_cbranch_execnz .LBB94_3696
	s_branch .LBB94_3697
.LBB94_4025:
	s_and_not1_saveexec_b32 s10, s10
	s_cbranch_execz .LBB94_3801
.LBB94_4026:
	v_add_f32_e64 v5, 0x46000000, |v4|
	s_and_not1_b32 s9, s9, exec_lo
	s_delay_alu instid0(VALU_DEP_1) | instskip(NEXT) | instid1(VALU_DEP_1)
	v_and_b32_e32 v5, 0xff, v5
	v_cmp_ne_u32_e32 vcc_lo, 0, v5
	s_and_b32 s11, vcc_lo, exec_lo
	s_delay_alu instid0(SALU_CYCLE_1)
	s_or_b32 s9, s9, s11
	s_or_b32 exec_lo, exec_lo, s10
	v_mov_b32_e32 v6, 0
	s_and_saveexec_b32 s10, s9
	s_cbranch_execnz .LBB94_3802
	s_branch .LBB94_3803
.LBB94_4027:
	s_or_b32 s18, s18, exec_lo
	s_trap 2
	s_cbranch_execz .LBB94_3849
	s_branch .LBB94_3850
.LBB94_4028:
	s_and_not1_saveexec_b32 s9, s9
	s_cbranch_execz .LBB94_3814
.LBB94_4029:
	v_add_f32_e64 v5, 0x42800000, |v4|
	s_and_not1_b32 s8, s8, exec_lo
	s_delay_alu instid0(VALU_DEP_1) | instskip(NEXT) | instid1(VALU_DEP_1)
	v_and_b32_e32 v5, 0xff, v5
	v_cmp_ne_u32_e32 vcc_lo, 0, v5
	s_and_b32 s10, vcc_lo, exec_lo
	s_delay_alu instid0(SALU_CYCLE_1)
	s_or_b32 s8, s8, s10
	s_or_b32 exec_lo, exec_lo, s9
	v_mov_b32_e32 v6, 0
	s_and_saveexec_b32 s9, s8
	s_cbranch_execnz .LBB94_3815
	s_branch .LBB94_3816
.LBB94_4030:
	s_and_not1_saveexec_b32 s5, s5
	s_cbranch_execz .LBB94_3921
.LBB94_4031:
	v_add_f32_e64 v3, 0x46000000, |v2|
	s_and_not1_b32 s4, s4, exec_lo
	s_delay_alu instid0(VALU_DEP_1) | instskip(NEXT) | instid1(VALU_DEP_1)
	v_and_b32_e32 v3, 0xff, v3
	v_cmp_ne_u32_e32 vcc_lo, 0, v3
	s_and_b32 s6, vcc_lo, exec_lo
	s_delay_alu instid0(SALU_CYCLE_1)
	s_or_b32 s4, s4, s6
	s_or_b32 exec_lo, exec_lo, s5
	v_mov_b32_e32 v5, 0
	s_and_saveexec_b32 s5, s4
	s_cbranch_execnz .LBB94_3922
	s_branch .LBB94_3923
.LBB94_4032:
	s_mov_b32 s1, 0
	s_or_b32 s18, s18, exec_lo
	s_trap 2
	s_branch .LBB94_3967
.LBB94_4033:
	s_and_not1_saveexec_b32 s4, s4
	s_cbranch_execz .LBB94_3933
.LBB94_4034:
	v_add_f32_e64 v3, 0x42800000, |v2|
	s_and_not1_b32 s3, s3, exec_lo
	s_delay_alu instid0(VALU_DEP_1) | instskip(NEXT) | instid1(VALU_DEP_1)
	v_and_b32_e32 v3, 0xff, v3
	v_cmp_ne_u32_e32 vcc_lo, 0, v3
	s_and_b32 s5, vcc_lo, exec_lo
	s_delay_alu instid0(SALU_CYCLE_1)
	s_or_b32 s3, s3, s5
	s_or_b32 exec_lo, exec_lo, s4
	v_mov_b32_e32 v5, 0
	s_and_saveexec_b32 s4, s3
	s_cbranch_execnz .LBB94_3934
	s_branch .LBB94_3935
	.section	.rodata,"a",@progbits
	.p2align	6, 0x0
	.amdhsa_kernel _ZN2at6native32elementwise_kernel_manual_unrollILi128ELi4EZNS0_15gpu_kernel_implIZZZNS0_12_GLOBAL__N_116addr_kernel_cudaERNS_14TensorIteratorERKN3c106ScalarES9_ENKUlvE_clEvENKUlvE3_clEvEUlsssE0_EEvRNS_18TensorIteratorBaseERKT_EUlibE_EEviT1_
		.amdhsa_group_segment_fixed_size 0
		.amdhsa_private_segment_fixed_size 0
		.amdhsa_kernarg_size 64
		.amdhsa_user_sgpr_count 2
		.amdhsa_user_sgpr_dispatch_ptr 0
		.amdhsa_user_sgpr_queue_ptr 0
		.amdhsa_user_sgpr_kernarg_segment_ptr 1
		.amdhsa_user_sgpr_dispatch_id 0
		.amdhsa_user_sgpr_kernarg_preload_length 0
		.amdhsa_user_sgpr_kernarg_preload_offset 0
		.amdhsa_user_sgpr_private_segment_size 0
		.amdhsa_wavefront_size32 1
		.amdhsa_uses_dynamic_stack 0
		.amdhsa_enable_private_segment 0
		.amdhsa_system_sgpr_workgroup_id_x 1
		.amdhsa_system_sgpr_workgroup_id_y 0
		.amdhsa_system_sgpr_workgroup_id_z 0
		.amdhsa_system_sgpr_workgroup_info 0
		.amdhsa_system_vgpr_workitem_id 0
		.amdhsa_next_free_vgpr 30
		.amdhsa_next_free_sgpr 44
		.amdhsa_named_barrier_count 0
		.amdhsa_reserve_vcc 1
		.amdhsa_float_round_mode_32 0
		.amdhsa_float_round_mode_16_64 0
		.amdhsa_float_denorm_mode_32 3
		.amdhsa_float_denorm_mode_16_64 3
		.amdhsa_fp16_overflow 0
		.amdhsa_memory_ordered 1
		.amdhsa_forward_progress 1
		.amdhsa_inst_pref_size 255
		.amdhsa_round_robin_scheduling 0
		.amdhsa_exception_fp_ieee_invalid_op 0
		.amdhsa_exception_fp_denorm_src 0
		.amdhsa_exception_fp_ieee_div_zero 0
		.amdhsa_exception_fp_ieee_overflow 0
		.amdhsa_exception_fp_ieee_underflow 0
		.amdhsa_exception_fp_ieee_inexact 0
		.amdhsa_exception_int_div_zero 0
	.end_amdhsa_kernel
	.section	.text._ZN2at6native32elementwise_kernel_manual_unrollILi128ELi4EZNS0_15gpu_kernel_implIZZZNS0_12_GLOBAL__N_116addr_kernel_cudaERNS_14TensorIteratorERKN3c106ScalarES9_ENKUlvE_clEvENKUlvE3_clEvEUlsssE0_EEvRNS_18TensorIteratorBaseERKT_EUlibE_EEviT1_,"axG",@progbits,_ZN2at6native32elementwise_kernel_manual_unrollILi128ELi4EZNS0_15gpu_kernel_implIZZZNS0_12_GLOBAL__N_116addr_kernel_cudaERNS_14TensorIteratorERKN3c106ScalarES9_ENKUlvE_clEvENKUlvE3_clEvEUlsssE0_EEvRNS_18TensorIteratorBaseERKT_EUlibE_EEviT1_,comdat
.Lfunc_end94:
	.size	_ZN2at6native32elementwise_kernel_manual_unrollILi128ELi4EZNS0_15gpu_kernel_implIZZZNS0_12_GLOBAL__N_116addr_kernel_cudaERNS_14TensorIteratorERKN3c106ScalarES9_ENKUlvE_clEvENKUlvE3_clEvEUlsssE0_EEvRNS_18TensorIteratorBaseERKT_EUlibE_EEviT1_, .Lfunc_end94-_ZN2at6native32elementwise_kernel_manual_unrollILi128ELi4EZNS0_15gpu_kernel_implIZZZNS0_12_GLOBAL__N_116addr_kernel_cudaERNS_14TensorIteratorERKN3c106ScalarES9_ENKUlvE_clEvENKUlvE3_clEvEUlsssE0_EEvRNS_18TensorIteratorBaseERKT_EUlibE_EEviT1_
                                        ; -- End function
	.set _ZN2at6native32elementwise_kernel_manual_unrollILi128ELi4EZNS0_15gpu_kernel_implIZZZNS0_12_GLOBAL__N_116addr_kernel_cudaERNS_14TensorIteratorERKN3c106ScalarES9_ENKUlvE_clEvENKUlvE3_clEvEUlsssE0_EEvRNS_18TensorIteratorBaseERKT_EUlibE_EEviT1_.num_vgpr, 30
	.set _ZN2at6native32elementwise_kernel_manual_unrollILi128ELi4EZNS0_15gpu_kernel_implIZZZNS0_12_GLOBAL__N_116addr_kernel_cudaERNS_14TensorIteratorERKN3c106ScalarES9_ENKUlvE_clEvENKUlvE3_clEvEUlsssE0_EEvRNS_18TensorIteratorBaseERKT_EUlibE_EEviT1_.num_agpr, 0
	.set _ZN2at6native32elementwise_kernel_manual_unrollILi128ELi4EZNS0_15gpu_kernel_implIZZZNS0_12_GLOBAL__N_116addr_kernel_cudaERNS_14TensorIteratorERKN3c106ScalarES9_ENKUlvE_clEvENKUlvE3_clEvEUlsssE0_EEvRNS_18TensorIteratorBaseERKT_EUlibE_EEviT1_.numbered_sgpr, 44
	.set _ZN2at6native32elementwise_kernel_manual_unrollILi128ELi4EZNS0_15gpu_kernel_implIZZZNS0_12_GLOBAL__N_116addr_kernel_cudaERNS_14TensorIteratorERKN3c106ScalarES9_ENKUlvE_clEvENKUlvE3_clEvEUlsssE0_EEvRNS_18TensorIteratorBaseERKT_EUlibE_EEviT1_.num_named_barrier, 0
	.set _ZN2at6native32elementwise_kernel_manual_unrollILi128ELi4EZNS0_15gpu_kernel_implIZZZNS0_12_GLOBAL__N_116addr_kernel_cudaERNS_14TensorIteratorERKN3c106ScalarES9_ENKUlvE_clEvENKUlvE3_clEvEUlsssE0_EEvRNS_18TensorIteratorBaseERKT_EUlibE_EEviT1_.private_seg_size, 0
	.set _ZN2at6native32elementwise_kernel_manual_unrollILi128ELi4EZNS0_15gpu_kernel_implIZZZNS0_12_GLOBAL__N_116addr_kernel_cudaERNS_14TensorIteratorERKN3c106ScalarES9_ENKUlvE_clEvENKUlvE3_clEvEUlsssE0_EEvRNS_18TensorIteratorBaseERKT_EUlibE_EEviT1_.uses_vcc, 1
	.set _ZN2at6native32elementwise_kernel_manual_unrollILi128ELi4EZNS0_15gpu_kernel_implIZZZNS0_12_GLOBAL__N_116addr_kernel_cudaERNS_14TensorIteratorERKN3c106ScalarES9_ENKUlvE_clEvENKUlvE3_clEvEUlsssE0_EEvRNS_18TensorIteratorBaseERKT_EUlibE_EEviT1_.uses_flat_scratch, 0
	.set _ZN2at6native32elementwise_kernel_manual_unrollILi128ELi4EZNS0_15gpu_kernel_implIZZZNS0_12_GLOBAL__N_116addr_kernel_cudaERNS_14TensorIteratorERKN3c106ScalarES9_ENKUlvE_clEvENKUlvE3_clEvEUlsssE0_EEvRNS_18TensorIteratorBaseERKT_EUlibE_EEviT1_.has_dyn_sized_stack, 0
	.set _ZN2at6native32elementwise_kernel_manual_unrollILi128ELi4EZNS0_15gpu_kernel_implIZZZNS0_12_GLOBAL__N_116addr_kernel_cudaERNS_14TensorIteratorERKN3c106ScalarES9_ENKUlvE_clEvENKUlvE3_clEvEUlsssE0_EEvRNS_18TensorIteratorBaseERKT_EUlibE_EEviT1_.has_recursion, 0
	.set _ZN2at6native32elementwise_kernel_manual_unrollILi128ELi4EZNS0_15gpu_kernel_implIZZZNS0_12_GLOBAL__N_116addr_kernel_cudaERNS_14TensorIteratorERKN3c106ScalarES9_ENKUlvE_clEvENKUlvE3_clEvEUlsssE0_EEvRNS_18TensorIteratorBaseERKT_EUlibE_EEviT1_.has_indirect_call, 0
	.section	.AMDGPU.csdata,"",@progbits
; Kernel info:
; codeLenInByte = 70008
; TotalNumSgprs: 46
; NumVgprs: 30
; ScratchSize: 0
; MemoryBound: 1
; FloatMode: 240
; IeeeMode: 1
; LDSByteSize: 0 bytes/workgroup (compile time only)
; SGPRBlocks: 0
; VGPRBlocks: 1
; NumSGPRsForWavesPerEU: 46
; NumVGPRsForWavesPerEU: 30
; NamedBarCnt: 0
; Occupancy: 16
; WaveLimiterHint : 0
; COMPUTE_PGM_RSRC2:SCRATCH_EN: 0
; COMPUTE_PGM_RSRC2:USER_SGPR: 2
; COMPUTE_PGM_RSRC2:TRAP_HANDLER: 0
; COMPUTE_PGM_RSRC2:TGID_X_EN: 1
; COMPUTE_PGM_RSRC2:TGID_Y_EN: 0
; COMPUTE_PGM_RSRC2:TGID_Z_EN: 0
; COMPUTE_PGM_RSRC2:TIDIG_COMP_CNT: 0
	.section	.text._ZN2at6native32elementwise_kernel_manual_unrollILi128ELi4EZNS0_15gpu_kernel_implIZZZNS0_12_GLOBAL__N_116addr_kernel_cudaERNS_14TensorIteratorERKN3c106ScalarES9_ENKUlvE_clEvENKUlvE3_clEvEUlsssE0_EEvRNS_18TensorIteratorBaseERKT_EUlibE0_EEviT1_,"axG",@progbits,_ZN2at6native32elementwise_kernel_manual_unrollILi128ELi4EZNS0_15gpu_kernel_implIZZZNS0_12_GLOBAL__N_116addr_kernel_cudaERNS_14TensorIteratorERKN3c106ScalarES9_ENKUlvE_clEvENKUlvE3_clEvEUlsssE0_EEvRNS_18TensorIteratorBaseERKT_EUlibE0_EEviT1_,comdat
	.globl	_ZN2at6native32elementwise_kernel_manual_unrollILi128ELi4EZNS0_15gpu_kernel_implIZZZNS0_12_GLOBAL__N_116addr_kernel_cudaERNS_14TensorIteratorERKN3c106ScalarES9_ENKUlvE_clEvENKUlvE3_clEvEUlsssE0_EEvRNS_18TensorIteratorBaseERKT_EUlibE0_EEviT1_ ; -- Begin function _ZN2at6native32elementwise_kernel_manual_unrollILi128ELi4EZNS0_15gpu_kernel_implIZZZNS0_12_GLOBAL__N_116addr_kernel_cudaERNS_14TensorIteratorERKN3c106ScalarES9_ENKUlvE_clEvENKUlvE3_clEvEUlsssE0_EEvRNS_18TensorIteratorBaseERKT_EUlibE0_EEviT1_
	.p2align	8
	.type	_ZN2at6native32elementwise_kernel_manual_unrollILi128ELi4EZNS0_15gpu_kernel_implIZZZNS0_12_GLOBAL__N_116addr_kernel_cudaERNS_14TensorIteratorERKN3c106ScalarES9_ENKUlvE_clEvENKUlvE3_clEvEUlsssE0_EEvRNS_18TensorIteratorBaseERKT_EUlibE0_EEviT1_,@function
_ZN2at6native32elementwise_kernel_manual_unrollILi128ELi4EZNS0_15gpu_kernel_implIZZZNS0_12_GLOBAL__N_116addr_kernel_cudaERNS_14TensorIteratorERKN3c106ScalarES9_ENKUlvE_clEvENKUlvE3_clEvEUlsssE0_EEvRNS_18TensorIteratorBaseERKT_EUlibE0_EEviT1_: ; @_ZN2at6native32elementwise_kernel_manual_unrollILi128ELi4EZNS0_15gpu_kernel_implIZZZNS0_12_GLOBAL__N_116addr_kernel_cudaERNS_14TensorIteratorERKN3c106ScalarES9_ENKUlvE_clEvENKUlvE3_clEvEUlsssE0_EEvRNS_18TensorIteratorBaseERKT_EUlibE0_EEviT1_
; %bb.0:
	s_clause 0x1
	s_load_b32 s33, s[0:1], 0x8
	s_load_b32 s46, s[0:1], 0x0
	s_bfe_u32 s2, ttmp6, 0x4000c
	s_and_b32 s3, ttmp6, 15
	s_add_co_i32 s2, s2, 1
	s_getreg_b32 s4, hwreg(HW_REG_IB_STS2, 6, 4)
	s_mul_i32 s2, ttmp9, s2
	s_mov_b32 s37, 0
	s_add_co_i32 s3, s3, s2
	s_cmp_eq_u32 s4, 0
	s_mov_b32 s31, -1
	s_cselect_b32 s2, ttmp9, s3
	s_mov_b32 s10, 0
	v_lshl_or_b32 v0, s2, 9, v0
	s_add_nc_u64 s[2:3], s[0:1], 8
	s_wait_xcnt 0x0
	s_mov_b32 s0, exec_lo
	s_delay_alu instid0(VALU_DEP_1) | instskip(SKIP_2) | instid1(SALU_CYCLE_1)
	v_or_b32_e32 v1, 0x180, v0
	s_wait_kmcnt 0x0
	s_add_co_i32 s36, s33, -1
	s_cmp_gt_u32 s36, 1
	s_cselect_b32 s38, -1, 0
	v_cmpx_le_i32_e64 s46, v1
	s_xor_b32 s39, exec_lo, s0
	s_cbranch_execz .LBB95_2061
; %bb.1:
	s_clause 0x4
	s_load_b128 s[20:23], s[2:3], 0x4
	s_load_b64 s[0:1], s[2:3], 0x14
	s_load_b64 s[24:25], s[2:3], 0x1e8
	s_load_b256 s[12:19], s[2:3], 0xc4
	s_load_b256 s[4:11], s[2:3], 0x1c8
	s_cmp_lg_u32 s33, 0
	s_mov_b32 s27, 0
	s_cselect_b32 s47, -1, 0
	s_min_u32 s45, s36, 15
	s_cmp_gt_u32 s33, 1
	s_mov_b32 s29, s27
	s_mov_b32 s50, s27
	;; [unrolled: 1-line block ×3, first 2 shown]
	s_cselect_b32 s43, -1, 0
	s_mov_b32 s48, s27
	s_mov_b32 s44, s27
	s_mov_b32 s51, exec_lo
	s_wait_kmcnt 0x0
	s_mov_b32 s26, s21
	s_mov_b32 s28, s0
	s_lshr_b32 s21, s24, 16
	s_lshr_b32 s41, s25, 16
	;; [unrolled: 1-line block ×4, first 2 shown]
	v_cmpx_gt_i32_e64 s46, v0
	s_cbranch_execz .LBB95_511
; %bb.2:
	s_and_not1_b32 vcc_lo, exec_lo, s38
	s_cbranch_vccnz .LBB95_8
; %bb.3:
	s_and_not1_b32 vcc_lo, exec_lo, s47
	s_cbranch_vccnz .LBB95_9
; %bb.4:
	v_dual_mov_b32 v8, 0 :: v_dual_mov_b32 v1, v0
	v_dual_mov_b32 v6, 0 :: v_dual_mov_b32 v2, 0
	v_mov_b32_e32 v4, 0
	s_add_co_i32 s0, s45, 1
	s_mov_b64 s[30:31], 0xffffffffffffffe0
	s_and_b32 s0, s0, 30
	s_add_nc_u64 s[30:31], s[2:3], s[30:31]
	s_mov_b64 s[34:35], s[2:3]
.LBB95_5:                               ; =>This Inner Loop Header: Depth=1
	s_clause 0x1
	s_load_b128 s[60:63], s[34:35], 0x4
	s_load_b64 s[48:49], s[34:35], 0x14
	s_load_b256 s[52:59], s[30:31], 0xe4
	s_add_co_i32 s0, s0, -2
	s_wait_xcnt 0x0
	s_add_nc_u64 s[34:35], s[34:35], 24
	s_cmp_lg_u32 s0, 0
	s_add_nc_u64 s[30:31], s[30:31], 32
	s_wait_kmcnt 0x0
	v_mul_hi_u32 v3, s61, v1
	s_delay_alu instid0(VALU_DEP_1) | instskip(NEXT) | instid1(VALU_DEP_1)
	v_add_nc_u32_e32 v3, v1, v3
	v_lshrrev_b32_e32 v3, s62, v3
	s_delay_alu instid0(VALU_DEP_1) | instskip(SKIP_1) | instid1(VALU_DEP_1)
	v_mul_hi_u32 v5, s48, v3
	v_mul_lo_u32 v7, v3, s60
	v_dual_add_nc_u32 v5, v3, v5 :: v_dual_sub_nc_u32 v7, v1, v7
	s_delay_alu instid0(VALU_DEP_1) | instskip(NEXT) | instid1(VALU_DEP_2)
	v_lshrrev_b32_e32 v1, s49, v5
	v_mad_u32 v4, v7, s53, v4
	v_mad_u32 v2, v7, s52, v2
	;; [unrolled: 1-line block ×4, first 2 shown]
	v_mul_lo_u32 v5, v1, s63
	s_delay_alu instid0(VALU_DEP_1) | instskip(NEXT) | instid1(VALU_DEP_1)
	v_sub_nc_u32_e32 v3, v3, v5
	v_mad_u32 v4, v3, s57, v4
	v_mad_u32 v2, v3, s56, v2
	;; [unrolled: 1-line block ×4, first 2 shown]
	s_cbranch_scc1 .LBB95_5
; %bb.6:
	s_bitcmp1_b32 s45, 0
	s_cselect_b32 s0, -1, 0
	s_delay_alu instid0(SALU_CYCLE_1)
	s_and_b32 vcc_lo, exec_lo, s0
	s_cbranch_vccnz .LBB95_10
; %bb.7:
	s_load_b96 s[48:50], s[34:35], 0x4
	s_load_b128 s[52:55], s[30:31], 0xe4
	s_wait_kmcnt 0x0
	v_mul_hi_u32 v3, s49, v1
	s_delay_alu instid0(VALU_DEP_1) | instskip(NEXT) | instid1(VALU_DEP_1)
	v_add_nc_u32_e32 v3, v1, v3
	v_lshrrev_b32_e32 v3, s50, v3
	s_delay_alu instid0(VALU_DEP_1) | instskip(NEXT) | instid1(VALU_DEP_1)
	v_mul_lo_u32 v3, v3, s48
	v_sub_nc_u32_e32 v1, v1, v3
	s_delay_alu instid0(VALU_DEP_1)
	v_mad_u32 v2, v1, s52, v2
	v_mad_u32 v4, v1, s53, v4
	;; [unrolled: 1-line block ×4, first 2 shown]
	s_cbranch_execz .LBB95_11
	s_branch .LBB95_13
.LBB95_8:
                                        ; implicit-def: $vgpr4
                                        ; implicit-def: $vgpr2
                                        ; implicit-def: $vgpr6
                                        ; implicit-def: $vgpr8
	s_branch .LBB95_11
.LBB95_9:
	v_dual_mov_b32 v4, 0 :: v_dual_mov_b32 v2, 0
	v_dual_mov_b32 v6, 0 :: v_dual_mov_b32 v8, 0
.LBB95_10:
	s_cbranch_execnz .LBB95_13
.LBB95_11:
	v_mov_b32_e32 v1, 0
	s_and_not1_b32 vcc_lo, exec_lo, s43
	s_delay_alu instid0(VALU_DEP_1) | instskip(NEXT) | instid1(VALU_DEP_1)
	v_mul_u64_e32 v[2:3], s[26:27], v[0:1]
	v_add_nc_u32_e32 v2, v0, v3
	s_delay_alu instid0(VALU_DEP_1) | instskip(NEXT) | instid1(VALU_DEP_1)
	v_lshrrev_b32_e32 v10, s22, v2
	v_mul_lo_u32 v2, v10, s20
	s_delay_alu instid0(VALU_DEP_1) | instskip(NEXT) | instid1(VALU_DEP_1)
	v_sub_nc_u32_e32 v3, v0, v2
	v_mul_lo_u32 v4, v3, s13
	v_mul_lo_u32 v2, v3, s12
	;; [unrolled: 1-line block ×4, first 2 shown]
	s_cbranch_vccnz .LBB95_13
; %bb.12:
	v_mov_b32_e32 v11, v1
	s_delay_alu instid0(VALU_DEP_1) | instskip(NEXT) | instid1(VALU_DEP_1)
	v_mul_u64_e32 v[12:13], s[28:29], v[10:11]
	v_add_nc_u32_e32 v1, v10, v13
	s_delay_alu instid0(VALU_DEP_1) | instskip(NEXT) | instid1(VALU_DEP_1)
	v_lshrrev_b32_e32 v1, s1, v1
	v_mul_lo_u32 v1, v1, s23
	s_delay_alu instid0(VALU_DEP_1) | instskip(NEXT) | instid1(VALU_DEP_1)
	v_sub_nc_u32_e32 v1, v10, v1
	v_mad_u32 v2, v1, s16, v2
	v_mad_u32 v4, v1, s17, v4
	;; [unrolled: 1-line block ×4, first 2 shown]
.LBB95_13:
	v_mov_b32_e32 v5, 0
	s_and_b32 s0, s42, 0xff
	s_delay_alu instid0(SALU_CYCLE_1) | instskip(NEXT) | instid1(VALU_DEP_1)
	s_cmp_lt_i32 s0, 11
	v_add_nc_u64_e32 v[10:11], s[6:7], v[4:5]
	s_cbranch_scc1 .LBB95_20
; %bb.14:
	s_and_b32 s31, 0xffff, s0
	s_delay_alu instid0(SALU_CYCLE_1)
	s_cmp_gt_i32 s31, 25
	s_cbranch_scc0 .LBB95_29
; %bb.15:
	s_cmp_gt_i32 s31, 28
	s_cbranch_scc0 .LBB95_39
; %bb.16:
	;; [unrolled: 3-line block ×4, first 2 shown]
	s_cmp_eq_u32 s31, 46
	s_mov_b32 s35, 0
	s_cbranch_scc0 .LBB95_48
; %bb.19:
	global_load_b32 v1, v[10:11], off
	s_mov_b32 s34, -1
	s_mov_b32 s30, 0
	s_wait_loadcnt 0x0
	v_lshlrev_b32_e32 v1, 16, v1
	s_delay_alu instid0(VALU_DEP_1)
	v_cvt_i32_f32_e32 v4, v1
	s_branch .LBB95_50
.LBB95_20:
	s_mov_b32 s30, 0
	s_mov_b32 s34, 0
                                        ; implicit-def: $vgpr4
	s_cbranch_execnz .LBB95_112
.LBB95_21:
	s_and_not1_b32 vcc_lo, exec_lo, s34
	s_cbranch_vccnz .LBB95_159
.LBB95_22:
	v_mov_b32_e32 v9, 0
	s_and_b32 s0, s41, 0xff
	s_delay_alu instid0(SALU_CYCLE_1) | instskip(SKIP_1) | instid1(VALU_DEP_1)
	s_cmp_lt_i32 s0, 11
	s_wait_xcnt 0x0
	v_add_nc_u64_e32 v[10:11], s[8:9], v[8:9]
	s_cbranch_scc1 .LBB95_30
; %bb.23:
	s_and_b32 s34, 0xffff, s0
	s_delay_alu instid0(SALU_CYCLE_1)
	s_cmp_gt_i32 s34, 25
	s_cbranch_scc0 .LBB95_40
; %bb.24:
	s_cmp_gt_i32 s34, 28
	s_cbranch_scc0 .LBB95_43
; %bb.25:
	;; [unrolled: 3-line block ×4, first 2 shown]
	s_cmp_eq_u32 s34, 46
	s_mov_b32 s44, 0
	s_cbranch_scc0 .LBB95_160
; %bb.28:
	global_load_b32 v1, v[10:11], off
	s_mov_b32 s35, -1
	s_mov_b32 s31, 0
	s_wait_loadcnt 0x0
	v_lshlrev_b32_e32 v1, 16, v1
	s_delay_alu instid0(VALU_DEP_1)
	v_cvt_i32_f32_e32 v8, v1
	s_branch .LBB95_162
.LBB95_29:
	s_mov_b32 s30, 0
	s_mov_b32 s34, 0
                                        ; implicit-def: $vgpr4
	s_cbranch_execnz .LBB95_79
	s_branch .LBB95_111
.LBB95_30:
	s_mov_b32 s31, 0
	s_mov_b32 s35, 0
                                        ; implicit-def: $vgpr8
	s_cbranch_execnz .LBB95_224
.LBB95_31:
	s_and_not1_b32 vcc_lo, exec_lo, s35
	s_cbranch_vccnz .LBB95_272
.LBB95_32:
	v_mov_b32_e32 v7, 0
	s_and_b32 s0, 0xffff, s40
	s_delay_alu instid0(SALU_CYCLE_1) | instskip(NEXT) | instid1(VALU_DEP_1)
	s_cmp_lt_i32 s0, 11
	v_add_nc_u64_e32 v[6:7], s[10:11], v[6:7]
	s_cbranch_scc1 .LBB95_41
; %bb.33:
	s_cmp_gt_i32 s0, 25
	s_cbranch_scc0 .LBB95_44
; %bb.34:
	s_cmp_gt_i32 s0, 28
	s_cbranch_scc0 .LBB95_47
; %bb.35:
	s_cmp_gt_i32 s0, 43
	s_cbranch_scc0 .LBB95_54
; %bb.36:
	s_cmp_gt_i32 s0, 45
	s_cbranch_scc0 .LBB95_165
; %bb.37:
	s_cmp_eq_u32 s0, 46
	s_mov_b32 s44, 0
	s_cbranch_scc0 .LBB95_273
; %bb.38:
	global_load_b32 v1, v[6:7], off
	s_mov_b32 s35, -1
	s_mov_b32 s34, 0
	s_wait_loadcnt 0x0
	v_lshlrev_b32_e32 v1, 16, v1
	s_delay_alu instid0(VALU_DEP_1)
	v_cvt_i32_f32_e32 v10, v1
	s_branch .LBB95_275
.LBB95_39:
	s_mov_b32 s35, -1
	s_mov_b32 s30, 0
	s_mov_b32 s34, 0
                                        ; implicit-def: $vgpr4
	s_branch .LBB95_62
.LBB95_40:
	s_mov_b32 s44, -1
	s_mov_b32 s31, 0
	s_mov_b32 s35, 0
                                        ; implicit-def: $vgpr8
	s_branch .LBB95_190
.LBB95_41:
	s_mov_b32 s44, -1
	s_mov_b32 s34, 0
	s_mov_b32 s35, 0
                                        ; implicit-def: $vgpr10
	s_branch .LBB95_336
.LBB95_42:
	s_mov_b32 s35, -1
	s_mov_b32 s30, 0
	s_mov_b32 s34, 0
                                        ; implicit-def: $vgpr4
	s_branch .LBB95_57
.LBB95_43:
	s_mov_b32 s44, -1
	s_mov_b32 s31, 0
	s_mov_b32 s35, 0
                                        ; implicit-def: $vgpr8
	s_branch .LBB95_173
.LBB95_44:
	s_mov_b32 s44, -1
	s_mov_b32 s34, 0
	s_mov_b32 s35, 0
                                        ; implicit-def: $vgpr10
	s_branch .LBB95_302
.LBB95_45:
	s_mov_b32 s35, -1
	s_mov_b32 s30, 0
	s_branch .LBB95_49
.LBB95_46:
	s_mov_b32 s44, -1
	s_mov_b32 s31, 0
	s_mov_b32 s35, 0
                                        ; implicit-def: $vgpr8
	s_branch .LBB95_168
.LBB95_47:
	s_mov_b32 s44, -1
	s_mov_b32 s34, 0
	s_mov_b32 s35, 0
                                        ; implicit-def: $vgpr10
	s_branch .LBB95_285
.LBB95_48:
	s_mov_b32 s30, -1
.LBB95_49:
	s_mov_b32 s34, 0
                                        ; implicit-def: $vgpr4
.LBB95_50:
	s_and_b32 vcc_lo, exec_lo, s35
	s_cbranch_vccz .LBB95_56
; %bb.51:
	s_cmp_eq_u32 s31, 44
	s_cbranch_scc0 .LBB95_55
; %bb.52:
	global_load_u8 v1, v[10:11], off
	s_mov_b32 s30, 0
	s_mov_b32 s34, -1
	s_wait_loadcnt 0x0
	v_lshlrev_b32_e32 v3, 23, v1
	v_cmp_ne_u32_e32 vcc_lo, 0, v1
	s_delay_alu instid0(VALU_DEP_2) | instskip(NEXT) | instid1(VALU_DEP_1)
	v_cvt_i32_f32_e32 v3, v3
	v_cndmask_b32_e32 v4, 0, v3, vcc_lo
	s_branch .LBB95_56
.LBB95_53:
	s_mov_b32 s44, -1
	s_mov_b32 s31, 0
	s_branch .LBB95_161
.LBB95_54:
	s_mov_b32 s44, -1
	s_mov_b32 s34, 0
	s_mov_b32 s35, 0
                                        ; implicit-def: $vgpr10
	s_branch .LBB95_280
.LBB95_55:
	s_mov_b32 s30, -1
                                        ; implicit-def: $vgpr4
.LBB95_56:
	s_mov_b32 s35, 0
.LBB95_57:
	s_delay_alu instid0(SALU_CYCLE_1)
	s_and_b32 vcc_lo, exec_lo, s35
	s_cbranch_vccz .LBB95_61
; %bb.58:
	s_cmp_eq_u32 s31, 29
	s_cbranch_scc0 .LBB95_60
; %bb.59:
	global_load_b64 v[4:5], v[10:11], off
	s_mov_b32 s34, -1
	s_mov_b32 s30, 0
	s_branch .LBB95_61
.LBB95_60:
	s_mov_b32 s30, -1
                                        ; implicit-def: $vgpr4
.LBB95_61:
	s_mov_b32 s35, 0
.LBB95_62:
	s_delay_alu instid0(SALU_CYCLE_1)
	s_and_b32 vcc_lo, exec_lo, s35
	s_cbranch_vccz .LBB95_78
; %bb.63:
	s_cmp_lt_i32 s31, 27
	s_cbranch_scc1 .LBB95_66
; %bb.64:
	s_cmp_gt_i32 s31, 27
	s_cbranch_scc0 .LBB95_67
; %bb.65:
	s_wait_loadcnt 0x0
	global_load_b32 v4, v[10:11], off
	s_mov_b32 s34, 0
	s_branch .LBB95_68
.LBB95_66:
	s_mov_b32 s34, -1
                                        ; implicit-def: $vgpr4
	s_branch .LBB95_71
.LBB95_67:
	s_mov_b32 s34, -1
                                        ; implicit-def: $vgpr4
.LBB95_68:
	s_delay_alu instid0(SALU_CYCLE_1)
	s_and_not1_b32 vcc_lo, exec_lo, s34
	s_cbranch_vccnz .LBB95_70
; %bb.69:
	s_wait_loadcnt 0x0
	global_load_u16 v4, v[10:11], off
.LBB95_70:
	s_mov_b32 s34, 0
.LBB95_71:
	s_delay_alu instid0(SALU_CYCLE_1)
	s_and_not1_b32 vcc_lo, exec_lo, s34
	s_cbranch_vccnz .LBB95_77
; %bb.72:
	global_load_u8 v1, v[10:11], off
	s_mov_b32 s35, 0
	s_mov_b32 s34, exec_lo
	s_wait_loadcnt 0x0
	v_cmpx_lt_i16_e32 0x7f, v1
	s_xor_b32 s34, exec_lo, s34
	s_cbranch_execz .LBB95_88
; %bb.73:
	v_cmp_ne_u16_e32 vcc_lo, 0x80, v1
	s_and_b32 s35, vcc_lo, exec_lo
	s_and_not1_saveexec_b32 s34, s34
	s_cbranch_execnz .LBB95_89
.LBB95_74:
	s_or_b32 exec_lo, exec_lo, s34
	v_mov_b32_e32 v4, 0
	s_and_saveexec_b32 s34, s35
	s_cbranch_execz .LBB95_76
.LBB95_75:
	v_and_b32_e32 v3, 0xffff, v1
	s_delay_alu instid0(VALU_DEP_1) | instskip(SKIP_1) | instid1(VALU_DEP_2)
	v_and_b32_e32 v4, 7, v3
	v_bfe_u32 v9, v3, 3, 4
	v_clz_i32_u32_e32 v5, v4
	s_delay_alu instid0(VALU_DEP_2) | instskip(NEXT) | instid1(VALU_DEP_2)
	v_cmp_eq_u32_e32 vcc_lo, 0, v9
	v_min_u32_e32 v5, 32, v5
	s_delay_alu instid0(VALU_DEP_1) | instskip(NEXT) | instid1(VALU_DEP_1)
	v_subrev_nc_u32_e32 v7, 28, v5
	v_dual_lshlrev_b32 v3, v7, v3 :: v_dual_sub_nc_u32 v5, 29, v5
	s_delay_alu instid0(VALU_DEP_1) | instskip(NEXT) | instid1(VALU_DEP_1)
	v_dual_lshlrev_b32 v1, 24, v1 :: v_dual_bitop2_b32 v3, 7, v3 bitop3:0x40
	v_dual_cndmask_b32 v3, v4, v3, vcc_lo :: v_dual_cndmask_b32 v5, v9, v5, vcc_lo
	s_delay_alu instid0(VALU_DEP_2) | instskip(NEXT) | instid1(VALU_DEP_2)
	v_and_b32_e32 v1, 0x80000000, v1
	v_lshlrev_b32_e32 v3, 20, v3
	s_delay_alu instid0(VALU_DEP_3) | instskip(NEXT) | instid1(VALU_DEP_1)
	v_lshl_add_u32 v4, v5, 23, 0x3b800000
	v_or3_b32 v1, v1, v4, v3
	s_delay_alu instid0(VALU_DEP_1)
	v_cvt_i32_f32_e32 v4, v1
.LBB95_76:
	s_or_b32 exec_lo, exec_lo, s34
.LBB95_77:
	s_mov_b32 s34, -1
.LBB95_78:
	s_branch .LBB95_111
.LBB95_79:
	s_cmp_gt_i32 s31, 22
	s_cbranch_scc0 .LBB95_87
; %bb.80:
	s_cmp_lt_i32 s31, 24
	s_cbranch_scc1 .LBB95_90
; %bb.81:
	s_cmp_gt_i32 s31, 24
	s_cbranch_scc0 .LBB95_91
; %bb.82:
	global_load_u8 v1, v[10:11], off
	s_mov_b32 s35, 0
	s_mov_b32 s34, exec_lo
	s_wait_loadcnt 0x0
	v_cmpx_lt_i16_e32 0x7f, v1
	s_xor_b32 s34, exec_lo, s34
	s_cbranch_execz .LBB95_103
; %bb.83:
	v_cmp_ne_u16_e32 vcc_lo, 0x80, v1
	s_and_b32 s35, vcc_lo, exec_lo
	s_and_not1_saveexec_b32 s34, s34
	s_cbranch_execnz .LBB95_104
.LBB95_84:
	s_or_b32 exec_lo, exec_lo, s34
	v_mov_b32_e32 v4, 0
	s_and_saveexec_b32 s34, s35
	s_cbranch_execz .LBB95_86
.LBB95_85:
	v_and_b32_e32 v3, 0xffff, v1
	s_delay_alu instid0(VALU_DEP_1) | instskip(SKIP_1) | instid1(VALU_DEP_2)
	v_and_b32_e32 v4, 3, v3
	v_bfe_u32 v9, v3, 2, 5
	v_clz_i32_u32_e32 v5, v4
	s_delay_alu instid0(VALU_DEP_2) | instskip(NEXT) | instid1(VALU_DEP_2)
	v_cmp_eq_u32_e32 vcc_lo, 0, v9
	v_min_u32_e32 v5, 32, v5
	s_delay_alu instid0(VALU_DEP_1) | instskip(NEXT) | instid1(VALU_DEP_1)
	v_subrev_nc_u32_e32 v7, 29, v5
	v_dual_lshlrev_b32 v3, v7, v3 :: v_dual_sub_nc_u32 v5, 30, v5
	s_delay_alu instid0(VALU_DEP_1) | instskip(NEXT) | instid1(VALU_DEP_1)
	v_dual_lshlrev_b32 v1, 24, v1 :: v_dual_bitop2_b32 v3, 3, v3 bitop3:0x40
	v_dual_cndmask_b32 v3, v4, v3, vcc_lo :: v_dual_cndmask_b32 v5, v9, v5, vcc_lo
	s_delay_alu instid0(VALU_DEP_2) | instskip(NEXT) | instid1(VALU_DEP_2)
	v_and_b32_e32 v1, 0x80000000, v1
	v_lshlrev_b32_e32 v3, 21, v3
	s_delay_alu instid0(VALU_DEP_3) | instskip(NEXT) | instid1(VALU_DEP_1)
	v_lshl_add_u32 v4, v5, 23, 0x37800000
	v_or3_b32 v1, v1, v4, v3
	s_delay_alu instid0(VALU_DEP_1)
	v_cvt_i32_f32_e32 v4, v1
.LBB95_86:
	s_or_b32 exec_lo, exec_lo, s34
	s_mov_b32 s34, 0
	s_branch .LBB95_92
.LBB95_87:
	s_mov_b32 s35, -1
                                        ; implicit-def: $vgpr4
	s_branch .LBB95_98
.LBB95_88:
	s_and_not1_saveexec_b32 s34, s34
	s_cbranch_execz .LBB95_74
.LBB95_89:
	v_cmp_ne_u16_e32 vcc_lo, 0, v1
	s_and_not1_b32 s35, s35, exec_lo
	s_and_b32 s44, vcc_lo, exec_lo
	s_delay_alu instid0(SALU_CYCLE_1)
	s_or_b32 s35, s35, s44
	s_or_b32 exec_lo, exec_lo, s34
	v_mov_b32_e32 v4, 0
	s_and_saveexec_b32 s34, s35
	s_cbranch_execnz .LBB95_75
	s_branch .LBB95_76
.LBB95_90:
	s_mov_b32 s34, -1
                                        ; implicit-def: $vgpr4
	s_branch .LBB95_95
.LBB95_91:
	s_mov_b32 s34, -1
                                        ; implicit-def: $vgpr4
.LBB95_92:
	s_delay_alu instid0(SALU_CYCLE_1)
	s_and_b32 vcc_lo, exec_lo, s34
	s_cbranch_vccz .LBB95_94
; %bb.93:
	global_load_u8 v1, v[10:11], off
	s_wait_loadcnt 0x0
	v_lshlrev_b32_e32 v1, 24, v1
	s_delay_alu instid0(VALU_DEP_1) | instskip(NEXT) | instid1(VALU_DEP_1)
	v_and_b32_e32 v3, 0x7f000000, v1
	v_clz_i32_u32_e32 v4, v3
	v_add_nc_u32_e32 v7, 0x1000000, v3
	v_cmp_ne_u32_e32 vcc_lo, 0, v3
	s_delay_alu instid0(VALU_DEP_3) | instskip(NEXT) | instid1(VALU_DEP_1)
	v_min_u32_e32 v4, 32, v4
	v_sub_nc_u32_e64 v4, v4, 4 clamp
	s_delay_alu instid0(VALU_DEP_1) | instskip(NEXT) | instid1(VALU_DEP_1)
	v_dual_lshlrev_b32 v5, v4, v3 :: v_dual_lshlrev_b32 v4, 23, v4
	v_lshrrev_b32_e32 v5, 4, v5
	s_delay_alu instid0(VALU_DEP_1) | instskip(NEXT) | instid1(VALU_DEP_1)
	v_dual_sub_nc_u32 v4, v5, v4 :: v_dual_ashrrev_i32 v5, 8, v7
	v_add_nc_u32_e32 v4, 0x3c000000, v4
	s_delay_alu instid0(VALU_DEP_1) | instskip(NEXT) | instid1(VALU_DEP_1)
	v_and_or_b32 v4, 0x7f800000, v5, v4
	v_cndmask_b32_e32 v3, 0, v4, vcc_lo
	s_delay_alu instid0(VALU_DEP_1) | instskip(NEXT) | instid1(VALU_DEP_1)
	v_and_or_b32 v1, 0x80000000, v1, v3
	v_cvt_i32_f32_e32 v4, v1
.LBB95_94:
	s_mov_b32 s34, 0
.LBB95_95:
	s_delay_alu instid0(SALU_CYCLE_1)
	s_and_not1_b32 vcc_lo, exec_lo, s34
	s_cbranch_vccnz .LBB95_97
; %bb.96:
	global_load_u8 v1, v[10:11], off
	s_wait_loadcnt 0x0
	v_lshlrev_b32_e32 v3, 25, v1
	v_lshlrev_b16 v1, 8, v1
	s_delay_alu instid0(VALU_DEP_1) | instskip(NEXT) | instid1(VALU_DEP_3)
	v_and_or_b32 v5, 0x7f00, v1, 0.5
	v_lshrrev_b32_e32 v4, 4, v3
	v_bfe_i32 v1, v1, 0, 16
	s_delay_alu instid0(VALU_DEP_3) | instskip(NEXT) | instid1(VALU_DEP_3)
	v_add_f32_e32 v5, -0.5, v5
	v_or_b32_e32 v4, 0x70000000, v4
	s_delay_alu instid0(VALU_DEP_1) | instskip(SKIP_1) | instid1(VALU_DEP_2)
	v_mul_f32_e32 v4, 0x7800000, v4
	v_cmp_gt_u32_e32 vcc_lo, 0x8000000, v3
	v_cndmask_b32_e32 v3, v4, v5, vcc_lo
	s_delay_alu instid0(VALU_DEP_1) | instskip(NEXT) | instid1(VALU_DEP_1)
	v_and_or_b32 v1, 0x80000000, v1, v3
	v_cvt_i32_f32_e32 v4, v1
.LBB95_97:
	s_mov_b32 s35, 0
	s_mov_b32 s34, -1
.LBB95_98:
	s_and_not1_b32 vcc_lo, exec_lo, s35
	s_cbranch_vccnz .LBB95_111
; %bb.99:
	s_cmp_gt_i32 s31, 14
	s_cbranch_scc0 .LBB95_102
; %bb.100:
	s_cmp_eq_u32 s31, 15
	s_cbranch_scc0 .LBB95_105
; %bb.101:
	global_load_u16 v1, v[10:11], off
	s_mov_b32 s34, -1
	s_mov_b32 s30, 0
	s_wait_loadcnt 0x0
	v_lshlrev_b32_e32 v1, 16, v1
	s_delay_alu instid0(VALU_DEP_1)
	v_cvt_i32_f32_e32 v4, v1
	s_branch .LBB95_106
.LBB95_102:
	s_mov_b32 s35, -1
                                        ; implicit-def: $vgpr4
	s_branch .LBB95_107
.LBB95_103:
	s_and_not1_saveexec_b32 s34, s34
	s_cbranch_execz .LBB95_84
.LBB95_104:
	v_cmp_ne_u16_e32 vcc_lo, 0, v1
	s_and_not1_b32 s35, s35, exec_lo
	s_and_b32 s44, vcc_lo, exec_lo
	s_delay_alu instid0(SALU_CYCLE_1)
	s_or_b32 s35, s35, s44
	s_or_b32 exec_lo, exec_lo, s34
	v_mov_b32_e32 v4, 0
	s_and_saveexec_b32 s34, s35
	s_cbranch_execnz .LBB95_85
	s_branch .LBB95_86
.LBB95_105:
	s_mov_b32 s30, -1
                                        ; implicit-def: $vgpr4
.LBB95_106:
	s_mov_b32 s35, 0
.LBB95_107:
	s_delay_alu instid0(SALU_CYCLE_1)
	s_and_b32 vcc_lo, exec_lo, s35
	s_cbranch_vccz .LBB95_111
; %bb.108:
	s_cmp_eq_u32 s31, 11
	s_cbranch_scc0 .LBB95_110
; %bb.109:
	global_load_u8 v1, v[10:11], off
	s_mov_b32 s30, 0
	s_mov_b32 s34, -1
	s_wait_loadcnt 0x0
	v_cmp_ne_u16_e32 vcc_lo, 0, v1
	v_cndmask_b32_e64 v4, 0, 1, vcc_lo
	s_branch .LBB95_111
.LBB95_110:
	s_mov_b32 s30, -1
                                        ; implicit-def: $vgpr4
.LBB95_111:
	s_branch .LBB95_21
.LBB95_112:
	s_and_b32 s0, 0xffff, s0
	s_delay_alu instid0(SALU_CYCLE_1)
	s_cmp_lt_i32 s0, 5
	s_cbranch_scc1 .LBB95_117
; %bb.113:
	s_cmp_lt_i32 s0, 8
	s_cbranch_scc1 .LBB95_118
; %bb.114:
	;; [unrolled: 3-line block ×3, first 2 shown]
	s_cmp_gt_i32 s0, 9
	s_cbranch_scc0 .LBB95_120
; %bb.116:
	s_wait_loadcnt 0x0
	global_load_b64 v[4:5], v[10:11], off
	s_mov_b32 s31, 0
	s_wait_loadcnt 0x0
	v_cvt_i32_f64_e32 v4, v[4:5]
	s_branch .LBB95_121
.LBB95_117:
                                        ; implicit-def: $vgpr4
	s_branch .LBB95_139
.LBB95_118:
	s_mov_b32 s31, -1
                                        ; implicit-def: $vgpr4
	s_branch .LBB95_127
.LBB95_119:
	s_mov_b32 s31, -1
                                        ; implicit-def: $vgpr4
	s_branch .LBB95_124
.LBB95_120:
	s_mov_b32 s31, -1
                                        ; implicit-def: $vgpr4
.LBB95_121:
	s_delay_alu instid0(SALU_CYCLE_1)
	s_and_not1_b32 vcc_lo, exec_lo, s31
	s_cbranch_vccnz .LBB95_123
; %bb.122:
	global_load_b32 v1, v[10:11], off
	s_wait_loadcnt 0x0
	v_cvt_i32_f32_e32 v4, v1
.LBB95_123:
	s_mov_b32 s31, 0
.LBB95_124:
	s_delay_alu instid0(SALU_CYCLE_1)
	s_and_not1_b32 vcc_lo, exec_lo, s31
	s_cbranch_vccnz .LBB95_126
; %bb.125:
	global_load_b32 v1, v[10:11], off
	s_wait_loadcnt 0x0
	v_cvt_i16_f16_e32 v4, v1
.LBB95_126:
	s_mov_b32 s31, 0
.LBB95_127:
	s_delay_alu instid0(SALU_CYCLE_1)
	s_and_not1_b32 vcc_lo, exec_lo, s31
	s_cbranch_vccnz .LBB95_138
; %bb.128:
	s_cmp_lt_i32 s0, 6
	s_cbranch_scc1 .LBB95_131
; %bb.129:
	s_cmp_gt_i32 s0, 6
	s_cbranch_scc0 .LBB95_132
; %bb.130:
	s_wait_loadcnt 0x0
	global_load_b64 v[4:5], v[10:11], off
	s_mov_b32 s31, 0
	s_wait_loadcnt 0x0
	v_cvt_i32_f64_e32 v4, v[4:5]
	s_branch .LBB95_133
.LBB95_131:
	s_mov_b32 s31, -1
                                        ; implicit-def: $vgpr4
	s_branch .LBB95_136
.LBB95_132:
	s_mov_b32 s31, -1
                                        ; implicit-def: $vgpr4
.LBB95_133:
	s_delay_alu instid0(SALU_CYCLE_1)
	s_and_not1_b32 vcc_lo, exec_lo, s31
	s_cbranch_vccnz .LBB95_135
; %bb.134:
	global_load_b32 v1, v[10:11], off
	s_wait_loadcnt 0x0
	v_cvt_i32_f32_e32 v4, v1
.LBB95_135:
	s_mov_b32 s31, 0
.LBB95_136:
	s_delay_alu instid0(SALU_CYCLE_1)
	s_and_not1_b32 vcc_lo, exec_lo, s31
	s_cbranch_vccnz .LBB95_138
; %bb.137:
	global_load_u16 v1, v[10:11], off
	s_wait_loadcnt 0x0
	v_cvt_i16_f16_e32 v4, v1
.LBB95_138:
	s_cbranch_execnz .LBB95_158
.LBB95_139:
	s_cmp_lt_i32 s0, 2
	s_cbranch_scc1 .LBB95_143
; %bb.140:
	s_cmp_lt_i32 s0, 3
	s_cbranch_scc1 .LBB95_144
; %bb.141:
	s_cmp_gt_i32 s0, 3
	s_cbranch_scc0 .LBB95_145
; %bb.142:
	s_wait_loadcnt 0x0
	global_load_b64 v[4:5], v[10:11], off
	s_mov_b32 s31, 0
	s_branch .LBB95_146
.LBB95_143:
	s_mov_b32 s31, -1
                                        ; implicit-def: $vgpr4
	s_branch .LBB95_152
.LBB95_144:
	s_mov_b32 s31, -1
                                        ; implicit-def: $vgpr4
	s_branch .LBB95_149
.LBB95_145:
	s_mov_b32 s31, -1
                                        ; implicit-def: $vgpr4
.LBB95_146:
	s_delay_alu instid0(SALU_CYCLE_1)
	s_and_not1_b32 vcc_lo, exec_lo, s31
	s_cbranch_vccnz .LBB95_148
; %bb.147:
	s_wait_loadcnt 0x0
	global_load_b32 v4, v[10:11], off
.LBB95_148:
	s_mov_b32 s31, 0
.LBB95_149:
	s_delay_alu instid0(SALU_CYCLE_1)
	s_and_not1_b32 vcc_lo, exec_lo, s31
	s_cbranch_vccnz .LBB95_151
; %bb.150:
	s_wait_loadcnt 0x0
	global_load_u16 v4, v[10:11], off
.LBB95_151:
	s_mov_b32 s31, 0
.LBB95_152:
	s_delay_alu instid0(SALU_CYCLE_1)
	s_and_not1_b32 vcc_lo, exec_lo, s31
	s_cbranch_vccnz .LBB95_158
; %bb.153:
	s_cmp_gt_i32 s0, 0
	s_mov_b32 s0, 0
	s_cbranch_scc0 .LBB95_155
; %bb.154:
	s_wait_loadcnt 0x0
	global_load_i8 v4, v[10:11], off
	s_branch .LBB95_156
.LBB95_155:
	s_mov_b32 s0, -1
                                        ; implicit-def: $vgpr4
.LBB95_156:
	s_delay_alu instid0(SALU_CYCLE_1)
	s_and_not1_b32 vcc_lo, exec_lo, s0
	s_cbranch_vccnz .LBB95_158
; %bb.157:
	s_wait_loadcnt 0x0
	global_load_u8 v4, v[10:11], off
.LBB95_158:
	s_branch .LBB95_22
.LBB95_159:
	s_mov_b32 s0, 0
	s_mov_b32 s34, 0
	;; [unrolled: 1-line block ×3, first 2 shown]
	s_branch .LBB95_509
.LBB95_160:
	s_mov_b32 s31, -1
.LBB95_161:
	s_mov_b32 s35, 0
                                        ; implicit-def: $vgpr8
.LBB95_162:
	s_and_b32 vcc_lo, exec_lo, s44
	s_cbranch_vccz .LBB95_167
; %bb.163:
	s_cmp_eq_u32 s34, 44
	s_cbranch_scc0 .LBB95_166
; %bb.164:
	global_load_u8 v1, v[10:11], off
	s_mov_b32 s31, 0
	s_mov_b32 s35, -1
	s_wait_loadcnt 0x0
	v_lshlrev_b32_e32 v3, 23, v1
	v_cmp_ne_u32_e32 vcc_lo, 0, v1
	s_delay_alu instid0(VALU_DEP_2) | instskip(NEXT) | instid1(VALU_DEP_1)
	v_cvt_i32_f32_e32 v3, v3
	v_cndmask_b32_e32 v8, 0, v3, vcc_lo
	s_branch .LBB95_167
.LBB95_165:
	s_mov_b32 s44, -1
	s_mov_b32 s34, 0
	s_branch .LBB95_274
.LBB95_166:
	s_mov_b32 s31, -1
                                        ; implicit-def: $vgpr8
.LBB95_167:
	s_mov_b32 s44, 0
.LBB95_168:
	s_delay_alu instid0(SALU_CYCLE_1)
	s_and_b32 vcc_lo, exec_lo, s44
	s_cbranch_vccz .LBB95_172
; %bb.169:
	s_cmp_eq_u32 s34, 29
	s_cbranch_scc0 .LBB95_171
; %bb.170:
	global_load_b64 v[8:9], v[10:11], off
	s_mov_b32 s35, -1
	s_mov_b32 s31, 0
	s_branch .LBB95_172
.LBB95_171:
	s_mov_b32 s31, -1
                                        ; implicit-def: $vgpr8
.LBB95_172:
	s_mov_b32 s44, 0
.LBB95_173:
	s_delay_alu instid0(SALU_CYCLE_1)
	s_and_b32 vcc_lo, exec_lo, s44
	s_cbranch_vccz .LBB95_189
; %bb.174:
	s_cmp_lt_i32 s34, 27
	s_cbranch_scc1 .LBB95_177
; %bb.175:
	s_cmp_gt_i32 s34, 27
	s_cbranch_scc0 .LBB95_178
; %bb.176:
	s_wait_loadcnt 0x0
	global_load_b32 v8, v[10:11], off
	s_mov_b32 s35, 0
	s_branch .LBB95_179
.LBB95_177:
	s_mov_b32 s35, -1
                                        ; implicit-def: $vgpr8
	s_branch .LBB95_182
.LBB95_178:
	s_mov_b32 s35, -1
                                        ; implicit-def: $vgpr8
.LBB95_179:
	s_delay_alu instid0(SALU_CYCLE_1)
	s_and_not1_b32 vcc_lo, exec_lo, s35
	s_cbranch_vccnz .LBB95_181
; %bb.180:
	s_wait_loadcnt 0x0
	global_load_u16 v8, v[10:11], off
.LBB95_181:
	s_mov_b32 s35, 0
.LBB95_182:
	s_delay_alu instid0(SALU_CYCLE_1)
	s_and_not1_b32 vcc_lo, exec_lo, s35
	s_cbranch_vccnz .LBB95_188
; %bb.183:
	global_load_u8 v1, v[10:11], off
	s_mov_b32 s44, 0
	s_mov_b32 s35, exec_lo
	s_wait_loadcnt 0x0
	v_cmpx_lt_i16_e32 0x7f, v1
	s_xor_b32 s35, exec_lo, s35
	s_cbranch_execz .LBB95_200
; %bb.184:
	v_cmp_ne_u16_e32 vcc_lo, 0x80, v1
	s_and_b32 s44, vcc_lo, exec_lo
	s_and_not1_saveexec_b32 s35, s35
	s_cbranch_execnz .LBB95_201
.LBB95_185:
	s_or_b32 exec_lo, exec_lo, s35
	v_mov_b32_e32 v8, 0
	s_and_saveexec_b32 s35, s44
	s_cbranch_execz .LBB95_187
.LBB95_186:
	v_and_b32_e32 v3, 0xffff, v1
	s_delay_alu instid0(VALU_DEP_1) | instskip(SKIP_1) | instid1(VALU_DEP_2)
	v_dual_lshlrev_b32 v1, 24, v1 :: v_dual_bitop2_b32 v5, 7, v3 bitop3:0x40
	v_bfe_u32 v9, v3, 3, 4
	v_and_b32_e32 v1, 0x80000000, v1
	s_delay_alu instid0(VALU_DEP_3) | instskip(NEXT) | instid1(VALU_DEP_3)
	v_clz_i32_u32_e32 v7, v5
	v_cmp_eq_u32_e32 vcc_lo, 0, v9
	s_delay_alu instid0(VALU_DEP_2) | instskip(NEXT) | instid1(VALU_DEP_1)
	v_min_u32_e32 v7, 32, v7
	v_subrev_nc_u32_e32 v8, 28, v7
	v_sub_nc_u32_e32 v7, 29, v7
	s_delay_alu instid0(VALU_DEP_2) | instskip(NEXT) | instid1(VALU_DEP_2)
	v_lshlrev_b32_e32 v3, v8, v3
	v_cndmask_b32_e32 v7, v9, v7, vcc_lo
	s_delay_alu instid0(VALU_DEP_2) | instskip(NEXT) | instid1(VALU_DEP_1)
	v_and_b32_e32 v3, 7, v3
	v_cndmask_b32_e32 v3, v5, v3, vcc_lo
	s_delay_alu instid0(VALU_DEP_3) | instskip(NEXT) | instid1(VALU_DEP_2)
	v_lshl_add_u32 v5, v7, 23, 0x3b800000
	v_lshlrev_b32_e32 v3, 20, v3
	s_delay_alu instid0(VALU_DEP_1) | instskip(NEXT) | instid1(VALU_DEP_1)
	v_or3_b32 v1, v1, v5, v3
	v_cvt_i32_f32_e32 v8, v1
.LBB95_187:
	s_or_b32 exec_lo, exec_lo, s35
.LBB95_188:
	s_mov_b32 s35, -1
.LBB95_189:
	s_mov_b32 s44, 0
.LBB95_190:
	s_delay_alu instid0(SALU_CYCLE_1)
	s_and_b32 vcc_lo, exec_lo, s44
	s_cbranch_vccz .LBB95_223
; %bb.191:
	s_cmp_gt_i32 s34, 22
	s_cbranch_scc0 .LBB95_199
; %bb.192:
	s_cmp_lt_i32 s34, 24
	s_cbranch_scc1 .LBB95_202
; %bb.193:
	s_cmp_gt_i32 s34, 24
	s_cbranch_scc0 .LBB95_203
; %bb.194:
	global_load_u8 v1, v[10:11], off
	s_mov_b32 s44, 0
	s_mov_b32 s35, exec_lo
	s_wait_loadcnt 0x0
	v_cmpx_lt_i16_e32 0x7f, v1
	s_xor_b32 s35, exec_lo, s35
	s_cbranch_execz .LBB95_215
; %bb.195:
	v_cmp_ne_u16_e32 vcc_lo, 0x80, v1
	s_and_b32 s44, vcc_lo, exec_lo
	s_and_not1_saveexec_b32 s35, s35
	s_cbranch_execnz .LBB95_216
.LBB95_196:
	s_or_b32 exec_lo, exec_lo, s35
	v_mov_b32_e32 v8, 0
	s_and_saveexec_b32 s35, s44
	s_cbranch_execz .LBB95_198
.LBB95_197:
	v_and_b32_e32 v3, 0xffff, v1
	s_delay_alu instid0(VALU_DEP_1) | instskip(SKIP_1) | instid1(VALU_DEP_2)
	v_dual_lshlrev_b32 v1, 24, v1 :: v_dual_bitop2_b32 v5, 3, v3 bitop3:0x40
	v_bfe_u32 v9, v3, 2, 5
	v_and_b32_e32 v1, 0x80000000, v1
	s_delay_alu instid0(VALU_DEP_3) | instskip(NEXT) | instid1(VALU_DEP_3)
	v_clz_i32_u32_e32 v7, v5
	v_cmp_eq_u32_e32 vcc_lo, 0, v9
	s_delay_alu instid0(VALU_DEP_2) | instskip(NEXT) | instid1(VALU_DEP_1)
	v_min_u32_e32 v7, 32, v7
	v_subrev_nc_u32_e32 v8, 29, v7
	v_sub_nc_u32_e32 v7, 30, v7
	s_delay_alu instid0(VALU_DEP_2) | instskip(NEXT) | instid1(VALU_DEP_2)
	v_lshlrev_b32_e32 v3, v8, v3
	v_cndmask_b32_e32 v7, v9, v7, vcc_lo
	s_delay_alu instid0(VALU_DEP_2) | instskip(NEXT) | instid1(VALU_DEP_1)
	v_and_b32_e32 v3, 3, v3
	v_cndmask_b32_e32 v3, v5, v3, vcc_lo
	s_delay_alu instid0(VALU_DEP_3) | instskip(NEXT) | instid1(VALU_DEP_2)
	v_lshl_add_u32 v5, v7, 23, 0x37800000
	v_lshlrev_b32_e32 v3, 21, v3
	s_delay_alu instid0(VALU_DEP_1) | instskip(NEXT) | instid1(VALU_DEP_1)
	v_or3_b32 v1, v1, v5, v3
	v_cvt_i32_f32_e32 v8, v1
.LBB95_198:
	s_or_b32 exec_lo, exec_lo, s35
	s_mov_b32 s35, 0
	s_branch .LBB95_204
.LBB95_199:
	s_mov_b32 s44, -1
                                        ; implicit-def: $vgpr8
	s_branch .LBB95_210
.LBB95_200:
	s_and_not1_saveexec_b32 s35, s35
	s_cbranch_execz .LBB95_185
.LBB95_201:
	v_cmp_ne_u16_e32 vcc_lo, 0, v1
	s_and_not1_b32 s44, s44, exec_lo
	s_and_b32 s48, vcc_lo, exec_lo
	s_delay_alu instid0(SALU_CYCLE_1)
	s_or_b32 s44, s44, s48
	s_or_b32 exec_lo, exec_lo, s35
	v_mov_b32_e32 v8, 0
	s_and_saveexec_b32 s35, s44
	s_cbranch_execnz .LBB95_186
	s_branch .LBB95_187
.LBB95_202:
	s_mov_b32 s35, -1
                                        ; implicit-def: $vgpr8
	s_branch .LBB95_207
.LBB95_203:
	s_mov_b32 s35, -1
                                        ; implicit-def: $vgpr8
.LBB95_204:
	s_delay_alu instid0(SALU_CYCLE_1)
	s_and_b32 vcc_lo, exec_lo, s35
	s_cbranch_vccz .LBB95_206
; %bb.205:
	global_load_u8 v1, v[10:11], off
	s_wait_loadcnt 0x0
	v_lshlrev_b32_e32 v1, 24, v1
	s_delay_alu instid0(VALU_DEP_1) | instskip(NEXT) | instid1(VALU_DEP_1)
	v_and_b32_e32 v3, 0x7f000000, v1
	v_clz_i32_u32_e32 v5, v3
	v_cmp_ne_u32_e32 vcc_lo, 0, v3
	v_add_nc_u32_e32 v8, 0x1000000, v3
	s_delay_alu instid0(VALU_DEP_3) | instskip(NEXT) | instid1(VALU_DEP_1)
	v_min_u32_e32 v5, 32, v5
	v_sub_nc_u32_e64 v5, v5, 4 clamp
	s_delay_alu instid0(VALU_DEP_1) | instskip(NEXT) | instid1(VALU_DEP_1)
	v_dual_lshlrev_b32 v7, v5, v3 :: v_dual_lshlrev_b32 v5, 23, v5
	v_lshrrev_b32_e32 v7, 4, v7
	s_delay_alu instid0(VALU_DEP_1) | instskip(NEXT) | instid1(VALU_DEP_1)
	v_dual_sub_nc_u32 v5, v7, v5 :: v_dual_ashrrev_i32 v7, 8, v8
	v_add_nc_u32_e32 v5, 0x3c000000, v5
	s_delay_alu instid0(VALU_DEP_1) | instskip(NEXT) | instid1(VALU_DEP_1)
	v_and_or_b32 v5, 0x7f800000, v7, v5
	v_cndmask_b32_e32 v3, 0, v5, vcc_lo
	s_delay_alu instid0(VALU_DEP_1) | instskip(NEXT) | instid1(VALU_DEP_1)
	v_and_or_b32 v1, 0x80000000, v1, v3
	v_cvt_i32_f32_e32 v8, v1
.LBB95_206:
	s_mov_b32 s35, 0
.LBB95_207:
	s_delay_alu instid0(SALU_CYCLE_1)
	s_and_not1_b32 vcc_lo, exec_lo, s35
	s_cbranch_vccnz .LBB95_209
; %bb.208:
	global_load_u8 v1, v[10:11], off
	s_wait_loadcnt 0x0
	v_lshlrev_b32_e32 v3, 25, v1
	v_lshlrev_b16 v1, 8, v1
	s_delay_alu instid0(VALU_DEP_1) | instskip(SKIP_1) | instid1(VALU_DEP_2)
	v_and_or_b32 v7, 0x7f00, v1, 0.5
	v_bfe_i32 v1, v1, 0, 16
	v_add_f32_e32 v7, -0.5, v7
	v_lshrrev_b32_e32 v5, 4, v3
	v_cmp_gt_u32_e32 vcc_lo, 0x8000000, v3
	s_delay_alu instid0(VALU_DEP_2) | instskip(NEXT) | instid1(VALU_DEP_1)
	v_or_b32_e32 v5, 0x70000000, v5
	v_mul_f32_e32 v5, 0x7800000, v5
	s_delay_alu instid0(VALU_DEP_1) | instskip(NEXT) | instid1(VALU_DEP_1)
	v_cndmask_b32_e32 v3, v5, v7, vcc_lo
	v_and_or_b32 v1, 0x80000000, v1, v3
	s_delay_alu instid0(VALU_DEP_1)
	v_cvt_i32_f32_e32 v8, v1
.LBB95_209:
	s_mov_b32 s44, 0
	s_mov_b32 s35, -1
.LBB95_210:
	s_and_not1_b32 vcc_lo, exec_lo, s44
	s_cbranch_vccnz .LBB95_223
; %bb.211:
	s_cmp_gt_i32 s34, 14
	s_cbranch_scc0 .LBB95_214
; %bb.212:
	s_cmp_eq_u32 s34, 15
	s_cbranch_scc0 .LBB95_217
; %bb.213:
	global_load_u16 v1, v[10:11], off
	s_mov_b32 s35, -1
	s_mov_b32 s31, 0
	s_wait_loadcnt 0x0
	v_lshlrev_b32_e32 v1, 16, v1
	s_delay_alu instid0(VALU_DEP_1)
	v_cvt_i32_f32_e32 v8, v1
	s_branch .LBB95_218
.LBB95_214:
	s_mov_b32 s44, -1
                                        ; implicit-def: $vgpr8
	s_branch .LBB95_219
.LBB95_215:
	s_and_not1_saveexec_b32 s35, s35
	s_cbranch_execz .LBB95_196
.LBB95_216:
	v_cmp_ne_u16_e32 vcc_lo, 0, v1
	s_and_not1_b32 s44, s44, exec_lo
	s_and_b32 s48, vcc_lo, exec_lo
	s_delay_alu instid0(SALU_CYCLE_1)
	s_or_b32 s44, s44, s48
	s_or_b32 exec_lo, exec_lo, s35
	v_mov_b32_e32 v8, 0
	s_and_saveexec_b32 s35, s44
	s_cbranch_execnz .LBB95_197
	s_branch .LBB95_198
.LBB95_217:
	s_mov_b32 s31, -1
                                        ; implicit-def: $vgpr8
.LBB95_218:
	s_mov_b32 s44, 0
.LBB95_219:
	s_delay_alu instid0(SALU_CYCLE_1)
	s_and_b32 vcc_lo, exec_lo, s44
	s_cbranch_vccz .LBB95_223
; %bb.220:
	s_cmp_eq_u32 s34, 11
	s_cbranch_scc0 .LBB95_222
; %bb.221:
	global_load_u8 v1, v[10:11], off
	s_mov_b32 s31, 0
	s_mov_b32 s35, -1
	s_wait_loadcnt 0x0
	v_cmp_ne_u16_e32 vcc_lo, 0, v1
	v_cndmask_b32_e64 v8, 0, 1, vcc_lo
	s_branch .LBB95_223
.LBB95_222:
	s_mov_b32 s31, -1
                                        ; implicit-def: $vgpr8
.LBB95_223:
	s_branch .LBB95_31
.LBB95_224:
	s_and_b32 s0, 0xffff, s0
	s_delay_alu instid0(SALU_CYCLE_1)
	s_cmp_lt_i32 s0, 5
	s_cbranch_scc1 .LBB95_229
; %bb.225:
	s_cmp_lt_i32 s0, 8
	s_cbranch_scc1 .LBB95_230
; %bb.226:
	;; [unrolled: 3-line block ×3, first 2 shown]
	s_cmp_gt_i32 s0, 9
	s_cbranch_scc0 .LBB95_232
; %bb.228:
	s_wait_loadcnt 0x0
	global_load_b64 v[8:9], v[10:11], off
	s_mov_b32 s34, 0
	s_wait_loadcnt 0x0
	v_cvt_i32_f64_e32 v8, v[8:9]
	s_branch .LBB95_233
.LBB95_229:
	s_mov_b32 s34, -1
                                        ; implicit-def: $vgpr8
	s_branch .LBB95_251
.LBB95_230:
	s_mov_b32 s34, -1
                                        ; implicit-def: $vgpr8
	s_branch .LBB95_239
.LBB95_231:
	s_mov_b32 s34, -1
                                        ; implicit-def: $vgpr8
	s_branch .LBB95_236
.LBB95_232:
	s_mov_b32 s34, -1
                                        ; implicit-def: $vgpr8
.LBB95_233:
	s_delay_alu instid0(SALU_CYCLE_1)
	s_and_not1_b32 vcc_lo, exec_lo, s34
	s_cbranch_vccnz .LBB95_235
; %bb.234:
	global_load_b32 v1, v[10:11], off
	s_wait_loadcnt 0x0
	v_cvt_i32_f32_e32 v8, v1
.LBB95_235:
	s_mov_b32 s34, 0
.LBB95_236:
	s_delay_alu instid0(SALU_CYCLE_1)
	s_and_not1_b32 vcc_lo, exec_lo, s34
	s_cbranch_vccnz .LBB95_238
; %bb.237:
	global_load_b32 v1, v[10:11], off
	s_wait_loadcnt 0x0
	v_cvt_i16_f16_e32 v8, v1
.LBB95_238:
	s_mov_b32 s34, 0
.LBB95_239:
	s_delay_alu instid0(SALU_CYCLE_1)
	s_and_not1_b32 vcc_lo, exec_lo, s34
	s_cbranch_vccnz .LBB95_250
; %bb.240:
	s_cmp_lt_i32 s0, 6
	s_cbranch_scc1 .LBB95_243
; %bb.241:
	s_cmp_gt_i32 s0, 6
	s_cbranch_scc0 .LBB95_244
; %bb.242:
	s_wait_loadcnt 0x0
	global_load_b64 v[8:9], v[10:11], off
	s_mov_b32 s34, 0
	s_wait_loadcnt 0x0
	v_cvt_i32_f64_e32 v8, v[8:9]
	s_branch .LBB95_245
.LBB95_243:
	s_mov_b32 s34, -1
                                        ; implicit-def: $vgpr8
	s_branch .LBB95_248
.LBB95_244:
	s_mov_b32 s34, -1
                                        ; implicit-def: $vgpr8
.LBB95_245:
	s_delay_alu instid0(SALU_CYCLE_1)
	s_and_not1_b32 vcc_lo, exec_lo, s34
	s_cbranch_vccnz .LBB95_247
; %bb.246:
	global_load_b32 v1, v[10:11], off
	s_wait_loadcnt 0x0
	v_cvt_i32_f32_e32 v8, v1
.LBB95_247:
	s_mov_b32 s34, 0
.LBB95_248:
	s_delay_alu instid0(SALU_CYCLE_1)
	s_and_not1_b32 vcc_lo, exec_lo, s34
	s_cbranch_vccnz .LBB95_250
; %bb.249:
	global_load_u16 v1, v[10:11], off
	s_wait_loadcnt 0x0
	v_cvt_i16_f16_e32 v8, v1
.LBB95_250:
	s_mov_b32 s34, 0
.LBB95_251:
	s_delay_alu instid0(SALU_CYCLE_1)
	s_and_not1_b32 vcc_lo, exec_lo, s34
	s_cbranch_vccnz .LBB95_271
; %bb.252:
	s_cmp_lt_i32 s0, 2
	s_cbranch_scc1 .LBB95_256
; %bb.253:
	s_cmp_lt_i32 s0, 3
	s_cbranch_scc1 .LBB95_257
; %bb.254:
	s_cmp_gt_i32 s0, 3
	s_cbranch_scc0 .LBB95_258
; %bb.255:
	s_wait_loadcnt 0x0
	global_load_b64 v[8:9], v[10:11], off
	s_mov_b32 s34, 0
	s_branch .LBB95_259
.LBB95_256:
	s_mov_b32 s34, -1
                                        ; implicit-def: $vgpr8
	s_branch .LBB95_265
.LBB95_257:
	s_mov_b32 s34, -1
                                        ; implicit-def: $vgpr8
	s_branch .LBB95_262
.LBB95_258:
	s_mov_b32 s34, -1
                                        ; implicit-def: $vgpr8
.LBB95_259:
	s_delay_alu instid0(SALU_CYCLE_1)
	s_and_not1_b32 vcc_lo, exec_lo, s34
	s_cbranch_vccnz .LBB95_261
; %bb.260:
	s_wait_loadcnt 0x0
	global_load_b32 v8, v[10:11], off
.LBB95_261:
	s_mov_b32 s34, 0
.LBB95_262:
	s_delay_alu instid0(SALU_CYCLE_1)
	s_and_not1_b32 vcc_lo, exec_lo, s34
	s_cbranch_vccnz .LBB95_264
; %bb.263:
	s_wait_loadcnt 0x0
	global_load_u16 v8, v[10:11], off
.LBB95_264:
	s_mov_b32 s34, 0
.LBB95_265:
	s_delay_alu instid0(SALU_CYCLE_1)
	s_and_not1_b32 vcc_lo, exec_lo, s34
	s_cbranch_vccnz .LBB95_271
; %bb.266:
	s_cmp_gt_i32 s0, 0
	s_mov_b32 s0, 0
	s_cbranch_scc0 .LBB95_268
; %bb.267:
	s_wait_loadcnt 0x0
	global_load_i8 v8, v[10:11], off
	s_branch .LBB95_269
.LBB95_268:
	s_mov_b32 s0, -1
                                        ; implicit-def: $vgpr8
.LBB95_269:
	s_delay_alu instid0(SALU_CYCLE_1)
	s_and_not1_b32 vcc_lo, exec_lo, s0
	s_cbranch_vccnz .LBB95_271
; %bb.270:
	s_wait_loadcnt 0x0
	global_load_u8 v8, v[10:11], off
.LBB95_271:
	s_branch .LBB95_32
.LBB95_272:
	s_mov_b32 s0, 0
	s_mov_b32 s34, 0
	s_branch .LBB95_509
.LBB95_273:
	s_mov_b32 s34, -1
.LBB95_274:
	s_mov_b32 s35, 0
                                        ; implicit-def: $vgpr10
.LBB95_275:
	s_and_b32 vcc_lo, exec_lo, s44
	s_cbranch_vccz .LBB95_279
; %bb.276:
	s_cmp_eq_u32 s0, 44
	s_cbranch_scc0 .LBB95_278
; %bb.277:
	global_load_u8 v1, v[6:7], off
	s_mov_b32 s34, 0
	s_mov_b32 s35, -1
	s_wait_loadcnt 0x0
	v_lshlrev_b32_e32 v3, 23, v1
	v_cmp_ne_u32_e32 vcc_lo, 0, v1
	s_delay_alu instid0(VALU_DEP_2) | instskip(NEXT) | instid1(VALU_DEP_1)
	v_cvt_i32_f32_e32 v3, v3
	v_cndmask_b32_e32 v10, 0, v3, vcc_lo
	s_branch .LBB95_279
.LBB95_278:
	s_mov_b32 s34, -1
                                        ; implicit-def: $vgpr10
.LBB95_279:
	s_mov_b32 s44, 0
.LBB95_280:
	s_delay_alu instid0(SALU_CYCLE_1)
	s_and_b32 vcc_lo, exec_lo, s44
	s_cbranch_vccz .LBB95_284
; %bb.281:
	s_cmp_eq_u32 s0, 29
	s_cbranch_scc0 .LBB95_283
; %bb.282:
	global_load_b64 v[10:11], v[6:7], off
	s_mov_b32 s35, -1
	s_mov_b32 s34, 0
	s_branch .LBB95_284
.LBB95_283:
	s_mov_b32 s34, -1
                                        ; implicit-def: $vgpr10
.LBB95_284:
	s_mov_b32 s44, 0
.LBB95_285:
	s_delay_alu instid0(SALU_CYCLE_1)
	s_and_b32 vcc_lo, exec_lo, s44
	s_cbranch_vccz .LBB95_301
; %bb.286:
	s_cmp_lt_i32 s0, 27
	s_cbranch_scc1 .LBB95_289
; %bb.287:
	s_cmp_gt_i32 s0, 27
	s_cbranch_scc0 .LBB95_290
; %bb.288:
	s_wait_loadcnt 0x0
	global_load_b32 v10, v[6:7], off
	s_mov_b32 s35, 0
	s_branch .LBB95_291
.LBB95_289:
	s_mov_b32 s35, -1
                                        ; implicit-def: $vgpr10
	s_branch .LBB95_294
.LBB95_290:
	s_mov_b32 s35, -1
                                        ; implicit-def: $vgpr10
.LBB95_291:
	s_delay_alu instid0(SALU_CYCLE_1)
	s_and_not1_b32 vcc_lo, exec_lo, s35
	s_cbranch_vccnz .LBB95_293
; %bb.292:
	s_wait_loadcnt 0x0
	global_load_u16 v10, v[6:7], off
.LBB95_293:
	s_mov_b32 s35, 0
.LBB95_294:
	s_delay_alu instid0(SALU_CYCLE_1)
	s_and_not1_b32 vcc_lo, exec_lo, s35
	s_cbranch_vccnz .LBB95_300
; %bb.295:
	global_load_u8 v1, v[6:7], off
	s_mov_b32 s44, 0
	s_mov_b32 s35, exec_lo
	s_wait_loadcnt 0x0
	v_cmpx_lt_i16_e32 0x7f, v1
	s_xor_b32 s35, exec_lo, s35
	s_cbranch_execz .LBB95_312
; %bb.296:
	v_cmp_ne_u16_e32 vcc_lo, 0x80, v1
	s_and_b32 s44, vcc_lo, exec_lo
	s_and_not1_saveexec_b32 s35, s35
	s_cbranch_execnz .LBB95_313
.LBB95_297:
	s_or_b32 exec_lo, exec_lo, s35
	v_mov_b32_e32 v10, 0
	s_and_saveexec_b32 s35, s44
	s_cbranch_execz .LBB95_299
.LBB95_298:
	v_and_b32_e32 v3, 0xffff, v1
	s_delay_alu instid0(VALU_DEP_1) | instskip(SKIP_1) | instid1(VALU_DEP_2)
	v_and_b32_e32 v5, 7, v3
	v_bfe_u32 v11, v3, 3, 4
	v_clz_i32_u32_e32 v9, v5
	s_delay_alu instid0(VALU_DEP_2) | instskip(NEXT) | instid1(VALU_DEP_2)
	v_cmp_eq_u32_e32 vcc_lo, 0, v11
	v_min_u32_e32 v9, 32, v9
	s_delay_alu instid0(VALU_DEP_1) | instskip(NEXT) | instid1(VALU_DEP_1)
	v_subrev_nc_u32_e32 v10, 28, v9
	v_dual_lshlrev_b32 v3, v10, v3 :: v_dual_sub_nc_u32 v9, 29, v9
	s_delay_alu instid0(VALU_DEP_1) | instskip(NEXT) | instid1(VALU_DEP_1)
	v_dual_lshlrev_b32 v1, 24, v1 :: v_dual_bitop2_b32 v3, 7, v3 bitop3:0x40
	v_dual_cndmask_b32 v3, v5, v3, vcc_lo :: v_dual_cndmask_b32 v9, v11, v9, vcc_lo
	s_delay_alu instid0(VALU_DEP_2) | instskip(NEXT) | instid1(VALU_DEP_2)
	v_and_b32_e32 v1, 0x80000000, v1
	v_lshlrev_b32_e32 v3, 20, v3
	s_delay_alu instid0(VALU_DEP_3) | instskip(NEXT) | instid1(VALU_DEP_1)
	v_lshl_add_u32 v5, v9, 23, 0x3b800000
	v_or3_b32 v1, v1, v5, v3
	s_delay_alu instid0(VALU_DEP_1)
	v_cvt_i32_f32_e32 v10, v1
.LBB95_299:
	s_or_b32 exec_lo, exec_lo, s35
.LBB95_300:
	s_mov_b32 s35, -1
.LBB95_301:
	s_mov_b32 s44, 0
.LBB95_302:
	s_delay_alu instid0(SALU_CYCLE_1)
	s_and_b32 vcc_lo, exec_lo, s44
	s_cbranch_vccz .LBB95_335
; %bb.303:
	s_cmp_gt_i32 s0, 22
	s_cbranch_scc0 .LBB95_311
; %bb.304:
	s_cmp_lt_i32 s0, 24
	s_cbranch_scc1 .LBB95_314
; %bb.305:
	s_cmp_gt_i32 s0, 24
	s_cbranch_scc0 .LBB95_315
; %bb.306:
	global_load_u8 v1, v[6:7], off
	s_mov_b32 s44, 0
	s_mov_b32 s35, exec_lo
	s_wait_loadcnt 0x0
	v_cmpx_lt_i16_e32 0x7f, v1
	s_xor_b32 s35, exec_lo, s35
	s_cbranch_execz .LBB95_327
; %bb.307:
	v_cmp_ne_u16_e32 vcc_lo, 0x80, v1
	s_and_b32 s44, vcc_lo, exec_lo
	s_and_not1_saveexec_b32 s35, s35
	s_cbranch_execnz .LBB95_328
.LBB95_308:
	s_or_b32 exec_lo, exec_lo, s35
	v_mov_b32_e32 v10, 0
	s_and_saveexec_b32 s35, s44
	s_cbranch_execz .LBB95_310
.LBB95_309:
	v_and_b32_e32 v3, 0xffff, v1
	s_delay_alu instid0(VALU_DEP_1) | instskip(SKIP_1) | instid1(VALU_DEP_2)
	v_and_b32_e32 v5, 3, v3
	v_bfe_u32 v11, v3, 2, 5
	v_clz_i32_u32_e32 v9, v5
	s_delay_alu instid0(VALU_DEP_2) | instskip(NEXT) | instid1(VALU_DEP_2)
	v_cmp_eq_u32_e32 vcc_lo, 0, v11
	v_min_u32_e32 v9, 32, v9
	s_delay_alu instid0(VALU_DEP_1) | instskip(NEXT) | instid1(VALU_DEP_1)
	v_subrev_nc_u32_e32 v10, 29, v9
	v_dual_lshlrev_b32 v3, v10, v3 :: v_dual_sub_nc_u32 v9, 30, v9
	s_delay_alu instid0(VALU_DEP_1) | instskip(NEXT) | instid1(VALU_DEP_1)
	v_dual_lshlrev_b32 v1, 24, v1 :: v_dual_bitop2_b32 v3, 3, v3 bitop3:0x40
	v_dual_cndmask_b32 v3, v5, v3, vcc_lo :: v_dual_cndmask_b32 v9, v11, v9, vcc_lo
	s_delay_alu instid0(VALU_DEP_2) | instskip(NEXT) | instid1(VALU_DEP_2)
	v_and_b32_e32 v1, 0x80000000, v1
	v_lshlrev_b32_e32 v3, 21, v3
	s_delay_alu instid0(VALU_DEP_3) | instskip(NEXT) | instid1(VALU_DEP_1)
	v_lshl_add_u32 v5, v9, 23, 0x37800000
	v_or3_b32 v1, v1, v5, v3
	s_delay_alu instid0(VALU_DEP_1)
	v_cvt_i32_f32_e32 v10, v1
.LBB95_310:
	s_or_b32 exec_lo, exec_lo, s35
	s_mov_b32 s35, 0
	s_branch .LBB95_316
.LBB95_311:
	s_mov_b32 s44, -1
                                        ; implicit-def: $vgpr10
	s_branch .LBB95_322
.LBB95_312:
	s_and_not1_saveexec_b32 s35, s35
	s_cbranch_execz .LBB95_297
.LBB95_313:
	v_cmp_ne_u16_e32 vcc_lo, 0, v1
	s_and_not1_b32 s44, s44, exec_lo
	s_and_b32 s48, vcc_lo, exec_lo
	s_delay_alu instid0(SALU_CYCLE_1)
	s_or_b32 s44, s44, s48
	s_or_b32 exec_lo, exec_lo, s35
	v_mov_b32_e32 v10, 0
	s_and_saveexec_b32 s35, s44
	s_cbranch_execnz .LBB95_298
	s_branch .LBB95_299
.LBB95_314:
	s_mov_b32 s35, -1
                                        ; implicit-def: $vgpr10
	s_branch .LBB95_319
.LBB95_315:
	s_mov_b32 s35, -1
                                        ; implicit-def: $vgpr10
.LBB95_316:
	s_delay_alu instid0(SALU_CYCLE_1)
	s_and_b32 vcc_lo, exec_lo, s35
	s_cbranch_vccz .LBB95_318
; %bb.317:
	global_load_u8 v1, v[6:7], off
	s_wait_loadcnt 0x0
	v_lshlrev_b32_e32 v1, 24, v1
	s_delay_alu instid0(VALU_DEP_1) | instskip(NEXT) | instid1(VALU_DEP_1)
	v_and_b32_e32 v3, 0x7f000000, v1
	v_clz_i32_u32_e32 v5, v3
	v_cmp_ne_u32_e32 vcc_lo, 0, v3
	v_add_nc_u32_e32 v10, 0x1000000, v3
	s_delay_alu instid0(VALU_DEP_3) | instskip(NEXT) | instid1(VALU_DEP_1)
	v_min_u32_e32 v5, 32, v5
	v_sub_nc_u32_e64 v5, v5, 4 clamp
	s_delay_alu instid0(VALU_DEP_1) | instskip(NEXT) | instid1(VALU_DEP_1)
	v_dual_lshlrev_b32 v9, v5, v3 :: v_dual_lshlrev_b32 v5, 23, v5
	v_lshrrev_b32_e32 v9, 4, v9
	s_delay_alu instid0(VALU_DEP_1) | instskip(NEXT) | instid1(VALU_DEP_1)
	v_dual_sub_nc_u32 v5, v9, v5 :: v_dual_ashrrev_i32 v9, 8, v10
	v_add_nc_u32_e32 v5, 0x3c000000, v5
	s_delay_alu instid0(VALU_DEP_1) | instskip(NEXT) | instid1(VALU_DEP_1)
	v_and_or_b32 v5, 0x7f800000, v9, v5
	v_cndmask_b32_e32 v3, 0, v5, vcc_lo
	s_delay_alu instid0(VALU_DEP_1) | instskip(NEXT) | instid1(VALU_DEP_1)
	v_and_or_b32 v1, 0x80000000, v1, v3
	v_cvt_i32_f32_e32 v10, v1
.LBB95_318:
	s_mov_b32 s35, 0
.LBB95_319:
	s_delay_alu instid0(SALU_CYCLE_1)
	s_and_not1_b32 vcc_lo, exec_lo, s35
	s_cbranch_vccnz .LBB95_321
; %bb.320:
	global_load_u8 v1, v[6:7], off
	s_wait_loadcnt 0x0
	v_lshlrev_b32_e32 v3, 25, v1
	v_lshlrev_b16 v1, 8, v1
	s_delay_alu instid0(VALU_DEP_2) | instskip(NEXT) | instid1(VALU_DEP_2)
	v_cmp_gt_u32_e32 vcc_lo, 0x8000000, v3
	v_and_or_b32 v9, 0x7f00, v1, 0.5
	v_lshrrev_b32_e32 v5, 4, v3
	v_bfe_i32 v1, v1, 0, 16
	s_delay_alu instid0(VALU_DEP_3) | instskip(NEXT) | instid1(VALU_DEP_3)
	v_add_f32_e32 v9, -0.5, v9
	v_or_b32_e32 v5, 0x70000000, v5
	s_delay_alu instid0(VALU_DEP_1) | instskip(NEXT) | instid1(VALU_DEP_1)
	v_mul_f32_e32 v5, 0x7800000, v5
	v_cndmask_b32_e32 v3, v5, v9, vcc_lo
	s_delay_alu instid0(VALU_DEP_1) | instskip(NEXT) | instid1(VALU_DEP_1)
	v_and_or_b32 v1, 0x80000000, v1, v3
	v_cvt_i32_f32_e32 v10, v1
.LBB95_321:
	s_mov_b32 s44, 0
	s_mov_b32 s35, -1
.LBB95_322:
	s_and_not1_b32 vcc_lo, exec_lo, s44
	s_cbranch_vccnz .LBB95_335
; %bb.323:
	s_cmp_gt_i32 s0, 14
	s_cbranch_scc0 .LBB95_326
; %bb.324:
	s_cmp_eq_u32 s0, 15
	s_cbranch_scc0 .LBB95_329
; %bb.325:
	global_load_u16 v1, v[6:7], off
	s_mov_b32 s35, -1
	s_mov_b32 s34, 0
	s_wait_loadcnt 0x0
	v_lshlrev_b32_e32 v1, 16, v1
	s_delay_alu instid0(VALU_DEP_1)
	v_cvt_i32_f32_e32 v10, v1
	s_branch .LBB95_330
.LBB95_326:
	s_mov_b32 s44, -1
                                        ; implicit-def: $vgpr10
	s_branch .LBB95_331
.LBB95_327:
	s_and_not1_saveexec_b32 s35, s35
	s_cbranch_execz .LBB95_308
.LBB95_328:
	v_cmp_ne_u16_e32 vcc_lo, 0, v1
	s_and_not1_b32 s44, s44, exec_lo
	s_and_b32 s48, vcc_lo, exec_lo
	s_delay_alu instid0(SALU_CYCLE_1)
	s_or_b32 s44, s44, s48
	s_or_b32 exec_lo, exec_lo, s35
	v_mov_b32_e32 v10, 0
	s_and_saveexec_b32 s35, s44
	s_cbranch_execnz .LBB95_309
	s_branch .LBB95_310
.LBB95_329:
	s_mov_b32 s34, -1
                                        ; implicit-def: $vgpr10
.LBB95_330:
	s_mov_b32 s44, 0
.LBB95_331:
	s_delay_alu instid0(SALU_CYCLE_1)
	s_and_b32 vcc_lo, exec_lo, s44
	s_cbranch_vccz .LBB95_335
; %bb.332:
	s_cmp_eq_u32 s0, 11
	s_cbranch_scc0 .LBB95_334
; %bb.333:
	global_load_u8 v1, v[6:7], off
	s_mov_b32 s34, 0
	s_mov_b32 s35, -1
	s_wait_loadcnt 0x0
	v_cmp_ne_u16_e32 vcc_lo, 0, v1
	v_cndmask_b32_e64 v10, 0, 1, vcc_lo
	s_branch .LBB95_335
.LBB95_334:
	s_mov_b32 s34, -1
                                        ; implicit-def: $vgpr10
.LBB95_335:
	s_mov_b32 s44, 0
.LBB95_336:
	s_delay_alu instid0(SALU_CYCLE_1)
	s_and_b32 vcc_lo, exec_lo, s44
	s_cbranch_vccz .LBB95_385
; %bb.337:
	s_cmp_lt_i32 s0, 5
	s_cbranch_scc1 .LBB95_342
; %bb.338:
	s_cmp_lt_i32 s0, 8
	s_cbranch_scc1 .LBB95_343
; %bb.339:
	s_cmp_lt_i32 s0, 9
	s_cbranch_scc1 .LBB95_344
; %bb.340:
	s_cmp_gt_i32 s0, 9
	s_cbranch_scc0 .LBB95_345
; %bb.341:
	s_wait_loadcnt 0x0
	global_load_b64 v[10:11], v[6:7], off
	s_mov_b32 s35, 0
	s_wait_loadcnt 0x0
	v_cvt_i32_f64_e32 v10, v[10:11]
	s_branch .LBB95_346
.LBB95_342:
	s_mov_b32 s35, -1
                                        ; implicit-def: $vgpr10
	s_branch .LBB95_364
.LBB95_343:
	s_mov_b32 s35, -1
                                        ; implicit-def: $vgpr10
	s_branch .LBB95_352
.LBB95_344:
	s_mov_b32 s35, -1
                                        ; implicit-def: $vgpr10
	s_branch .LBB95_349
.LBB95_345:
	s_mov_b32 s35, -1
                                        ; implicit-def: $vgpr10
.LBB95_346:
	s_delay_alu instid0(SALU_CYCLE_1)
	s_and_not1_b32 vcc_lo, exec_lo, s35
	s_cbranch_vccnz .LBB95_348
; %bb.347:
	global_load_b32 v1, v[6:7], off
	s_wait_loadcnt 0x0
	v_cvt_i32_f32_e32 v10, v1
.LBB95_348:
	s_mov_b32 s35, 0
.LBB95_349:
	s_delay_alu instid0(SALU_CYCLE_1)
	s_and_not1_b32 vcc_lo, exec_lo, s35
	s_cbranch_vccnz .LBB95_351
; %bb.350:
	global_load_b32 v1, v[6:7], off
	s_wait_loadcnt 0x0
	v_cvt_i16_f16_e32 v10, v1
.LBB95_351:
	s_mov_b32 s35, 0
.LBB95_352:
	s_delay_alu instid0(SALU_CYCLE_1)
	s_and_not1_b32 vcc_lo, exec_lo, s35
	s_cbranch_vccnz .LBB95_363
; %bb.353:
	s_cmp_lt_i32 s0, 6
	s_cbranch_scc1 .LBB95_356
; %bb.354:
	s_cmp_gt_i32 s0, 6
	s_cbranch_scc0 .LBB95_357
; %bb.355:
	s_wait_loadcnt 0x0
	global_load_b64 v[10:11], v[6:7], off
	s_mov_b32 s35, 0
	s_wait_loadcnt 0x0
	v_cvt_i32_f64_e32 v10, v[10:11]
	s_branch .LBB95_358
.LBB95_356:
	s_mov_b32 s35, -1
                                        ; implicit-def: $vgpr10
	s_branch .LBB95_361
.LBB95_357:
	s_mov_b32 s35, -1
                                        ; implicit-def: $vgpr10
.LBB95_358:
	s_delay_alu instid0(SALU_CYCLE_1)
	s_and_not1_b32 vcc_lo, exec_lo, s35
	s_cbranch_vccnz .LBB95_360
; %bb.359:
	global_load_b32 v1, v[6:7], off
	s_wait_loadcnt 0x0
	v_cvt_i32_f32_e32 v10, v1
.LBB95_360:
	s_mov_b32 s35, 0
.LBB95_361:
	s_delay_alu instid0(SALU_CYCLE_1)
	s_and_not1_b32 vcc_lo, exec_lo, s35
	s_cbranch_vccnz .LBB95_363
; %bb.362:
	global_load_u16 v1, v[6:7], off
	s_wait_loadcnt 0x0
	v_cvt_i16_f16_e32 v10, v1
.LBB95_363:
	s_mov_b32 s35, 0
.LBB95_364:
	s_delay_alu instid0(SALU_CYCLE_1)
	s_and_not1_b32 vcc_lo, exec_lo, s35
	s_cbranch_vccnz .LBB95_384
; %bb.365:
	s_cmp_lt_i32 s0, 2
	s_cbranch_scc1 .LBB95_369
; %bb.366:
	s_cmp_lt_i32 s0, 3
	s_cbranch_scc1 .LBB95_370
; %bb.367:
	s_cmp_gt_i32 s0, 3
	s_cbranch_scc0 .LBB95_371
; %bb.368:
	s_wait_loadcnt 0x0
	global_load_b64 v[10:11], v[6:7], off
	s_mov_b32 s35, 0
	s_branch .LBB95_372
.LBB95_369:
	s_mov_b32 s35, -1
                                        ; implicit-def: $vgpr10
	s_branch .LBB95_378
.LBB95_370:
	s_mov_b32 s35, -1
                                        ; implicit-def: $vgpr10
	s_branch .LBB95_375
.LBB95_371:
	s_mov_b32 s35, -1
                                        ; implicit-def: $vgpr10
.LBB95_372:
	s_delay_alu instid0(SALU_CYCLE_1)
	s_and_not1_b32 vcc_lo, exec_lo, s35
	s_cbranch_vccnz .LBB95_374
; %bb.373:
	s_wait_loadcnt 0x0
	global_load_b32 v10, v[6:7], off
.LBB95_374:
	s_mov_b32 s35, 0
.LBB95_375:
	s_delay_alu instid0(SALU_CYCLE_1)
	s_and_not1_b32 vcc_lo, exec_lo, s35
	s_cbranch_vccnz .LBB95_377
; %bb.376:
	s_wait_loadcnt 0x0
	global_load_u16 v10, v[6:7], off
.LBB95_377:
	s_mov_b32 s35, 0
.LBB95_378:
	s_delay_alu instid0(SALU_CYCLE_1)
	s_and_not1_b32 vcc_lo, exec_lo, s35
	s_cbranch_vccnz .LBB95_384
; %bb.379:
	s_cmp_gt_i32 s0, 0
	s_mov_b32 s0, 0
	s_cbranch_scc0 .LBB95_381
; %bb.380:
	s_wait_loadcnt 0x0
	global_load_i8 v10, v[6:7], off
	s_branch .LBB95_382
.LBB95_381:
	s_mov_b32 s0, -1
                                        ; implicit-def: $vgpr10
.LBB95_382:
	s_delay_alu instid0(SALU_CYCLE_1)
	s_and_not1_b32 vcc_lo, exec_lo, s0
	s_cbranch_vccnz .LBB95_384
; %bb.383:
	s_wait_loadcnt 0x0
	global_load_u8 v10, v[6:7], off
.LBB95_384:
	s_mov_b32 s35, -1
.LBB95_385:
	s_delay_alu instid0(SALU_CYCLE_1)
	s_and_not1_b32 vcc_lo, exec_lo, s35
	s_cbranch_vccnz .LBB95_393
; %bb.386:
	v_mov_b32_e32 v3, 0
	s_wait_loadcnt 0x0
	v_mul_lo_u16 v1, v4, s24
	v_mul_lo_u16 v4, v8, s21
	s_and_b32 s35, s25, 0xff
	s_delay_alu instid0(SALU_CYCLE_1) | instskip(SKIP_1) | instid1(VALU_DEP_2)
	s_cmp_lt_i32 s35, 11
	v_add_nc_u64_e32 v[2:3], s[4:5], v[2:3]
	v_mad_u16 v1, v4, v10, v1
	s_cbranch_scc1 .LBB95_394
; %bb.387:
	s_and_b32 s44, 0xffff, s35
	s_delay_alu instid0(SALU_CYCLE_1)
	s_cmp_gt_i32 s44, 25
	s_cbranch_scc0 .LBB95_395
; %bb.388:
	s_cmp_gt_i32 s44, 28
	s_cbranch_scc0 .LBB95_396
; %bb.389:
	;; [unrolled: 3-line block ×4, first 2 shown]
	s_mov_b32 s49, 0
	s_mov_b32 s0, -1
	s_cmp_eq_u32 s44, 46
	s_mov_b32 s48, 0
	s_cbranch_scc0 .LBB95_399
; %bb.392:
	v_bfe_i32 v4, v1, 0, 16
	s_mov_b32 s48, -1
	s_mov_b32 s0, 0
	s_delay_alu instid0(VALU_DEP_1) | instskip(NEXT) | instid1(VALU_DEP_1)
	v_cvt_f32_i32_e32 v4, v4
	v_bfe_u32 v5, v4, 16, 1
	s_delay_alu instid0(VALU_DEP_1) | instskip(NEXT) | instid1(VALU_DEP_1)
	v_add3_u32 v4, v4, v5, 0x7fff
	v_lshrrev_b32_e32 v4, 16, v4
	global_store_b32 v[2:3], v4, off
	s_branch .LBB95_399
.LBB95_393:
	s_mov_b32 s0, 0
	s_branch .LBB95_509
.LBB95_394:
	s_mov_b32 s44, -1
	s_mov_b32 s0, 0
	s_mov_b32 s48, 0
	s_branch .LBB95_468
.LBB95_395:
	s_mov_b32 s49, -1
	s_mov_b32 s0, 0
	s_mov_b32 s48, 0
	s_branch .LBB95_426
.LBB95_396:
	s_mov_b32 s49, -1
	s_mov_b32 s0, 0
	s_mov_b32 s48, 0
	s_branch .LBB95_409
.LBB95_397:
	s_mov_b32 s49, -1
	s_mov_b32 s0, 0
	s_mov_b32 s48, 0
	s_branch .LBB95_405
.LBB95_398:
	s_mov_b32 s49, -1
	s_mov_b32 s0, 0
	s_mov_b32 s48, 0
.LBB95_399:
	s_and_b32 vcc_lo, exec_lo, s49
	s_cbranch_vccz .LBB95_404
; %bb.400:
	s_cmp_eq_u32 s44, 44
	s_mov_b32 s0, -1
	s_cbranch_scc0 .LBB95_404
; %bb.401:
	s_wait_xcnt 0x0
	v_bfe_i32 v4, v1, 0, 16
	v_mov_b32_e32 v5, 0xff
	s_mov_b32 s48, exec_lo
	s_delay_alu instid0(VALU_DEP_2) | instskip(NEXT) | instid1(VALU_DEP_1)
	v_cvt_f32_i32_e32 v4, v4
	v_bfe_u32 v6, v4, 23, 8
	s_delay_alu instid0(VALU_DEP_1)
	v_cmpx_ne_u32_e32 0xff, v6
	s_cbranch_execz .LBB95_403
; %bb.402:
	v_and_b32_e32 v5, 0x400000, v4
	v_and_or_b32 v6, 0x3fffff, v4, v6
	v_lshrrev_b32_e32 v4, 23, v4
	s_delay_alu instid0(VALU_DEP_3) | instskip(NEXT) | instid1(VALU_DEP_3)
	v_cmp_ne_u32_e32 vcc_lo, 0, v5
	v_cmp_ne_u32_e64 s0, 0, v6
	s_and_b32 s0, vcc_lo, s0
	s_delay_alu instid0(SALU_CYCLE_1) | instskip(NEXT) | instid1(VALU_DEP_1)
	v_cndmask_b32_e64 v5, 0, 1, s0
	v_add_nc_u32_e32 v5, v4, v5
.LBB95_403:
	s_or_b32 exec_lo, exec_lo, s48
	s_mov_b32 s48, -1
	s_mov_b32 s0, 0
	global_store_b8 v[2:3], v5, off
.LBB95_404:
	s_mov_b32 s49, 0
.LBB95_405:
	s_delay_alu instid0(SALU_CYCLE_1)
	s_and_b32 vcc_lo, exec_lo, s49
	s_cbranch_vccz .LBB95_408
; %bb.406:
	s_cmp_eq_u32 s44, 29
	s_mov_b32 s0, -1
	s_cbranch_scc0 .LBB95_408
; %bb.407:
	s_wait_xcnt 0x0
	v_bfe_i32 v4, v1, 0, 16
	s_mov_b32 s0, 0
	s_mov_b32 s48, -1
	s_mov_b32 s49, 0
	s_delay_alu instid0(VALU_DEP_1)
	v_ashrrev_i32_e32 v5, 31, v4
	global_store_b64 v[2:3], v[4:5], off
	s_branch .LBB95_409
.LBB95_408:
	s_mov_b32 s49, 0
.LBB95_409:
	s_delay_alu instid0(SALU_CYCLE_1)
	s_and_b32 vcc_lo, exec_lo, s49
	s_cbranch_vccz .LBB95_425
; %bb.410:
	s_cmp_lt_i32 s44, 27
	s_mov_b32 s48, -1
	s_cbranch_scc1 .LBB95_416
; %bb.411:
	s_cmp_gt_i32 s44, 27
	s_cbranch_scc0 .LBB95_413
; %bb.412:
	s_wait_xcnt 0x0
	v_bfe_i32 v4, v1, 0, 16
	s_mov_b32 s48, 0
	global_store_b32 v[2:3], v4, off
.LBB95_413:
	s_and_not1_b32 vcc_lo, exec_lo, s48
	s_cbranch_vccnz .LBB95_415
; %bb.414:
	global_store_b16 v[2:3], v1, off
.LBB95_415:
	s_mov_b32 s48, 0
.LBB95_416:
	s_delay_alu instid0(SALU_CYCLE_1)
	s_and_not1_b32 vcc_lo, exec_lo, s48
	s_cbranch_vccnz .LBB95_424
; %bb.417:
	s_wait_xcnt 0x0
	v_bfe_i32 v4, v1, 0, 16
	v_mov_b32_e32 v6, 0x80
	s_mov_b32 s48, exec_lo
	s_delay_alu instid0(VALU_DEP_2) | instskip(NEXT) | instid1(VALU_DEP_1)
	v_cvt_f32_i32_e32 v4, v4
	v_and_b32_e32 v5, 0x7fffffff, v4
	s_delay_alu instid0(VALU_DEP_1)
	v_cmpx_gt_u32_e32 0x43800000, v5
	s_cbranch_execz .LBB95_423
; %bb.418:
	v_cmp_lt_u32_e32 vcc_lo, 0x3bffffff, v5
	s_mov_b32 s49, 0
                                        ; implicit-def: $vgpr5
	s_and_saveexec_b32 s50, vcc_lo
	s_delay_alu instid0(SALU_CYCLE_1)
	s_xor_b32 s50, exec_lo, s50
	s_cbranch_execz .LBB95_664
; %bb.419:
	v_bfe_u32 v5, v4, 20, 1
	s_mov_b32 s49, exec_lo
	s_delay_alu instid0(VALU_DEP_1) | instskip(NEXT) | instid1(VALU_DEP_1)
	v_add3_u32 v5, v4, v5, 0x487ffff
	v_lshrrev_b32_e32 v5, 20, v5
	s_and_not1_saveexec_b32 s50, s50
	s_cbranch_execnz .LBB95_665
.LBB95_420:
	s_or_b32 exec_lo, exec_lo, s50
	v_mov_b32_e32 v6, 0
	s_and_saveexec_b32 s50, s49
.LBB95_421:
	v_lshrrev_b32_e32 v4, 24, v4
	s_delay_alu instid0(VALU_DEP_1)
	v_and_or_b32 v6, 0x80, v4, v5
.LBB95_422:
	s_or_b32 exec_lo, exec_lo, s50
.LBB95_423:
	s_delay_alu instid0(SALU_CYCLE_1)
	s_or_b32 exec_lo, exec_lo, s48
	global_store_b8 v[2:3], v6, off
.LBB95_424:
	s_mov_b32 s48, -1
.LBB95_425:
	s_mov_b32 s49, 0
.LBB95_426:
	s_delay_alu instid0(SALU_CYCLE_1)
	s_and_b32 vcc_lo, exec_lo, s49
	s_cbranch_vccz .LBB95_467
; %bb.427:
	s_cmp_gt_i32 s44, 22
	s_mov_b32 s49, -1
	s_cbranch_scc0 .LBB95_459
; %bb.428:
	s_cmp_lt_i32 s44, 24
	s_mov_b32 s48, -1
	s_cbranch_scc1 .LBB95_448
; %bb.429:
	s_cmp_gt_i32 s44, 24
	s_cbranch_scc0 .LBB95_437
; %bb.430:
	s_wait_xcnt 0x0
	v_bfe_i32 v4, v1, 0, 16
	v_mov_b32_e32 v6, 0x80
	s_mov_b32 s48, exec_lo
	s_delay_alu instid0(VALU_DEP_2) | instskip(NEXT) | instid1(VALU_DEP_1)
	v_cvt_f32_i32_e32 v4, v4
	v_and_b32_e32 v5, 0x7fffffff, v4
	s_delay_alu instid0(VALU_DEP_1)
	v_cmpx_gt_u32_e32 0x47800000, v5
	s_cbranch_execz .LBB95_436
; %bb.431:
	v_cmp_lt_u32_e32 vcc_lo, 0x37ffffff, v5
	s_mov_b32 s49, 0
                                        ; implicit-def: $vgpr5
	s_and_saveexec_b32 s50, vcc_lo
	s_delay_alu instid0(SALU_CYCLE_1)
	s_xor_b32 s50, exec_lo, s50
	s_cbranch_execz .LBB95_792
; %bb.432:
	v_bfe_u32 v5, v4, 21, 1
	s_mov_b32 s49, exec_lo
	s_delay_alu instid0(VALU_DEP_1) | instskip(NEXT) | instid1(VALU_DEP_1)
	v_add3_u32 v5, v4, v5, 0x88fffff
	v_lshrrev_b32_e32 v5, 21, v5
	s_and_not1_saveexec_b32 s50, s50
	s_cbranch_execnz .LBB95_793
.LBB95_433:
	s_or_b32 exec_lo, exec_lo, s50
	v_mov_b32_e32 v6, 0
	s_and_saveexec_b32 s50, s49
.LBB95_434:
	v_lshrrev_b32_e32 v4, 24, v4
	s_delay_alu instid0(VALU_DEP_1)
	v_and_or_b32 v6, 0x80, v4, v5
.LBB95_435:
	s_or_b32 exec_lo, exec_lo, s50
.LBB95_436:
	s_delay_alu instid0(SALU_CYCLE_1)
	s_or_b32 exec_lo, exec_lo, s48
	s_mov_b32 s48, 0
	global_store_b8 v[2:3], v6, off
.LBB95_437:
	s_and_b32 vcc_lo, exec_lo, s48
	s_cbranch_vccz .LBB95_447
; %bb.438:
	s_wait_xcnt 0x0
	v_bfe_i32 v4, v1, 0, 16
	s_mov_b32 s48, exec_lo
                                        ; implicit-def: $vgpr5
	s_delay_alu instid0(VALU_DEP_1) | instskip(NEXT) | instid1(VALU_DEP_1)
	v_cvt_f32_i32_e32 v4, v4
	v_and_b32_e32 v6, 0x7fffffff, v4
	s_delay_alu instid0(VALU_DEP_1)
	v_cmpx_gt_u32_e32 0x43f00000, v6
	s_xor_b32 s48, exec_lo, s48
	s_cbranch_execz .LBB95_444
; %bb.439:
	s_mov_b32 s49, exec_lo
                                        ; implicit-def: $vgpr5
	v_cmpx_lt_u32_e32 0x3c7fffff, v6
	s_xor_b32 s49, exec_lo, s49
; %bb.440:
	v_bfe_u32 v5, v4, 20, 1
	s_delay_alu instid0(VALU_DEP_1) | instskip(NEXT) | instid1(VALU_DEP_1)
	v_add3_u32 v5, v4, v5, 0x407ffff
	v_and_b32_e32 v6, 0xff00000, v5
	v_lshrrev_b32_e32 v5, 20, v5
	s_delay_alu instid0(VALU_DEP_2) | instskip(NEXT) | instid1(VALU_DEP_2)
	v_cmp_ne_u32_e32 vcc_lo, 0x7f00000, v6
	v_cndmask_b32_e32 v5, 0x7e, v5, vcc_lo
; %bb.441:
	s_and_not1_saveexec_b32 s49, s49
; %bb.442:
	v_add_f32_e64 v5, 0x46800000, |v4|
; %bb.443:
	s_or_b32 exec_lo, exec_lo, s49
                                        ; implicit-def: $vgpr6
.LBB95_444:
	s_and_not1_saveexec_b32 s48, s48
; %bb.445:
	v_mov_b32_e32 v5, 0x7f
	v_cmp_lt_u32_e32 vcc_lo, 0x7f800000, v6
	s_delay_alu instid0(VALU_DEP_2)
	v_cndmask_b32_e32 v5, 0x7e, v5, vcc_lo
; %bb.446:
	s_or_b32 exec_lo, exec_lo, s48
	v_lshrrev_b32_e32 v4, 24, v4
	s_delay_alu instid0(VALU_DEP_1)
	v_and_or_b32 v4, 0x80, v4, v5
	global_store_b8 v[2:3], v4, off
.LBB95_447:
	s_mov_b32 s48, 0
.LBB95_448:
	s_delay_alu instid0(SALU_CYCLE_1)
	s_and_not1_b32 vcc_lo, exec_lo, s48
	s_cbranch_vccnz .LBB95_458
; %bb.449:
	s_wait_xcnt 0x0
	v_bfe_i32 v4, v1, 0, 16
	s_mov_b32 s48, exec_lo
                                        ; implicit-def: $vgpr5
	s_delay_alu instid0(VALU_DEP_1) | instskip(NEXT) | instid1(VALU_DEP_1)
	v_cvt_f32_i32_e32 v4, v4
	v_and_b32_e32 v6, 0x7fffffff, v4
	s_delay_alu instid0(VALU_DEP_1)
	v_cmpx_gt_u32_e32 0x47800000, v6
	s_xor_b32 s48, exec_lo, s48
	s_cbranch_execz .LBB95_455
; %bb.450:
	s_mov_b32 s49, exec_lo
                                        ; implicit-def: $vgpr5
	v_cmpx_lt_u32_e32 0x387fffff, v6
	s_xor_b32 s49, exec_lo, s49
; %bb.451:
	v_bfe_u32 v5, v4, 21, 1
	s_delay_alu instid0(VALU_DEP_1) | instskip(NEXT) | instid1(VALU_DEP_1)
	v_add3_u32 v5, v4, v5, 0x80fffff
	v_lshrrev_b32_e32 v5, 21, v5
; %bb.452:
	s_and_not1_saveexec_b32 s49, s49
; %bb.453:
	v_add_f32_e64 v5, 0x43000000, |v4|
; %bb.454:
	s_or_b32 exec_lo, exec_lo, s49
                                        ; implicit-def: $vgpr6
.LBB95_455:
	s_and_not1_saveexec_b32 s48, s48
; %bb.456:
	v_mov_b32_e32 v5, 0x7f
	v_cmp_lt_u32_e32 vcc_lo, 0x7f800000, v6
	s_delay_alu instid0(VALU_DEP_2)
	v_cndmask_b32_e32 v5, 0x7c, v5, vcc_lo
; %bb.457:
	s_or_b32 exec_lo, exec_lo, s48
	v_lshrrev_b32_e32 v4, 24, v4
	s_delay_alu instid0(VALU_DEP_1)
	v_and_or_b32 v4, 0x80, v4, v5
	global_store_b8 v[2:3], v4, off
.LBB95_458:
	s_mov_b32 s49, 0
	s_mov_b32 s48, -1
.LBB95_459:
	s_and_not1_b32 vcc_lo, exec_lo, s49
	s_cbranch_vccnz .LBB95_467
; %bb.460:
	s_cmp_gt_i32 s44, 14
	s_mov_b32 s49, -1
	s_cbranch_scc0 .LBB95_464
; %bb.461:
	s_cmp_eq_u32 s44, 15
	s_mov_b32 s0, -1
	s_cbranch_scc0 .LBB95_463
; %bb.462:
	s_wait_xcnt 0x0
	v_bfe_i32 v4, v1, 0, 16
	s_mov_b32 s48, -1
	s_mov_b32 s0, 0
	s_delay_alu instid0(VALU_DEP_1) | instskip(NEXT) | instid1(VALU_DEP_1)
	v_cvt_f32_i32_e32 v4, v4
	v_bfe_u32 v5, v4, 16, 1
	s_delay_alu instid0(VALU_DEP_1)
	v_add3_u32 v4, v4, v5, 0x7fff
	global_store_d16_hi_b16 v[2:3], v4, off
.LBB95_463:
	s_mov_b32 s49, 0
.LBB95_464:
	s_delay_alu instid0(SALU_CYCLE_1)
	s_and_b32 vcc_lo, exec_lo, s49
	s_cbranch_vccz .LBB95_467
; %bb.465:
	s_cmp_eq_u32 s44, 11
	s_mov_b32 s0, -1
	s_cbranch_scc0 .LBB95_467
; %bb.466:
	v_cmp_ne_u16_e32 vcc_lo, 0, v1
	s_mov_b32 s0, 0
	s_mov_b32 s48, -1
	s_wait_xcnt 0x0
	v_cndmask_b32_e64 v4, 0, 1, vcc_lo
	global_store_b8 v[2:3], v4, off
.LBB95_467:
	s_mov_b32 s44, 0
.LBB95_468:
	s_delay_alu instid0(SALU_CYCLE_1)
	s_and_b32 vcc_lo, exec_lo, s44
	s_cbranch_vccz .LBB95_507
; %bb.469:
	s_and_b32 s35, 0xffff, s35
	s_mov_b32 s44, -1
	s_cmp_lt_i32 s35, 5
	s_cbranch_scc1 .LBB95_490
; %bb.470:
	s_cmp_lt_i32 s35, 8
	s_cbranch_scc1 .LBB95_480
; %bb.471:
	;; [unrolled: 3-line block ×3, first 2 shown]
	s_cmp_gt_i32 s35, 9
	s_cbranch_scc0 .LBB95_474
; %bb.473:
	s_wait_xcnt 0x0
	v_bfe_i32 v4, v1, 0, 16
	v_mov_b32_e32 v6, 0
	s_mov_b32 s44, 0
	s_delay_alu instid0(VALU_DEP_2) | instskip(NEXT) | instid1(VALU_DEP_2)
	v_cvt_f64_i32_e32 v[4:5], v4
	v_mov_b32_e32 v7, v6
	global_store_b128 v[2:3], v[4:7], off
.LBB95_474:
	s_and_not1_b32 vcc_lo, exec_lo, s44
	s_cbranch_vccnz .LBB95_476
; %bb.475:
	s_wait_xcnt 0x0
	v_bfe_i32 v4, v1, 0, 16
	v_mov_b32_e32 v5, 0
	s_delay_alu instid0(VALU_DEP_2)
	v_cvt_f32_i32_e32 v4, v4
	global_store_b64 v[2:3], v[4:5], off
.LBB95_476:
	s_mov_b32 s44, 0
.LBB95_477:
	s_delay_alu instid0(SALU_CYCLE_1)
	s_and_not1_b32 vcc_lo, exec_lo, s44
	s_cbranch_vccnz .LBB95_479
; %bb.478:
	s_wait_xcnt 0x0
	v_cvt_f16_i16_e32 v4, v1
	s_delay_alu instid0(VALU_DEP_1)
	v_and_b32_e32 v4, 0xffff, v4
	global_store_b32 v[2:3], v4, off
.LBB95_479:
	s_mov_b32 s44, 0
.LBB95_480:
	s_delay_alu instid0(SALU_CYCLE_1)
	s_and_not1_b32 vcc_lo, exec_lo, s44
	s_cbranch_vccnz .LBB95_489
; %bb.481:
	s_cmp_lt_i32 s35, 6
	s_mov_b32 s44, -1
	s_cbranch_scc1 .LBB95_487
; %bb.482:
	s_cmp_gt_i32 s35, 6
	s_cbranch_scc0 .LBB95_484
; %bb.483:
	s_wait_xcnt 0x0
	v_bfe_i32 v4, v1, 0, 16
	s_mov_b32 s44, 0
	s_delay_alu instid0(VALU_DEP_1)
	v_cvt_f64_i32_e32 v[4:5], v4
	global_store_b64 v[2:3], v[4:5], off
.LBB95_484:
	s_and_not1_b32 vcc_lo, exec_lo, s44
	s_cbranch_vccnz .LBB95_486
; %bb.485:
	s_wait_xcnt 0x0
	v_bfe_i32 v4, v1, 0, 16
	s_delay_alu instid0(VALU_DEP_1)
	v_cvt_f32_i32_e32 v4, v4
	global_store_b32 v[2:3], v4, off
.LBB95_486:
	s_mov_b32 s44, 0
.LBB95_487:
	s_delay_alu instid0(SALU_CYCLE_1)
	s_and_not1_b32 vcc_lo, exec_lo, s44
	s_cbranch_vccnz .LBB95_489
; %bb.488:
	s_wait_xcnt 0x0
	v_cvt_f16_i16_e32 v4, v1
	global_store_b16 v[2:3], v4, off
.LBB95_489:
	s_mov_b32 s44, 0
.LBB95_490:
	s_delay_alu instid0(SALU_CYCLE_1)
	s_and_not1_b32 vcc_lo, exec_lo, s44
	s_cbranch_vccnz .LBB95_506
; %bb.491:
	s_cmp_lt_i32 s35, 2
	s_mov_b32 s44, -1
	s_cbranch_scc1 .LBB95_501
; %bb.492:
	s_cmp_lt_i32 s35, 3
	s_cbranch_scc1 .LBB95_498
; %bb.493:
	s_wait_xcnt 0x0
	v_bfe_i32 v4, v1, 0, 16
	s_cmp_gt_i32 s35, 3
	s_cbranch_scc0 .LBB95_495
; %bb.494:
	s_delay_alu instid0(VALU_DEP_1)
	v_ashrrev_i32_e32 v5, 31, v4
	s_mov_b32 s44, 0
	global_store_b64 v[2:3], v[4:5], off
.LBB95_495:
	s_and_not1_b32 vcc_lo, exec_lo, s44
	s_cbranch_vccnz .LBB95_497
; %bb.496:
	global_store_b32 v[2:3], v4, off
.LBB95_497:
	s_mov_b32 s44, 0
.LBB95_498:
	s_delay_alu instid0(SALU_CYCLE_1)
	s_and_not1_b32 vcc_lo, exec_lo, s44
	s_cbranch_vccnz .LBB95_500
; %bb.499:
	global_store_b16 v[2:3], v1, off
.LBB95_500:
	s_mov_b32 s44, 0
.LBB95_501:
	s_delay_alu instid0(SALU_CYCLE_1)
	s_and_not1_b32 vcc_lo, exec_lo, s44
	s_cbranch_vccnz .LBB95_506
; %bb.502:
	s_cmp_gt_i32 s35, 0
	s_mov_b32 s35, -1
	s_cbranch_scc0 .LBB95_504
; %bb.503:
	s_mov_b32 s35, 0
	global_store_b8 v[2:3], v1, off
.LBB95_504:
	s_and_not1_b32 vcc_lo, exec_lo, s35
	s_cbranch_vccnz .LBB95_506
; %bb.505:
	global_store_b8 v[2:3], v1, off
.LBB95_506:
	s_mov_b32 s48, -1
.LBB95_507:
	s_delay_alu instid0(SALU_CYCLE_1)
	s_and_not1_b32 vcc_lo, exec_lo, s48
	s_cbranch_vccnz .LBB95_509
; %bb.508:
	v_add_nc_u32_e32 v0, 0x80, v0
	s_mov_b32 s35, -1
	s_branch .LBB95_510
.LBB95_509:
	s_mov_b32 s35, 0
                                        ; implicit-def: $vgpr0
.LBB95_510:
	s_and_b32 s44, s0, exec_lo
	s_and_b32 s48, s34, exec_lo
	;; [unrolled: 1-line block ×4, first 2 shown]
	s_or_not1_b32 s31, s35, exec_lo
.LBB95_511:
	s_wait_xcnt 0x0
	s_or_b32 exec_lo, exec_lo, s51
	s_mov_b32 s34, 0
	s_mov_b32 s30, 0
                                        ; implicit-def: $sgpr0
                                        ; implicit-def: $vgpr10_vgpr11
                                        ; implicit-def: $vgpr2
                                        ; implicit-def: $vgpr6
                                        ; implicit-def: $vgpr8
                                        ; implicit-def: $vgpr4
	s_and_saveexec_b32 s51, s31
	s_cbranch_execz .LBB95_519
; %bb.512:
	s_mov_b32 s35, -1
	s_mov_b32 s52, s50
	s_mov_b32 s55, s49
	;; [unrolled: 1-line block ×4, first 2 shown]
	s_mov_b32 s56, exec_lo
	v_cmpx_gt_i32_e64 s46, v0
	s_cbranch_execz .LBB95_1033
; %bb.513:
	s_and_not1_b32 vcc_lo, exec_lo, s38
	s_cbranch_vccnz .LBB95_522
; %bb.514:
	s_and_not1_b32 vcc_lo, exec_lo, s47
	s_cbranch_vccnz .LBB95_523
; %bb.515:
	s_wait_loadcnt 0x0
	v_dual_mov_b32 v8, 0 :: v_dual_mov_b32 v1, v0
	v_dual_mov_b32 v6, 0 :: v_dual_mov_b32 v2, 0
	v_mov_b32_e32 v4, 0
	s_add_co_i32 s0, s45, 1
	s_mov_b64 s[30:31], 0xffffffffffffffe0
	s_and_b32 s0, s0, 30
	s_add_nc_u64 s[30:31], s[2:3], s[30:31]
	s_mov_b64 s[34:35], s[2:3]
.LBB95_516:                             ; =>This Inner Loop Header: Depth=1
	s_clause 0x1
	s_load_b128 s[52:55], s[34:35], 0x4
	s_load_b64 s[58:59], s[34:35], 0x14
	s_load_b256 s[60:67], s[30:31], 0xe4
	s_add_co_i32 s0, s0, -2
	s_wait_xcnt 0x0
	s_add_nc_u64 s[34:35], s[34:35], 24
	s_cmp_eq_u32 s0, 0
	s_add_nc_u64 s[30:31], s[30:31], 32
	s_wait_kmcnt 0x0
	v_mul_hi_u32 v3, s53, v1
	s_delay_alu instid0(VALU_DEP_1) | instskip(NEXT) | instid1(VALU_DEP_1)
	v_add_nc_u32_e32 v3, v1, v3
	v_lshrrev_b32_e32 v3, s54, v3
	s_delay_alu instid0(VALU_DEP_1) | instskip(SKIP_1) | instid1(VALU_DEP_1)
	v_mul_hi_u32 v5, s58, v3
	v_mul_lo_u32 v7, v3, s52
	v_dual_add_nc_u32 v5, v3, v5 :: v_dual_sub_nc_u32 v7, v1, v7
	s_delay_alu instid0(VALU_DEP_1) | instskip(NEXT) | instid1(VALU_DEP_2)
	v_lshrrev_b32_e32 v1, s59, v5
	v_mad_u32 v4, v7, s61, v4
	v_mad_u32 v2, v7, s60, v2
	;; [unrolled: 1-line block ×4, first 2 shown]
	v_mul_lo_u32 v5, v1, s55
	s_delay_alu instid0(VALU_DEP_1) | instskip(NEXT) | instid1(VALU_DEP_1)
	v_sub_nc_u32_e32 v3, v3, v5
	v_mad_u32 v4, v3, s65, v4
	v_mad_u32 v2, v3, s64, v2
	v_mad_u32 v6, v3, s67, v6
	v_mad_u32 v8, v3, s66, v7
	s_cbranch_scc0 .LBB95_516
; %bb.517:
	s_bitcmp1_b32 s45, 0
	s_cselect_b32 s0, -1, 0
	s_delay_alu instid0(SALU_CYCLE_1)
	s_and_b32 vcc_lo, exec_lo, s0
	s_cbranch_vccnz .LBB95_524
; %bb.518:
	s_load_b96 s[60:62], s[34:35], 0x4
	s_load_b128 s[52:55], s[30:31], 0xe4
	s_wait_kmcnt 0x0
	v_mul_hi_u32 v3, s61, v1
	s_delay_alu instid0(VALU_DEP_1) | instskip(NEXT) | instid1(VALU_DEP_1)
	v_add_nc_u32_e32 v3, v1, v3
	v_lshrrev_b32_e32 v3, s62, v3
	s_delay_alu instid0(VALU_DEP_1) | instskip(NEXT) | instid1(VALU_DEP_1)
	v_mul_lo_u32 v3, v3, s60
	v_sub_nc_u32_e32 v1, v1, v3
	s_delay_alu instid0(VALU_DEP_1)
	v_mad_u32 v2, v1, s52, v2
	v_mad_u32 v4, v1, s53, v4
	;; [unrolled: 1-line block ×4, first 2 shown]
	s_branch .LBB95_524
.LBB95_519:
	s_or_b32 exec_lo, exec_lo, s51
	s_mov_b32 s1, 0
	s_and_saveexec_b32 s6, s50
	s_cbranch_execnz .LBB95_1645
.LBB95_520:
	s_or_b32 exec_lo, exec_lo, s6
	s_and_saveexec_b32 s6, s27
	s_delay_alu instid0(SALU_CYCLE_1)
	s_xor_b32 s6, exec_lo, s6
	s_cbranch_execz .LBB95_1646
.LBB95_521:
	s_wait_loadcnt 0x0
	global_load_u8 v0, v[10:11], off
	s_or_b32 s30, s30, exec_lo
	s_wait_loadcnt 0x0
	v_cmp_ne_u16_e32 vcc_lo, 0, v0
	v_cndmask_b32_e64 v4, 0, 1, vcc_lo
	s_wait_xcnt 0x0
	s_or_b32 exec_lo, exec_lo, s6
	s_and_saveexec_b32 s6, s34
	s_cbranch_execz .LBB95_1692
	s_branch .LBB95_1647
.LBB95_522:
                                        ; implicit-def: $vgpr4
                                        ; implicit-def: $vgpr2
                                        ; implicit-def: $vgpr6
                                        ; implicit-def: $vgpr8
	s_branch .LBB95_525
.LBB95_523:
	s_wait_loadcnt 0x0
	v_dual_mov_b32 v4, 0 :: v_dual_mov_b32 v2, 0
	v_dual_mov_b32 v6, 0 :: v_dual_mov_b32 v8, 0
.LBB95_524:
	s_cbranch_execnz .LBB95_527
.LBB95_525:
	v_mov_b32_e32 v1, 0
	s_and_not1_b32 vcc_lo, exec_lo, s43
	s_delay_alu instid0(VALU_DEP_1) | instskip(NEXT) | instid1(VALU_DEP_1)
	v_mul_u64_e32 v[2:3], s[26:27], v[0:1]
	v_add_nc_u32_e32 v2, v0, v3
	s_wait_loadcnt 0x0
	s_delay_alu instid0(VALU_DEP_1) | instskip(NEXT) | instid1(VALU_DEP_1)
	v_lshrrev_b32_e32 v10, s22, v2
	v_mul_lo_u32 v2, v10, s20
	s_delay_alu instid0(VALU_DEP_1) | instskip(NEXT) | instid1(VALU_DEP_1)
	v_sub_nc_u32_e32 v3, v0, v2
	v_mul_lo_u32 v4, v3, s13
	v_mul_lo_u32 v2, v3, s12
	;; [unrolled: 1-line block ×4, first 2 shown]
	s_cbranch_vccnz .LBB95_527
; %bb.526:
	v_mov_b32_e32 v11, v1
	s_delay_alu instid0(VALU_DEP_1) | instskip(NEXT) | instid1(VALU_DEP_1)
	v_mul_u64_e32 v[12:13], s[28:29], v[10:11]
	v_add_nc_u32_e32 v1, v10, v13
	s_delay_alu instid0(VALU_DEP_1) | instskip(NEXT) | instid1(VALU_DEP_1)
	v_lshrrev_b32_e32 v1, s1, v1
	v_mul_lo_u32 v1, v1, s23
	s_delay_alu instid0(VALU_DEP_1) | instskip(NEXT) | instid1(VALU_DEP_1)
	v_sub_nc_u32_e32 v1, v10, v1
	v_mad_u32 v2, v1, s16, v2
	v_mad_u32 v4, v1, s17, v4
	;; [unrolled: 1-line block ×4, first 2 shown]
.LBB95_527:
	s_wait_loadcnt 0x0
	v_mov_b32_e32 v5, 0
	s_and_b32 s0, s42, 0xff
	s_delay_alu instid0(SALU_CYCLE_1) | instskip(NEXT) | instid1(VALU_DEP_1)
	s_cmp_lt_i32 s0, 11
	v_add_nc_u64_e32 v[10:11], s[6:7], v[4:5]
	s_cbranch_scc1 .LBB95_534
; %bb.528:
	s_and_b32 s31, 0xffff, s0
	s_delay_alu instid0(SALU_CYCLE_1)
	s_cmp_gt_i32 s31, 25
	s_cbranch_scc0 .LBB95_543
; %bb.529:
	s_cmp_gt_i32 s31, 28
	s_cbranch_scc0 .LBB95_545
; %bb.530:
	;; [unrolled: 3-line block ×4, first 2 shown]
	s_cmp_eq_u32 s31, 46
	s_mov_b32 s35, 0
	s_cbranch_scc0 .LBB95_551
; %bb.533:
	global_load_b32 v1, v[10:11], off
	s_mov_b32 s34, -1
	s_mov_b32 s30, 0
	s_wait_loadcnt 0x0
	v_lshlrev_b32_e32 v1, 16, v1
	s_delay_alu instid0(VALU_DEP_1)
	v_cvt_i32_f32_e32 v4, v1
	s_branch .LBB95_553
.LBB95_534:
	s_mov_b32 s34, 0
	s_mov_b32 s30, s50
                                        ; implicit-def: $vgpr4
	s_cbranch_execnz .LBB95_615
.LBB95_535:
	s_and_not1_b32 vcc_lo, exec_lo, s34
	s_cbranch_vccnz .LBB95_663
.LBB95_536:
	v_mov_b32_e32 v9, 0
	s_and_b32 s0, s41, 0xff
	s_delay_alu instid0(SALU_CYCLE_1) | instskip(SKIP_1) | instid1(VALU_DEP_1)
	s_cmp_lt_i32 s0, 11
	s_wait_xcnt 0x0
	v_add_nc_u64_e32 v[10:11], s[8:9], v[8:9]
	s_cbranch_scc1 .LBB95_544
; %bb.537:
	s_and_b32 s34, 0xffff, s0
	s_delay_alu instid0(SALU_CYCLE_1)
	s_cmp_gt_i32 s34, 25
	s_cbranch_scc0 .LBB95_546
; %bb.538:
	s_cmp_gt_i32 s34, 28
	s_cbranch_scc0 .LBB95_548
; %bb.539:
	;; [unrolled: 3-line block ×4, first 2 shown]
	s_cmp_eq_u32 s34, 46
	s_mov_b32 s52, 0
	s_cbranch_scc0 .LBB95_666
; %bb.542:
	global_load_b32 v1, v[10:11], off
	s_mov_b32 s35, -1
	s_mov_b32 s31, 0
	s_wait_loadcnt 0x0
	v_lshlrev_b32_e32 v1, 16, v1
	s_delay_alu instid0(VALU_DEP_1)
	v_cvt_i32_f32_e32 v8, v1
	s_branch .LBB95_668
.LBB95_543:
	s_mov_b32 s35, -1
	s_mov_b32 s34, 0
	s_mov_b32 s30, s50
                                        ; implicit-def: $vgpr4
	s_branch .LBB95_581
.LBB95_544:
	s_mov_b32 s34, -1
	s_mov_b32 s35, 0
	s_mov_b32 s31, s49
                                        ; implicit-def: $vgpr8
	s_branch .LBB95_729
.LBB95_545:
	s_mov_b32 s35, -1
	s_mov_b32 s34, 0
	s_mov_b32 s30, s50
                                        ; implicit-def: $vgpr4
	s_branch .LBB95_564
.LBB95_546:
	s_mov_b32 s52, -1
	s_mov_b32 s35, 0
	s_mov_b32 s31, s49
                                        ; implicit-def: $vgpr8
	s_branch .LBB95_695
.LBB95_547:
	s_mov_b32 s35, -1
	s_mov_b32 s34, 0
	s_mov_b32 s30, s50
                                        ; implicit-def: $vgpr4
	s_branch .LBB95_559
.LBB95_548:
	s_mov_b32 s52, -1
	s_mov_b32 s35, 0
	s_mov_b32 s31, s49
                                        ; implicit-def: $vgpr8
	s_branch .LBB95_678
.LBB95_549:
	s_mov_b32 s35, -1
	s_mov_b32 s34, 0
	s_mov_b32 s30, s50
	s_branch .LBB95_552
.LBB95_550:
	s_mov_b32 s52, -1
	s_mov_b32 s35, 0
	s_mov_b32 s31, s49
                                        ; implicit-def: $vgpr8
	s_branch .LBB95_673
.LBB95_551:
	s_mov_b32 s30, -1
	s_mov_b32 s34, 0
.LBB95_552:
                                        ; implicit-def: $vgpr4
.LBB95_553:
	s_and_b32 vcc_lo, exec_lo, s35
	s_cbranch_vccz .LBB95_558
; %bb.554:
	s_cmp_eq_u32 s31, 44
	s_cbranch_scc0 .LBB95_557
; %bb.555:
	global_load_u8 v1, v[10:11], off
	s_mov_b32 s30, 0
	s_mov_b32 s34, -1
	s_wait_loadcnt 0x0
	v_lshlrev_b32_e32 v3, 23, v1
	v_cmp_ne_u32_e32 vcc_lo, 0, v1
	s_delay_alu instid0(VALU_DEP_2) | instskip(NEXT) | instid1(VALU_DEP_1)
	v_cvt_i32_f32_e32 v3, v3
	v_cndmask_b32_e32 v4, 0, v3, vcc_lo
	s_branch .LBB95_558
.LBB95_556:
	s_mov_b32 s52, -1
	s_mov_b32 s35, 0
	s_mov_b32 s31, s49
	s_branch .LBB95_667
.LBB95_557:
	s_mov_b32 s30, -1
                                        ; implicit-def: $vgpr4
.LBB95_558:
	s_mov_b32 s35, 0
.LBB95_559:
	s_delay_alu instid0(SALU_CYCLE_1)
	s_and_b32 vcc_lo, exec_lo, s35
	s_cbranch_vccz .LBB95_563
; %bb.560:
	s_cmp_eq_u32 s31, 29
	s_cbranch_scc0 .LBB95_562
; %bb.561:
	global_load_b64 v[4:5], v[10:11], off
	s_mov_b32 s34, -1
	s_mov_b32 s30, 0
	s_branch .LBB95_563
.LBB95_562:
	s_mov_b32 s30, -1
                                        ; implicit-def: $vgpr4
.LBB95_563:
	s_mov_b32 s35, 0
.LBB95_564:
	s_delay_alu instid0(SALU_CYCLE_1)
	s_and_b32 vcc_lo, exec_lo, s35
	s_cbranch_vccz .LBB95_580
; %bb.565:
	s_cmp_lt_i32 s31, 27
	s_cbranch_scc1 .LBB95_568
; %bb.566:
	s_cmp_gt_i32 s31, 27
	s_cbranch_scc0 .LBB95_569
; %bb.567:
	s_wait_loadcnt 0x0
	global_load_b32 v4, v[10:11], off
	s_mov_b32 s34, 0
	s_branch .LBB95_570
.LBB95_568:
	s_mov_b32 s34, -1
                                        ; implicit-def: $vgpr4
	s_branch .LBB95_573
.LBB95_569:
	s_mov_b32 s34, -1
                                        ; implicit-def: $vgpr4
.LBB95_570:
	s_delay_alu instid0(SALU_CYCLE_1)
	s_and_not1_b32 vcc_lo, exec_lo, s34
	s_cbranch_vccnz .LBB95_572
; %bb.571:
	s_wait_loadcnt 0x0
	global_load_u16 v4, v[10:11], off
.LBB95_572:
	s_mov_b32 s34, 0
.LBB95_573:
	s_delay_alu instid0(SALU_CYCLE_1)
	s_and_not1_b32 vcc_lo, exec_lo, s34
	s_cbranch_vccnz .LBB95_579
; %bb.574:
	global_load_u8 v1, v[10:11], off
	s_mov_b32 s35, 0
	s_mov_b32 s34, exec_lo
	s_wait_loadcnt 0x0
	v_cmpx_lt_i16_e32 0x7f, v1
	s_xor_b32 s34, exec_lo, s34
	s_cbranch_execz .LBB95_591
; %bb.575:
	v_cmp_ne_u16_e32 vcc_lo, 0x80, v1
	s_and_b32 s35, vcc_lo, exec_lo
	s_and_not1_saveexec_b32 s34, s34
	s_cbranch_execnz .LBB95_592
.LBB95_576:
	s_or_b32 exec_lo, exec_lo, s34
	v_mov_b32_e32 v4, 0
	s_and_saveexec_b32 s34, s35
	s_cbranch_execz .LBB95_578
.LBB95_577:
	v_and_b32_e32 v3, 0xffff, v1
	s_delay_alu instid0(VALU_DEP_1) | instskip(SKIP_1) | instid1(VALU_DEP_2)
	v_and_b32_e32 v4, 7, v3
	v_bfe_u32 v9, v3, 3, 4
	v_clz_i32_u32_e32 v5, v4
	s_delay_alu instid0(VALU_DEP_2) | instskip(NEXT) | instid1(VALU_DEP_2)
	v_cmp_eq_u32_e32 vcc_lo, 0, v9
	v_min_u32_e32 v5, 32, v5
	s_delay_alu instid0(VALU_DEP_1) | instskip(NEXT) | instid1(VALU_DEP_1)
	v_subrev_nc_u32_e32 v7, 28, v5
	v_dual_lshlrev_b32 v3, v7, v3 :: v_dual_sub_nc_u32 v5, 29, v5
	s_delay_alu instid0(VALU_DEP_1) | instskip(NEXT) | instid1(VALU_DEP_1)
	v_dual_lshlrev_b32 v1, 24, v1 :: v_dual_bitop2_b32 v3, 7, v3 bitop3:0x40
	v_dual_cndmask_b32 v3, v4, v3, vcc_lo :: v_dual_cndmask_b32 v5, v9, v5, vcc_lo
	s_delay_alu instid0(VALU_DEP_2) | instskip(NEXT) | instid1(VALU_DEP_2)
	v_and_b32_e32 v1, 0x80000000, v1
	v_lshlrev_b32_e32 v3, 20, v3
	s_delay_alu instid0(VALU_DEP_3) | instskip(NEXT) | instid1(VALU_DEP_1)
	v_lshl_add_u32 v4, v5, 23, 0x3b800000
	v_or3_b32 v1, v1, v4, v3
	s_delay_alu instid0(VALU_DEP_1)
	v_cvt_i32_f32_e32 v4, v1
.LBB95_578:
	s_or_b32 exec_lo, exec_lo, s34
.LBB95_579:
	s_mov_b32 s34, -1
.LBB95_580:
	s_mov_b32 s35, 0
.LBB95_581:
	s_delay_alu instid0(SALU_CYCLE_1)
	s_and_b32 vcc_lo, exec_lo, s35
	s_cbranch_vccz .LBB95_614
; %bb.582:
	s_cmp_gt_i32 s31, 22
	s_cbranch_scc0 .LBB95_590
; %bb.583:
	s_cmp_lt_i32 s31, 24
	s_cbranch_scc1 .LBB95_593
; %bb.584:
	s_cmp_gt_i32 s31, 24
	s_cbranch_scc0 .LBB95_594
; %bb.585:
	global_load_u8 v1, v[10:11], off
	s_mov_b32 s35, 0
	s_mov_b32 s34, exec_lo
	s_wait_loadcnt 0x0
	v_cmpx_lt_i16_e32 0x7f, v1
	s_xor_b32 s34, exec_lo, s34
	s_cbranch_execz .LBB95_606
; %bb.586:
	v_cmp_ne_u16_e32 vcc_lo, 0x80, v1
	s_and_b32 s35, vcc_lo, exec_lo
	s_and_not1_saveexec_b32 s34, s34
	s_cbranch_execnz .LBB95_607
.LBB95_587:
	s_or_b32 exec_lo, exec_lo, s34
	v_mov_b32_e32 v4, 0
	s_and_saveexec_b32 s34, s35
	s_cbranch_execz .LBB95_589
.LBB95_588:
	v_and_b32_e32 v3, 0xffff, v1
	s_delay_alu instid0(VALU_DEP_1) | instskip(SKIP_1) | instid1(VALU_DEP_2)
	v_and_b32_e32 v4, 3, v3
	v_bfe_u32 v9, v3, 2, 5
	v_clz_i32_u32_e32 v5, v4
	s_delay_alu instid0(VALU_DEP_2) | instskip(NEXT) | instid1(VALU_DEP_2)
	v_cmp_eq_u32_e32 vcc_lo, 0, v9
	v_min_u32_e32 v5, 32, v5
	s_delay_alu instid0(VALU_DEP_1) | instskip(NEXT) | instid1(VALU_DEP_1)
	v_subrev_nc_u32_e32 v7, 29, v5
	v_dual_lshlrev_b32 v3, v7, v3 :: v_dual_sub_nc_u32 v5, 30, v5
	s_delay_alu instid0(VALU_DEP_1) | instskip(NEXT) | instid1(VALU_DEP_1)
	v_dual_lshlrev_b32 v1, 24, v1 :: v_dual_bitop2_b32 v3, 3, v3 bitop3:0x40
	v_dual_cndmask_b32 v3, v4, v3, vcc_lo :: v_dual_cndmask_b32 v5, v9, v5, vcc_lo
	s_delay_alu instid0(VALU_DEP_2) | instskip(NEXT) | instid1(VALU_DEP_2)
	v_and_b32_e32 v1, 0x80000000, v1
	v_lshlrev_b32_e32 v3, 21, v3
	s_delay_alu instid0(VALU_DEP_3) | instskip(NEXT) | instid1(VALU_DEP_1)
	v_lshl_add_u32 v4, v5, 23, 0x37800000
	v_or3_b32 v1, v1, v4, v3
	s_delay_alu instid0(VALU_DEP_1)
	v_cvt_i32_f32_e32 v4, v1
.LBB95_589:
	s_or_b32 exec_lo, exec_lo, s34
	s_mov_b32 s34, 0
	s_branch .LBB95_595
.LBB95_590:
	s_mov_b32 s35, -1
                                        ; implicit-def: $vgpr4
	s_branch .LBB95_601
.LBB95_591:
	s_and_not1_saveexec_b32 s34, s34
	s_cbranch_execz .LBB95_576
.LBB95_592:
	v_cmp_ne_u16_e32 vcc_lo, 0, v1
	s_and_not1_b32 s35, s35, exec_lo
	s_and_b32 s52, vcc_lo, exec_lo
	s_delay_alu instid0(SALU_CYCLE_1)
	s_or_b32 s35, s35, s52
	s_or_b32 exec_lo, exec_lo, s34
	v_mov_b32_e32 v4, 0
	s_and_saveexec_b32 s34, s35
	s_cbranch_execnz .LBB95_577
	s_branch .LBB95_578
.LBB95_593:
	s_mov_b32 s34, -1
                                        ; implicit-def: $vgpr4
	s_branch .LBB95_598
.LBB95_594:
	s_mov_b32 s34, -1
                                        ; implicit-def: $vgpr4
.LBB95_595:
	s_delay_alu instid0(SALU_CYCLE_1)
	s_and_b32 vcc_lo, exec_lo, s34
	s_cbranch_vccz .LBB95_597
; %bb.596:
	global_load_u8 v1, v[10:11], off
	s_wait_loadcnt 0x0
	v_lshlrev_b32_e32 v1, 24, v1
	s_delay_alu instid0(VALU_DEP_1) | instskip(NEXT) | instid1(VALU_DEP_1)
	v_and_b32_e32 v3, 0x7f000000, v1
	v_clz_i32_u32_e32 v4, v3
	v_add_nc_u32_e32 v7, 0x1000000, v3
	v_cmp_ne_u32_e32 vcc_lo, 0, v3
	s_delay_alu instid0(VALU_DEP_3) | instskip(NEXT) | instid1(VALU_DEP_1)
	v_min_u32_e32 v4, 32, v4
	v_sub_nc_u32_e64 v4, v4, 4 clamp
	s_delay_alu instid0(VALU_DEP_1) | instskip(NEXT) | instid1(VALU_DEP_1)
	v_dual_lshlrev_b32 v5, v4, v3 :: v_dual_lshlrev_b32 v4, 23, v4
	v_lshrrev_b32_e32 v5, 4, v5
	s_delay_alu instid0(VALU_DEP_1) | instskip(NEXT) | instid1(VALU_DEP_1)
	v_dual_sub_nc_u32 v4, v5, v4 :: v_dual_ashrrev_i32 v5, 8, v7
	v_add_nc_u32_e32 v4, 0x3c000000, v4
	s_delay_alu instid0(VALU_DEP_1) | instskip(NEXT) | instid1(VALU_DEP_1)
	v_and_or_b32 v4, 0x7f800000, v5, v4
	v_cndmask_b32_e32 v3, 0, v4, vcc_lo
	s_delay_alu instid0(VALU_DEP_1) | instskip(NEXT) | instid1(VALU_DEP_1)
	v_and_or_b32 v1, 0x80000000, v1, v3
	v_cvt_i32_f32_e32 v4, v1
.LBB95_597:
	s_mov_b32 s34, 0
.LBB95_598:
	s_delay_alu instid0(SALU_CYCLE_1)
	s_and_not1_b32 vcc_lo, exec_lo, s34
	s_cbranch_vccnz .LBB95_600
; %bb.599:
	global_load_u8 v1, v[10:11], off
	s_wait_loadcnt 0x0
	v_lshlrev_b32_e32 v3, 25, v1
	v_lshlrev_b16 v1, 8, v1
	s_delay_alu instid0(VALU_DEP_1) | instskip(NEXT) | instid1(VALU_DEP_3)
	v_and_or_b32 v5, 0x7f00, v1, 0.5
	v_lshrrev_b32_e32 v4, 4, v3
	v_bfe_i32 v1, v1, 0, 16
	s_delay_alu instid0(VALU_DEP_3) | instskip(NEXT) | instid1(VALU_DEP_3)
	v_add_f32_e32 v5, -0.5, v5
	v_or_b32_e32 v4, 0x70000000, v4
	s_delay_alu instid0(VALU_DEP_1) | instskip(SKIP_1) | instid1(VALU_DEP_2)
	v_mul_f32_e32 v4, 0x7800000, v4
	v_cmp_gt_u32_e32 vcc_lo, 0x8000000, v3
	v_cndmask_b32_e32 v3, v4, v5, vcc_lo
	s_delay_alu instid0(VALU_DEP_1) | instskip(NEXT) | instid1(VALU_DEP_1)
	v_and_or_b32 v1, 0x80000000, v1, v3
	v_cvt_i32_f32_e32 v4, v1
.LBB95_600:
	s_mov_b32 s35, 0
	s_mov_b32 s34, -1
.LBB95_601:
	s_and_not1_b32 vcc_lo, exec_lo, s35
	s_cbranch_vccnz .LBB95_614
; %bb.602:
	s_cmp_gt_i32 s31, 14
	s_cbranch_scc0 .LBB95_605
; %bb.603:
	s_cmp_eq_u32 s31, 15
	s_cbranch_scc0 .LBB95_608
; %bb.604:
	global_load_u16 v1, v[10:11], off
	s_mov_b32 s34, -1
	s_mov_b32 s30, 0
	s_wait_loadcnt 0x0
	v_lshlrev_b32_e32 v1, 16, v1
	s_delay_alu instid0(VALU_DEP_1)
	v_cvt_i32_f32_e32 v4, v1
	s_branch .LBB95_609
.LBB95_605:
	s_mov_b32 s35, -1
                                        ; implicit-def: $vgpr4
	s_branch .LBB95_610
.LBB95_606:
	s_and_not1_saveexec_b32 s34, s34
	s_cbranch_execz .LBB95_587
.LBB95_607:
	v_cmp_ne_u16_e32 vcc_lo, 0, v1
	s_and_not1_b32 s35, s35, exec_lo
	s_and_b32 s52, vcc_lo, exec_lo
	s_delay_alu instid0(SALU_CYCLE_1)
	s_or_b32 s35, s35, s52
	s_or_b32 exec_lo, exec_lo, s34
	v_mov_b32_e32 v4, 0
	s_and_saveexec_b32 s34, s35
	s_cbranch_execnz .LBB95_588
	s_branch .LBB95_589
.LBB95_608:
	s_mov_b32 s30, -1
                                        ; implicit-def: $vgpr4
.LBB95_609:
	s_mov_b32 s35, 0
.LBB95_610:
	s_delay_alu instid0(SALU_CYCLE_1)
	s_and_b32 vcc_lo, exec_lo, s35
	s_cbranch_vccz .LBB95_614
; %bb.611:
	s_cmp_eq_u32 s31, 11
	s_cbranch_scc0 .LBB95_613
; %bb.612:
	global_load_u8 v1, v[10:11], off
	s_mov_b32 s30, 0
	s_mov_b32 s34, -1
	s_wait_loadcnt 0x0
	v_cmp_ne_u16_e32 vcc_lo, 0, v1
	v_cndmask_b32_e64 v4, 0, 1, vcc_lo
	s_branch .LBB95_614
.LBB95_613:
	s_mov_b32 s30, -1
                                        ; implicit-def: $vgpr4
.LBB95_614:
	s_branch .LBB95_535
.LBB95_615:
	s_and_b32 s0, 0xffff, s0
	s_delay_alu instid0(SALU_CYCLE_1)
	s_cmp_lt_i32 s0, 5
	s_cbranch_scc1 .LBB95_620
; %bb.616:
	s_cmp_lt_i32 s0, 8
	s_cbranch_scc1 .LBB95_621
; %bb.617:
	;; [unrolled: 3-line block ×3, first 2 shown]
	s_cmp_gt_i32 s0, 9
	s_cbranch_scc0 .LBB95_623
; %bb.619:
	s_wait_loadcnt 0x0
	global_load_b64 v[4:5], v[10:11], off
	s_mov_b32 s31, 0
	s_wait_loadcnt 0x0
	v_cvt_i32_f64_e32 v4, v[4:5]
	s_branch .LBB95_624
.LBB95_620:
	s_mov_b32 s31, -1
                                        ; implicit-def: $vgpr4
	s_branch .LBB95_642
.LBB95_621:
	s_mov_b32 s31, -1
                                        ; implicit-def: $vgpr4
	s_branch .LBB95_630
.LBB95_622:
	s_mov_b32 s31, -1
                                        ; implicit-def: $vgpr4
	s_branch .LBB95_627
.LBB95_623:
	s_mov_b32 s31, -1
                                        ; implicit-def: $vgpr4
.LBB95_624:
	s_delay_alu instid0(SALU_CYCLE_1)
	s_and_not1_b32 vcc_lo, exec_lo, s31
	s_cbranch_vccnz .LBB95_626
; %bb.625:
	global_load_b32 v1, v[10:11], off
	s_wait_loadcnt 0x0
	v_cvt_i32_f32_e32 v4, v1
.LBB95_626:
	s_mov_b32 s31, 0
.LBB95_627:
	s_delay_alu instid0(SALU_CYCLE_1)
	s_and_not1_b32 vcc_lo, exec_lo, s31
	s_cbranch_vccnz .LBB95_629
; %bb.628:
	global_load_b32 v1, v[10:11], off
	s_wait_loadcnt 0x0
	v_cvt_i16_f16_e32 v4, v1
.LBB95_629:
	s_mov_b32 s31, 0
.LBB95_630:
	s_delay_alu instid0(SALU_CYCLE_1)
	s_and_not1_b32 vcc_lo, exec_lo, s31
	s_cbranch_vccnz .LBB95_641
; %bb.631:
	s_cmp_lt_i32 s0, 6
	s_cbranch_scc1 .LBB95_634
; %bb.632:
	s_cmp_gt_i32 s0, 6
	s_cbranch_scc0 .LBB95_635
; %bb.633:
	s_wait_loadcnt 0x0
	global_load_b64 v[4:5], v[10:11], off
	s_mov_b32 s31, 0
	s_wait_loadcnt 0x0
	v_cvt_i32_f64_e32 v4, v[4:5]
	s_branch .LBB95_636
.LBB95_634:
	s_mov_b32 s31, -1
                                        ; implicit-def: $vgpr4
	s_branch .LBB95_639
.LBB95_635:
	s_mov_b32 s31, -1
                                        ; implicit-def: $vgpr4
.LBB95_636:
	s_delay_alu instid0(SALU_CYCLE_1)
	s_and_not1_b32 vcc_lo, exec_lo, s31
	s_cbranch_vccnz .LBB95_638
; %bb.637:
	global_load_b32 v1, v[10:11], off
	s_wait_loadcnt 0x0
	v_cvt_i32_f32_e32 v4, v1
.LBB95_638:
	s_mov_b32 s31, 0
.LBB95_639:
	s_delay_alu instid0(SALU_CYCLE_1)
	s_and_not1_b32 vcc_lo, exec_lo, s31
	s_cbranch_vccnz .LBB95_641
; %bb.640:
	global_load_u16 v1, v[10:11], off
	s_wait_loadcnt 0x0
	v_cvt_i16_f16_e32 v4, v1
.LBB95_641:
	s_mov_b32 s31, 0
.LBB95_642:
	s_delay_alu instid0(SALU_CYCLE_1)
	s_and_not1_b32 vcc_lo, exec_lo, s31
	s_cbranch_vccnz .LBB95_662
; %bb.643:
	s_cmp_lt_i32 s0, 2
	s_cbranch_scc1 .LBB95_647
; %bb.644:
	s_cmp_lt_i32 s0, 3
	s_cbranch_scc1 .LBB95_648
; %bb.645:
	s_cmp_gt_i32 s0, 3
	s_cbranch_scc0 .LBB95_649
; %bb.646:
	s_wait_loadcnt 0x0
	global_load_b64 v[4:5], v[10:11], off
	s_mov_b32 s31, 0
	s_branch .LBB95_650
.LBB95_647:
	s_mov_b32 s31, -1
                                        ; implicit-def: $vgpr4
	s_branch .LBB95_656
.LBB95_648:
	s_mov_b32 s31, -1
                                        ; implicit-def: $vgpr4
	s_branch .LBB95_653
.LBB95_649:
	s_mov_b32 s31, -1
                                        ; implicit-def: $vgpr4
.LBB95_650:
	s_delay_alu instid0(SALU_CYCLE_1)
	s_and_not1_b32 vcc_lo, exec_lo, s31
	s_cbranch_vccnz .LBB95_652
; %bb.651:
	s_wait_loadcnt 0x0
	global_load_b32 v4, v[10:11], off
.LBB95_652:
	s_mov_b32 s31, 0
.LBB95_653:
	s_delay_alu instid0(SALU_CYCLE_1)
	s_and_not1_b32 vcc_lo, exec_lo, s31
	s_cbranch_vccnz .LBB95_655
; %bb.654:
	s_wait_loadcnt 0x0
	global_load_u16 v4, v[10:11], off
.LBB95_655:
	s_mov_b32 s31, 0
.LBB95_656:
	s_delay_alu instid0(SALU_CYCLE_1)
	s_and_not1_b32 vcc_lo, exec_lo, s31
	s_cbranch_vccnz .LBB95_662
; %bb.657:
	s_cmp_gt_i32 s0, 0
	s_mov_b32 s0, 0
	s_cbranch_scc0 .LBB95_659
; %bb.658:
	s_wait_loadcnt 0x0
	global_load_i8 v4, v[10:11], off
	s_branch .LBB95_660
.LBB95_659:
	s_mov_b32 s0, -1
                                        ; implicit-def: $vgpr4
.LBB95_660:
	s_delay_alu instid0(SALU_CYCLE_1)
	s_and_not1_b32 vcc_lo, exec_lo, s0
	s_cbranch_vccnz .LBB95_662
; %bb.661:
	s_wait_loadcnt 0x0
	global_load_u8 v4, v[10:11], off
.LBB95_662:
	s_branch .LBB95_536
.LBB95_663:
	s_mov_b32 s35, 0
	s_mov_b32 s0, s44
	;; [unrolled: 1-line block ×4, first 2 shown]
	s_branch .LBB95_1031
.LBB95_664:
	s_and_not1_saveexec_b32 s50, s50
	s_cbranch_execz .LBB95_420
.LBB95_665:
	v_add_f32_e64 v5, 0x46000000, |v4|
	s_and_not1_b32 s49, s49, exec_lo
	s_delay_alu instid0(VALU_DEP_1) | instskip(NEXT) | instid1(VALU_DEP_1)
	v_and_b32_e32 v5, 0xff, v5
	v_cmp_ne_u32_e32 vcc_lo, 0, v5
	s_and_b32 s52, vcc_lo, exec_lo
	s_delay_alu instid0(SALU_CYCLE_1)
	s_or_b32 s49, s49, s52
	s_or_b32 exec_lo, exec_lo, s50
	v_mov_b32_e32 v6, 0
	s_and_saveexec_b32 s50, s49
	s_cbranch_execnz .LBB95_421
	s_branch .LBB95_422
.LBB95_666:
	s_mov_b32 s31, -1
	s_mov_b32 s35, 0
.LBB95_667:
                                        ; implicit-def: $vgpr8
.LBB95_668:
	s_and_b32 vcc_lo, exec_lo, s52
	s_cbranch_vccz .LBB95_672
; %bb.669:
	s_cmp_eq_u32 s34, 44
	s_cbranch_scc0 .LBB95_671
; %bb.670:
	global_load_u8 v1, v[10:11], off
	s_mov_b32 s31, 0
	s_mov_b32 s35, -1
	s_wait_loadcnt 0x0
	v_lshlrev_b32_e32 v3, 23, v1
	v_cmp_ne_u32_e32 vcc_lo, 0, v1
	s_delay_alu instid0(VALU_DEP_2) | instskip(NEXT) | instid1(VALU_DEP_1)
	v_cvt_i32_f32_e32 v3, v3
	v_cndmask_b32_e32 v8, 0, v3, vcc_lo
	s_branch .LBB95_672
.LBB95_671:
	s_mov_b32 s31, -1
                                        ; implicit-def: $vgpr8
.LBB95_672:
	s_mov_b32 s52, 0
.LBB95_673:
	s_delay_alu instid0(SALU_CYCLE_1)
	s_and_b32 vcc_lo, exec_lo, s52
	s_cbranch_vccz .LBB95_677
; %bb.674:
	s_cmp_eq_u32 s34, 29
	s_cbranch_scc0 .LBB95_676
; %bb.675:
	global_load_b64 v[8:9], v[10:11], off
	s_mov_b32 s35, -1
	s_mov_b32 s31, 0
	s_branch .LBB95_677
.LBB95_676:
	s_mov_b32 s31, -1
                                        ; implicit-def: $vgpr8
.LBB95_677:
	s_mov_b32 s52, 0
.LBB95_678:
	s_delay_alu instid0(SALU_CYCLE_1)
	s_and_b32 vcc_lo, exec_lo, s52
	s_cbranch_vccz .LBB95_694
; %bb.679:
	s_cmp_lt_i32 s34, 27
	s_cbranch_scc1 .LBB95_682
; %bb.680:
	s_cmp_gt_i32 s34, 27
	s_cbranch_scc0 .LBB95_683
; %bb.681:
	s_wait_loadcnt 0x0
	global_load_b32 v8, v[10:11], off
	s_mov_b32 s35, 0
	s_branch .LBB95_684
.LBB95_682:
	s_mov_b32 s35, -1
                                        ; implicit-def: $vgpr8
	s_branch .LBB95_687
.LBB95_683:
	s_mov_b32 s35, -1
                                        ; implicit-def: $vgpr8
.LBB95_684:
	s_delay_alu instid0(SALU_CYCLE_1)
	s_and_not1_b32 vcc_lo, exec_lo, s35
	s_cbranch_vccnz .LBB95_686
; %bb.685:
	s_wait_loadcnt 0x0
	global_load_u16 v8, v[10:11], off
.LBB95_686:
	s_mov_b32 s35, 0
.LBB95_687:
	s_delay_alu instid0(SALU_CYCLE_1)
	s_and_not1_b32 vcc_lo, exec_lo, s35
	s_cbranch_vccnz .LBB95_693
; %bb.688:
	global_load_u8 v1, v[10:11], off
	s_mov_b32 s52, 0
	s_mov_b32 s35, exec_lo
	s_wait_loadcnt 0x0
	v_cmpx_lt_i16_e32 0x7f, v1
	s_xor_b32 s35, exec_lo, s35
	s_cbranch_execz .LBB95_705
; %bb.689:
	v_cmp_ne_u16_e32 vcc_lo, 0x80, v1
	s_and_b32 s52, vcc_lo, exec_lo
	s_and_not1_saveexec_b32 s35, s35
	s_cbranch_execnz .LBB95_706
.LBB95_690:
	s_or_b32 exec_lo, exec_lo, s35
	v_mov_b32_e32 v8, 0
	s_and_saveexec_b32 s35, s52
	s_cbranch_execz .LBB95_692
.LBB95_691:
	v_and_b32_e32 v3, 0xffff, v1
	s_delay_alu instid0(VALU_DEP_1) | instskip(SKIP_1) | instid1(VALU_DEP_2)
	v_dual_lshlrev_b32 v1, 24, v1 :: v_dual_bitop2_b32 v5, 7, v3 bitop3:0x40
	v_bfe_u32 v9, v3, 3, 4
	v_and_b32_e32 v1, 0x80000000, v1
	s_delay_alu instid0(VALU_DEP_3) | instskip(NEXT) | instid1(VALU_DEP_3)
	v_clz_i32_u32_e32 v7, v5
	v_cmp_eq_u32_e32 vcc_lo, 0, v9
	s_delay_alu instid0(VALU_DEP_2) | instskip(NEXT) | instid1(VALU_DEP_1)
	v_min_u32_e32 v7, 32, v7
	v_subrev_nc_u32_e32 v8, 28, v7
	v_sub_nc_u32_e32 v7, 29, v7
	s_delay_alu instid0(VALU_DEP_2) | instskip(NEXT) | instid1(VALU_DEP_2)
	v_lshlrev_b32_e32 v3, v8, v3
	v_cndmask_b32_e32 v7, v9, v7, vcc_lo
	s_delay_alu instid0(VALU_DEP_2) | instskip(NEXT) | instid1(VALU_DEP_1)
	v_and_b32_e32 v3, 7, v3
	v_cndmask_b32_e32 v3, v5, v3, vcc_lo
	s_delay_alu instid0(VALU_DEP_3) | instskip(NEXT) | instid1(VALU_DEP_2)
	v_lshl_add_u32 v5, v7, 23, 0x3b800000
	v_lshlrev_b32_e32 v3, 20, v3
	s_delay_alu instid0(VALU_DEP_1) | instskip(NEXT) | instid1(VALU_DEP_1)
	v_or3_b32 v1, v1, v5, v3
	v_cvt_i32_f32_e32 v8, v1
.LBB95_692:
	s_or_b32 exec_lo, exec_lo, s35
.LBB95_693:
	s_mov_b32 s35, -1
.LBB95_694:
	s_mov_b32 s52, 0
.LBB95_695:
	s_delay_alu instid0(SALU_CYCLE_1)
	s_and_b32 vcc_lo, exec_lo, s52
	s_cbranch_vccz .LBB95_728
; %bb.696:
	s_cmp_gt_i32 s34, 22
	s_cbranch_scc0 .LBB95_704
; %bb.697:
	s_cmp_lt_i32 s34, 24
	s_cbranch_scc1 .LBB95_707
; %bb.698:
	s_cmp_gt_i32 s34, 24
	s_cbranch_scc0 .LBB95_708
; %bb.699:
	global_load_u8 v1, v[10:11], off
	s_mov_b32 s52, 0
	s_mov_b32 s35, exec_lo
	s_wait_loadcnt 0x0
	v_cmpx_lt_i16_e32 0x7f, v1
	s_xor_b32 s35, exec_lo, s35
	s_cbranch_execz .LBB95_720
; %bb.700:
	v_cmp_ne_u16_e32 vcc_lo, 0x80, v1
	s_and_b32 s52, vcc_lo, exec_lo
	s_and_not1_saveexec_b32 s35, s35
	s_cbranch_execnz .LBB95_721
.LBB95_701:
	s_or_b32 exec_lo, exec_lo, s35
	v_mov_b32_e32 v8, 0
	s_and_saveexec_b32 s35, s52
	s_cbranch_execz .LBB95_703
.LBB95_702:
	v_and_b32_e32 v3, 0xffff, v1
	s_delay_alu instid0(VALU_DEP_1) | instskip(SKIP_1) | instid1(VALU_DEP_2)
	v_dual_lshlrev_b32 v1, 24, v1 :: v_dual_bitop2_b32 v5, 3, v3 bitop3:0x40
	v_bfe_u32 v9, v3, 2, 5
	v_and_b32_e32 v1, 0x80000000, v1
	s_delay_alu instid0(VALU_DEP_3) | instskip(NEXT) | instid1(VALU_DEP_3)
	v_clz_i32_u32_e32 v7, v5
	v_cmp_eq_u32_e32 vcc_lo, 0, v9
	s_delay_alu instid0(VALU_DEP_2) | instskip(NEXT) | instid1(VALU_DEP_1)
	v_min_u32_e32 v7, 32, v7
	v_subrev_nc_u32_e32 v8, 29, v7
	v_sub_nc_u32_e32 v7, 30, v7
	s_delay_alu instid0(VALU_DEP_2) | instskip(NEXT) | instid1(VALU_DEP_2)
	v_lshlrev_b32_e32 v3, v8, v3
	v_cndmask_b32_e32 v7, v9, v7, vcc_lo
	s_delay_alu instid0(VALU_DEP_2) | instskip(NEXT) | instid1(VALU_DEP_1)
	v_and_b32_e32 v3, 3, v3
	v_cndmask_b32_e32 v3, v5, v3, vcc_lo
	s_delay_alu instid0(VALU_DEP_3) | instskip(NEXT) | instid1(VALU_DEP_2)
	v_lshl_add_u32 v5, v7, 23, 0x37800000
	v_lshlrev_b32_e32 v3, 21, v3
	s_delay_alu instid0(VALU_DEP_1) | instskip(NEXT) | instid1(VALU_DEP_1)
	v_or3_b32 v1, v1, v5, v3
	v_cvt_i32_f32_e32 v8, v1
.LBB95_703:
	s_or_b32 exec_lo, exec_lo, s35
	s_mov_b32 s35, 0
	s_branch .LBB95_709
.LBB95_704:
	s_mov_b32 s52, -1
                                        ; implicit-def: $vgpr8
	s_branch .LBB95_715
.LBB95_705:
	s_and_not1_saveexec_b32 s35, s35
	s_cbranch_execz .LBB95_690
.LBB95_706:
	v_cmp_ne_u16_e32 vcc_lo, 0, v1
	s_and_not1_b32 s52, s52, exec_lo
	s_and_b32 s53, vcc_lo, exec_lo
	s_delay_alu instid0(SALU_CYCLE_1)
	s_or_b32 s52, s52, s53
	s_or_b32 exec_lo, exec_lo, s35
	v_mov_b32_e32 v8, 0
	s_and_saveexec_b32 s35, s52
	s_cbranch_execnz .LBB95_691
	s_branch .LBB95_692
.LBB95_707:
	s_mov_b32 s35, -1
                                        ; implicit-def: $vgpr8
	s_branch .LBB95_712
.LBB95_708:
	s_mov_b32 s35, -1
                                        ; implicit-def: $vgpr8
.LBB95_709:
	s_delay_alu instid0(SALU_CYCLE_1)
	s_and_b32 vcc_lo, exec_lo, s35
	s_cbranch_vccz .LBB95_711
; %bb.710:
	global_load_u8 v1, v[10:11], off
	s_wait_loadcnt 0x0
	v_lshlrev_b32_e32 v1, 24, v1
	s_delay_alu instid0(VALU_DEP_1) | instskip(NEXT) | instid1(VALU_DEP_1)
	v_and_b32_e32 v3, 0x7f000000, v1
	v_clz_i32_u32_e32 v5, v3
	v_cmp_ne_u32_e32 vcc_lo, 0, v3
	v_add_nc_u32_e32 v8, 0x1000000, v3
	s_delay_alu instid0(VALU_DEP_3) | instskip(NEXT) | instid1(VALU_DEP_1)
	v_min_u32_e32 v5, 32, v5
	v_sub_nc_u32_e64 v5, v5, 4 clamp
	s_delay_alu instid0(VALU_DEP_1) | instskip(NEXT) | instid1(VALU_DEP_1)
	v_dual_lshlrev_b32 v7, v5, v3 :: v_dual_lshlrev_b32 v5, 23, v5
	v_lshrrev_b32_e32 v7, 4, v7
	s_delay_alu instid0(VALU_DEP_1) | instskip(NEXT) | instid1(VALU_DEP_1)
	v_dual_sub_nc_u32 v5, v7, v5 :: v_dual_ashrrev_i32 v7, 8, v8
	v_add_nc_u32_e32 v5, 0x3c000000, v5
	s_delay_alu instid0(VALU_DEP_1) | instskip(NEXT) | instid1(VALU_DEP_1)
	v_and_or_b32 v5, 0x7f800000, v7, v5
	v_cndmask_b32_e32 v3, 0, v5, vcc_lo
	s_delay_alu instid0(VALU_DEP_1) | instskip(NEXT) | instid1(VALU_DEP_1)
	v_and_or_b32 v1, 0x80000000, v1, v3
	v_cvt_i32_f32_e32 v8, v1
.LBB95_711:
	s_mov_b32 s35, 0
.LBB95_712:
	s_delay_alu instid0(SALU_CYCLE_1)
	s_and_not1_b32 vcc_lo, exec_lo, s35
	s_cbranch_vccnz .LBB95_714
; %bb.713:
	global_load_u8 v1, v[10:11], off
	s_wait_loadcnt 0x0
	v_lshlrev_b32_e32 v3, 25, v1
	v_lshlrev_b16 v1, 8, v1
	s_delay_alu instid0(VALU_DEP_1) | instskip(SKIP_1) | instid1(VALU_DEP_2)
	v_and_or_b32 v7, 0x7f00, v1, 0.5
	v_bfe_i32 v1, v1, 0, 16
	v_add_f32_e32 v7, -0.5, v7
	v_lshrrev_b32_e32 v5, 4, v3
	v_cmp_gt_u32_e32 vcc_lo, 0x8000000, v3
	s_delay_alu instid0(VALU_DEP_2) | instskip(NEXT) | instid1(VALU_DEP_1)
	v_or_b32_e32 v5, 0x70000000, v5
	v_mul_f32_e32 v5, 0x7800000, v5
	s_delay_alu instid0(VALU_DEP_1) | instskip(NEXT) | instid1(VALU_DEP_1)
	v_cndmask_b32_e32 v3, v5, v7, vcc_lo
	v_and_or_b32 v1, 0x80000000, v1, v3
	s_delay_alu instid0(VALU_DEP_1)
	v_cvt_i32_f32_e32 v8, v1
.LBB95_714:
	s_mov_b32 s52, 0
	s_mov_b32 s35, -1
.LBB95_715:
	s_and_not1_b32 vcc_lo, exec_lo, s52
	s_cbranch_vccnz .LBB95_728
; %bb.716:
	s_cmp_gt_i32 s34, 14
	s_cbranch_scc0 .LBB95_719
; %bb.717:
	s_cmp_eq_u32 s34, 15
	s_cbranch_scc0 .LBB95_722
; %bb.718:
	global_load_u16 v1, v[10:11], off
	s_mov_b32 s35, -1
	s_mov_b32 s31, 0
	s_wait_loadcnt 0x0
	v_lshlrev_b32_e32 v1, 16, v1
	s_delay_alu instid0(VALU_DEP_1)
	v_cvt_i32_f32_e32 v8, v1
	s_branch .LBB95_723
.LBB95_719:
	s_mov_b32 s52, -1
                                        ; implicit-def: $vgpr8
	s_branch .LBB95_724
.LBB95_720:
	s_and_not1_saveexec_b32 s35, s35
	s_cbranch_execz .LBB95_701
.LBB95_721:
	v_cmp_ne_u16_e32 vcc_lo, 0, v1
	s_and_not1_b32 s52, s52, exec_lo
	s_and_b32 s53, vcc_lo, exec_lo
	s_delay_alu instid0(SALU_CYCLE_1)
	s_or_b32 s52, s52, s53
	s_or_b32 exec_lo, exec_lo, s35
	v_mov_b32_e32 v8, 0
	s_and_saveexec_b32 s35, s52
	s_cbranch_execnz .LBB95_702
	s_branch .LBB95_703
.LBB95_722:
	s_mov_b32 s31, -1
                                        ; implicit-def: $vgpr8
.LBB95_723:
	s_mov_b32 s52, 0
.LBB95_724:
	s_delay_alu instid0(SALU_CYCLE_1)
	s_and_b32 vcc_lo, exec_lo, s52
	s_cbranch_vccz .LBB95_728
; %bb.725:
	s_cmp_eq_u32 s34, 11
	s_cbranch_scc0 .LBB95_727
; %bb.726:
	global_load_u8 v1, v[10:11], off
	s_mov_b32 s31, 0
	s_mov_b32 s35, -1
	s_wait_loadcnt 0x0
	v_cmp_ne_u16_e32 vcc_lo, 0, v1
	v_cndmask_b32_e64 v8, 0, 1, vcc_lo
	s_branch .LBB95_728
.LBB95_727:
	s_mov_b32 s31, -1
                                        ; implicit-def: $vgpr8
.LBB95_728:
	s_mov_b32 s34, 0
.LBB95_729:
	s_delay_alu instid0(SALU_CYCLE_1)
	s_and_b32 vcc_lo, exec_lo, s34
	s_cbranch_vccz .LBB95_778
; %bb.730:
	s_and_b32 s0, 0xffff, s0
	s_delay_alu instid0(SALU_CYCLE_1)
	s_cmp_lt_i32 s0, 5
	s_cbranch_scc1 .LBB95_735
; %bb.731:
	s_cmp_lt_i32 s0, 8
	s_cbranch_scc1 .LBB95_736
; %bb.732:
	;; [unrolled: 3-line block ×3, first 2 shown]
	s_cmp_gt_i32 s0, 9
	s_cbranch_scc0 .LBB95_738
; %bb.734:
	s_wait_loadcnt 0x0
	global_load_b64 v[8:9], v[10:11], off
	s_mov_b32 s34, 0
	s_wait_loadcnt 0x0
	v_cvt_i32_f64_e32 v8, v[8:9]
	s_branch .LBB95_739
.LBB95_735:
	s_mov_b32 s34, -1
                                        ; implicit-def: $vgpr8
	s_branch .LBB95_757
.LBB95_736:
	s_mov_b32 s34, -1
                                        ; implicit-def: $vgpr8
	s_branch .LBB95_745
.LBB95_737:
	s_mov_b32 s34, -1
                                        ; implicit-def: $vgpr8
	s_branch .LBB95_742
.LBB95_738:
	s_mov_b32 s34, -1
                                        ; implicit-def: $vgpr8
.LBB95_739:
	s_delay_alu instid0(SALU_CYCLE_1)
	s_and_not1_b32 vcc_lo, exec_lo, s34
	s_cbranch_vccnz .LBB95_741
; %bb.740:
	global_load_b32 v1, v[10:11], off
	s_wait_loadcnt 0x0
	v_cvt_i32_f32_e32 v8, v1
.LBB95_741:
	s_mov_b32 s34, 0
.LBB95_742:
	s_delay_alu instid0(SALU_CYCLE_1)
	s_and_not1_b32 vcc_lo, exec_lo, s34
	s_cbranch_vccnz .LBB95_744
; %bb.743:
	global_load_b32 v1, v[10:11], off
	s_wait_loadcnt 0x0
	v_cvt_i16_f16_e32 v8, v1
.LBB95_744:
	s_mov_b32 s34, 0
.LBB95_745:
	s_delay_alu instid0(SALU_CYCLE_1)
	s_and_not1_b32 vcc_lo, exec_lo, s34
	s_cbranch_vccnz .LBB95_756
; %bb.746:
	s_cmp_lt_i32 s0, 6
	s_cbranch_scc1 .LBB95_749
; %bb.747:
	s_cmp_gt_i32 s0, 6
	s_cbranch_scc0 .LBB95_750
; %bb.748:
	s_wait_loadcnt 0x0
	global_load_b64 v[8:9], v[10:11], off
	s_mov_b32 s34, 0
	s_wait_loadcnt 0x0
	v_cvt_i32_f64_e32 v8, v[8:9]
	s_branch .LBB95_751
.LBB95_749:
	s_mov_b32 s34, -1
                                        ; implicit-def: $vgpr8
	s_branch .LBB95_754
.LBB95_750:
	s_mov_b32 s34, -1
                                        ; implicit-def: $vgpr8
.LBB95_751:
	s_delay_alu instid0(SALU_CYCLE_1)
	s_and_not1_b32 vcc_lo, exec_lo, s34
	s_cbranch_vccnz .LBB95_753
; %bb.752:
	global_load_b32 v1, v[10:11], off
	s_wait_loadcnt 0x0
	v_cvt_i32_f32_e32 v8, v1
.LBB95_753:
	s_mov_b32 s34, 0
.LBB95_754:
	s_delay_alu instid0(SALU_CYCLE_1)
	s_and_not1_b32 vcc_lo, exec_lo, s34
	s_cbranch_vccnz .LBB95_756
; %bb.755:
	global_load_u16 v1, v[10:11], off
	s_wait_loadcnt 0x0
	v_cvt_i16_f16_e32 v8, v1
.LBB95_756:
	s_mov_b32 s34, 0
.LBB95_757:
	s_delay_alu instid0(SALU_CYCLE_1)
	s_and_not1_b32 vcc_lo, exec_lo, s34
	s_cbranch_vccnz .LBB95_777
; %bb.758:
	s_cmp_lt_i32 s0, 2
	s_cbranch_scc1 .LBB95_762
; %bb.759:
	s_cmp_lt_i32 s0, 3
	s_cbranch_scc1 .LBB95_763
; %bb.760:
	s_cmp_gt_i32 s0, 3
	s_cbranch_scc0 .LBB95_764
; %bb.761:
	s_wait_loadcnt 0x0
	global_load_b64 v[8:9], v[10:11], off
	s_mov_b32 s34, 0
	s_branch .LBB95_765
.LBB95_762:
	s_mov_b32 s34, -1
                                        ; implicit-def: $vgpr8
	s_branch .LBB95_771
.LBB95_763:
	s_mov_b32 s34, -1
                                        ; implicit-def: $vgpr8
	s_branch .LBB95_768
.LBB95_764:
	s_mov_b32 s34, -1
                                        ; implicit-def: $vgpr8
.LBB95_765:
	s_delay_alu instid0(SALU_CYCLE_1)
	s_and_not1_b32 vcc_lo, exec_lo, s34
	s_cbranch_vccnz .LBB95_767
; %bb.766:
	s_wait_loadcnt 0x0
	global_load_b32 v8, v[10:11], off
.LBB95_767:
	s_mov_b32 s34, 0
.LBB95_768:
	s_delay_alu instid0(SALU_CYCLE_1)
	s_and_not1_b32 vcc_lo, exec_lo, s34
	s_cbranch_vccnz .LBB95_770
; %bb.769:
	s_wait_loadcnt 0x0
	global_load_u16 v8, v[10:11], off
.LBB95_770:
	s_mov_b32 s34, 0
.LBB95_771:
	s_delay_alu instid0(SALU_CYCLE_1)
	s_and_not1_b32 vcc_lo, exec_lo, s34
	s_cbranch_vccnz .LBB95_777
; %bb.772:
	s_cmp_gt_i32 s0, 0
	s_mov_b32 s0, 0
	s_cbranch_scc0 .LBB95_774
; %bb.773:
	s_wait_loadcnt 0x0
	global_load_i8 v8, v[10:11], off
	s_branch .LBB95_775
.LBB95_774:
	s_mov_b32 s0, -1
                                        ; implicit-def: $vgpr8
.LBB95_775:
	s_delay_alu instid0(SALU_CYCLE_1)
	s_and_not1_b32 vcc_lo, exec_lo, s0
	s_cbranch_vccnz .LBB95_777
; %bb.776:
	s_wait_loadcnt 0x0
	global_load_u8 v8, v[10:11], off
.LBB95_777:
	s_mov_b32 s35, -1
.LBB95_778:
	s_delay_alu instid0(SALU_CYCLE_1)
	s_and_not1_b32 vcc_lo, exec_lo, s35
	s_cbranch_vccnz .LBB95_786
; %bb.779:
	v_mov_b32_e32 v7, 0
	s_and_b32 s0, 0xffff, s40
	s_delay_alu instid0(SALU_CYCLE_1) | instskip(NEXT) | instid1(VALU_DEP_1)
	s_cmp_lt_i32 s0, 11
	v_add_nc_u64_e32 v[6:7], s[10:11], v[6:7]
	s_cbranch_scc1 .LBB95_787
; %bb.780:
	s_cmp_gt_i32 s0, 25
	s_cbranch_scc0 .LBB95_788
; %bb.781:
	s_cmp_gt_i32 s0, 28
	s_cbranch_scc0 .LBB95_789
	;; [unrolled: 3-line block ×4, first 2 shown]
; %bb.784:
	s_cmp_eq_u32 s0, 46
	s_mov_b32 s52, 0
	s_cbranch_scc0 .LBB95_794
; %bb.785:
	global_load_b32 v1, v[6:7], off
	s_mov_b32 s35, -1
	s_mov_b32 s34, 0
	s_wait_loadcnt 0x0
	v_lshlrev_b32_e32 v1, 16, v1
	s_wait_xcnt 0x1
	s_delay_alu instid0(VALU_DEP_1)
	v_cvt_i32_f32_e32 v10, v1
	s_branch .LBB95_796
.LBB95_786:
	s_mov_b32 s35, 0
	s_mov_b32 s0, s44
	;; [unrolled: 1-line block ×3, first 2 shown]
	s_branch .LBB95_1031
.LBB95_787:
	s_mov_b32 s52, -1
	s_mov_b32 s35, 0
	s_mov_b32 s34, s48
                                        ; implicit-def: $vgpr10
	s_branch .LBB95_857
.LBB95_788:
	s_mov_b32 s52, -1
	s_mov_b32 s35, 0
	s_mov_b32 s34, s48
                                        ; implicit-def: $vgpr10
	s_branch .LBB95_823
.LBB95_789:
	s_mov_b32 s52, -1
	s_mov_b32 s35, 0
	s_mov_b32 s34, s48
                                        ; implicit-def: $vgpr10
	s_branch .LBB95_806
.LBB95_790:
	s_mov_b32 s52, -1
	s_mov_b32 s35, 0
	s_mov_b32 s34, s48
                                        ; implicit-def: $vgpr10
	s_branch .LBB95_801
.LBB95_791:
	s_mov_b32 s52, -1
	s_mov_b32 s35, 0
	s_mov_b32 s34, s48
	s_branch .LBB95_795
.LBB95_792:
	s_and_not1_saveexec_b32 s50, s50
	s_cbranch_execz .LBB95_433
.LBB95_793:
	v_add_f32_e64 v5, 0x42800000, |v4|
	s_and_not1_b32 s49, s49, exec_lo
	s_delay_alu instid0(VALU_DEP_1) | instskip(NEXT) | instid1(VALU_DEP_1)
	v_and_b32_e32 v5, 0xff, v5
	v_cmp_ne_u32_e32 vcc_lo, 0, v5
	s_and_b32 s52, vcc_lo, exec_lo
	s_delay_alu instid0(SALU_CYCLE_1)
	s_or_b32 s49, s49, s52
	s_or_b32 exec_lo, exec_lo, s50
	v_mov_b32_e32 v6, 0
	s_and_saveexec_b32 s50, s49
	s_cbranch_execnz .LBB95_434
	s_branch .LBB95_435
.LBB95_794:
	s_mov_b32 s34, -1
	s_mov_b32 s35, 0
.LBB95_795:
                                        ; implicit-def: $vgpr10
.LBB95_796:
	s_and_b32 vcc_lo, exec_lo, s52
	s_cbranch_vccz .LBB95_800
; %bb.797:
	s_cmp_eq_u32 s0, 44
	s_cbranch_scc0 .LBB95_799
; %bb.798:
	global_load_u8 v1, v[6:7], off
	s_mov_b32 s34, 0
	s_mov_b32 s35, -1
	s_wait_loadcnt 0x0
	v_lshlrev_b32_e32 v3, 23, v1
	v_cmp_ne_u32_e32 vcc_lo, 0, v1
	s_delay_alu instid0(VALU_DEP_2) | instskip(SKIP_1) | instid1(VALU_DEP_1)
	v_cvt_i32_f32_e32 v3, v3
	s_wait_xcnt 0x1
	v_cndmask_b32_e32 v10, 0, v3, vcc_lo
	s_branch .LBB95_800
.LBB95_799:
	s_mov_b32 s34, -1
                                        ; implicit-def: $vgpr10
.LBB95_800:
	s_mov_b32 s52, 0
.LBB95_801:
	s_delay_alu instid0(SALU_CYCLE_1)
	s_and_b32 vcc_lo, exec_lo, s52
	s_cbranch_vccz .LBB95_805
; %bb.802:
	s_cmp_eq_u32 s0, 29
	s_cbranch_scc0 .LBB95_804
; %bb.803:
	global_load_b64 v[10:11], v[6:7], off
	s_mov_b32 s35, -1
	s_mov_b32 s34, 0
	s_branch .LBB95_805
.LBB95_804:
	s_mov_b32 s34, -1
                                        ; implicit-def: $vgpr10
.LBB95_805:
	s_mov_b32 s52, 0
.LBB95_806:
	s_delay_alu instid0(SALU_CYCLE_1)
	s_and_b32 vcc_lo, exec_lo, s52
	s_cbranch_vccz .LBB95_822
; %bb.807:
	s_cmp_lt_i32 s0, 27
	s_cbranch_scc1 .LBB95_810
; %bb.808:
	s_cmp_gt_i32 s0, 27
	s_cbranch_scc0 .LBB95_811
; %bb.809:
	s_wait_loadcnt 0x0
	global_load_b32 v10, v[6:7], off
	s_mov_b32 s35, 0
	s_branch .LBB95_812
.LBB95_810:
	s_mov_b32 s35, -1
                                        ; implicit-def: $vgpr10
	s_branch .LBB95_815
.LBB95_811:
	s_mov_b32 s35, -1
                                        ; implicit-def: $vgpr10
.LBB95_812:
	s_delay_alu instid0(SALU_CYCLE_1)
	s_and_not1_b32 vcc_lo, exec_lo, s35
	s_cbranch_vccnz .LBB95_814
; %bb.813:
	s_wait_loadcnt 0x0
	global_load_u16 v10, v[6:7], off
.LBB95_814:
	s_mov_b32 s35, 0
.LBB95_815:
	s_delay_alu instid0(SALU_CYCLE_1)
	s_and_not1_b32 vcc_lo, exec_lo, s35
	s_cbranch_vccnz .LBB95_821
; %bb.816:
	global_load_u8 v1, v[6:7], off
	s_mov_b32 s52, 0
	s_mov_b32 s35, exec_lo
	s_wait_loadcnt 0x0
	v_cmpx_lt_i16_e32 0x7f, v1
	s_xor_b32 s35, exec_lo, s35
	s_cbranch_execz .LBB95_833
; %bb.817:
	v_cmp_ne_u16_e32 vcc_lo, 0x80, v1
	s_and_b32 s52, vcc_lo, exec_lo
	s_and_not1_saveexec_b32 s35, s35
	s_cbranch_execnz .LBB95_834
.LBB95_818:
	s_or_b32 exec_lo, exec_lo, s35
	v_mov_b32_e32 v10, 0
	s_and_saveexec_b32 s35, s52
	s_cbranch_execz .LBB95_820
.LBB95_819:
	v_and_b32_e32 v3, 0xffff, v1
	s_delay_alu instid0(VALU_DEP_1) | instskip(SKIP_1) | instid1(VALU_DEP_2)
	v_and_b32_e32 v5, 7, v3
	v_bfe_u32 v11, v3, 3, 4
	v_clz_i32_u32_e32 v9, v5
	s_delay_alu instid0(VALU_DEP_2) | instskip(NEXT) | instid1(VALU_DEP_2)
	v_cmp_eq_u32_e32 vcc_lo, 0, v11
	v_min_u32_e32 v9, 32, v9
	s_delay_alu instid0(VALU_DEP_1) | instskip(NEXT) | instid1(VALU_DEP_1)
	v_subrev_nc_u32_e32 v10, 28, v9
	v_dual_lshlrev_b32 v3, v10, v3 :: v_dual_sub_nc_u32 v9, 29, v9
	s_delay_alu instid0(VALU_DEP_1) | instskip(NEXT) | instid1(VALU_DEP_1)
	v_dual_lshlrev_b32 v1, 24, v1 :: v_dual_bitop2_b32 v3, 7, v3 bitop3:0x40
	v_dual_cndmask_b32 v3, v5, v3, vcc_lo :: v_dual_cndmask_b32 v9, v11, v9, vcc_lo
	s_delay_alu instid0(VALU_DEP_2) | instskip(NEXT) | instid1(VALU_DEP_2)
	v_and_b32_e32 v1, 0x80000000, v1
	v_lshlrev_b32_e32 v3, 20, v3
	s_delay_alu instid0(VALU_DEP_3) | instskip(NEXT) | instid1(VALU_DEP_1)
	v_lshl_add_u32 v5, v9, 23, 0x3b800000
	v_or3_b32 v1, v1, v5, v3
	s_delay_alu instid0(VALU_DEP_1)
	v_cvt_i32_f32_e32 v10, v1
.LBB95_820:
	s_or_b32 exec_lo, exec_lo, s35
.LBB95_821:
	s_mov_b32 s35, -1
.LBB95_822:
	s_mov_b32 s52, 0
.LBB95_823:
	s_delay_alu instid0(SALU_CYCLE_1)
	s_and_b32 vcc_lo, exec_lo, s52
	s_cbranch_vccz .LBB95_856
; %bb.824:
	s_cmp_gt_i32 s0, 22
	s_cbranch_scc0 .LBB95_832
; %bb.825:
	s_cmp_lt_i32 s0, 24
	s_cbranch_scc1 .LBB95_835
; %bb.826:
	s_cmp_gt_i32 s0, 24
	s_cbranch_scc0 .LBB95_836
; %bb.827:
	global_load_u8 v1, v[6:7], off
	s_mov_b32 s52, 0
	s_mov_b32 s35, exec_lo
	s_wait_loadcnt 0x0
	v_cmpx_lt_i16_e32 0x7f, v1
	s_xor_b32 s35, exec_lo, s35
	s_cbranch_execz .LBB95_848
; %bb.828:
	v_cmp_ne_u16_e32 vcc_lo, 0x80, v1
	s_and_b32 s52, vcc_lo, exec_lo
	s_and_not1_saveexec_b32 s35, s35
	s_cbranch_execnz .LBB95_849
.LBB95_829:
	s_or_b32 exec_lo, exec_lo, s35
	v_mov_b32_e32 v10, 0
	s_and_saveexec_b32 s35, s52
	s_cbranch_execz .LBB95_831
.LBB95_830:
	v_and_b32_e32 v3, 0xffff, v1
	s_delay_alu instid0(VALU_DEP_1) | instskip(SKIP_1) | instid1(VALU_DEP_2)
	v_and_b32_e32 v5, 3, v3
	v_bfe_u32 v11, v3, 2, 5
	v_clz_i32_u32_e32 v9, v5
	s_delay_alu instid0(VALU_DEP_2) | instskip(NEXT) | instid1(VALU_DEP_2)
	v_cmp_eq_u32_e32 vcc_lo, 0, v11
	v_min_u32_e32 v9, 32, v9
	s_delay_alu instid0(VALU_DEP_1) | instskip(NEXT) | instid1(VALU_DEP_1)
	v_subrev_nc_u32_e32 v10, 29, v9
	v_dual_lshlrev_b32 v3, v10, v3 :: v_dual_sub_nc_u32 v9, 30, v9
	s_delay_alu instid0(VALU_DEP_1) | instskip(NEXT) | instid1(VALU_DEP_1)
	v_dual_lshlrev_b32 v1, 24, v1 :: v_dual_bitop2_b32 v3, 3, v3 bitop3:0x40
	v_dual_cndmask_b32 v3, v5, v3, vcc_lo :: v_dual_cndmask_b32 v9, v11, v9, vcc_lo
	s_delay_alu instid0(VALU_DEP_2) | instskip(NEXT) | instid1(VALU_DEP_2)
	v_and_b32_e32 v1, 0x80000000, v1
	v_lshlrev_b32_e32 v3, 21, v3
	s_delay_alu instid0(VALU_DEP_3) | instskip(NEXT) | instid1(VALU_DEP_1)
	v_lshl_add_u32 v5, v9, 23, 0x37800000
	v_or3_b32 v1, v1, v5, v3
	s_delay_alu instid0(VALU_DEP_1)
	v_cvt_i32_f32_e32 v10, v1
.LBB95_831:
	s_or_b32 exec_lo, exec_lo, s35
	s_mov_b32 s35, 0
	s_branch .LBB95_837
.LBB95_832:
	s_mov_b32 s52, -1
                                        ; implicit-def: $vgpr10
	s_branch .LBB95_843
.LBB95_833:
	s_and_not1_saveexec_b32 s35, s35
	s_cbranch_execz .LBB95_818
.LBB95_834:
	v_cmp_ne_u16_e32 vcc_lo, 0, v1
	s_and_not1_b32 s52, s52, exec_lo
	s_and_b32 s53, vcc_lo, exec_lo
	s_delay_alu instid0(SALU_CYCLE_1)
	s_or_b32 s52, s52, s53
	s_or_b32 exec_lo, exec_lo, s35
	v_mov_b32_e32 v10, 0
	s_and_saveexec_b32 s35, s52
	s_cbranch_execnz .LBB95_819
	s_branch .LBB95_820
.LBB95_835:
	s_mov_b32 s35, -1
                                        ; implicit-def: $vgpr10
	s_branch .LBB95_840
.LBB95_836:
	s_mov_b32 s35, -1
                                        ; implicit-def: $vgpr10
.LBB95_837:
	s_delay_alu instid0(SALU_CYCLE_1)
	s_and_b32 vcc_lo, exec_lo, s35
	s_cbranch_vccz .LBB95_839
; %bb.838:
	global_load_u8 v1, v[6:7], off
	s_wait_loadcnt 0x0
	v_lshlrev_b32_e32 v1, 24, v1
	s_delay_alu instid0(VALU_DEP_1) | instskip(NEXT) | instid1(VALU_DEP_1)
	v_and_b32_e32 v3, 0x7f000000, v1
	v_clz_i32_u32_e32 v5, v3
	v_cmp_ne_u32_e32 vcc_lo, 0, v3
	s_wait_xcnt 0x1
	v_add_nc_u32_e32 v10, 0x1000000, v3
	s_delay_alu instid0(VALU_DEP_3) | instskip(NEXT) | instid1(VALU_DEP_1)
	v_min_u32_e32 v5, 32, v5
	v_sub_nc_u32_e64 v5, v5, 4 clamp
	s_delay_alu instid0(VALU_DEP_1) | instskip(NEXT) | instid1(VALU_DEP_1)
	v_dual_lshlrev_b32 v9, v5, v3 :: v_dual_lshlrev_b32 v5, 23, v5
	v_lshrrev_b32_e32 v9, 4, v9
	s_delay_alu instid0(VALU_DEP_1) | instskip(NEXT) | instid1(VALU_DEP_1)
	v_dual_sub_nc_u32 v5, v9, v5 :: v_dual_ashrrev_i32 v9, 8, v10
	v_add_nc_u32_e32 v5, 0x3c000000, v5
	s_delay_alu instid0(VALU_DEP_1) | instskip(NEXT) | instid1(VALU_DEP_1)
	v_and_or_b32 v5, 0x7f800000, v9, v5
	v_cndmask_b32_e32 v3, 0, v5, vcc_lo
	s_delay_alu instid0(VALU_DEP_1) | instskip(NEXT) | instid1(VALU_DEP_1)
	v_and_or_b32 v1, 0x80000000, v1, v3
	v_cvt_i32_f32_e32 v10, v1
.LBB95_839:
	s_mov_b32 s35, 0
.LBB95_840:
	s_delay_alu instid0(SALU_CYCLE_1)
	s_and_not1_b32 vcc_lo, exec_lo, s35
	s_cbranch_vccnz .LBB95_842
; %bb.841:
	global_load_u8 v1, v[6:7], off
	s_wait_loadcnt 0x0
	v_lshlrev_b32_e32 v3, 25, v1
	v_lshlrev_b16 v1, 8, v1
	s_delay_alu instid0(VALU_DEP_2) | instskip(NEXT) | instid1(VALU_DEP_2)
	v_cmp_gt_u32_e32 vcc_lo, 0x8000000, v3
	v_and_or_b32 v9, 0x7f00, v1, 0.5
	v_lshrrev_b32_e32 v5, 4, v3
	v_bfe_i32 v1, v1, 0, 16
	s_delay_alu instid0(VALU_DEP_3) | instskip(NEXT) | instid1(VALU_DEP_3)
	v_add_f32_e32 v9, -0.5, v9
	v_or_b32_e32 v5, 0x70000000, v5
	s_delay_alu instid0(VALU_DEP_1) | instskip(NEXT) | instid1(VALU_DEP_1)
	v_mul_f32_e32 v5, 0x7800000, v5
	v_cndmask_b32_e32 v3, v5, v9, vcc_lo
	s_delay_alu instid0(VALU_DEP_1) | instskip(SKIP_1) | instid1(VALU_DEP_1)
	v_and_or_b32 v1, 0x80000000, v1, v3
	s_wait_xcnt 0x1
	v_cvt_i32_f32_e32 v10, v1
.LBB95_842:
	s_mov_b32 s52, 0
	s_mov_b32 s35, -1
.LBB95_843:
	s_and_not1_b32 vcc_lo, exec_lo, s52
	s_cbranch_vccnz .LBB95_856
; %bb.844:
	s_cmp_gt_i32 s0, 14
	s_cbranch_scc0 .LBB95_847
; %bb.845:
	s_cmp_eq_u32 s0, 15
	s_cbranch_scc0 .LBB95_850
; %bb.846:
	global_load_u16 v1, v[6:7], off
	s_mov_b32 s35, -1
	s_mov_b32 s34, 0
	s_wait_loadcnt 0x0
	v_lshlrev_b32_e32 v1, 16, v1
	s_wait_xcnt 0x1
	s_delay_alu instid0(VALU_DEP_1)
	v_cvt_i32_f32_e32 v10, v1
	s_branch .LBB95_851
.LBB95_847:
	s_mov_b32 s52, -1
                                        ; implicit-def: $vgpr10
	s_branch .LBB95_852
.LBB95_848:
	s_and_not1_saveexec_b32 s35, s35
	s_cbranch_execz .LBB95_829
.LBB95_849:
	v_cmp_ne_u16_e32 vcc_lo, 0, v1
	s_and_not1_b32 s52, s52, exec_lo
	s_and_b32 s53, vcc_lo, exec_lo
	s_delay_alu instid0(SALU_CYCLE_1)
	s_or_b32 s52, s52, s53
	s_or_b32 exec_lo, exec_lo, s35
	v_mov_b32_e32 v10, 0
	s_and_saveexec_b32 s35, s52
	s_cbranch_execnz .LBB95_830
	s_branch .LBB95_831
.LBB95_850:
	s_mov_b32 s34, -1
                                        ; implicit-def: $vgpr10
.LBB95_851:
	s_mov_b32 s52, 0
.LBB95_852:
	s_delay_alu instid0(SALU_CYCLE_1)
	s_and_b32 vcc_lo, exec_lo, s52
	s_cbranch_vccz .LBB95_856
; %bb.853:
	s_cmp_eq_u32 s0, 11
	s_cbranch_scc0 .LBB95_855
; %bb.854:
	global_load_u8 v1, v[6:7], off
	s_mov_b32 s34, 0
	s_mov_b32 s35, -1
	s_wait_loadcnt 0x0
	v_cmp_ne_u16_e32 vcc_lo, 0, v1
	s_wait_xcnt 0x1
	v_cndmask_b32_e64 v10, 0, 1, vcc_lo
	s_branch .LBB95_856
.LBB95_855:
	s_mov_b32 s34, -1
                                        ; implicit-def: $vgpr10
.LBB95_856:
	s_mov_b32 s52, 0
.LBB95_857:
	s_delay_alu instid0(SALU_CYCLE_1)
	s_and_b32 vcc_lo, exec_lo, s52
	s_cbranch_vccz .LBB95_906
; %bb.858:
	s_cmp_lt_i32 s0, 5
	s_cbranch_scc1 .LBB95_863
; %bb.859:
	s_cmp_lt_i32 s0, 8
	s_cbranch_scc1 .LBB95_864
	;; [unrolled: 3-line block ×3, first 2 shown]
; %bb.861:
	s_cmp_gt_i32 s0, 9
	s_cbranch_scc0 .LBB95_866
; %bb.862:
	s_wait_loadcnt 0x0
	global_load_b64 v[10:11], v[6:7], off
	s_mov_b32 s35, 0
	s_wait_loadcnt 0x0
	v_cvt_i32_f64_e32 v10, v[10:11]
	s_branch .LBB95_867
.LBB95_863:
	s_mov_b32 s35, -1
                                        ; implicit-def: $vgpr10
	s_branch .LBB95_885
.LBB95_864:
	s_mov_b32 s35, -1
                                        ; implicit-def: $vgpr10
	s_branch .LBB95_873
.LBB95_865:
	s_mov_b32 s35, -1
                                        ; implicit-def: $vgpr10
	s_branch .LBB95_870
.LBB95_866:
	s_mov_b32 s35, -1
                                        ; implicit-def: $vgpr10
.LBB95_867:
	s_delay_alu instid0(SALU_CYCLE_1)
	s_and_not1_b32 vcc_lo, exec_lo, s35
	s_cbranch_vccnz .LBB95_869
; %bb.868:
	global_load_b32 v1, v[6:7], off
	s_wait_loadcnt 0x0
	s_wait_xcnt 0x1
	v_cvt_i32_f32_e32 v10, v1
.LBB95_869:
	s_mov_b32 s35, 0
.LBB95_870:
	s_delay_alu instid0(SALU_CYCLE_1)
	s_and_not1_b32 vcc_lo, exec_lo, s35
	s_cbranch_vccnz .LBB95_872
; %bb.871:
	global_load_b32 v1, v[6:7], off
	s_wait_loadcnt 0x0
	s_wait_xcnt 0x1
	v_cvt_i16_f16_e32 v10, v1
.LBB95_872:
	s_mov_b32 s35, 0
.LBB95_873:
	s_delay_alu instid0(SALU_CYCLE_1)
	s_and_not1_b32 vcc_lo, exec_lo, s35
	s_cbranch_vccnz .LBB95_884
; %bb.874:
	s_cmp_lt_i32 s0, 6
	s_cbranch_scc1 .LBB95_877
; %bb.875:
	s_cmp_gt_i32 s0, 6
	s_cbranch_scc0 .LBB95_878
; %bb.876:
	s_wait_loadcnt 0x0
	global_load_b64 v[10:11], v[6:7], off
	s_mov_b32 s35, 0
	s_wait_loadcnt 0x0
	v_cvt_i32_f64_e32 v10, v[10:11]
	s_branch .LBB95_879
.LBB95_877:
	s_mov_b32 s35, -1
                                        ; implicit-def: $vgpr10
	s_branch .LBB95_882
.LBB95_878:
	s_mov_b32 s35, -1
                                        ; implicit-def: $vgpr10
.LBB95_879:
	s_delay_alu instid0(SALU_CYCLE_1)
	s_and_not1_b32 vcc_lo, exec_lo, s35
	s_cbranch_vccnz .LBB95_881
; %bb.880:
	global_load_b32 v1, v[6:7], off
	s_wait_loadcnt 0x0
	s_wait_xcnt 0x1
	v_cvt_i32_f32_e32 v10, v1
.LBB95_881:
	s_mov_b32 s35, 0
.LBB95_882:
	s_delay_alu instid0(SALU_CYCLE_1)
	s_and_not1_b32 vcc_lo, exec_lo, s35
	s_cbranch_vccnz .LBB95_884
; %bb.883:
	global_load_u16 v1, v[6:7], off
	s_wait_loadcnt 0x0
	s_wait_xcnt 0x1
	v_cvt_i16_f16_e32 v10, v1
.LBB95_884:
	s_mov_b32 s35, 0
.LBB95_885:
	s_delay_alu instid0(SALU_CYCLE_1)
	s_and_not1_b32 vcc_lo, exec_lo, s35
	s_cbranch_vccnz .LBB95_905
; %bb.886:
	s_cmp_lt_i32 s0, 2
	s_cbranch_scc1 .LBB95_890
; %bb.887:
	s_cmp_lt_i32 s0, 3
	s_cbranch_scc1 .LBB95_891
; %bb.888:
	s_cmp_gt_i32 s0, 3
	s_cbranch_scc0 .LBB95_892
; %bb.889:
	s_wait_loadcnt 0x0
	global_load_b64 v[10:11], v[6:7], off
	s_mov_b32 s35, 0
	s_branch .LBB95_893
.LBB95_890:
	s_mov_b32 s35, -1
                                        ; implicit-def: $vgpr10
	s_branch .LBB95_899
.LBB95_891:
	s_mov_b32 s35, -1
                                        ; implicit-def: $vgpr10
	s_branch .LBB95_896
.LBB95_892:
	s_mov_b32 s35, -1
                                        ; implicit-def: $vgpr10
.LBB95_893:
	s_delay_alu instid0(SALU_CYCLE_1)
	s_and_not1_b32 vcc_lo, exec_lo, s35
	s_cbranch_vccnz .LBB95_895
; %bb.894:
	s_wait_loadcnt 0x0
	global_load_b32 v10, v[6:7], off
.LBB95_895:
	s_mov_b32 s35, 0
.LBB95_896:
	s_delay_alu instid0(SALU_CYCLE_1)
	s_and_not1_b32 vcc_lo, exec_lo, s35
	s_cbranch_vccnz .LBB95_898
; %bb.897:
	s_wait_loadcnt 0x0
	global_load_u16 v10, v[6:7], off
.LBB95_898:
	s_mov_b32 s35, 0
.LBB95_899:
	s_delay_alu instid0(SALU_CYCLE_1)
	s_and_not1_b32 vcc_lo, exec_lo, s35
	s_cbranch_vccnz .LBB95_905
; %bb.900:
	s_cmp_gt_i32 s0, 0
	s_mov_b32 s0, 0
	s_cbranch_scc0 .LBB95_902
; %bb.901:
	s_wait_loadcnt 0x0
	global_load_i8 v10, v[6:7], off
	s_branch .LBB95_903
.LBB95_902:
	s_mov_b32 s0, -1
                                        ; implicit-def: $vgpr10
.LBB95_903:
	s_delay_alu instid0(SALU_CYCLE_1)
	s_and_not1_b32 vcc_lo, exec_lo, s0
	s_cbranch_vccnz .LBB95_905
; %bb.904:
	s_wait_loadcnt 0x0
	global_load_u8 v10, v[6:7], off
.LBB95_905:
	s_mov_b32 s35, -1
.LBB95_906:
	s_delay_alu instid0(SALU_CYCLE_1)
	s_and_not1_b32 vcc_lo, exec_lo, s35
	s_cbranch_vccnz .LBB95_914
; %bb.907:
	v_mov_b32_e32 v3, 0
	s_wait_loadcnt 0x0
	v_mul_lo_u16 v1, v4, s24
	v_mul_lo_u16 v4, v8, s21
	s_and_b32 s35, s25, 0xff
	s_delay_alu instid0(SALU_CYCLE_1) | instskip(SKIP_1) | instid1(VALU_DEP_2)
	s_cmp_lt_i32 s35, 11
	v_add_nc_u64_e32 v[2:3], s[4:5], v[2:3]
	v_mad_u16 v1, v4, v10, v1
	s_cbranch_scc1 .LBB95_915
; %bb.908:
	s_and_b32 s52, 0xffff, s35
	s_delay_alu instid0(SALU_CYCLE_1)
	s_cmp_gt_i32 s52, 25
	s_cbranch_scc0 .LBB95_916
; %bb.909:
	s_cmp_gt_i32 s52, 28
	s_cbranch_scc0 .LBB95_917
; %bb.910:
	;; [unrolled: 3-line block ×4, first 2 shown]
	s_mov_b32 s54, 0
	s_mov_b32 s0, -1
	s_cmp_eq_u32 s52, 46
	s_mov_b32 s53, 0
	s_cbranch_scc0 .LBB95_920
; %bb.913:
	v_bfe_i32 v4, v1, 0, 16
	s_mov_b32 s53, -1
	s_mov_b32 s0, 0
	s_delay_alu instid0(VALU_DEP_1) | instskip(NEXT) | instid1(VALU_DEP_1)
	v_cvt_f32_i32_e32 v4, v4
	v_bfe_u32 v5, v4, 16, 1
	s_delay_alu instid0(VALU_DEP_1) | instskip(NEXT) | instid1(VALU_DEP_1)
	v_add3_u32 v4, v4, v5, 0x7fff
	v_lshrrev_b32_e32 v4, 16, v4
	global_store_b32 v[2:3], v4, off
	s_branch .LBB95_920
.LBB95_914:
	s_mov_b32 s35, 0
	s_mov_b32 s0, s44
	s_branch .LBB95_1031
.LBB95_915:
	s_mov_b32 s52, -1
	s_mov_b32 s53, 0
	s_mov_b32 s0, s44
	s_branch .LBB95_989
.LBB95_916:
	s_mov_b32 s54, -1
	s_mov_b32 s53, 0
	s_mov_b32 s0, s44
	s_branch .LBB95_947
.LBB95_917:
	s_mov_b32 s54, -1
	s_mov_b32 s53, 0
	s_mov_b32 s0, s44
	s_branch .LBB95_930
.LBB95_918:
	s_mov_b32 s54, -1
	s_mov_b32 s53, 0
	s_mov_b32 s0, s44
	s_branch .LBB95_926
.LBB95_919:
	s_mov_b32 s54, -1
	s_mov_b32 s53, 0
	s_mov_b32 s0, s44
.LBB95_920:
	s_and_b32 vcc_lo, exec_lo, s54
	s_cbranch_vccz .LBB95_925
; %bb.921:
	s_cmp_eq_u32 s52, 44
	s_mov_b32 s0, -1
	s_cbranch_scc0 .LBB95_925
; %bb.922:
	s_wait_xcnt 0x0
	v_bfe_i32 v4, v1, 0, 16
	v_mov_b32_e32 v5, 0xff
	s_mov_b32 s53, exec_lo
	s_delay_alu instid0(VALU_DEP_2) | instskip(NEXT) | instid1(VALU_DEP_1)
	v_cvt_f32_i32_e32 v4, v4
	v_bfe_u32 v6, v4, 23, 8
	s_delay_alu instid0(VALU_DEP_1)
	v_cmpx_ne_u32_e32 0xff, v6
	s_cbranch_execz .LBB95_924
; %bb.923:
	v_and_b32_e32 v5, 0x400000, v4
	v_and_or_b32 v6, 0x3fffff, v4, v6
	v_lshrrev_b32_e32 v4, 23, v4
	s_delay_alu instid0(VALU_DEP_3) | instskip(NEXT) | instid1(VALU_DEP_3)
	v_cmp_ne_u32_e32 vcc_lo, 0, v5
	v_cmp_ne_u32_e64 s0, 0, v6
	s_and_b32 s0, vcc_lo, s0
	s_delay_alu instid0(SALU_CYCLE_1) | instskip(NEXT) | instid1(VALU_DEP_1)
	v_cndmask_b32_e64 v5, 0, 1, s0
	v_add_nc_u32_e32 v5, v4, v5
.LBB95_924:
	s_or_b32 exec_lo, exec_lo, s53
	s_mov_b32 s53, -1
	s_mov_b32 s0, 0
	global_store_b8 v[2:3], v5, off
.LBB95_925:
	s_mov_b32 s54, 0
.LBB95_926:
	s_delay_alu instid0(SALU_CYCLE_1)
	s_and_b32 vcc_lo, exec_lo, s54
	s_cbranch_vccz .LBB95_929
; %bb.927:
	s_cmp_eq_u32 s52, 29
	s_mov_b32 s0, -1
	s_cbranch_scc0 .LBB95_929
; %bb.928:
	s_wait_xcnt 0x0
	v_bfe_i32 v4, v1, 0, 16
	s_mov_b32 s0, 0
	s_mov_b32 s53, -1
	s_mov_b32 s54, 0
	s_delay_alu instid0(VALU_DEP_1)
	v_ashrrev_i32_e32 v5, 31, v4
	global_store_b64 v[2:3], v[4:5], off
	s_branch .LBB95_930
.LBB95_929:
	s_mov_b32 s54, 0
.LBB95_930:
	s_delay_alu instid0(SALU_CYCLE_1)
	s_and_b32 vcc_lo, exec_lo, s54
	s_cbranch_vccz .LBB95_946
; %bb.931:
	s_cmp_lt_i32 s52, 27
	s_mov_b32 s53, -1
	s_cbranch_scc1 .LBB95_937
; %bb.932:
	s_cmp_gt_i32 s52, 27
	s_cbranch_scc0 .LBB95_934
; %bb.933:
	s_wait_xcnt 0x0
	v_bfe_i32 v4, v1, 0, 16
	s_mov_b32 s53, 0
	global_store_b32 v[2:3], v4, off
.LBB95_934:
	s_and_not1_b32 vcc_lo, exec_lo, s53
	s_cbranch_vccnz .LBB95_936
; %bb.935:
	global_store_b16 v[2:3], v1, off
.LBB95_936:
	s_mov_b32 s53, 0
.LBB95_937:
	s_delay_alu instid0(SALU_CYCLE_1)
	s_and_not1_b32 vcc_lo, exec_lo, s53
	s_cbranch_vccnz .LBB95_945
; %bb.938:
	s_wait_xcnt 0x0
	v_bfe_i32 v4, v1, 0, 16
	v_mov_b32_e32 v6, 0x80
	s_mov_b32 s53, exec_lo
	s_delay_alu instid0(VALU_DEP_2) | instskip(NEXT) | instid1(VALU_DEP_1)
	v_cvt_f32_i32_e32 v4, v4
	v_and_b32_e32 v5, 0x7fffffff, v4
	s_delay_alu instid0(VALU_DEP_1)
	v_cmpx_gt_u32_e32 0x43800000, v5
	s_cbranch_execz .LBB95_944
; %bb.939:
	v_cmp_lt_u32_e32 vcc_lo, 0x3bffffff, v5
	s_mov_b32 s54, 0
                                        ; implicit-def: $vgpr5
	s_and_saveexec_b32 s55, vcc_lo
	s_delay_alu instid0(SALU_CYCLE_1)
	s_xor_b32 s55, exec_lo, s55
	s_cbranch_execz .LBB95_1185
; %bb.940:
	v_bfe_u32 v5, v4, 20, 1
	s_mov_b32 s54, exec_lo
	s_delay_alu instid0(VALU_DEP_1) | instskip(NEXT) | instid1(VALU_DEP_1)
	v_add3_u32 v5, v4, v5, 0x487ffff
	v_lshrrev_b32_e32 v5, 20, v5
	s_and_not1_saveexec_b32 s55, s55
	s_cbranch_execnz .LBB95_1186
.LBB95_941:
	s_or_b32 exec_lo, exec_lo, s55
	v_mov_b32_e32 v6, 0
	s_and_saveexec_b32 s55, s54
.LBB95_942:
	v_lshrrev_b32_e32 v4, 24, v4
	s_delay_alu instid0(VALU_DEP_1)
	v_and_or_b32 v6, 0x80, v4, v5
.LBB95_943:
	s_or_b32 exec_lo, exec_lo, s55
.LBB95_944:
	s_delay_alu instid0(SALU_CYCLE_1)
	s_or_b32 exec_lo, exec_lo, s53
	global_store_b8 v[2:3], v6, off
.LBB95_945:
	s_mov_b32 s53, -1
.LBB95_946:
	s_mov_b32 s54, 0
.LBB95_947:
	s_delay_alu instid0(SALU_CYCLE_1)
	s_and_b32 vcc_lo, exec_lo, s54
	s_cbranch_vccz .LBB95_988
; %bb.948:
	s_cmp_gt_i32 s52, 22
	s_mov_b32 s54, -1
	s_cbranch_scc0 .LBB95_980
; %bb.949:
	s_cmp_lt_i32 s52, 24
	s_mov_b32 s53, -1
	s_cbranch_scc1 .LBB95_969
; %bb.950:
	s_cmp_gt_i32 s52, 24
	s_cbranch_scc0 .LBB95_958
; %bb.951:
	s_wait_xcnt 0x0
	v_bfe_i32 v4, v1, 0, 16
	v_mov_b32_e32 v6, 0x80
	s_mov_b32 s53, exec_lo
	s_delay_alu instid0(VALU_DEP_2) | instskip(NEXT) | instid1(VALU_DEP_1)
	v_cvt_f32_i32_e32 v4, v4
	v_and_b32_e32 v5, 0x7fffffff, v4
	s_delay_alu instid0(VALU_DEP_1)
	v_cmpx_gt_u32_e32 0x47800000, v5
	s_cbranch_execz .LBB95_957
; %bb.952:
	v_cmp_lt_u32_e32 vcc_lo, 0x37ffffff, v5
	s_mov_b32 s54, 0
                                        ; implicit-def: $vgpr5
	s_and_saveexec_b32 s55, vcc_lo
	s_delay_alu instid0(SALU_CYCLE_1)
	s_xor_b32 s55, exec_lo, s55
	s_cbranch_execz .LBB95_1313
; %bb.953:
	v_bfe_u32 v5, v4, 21, 1
	s_mov_b32 s54, exec_lo
	s_delay_alu instid0(VALU_DEP_1) | instskip(NEXT) | instid1(VALU_DEP_1)
	v_add3_u32 v5, v4, v5, 0x88fffff
	v_lshrrev_b32_e32 v5, 21, v5
	s_and_not1_saveexec_b32 s55, s55
	s_cbranch_execnz .LBB95_1314
.LBB95_954:
	s_or_b32 exec_lo, exec_lo, s55
	v_mov_b32_e32 v6, 0
	s_and_saveexec_b32 s55, s54
.LBB95_955:
	v_lshrrev_b32_e32 v4, 24, v4
	s_delay_alu instid0(VALU_DEP_1)
	v_and_or_b32 v6, 0x80, v4, v5
.LBB95_956:
	s_or_b32 exec_lo, exec_lo, s55
.LBB95_957:
	s_delay_alu instid0(SALU_CYCLE_1)
	s_or_b32 exec_lo, exec_lo, s53
	s_mov_b32 s53, 0
	global_store_b8 v[2:3], v6, off
.LBB95_958:
	s_and_b32 vcc_lo, exec_lo, s53
	s_cbranch_vccz .LBB95_968
; %bb.959:
	s_wait_xcnt 0x0
	v_bfe_i32 v4, v1, 0, 16
	s_mov_b32 s53, exec_lo
                                        ; implicit-def: $vgpr5
	s_delay_alu instid0(VALU_DEP_1) | instskip(NEXT) | instid1(VALU_DEP_1)
	v_cvt_f32_i32_e32 v4, v4
	v_and_b32_e32 v6, 0x7fffffff, v4
	s_delay_alu instid0(VALU_DEP_1)
	v_cmpx_gt_u32_e32 0x43f00000, v6
	s_xor_b32 s53, exec_lo, s53
	s_cbranch_execz .LBB95_965
; %bb.960:
	s_mov_b32 s54, exec_lo
                                        ; implicit-def: $vgpr5
	v_cmpx_lt_u32_e32 0x3c7fffff, v6
	s_xor_b32 s54, exec_lo, s54
; %bb.961:
	v_bfe_u32 v5, v4, 20, 1
	s_delay_alu instid0(VALU_DEP_1) | instskip(NEXT) | instid1(VALU_DEP_1)
	v_add3_u32 v5, v4, v5, 0x407ffff
	v_and_b32_e32 v6, 0xff00000, v5
	v_lshrrev_b32_e32 v5, 20, v5
	s_delay_alu instid0(VALU_DEP_2) | instskip(NEXT) | instid1(VALU_DEP_2)
	v_cmp_ne_u32_e32 vcc_lo, 0x7f00000, v6
	v_cndmask_b32_e32 v5, 0x7e, v5, vcc_lo
; %bb.962:
	s_and_not1_saveexec_b32 s54, s54
; %bb.963:
	v_add_f32_e64 v5, 0x46800000, |v4|
; %bb.964:
	s_or_b32 exec_lo, exec_lo, s54
                                        ; implicit-def: $vgpr6
.LBB95_965:
	s_and_not1_saveexec_b32 s53, s53
; %bb.966:
	v_mov_b32_e32 v5, 0x7f
	v_cmp_lt_u32_e32 vcc_lo, 0x7f800000, v6
	s_delay_alu instid0(VALU_DEP_2)
	v_cndmask_b32_e32 v5, 0x7e, v5, vcc_lo
; %bb.967:
	s_or_b32 exec_lo, exec_lo, s53
	v_lshrrev_b32_e32 v4, 24, v4
	s_delay_alu instid0(VALU_DEP_1)
	v_and_or_b32 v4, 0x80, v4, v5
	global_store_b8 v[2:3], v4, off
.LBB95_968:
	s_mov_b32 s53, 0
.LBB95_969:
	s_delay_alu instid0(SALU_CYCLE_1)
	s_and_not1_b32 vcc_lo, exec_lo, s53
	s_cbranch_vccnz .LBB95_979
; %bb.970:
	s_wait_xcnt 0x0
	v_bfe_i32 v4, v1, 0, 16
	s_mov_b32 s53, exec_lo
                                        ; implicit-def: $vgpr5
	s_delay_alu instid0(VALU_DEP_1) | instskip(NEXT) | instid1(VALU_DEP_1)
	v_cvt_f32_i32_e32 v4, v4
	v_and_b32_e32 v6, 0x7fffffff, v4
	s_delay_alu instid0(VALU_DEP_1)
	v_cmpx_gt_u32_e32 0x47800000, v6
	s_xor_b32 s53, exec_lo, s53
	s_cbranch_execz .LBB95_976
; %bb.971:
	s_mov_b32 s54, exec_lo
                                        ; implicit-def: $vgpr5
	v_cmpx_lt_u32_e32 0x387fffff, v6
	s_xor_b32 s54, exec_lo, s54
; %bb.972:
	v_bfe_u32 v5, v4, 21, 1
	s_delay_alu instid0(VALU_DEP_1) | instskip(NEXT) | instid1(VALU_DEP_1)
	v_add3_u32 v5, v4, v5, 0x80fffff
	v_lshrrev_b32_e32 v5, 21, v5
; %bb.973:
	s_and_not1_saveexec_b32 s54, s54
; %bb.974:
	v_add_f32_e64 v5, 0x43000000, |v4|
; %bb.975:
	s_or_b32 exec_lo, exec_lo, s54
                                        ; implicit-def: $vgpr6
.LBB95_976:
	s_and_not1_saveexec_b32 s53, s53
; %bb.977:
	v_mov_b32_e32 v5, 0x7f
	v_cmp_lt_u32_e32 vcc_lo, 0x7f800000, v6
	s_delay_alu instid0(VALU_DEP_2)
	v_cndmask_b32_e32 v5, 0x7c, v5, vcc_lo
; %bb.978:
	s_or_b32 exec_lo, exec_lo, s53
	v_lshrrev_b32_e32 v4, 24, v4
	s_delay_alu instid0(VALU_DEP_1)
	v_and_or_b32 v4, 0x80, v4, v5
	global_store_b8 v[2:3], v4, off
.LBB95_979:
	s_mov_b32 s54, 0
	s_mov_b32 s53, -1
.LBB95_980:
	s_and_not1_b32 vcc_lo, exec_lo, s54
	s_cbranch_vccnz .LBB95_988
; %bb.981:
	s_cmp_gt_i32 s52, 14
	s_mov_b32 s54, -1
	s_cbranch_scc0 .LBB95_985
; %bb.982:
	s_cmp_eq_u32 s52, 15
	s_mov_b32 s0, -1
	s_cbranch_scc0 .LBB95_984
; %bb.983:
	s_wait_xcnt 0x0
	v_bfe_i32 v4, v1, 0, 16
	s_mov_b32 s53, -1
	s_mov_b32 s0, 0
	s_delay_alu instid0(VALU_DEP_1) | instskip(NEXT) | instid1(VALU_DEP_1)
	v_cvt_f32_i32_e32 v4, v4
	v_bfe_u32 v5, v4, 16, 1
	s_delay_alu instid0(VALU_DEP_1)
	v_add3_u32 v4, v4, v5, 0x7fff
	global_store_d16_hi_b16 v[2:3], v4, off
.LBB95_984:
	s_mov_b32 s54, 0
.LBB95_985:
	s_delay_alu instid0(SALU_CYCLE_1)
	s_and_b32 vcc_lo, exec_lo, s54
	s_cbranch_vccz .LBB95_988
; %bb.986:
	s_cmp_eq_u32 s52, 11
	s_mov_b32 s0, -1
	s_cbranch_scc0 .LBB95_988
; %bb.987:
	v_cmp_ne_u16_e32 vcc_lo, 0, v1
	s_mov_b32 s0, 0
	s_mov_b32 s53, -1
	s_wait_xcnt 0x0
	v_cndmask_b32_e64 v4, 0, 1, vcc_lo
	global_store_b8 v[2:3], v4, off
.LBB95_988:
	s_mov_b32 s52, 0
.LBB95_989:
	s_delay_alu instid0(SALU_CYCLE_1)
	s_and_b32 vcc_lo, exec_lo, s52
	s_cbranch_vccz .LBB95_1028
; %bb.990:
	s_and_b32 s35, 0xffff, s35
	s_mov_b32 s52, -1
	s_cmp_lt_i32 s35, 5
	s_cbranch_scc1 .LBB95_1011
; %bb.991:
	s_cmp_lt_i32 s35, 8
	s_cbranch_scc1 .LBB95_1001
; %bb.992:
	;; [unrolled: 3-line block ×3, first 2 shown]
	s_cmp_gt_i32 s35, 9
	s_cbranch_scc0 .LBB95_995
; %bb.994:
	s_wait_xcnt 0x0
	v_bfe_i32 v4, v1, 0, 16
	v_mov_b32_e32 v6, 0
	s_mov_b32 s52, 0
	s_delay_alu instid0(VALU_DEP_2) | instskip(NEXT) | instid1(VALU_DEP_2)
	v_cvt_f64_i32_e32 v[4:5], v4
	v_mov_b32_e32 v7, v6
	global_store_b128 v[2:3], v[4:7], off
.LBB95_995:
	s_and_not1_b32 vcc_lo, exec_lo, s52
	s_cbranch_vccnz .LBB95_997
; %bb.996:
	s_wait_xcnt 0x0
	v_bfe_i32 v4, v1, 0, 16
	v_mov_b32_e32 v5, 0
	s_delay_alu instid0(VALU_DEP_2)
	v_cvt_f32_i32_e32 v4, v4
	global_store_b64 v[2:3], v[4:5], off
.LBB95_997:
	s_mov_b32 s52, 0
.LBB95_998:
	s_delay_alu instid0(SALU_CYCLE_1)
	s_and_not1_b32 vcc_lo, exec_lo, s52
	s_cbranch_vccnz .LBB95_1000
; %bb.999:
	s_wait_xcnt 0x0
	v_cvt_f16_i16_e32 v4, v1
	s_delay_alu instid0(VALU_DEP_1)
	v_and_b32_e32 v4, 0xffff, v4
	global_store_b32 v[2:3], v4, off
.LBB95_1000:
	s_mov_b32 s52, 0
.LBB95_1001:
	s_delay_alu instid0(SALU_CYCLE_1)
	s_and_not1_b32 vcc_lo, exec_lo, s52
	s_cbranch_vccnz .LBB95_1010
; %bb.1002:
	s_cmp_lt_i32 s35, 6
	s_mov_b32 s52, -1
	s_cbranch_scc1 .LBB95_1008
; %bb.1003:
	s_cmp_gt_i32 s35, 6
	s_cbranch_scc0 .LBB95_1005
; %bb.1004:
	s_wait_xcnt 0x0
	v_bfe_i32 v4, v1, 0, 16
	s_mov_b32 s52, 0
	s_delay_alu instid0(VALU_DEP_1)
	v_cvt_f64_i32_e32 v[4:5], v4
	global_store_b64 v[2:3], v[4:5], off
.LBB95_1005:
	s_and_not1_b32 vcc_lo, exec_lo, s52
	s_cbranch_vccnz .LBB95_1007
; %bb.1006:
	s_wait_xcnt 0x0
	v_bfe_i32 v4, v1, 0, 16
	s_delay_alu instid0(VALU_DEP_1)
	v_cvt_f32_i32_e32 v4, v4
	global_store_b32 v[2:3], v4, off
.LBB95_1007:
	s_mov_b32 s52, 0
.LBB95_1008:
	s_delay_alu instid0(SALU_CYCLE_1)
	s_and_not1_b32 vcc_lo, exec_lo, s52
	s_cbranch_vccnz .LBB95_1010
; %bb.1009:
	s_wait_xcnt 0x0
	v_cvt_f16_i16_e32 v4, v1
	global_store_b16 v[2:3], v4, off
.LBB95_1010:
	s_mov_b32 s52, 0
.LBB95_1011:
	s_delay_alu instid0(SALU_CYCLE_1)
	s_and_not1_b32 vcc_lo, exec_lo, s52
	s_cbranch_vccnz .LBB95_1027
; %bb.1012:
	s_cmp_lt_i32 s35, 2
	s_mov_b32 s52, -1
	s_cbranch_scc1 .LBB95_1022
; %bb.1013:
	s_cmp_lt_i32 s35, 3
	s_cbranch_scc1 .LBB95_1019
; %bb.1014:
	s_cmp_gt_i32 s35, 3
	s_cbranch_scc0 .LBB95_1016
; %bb.1015:
	s_wait_xcnt 0x0
	v_bfe_i32 v4, v1, 0, 16
	s_mov_b32 s52, 0
	s_delay_alu instid0(VALU_DEP_1)
	v_ashrrev_i32_e32 v5, 31, v4
	global_store_b64 v[2:3], v[4:5], off
.LBB95_1016:
	s_and_not1_b32 vcc_lo, exec_lo, s52
	s_cbranch_vccnz .LBB95_1018
; %bb.1017:
	s_wait_xcnt 0x0
	v_bfe_i32 v4, v1, 0, 16
	global_store_b32 v[2:3], v4, off
.LBB95_1018:
	s_mov_b32 s52, 0
.LBB95_1019:
	s_delay_alu instid0(SALU_CYCLE_1)
	s_and_not1_b32 vcc_lo, exec_lo, s52
	s_cbranch_vccnz .LBB95_1021
; %bb.1020:
	global_store_b16 v[2:3], v1, off
.LBB95_1021:
	s_mov_b32 s52, 0
.LBB95_1022:
	s_delay_alu instid0(SALU_CYCLE_1)
	s_and_not1_b32 vcc_lo, exec_lo, s52
	s_cbranch_vccnz .LBB95_1027
; %bb.1023:
	s_cmp_gt_i32 s35, 0
	s_mov_b32 s35, -1
	s_cbranch_scc0 .LBB95_1025
; %bb.1024:
	s_mov_b32 s35, 0
	global_store_b8 v[2:3], v1, off
.LBB95_1025:
	s_and_not1_b32 vcc_lo, exec_lo, s35
	s_cbranch_vccnz .LBB95_1027
; %bb.1026:
	global_store_b8 v[2:3], v1, off
.LBB95_1027:
	s_mov_b32 s53, -1
.LBB95_1028:
	s_delay_alu instid0(SALU_CYCLE_1)
	s_and_not1_b32 vcc_lo, exec_lo, s53
	s_cbranch_vccnz .LBB95_1030
; %bb.1029:
	v_add_nc_u32_e32 v0, 0x80, v0
	s_mov_b32 s35, -1
	s_branch .LBB95_1032
.LBB95_1030:
	s_mov_b32 s35, 0
.LBB95_1031:
                                        ; implicit-def: $vgpr0
.LBB95_1032:
	s_and_not1_b32 s52, s44, exec_lo
	s_and_b32 s0, s0, exec_lo
	s_and_not1_b32 s54, s48, exec_lo
	s_and_b32 s34, s34, exec_lo
	s_or_b32 s53, s52, s0
	s_or_b32 s54, s54, s34
	s_and_not1_b32 s0, s49, exec_lo
	s_and_b32 s31, s31, exec_lo
	s_and_not1_b32 s34, s50, exec_lo
	s_and_b32 s30, s30, exec_lo
	s_or_b32 s55, s0, s31
	s_or_b32 s52, s34, s30
	s_or_not1_b32 s35, s35, exec_lo
.LBB95_1033:
	s_wait_xcnt 0x0
	s_or_b32 exec_lo, exec_lo, s56
	s_mov_b32 s31, 0
	s_mov_b32 s34, 0
	;; [unrolled: 1-line block ×3, first 2 shown]
                                        ; implicit-def: $sgpr0
                                        ; implicit-def: $vgpr10_vgpr11
                                        ; implicit-def: $vgpr2
                                        ; implicit-def: $vgpr6
                                        ; implicit-def: $vgpr8
                                        ; implicit-def: $vgpr4
	s_and_saveexec_b32 s56, s35
	s_cbranch_execz .LBB95_1644
; %bb.1034:
	s_mov_b32 s35, -1
	s_mov_b32 s58, s52
	s_mov_b32 s60, s55
	;; [unrolled: 1-line block ×4, first 2 shown]
	s_mov_b32 s57, exec_lo
	v_cmpx_gt_i32_e64 s46, v0
	s_cbranch_execz .LBB95_1554
; %bb.1035:
	s_and_not1_b32 vcc_lo, exec_lo, s38
	s_cbranch_vccnz .LBB95_1041
; %bb.1036:
	s_and_not1_b32 vcc_lo, exec_lo, s47
	s_cbranch_vccnz .LBB95_1042
; %bb.1037:
	s_wait_loadcnt 0x0
	v_dual_mov_b32 v8, 0 :: v_dual_mov_b32 v1, v0
	v_dual_mov_b32 v6, 0 :: v_dual_mov_b32 v2, 0
	v_mov_b32_e32 v4, 0
	s_add_co_i32 s0, s45, 1
	s_mov_b64 s[30:31], 0xffffffffffffffe0
	s_and_b32 s0, s0, 30
	s_add_nc_u64 s[30:31], s[2:3], s[30:31]
	s_mov_b64 s[34:35], s[2:3]
.LBB95_1038:                            ; =>This Inner Loop Header: Depth=1
	s_clause 0x1
	s_load_b128 s[68:71], s[34:35], 0x4
	s_load_b64 s[58:59], s[34:35], 0x14
	s_load_b256 s[60:67], s[30:31], 0xe4
	s_add_co_i32 s0, s0, -2
	s_wait_xcnt 0x0
	s_add_nc_u64 s[34:35], s[34:35], 24
	s_cmp_eq_u32 s0, 0
	s_add_nc_u64 s[30:31], s[30:31], 32
	s_wait_kmcnt 0x0
	v_mul_hi_u32 v3, s69, v1
	s_delay_alu instid0(VALU_DEP_1) | instskip(NEXT) | instid1(VALU_DEP_1)
	v_add_nc_u32_e32 v3, v1, v3
	v_lshrrev_b32_e32 v3, s70, v3
	s_delay_alu instid0(VALU_DEP_1) | instskip(SKIP_1) | instid1(VALU_DEP_1)
	v_mul_hi_u32 v5, s58, v3
	v_mul_lo_u32 v7, v3, s68
	v_dual_add_nc_u32 v5, v3, v5 :: v_dual_sub_nc_u32 v7, v1, v7
	s_delay_alu instid0(VALU_DEP_1) | instskip(NEXT) | instid1(VALU_DEP_2)
	v_lshrrev_b32_e32 v1, s59, v5
	v_mad_u32 v4, v7, s61, v4
	v_mad_u32 v2, v7, s60, v2
	;; [unrolled: 1-line block ×4, first 2 shown]
	v_mul_lo_u32 v5, v1, s71
	s_delay_alu instid0(VALU_DEP_1) | instskip(NEXT) | instid1(VALU_DEP_1)
	v_sub_nc_u32_e32 v3, v3, v5
	v_mad_u32 v4, v3, s65, v4
	v_mad_u32 v2, v3, s64, v2
	;; [unrolled: 1-line block ×4, first 2 shown]
	s_cbranch_scc0 .LBB95_1038
; %bb.1039:
	s_bitcmp1_b32 s45, 0
	s_cselect_b32 s0, -1, 0
	s_delay_alu instid0(SALU_CYCLE_1)
	s_and_b32 vcc_lo, exec_lo, s0
	s_cbranch_vccnz .LBB95_1043
; %bb.1040:
	s_load_b96 s[64:66], s[34:35], 0x4
	s_load_b128 s[60:63], s[30:31], 0xe4
	s_wait_kmcnt 0x0
	v_mul_hi_u32 v3, s65, v1
	s_delay_alu instid0(VALU_DEP_1) | instskip(NEXT) | instid1(VALU_DEP_1)
	v_add_nc_u32_e32 v3, v1, v3
	v_lshrrev_b32_e32 v3, s66, v3
	s_delay_alu instid0(VALU_DEP_1) | instskip(NEXT) | instid1(VALU_DEP_1)
	v_mul_lo_u32 v3, v3, s64
	v_sub_nc_u32_e32 v1, v1, v3
	s_delay_alu instid0(VALU_DEP_1)
	v_mad_u32 v2, v1, s60, v2
	v_mad_u32 v4, v1, s61, v4
	;; [unrolled: 1-line block ×4, first 2 shown]
	s_branch .LBB95_1043
.LBB95_1041:
	s_mov_b32 s0, -1
                                        ; implicit-def: $vgpr4
                                        ; implicit-def: $vgpr2
                                        ; implicit-def: $vgpr6
                                        ; implicit-def: $vgpr8
	s_branch .LBB95_1044
.LBB95_1042:
	s_wait_loadcnt 0x0
	v_dual_mov_b32 v4, 0 :: v_dual_mov_b32 v2, 0
	v_dual_mov_b32 v6, 0 :: v_dual_mov_b32 v8, 0
.LBB95_1043:
	s_mov_b32 s0, 0
.LBB95_1044:
	s_delay_alu instid0(SALU_CYCLE_1)
	s_and_not1_b32 vcc_lo, exec_lo, s0
	s_cbranch_vccnz .LBB95_1047
; %bb.1045:
	v_mov_b32_e32 v1, 0
	s_and_not1_b32 vcc_lo, exec_lo, s43
	s_delay_alu instid0(VALU_DEP_1) | instskip(NEXT) | instid1(VALU_DEP_1)
	v_mul_u64_e32 v[2:3], s[26:27], v[0:1]
	v_add_nc_u32_e32 v2, v0, v3
	s_wait_loadcnt 0x0
	s_delay_alu instid0(VALU_DEP_1) | instskip(NEXT) | instid1(VALU_DEP_1)
	v_lshrrev_b32_e32 v10, s22, v2
	v_mul_lo_u32 v2, v10, s20
	s_delay_alu instid0(VALU_DEP_1) | instskip(NEXT) | instid1(VALU_DEP_1)
	v_sub_nc_u32_e32 v3, v0, v2
	v_mul_lo_u32 v4, v3, s13
	v_mul_lo_u32 v2, v3, s12
	;; [unrolled: 1-line block ×4, first 2 shown]
	s_cbranch_vccnz .LBB95_1047
; %bb.1046:
	v_mov_b32_e32 v11, v1
	s_delay_alu instid0(VALU_DEP_1) | instskip(NEXT) | instid1(VALU_DEP_1)
	v_mul_u64_e32 v[12:13], s[28:29], v[10:11]
	v_add_nc_u32_e32 v1, v10, v13
	s_delay_alu instid0(VALU_DEP_1) | instskip(NEXT) | instid1(VALU_DEP_1)
	v_lshrrev_b32_e32 v1, s1, v1
	v_mul_lo_u32 v1, v1, s23
	s_delay_alu instid0(VALU_DEP_1) | instskip(NEXT) | instid1(VALU_DEP_1)
	v_sub_nc_u32_e32 v1, v10, v1
	v_mad_u32 v2, v1, s16, v2
	v_mad_u32 v4, v1, s17, v4
	;; [unrolled: 1-line block ×4, first 2 shown]
.LBB95_1047:
	s_wait_loadcnt 0x0
	v_mov_b32_e32 v5, 0
	s_and_b32 s0, s42, 0xff
	s_delay_alu instid0(SALU_CYCLE_1) | instskip(NEXT) | instid1(VALU_DEP_1)
	s_cmp_lt_i32 s0, 11
	v_add_nc_u64_e32 v[10:11], s[6:7], v[4:5]
	s_cbranch_scc1 .LBB95_1054
; %bb.1048:
	s_and_b32 s31, 0xffff, s0
	s_delay_alu instid0(SALU_CYCLE_1)
	s_cmp_gt_i32 s31, 25
	s_cbranch_scc0 .LBB95_1055
; %bb.1049:
	s_cmp_gt_i32 s31, 28
	s_cbranch_scc0 .LBB95_1056
; %bb.1050:
	;; [unrolled: 3-line block ×4, first 2 shown]
	s_cmp_eq_u32 s31, 46
	s_mov_b32 s35, 0
	s_cbranch_scc0 .LBB95_1059
; %bb.1053:
	global_load_b32 v1, v[10:11], off
	s_mov_b32 s34, -1
	s_mov_b32 s30, 0
	s_wait_loadcnt 0x0
	v_lshlrev_b32_e32 v1, 16, v1
	s_delay_alu instid0(VALU_DEP_1)
	v_cvt_i32_f32_e32 v4, v1
	s_branch .LBB95_1061
.LBB95_1054:
	s_mov_b32 s31, -1
	s_mov_b32 s34, 0
	s_mov_b32 s30, s52
                                        ; implicit-def: $vgpr4
	s_branch .LBB95_1122
.LBB95_1055:
	s_mov_b32 s35, -1
	s_mov_b32 s34, 0
	s_mov_b32 s30, s52
                                        ; implicit-def: $vgpr4
	s_branch .LBB95_1088
.LBB95_1056:
	s_mov_b32 s35, -1
	s_mov_b32 s34, 0
	s_mov_b32 s30, s52
                                        ; implicit-def: $vgpr4
	s_branch .LBB95_1071
.LBB95_1057:
	s_mov_b32 s35, -1
	s_mov_b32 s34, 0
	s_mov_b32 s30, s52
                                        ; implicit-def: $vgpr4
	s_branch .LBB95_1066
.LBB95_1058:
	s_mov_b32 s35, -1
	s_mov_b32 s34, 0
	s_mov_b32 s30, s52
	s_branch .LBB95_1060
.LBB95_1059:
	s_mov_b32 s30, -1
	s_mov_b32 s34, 0
.LBB95_1060:
                                        ; implicit-def: $vgpr4
.LBB95_1061:
	s_and_b32 vcc_lo, exec_lo, s35
	s_cbranch_vccz .LBB95_1065
; %bb.1062:
	s_cmp_eq_u32 s31, 44
	s_cbranch_scc0 .LBB95_1064
; %bb.1063:
	global_load_u8 v1, v[10:11], off
	s_mov_b32 s30, 0
	s_mov_b32 s34, -1
	s_wait_loadcnt 0x0
	v_lshlrev_b32_e32 v3, 23, v1
	v_cmp_ne_u32_e32 vcc_lo, 0, v1
	s_delay_alu instid0(VALU_DEP_2) | instskip(NEXT) | instid1(VALU_DEP_1)
	v_cvt_i32_f32_e32 v3, v3
	v_cndmask_b32_e32 v4, 0, v3, vcc_lo
	s_branch .LBB95_1065
.LBB95_1064:
	s_mov_b32 s30, -1
                                        ; implicit-def: $vgpr4
.LBB95_1065:
	s_mov_b32 s35, 0
.LBB95_1066:
	s_delay_alu instid0(SALU_CYCLE_1)
	s_and_b32 vcc_lo, exec_lo, s35
	s_cbranch_vccz .LBB95_1070
; %bb.1067:
	s_cmp_eq_u32 s31, 29
	s_cbranch_scc0 .LBB95_1069
; %bb.1068:
	global_load_b64 v[4:5], v[10:11], off
	s_mov_b32 s34, -1
	s_mov_b32 s30, 0
	s_branch .LBB95_1070
.LBB95_1069:
	s_mov_b32 s30, -1
                                        ; implicit-def: $vgpr4
.LBB95_1070:
	s_mov_b32 s35, 0
.LBB95_1071:
	s_delay_alu instid0(SALU_CYCLE_1)
	s_and_b32 vcc_lo, exec_lo, s35
	s_cbranch_vccz .LBB95_1087
; %bb.1072:
	s_cmp_lt_i32 s31, 27
	s_cbranch_scc1 .LBB95_1075
; %bb.1073:
	s_cmp_gt_i32 s31, 27
	s_cbranch_scc0 .LBB95_1076
; %bb.1074:
	s_wait_loadcnt 0x0
	global_load_b32 v4, v[10:11], off
	s_mov_b32 s34, 0
	s_branch .LBB95_1077
.LBB95_1075:
	s_mov_b32 s34, -1
                                        ; implicit-def: $vgpr4
	s_branch .LBB95_1080
.LBB95_1076:
	s_mov_b32 s34, -1
                                        ; implicit-def: $vgpr4
.LBB95_1077:
	s_delay_alu instid0(SALU_CYCLE_1)
	s_and_not1_b32 vcc_lo, exec_lo, s34
	s_cbranch_vccnz .LBB95_1079
; %bb.1078:
	s_wait_loadcnt 0x0
	global_load_u16 v4, v[10:11], off
.LBB95_1079:
	s_mov_b32 s34, 0
.LBB95_1080:
	s_delay_alu instid0(SALU_CYCLE_1)
	s_and_not1_b32 vcc_lo, exec_lo, s34
	s_cbranch_vccnz .LBB95_1086
; %bb.1081:
	global_load_u8 v1, v[10:11], off
	s_mov_b32 s35, 0
	s_mov_b32 s34, exec_lo
	s_wait_loadcnt 0x0
	v_cmpx_lt_i16_e32 0x7f, v1
	s_xor_b32 s34, exec_lo, s34
	s_cbranch_execz .LBB95_1098
; %bb.1082:
	v_cmp_ne_u16_e32 vcc_lo, 0x80, v1
	s_and_b32 s35, vcc_lo, exec_lo
	s_and_not1_saveexec_b32 s34, s34
	s_cbranch_execnz .LBB95_1099
.LBB95_1083:
	s_or_b32 exec_lo, exec_lo, s34
	v_mov_b32_e32 v4, 0
	s_and_saveexec_b32 s34, s35
	s_cbranch_execz .LBB95_1085
.LBB95_1084:
	v_and_b32_e32 v3, 0xffff, v1
	s_delay_alu instid0(VALU_DEP_1) | instskip(SKIP_1) | instid1(VALU_DEP_2)
	v_and_b32_e32 v4, 7, v3
	v_bfe_u32 v9, v3, 3, 4
	v_clz_i32_u32_e32 v5, v4
	s_delay_alu instid0(VALU_DEP_2) | instskip(NEXT) | instid1(VALU_DEP_2)
	v_cmp_eq_u32_e32 vcc_lo, 0, v9
	v_min_u32_e32 v5, 32, v5
	s_delay_alu instid0(VALU_DEP_1) | instskip(NEXT) | instid1(VALU_DEP_1)
	v_subrev_nc_u32_e32 v7, 28, v5
	v_dual_lshlrev_b32 v3, v7, v3 :: v_dual_sub_nc_u32 v5, 29, v5
	s_delay_alu instid0(VALU_DEP_1) | instskip(NEXT) | instid1(VALU_DEP_1)
	v_dual_lshlrev_b32 v1, 24, v1 :: v_dual_bitop2_b32 v3, 7, v3 bitop3:0x40
	v_dual_cndmask_b32 v3, v4, v3, vcc_lo :: v_dual_cndmask_b32 v5, v9, v5, vcc_lo
	s_delay_alu instid0(VALU_DEP_2) | instskip(NEXT) | instid1(VALU_DEP_2)
	v_and_b32_e32 v1, 0x80000000, v1
	v_lshlrev_b32_e32 v3, 20, v3
	s_delay_alu instid0(VALU_DEP_3) | instskip(NEXT) | instid1(VALU_DEP_1)
	v_lshl_add_u32 v4, v5, 23, 0x3b800000
	v_or3_b32 v1, v1, v4, v3
	s_delay_alu instid0(VALU_DEP_1)
	v_cvt_i32_f32_e32 v4, v1
.LBB95_1085:
	s_or_b32 exec_lo, exec_lo, s34
.LBB95_1086:
	s_mov_b32 s34, -1
.LBB95_1087:
	s_mov_b32 s35, 0
.LBB95_1088:
	s_delay_alu instid0(SALU_CYCLE_1)
	s_and_b32 vcc_lo, exec_lo, s35
	s_cbranch_vccz .LBB95_1121
; %bb.1089:
	s_cmp_gt_i32 s31, 22
	s_cbranch_scc0 .LBB95_1097
; %bb.1090:
	s_cmp_lt_i32 s31, 24
	s_cbranch_scc1 .LBB95_1100
; %bb.1091:
	s_cmp_gt_i32 s31, 24
	s_cbranch_scc0 .LBB95_1101
; %bb.1092:
	global_load_u8 v1, v[10:11], off
	s_mov_b32 s35, 0
	s_mov_b32 s34, exec_lo
	s_wait_loadcnt 0x0
	v_cmpx_lt_i16_e32 0x7f, v1
	s_xor_b32 s34, exec_lo, s34
	s_cbranch_execz .LBB95_1113
; %bb.1093:
	v_cmp_ne_u16_e32 vcc_lo, 0x80, v1
	s_and_b32 s35, vcc_lo, exec_lo
	s_and_not1_saveexec_b32 s34, s34
	s_cbranch_execnz .LBB95_1114
.LBB95_1094:
	s_or_b32 exec_lo, exec_lo, s34
	v_mov_b32_e32 v4, 0
	s_and_saveexec_b32 s34, s35
	s_cbranch_execz .LBB95_1096
.LBB95_1095:
	v_and_b32_e32 v3, 0xffff, v1
	s_delay_alu instid0(VALU_DEP_1) | instskip(SKIP_1) | instid1(VALU_DEP_2)
	v_and_b32_e32 v4, 3, v3
	v_bfe_u32 v9, v3, 2, 5
	v_clz_i32_u32_e32 v5, v4
	s_delay_alu instid0(VALU_DEP_2) | instskip(NEXT) | instid1(VALU_DEP_2)
	v_cmp_eq_u32_e32 vcc_lo, 0, v9
	v_min_u32_e32 v5, 32, v5
	s_delay_alu instid0(VALU_DEP_1) | instskip(NEXT) | instid1(VALU_DEP_1)
	v_subrev_nc_u32_e32 v7, 29, v5
	v_dual_lshlrev_b32 v3, v7, v3 :: v_dual_sub_nc_u32 v5, 30, v5
	s_delay_alu instid0(VALU_DEP_1) | instskip(NEXT) | instid1(VALU_DEP_1)
	v_dual_lshlrev_b32 v1, 24, v1 :: v_dual_bitop2_b32 v3, 3, v3 bitop3:0x40
	v_dual_cndmask_b32 v3, v4, v3, vcc_lo :: v_dual_cndmask_b32 v5, v9, v5, vcc_lo
	s_delay_alu instid0(VALU_DEP_2) | instskip(NEXT) | instid1(VALU_DEP_2)
	v_and_b32_e32 v1, 0x80000000, v1
	v_lshlrev_b32_e32 v3, 21, v3
	s_delay_alu instid0(VALU_DEP_3) | instskip(NEXT) | instid1(VALU_DEP_1)
	v_lshl_add_u32 v4, v5, 23, 0x37800000
	v_or3_b32 v1, v1, v4, v3
	s_delay_alu instid0(VALU_DEP_1)
	v_cvt_i32_f32_e32 v4, v1
.LBB95_1096:
	s_or_b32 exec_lo, exec_lo, s34
	s_mov_b32 s34, 0
	s_branch .LBB95_1102
.LBB95_1097:
	s_mov_b32 s35, -1
                                        ; implicit-def: $vgpr4
	s_branch .LBB95_1108
.LBB95_1098:
	s_and_not1_saveexec_b32 s34, s34
	s_cbranch_execz .LBB95_1083
.LBB95_1099:
	v_cmp_ne_u16_e32 vcc_lo, 0, v1
	s_and_not1_b32 s35, s35, exec_lo
	s_and_b32 s58, vcc_lo, exec_lo
	s_delay_alu instid0(SALU_CYCLE_1)
	s_or_b32 s35, s35, s58
	s_or_b32 exec_lo, exec_lo, s34
	v_mov_b32_e32 v4, 0
	s_and_saveexec_b32 s34, s35
	s_cbranch_execnz .LBB95_1084
	s_branch .LBB95_1085
.LBB95_1100:
	s_mov_b32 s34, -1
                                        ; implicit-def: $vgpr4
	s_branch .LBB95_1105
.LBB95_1101:
	s_mov_b32 s34, -1
                                        ; implicit-def: $vgpr4
.LBB95_1102:
	s_delay_alu instid0(SALU_CYCLE_1)
	s_and_b32 vcc_lo, exec_lo, s34
	s_cbranch_vccz .LBB95_1104
; %bb.1103:
	global_load_u8 v1, v[10:11], off
	s_wait_loadcnt 0x0
	v_lshlrev_b32_e32 v1, 24, v1
	s_delay_alu instid0(VALU_DEP_1) | instskip(NEXT) | instid1(VALU_DEP_1)
	v_and_b32_e32 v3, 0x7f000000, v1
	v_clz_i32_u32_e32 v4, v3
	v_add_nc_u32_e32 v7, 0x1000000, v3
	v_cmp_ne_u32_e32 vcc_lo, 0, v3
	s_delay_alu instid0(VALU_DEP_3) | instskip(NEXT) | instid1(VALU_DEP_1)
	v_min_u32_e32 v4, 32, v4
	v_sub_nc_u32_e64 v4, v4, 4 clamp
	s_delay_alu instid0(VALU_DEP_1) | instskip(NEXT) | instid1(VALU_DEP_1)
	v_dual_lshlrev_b32 v5, v4, v3 :: v_dual_lshlrev_b32 v4, 23, v4
	v_lshrrev_b32_e32 v5, 4, v5
	s_delay_alu instid0(VALU_DEP_1) | instskip(NEXT) | instid1(VALU_DEP_1)
	v_dual_sub_nc_u32 v4, v5, v4 :: v_dual_ashrrev_i32 v5, 8, v7
	v_add_nc_u32_e32 v4, 0x3c000000, v4
	s_delay_alu instid0(VALU_DEP_1) | instskip(NEXT) | instid1(VALU_DEP_1)
	v_and_or_b32 v4, 0x7f800000, v5, v4
	v_cndmask_b32_e32 v3, 0, v4, vcc_lo
	s_delay_alu instid0(VALU_DEP_1) | instskip(NEXT) | instid1(VALU_DEP_1)
	v_and_or_b32 v1, 0x80000000, v1, v3
	v_cvt_i32_f32_e32 v4, v1
.LBB95_1104:
	s_mov_b32 s34, 0
.LBB95_1105:
	s_delay_alu instid0(SALU_CYCLE_1)
	s_and_not1_b32 vcc_lo, exec_lo, s34
	s_cbranch_vccnz .LBB95_1107
; %bb.1106:
	global_load_u8 v1, v[10:11], off
	s_wait_loadcnt 0x0
	v_lshlrev_b32_e32 v3, 25, v1
	v_lshlrev_b16 v1, 8, v1
	s_delay_alu instid0(VALU_DEP_1) | instskip(NEXT) | instid1(VALU_DEP_3)
	v_and_or_b32 v5, 0x7f00, v1, 0.5
	v_lshrrev_b32_e32 v4, 4, v3
	v_bfe_i32 v1, v1, 0, 16
	s_delay_alu instid0(VALU_DEP_3) | instskip(NEXT) | instid1(VALU_DEP_3)
	v_add_f32_e32 v5, -0.5, v5
	v_or_b32_e32 v4, 0x70000000, v4
	s_delay_alu instid0(VALU_DEP_1) | instskip(SKIP_1) | instid1(VALU_DEP_2)
	v_mul_f32_e32 v4, 0x7800000, v4
	v_cmp_gt_u32_e32 vcc_lo, 0x8000000, v3
	v_cndmask_b32_e32 v3, v4, v5, vcc_lo
	s_delay_alu instid0(VALU_DEP_1) | instskip(NEXT) | instid1(VALU_DEP_1)
	v_and_or_b32 v1, 0x80000000, v1, v3
	v_cvt_i32_f32_e32 v4, v1
.LBB95_1107:
	s_mov_b32 s35, 0
	s_mov_b32 s34, -1
.LBB95_1108:
	s_and_not1_b32 vcc_lo, exec_lo, s35
	s_cbranch_vccnz .LBB95_1121
; %bb.1109:
	s_cmp_gt_i32 s31, 14
	s_cbranch_scc0 .LBB95_1112
; %bb.1110:
	s_cmp_eq_u32 s31, 15
	s_cbranch_scc0 .LBB95_1115
; %bb.1111:
	global_load_u16 v1, v[10:11], off
	s_mov_b32 s34, -1
	s_mov_b32 s30, 0
	s_wait_loadcnt 0x0
	v_lshlrev_b32_e32 v1, 16, v1
	s_delay_alu instid0(VALU_DEP_1)
	v_cvt_i32_f32_e32 v4, v1
	s_branch .LBB95_1116
.LBB95_1112:
	s_mov_b32 s35, -1
                                        ; implicit-def: $vgpr4
	s_branch .LBB95_1117
.LBB95_1113:
	s_and_not1_saveexec_b32 s34, s34
	s_cbranch_execz .LBB95_1094
.LBB95_1114:
	v_cmp_ne_u16_e32 vcc_lo, 0, v1
	s_and_not1_b32 s35, s35, exec_lo
	s_and_b32 s58, vcc_lo, exec_lo
	s_delay_alu instid0(SALU_CYCLE_1)
	s_or_b32 s35, s35, s58
	s_or_b32 exec_lo, exec_lo, s34
	v_mov_b32_e32 v4, 0
	s_and_saveexec_b32 s34, s35
	s_cbranch_execnz .LBB95_1095
	s_branch .LBB95_1096
.LBB95_1115:
	s_mov_b32 s30, -1
                                        ; implicit-def: $vgpr4
.LBB95_1116:
	s_mov_b32 s35, 0
.LBB95_1117:
	s_delay_alu instid0(SALU_CYCLE_1)
	s_and_b32 vcc_lo, exec_lo, s35
	s_cbranch_vccz .LBB95_1121
; %bb.1118:
	s_cmp_eq_u32 s31, 11
	s_cbranch_scc0 .LBB95_1120
; %bb.1119:
	global_load_u8 v1, v[10:11], off
	s_mov_b32 s30, 0
	s_mov_b32 s34, -1
	s_wait_loadcnt 0x0
	v_cmp_ne_u16_e32 vcc_lo, 0, v1
	v_cndmask_b32_e64 v4, 0, 1, vcc_lo
	s_branch .LBB95_1121
.LBB95_1120:
	s_mov_b32 s30, -1
                                        ; implicit-def: $vgpr4
.LBB95_1121:
	s_mov_b32 s31, 0
.LBB95_1122:
	s_delay_alu instid0(SALU_CYCLE_1)
	s_and_b32 vcc_lo, exec_lo, s31
	s_cbranch_vccz .LBB95_1171
; %bb.1123:
	s_and_b32 s0, 0xffff, s0
	s_delay_alu instid0(SALU_CYCLE_1)
	s_cmp_lt_i32 s0, 5
	s_cbranch_scc1 .LBB95_1128
; %bb.1124:
	s_cmp_lt_i32 s0, 8
	s_cbranch_scc1 .LBB95_1129
; %bb.1125:
	;; [unrolled: 3-line block ×3, first 2 shown]
	s_cmp_gt_i32 s0, 9
	s_cbranch_scc0 .LBB95_1131
; %bb.1127:
	s_wait_loadcnt 0x0
	global_load_b64 v[4:5], v[10:11], off
	s_mov_b32 s31, 0
	s_wait_loadcnt 0x0
	v_cvt_i32_f64_e32 v4, v[4:5]
	s_branch .LBB95_1132
.LBB95_1128:
	s_mov_b32 s31, -1
                                        ; implicit-def: $vgpr4
	s_branch .LBB95_1150
.LBB95_1129:
	s_mov_b32 s31, -1
                                        ; implicit-def: $vgpr4
	s_branch .LBB95_1138
.LBB95_1130:
	s_mov_b32 s31, -1
                                        ; implicit-def: $vgpr4
	s_branch .LBB95_1135
.LBB95_1131:
	s_mov_b32 s31, -1
                                        ; implicit-def: $vgpr4
.LBB95_1132:
	s_delay_alu instid0(SALU_CYCLE_1)
	s_and_not1_b32 vcc_lo, exec_lo, s31
	s_cbranch_vccnz .LBB95_1134
; %bb.1133:
	global_load_b32 v1, v[10:11], off
	s_wait_loadcnt 0x0
	v_cvt_i32_f32_e32 v4, v1
.LBB95_1134:
	s_mov_b32 s31, 0
.LBB95_1135:
	s_delay_alu instid0(SALU_CYCLE_1)
	s_and_not1_b32 vcc_lo, exec_lo, s31
	s_cbranch_vccnz .LBB95_1137
; %bb.1136:
	global_load_b32 v1, v[10:11], off
	s_wait_loadcnt 0x0
	v_cvt_i16_f16_e32 v4, v1
.LBB95_1137:
	s_mov_b32 s31, 0
.LBB95_1138:
	s_delay_alu instid0(SALU_CYCLE_1)
	s_and_not1_b32 vcc_lo, exec_lo, s31
	s_cbranch_vccnz .LBB95_1149
; %bb.1139:
	s_cmp_lt_i32 s0, 6
	s_cbranch_scc1 .LBB95_1142
; %bb.1140:
	s_cmp_gt_i32 s0, 6
	s_cbranch_scc0 .LBB95_1143
; %bb.1141:
	s_wait_loadcnt 0x0
	global_load_b64 v[4:5], v[10:11], off
	s_mov_b32 s31, 0
	s_wait_loadcnt 0x0
	v_cvt_i32_f64_e32 v4, v[4:5]
	s_branch .LBB95_1144
.LBB95_1142:
	s_mov_b32 s31, -1
                                        ; implicit-def: $vgpr4
	s_branch .LBB95_1147
.LBB95_1143:
	s_mov_b32 s31, -1
                                        ; implicit-def: $vgpr4
.LBB95_1144:
	s_delay_alu instid0(SALU_CYCLE_1)
	s_and_not1_b32 vcc_lo, exec_lo, s31
	s_cbranch_vccnz .LBB95_1146
; %bb.1145:
	global_load_b32 v1, v[10:11], off
	s_wait_loadcnt 0x0
	v_cvt_i32_f32_e32 v4, v1
.LBB95_1146:
	s_mov_b32 s31, 0
.LBB95_1147:
	s_delay_alu instid0(SALU_CYCLE_1)
	s_and_not1_b32 vcc_lo, exec_lo, s31
	s_cbranch_vccnz .LBB95_1149
; %bb.1148:
	global_load_u16 v1, v[10:11], off
	s_wait_loadcnt 0x0
	v_cvt_i16_f16_e32 v4, v1
.LBB95_1149:
	s_mov_b32 s31, 0
.LBB95_1150:
	s_delay_alu instid0(SALU_CYCLE_1)
	s_and_not1_b32 vcc_lo, exec_lo, s31
	s_cbranch_vccnz .LBB95_1170
; %bb.1151:
	s_cmp_lt_i32 s0, 2
	s_cbranch_scc1 .LBB95_1155
; %bb.1152:
	s_cmp_lt_i32 s0, 3
	s_cbranch_scc1 .LBB95_1156
; %bb.1153:
	s_cmp_gt_i32 s0, 3
	s_cbranch_scc0 .LBB95_1157
; %bb.1154:
	s_wait_loadcnt 0x0
	global_load_b64 v[4:5], v[10:11], off
	s_mov_b32 s31, 0
	s_branch .LBB95_1158
.LBB95_1155:
	s_mov_b32 s31, -1
                                        ; implicit-def: $vgpr4
	s_branch .LBB95_1164
.LBB95_1156:
	s_mov_b32 s31, -1
                                        ; implicit-def: $vgpr4
	s_branch .LBB95_1161
.LBB95_1157:
	s_mov_b32 s31, -1
                                        ; implicit-def: $vgpr4
.LBB95_1158:
	s_delay_alu instid0(SALU_CYCLE_1)
	s_and_not1_b32 vcc_lo, exec_lo, s31
	s_cbranch_vccnz .LBB95_1160
; %bb.1159:
	s_wait_loadcnt 0x0
	global_load_b32 v4, v[10:11], off
.LBB95_1160:
	s_mov_b32 s31, 0
.LBB95_1161:
	s_delay_alu instid0(SALU_CYCLE_1)
	s_and_not1_b32 vcc_lo, exec_lo, s31
	s_cbranch_vccnz .LBB95_1163
; %bb.1162:
	s_wait_loadcnt 0x0
	global_load_u16 v4, v[10:11], off
.LBB95_1163:
	s_mov_b32 s31, 0
.LBB95_1164:
	s_delay_alu instid0(SALU_CYCLE_1)
	s_and_not1_b32 vcc_lo, exec_lo, s31
	s_cbranch_vccnz .LBB95_1170
; %bb.1165:
	s_cmp_gt_i32 s0, 0
	s_mov_b32 s0, 0
	s_cbranch_scc0 .LBB95_1167
; %bb.1166:
	s_wait_loadcnt 0x0
	global_load_i8 v4, v[10:11], off
	s_branch .LBB95_1168
.LBB95_1167:
	s_mov_b32 s0, -1
                                        ; implicit-def: $vgpr4
.LBB95_1168:
	s_delay_alu instid0(SALU_CYCLE_1)
	s_and_not1_b32 vcc_lo, exec_lo, s0
	s_cbranch_vccnz .LBB95_1170
; %bb.1169:
	s_wait_loadcnt 0x0
	global_load_u8 v4, v[10:11], off
.LBB95_1170:
	s_mov_b32 s34, -1
.LBB95_1171:
	s_delay_alu instid0(SALU_CYCLE_1)
	s_and_not1_b32 vcc_lo, exec_lo, s34
	s_cbranch_vccnz .LBB95_1179
; %bb.1172:
	v_mov_b32_e32 v9, 0
	s_and_b32 s0, s41, 0xff
	s_delay_alu instid0(SALU_CYCLE_1) | instskip(SKIP_1) | instid1(VALU_DEP_1)
	s_cmp_lt_i32 s0, 11
	s_wait_xcnt 0x0
	v_add_nc_u64_e32 v[10:11], s[8:9], v[8:9]
	s_cbranch_scc1 .LBB95_1180
; %bb.1173:
	s_and_b32 s34, 0xffff, s0
	s_delay_alu instid0(SALU_CYCLE_1)
	s_cmp_gt_i32 s34, 25
	s_cbranch_scc0 .LBB95_1181
; %bb.1174:
	s_cmp_gt_i32 s34, 28
	s_cbranch_scc0 .LBB95_1182
; %bb.1175:
	;; [unrolled: 3-line block ×4, first 2 shown]
	s_cmp_eq_u32 s34, 46
	s_mov_b32 s58, 0
	s_cbranch_scc0 .LBB95_1187
; %bb.1178:
	global_load_b32 v1, v[10:11], off
	s_mov_b32 s35, -1
	s_mov_b32 s31, 0
	s_wait_loadcnt 0x0
	v_lshlrev_b32_e32 v1, 16, v1
	s_delay_alu instid0(VALU_DEP_1)
	v_cvt_i32_f32_e32 v8, v1
	s_branch .LBB95_1189
.LBB95_1179:
	s_mov_b32 s35, 0
	s_mov_b32 s0, s53
	;; [unrolled: 1-line block ×4, first 2 shown]
	s_branch .LBB95_1552
.LBB95_1180:
	s_mov_b32 s34, -1
	s_mov_b32 s35, 0
	s_mov_b32 s31, s55
                                        ; implicit-def: $vgpr8
	s_branch .LBB95_1250
.LBB95_1181:
	s_mov_b32 s58, -1
	s_mov_b32 s35, 0
	s_mov_b32 s31, s55
                                        ; implicit-def: $vgpr8
	s_branch .LBB95_1216
.LBB95_1182:
	s_mov_b32 s58, -1
	s_mov_b32 s35, 0
	s_mov_b32 s31, s55
                                        ; implicit-def: $vgpr8
	s_branch .LBB95_1199
.LBB95_1183:
	s_mov_b32 s58, -1
	s_mov_b32 s35, 0
	s_mov_b32 s31, s55
                                        ; implicit-def: $vgpr8
	s_branch .LBB95_1194
.LBB95_1184:
	s_mov_b32 s58, -1
	s_mov_b32 s35, 0
	s_mov_b32 s31, s55
	s_branch .LBB95_1188
.LBB95_1185:
	s_and_not1_saveexec_b32 s55, s55
	s_cbranch_execz .LBB95_941
.LBB95_1186:
	v_add_f32_e64 v5, 0x46000000, |v4|
	s_and_not1_b32 s54, s54, exec_lo
	s_delay_alu instid0(VALU_DEP_1) | instskip(NEXT) | instid1(VALU_DEP_1)
	v_and_b32_e32 v5, 0xff, v5
	v_cmp_ne_u32_e32 vcc_lo, 0, v5
	s_and_b32 s57, vcc_lo, exec_lo
	s_delay_alu instid0(SALU_CYCLE_1)
	s_or_b32 s54, s54, s57
	s_or_b32 exec_lo, exec_lo, s55
	v_mov_b32_e32 v6, 0
	s_and_saveexec_b32 s55, s54
	s_cbranch_execnz .LBB95_942
	s_branch .LBB95_943
.LBB95_1187:
	s_mov_b32 s31, -1
	s_mov_b32 s35, 0
.LBB95_1188:
                                        ; implicit-def: $vgpr8
.LBB95_1189:
	s_and_b32 vcc_lo, exec_lo, s58
	s_cbranch_vccz .LBB95_1193
; %bb.1190:
	s_cmp_eq_u32 s34, 44
	s_cbranch_scc0 .LBB95_1192
; %bb.1191:
	global_load_u8 v1, v[10:11], off
	s_mov_b32 s31, 0
	s_mov_b32 s35, -1
	s_wait_loadcnt 0x0
	v_lshlrev_b32_e32 v3, 23, v1
	v_cmp_ne_u32_e32 vcc_lo, 0, v1
	s_delay_alu instid0(VALU_DEP_2) | instskip(NEXT) | instid1(VALU_DEP_1)
	v_cvt_i32_f32_e32 v3, v3
	v_cndmask_b32_e32 v8, 0, v3, vcc_lo
	s_branch .LBB95_1193
.LBB95_1192:
	s_mov_b32 s31, -1
                                        ; implicit-def: $vgpr8
.LBB95_1193:
	s_mov_b32 s58, 0
.LBB95_1194:
	s_delay_alu instid0(SALU_CYCLE_1)
	s_and_b32 vcc_lo, exec_lo, s58
	s_cbranch_vccz .LBB95_1198
; %bb.1195:
	s_cmp_eq_u32 s34, 29
	s_cbranch_scc0 .LBB95_1197
; %bb.1196:
	global_load_b64 v[8:9], v[10:11], off
	s_mov_b32 s35, -1
	s_mov_b32 s31, 0
	s_branch .LBB95_1198
.LBB95_1197:
	s_mov_b32 s31, -1
                                        ; implicit-def: $vgpr8
.LBB95_1198:
	s_mov_b32 s58, 0
.LBB95_1199:
	s_delay_alu instid0(SALU_CYCLE_1)
	s_and_b32 vcc_lo, exec_lo, s58
	s_cbranch_vccz .LBB95_1215
; %bb.1200:
	s_cmp_lt_i32 s34, 27
	s_cbranch_scc1 .LBB95_1203
; %bb.1201:
	s_cmp_gt_i32 s34, 27
	s_cbranch_scc0 .LBB95_1204
; %bb.1202:
	s_wait_loadcnt 0x0
	global_load_b32 v8, v[10:11], off
	s_mov_b32 s35, 0
	s_branch .LBB95_1205
.LBB95_1203:
	s_mov_b32 s35, -1
                                        ; implicit-def: $vgpr8
	s_branch .LBB95_1208
.LBB95_1204:
	s_mov_b32 s35, -1
                                        ; implicit-def: $vgpr8
.LBB95_1205:
	s_delay_alu instid0(SALU_CYCLE_1)
	s_and_not1_b32 vcc_lo, exec_lo, s35
	s_cbranch_vccnz .LBB95_1207
; %bb.1206:
	s_wait_loadcnt 0x0
	global_load_u16 v8, v[10:11], off
.LBB95_1207:
	s_mov_b32 s35, 0
.LBB95_1208:
	s_delay_alu instid0(SALU_CYCLE_1)
	s_and_not1_b32 vcc_lo, exec_lo, s35
	s_cbranch_vccnz .LBB95_1214
; %bb.1209:
	global_load_u8 v1, v[10:11], off
	s_mov_b32 s58, 0
	s_mov_b32 s35, exec_lo
	s_wait_loadcnt 0x0
	v_cmpx_lt_i16_e32 0x7f, v1
	s_xor_b32 s35, exec_lo, s35
	s_cbranch_execz .LBB95_1226
; %bb.1210:
	v_cmp_ne_u16_e32 vcc_lo, 0x80, v1
	s_and_b32 s58, vcc_lo, exec_lo
	s_and_not1_saveexec_b32 s35, s35
	s_cbranch_execnz .LBB95_1227
.LBB95_1211:
	s_or_b32 exec_lo, exec_lo, s35
	v_mov_b32_e32 v8, 0
	s_and_saveexec_b32 s35, s58
	s_cbranch_execz .LBB95_1213
.LBB95_1212:
	v_and_b32_e32 v3, 0xffff, v1
	s_delay_alu instid0(VALU_DEP_1) | instskip(SKIP_1) | instid1(VALU_DEP_2)
	v_dual_lshlrev_b32 v1, 24, v1 :: v_dual_bitop2_b32 v5, 7, v3 bitop3:0x40
	v_bfe_u32 v9, v3, 3, 4
	v_and_b32_e32 v1, 0x80000000, v1
	s_delay_alu instid0(VALU_DEP_3) | instskip(NEXT) | instid1(VALU_DEP_3)
	v_clz_i32_u32_e32 v7, v5
	v_cmp_eq_u32_e32 vcc_lo, 0, v9
	s_delay_alu instid0(VALU_DEP_2) | instskip(NEXT) | instid1(VALU_DEP_1)
	v_min_u32_e32 v7, 32, v7
	v_subrev_nc_u32_e32 v8, 28, v7
	v_sub_nc_u32_e32 v7, 29, v7
	s_delay_alu instid0(VALU_DEP_2) | instskip(NEXT) | instid1(VALU_DEP_2)
	v_lshlrev_b32_e32 v3, v8, v3
	v_cndmask_b32_e32 v7, v9, v7, vcc_lo
	s_delay_alu instid0(VALU_DEP_2) | instskip(NEXT) | instid1(VALU_DEP_1)
	v_and_b32_e32 v3, 7, v3
	v_cndmask_b32_e32 v3, v5, v3, vcc_lo
	s_delay_alu instid0(VALU_DEP_3) | instskip(NEXT) | instid1(VALU_DEP_2)
	v_lshl_add_u32 v5, v7, 23, 0x3b800000
	v_lshlrev_b32_e32 v3, 20, v3
	s_delay_alu instid0(VALU_DEP_1) | instskip(NEXT) | instid1(VALU_DEP_1)
	v_or3_b32 v1, v1, v5, v3
	v_cvt_i32_f32_e32 v8, v1
.LBB95_1213:
	s_or_b32 exec_lo, exec_lo, s35
.LBB95_1214:
	s_mov_b32 s35, -1
.LBB95_1215:
	s_mov_b32 s58, 0
.LBB95_1216:
	s_delay_alu instid0(SALU_CYCLE_1)
	s_and_b32 vcc_lo, exec_lo, s58
	s_cbranch_vccz .LBB95_1249
; %bb.1217:
	s_cmp_gt_i32 s34, 22
	s_cbranch_scc0 .LBB95_1225
; %bb.1218:
	s_cmp_lt_i32 s34, 24
	s_cbranch_scc1 .LBB95_1228
; %bb.1219:
	s_cmp_gt_i32 s34, 24
	s_cbranch_scc0 .LBB95_1229
; %bb.1220:
	global_load_u8 v1, v[10:11], off
	s_mov_b32 s58, 0
	s_mov_b32 s35, exec_lo
	s_wait_loadcnt 0x0
	v_cmpx_lt_i16_e32 0x7f, v1
	s_xor_b32 s35, exec_lo, s35
	s_cbranch_execz .LBB95_1241
; %bb.1221:
	v_cmp_ne_u16_e32 vcc_lo, 0x80, v1
	s_and_b32 s58, vcc_lo, exec_lo
	s_and_not1_saveexec_b32 s35, s35
	s_cbranch_execnz .LBB95_1242
.LBB95_1222:
	s_or_b32 exec_lo, exec_lo, s35
	v_mov_b32_e32 v8, 0
	s_and_saveexec_b32 s35, s58
	s_cbranch_execz .LBB95_1224
.LBB95_1223:
	v_and_b32_e32 v3, 0xffff, v1
	s_delay_alu instid0(VALU_DEP_1) | instskip(SKIP_1) | instid1(VALU_DEP_2)
	v_dual_lshlrev_b32 v1, 24, v1 :: v_dual_bitop2_b32 v5, 3, v3 bitop3:0x40
	v_bfe_u32 v9, v3, 2, 5
	v_and_b32_e32 v1, 0x80000000, v1
	s_delay_alu instid0(VALU_DEP_3) | instskip(NEXT) | instid1(VALU_DEP_3)
	v_clz_i32_u32_e32 v7, v5
	v_cmp_eq_u32_e32 vcc_lo, 0, v9
	s_delay_alu instid0(VALU_DEP_2) | instskip(NEXT) | instid1(VALU_DEP_1)
	v_min_u32_e32 v7, 32, v7
	v_subrev_nc_u32_e32 v8, 29, v7
	v_sub_nc_u32_e32 v7, 30, v7
	s_delay_alu instid0(VALU_DEP_2) | instskip(NEXT) | instid1(VALU_DEP_2)
	v_lshlrev_b32_e32 v3, v8, v3
	v_cndmask_b32_e32 v7, v9, v7, vcc_lo
	s_delay_alu instid0(VALU_DEP_2) | instskip(NEXT) | instid1(VALU_DEP_1)
	v_and_b32_e32 v3, 3, v3
	v_cndmask_b32_e32 v3, v5, v3, vcc_lo
	s_delay_alu instid0(VALU_DEP_3) | instskip(NEXT) | instid1(VALU_DEP_2)
	v_lshl_add_u32 v5, v7, 23, 0x37800000
	v_lshlrev_b32_e32 v3, 21, v3
	s_delay_alu instid0(VALU_DEP_1) | instskip(NEXT) | instid1(VALU_DEP_1)
	v_or3_b32 v1, v1, v5, v3
	v_cvt_i32_f32_e32 v8, v1
.LBB95_1224:
	s_or_b32 exec_lo, exec_lo, s35
	s_mov_b32 s35, 0
	s_branch .LBB95_1230
.LBB95_1225:
	s_mov_b32 s58, -1
                                        ; implicit-def: $vgpr8
	s_branch .LBB95_1236
.LBB95_1226:
	s_and_not1_saveexec_b32 s35, s35
	s_cbranch_execz .LBB95_1211
.LBB95_1227:
	v_cmp_ne_u16_e32 vcc_lo, 0, v1
	s_and_not1_b32 s58, s58, exec_lo
	s_and_b32 s59, vcc_lo, exec_lo
	s_delay_alu instid0(SALU_CYCLE_1)
	s_or_b32 s58, s58, s59
	s_or_b32 exec_lo, exec_lo, s35
	v_mov_b32_e32 v8, 0
	s_and_saveexec_b32 s35, s58
	s_cbranch_execnz .LBB95_1212
	s_branch .LBB95_1213
.LBB95_1228:
	s_mov_b32 s35, -1
                                        ; implicit-def: $vgpr8
	s_branch .LBB95_1233
.LBB95_1229:
	s_mov_b32 s35, -1
                                        ; implicit-def: $vgpr8
.LBB95_1230:
	s_delay_alu instid0(SALU_CYCLE_1)
	s_and_b32 vcc_lo, exec_lo, s35
	s_cbranch_vccz .LBB95_1232
; %bb.1231:
	global_load_u8 v1, v[10:11], off
	s_wait_loadcnt 0x0
	v_lshlrev_b32_e32 v1, 24, v1
	s_delay_alu instid0(VALU_DEP_1) | instskip(NEXT) | instid1(VALU_DEP_1)
	v_and_b32_e32 v3, 0x7f000000, v1
	v_clz_i32_u32_e32 v5, v3
	v_cmp_ne_u32_e32 vcc_lo, 0, v3
	v_add_nc_u32_e32 v8, 0x1000000, v3
	s_delay_alu instid0(VALU_DEP_3) | instskip(NEXT) | instid1(VALU_DEP_1)
	v_min_u32_e32 v5, 32, v5
	v_sub_nc_u32_e64 v5, v5, 4 clamp
	s_delay_alu instid0(VALU_DEP_1) | instskip(NEXT) | instid1(VALU_DEP_1)
	v_dual_lshlrev_b32 v7, v5, v3 :: v_dual_lshlrev_b32 v5, 23, v5
	v_lshrrev_b32_e32 v7, 4, v7
	s_delay_alu instid0(VALU_DEP_1) | instskip(NEXT) | instid1(VALU_DEP_1)
	v_dual_sub_nc_u32 v5, v7, v5 :: v_dual_ashrrev_i32 v7, 8, v8
	v_add_nc_u32_e32 v5, 0x3c000000, v5
	s_delay_alu instid0(VALU_DEP_1) | instskip(NEXT) | instid1(VALU_DEP_1)
	v_and_or_b32 v5, 0x7f800000, v7, v5
	v_cndmask_b32_e32 v3, 0, v5, vcc_lo
	s_delay_alu instid0(VALU_DEP_1) | instskip(NEXT) | instid1(VALU_DEP_1)
	v_and_or_b32 v1, 0x80000000, v1, v3
	v_cvt_i32_f32_e32 v8, v1
.LBB95_1232:
	s_mov_b32 s35, 0
.LBB95_1233:
	s_delay_alu instid0(SALU_CYCLE_1)
	s_and_not1_b32 vcc_lo, exec_lo, s35
	s_cbranch_vccnz .LBB95_1235
; %bb.1234:
	global_load_u8 v1, v[10:11], off
	s_wait_loadcnt 0x0
	v_lshlrev_b32_e32 v3, 25, v1
	v_lshlrev_b16 v1, 8, v1
	s_delay_alu instid0(VALU_DEP_1) | instskip(SKIP_1) | instid1(VALU_DEP_2)
	v_and_or_b32 v7, 0x7f00, v1, 0.5
	v_bfe_i32 v1, v1, 0, 16
	v_add_f32_e32 v7, -0.5, v7
	v_lshrrev_b32_e32 v5, 4, v3
	v_cmp_gt_u32_e32 vcc_lo, 0x8000000, v3
	s_delay_alu instid0(VALU_DEP_2) | instskip(NEXT) | instid1(VALU_DEP_1)
	v_or_b32_e32 v5, 0x70000000, v5
	v_mul_f32_e32 v5, 0x7800000, v5
	s_delay_alu instid0(VALU_DEP_1) | instskip(NEXT) | instid1(VALU_DEP_1)
	v_cndmask_b32_e32 v3, v5, v7, vcc_lo
	v_and_or_b32 v1, 0x80000000, v1, v3
	s_delay_alu instid0(VALU_DEP_1)
	v_cvt_i32_f32_e32 v8, v1
.LBB95_1235:
	s_mov_b32 s58, 0
	s_mov_b32 s35, -1
.LBB95_1236:
	s_and_not1_b32 vcc_lo, exec_lo, s58
	s_cbranch_vccnz .LBB95_1249
; %bb.1237:
	s_cmp_gt_i32 s34, 14
	s_cbranch_scc0 .LBB95_1240
; %bb.1238:
	s_cmp_eq_u32 s34, 15
	s_cbranch_scc0 .LBB95_1243
; %bb.1239:
	global_load_u16 v1, v[10:11], off
	s_mov_b32 s35, -1
	s_mov_b32 s31, 0
	s_wait_loadcnt 0x0
	v_lshlrev_b32_e32 v1, 16, v1
	s_delay_alu instid0(VALU_DEP_1)
	v_cvt_i32_f32_e32 v8, v1
	s_branch .LBB95_1244
.LBB95_1240:
	s_mov_b32 s58, -1
                                        ; implicit-def: $vgpr8
	s_branch .LBB95_1245
.LBB95_1241:
	s_and_not1_saveexec_b32 s35, s35
	s_cbranch_execz .LBB95_1222
.LBB95_1242:
	v_cmp_ne_u16_e32 vcc_lo, 0, v1
	s_and_not1_b32 s58, s58, exec_lo
	s_and_b32 s59, vcc_lo, exec_lo
	s_delay_alu instid0(SALU_CYCLE_1)
	s_or_b32 s58, s58, s59
	s_or_b32 exec_lo, exec_lo, s35
	v_mov_b32_e32 v8, 0
	s_and_saveexec_b32 s35, s58
	s_cbranch_execnz .LBB95_1223
	s_branch .LBB95_1224
.LBB95_1243:
	s_mov_b32 s31, -1
                                        ; implicit-def: $vgpr8
.LBB95_1244:
	s_mov_b32 s58, 0
.LBB95_1245:
	s_delay_alu instid0(SALU_CYCLE_1)
	s_and_b32 vcc_lo, exec_lo, s58
	s_cbranch_vccz .LBB95_1249
; %bb.1246:
	s_cmp_eq_u32 s34, 11
	s_cbranch_scc0 .LBB95_1248
; %bb.1247:
	global_load_u8 v1, v[10:11], off
	s_mov_b32 s31, 0
	s_mov_b32 s35, -1
	s_wait_loadcnt 0x0
	v_cmp_ne_u16_e32 vcc_lo, 0, v1
	v_cndmask_b32_e64 v8, 0, 1, vcc_lo
	s_branch .LBB95_1249
.LBB95_1248:
	s_mov_b32 s31, -1
                                        ; implicit-def: $vgpr8
.LBB95_1249:
	s_mov_b32 s34, 0
.LBB95_1250:
	s_delay_alu instid0(SALU_CYCLE_1)
	s_and_b32 vcc_lo, exec_lo, s34
	s_cbranch_vccz .LBB95_1299
; %bb.1251:
	s_and_b32 s0, 0xffff, s0
	s_delay_alu instid0(SALU_CYCLE_1)
	s_cmp_lt_i32 s0, 5
	s_cbranch_scc1 .LBB95_1256
; %bb.1252:
	s_cmp_lt_i32 s0, 8
	s_cbranch_scc1 .LBB95_1257
; %bb.1253:
	;; [unrolled: 3-line block ×3, first 2 shown]
	s_cmp_gt_i32 s0, 9
	s_cbranch_scc0 .LBB95_1259
; %bb.1255:
	s_wait_loadcnt 0x0
	global_load_b64 v[8:9], v[10:11], off
	s_mov_b32 s34, 0
	s_wait_loadcnt 0x0
	v_cvt_i32_f64_e32 v8, v[8:9]
	s_branch .LBB95_1260
.LBB95_1256:
	s_mov_b32 s34, -1
                                        ; implicit-def: $vgpr8
	s_branch .LBB95_1278
.LBB95_1257:
	s_mov_b32 s34, -1
                                        ; implicit-def: $vgpr8
	s_branch .LBB95_1266
.LBB95_1258:
	s_mov_b32 s34, -1
                                        ; implicit-def: $vgpr8
	s_branch .LBB95_1263
.LBB95_1259:
	s_mov_b32 s34, -1
                                        ; implicit-def: $vgpr8
.LBB95_1260:
	s_delay_alu instid0(SALU_CYCLE_1)
	s_and_not1_b32 vcc_lo, exec_lo, s34
	s_cbranch_vccnz .LBB95_1262
; %bb.1261:
	global_load_b32 v1, v[10:11], off
	s_wait_loadcnt 0x0
	v_cvt_i32_f32_e32 v8, v1
.LBB95_1262:
	s_mov_b32 s34, 0
.LBB95_1263:
	s_delay_alu instid0(SALU_CYCLE_1)
	s_and_not1_b32 vcc_lo, exec_lo, s34
	s_cbranch_vccnz .LBB95_1265
; %bb.1264:
	global_load_b32 v1, v[10:11], off
	s_wait_loadcnt 0x0
	v_cvt_i16_f16_e32 v8, v1
.LBB95_1265:
	s_mov_b32 s34, 0
.LBB95_1266:
	s_delay_alu instid0(SALU_CYCLE_1)
	s_and_not1_b32 vcc_lo, exec_lo, s34
	s_cbranch_vccnz .LBB95_1277
; %bb.1267:
	s_cmp_lt_i32 s0, 6
	s_cbranch_scc1 .LBB95_1270
; %bb.1268:
	s_cmp_gt_i32 s0, 6
	s_cbranch_scc0 .LBB95_1271
; %bb.1269:
	s_wait_loadcnt 0x0
	global_load_b64 v[8:9], v[10:11], off
	s_mov_b32 s34, 0
	s_wait_loadcnt 0x0
	v_cvt_i32_f64_e32 v8, v[8:9]
	s_branch .LBB95_1272
.LBB95_1270:
	s_mov_b32 s34, -1
                                        ; implicit-def: $vgpr8
	s_branch .LBB95_1275
.LBB95_1271:
	s_mov_b32 s34, -1
                                        ; implicit-def: $vgpr8
.LBB95_1272:
	s_delay_alu instid0(SALU_CYCLE_1)
	s_and_not1_b32 vcc_lo, exec_lo, s34
	s_cbranch_vccnz .LBB95_1274
; %bb.1273:
	global_load_b32 v1, v[10:11], off
	s_wait_loadcnt 0x0
	v_cvt_i32_f32_e32 v8, v1
.LBB95_1274:
	s_mov_b32 s34, 0
.LBB95_1275:
	s_delay_alu instid0(SALU_CYCLE_1)
	s_and_not1_b32 vcc_lo, exec_lo, s34
	s_cbranch_vccnz .LBB95_1277
; %bb.1276:
	global_load_u16 v1, v[10:11], off
	s_wait_loadcnt 0x0
	v_cvt_i16_f16_e32 v8, v1
.LBB95_1277:
	s_mov_b32 s34, 0
.LBB95_1278:
	s_delay_alu instid0(SALU_CYCLE_1)
	s_and_not1_b32 vcc_lo, exec_lo, s34
	s_cbranch_vccnz .LBB95_1298
; %bb.1279:
	s_cmp_lt_i32 s0, 2
	s_cbranch_scc1 .LBB95_1283
; %bb.1280:
	s_cmp_lt_i32 s0, 3
	s_cbranch_scc1 .LBB95_1284
; %bb.1281:
	s_cmp_gt_i32 s0, 3
	s_cbranch_scc0 .LBB95_1285
; %bb.1282:
	s_wait_loadcnt 0x0
	global_load_b64 v[8:9], v[10:11], off
	s_mov_b32 s34, 0
	s_branch .LBB95_1286
.LBB95_1283:
	s_mov_b32 s34, -1
                                        ; implicit-def: $vgpr8
	s_branch .LBB95_1292
.LBB95_1284:
	s_mov_b32 s34, -1
                                        ; implicit-def: $vgpr8
	s_branch .LBB95_1289
.LBB95_1285:
	s_mov_b32 s34, -1
                                        ; implicit-def: $vgpr8
.LBB95_1286:
	s_delay_alu instid0(SALU_CYCLE_1)
	s_and_not1_b32 vcc_lo, exec_lo, s34
	s_cbranch_vccnz .LBB95_1288
; %bb.1287:
	s_wait_loadcnt 0x0
	global_load_b32 v8, v[10:11], off
.LBB95_1288:
	s_mov_b32 s34, 0
.LBB95_1289:
	s_delay_alu instid0(SALU_CYCLE_1)
	s_and_not1_b32 vcc_lo, exec_lo, s34
	s_cbranch_vccnz .LBB95_1291
; %bb.1290:
	s_wait_loadcnt 0x0
	global_load_u16 v8, v[10:11], off
.LBB95_1291:
	s_mov_b32 s34, 0
.LBB95_1292:
	s_delay_alu instid0(SALU_CYCLE_1)
	s_and_not1_b32 vcc_lo, exec_lo, s34
	s_cbranch_vccnz .LBB95_1298
; %bb.1293:
	s_cmp_gt_i32 s0, 0
	s_mov_b32 s0, 0
	s_cbranch_scc0 .LBB95_1295
; %bb.1294:
	s_wait_loadcnt 0x0
	global_load_i8 v8, v[10:11], off
	s_branch .LBB95_1296
.LBB95_1295:
	s_mov_b32 s0, -1
                                        ; implicit-def: $vgpr8
.LBB95_1296:
	s_delay_alu instid0(SALU_CYCLE_1)
	s_and_not1_b32 vcc_lo, exec_lo, s0
	s_cbranch_vccnz .LBB95_1298
; %bb.1297:
	s_wait_loadcnt 0x0
	global_load_u8 v8, v[10:11], off
.LBB95_1298:
	s_mov_b32 s35, -1
.LBB95_1299:
	s_delay_alu instid0(SALU_CYCLE_1)
	s_and_not1_b32 vcc_lo, exec_lo, s35
	s_cbranch_vccnz .LBB95_1307
; %bb.1300:
	v_mov_b32_e32 v7, 0
	s_and_b32 s0, 0xffff, s40
	s_delay_alu instid0(SALU_CYCLE_1) | instskip(NEXT) | instid1(VALU_DEP_1)
	s_cmp_lt_i32 s0, 11
	v_add_nc_u64_e32 v[6:7], s[10:11], v[6:7]
	s_cbranch_scc1 .LBB95_1308
; %bb.1301:
	s_cmp_gt_i32 s0, 25
	s_cbranch_scc0 .LBB95_1309
; %bb.1302:
	s_cmp_gt_i32 s0, 28
	s_cbranch_scc0 .LBB95_1310
	;; [unrolled: 3-line block ×4, first 2 shown]
; %bb.1305:
	s_cmp_eq_u32 s0, 46
	s_mov_b32 s58, 0
	s_cbranch_scc0 .LBB95_1315
; %bb.1306:
	global_load_b32 v1, v[6:7], off
	s_mov_b32 s35, -1
	s_mov_b32 s34, 0
	s_wait_loadcnt 0x0
	v_lshlrev_b32_e32 v1, 16, v1
	s_wait_xcnt 0x1
	s_delay_alu instid0(VALU_DEP_1)
	v_cvt_i32_f32_e32 v10, v1
	s_branch .LBB95_1317
.LBB95_1307:
	s_mov_b32 s35, 0
	s_mov_b32 s0, s53
	;; [unrolled: 1-line block ×3, first 2 shown]
	s_branch .LBB95_1552
.LBB95_1308:
	s_mov_b32 s58, -1
	s_mov_b32 s35, 0
	s_mov_b32 s34, s54
                                        ; implicit-def: $vgpr10
	s_branch .LBB95_1378
.LBB95_1309:
	s_mov_b32 s58, -1
	s_mov_b32 s35, 0
	s_mov_b32 s34, s54
                                        ; implicit-def: $vgpr10
	s_branch .LBB95_1344
.LBB95_1310:
	s_mov_b32 s58, -1
	s_mov_b32 s35, 0
	s_mov_b32 s34, s54
                                        ; implicit-def: $vgpr10
	s_branch .LBB95_1327
.LBB95_1311:
	s_mov_b32 s58, -1
	s_mov_b32 s35, 0
	s_mov_b32 s34, s54
                                        ; implicit-def: $vgpr10
	s_branch .LBB95_1322
.LBB95_1312:
	s_mov_b32 s58, -1
	s_mov_b32 s35, 0
	s_mov_b32 s34, s54
	s_branch .LBB95_1316
.LBB95_1313:
	s_and_not1_saveexec_b32 s55, s55
	s_cbranch_execz .LBB95_954
.LBB95_1314:
	v_add_f32_e64 v5, 0x42800000, |v4|
	s_and_not1_b32 s54, s54, exec_lo
	s_delay_alu instid0(VALU_DEP_1) | instskip(NEXT) | instid1(VALU_DEP_1)
	v_and_b32_e32 v5, 0xff, v5
	v_cmp_ne_u32_e32 vcc_lo, 0, v5
	s_and_b32 s57, vcc_lo, exec_lo
	s_delay_alu instid0(SALU_CYCLE_1)
	s_or_b32 s54, s54, s57
	s_or_b32 exec_lo, exec_lo, s55
	v_mov_b32_e32 v6, 0
	s_and_saveexec_b32 s55, s54
	s_cbranch_execnz .LBB95_955
	s_branch .LBB95_956
.LBB95_1315:
	s_mov_b32 s34, -1
	s_mov_b32 s35, 0
.LBB95_1316:
                                        ; implicit-def: $vgpr10
.LBB95_1317:
	s_and_b32 vcc_lo, exec_lo, s58
	s_cbranch_vccz .LBB95_1321
; %bb.1318:
	s_cmp_eq_u32 s0, 44
	s_cbranch_scc0 .LBB95_1320
; %bb.1319:
	global_load_u8 v1, v[6:7], off
	s_mov_b32 s34, 0
	s_mov_b32 s35, -1
	s_wait_loadcnt 0x0
	v_lshlrev_b32_e32 v3, 23, v1
	v_cmp_ne_u32_e32 vcc_lo, 0, v1
	s_delay_alu instid0(VALU_DEP_2) | instskip(SKIP_1) | instid1(VALU_DEP_1)
	v_cvt_i32_f32_e32 v3, v3
	s_wait_xcnt 0x1
	v_cndmask_b32_e32 v10, 0, v3, vcc_lo
	s_branch .LBB95_1321
.LBB95_1320:
	s_mov_b32 s34, -1
                                        ; implicit-def: $vgpr10
.LBB95_1321:
	s_mov_b32 s58, 0
.LBB95_1322:
	s_delay_alu instid0(SALU_CYCLE_1)
	s_and_b32 vcc_lo, exec_lo, s58
	s_cbranch_vccz .LBB95_1326
; %bb.1323:
	s_cmp_eq_u32 s0, 29
	s_cbranch_scc0 .LBB95_1325
; %bb.1324:
	global_load_b64 v[10:11], v[6:7], off
	s_mov_b32 s35, -1
	s_mov_b32 s34, 0
	s_branch .LBB95_1326
.LBB95_1325:
	s_mov_b32 s34, -1
                                        ; implicit-def: $vgpr10
.LBB95_1326:
	s_mov_b32 s58, 0
.LBB95_1327:
	s_delay_alu instid0(SALU_CYCLE_1)
	s_and_b32 vcc_lo, exec_lo, s58
	s_cbranch_vccz .LBB95_1343
; %bb.1328:
	s_cmp_lt_i32 s0, 27
	s_cbranch_scc1 .LBB95_1331
; %bb.1329:
	s_cmp_gt_i32 s0, 27
	s_cbranch_scc0 .LBB95_1332
; %bb.1330:
	s_wait_loadcnt 0x0
	global_load_b32 v10, v[6:7], off
	s_mov_b32 s35, 0
	s_branch .LBB95_1333
.LBB95_1331:
	s_mov_b32 s35, -1
                                        ; implicit-def: $vgpr10
	s_branch .LBB95_1336
.LBB95_1332:
	s_mov_b32 s35, -1
                                        ; implicit-def: $vgpr10
.LBB95_1333:
	s_delay_alu instid0(SALU_CYCLE_1)
	s_and_not1_b32 vcc_lo, exec_lo, s35
	s_cbranch_vccnz .LBB95_1335
; %bb.1334:
	s_wait_loadcnt 0x0
	global_load_u16 v10, v[6:7], off
.LBB95_1335:
	s_mov_b32 s35, 0
.LBB95_1336:
	s_delay_alu instid0(SALU_CYCLE_1)
	s_and_not1_b32 vcc_lo, exec_lo, s35
	s_cbranch_vccnz .LBB95_1342
; %bb.1337:
	global_load_u8 v1, v[6:7], off
	s_mov_b32 s58, 0
	s_mov_b32 s35, exec_lo
	s_wait_loadcnt 0x0
	v_cmpx_lt_i16_e32 0x7f, v1
	s_xor_b32 s35, exec_lo, s35
	s_cbranch_execz .LBB95_1354
; %bb.1338:
	v_cmp_ne_u16_e32 vcc_lo, 0x80, v1
	s_and_b32 s58, vcc_lo, exec_lo
	s_and_not1_saveexec_b32 s35, s35
	s_cbranch_execnz .LBB95_1355
.LBB95_1339:
	s_or_b32 exec_lo, exec_lo, s35
	v_mov_b32_e32 v10, 0
	s_and_saveexec_b32 s35, s58
	s_cbranch_execz .LBB95_1341
.LBB95_1340:
	v_and_b32_e32 v3, 0xffff, v1
	s_delay_alu instid0(VALU_DEP_1) | instskip(SKIP_1) | instid1(VALU_DEP_2)
	v_and_b32_e32 v5, 7, v3
	v_bfe_u32 v11, v3, 3, 4
	v_clz_i32_u32_e32 v9, v5
	s_delay_alu instid0(VALU_DEP_2) | instskip(NEXT) | instid1(VALU_DEP_2)
	v_cmp_eq_u32_e32 vcc_lo, 0, v11
	v_min_u32_e32 v9, 32, v9
	s_delay_alu instid0(VALU_DEP_1) | instskip(NEXT) | instid1(VALU_DEP_1)
	v_subrev_nc_u32_e32 v10, 28, v9
	v_dual_lshlrev_b32 v3, v10, v3 :: v_dual_sub_nc_u32 v9, 29, v9
	s_delay_alu instid0(VALU_DEP_1) | instskip(NEXT) | instid1(VALU_DEP_1)
	v_dual_lshlrev_b32 v1, 24, v1 :: v_dual_bitop2_b32 v3, 7, v3 bitop3:0x40
	v_dual_cndmask_b32 v3, v5, v3, vcc_lo :: v_dual_cndmask_b32 v9, v11, v9, vcc_lo
	s_delay_alu instid0(VALU_DEP_2) | instskip(NEXT) | instid1(VALU_DEP_2)
	v_and_b32_e32 v1, 0x80000000, v1
	v_lshlrev_b32_e32 v3, 20, v3
	s_delay_alu instid0(VALU_DEP_3) | instskip(NEXT) | instid1(VALU_DEP_1)
	v_lshl_add_u32 v5, v9, 23, 0x3b800000
	v_or3_b32 v1, v1, v5, v3
	s_delay_alu instid0(VALU_DEP_1)
	v_cvt_i32_f32_e32 v10, v1
.LBB95_1341:
	s_or_b32 exec_lo, exec_lo, s35
.LBB95_1342:
	s_mov_b32 s35, -1
.LBB95_1343:
	s_mov_b32 s58, 0
.LBB95_1344:
	s_delay_alu instid0(SALU_CYCLE_1)
	s_and_b32 vcc_lo, exec_lo, s58
	s_cbranch_vccz .LBB95_1377
; %bb.1345:
	s_cmp_gt_i32 s0, 22
	s_cbranch_scc0 .LBB95_1353
; %bb.1346:
	s_cmp_lt_i32 s0, 24
	s_cbranch_scc1 .LBB95_1356
; %bb.1347:
	s_cmp_gt_i32 s0, 24
	s_cbranch_scc0 .LBB95_1357
; %bb.1348:
	global_load_u8 v1, v[6:7], off
	s_mov_b32 s58, 0
	s_mov_b32 s35, exec_lo
	s_wait_loadcnt 0x0
	v_cmpx_lt_i16_e32 0x7f, v1
	s_xor_b32 s35, exec_lo, s35
	s_cbranch_execz .LBB95_1369
; %bb.1349:
	v_cmp_ne_u16_e32 vcc_lo, 0x80, v1
	s_and_b32 s58, vcc_lo, exec_lo
	s_and_not1_saveexec_b32 s35, s35
	s_cbranch_execnz .LBB95_1370
.LBB95_1350:
	s_or_b32 exec_lo, exec_lo, s35
	v_mov_b32_e32 v10, 0
	s_and_saveexec_b32 s35, s58
	s_cbranch_execz .LBB95_1352
.LBB95_1351:
	v_and_b32_e32 v3, 0xffff, v1
	s_delay_alu instid0(VALU_DEP_1) | instskip(SKIP_1) | instid1(VALU_DEP_2)
	v_and_b32_e32 v5, 3, v3
	v_bfe_u32 v11, v3, 2, 5
	v_clz_i32_u32_e32 v9, v5
	s_delay_alu instid0(VALU_DEP_2) | instskip(NEXT) | instid1(VALU_DEP_2)
	v_cmp_eq_u32_e32 vcc_lo, 0, v11
	v_min_u32_e32 v9, 32, v9
	s_delay_alu instid0(VALU_DEP_1) | instskip(NEXT) | instid1(VALU_DEP_1)
	v_subrev_nc_u32_e32 v10, 29, v9
	v_dual_lshlrev_b32 v3, v10, v3 :: v_dual_sub_nc_u32 v9, 30, v9
	s_delay_alu instid0(VALU_DEP_1) | instskip(NEXT) | instid1(VALU_DEP_1)
	v_dual_lshlrev_b32 v1, 24, v1 :: v_dual_bitop2_b32 v3, 3, v3 bitop3:0x40
	v_dual_cndmask_b32 v3, v5, v3, vcc_lo :: v_dual_cndmask_b32 v9, v11, v9, vcc_lo
	s_delay_alu instid0(VALU_DEP_2) | instskip(NEXT) | instid1(VALU_DEP_2)
	v_and_b32_e32 v1, 0x80000000, v1
	v_lshlrev_b32_e32 v3, 21, v3
	s_delay_alu instid0(VALU_DEP_3) | instskip(NEXT) | instid1(VALU_DEP_1)
	v_lshl_add_u32 v5, v9, 23, 0x37800000
	v_or3_b32 v1, v1, v5, v3
	s_delay_alu instid0(VALU_DEP_1)
	v_cvt_i32_f32_e32 v10, v1
.LBB95_1352:
	s_or_b32 exec_lo, exec_lo, s35
	s_mov_b32 s35, 0
	s_branch .LBB95_1358
.LBB95_1353:
	s_mov_b32 s58, -1
                                        ; implicit-def: $vgpr10
	s_branch .LBB95_1364
.LBB95_1354:
	s_and_not1_saveexec_b32 s35, s35
	s_cbranch_execz .LBB95_1339
.LBB95_1355:
	v_cmp_ne_u16_e32 vcc_lo, 0, v1
	s_and_not1_b32 s58, s58, exec_lo
	s_and_b32 s59, vcc_lo, exec_lo
	s_delay_alu instid0(SALU_CYCLE_1)
	s_or_b32 s58, s58, s59
	s_or_b32 exec_lo, exec_lo, s35
	v_mov_b32_e32 v10, 0
	s_and_saveexec_b32 s35, s58
	s_cbranch_execnz .LBB95_1340
	s_branch .LBB95_1341
.LBB95_1356:
	s_mov_b32 s35, -1
                                        ; implicit-def: $vgpr10
	s_branch .LBB95_1361
.LBB95_1357:
	s_mov_b32 s35, -1
                                        ; implicit-def: $vgpr10
.LBB95_1358:
	s_delay_alu instid0(SALU_CYCLE_1)
	s_and_b32 vcc_lo, exec_lo, s35
	s_cbranch_vccz .LBB95_1360
; %bb.1359:
	global_load_u8 v1, v[6:7], off
	s_wait_loadcnt 0x0
	v_lshlrev_b32_e32 v1, 24, v1
	s_delay_alu instid0(VALU_DEP_1) | instskip(NEXT) | instid1(VALU_DEP_1)
	v_and_b32_e32 v3, 0x7f000000, v1
	v_clz_i32_u32_e32 v5, v3
	v_cmp_ne_u32_e32 vcc_lo, 0, v3
	s_wait_xcnt 0x1
	v_add_nc_u32_e32 v10, 0x1000000, v3
	s_delay_alu instid0(VALU_DEP_3) | instskip(NEXT) | instid1(VALU_DEP_1)
	v_min_u32_e32 v5, 32, v5
	v_sub_nc_u32_e64 v5, v5, 4 clamp
	s_delay_alu instid0(VALU_DEP_1) | instskip(NEXT) | instid1(VALU_DEP_1)
	v_dual_lshlrev_b32 v9, v5, v3 :: v_dual_lshlrev_b32 v5, 23, v5
	v_lshrrev_b32_e32 v9, 4, v9
	s_delay_alu instid0(VALU_DEP_1) | instskip(NEXT) | instid1(VALU_DEP_1)
	v_dual_sub_nc_u32 v5, v9, v5 :: v_dual_ashrrev_i32 v9, 8, v10
	v_add_nc_u32_e32 v5, 0x3c000000, v5
	s_delay_alu instid0(VALU_DEP_1) | instskip(NEXT) | instid1(VALU_DEP_1)
	v_and_or_b32 v5, 0x7f800000, v9, v5
	v_cndmask_b32_e32 v3, 0, v5, vcc_lo
	s_delay_alu instid0(VALU_DEP_1) | instskip(NEXT) | instid1(VALU_DEP_1)
	v_and_or_b32 v1, 0x80000000, v1, v3
	v_cvt_i32_f32_e32 v10, v1
.LBB95_1360:
	s_mov_b32 s35, 0
.LBB95_1361:
	s_delay_alu instid0(SALU_CYCLE_1)
	s_and_not1_b32 vcc_lo, exec_lo, s35
	s_cbranch_vccnz .LBB95_1363
; %bb.1362:
	global_load_u8 v1, v[6:7], off
	s_wait_loadcnt 0x0
	v_lshlrev_b32_e32 v3, 25, v1
	v_lshlrev_b16 v1, 8, v1
	s_delay_alu instid0(VALU_DEP_2) | instskip(NEXT) | instid1(VALU_DEP_2)
	v_cmp_gt_u32_e32 vcc_lo, 0x8000000, v3
	v_and_or_b32 v9, 0x7f00, v1, 0.5
	v_lshrrev_b32_e32 v5, 4, v3
	v_bfe_i32 v1, v1, 0, 16
	s_delay_alu instid0(VALU_DEP_3) | instskip(NEXT) | instid1(VALU_DEP_3)
	v_add_f32_e32 v9, -0.5, v9
	v_or_b32_e32 v5, 0x70000000, v5
	s_delay_alu instid0(VALU_DEP_1) | instskip(NEXT) | instid1(VALU_DEP_1)
	v_mul_f32_e32 v5, 0x7800000, v5
	v_cndmask_b32_e32 v3, v5, v9, vcc_lo
	s_delay_alu instid0(VALU_DEP_1) | instskip(SKIP_1) | instid1(VALU_DEP_1)
	v_and_or_b32 v1, 0x80000000, v1, v3
	s_wait_xcnt 0x1
	v_cvt_i32_f32_e32 v10, v1
.LBB95_1363:
	s_mov_b32 s58, 0
	s_mov_b32 s35, -1
.LBB95_1364:
	s_and_not1_b32 vcc_lo, exec_lo, s58
	s_cbranch_vccnz .LBB95_1377
; %bb.1365:
	s_cmp_gt_i32 s0, 14
	s_cbranch_scc0 .LBB95_1368
; %bb.1366:
	s_cmp_eq_u32 s0, 15
	s_cbranch_scc0 .LBB95_1371
; %bb.1367:
	global_load_u16 v1, v[6:7], off
	s_mov_b32 s35, -1
	s_mov_b32 s34, 0
	s_wait_loadcnt 0x0
	v_lshlrev_b32_e32 v1, 16, v1
	s_wait_xcnt 0x1
	s_delay_alu instid0(VALU_DEP_1)
	v_cvt_i32_f32_e32 v10, v1
	s_branch .LBB95_1372
.LBB95_1368:
	s_mov_b32 s58, -1
                                        ; implicit-def: $vgpr10
	s_branch .LBB95_1373
.LBB95_1369:
	s_and_not1_saveexec_b32 s35, s35
	s_cbranch_execz .LBB95_1350
.LBB95_1370:
	v_cmp_ne_u16_e32 vcc_lo, 0, v1
	s_and_not1_b32 s58, s58, exec_lo
	s_and_b32 s59, vcc_lo, exec_lo
	s_delay_alu instid0(SALU_CYCLE_1)
	s_or_b32 s58, s58, s59
	s_or_b32 exec_lo, exec_lo, s35
	v_mov_b32_e32 v10, 0
	s_and_saveexec_b32 s35, s58
	s_cbranch_execnz .LBB95_1351
	s_branch .LBB95_1352
.LBB95_1371:
	s_mov_b32 s34, -1
                                        ; implicit-def: $vgpr10
.LBB95_1372:
	s_mov_b32 s58, 0
.LBB95_1373:
	s_delay_alu instid0(SALU_CYCLE_1)
	s_and_b32 vcc_lo, exec_lo, s58
	s_cbranch_vccz .LBB95_1377
; %bb.1374:
	s_cmp_eq_u32 s0, 11
	s_cbranch_scc0 .LBB95_1376
; %bb.1375:
	global_load_u8 v1, v[6:7], off
	s_mov_b32 s34, 0
	s_mov_b32 s35, -1
	s_wait_loadcnt 0x0
	v_cmp_ne_u16_e32 vcc_lo, 0, v1
	s_wait_xcnt 0x1
	v_cndmask_b32_e64 v10, 0, 1, vcc_lo
	s_branch .LBB95_1377
.LBB95_1376:
	s_mov_b32 s34, -1
                                        ; implicit-def: $vgpr10
.LBB95_1377:
	s_mov_b32 s58, 0
.LBB95_1378:
	s_delay_alu instid0(SALU_CYCLE_1)
	s_and_b32 vcc_lo, exec_lo, s58
	s_cbranch_vccz .LBB95_1427
; %bb.1379:
	s_cmp_lt_i32 s0, 5
	s_cbranch_scc1 .LBB95_1384
; %bb.1380:
	s_cmp_lt_i32 s0, 8
	s_cbranch_scc1 .LBB95_1385
	;; [unrolled: 3-line block ×3, first 2 shown]
; %bb.1382:
	s_cmp_gt_i32 s0, 9
	s_cbranch_scc0 .LBB95_1387
; %bb.1383:
	s_wait_loadcnt 0x0
	global_load_b64 v[10:11], v[6:7], off
	s_mov_b32 s35, 0
	s_wait_loadcnt 0x0
	v_cvt_i32_f64_e32 v10, v[10:11]
	s_branch .LBB95_1388
.LBB95_1384:
	s_mov_b32 s35, -1
                                        ; implicit-def: $vgpr10
	s_branch .LBB95_1406
.LBB95_1385:
	s_mov_b32 s35, -1
                                        ; implicit-def: $vgpr10
	s_branch .LBB95_1394
.LBB95_1386:
	s_mov_b32 s35, -1
                                        ; implicit-def: $vgpr10
	s_branch .LBB95_1391
.LBB95_1387:
	s_mov_b32 s35, -1
                                        ; implicit-def: $vgpr10
.LBB95_1388:
	s_delay_alu instid0(SALU_CYCLE_1)
	s_and_not1_b32 vcc_lo, exec_lo, s35
	s_cbranch_vccnz .LBB95_1390
; %bb.1389:
	global_load_b32 v1, v[6:7], off
	s_wait_loadcnt 0x0
	s_wait_xcnt 0x1
	v_cvt_i32_f32_e32 v10, v1
.LBB95_1390:
	s_mov_b32 s35, 0
.LBB95_1391:
	s_delay_alu instid0(SALU_CYCLE_1)
	s_and_not1_b32 vcc_lo, exec_lo, s35
	s_cbranch_vccnz .LBB95_1393
; %bb.1392:
	global_load_b32 v1, v[6:7], off
	s_wait_loadcnt 0x0
	s_wait_xcnt 0x1
	v_cvt_i16_f16_e32 v10, v1
.LBB95_1393:
	s_mov_b32 s35, 0
.LBB95_1394:
	s_delay_alu instid0(SALU_CYCLE_1)
	s_and_not1_b32 vcc_lo, exec_lo, s35
	s_cbranch_vccnz .LBB95_1405
; %bb.1395:
	s_cmp_lt_i32 s0, 6
	s_cbranch_scc1 .LBB95_1398
; %bb.1396:
	s_cmp_gt_i32 s0, 6
	s_cbranch_scc0 .LBB95_1399
; %bb.1397:
	s_wait_loadcnt 0x0
	global_load_b64 v[10:11], v[6:7], off
	s_mov_b32 s35, 0
	s_wait_loadcnt 0x0
	v_cvt_i32_f64_e32 v10, v[10:11]
	s_branch .LBB95_1400
.LBB95_1398:
	s_mov_b32 s35, -1
                                        ; implicit-def: $vgpr10
	s_branch .LBB95_1403
.LBB95_1399:
	s_mov_b32 s35, -1
                                        ; implicit-def: $vgpr10
.LBB95_1400:
	s_delay_alu instid0(SALU_CYCLE_1)
	s_and_not1_b32 vcc_lo, exec_lo, s35
	s_cbranch_vccnz .LBB95_1402
; %bb.1401:
	global_load_b32 v1, v[6:7], off
	s_wait_loadcnt 0x0
	s_wait_xcnt 0x1
	v_cvt_i32_f32_e32 v10, v1
.LBB95_1402:
	s_mov_b32 s35, 0
.LBB95_1403:
	s_delay_alu instid0(SALU_CYCLE_1)
	s_and_not1_b32 vcc_lo, exec_lo, s35
	s_cbranch_vccnz .LBB95_1405
; %bb.1404:
	global_load_u16 v1, v[6:7], off
	s_wait_loadcnt 0x0
	s_wait_xcnt 0x1
	v_cvt_i16_f16_e32 v10, v1
.LBB95_1405:
	s_mov_b32 s35, 0
.LBB95_1406:
	s_delay_alu instid0(SALU_CYCLE_1)
	s_and_not1_b32 vcc_lo, exec_lo, s35
	s_cbranch_vccnz .LBB95_1426
; %bb.1407:
	s_cmp_lt_i32 s0, 2
	s_cbranch_scc1 .LBB95_1411
; %bb.1408:
	s_cmp_lt_i32 s0, 3
	s_cbranch_scc1 .LBB95_1412
; %bb.1409:
	s_cmp_gt_i32 s0, 3
	s_cbranch_scc0 .LBB95_1413
; %bb.1410:
	s_wait_loadcnt 0x0
	global_load_b64 v[10:11], v[6:7], off
	s_mov_b32 s35, 0
	s_branch .LBB95_1414
.LBB95_1411:
	s_mov_b32 s35, -1
                                        ; implicit-def: $vgpr10
	s_branch .LBB95_1420
.LBB95_1412:
	s_mov_b32 s35, -1
                                        ; implicit-def: $vgpr10
	s_branch .LBB95_1417
.LBB95_1413:
	s_mov_b32 s35, -1
                                        ; implicit-def: $vgpr10
.LBB95_1414:
	s_delay_alu instid0(SALU_CYCLE_1)
	s_and_not1_b32 vcc_lo, exec_lo, s35
	s_cbranch_vccnz .LBB95_1416
; %bb.1415:
	s_wait_loadcnt 0x0
	global_load_b32 v10, v[6:7], off
.LBB95_1416:
	s_mov_b32 s35, 0
.LBB95_1417:
	s_delay_alu instid0(SALU_CYCLE_1)
	s_and_not1_b32 vcc_lo, exec_lo, s35
	s_cbranch_vccnz .LBB95_1419
; %bb.1418:
	s_wait_loadcnt 0x0
	global_load_u16 v10, v[6:7], off
.LBB95_1419:
	s_mov_b32 s35, 0
.LBB95_1420:
	s_delay_alu instid0(SALU_CYCLE_1)
	s_and_not1_b32 vcc_lo, exec_lo, s35
	s_cbranch_vccnz .LBB95_1426
; %bb.1421:
	s_cmp_gt_i32 s0, 0
	s_mov_b32 s0, 0
	s_cbranch_scc0 .LBB95_1423
; %bb.1422:
	s_wait_loadcnt 0x0
	global_load_i8 v10, v[6:7], off
	s_branch .LBB95_1424
.LBB95_1423:
	s_mov_b32 s0, -1
                                        ; implicit-def: $vgpr10
.LBB95_1424:
	s_delay_alu instid0(SALU_CYCLE_1)
	s_and_not1_b32 vcc_lo, exec_lo, s0
	s_cbranch_vccnz .LBB95_1426
; %bb.1425:
	s_wait_loadcnt 0x0
	global_load_u8 v10, v[6:7], off
.LBB95_1426:
	s_mov_b32 s35, -1
.LBB95_1427:
	s_delay_alu instid0(SALU_CYCLE_1)
	s_and_not1_b32 vcc_lo, exec_lo, s35
	s_cbranch_vccnz .LBB95_1435
; %bb.1428:
	v_mov_b32_e32 v3, 0
	s_wait_loadcnt 0x0
	v_mul_lo_u16 v1, v4, s24
	v_mul_lo_u16 v4, v8, s21
	s_and_b32 s35, s25, 0xff
	s_delay_alu instid0(SALU_CYCLE_1) | instskip(SKIP_1) | instid1(VALU_DEP_2)
	s_cmp_lt_i32 s35, 11
	v_add_nc_u64_e32 v[2:3], s[4:5], v[2:3]
	v_mad_u16 v1, v4, v10, v1
	s_cbranch_scc1 .LBB95_1436
; %bb.1429:
	s_and_b32 s58, 0xffff, s35
	s_delay_alu instid0(SALU_CYCLE_1)
	s_cmp_gt_i32 s58, 25
	s_cbranch_scc0 .LBB95_1437
; %bb.1430:
	s_cmp_gt_i32 s58, 28
	s_cbranch_scc0 .LBB95_1438
; %bb.1431:
	;; [unrolled: 3-line block ×4, first 2 shown]
	s_mov_b32 s60, 0
	s_mov_b32 s0, -1
	s_cmp_eq_u32 s58, 46
	s_mov_b32 s59, 0
	s_cbranch_scc0 .LBB95_1441
; %bb.1434:
	v_bfe_i32 v4, v1, 0, 16
	s_mov_b32 s59, -1
	s_mov_b32 s0, 0
	s_delay_alu instid0(VALU_DEP_1) | instskip(NEXT) | instid1(VALU_DEP_1)
	v_cvt_f32_i32_e32 v4, v4
	v_bfe_u32 v5, v4, 16, 1
	s_delay_alu instid0(VALU_DEP_1) | instskip(NEXT) | instid1(VALU_DEP_1)
	v_add3_u32 v4, v4, v5, 0x7fff
	v_lshrrev_b32_e32 v4, 16, v4
	global_store_b32 v[2:3], v4, off
	s_branch .LBB95_1441
.LBB95_1435:
	s_mov_b32 s35, 0
	s_mov_b32 s0, s53
	s_branch .LBB95_1552
.LBB95_1436:
	s_mov_b32 s58, -1
	s_mov_b32 s59, 0
	s_mov_b32 s0, s53
	s_branch .LBB95_1510
.LBB95_1437:
	s_mov_b32 s60, -1
	s_mov_b32 s59, 0
	s_mov_b32 s0, s53
	s_branch .LBB95_1468
.LBB95_1438:
	s_mov_b32 s60, -1
	s_mov_b32 s59, 0
	s_mov_b32 s0, s53
	s_branch .LBB95_1451
.LBB95_1439:
	s_mov_b32 s60, -1
	s_mov_b32 s59, 0
	s_mov_b32 s0, s53
	s_branch .LBB95_1447
.LBB95_1440:
	s_mov_b32 s60, -1
	s_mov_b32 s59, 0
	s_mov_b32 s0, s53
.LBB95_1441:
	s_and_b32 vcc_lo, exec_lo, s60
	s_cbranch_vccz .LBB95_1446
; %bb.1442:
	s_cmp_eq_u32 s58, 44
	s_mov_b32 s0, -1
	s_cbranch_scc0 .LBB95_1446
; %bb.1443:
	s_wait_xcnt 0x0
	v_bfe_i32 v4, v1, 0, 16
	v_mov_b32_e32 v5, 0xff
	s_mov_b32 s59, exec_lo
	s_delay_alu instid0(VALU_DEP_2) | instskip(NEXT) | instid1(VALU_DEP_1)
	v_cvt_f32_i32_e32 v4, v4
	v_bfe_u32 v6, v4, 23, 8
	s_delay_alu instid0(VALU_DEP_1)
	v_cmpx_ne_u32_e32 0xff, v6
	s_cbranch_execz .LBB95_1445
; %bb.1444:
	v_and_b32_e32 v5, 0x400000, v4
	v_and_or_b32 v6, 0x3fffff, v4, v6
	v_lshrrev_b32_e32 v4, 23, v4
	s_delay_alu instid0(VALU_DEP_3) | instskip(NEXT) | instid1(VALU_DEP_3)
	v_cmp_ne_u32_e32 vcc_lo, 0, v5
	v_cmp_ne_u32_e64 s0, 0, v6
	s_and_b32 s0, vcc_lo, s0
	s_delay_alu instid0(SALU_CYCLE_1) | instskip(NEXT) | instid1(VALU_DEP_1)
	v_cndmask_b32_e64 v5, 0, 1, s0
	v_add_nc_u32_e32 v5, v4, v5
.LBB95_1445:
	s_or_b32 exec_lo, exec_lo, s59
	s_mov_b32 s59, -1
	s_mov_b32 s0, 0
	global_store_b8 v[2:3], v5, off
.LBB95_1446:
	s_mov_b32 s60, 0
.LBB95_1447:
	s_delay_alu instid0(SALU_CYCLE_1)
	s_and_b32 vcc_lo, exec_lo, s60
	s_cbranch_vccz .LBB95_1450
; %bb.1448:
	s_cmp_eq_u32 s58, 29
	s_mov_b32 s0, -1
	s_cbranch_scc0 .LBB95_1450
; %bb.1449:
	s_wait_xcnt 0x0
	v_bfe_i32 v4, v1, 0, 16
	s_mov_b32 s0, 0
	s_mov_b32 s59, -1
	s_mov_b32 s60, 0
	s_delay_alu instid0(VALU_DEP_1)
	v_ashrrev_i32_e32 v5, 31, v4
	global_store_b64 v[2:3], v[4:5], off
	s_branch .LBB95_1451
.LBB95_1450:
	s_mov_b32 s60, 0
.LBB95_1451:
	s_delay_alu instid0(SALU_CYCLE_1)
	s_and_b32 vcc_lo, exec_lo, s60
	s_cbranch_vccz .LBB95_1467
; %bb.1452:
	s_cmp_lt_i32 s58, 27
	s_mov_b32 s59, -1
	s_cbranch_scc1 .LBB95_1458
; %bb.1453:
	s_cmp_gt_i32 s58, 27
	s_cbranch_scc0 .LBB95_1455
; %bb.1454:
	s_wait_xcnt 0x0
	v_bfe_i32 v4, v1, 0, 16
	s_mov_b32 s59, 0
	global_store_b32 v[2:3], v4, off
.LBB95_1455:
	s_and_not1_b32 vcc_lo, exec_lo, s59
	s_cbranch_vccnz .LBB95_1457
; %bb.1456:
	global_store_b16 v[2:3], v1, off
.LBB95_1457:
	s_mov_b32 s59, 0
.LBB95_1458:
	s_delay_alu instid0(SALU_CYCLE_1)
	s_and_not1_b32 vcc_lo, exec_lo, s59
	s_cbranch_vccnz .LBB95_1466
; %bb.1459:
	s_wait_xcnt 0x0
	v_bfe_i32 v4, v1, 0, 16
	v_mov_b32_e32 v6, 0x80
	s_mov_b32 s59, exec_lo
	s_delay_alu instid0(VALU_DEP_2) | instskip(NEXT) | instid1(VALU_DEP_1)
	v_cvt_f32_i32_e32 v4, v4
	v_and_b32_e32 v5, 0x7fffffff, v4
	s_delay_alu instid0(VALU_DEP_1)
	v_cmpx_gt_u32_e32 0x43800000, v5
	s_cbranch_execz .LBB95_1465
; %bb.1460:
	v_cmp_lt_u32_e32 vcc_lo, 0x3bffffff, v5
	s_mov_b32 s60, 0
                                        ; implicit-def: $vgpr5
	s_and_saveexec_b32 s61, vcc_lo
	s_delay_alu instid0(SALU_CYCLE_1)
	s_xor_b32 s61, exec_lo, s61
	s_cbranch_execz .LBB95_2745
; %bb.1461:
	v_bfe_u32 v5, v4, 20, 1
	s_mov_b32 s60, exec_lo
	s_delay_alu instid0(VALU_DEP_1) | instskip(NEXT) | instid1(VALU_DEP_1)
	v_add3_u32 v5, v4, v5, 0x487ffff
	v_lshrrev_b32_e32 v5, 20, v5
	s_and_not1_saveexec_b32 s61, s61
	s_cbranch_execnz .LBB95_2746
.LBB95_1462:
	s_or_b32 exec_lo, exec_lo, s61
	v_mov_b32_e32 v6, 0
	s_and_saveexec_b32 s61, s60
.LBB95_1463:
	v_lshrrev_b32_e32 v4, 24, v4
	s_delay_alu instid0(VALU_DEP_1)
	v_and_or_b32 v6, 0x80, v4, v5
.LBB95_1464:
	s_or_b32 exec_lo, exec_lo, s61
.LBB95_1465:
	s_delay_alu instid0(SALU_CYCLE_1)
	s_or_b32 exec_lo, exec_lo, s59
	global_store_b8 v[2:3], v6, off
.LBB95_1466:
	s_mov_b32 s59, -1
.LBB95_1467:
	s_mov_b32 s60, 0
.LBB95_1468:
	s_delay_alu instid0(SALU_CYCLE_1)
	s_and_b32 vcc_lo, exec_lo, s60
	s_cbranch_vccz .LBB95_1509
; %bb.1469:
	s_cmp_gt_i32 s58, 22
	s_mov_b32 s60, -1
	s_cbranch_scc0 .LBB95_1501
; %bb.1470:
	s_cmp_lt_i32 s58, 24
	s_mov_b32 s59, -1
	s_cbranch_scc1 .LBB95_1490
; %bb.1471:
	s_cmp_gt_i32 s58, 24
	s_cbranch_scc0 .LBB95_1479
; %bb.1472:
	s_wait_xcnt 0x0
	v_bfe_i32 v4, v1, 0, 16
	v_mov_b32_e32 v6, 0x80
	s_mov_b32 s59, exec_lo
	s_delay_alu instid0(VALU_DEP_2) | instskip(NEXT) | instid1(VALU_DEP_1)
	v_cvt_f32_i32_e32 v4, v4
	v_and_b32_e32 v5, 0x7fffffff, v4
	s_delay_alu instid0(VALU_DEP_1)
	v_cmpx_gt_u32_e32 0x47800000, v5
	s_cbranch_execz .LBB95_1478
; %bb.1473:
	v_cmp_lt_u32_e32 vcc_lo, 0x37ffffff, v5
	s_mov_b32 s60, 0
                                        ; implicit-def: $vgpr5
	s_and_saveexec_b32 s61, vcc_lo
	s_delay_alu instid0(SALU_CYCLE_1)
	s_xor_b32 s61, exec_lo, s61
	s_cbranch_execz .LBB95_2874
; %bb.1474:
	v_bfe_u32 v5, v4, 21, 1
	s_mov_b32 s60, exec_lo
	s_delay_alu instid0(VALU_DEP_1) | instskip(NEXT) | instid1(VALU_DEP_1)
	v_add3_u32 v5, v4, v5, 0x88fffff
	v_lshrrev_b32_e32 v5, 21, v5
	s_and_not1_saveexec_b32 s61, s61
	s_cbranch_execnz .LBB95_2875
.LBB95_1475:
	s_or_b32 exec_lo, exec_lo, s61
	v_mov_b32_e32 v6, 0
	s_and_saveexec_b32 s61, s60
.LBB95_1476:
	v_lshrrev_b32_e32 v4, 24, v4
	s_delay_alu instid0(VALU_DEP_1)
	v_and_or_b32 v6, 0x80, v4, v5
.LBB95_1477:
	s_or_b32 exec_lo, exec_lo, s61
.LBB95_1478:
	s_delay_alu instid0(SALU_CYCLE_1)
	s_or_b32 exec_lo, exec_lo, s59
	s_mov_b32 s59, 0
	global_store_b8 v[2:3], v6, off
.LBB95_1479:
	s_and_b32 vcc_lo, exec_lo, s59
	s_cbranch_vccz .LBB95_1489
; %bb.1480:
	s_wait_xcnt 0x0
	v_bfe_i32 v4, v1, 0, 16
	s_mov_b32 s59, exec_lo
                                        ; implicit-def: $vgpr5
	s_delay_alu instid0(VALU_DEP_1) | instskip(NEXT) | instid1(VALU_DEP_1)
	v_cvt_f32_i32_e32 v4, v4
	v_and_b32_e32 v6, 0x7fffffff, v4
	s_delay_alu instid0(VALU_DEP_1)
	v_cmpx_gt_u32_e32 0x43f00000, v6
	s_xor_b32 s59, exec_lo, s59
	s_cbranch_execz .LBB95_1486
; %bb.1481:
	s_mov_b32 s60, exec_lo
                                        ; implicit-def: $vgpr5
	v_cmpx_lt_u32_e32 0x3c7fffff, v6
	s_xor_b32 s60, exec_lo, s60
; %bb.1482:
	v_bfe_u32 v5, v4, 20, 1
	s_delay_alu instid0(VALU_DEP_1) | instskip(NEXT) | instid1(VALU_DEP_1)
	v_add3_u32 v5, v4, v5, 0x407ffff
	v_and_b32_e32 v6, 0xff00000, v5
	v_lshrrev_b32_e32 v5, 20, v5
	s_delay_alu instid0(VALU_DEP_2) | instskip(NEXT) | instid1(VALU_DEP_2)
	v_cmp_ne_u32_e32 vcc_lo, 0x7f00000, v6
	v_cndmask_b32_e32 v5, 0x7e, v5, vcc_lo
; %bb.1483:
	s_and_not1_saveexec_b32 s60, s60
; %bb.1484:
	v_add_f32_e64 v5, 0x46800000, |v4|
; %bb.1485:
	s_or_b32 exec_lo, exec_lo, s60
                                        ; implicit-def: $vgpr6
.LBB95_1486:
	s_and_not1_saveexec_b32 s59, s59
; %bb.1487:
	v_mov_b32_e32 v5, 0x7f
	v_cmp_lt_u32_e32 vcc_lo, 0x7f800000, v6
	s_delay_alu instid0(VALU_DEP_2)
	v_cndmask_b32_e32 v5, 0x7e, v5, vcc_lo
; %bb.1488:
	s_or_b32 exec_lo, exec_lo, s59
	v_lshrrev_b32_e32 v4, 24, v4
	s_delay_alu instid0(VALU_DEP_1)
	v_and_or_b32 v4, 0x80, v4, v5
	global_store_b8 v[2:3], v4, off
.LBB95_1489:
	s_mov_b32 s59, 0
.LBB95_1490:
	s_delay_alu instid0(SALU_CYCLE_1)
	s_and_not1_b32 vcc_lo, exec_lo, s59
	s_cbranch_vccnz .LBB95_1500
; %bb.1491:
	s_wait_xcnt 0x0
	v_bfe_i32 v4, v1, 0, 16
	s_mov_b32 s59, exec_lo
                                        ; implicit-def: $vgpr5
	s_delay_alu instid0(VALU_DEP_1) | instskip(NEXT) | instid1(VALU_DEP_1)
	v_cvt_f32_i32_e32 v4, v4
	v_and_b32_e32 v6, 0x7fffffff, v4
	s_delay_alu instid0(VALU_DEP_1)
	v_cmpx_gt_u32_e32 0x47800000, v6
	s_xor_b32 s59, exec_lo, s59
	s_cbranch_execz .LBB95_1497
; %bb.1492:
	s_mov_b32 s60, exec_lo
                                        ; implicit-def: $vgpr5
	v_cmpx_lt_u32_e32 0x387fffff, v6
	s_xor_b32 s60, exec_lo, s60
; %bb.1493:
	v_bfe_u32 v5, v4, 21, 1
	s_delay_alu instid0(VALU_DEP_1) | instskip(NEXT) | instid1(VALU_DEP_1)
	v_add3_u32 v5, v4, v5, 0x80fffff
	v_lshrrev_b32_e32 v5, 21, v5
; %bb.1494:
	s_and_not1_saveexec_b32 s60, s60
; %bb.1495:
	v_add_f32_e64 v5, 0x43000000, |v4|
; %bb.1496:
	s_or_b32 exec_lo, exec_lo, s60
                                        ; implicit-def: $vgpr6
.LBB95_1497:
	s_and_not1_saveexec_b32 s59, s59
; %bb.1498:
	v_mov_b32_e32 v5, 0x7f
	v_cmp_lt_u32_e32 vcc_lo, 0x7f800000, v6
	s_delay_alu instid0(VALU_DEP_2)
	v_cndmask_b32_e32 v5, 0x7c, v5, vcc_lo
; %bb.1499:
	s_or_b32 exec_lo, exec_lo, s59
	v_lshrrev_b32_e32 v4, 24, v4
	s_delay_alu instid0(VALU_DEP_1)
	v_and_or_b32 v4, 0x80, v4, v5
	global_store_b8 v[2:3], v4, off
.LBB95_1500:
	s_mov_b32 s60, 0
	s_mov_b32 s59, -1
.LBB95_1501:
	s_and_not1_b32 vcc_lo, exec_lo, s60
	s_cbranch_vccnz .LBB95_1509
; %bb.1502:
	s_cmp_gt_i32 s58, 14
	s_mov_b32 s60, -1
	s_cbranch_scc0 .LBB95_1506
; %bb.1503:
	s_cmp_eq_u32 s58, 15
	s_mov_b32 s0, -1
	s_cbranch_scc0 .LBB95_1505
; %bb.1504:
	s_wait_xcnt 0x0
	v_bfe_i32 v4, v1, 0, 16
	s_mov_b32 s59, -1
	s_mov_b32 s0, 0
	s_delay_alu instid0(VALU_DEP_1) | instskip(NEXT) | instid1(VALU_DEP_1)
	v_cvt_f32_i32_e32 v4, v4
	v_bfe_u32 v5, v4, 16, 1
	s_delay_alu instid0(VALU_DEP_1)
	v_add3_u32 v4, v4, v5, 0x7fff
	global_store_d16_hi_b16 v[2:3], v4, off
.LBB95_1505:
	s_mov_b32 s60, 0
.LBB95_1506:
	s_delay_alu instid0(SALU_CYCLE_1)
	s_and_b32 vcc_lo, exec_lo, s60
	s_cbranch_vccz .LBB95_1509
; %bb.1507:
	s_cmp_eq_u32 s58, 11
	s_mov_b32 s0, -1
	s_cbranch_scc0 .LBB95_1509
; %bb.1508:
	v_cmp_ne_u16_e32 vcc_lo, 0, v1
	s_mov_b32 s0, 0
	s_mov_b32 s59, -1
	s_wait_xcnt 0x0
	v_cndmask_b32_e64 v4, 0, 1, vcc_lo
	global_store_b8 v[2:3], v4, off
.LBB95_1509:
	s_mov_b32 s58, 0
.LBB95_1510:
	s_delay_alu instid0(SALU_CYCLE_1)
	s_and_b32 vcc_lo, exec_lo, s58
	s_cbranch_vccz .LBB95_1549
; %bb.1511:
	s_and_b32 s35, 0xffff, s35
	s_mov_b32 s58, -1
	s_cmp_lt_i32 s35, 5
	s_cbranch_scc1 .LBB95_1532
; %bb.1512:
	s_cmp_lt_i32 s35, 8
	s_cbranch_scc1 .LBB95_1522
; %bb.1513:
	;; [unrolled: 3-line block ×3, first 2 shown]
	s_cmp_gt_i32 s35, 9
	s_cbranch_scc0 .LBB95_1516
; %bb.1515:
	s_wait_xcnt 0x0
	v_bfe_i32 v4, v1, 0, 16
	v_mov_b32_e32 v6, 0
	s_mov_b32 s58, 0
	s_delay_alu instid0(VALU_DEP_2) | instskip(NEXT) | instid1(VALU_DEP_2)
	v_cvt_f64_i32_e32 v[4:5], v4
	v_mov_b32_e32 v7, v6
	global_store_b128 v[2:3], v[4:7], off
.LBB95_1516:
	s_and_not1_b32 vcc_lo, exec_lo, s58
	s_cbranch_vccnz .LBB95_1518
; %bb.1517:
	s_wait_xcnt 0x0
	v_bfe_i32 v4, v1, 0, 16
	v_mov_b32_e32 v5, 0
	s_delay_alu instid0(VALU_DEP_2)
	v_cvt_f32_i32_e32 v4, v4
	global_store_b64 v[2:3], v[4:5], off
.LBB95_1518:
	s_mov_b32 s58, 0
.LBB95_1519:
	s_delay_alu instid0(SALU_CYCLE_1)
	s_and_not1_b32 vcc_lo, exec_lo, s58
	s_cbranch_vccnz .LBB95_1521
; %bb.1520:
	s_wait_xcnt 0x0
	v_cvt_f16_i16_e32 v4, v1
	s_delay_alu instid0(VALU_DEP_1)
	v_and_b32_e32 v4, 0xffff, v4
	global_store_b32 v[2:3], v4, off
.LBB95_1521:
	s_mov_b32 s58, 0
.LBB95_1522:
	s_delay_alu instid0(SALU_CYCLE_1)
	s_and_not1_b32 vcc_lo, exec_lo, s58
	s_cbranch_vccnz .LBB95_1531
; %bb.1523:
	s_cmp_lt_i32 s35, 6
	s_mov_b32 s58, -1
	s_cbranch_scc1 .LBB95_1529
; %bb.1524:
	s_cmp_gt_i32 s35, 6
	s_cbranch_scc0 .LBB95_1526
; %bb.1525:
	s_wait_xcnt 0x0
	v_bfe_i32 v4, v1, 0, 16
	s_mov_b32 s58, 0
	s_delay_alu instid0(VALU_DEP_1)
	v_cvt_f64_i32_e32 v[4:5], v4
	global_store_b64 v[2:3], v[4:5], off
.LBB95_1526:
	s_and_not1_b32 vcc_lo, exec_lo, s58
	s_cbranch_vccnz .LBB95_1528
; %bb.1527:
	s_wait_xcnt 0x0
	v_bfe_i32 v4, v1, 0, 16
	s_delay_alu instid0(VALU_DEP_1)
	v_cvt_f32_i32_e32 v4, v4
	global_store_b32 v[2:3], v4, off
.LBB95_1528:
	s_mov_b32 s58, 0
.LBB95_1529:
	s_delay_alu instid0(SALU_CYCLE_1)
	s_and_not1_b32 vcc_lo, exec_lo, s58
	s_cbranch_vccnz .LBB95_1531
; %bb.1530:
	s_wait_xcnt 0x0
	v_cvt_f16_i16_e32 v4, v1
	global_store_b16 v[2:3], v4, off
.LBB95_1531:
	s_mov_b32 s58, 0
.LBB95_1532:
	s_delay_alu instid0(SALU_CYCLE_1)
	s_and_not1_b32 vcc_lo, exec_lo, s58
	s_cbranch_vccnz .LBB95_1548
; %bb.1533:
	s_cmp_lt_i32 s35, 2
	s_mov_b32 s58, -1
	s_cbranch_scc1 .LBB95_1543
; %bb.1534:
	s_cmp_lt_i32 s35, 3
	s_cbranch_scc1 .LBB95_1540
; %bb.1535:
	s_cmp_gt_i32 s35, 3
	s_cbranch_scc0 .LBB95_1537
; %bb.1536:
	s_wait_xcnt 0x0
	v_bfe_i32 v4, v1, 0, 16
	s_mov_b32 s58, 0
	s_delay_alu instid0(VALU_DEP_1)
	v_ashrrev_i32_e32 v5, 31, v4
	global_store_b64 v[2:3], v[4:5], off
.LBB95_1537:
	s_and_not1_b32 vcc_lo, exec_lo, s58
	s_cbranch_vccnz .LBB95_1539
; %bb.1538:
	s_wait_xcnt 0x0
	v_bfe_i32 v4, v1, 0, 16
	global_store_b32 v[2:3], v4, off
.LBB95_1539:
	s_mov_b32 s58, 0
.LBB95_1540:
	s_delay_alu instid0(SALU_CYCLE_1)
	s_and_not1_b32 vcc_lo, exec_lo, s58
	s_cbranch_vccnz .LBB95_1542
; %bb.1541:
	global_store_b16 v[2:3], v1, off
.LBB95_1542:
	s_mov_b32 s58, 0
.LBB95_1543:
	s_delay_alu instid0(SALU_CYCLE_1)
	s_and_not1_b32 vcc_lo, exec_lo, s58
	s_cbranch_vccnz .LBB95_1548
; %bb.1544:
	s_cmp_gt_i32 s35, 0
	s_mov_b32 s35, -1
	s_cbranch_scc0 .LBB95_1546
; %bb.1545:
	s_mov_b32 s35, 0
	global_store_b8 v[2:3], v1, off
.LBB95_1546:
	s_and_not1_b32 vcc_lo, exec_lo, s35
	s_cbranch_vccnz .LBB95_1548
; %bb.1547:
	global_store_b8 v[2:3], v1, off
.LBB95_1548:
	s_mov_b32 s59, -1
.LBB95_1549:
	s_delay_alu instid0(SALU_CYCLE_1)
	s_and_not1_b32 vcc_lo, exec_lo, s59
	s_cbranch_vccnz .LBB95_1551
; %bb.1550:
	v_add_nc_u32_e32 v0, 0x80, v0
	s_mov_b32 s35, -1
	s_branch .LBB95_1553
.LBB95_1551:
	s_mov_b32 s35, 0
.LBB95_1552:
                                        ; implicit-def: $vgpr0
.LBB95_1553:
	s_and_not1_b32 s58, s53, exec_lo
	s_and_b32 s0, s0, exec_lo
	s_and_not1_b32 s59, s54, exec_lo
	s_and_b32 s34, s34, exec_lo
	s_or_b32 s61, s58, s0
	s_or_b32 s59, s59, s34
	s_and_not1_b32 s0, s55, exec_lo
	s_and_b32 s31, s31, exec_lo
	s_and_not1_b32 s34, s52, exec_lo
	s_and_b32 s30, s30, exec_lo
	s_or_b32 s60, s0, s31
	s_or_b32 s58, s34, s30
	s_or_not1_b32 s35, s35, exec_lo
.LBB95_1554:
	s_wait_xcnt 0x0
	s_or_b32 exec_lo, exec_lo, s57
	s_mov_b32 s31, 0
	s_mov_b32 s34, 0
	s_mov_b32 s30, 0
                                        ; implicit-def: $sgpr0
                                        ; implicit-def: $vgpr10_vgpr11
                                        ; implicit-def: $vgpr2
                                        ; implicit-def: $vgpr6
                                        ; implicit-def: $vgpr8
                                        ; implicit-def: $vgpr4
	s_and_saveexec_b32 s57, s35
	s_cbranch_execz .LBB95_1643
; %bb.1555:
	v_cmp_gt_i32_e32 vcc_lo, s46, v0
	s_mov_b32 s35, s58
                                        ; implicit-def: $sgpr0
                                        ; implicit-def: $vgpr10_vgpr11
                                        ; implicit-def: $vgpr2
                                        ; implicit-def: $vgpr6
                                        ; implicit-def: $vgpr8
                                        ; implicit-def: $vgpr4
	s_and_saveexec_b32 s46, vcc_lo
	s_cbranch_execz .LBB95_1642
; %bb.1556:
	s_and_not1_b32 vcc_lo, exec_lo, s38
	s_cbranch_vccnz .LBB95_1562
; %bb.1557:
	s_and_not1_b32 vcc_lo, exec_lo, s47
	s_cbranch_vccnz .LBB95_1563
; %bb.1558:
	s_wait_loadcnt 0x0
	v_dual_mov_b32 v8, 0 :: v_dual_mov_b32 v1, v0
	v_dual_mov_b32 v6, 0 :: v_dual_mov_b32 v2, 0
	v_mov_b32_e32 v4, 0
	s_add_co_i32 s0, s45, 1
	s_mov_b64 s[30:31], 0xffffffffffffffe0
	s_and_b32 s0, s0, 30
	s_add_nc_u64 s[30:31], s[2:3], s[30:31]
	s_mov_b64 s[34:35], s[2:3]
.LBB95_1559:                            ; =>This Inner Loop Header: Depth=1
	s_clause 0x1
	s_load_b128 s[72:75], s[34:35], 0x4
	s_load_b64 s[62:63], s[34:35], 0x14
	s_load_b256 s[64:71], s[30:31], 0xe4
	s_add_co_i32 s0, s0, -2
	s_wait_xcnt 0x0
	s_add_nc_u64 s[34:35], s[34:35], 24
	s_cmp_eq_u32 s0, 0
	s_add_nc_u64 s[30:31], s[30:31], 32
	s_wait_kmcnt 0x0
	v_mul_hi_u32 v3, s73, v1
	s_delay_alu instid0(VALU_DEP_1) | instskip(NEXT) | instid1(VALU_DEP_1)
	v_add_nc_u32_e32 v3, v1, v3
	v_lshrrev_b32_e32 v3, s74, v3
	s_delay_alu instid0(VALU_DEP_1) | instskip(SKIP_1) | instid1(VALU_DEP_1)
	v_mul_hi_u32 v5, s62, v3
	v_mul_lo_u32 v7, v3, s72
	v_dual_add_nc_u32 v5, v3, v5 :: v_dual_sub_nc_u32 v7, v1, v7
	s_delay_alu instid0(VALU_DEP_1) | instskip(NEXT) | instid1(VALU_DEP_2)
	v_lshrrev_b32_e32 v1, s63, v5
	v_mad_u32 v4, v7, s65, v4
	v_mad_u32 v2, v7, s64, v2
	;; [unrolled: 1-line block ×4, first 2 shown]
	v_mul_lo_u32 v5, v1, s75
	s_delay_alu instid0(VALU_DEP_1) | instskip(NEXT) | instid1(VALU_DEP_1)
	v_sub_nc_u32_e32 v3, v3, v5
	v_mad_u32 v4, v3, s69, v4
	v_mad_u32 v2, v3, s68, v2
	;; [unrolled: 1-line block ×4, first 2 shown]
	s_cbranch_scc0 .LBB95_1559
; %bb.1560:
	s_bitcmp1_b32 s45, 0
	s_cselect_b32 s0, -1, 0
	s_delay_alu instid0(SALU_CYCLE_1)
	s_and_b32 vcc_lo, exec_lo, s0
	s_cbranch_vccnz .LBB95_1564
; %bb.1561:
	s_load_b96 s[68:70], s[34:35], 0x4
	s_load_b128 s[64:67], s[30:31], 0xe4
	s_wait_kmcnt 0x0
	v_mul_hi_u32 v3, s69, v1
	s_delay_alu instid0(VALU_DEP_1) | instskip(NEXT) | instid1(VALU_DEP_1)
	v_add_nc_u32_e32 v3, v1, v3
	v_lshrrev_b32_e32 v3, s70, v3
	s_delay_alu instid0(VALU_DEP_1) | instskip(NEXT) | instid1(VALU_DEP_1)
	v_mul_lo_u32 v3, v3, s68
	v_sub_nc_u32_e32 v1, v1, v3
	s_delay_alu instid0(VALU_DEP_1)
	v_mad_u32 v2, v1, s64, v2
	v_mad_u32 v4, v1, s65, v4
	;; [unrolled: 1-line block ×4, first 2 shown]
	s_branch .LBB95_1564
.LBB95_1562:
	s_mov_b32 s0, -1
                                        ; implicit-def: $vgpr4
                                        ; implicit-def: $vgpr2
                                        ; implicit-def: $vgpr6
                                        ; implicit-def: $vgpr8
	s_branch .LBB95_1565
.LBB95_1563:
	s_wait_loadcnt 0x0
	v_dual_mov_b32 v4, 0 :: v_dual_mov_b32 v2, 0
	v_dual_mov_b32 v6, 0 :: v_dual_mov_b32 v8, 0
.LBB95_1564:
	s_mov_b32 s0, 0
.LBB95_1565:
	s_delay_alu instid0(SALU_CYCLE_1)
	s_and_not1_b32 vcc_lo, exec_lo, s0
	s_cbranch_vccnz .LBB95_1568
; %bb.1566:
	v_mov_b32_e32 v1, 0
	s_and_not1_b32 vcc_lo, exec_lo, s43
	s_delay_alu instid0(VALU_DEP_1) | instskip(NEXT) | instid1(VALU_DEP_1)
	v_mul_u64_e32 v[2:3], s[26:27], v[0:1]
	v_add_nc_u32_e32 v2, v0, v3
	s_wait_loadcnt 0x0
	s_delay_alu instid0(VALU_DEP_1) | instskip(NEXT) | instid1(VALU_DEP_1)
	v_lshrrev_b32_e32 v10, s22, v2
	v_mul_lo_u32 v2, v10, s20
	s_delay_alu instid0(VALU_DEP_1) | instskip(NEXT) | instid1(VALU_DEP_1)
	v_sub_nc_u32_e32 v0, v0, v2
	v_mul_lo_u32 v4, v0, s13
	v_mul_lo_u32 v2, v0, s12
	;; [unrolled: 1-line block ×4, first 2 shown]
	s_cbranch_vccnz .LBB95_1568
; %bb.1567:
	v_mov_b32_e32 v11, v1
	s_delay_alu instid0(VALU_DEP_1) | instskip(NEXT) | instid1(VALU_DEP_1)
	v_mul_u64_e32 v[0:1], s[28:29], v[10:11]
	v_add_nc_u32_e32 v0, v10, v1
	s_delay_alu instid0(VALU_DEP_1) | instskip(NEXT) | instid1(VALU_DEP_1)
	v_lshrrev_b32_e32 v0, s1, v0
	v_mul_lo_u32 v0, v0, s23
	s_delay_alu instid0(VALU_DEP_1) | instskip(NEXT) | instid1(VALU_DEP_1)
	v_sub_nc_u32_e32 v0, v10, v0
	v_mad_u32 v2, v0, s16, v2
	v_mad_u32 v4, v0, s17, v4
	;; [unrolled: 1-line block ×4, first 2 shown]
.LBB95_1568:
	s_wait_loadcnt 0x0
	v_mov_b32_e32 v5, 0
	s_and_b32 s0, s42, 0xff
	s_delay_alu instid0(SALU_CYCLE_1) | instskip(NEXT) | instid1(VALU_DEP_1)
	s_cmp_lt_i32 s0, 11
	v_add_nc_u64_e32 v[10:11], s[6:7], v[4:5]
	s_cbranch_scc1 .LBB95_1575
; %bb.1569:
	s_and_b32 s1, 0xffff, s0
	s_mov_b32 s7, 0
	s_cmp_gt_i32 s1, 25
	s_cbranch_scc0 .LBB95_1576
; %bb.1570:
	s_cmp_gt_i32 s1, 28
	s_cbranch_scc0 .LBB95_1577
; %bb.1571:
	;; [unrolled: 3-line block ×4, first 2 shown]
	s_cmp_eq_u32 s1, 46
	s_mov_b32 s13, 0
	s_cbranch_scc0 .LBB95_1580
; %bb.1574:
	global_load_b32 v0, v[10:11], off
	s_mov_b32 s6, 0
	s_mov_b32 s12, -1
	s_wait_loadcnt 0x0
	v_lshlrev_b32_e32 v0, 16, v0
	s_delay_alu instid0(VALU_DEP_1)
	v_cvt_i32_f32_e32 v4, v0
	s_branch .LBB95_1582
.LBB95_1575:
	s_mov_b32 s1, -1
	s_mov_b32 s12, 0
	s_mov_b32 s7, 0
	;; [unrolled: 1-line block ×3, first 2 shown]
                                        ; implicit-def: $vgpr4
	s_branch .LBB95_1641
.LBB95_1576:
	s_mov_b32 s13, -1
	s_mov_b32 s12, 0
	s_mov_b32 s6, s58
                                        ; implicit-def: $vgpr4
	s_branch .LBB95_1609
.LBB95_1577:
	s_mov_b32 s13, -1
	s_mov_b32 s12, 0
	s_mov_b32 s6, s58
                                        ; implicit-def: $vgpr4
	s_branch .LBB95_1592
.LBB95_1578:
	s_mov_b32 s13, -1
	s_mov_b32 s12, 0
	s_mov_b32 s6, s58
                                        ; implicit-def: $vgpr4
	s_branch .LBB95_1587
.LBB95_1579:
	s_mov_b32 s13, -1
	s_mov_b32 s12, 0
	s_mov_b32 s6, s58
	s_branch .LBB95_1581
.LBB95_1580:
	s_mov_b32 s6, -1
	s_mov_b32 s12, 0
.LBB95_1581:
                                        ; implicit-def: $vgpr4
.LBB95_1582:
	s_and_b32 vcc_lo, exec_lo, s13
	s_cbranch_vccz .LBB95_1586
; %bb.1583:
	s_cmp_eq_u32 s1, 44
	s_cbranch_scc0 .LBB95_1585
; %bb.1584:
	global_load_u8 v0, v[10:11], off
	s_mov_b32 s6, 0
	s_mov_b32 s12, -1
	s_wait_loadcnt 0x0
	v_lshlrev_b32_e32 v1, 23, v0
	v_cmp_ne_u32_e32 vcc_lo, 0, v0
	s_delay_alu instid0(VALU_DEP_2) | instskip(NEXT) | instid1(VALU_DEP_1)
	v_cvt_i32_f32_e32 v1, v1
	v_cndmask_b32_e32 v4, 0, v1, vcc_lo
	s_branch .LBB95_1586
.LBB95_1585:
	s_mov_b32 s6, -1
                                        ; implicit-def: $vgpr4
.LBB95_1586:
	s_mov_b32 s13, 0
.LBB95_1587:
	s_delay_alu instid0(SALU_CYCLE_1)
	s_and_b32 vcc_lo, exec_lo, s13
	s_cbranch_vccz .LBB95_1591
; %bb.1588:
	s_cmp_eq_u32 s1, 29
	s_cbranch_scc0 .LBB95_1590
; %bb.1589:
	global_load_b64 v[4:5], v[10:11], off
	s_mov_b32 s6, 0
	s_mov_b32 s12, -1
	s_branch .LBB95_1591
.LBB95_1590:
	s_mov_b32 s6, -1
                                        ; implicit-def: $vgpr4
.LBB95_1591:
	s_mov_b32 s13, 0
.LBB95_1592:
	s_delay_alu instid0(SALU_CYCLE_1)
	s_and_b32 vcc_lo, exec_lo, s13
	s_cbranch_vccz .LBB95_1608
; %bb.1593:
	s_cmp_lt_i32 s1, 27
	s_cbranch_scc1 .LBB95_1596
; %bb.1594:
	s_cmp_gt_i32 s1, 27
	s_cbranch_scc0 .LBB95_1597
; %bb.1595:
	s_wait_loadcnt 0x0
	global_load_b32 v4, v[10:11], off
	s_mov_b32 s12, 0
	s_branch .LBB95_1598
.LBB95_1596:
	s_mov_b32 s12, -1
                                        ; implicit-def: $vgpr4
	s_branch .LBB95_1601
.LBB95_1597:
	s_mov_b32 s12, -1
                                        ; implicit-def: $vgpr4
.LBB95_1598:
	s_delay_alu instid0(SALU_CYCLE_1)
	s_and_not1_b32 vcc_lo, exec_lo, s12
	s_cbranch_vccnz .LBB95_1600
; %bb.1599:
	s_wait_loadcnt 0x0
	global_load_u16 v4, v[10:11], off
.LBB95_1600:
	s_mov_b32 s12, 0
.LBB95_1601:
	s_delay_alu instid0(SALU_CYCLE_1)
	s_and_not1_b32 vcc_lo, exec_lo, s12
	s_cbranch_vccnz .LBB95_1607
; %bb.1602:
	global_load_u8 v0, v[10:11], off
	s_mov_b32 s13, 0
	s_mov_b32 s12, exec_lo
	s_wait_loadcnt 0x0
	v_cmpx_lt_i16_e32 0x7f, v0
	s_xor_b32 s12, exec_lo, s12
	s_cbranch_execz .LBB95_1619
; %bb.1603:
	v_cmp_ne_u16_e32 vcc_lo, 0x80, v0
	s_and_b32 s13, vcc_lo, exec_lo
	s_and_not1_saveexec_b32 s12, s12
	s_cbranch_execnz .LBB95_1620
.LBB95_1604:
	s_or_b32 exec_lo, exec_lo, s12
	v_mov_b32_e32 v4, 0
	s_and_saveexec_b32 s12, s13
	s_cbranch_execz .LBB95_1606
.LBB95_1605:
	v_and_b32_e32 v1, 0xffff, v0
	s_delay_alu instid0(VALU_DEP_1) | instskip(SKIP_1) | instid1(VALU_DEP_2)
	v_and_b32_e32 v3, 7, v1
	v_bfe_u32 v7, v1, 3, 4
	v_clz_i32_u32_e32 v4, v3
	s_delay_alu instid0(VALU_DEP_2) | instskip(NEXT) | instid1(VALU_DEP_2)
	v_cmp_eq_u32_e32 vcc_lo, 0, v7
	v_min_u32_e32 v4, 32, v4
	s_delay_alu instid0(VALU_DEP_1) | instskip(NEXT) | instid1(VALU_DEP_1)
	v_subrev_nc_u32_e32 v5, 28, v4
	v_dual_lshlrev_b32 v1, v5, v1 :: v_dual_sub_nc_u32 v4, 29, v4
	s_delay_alu instid0(VALU_DEP_1) | instskip(NEXT) | instid1(VALU_DEP_1)
	v_dual_lshlrev_b32 v0, 24, v0 :: v_dual_bitop2_b32 v1, 7, v1 bitop3:0x40
	v_cndmask_b32_e32 v1, v3, v1, vcc_lo
	s_delay_alu instid0(VALU_DEP_3) | instskip(NEXT) | instid1(VALU_DEP_3)
	v_cndmask_b32_e32 v4, v7, v4, vcc_lo
	v_and_b32_e32 v0, 0x80000000, v0
	s_delay_alu instid0(VALU_DEP_3) | instskip(NEXT) | instid1(VALU_DEP_3)
	v_lshlrev_b32_e32 v1, 20, v1
	v_lshl_add_u32 v3, v4, 23, 0x3b800000
	s_delay_alu instid0(VALU_DEP_1) | instskip(NEXT) | instid1(VALU_DEP_1)
	v_or3_b32 v0, v0, v3, v1
	v_cvt_i32_f32_e32 v4, v0
.LBB95_1606:
	s_or_b32 exec_lo, exec_lo, s12
.LBB95_1607:
	s_mov_b32 s12, -1
.LBB95_1608:
	s_mov_b32 s13, 0
.LBB95_1609:
	s_delay_alu instid0(SALU_CYCLE_1)
	s_and_b32 vcc_lo, exec_lo, s13
	s_cbranch_vccz .LBB95_1640
; %bb.1610:
	s_cmp_gt_i32 s1, 22
	s_cbranch_scc0 .LBB95_1618
; %bb.1611:
	s_cmp_lt_i32 s1, 24
	s_cbranch_scc1 .LBB95_1621
; %bb.1612:
	s_cmp_gt_i32 s1, 24
	s_cbranch_scc0 .LBB95_1622
; %bb.1613:
	global_load_u8 v0, v[10:11], off
	s_mov_b32 s12, 0
	s_mov_b32 s7, exec_lo
	s_wait_loadcnt 0x0
	v_cmpx_lt_i16_e32 0x7f, v0
	s_xor_b32 s7, exec_lo, s7
	s_cbranch_execz .LBB95_1634
; %bb.1614:
	v_cmp_ne_u16_e32 vcc_lo, 0x80, v0
	s_and_b32 s12, vcc_lo, exec_lo
	s_and_not1_saveexec_b32 s7, s7
	s_cbranch_execnz .LBB95_1635
.LBB95_1615:
	s_or_b32 exec_lo, exec_lo, s7
	v_mov_b32_e32 v4, 0
	s_and_saveexec_b32 s7, s12
	s_cbranch_execz .LBB95_1617
.LBB95_1616:
	v_and_b32_e32 v1, 0xffff, v0
	s_delay_alu instid0(VALU_DEP_1) | instskip(SKIP_1) | instid1(VALU_DEP_2)
	v_and_b32_e32 v3, 3, v1
	v_bfe_u32 v7, v1, 2, 5
	v_clz_i32_u32_e32 v4, v3
	s_delay_alu instid0(VALU_DEP_2) | instskip(NEXT) | instid1(VALU_DEP_2)
	v_cmp_eq_u32_e32 vcc_lo, 0, v7
	v_min_u32_e32 v4, 32, v4
	s_delay_alu instid0(VALU_DEP_1) | instskip(NEXT) | instid1(VALU_DEP_1)
	v_subrev_nc_u32_e32 v5, 29, v4
	v_dual_lshlrev_b32 v1, v5, v1 :: v_dual_sub_nc_u32 v4, 30, v4
	s_delay_alu instid0(VALU_DEP_1) | instskip(NEXT) | instid1(VALU_DEP_1)
	v_dual_lshlrev_b32 v0, 24, v0 :: v_dual_bitop2_b32 v1, 3, v1 bitop3:0x40
	v_cndmask_b32_e32 v1, v3, v1, vcc_lo
	s_delay_alu instid0(VALU_DEP_3) | instskip(NEXT) | instid1(VALU_DEP_3)
	v_cndmask_b32_e32 v4, v7, v4, vcc_lo
	v_and_b32_e32 v0, 0x80000000, v0
	s_delay_alu instid0(VALU_DEP_3) | instskip(NEXT) | instid1(VALU_DEP_3)
	v_lshlrev_b32_e32 v1, 21, v1
	v_lshl_add_u32 v3, v4, 23, 0x37800000
	s_delay_alu instid0(VALU_DEP_1) | instskip(NEXT) | instid1(VALU_DEP_1)
	v_or3_b32 v0, v0, v3, v1
	v_cvt_i32_f32_e32 v4, v0
.LBB95_1617:
	s_or_b32 exec_lo, exec_lo, s7
	s_mov_b32 s7, 0
	s_branch .LBB95_1623
.LBB95_1618:
	s_mov_b32 s7, -1
                                        ; implicit-def: $vgpr4
	s_branch .LBB95_1629
.LBB95_1619:
	s_and_not1_saveexec_b32 s12, s12
	s_cbranch_execz .LBB95_1604
.LBB95_1620:
	v_cmp_ne_u16_e32 vcc_lo, 0, v0
	s_and_not1_b32 s13, s13, exec_lo
	s_and_b32 s14, vcc_lo, exec_lo
	s_delay_alu instid0(SALU_CYCLE_1)
	s_or_b32 s13, s13, s14
	s_or_b32 exec_lo, exec_lo, s12
	v_mov_b32_e32 v4, 0
	s_and_saveexec_b32 s12, s13
	s_cbranch_execnz .LBB95_1605
	s_branch .LBB95_1606
.LBB95_1621:
	s_mov_b32 s7, -1
                                        ; implicit-def: $vgpr4
	s_branch .LBB95_1626
.LBB95_1622:
	s_mov_b32 s7, -1
                                        ; implicit-def: $vgpr4
.LBB95_1623:
	s_delay_alu instid0(SALU_CYCLE_1)
	s_and_b32 vcc_lo, exec_lo, s7
	s_cbranch_vccz .LBB95_1625
; %bb.1624:
	global_load_u8 v0, v[10:11], off
	s_wait_loadcnt 0x0
	v_lshlrev_b32_e32 v0, 24, v0
	s_delay_alu instid0(VALU_DEP_1) | instskip(NEXT) | instid1(VALU_DEP_1)
	v_and_b32_e32 v1, 0x7f000000, v0
	v_clz_i32_u32_e32 v3, v1
	v_add_nc_u32_e32 v5, 0x1000000, v1
	v_cmp_ne_u32_e32 vcc_lo, 0, v1
	s_delay_alu instid0(VALU_DEP_3) | instskip(NEXT) | instid1(VALU_DEP_1)
	v_min_u32_e32 v3, 32, v3
	v_sub_nc_u32_e64 v3, v3, 4 clamp
	s_delay_alu instid0(VALU_DEP_1) | instskip(NEXT) | instid1(VALU_DEP_1)
	v_dual_lshlrev_b32 v4, v3, v1 :: v_dual_lshlrev_b32 v3, 23, v3
	v_lshrrev_b32_e32 v4, 4, v4
	s_delay_alu instid0(VALU_DEP_1) | instskip(NEXT) | instid1(VALU_DEP_1)
	v_dual_sub_nc_u32 v3, v4, v3 :: v_dual_ashrrev_i32 v4, 8, v5
	v_add_nc_u32_e32 v3, 0x3c000000, v3
	s_delay_alu instid0(VALU_DEP_1) | instskip(NEXT) | instid1(VALU_DEP_1)
	v_and_or_b32 v3, 0x7f800000, v4, v3
	v_cndmask_b32_e32 v1, 0, v3, vcc_lo
	s_delay_alu instid0(VALU_DEP_1) | instskip(NEXT) | instid1(VALU_DEP_1)
	v_and_or_b32 v0, 0x80000000, v0, v1
	v_cvt_i32_f32_e32 v4, v0
.LBB95_1625:
	s_mov_b32 s7, 0
.LBB95_1626:
	s_delay_alu instid0(SALU_CYCLE_1)
	s_and_not1_b32 vcc_lo, exec_lo, s7
	s_cbranch_vccnz .LBB95_1628
; %bb.1627:
	global_load_u8 v0, v[10:11], off
	s_wait_loadcnt 0x0
	v_lshlrev_b32_e32 v1, 25, v0
	v_lshlrev_b16 v0, 8, v0
	s_delay_alu instid0(VALU_DEP_2) | instskip(NEXT) | instid1(VALU_DEP_2)
	v_cmp_gt_u32_e32 vcc_lo, 0x8000000, v1
	v_and_or_b32 v4, 0x7f00, v0, 0.5
	v_lshrrev_b32_e32 v3, 4, v1
	v_bfe_i32 v0, v0, 0, 16
	s_delay_alu instid0(VALU_DEP_3) | instskip(NEXT) | instid1(VALU_DEP_3)
	v_add_f32_e32 v4, -0.5, v4
	v_or_b32_e32 v3, 0x70000000, v3
	s_delay_alu instid0(VALU_DEP_1) | instskip(NEXT) | instid1(VALU_DEP_1)
	v_mul_f32_e32 v3, 0x7800000, v3
	v_cndmask_b32_e32 v1, v3, v4, vcc_lo
	s_delay_alu instid0(VALU_DEP_1) | instskip(NEXT) | instid1(VALU_DEP_1)
	v_and_or_b32 v0, 0x80000000, v0, v1
	v_cvt_i32_f32_e32 v4, v0
.LBB95_1628:
	s_mov_b32 s7, 0
	s_mov_b32 s12, -1
.LBB95_1629:
	s_and_not1_b32 vcc_lo, exec_lo, s7
	s_mov_b32 s7, 0
	s_cbranch_vccnz .LBB95_1640
; %bb.1630:
	s_cmp_gt_i32 s1, 14
	s_cbranch_scc0 .LBB95_1633
; %bb.1631:
	s_cmp_eq_u32 s1, 15
	s_cbranch_scc0 .LBB95_1636
; %bb.1632:
	global_load_u16 v0, v[10:11], off
	s_mov_b32 s6, 0
	s_mov_b32 s12, -1
	s_wait_loadcnt 0x0
	v_lshlrev_b32_e32 v0, 16, v0
	s_delay_alu instid0(VALU_DEP_1)
	v_cvt_i32_f32_e32 v4, v0
	s_branch .LBB95_1638
.LBB95_1633:
	s_mov_b32 s7, -1
	s_branch .LBB95_1637
.LBB95_1634:
	s_and_not1_saveexec_b32 s7, s7
	s_cbranch_execz .LBB95_1615
.LBB95_1635:
	v_cmp_ne_u16_e32 vcc_lo, 0, v0
	s_and_not1_b32 s12, s12, exec_lo
	s_and_b32 s13, vcc_lo, exec_lo
	s_delay_alu instid0(SALU_CYCLE_1)
	s_or_b32 s12, s12, s13
	s_or_b32 exec_lo, exec_lo, s7
	v_mov_b32_e32 v4, 0
	s_and_saveexec_b32 s7, s12
	s_cbranch_execnz .LBB95_1616
	s_branch .LBB95_1617
.LBB95_1636:
	s_mov_b32 s6, -1
.LBB95_1637:
                                        ; implicit-def: $vgpr4
.LBB95_1638:
	s_and_b32 vcc_lo, exec_lo, s7
	s_mov_b32 s7, 0
	s_cbranch_vccz .LBB95_1640
; %bb.1639:
	s_cmp_lg_u32 s1, 11
	s_mov_b32 s7, -1
	s_cselect_b32 s1, -1, 0
	s_and_not1_b32 s6, s6, exec_lo
	s_and_b32 s1, s1, exec_lo
	s_delay_alu instid0(SALU_CYCLE_1)
	s_or_b32 s6, s6, s1
.LBB95_1640:
	s_mov_b32 s1, 0
.LBB95_1641:
	s_delay_alu instid0(SALU_CYCLE_1)
	s_and_b32 s34, s1, exec_lo
	s_and_not1_b32 s1, s58, exec_lo
	s_and_b32 s6, s6, exec_lo
	s_and_b32 s30, s12, exec_lo
	;; [unrolled: 1-line block ×3, first 2 shown]
	s_or_b32 s35, s1, s6
.LBB95_1642:
	s_wait_xcnt 0x0
	s_or_b32 exec_lo, exec_lo, s46
	s_delay_alu instid0(SALU_CYCLE_1)
	s_and_not1_b32 s1, s58, exec_lo
	s_and_b32 s6, s35, exec_lo
	s_and_b32 s30, s30, exec_lo
	;; [unrolled: 1-line block ×4, first 2 shown]
	s_or_b32 s58, s1, s6
.LBB95_1643:
	s_or_b32 exec_lo, exec_lo, s57
	s_delay_alu instid0(SALU_CYCLE_1)
	s_and_not1_b32 s1, s53, exec_lo
	s_and_b32 s6, s61, exec_lo
	s_and_not1_b32 s7, s55, exec_lo
	s_or_b32 s53, s1, s6
	s_and_not1_b32 s1, s54, exec_lo
	s_and_b32 s6, s59, exec_lo
	s_and_b32 s12, s60, exec_lo
	s_or_b32 s54, s1, s6
	s_and_not1_b32 s1, s52, exec_lo
	s_and_b32 s6, s58, exec_lo
	s_or_b32 s55, s7, s12
	s_and_b32 s30, s30, exec_lo
	s_and_b32 s34, s34, exec_lo
	s_and_b32 s31, s31, exec_lo
	s_or_b32 s52, s1, s6
.LBB95_1644:
	s_or_b32 exec_lo, exec_lo, s56
	s_delay_alu instid0(SALU_CYCLE_1)
	s_and_not1_b32 s1, s44, exec_lo
	s_and_b32 s6, s53, exec_lo
	s_and_not1_b32 s7, s49, exec_lo
	s_or_b32 s44, s1, s6
	s_and_not1_b32 s1, s48, exec_lo
	s_and_b32 s6, s54, exec_lo
	s_and_b32 s12, s55, exec_lo
	s_or_b32 s48, s1, s6
	s_and_not1_b32 s1, s50, exec_lo
	s_and_b32 s6, s52, exec_lo
	s_or_b32 s49, s7, s12
	s_and_b32 s30, s30, exec_lo
	s_and_b32 s34, s34, exec_lo
	s_and_b32 s27, s31, exec_lo
	s_or_b32 s50, s1, s6
	s_or_b32 exec_lo, exec_lo, s51
	s_mov_b32 s1, 0
	s_and_saveexec_b32 s6, s50
	s_cbranch_execz .LBB95_520
.LBB95_1645:
	s_mov_b32 s1, exec_lo
	s_and_not1_b32 s27, s27, exec_lo
	s_trap 2
	s_or_b32 exec_lo, exec_lo, s6
	s_and_saveexec_b32 s6, s27
	s_delay_alu instid0(SALU_CYCLE_1)
	s_xor_b32 s6, exec_lo, s6
	s_cbranch_execnz .LBB95_521
.LBB95_1646:
	s_or_b32 exec_lo, exec_lo, s6
	s_and_saveexec_b32 s6, s34
	s_cbranch_execz .LBB95_1692
.LBB95_1647:
	s_sext_i32_i16 s7, s0
	s_delay_alu instid0(SALU_CYCLE_1)
	s_cmp_lt_i32 s7, 5
	s_cbranch_scc1 .LBB95_1652
; %bb.1648:
	s_cmp_lt_i32 s7, 8
	s_cbranch_scc1 .LBB95_1653
; %bb.1649:
	;; [unrolled: 3-line block ×3, first 2 shown]
	s_cmp_gt_i32 s7, 9
	s_cbranch_scc0 .LBB95_1655
; %bb.1651:
	s_wait_loadcnt 0x0
	global_load_b64 v[0:1], v[10:11], off
	s_mov_b32 s7, 0
	s_wait_loadcnt 0x0
	v_cvt_i32_f64_e32 v4, v[0:1]
	s_branch .LBB95_1656
.LBB95_1652:
                                        ; implicit-def: $vgpr4
	s_branch .LBB95_1673
.LBB95_1653:
                                        ; implicit-def: $vgpr4
	s_branch .LBB95_1662
.LBB95_1654:
	s_mov_b32 s7, -1
                                        ; implicit-def: $vgpr4
	s_branch .LBB95_1659
.LBB95_1655:
	s_mov_b32 s7, -1
                                        ; implicit-def: $vgpr4
.LBB95_1656:
	s_delay_alu instid0(SALU_CYCLE_1)
	s_and_not1_b32 vcc_lo, exec_lo, s7
	s_cbranch_vccnz .LBB95_1658
; %bb.1657:
	s_wait_loadcnt 0x0
	global_load_b32 v0, v[10:11], off
	s_wait_loadcnt 0x0
	v_cvt_i32_f32_e32 v4, v0
.LBB95_1658:
	s_mov_b32 s7, 0
.LBB95_1659:
	s_delay_alu instid0(SALU_CYCLE_1)
	s_and_not1_b32 vcc_lo, exec_lo, s7
	s_cbranch_vccnz .LBB95_1661
; %bb.1660:
	s_wait_loadcnt 0x0
	global_load_b32 v0, v[10:11], off
	s_wait_loadcnt 0x0
	v_cvt_i16_f16_e32 v4, v0
.LBB95_1661:
	s_cbranch_execnz .LBB95_1672
.LBB95_1662:
	s_sext_i32_i16 s7, s0
	s_delay_alu instid0(SALU_CYCLE_1)
	s_cmp_lt_i32 s7, 6
	s_cbranch_scc1 .LBB95_1665
; %bb.1663:
	s_cmp_gt_i32 s7, 6
	s_cbranch_scc0 .LBB95_1666
; %bb.1664:
	s_wait_loadcnt 0x0
	global_load_b64 v[0:1], v[10:11], off
	s_mov_b32 s7, 0
	s_wait_loadcnt 0x0
	v_cvt_i32_f64_e32 v4, v[0:1]
	s_branch .LBB95_1667
.LBB95_1665:
	s_mov_b32 s7, -1
                                        ; implicit-def: $vgpr4
	s_branch .LBB95_1670
.LBB95_1666:
	s_mov_b32 s7, -1
                                        ; implicit-def: $vgpr4
.LBB95_1667:
	s_delay_alu instid0(SALU_CYCLE_1)
	s_and_not1_b32 vcc_lo, exec_lo, s7
	s_cbranch_vccnz .LBB95_1669
; %bb.1668:
	s_wait_loadcnt 0x0
	global_load_b32 v0, v[10:11], off
	s_wait_loadcnt 0x0
	v_cvt_i32_f32_e32 v4, v0
.LBB95_1669:
	s_mov_b32 s7, 0
.LBB95_1670:
	s_delay_alu instid0(SALU_CYCLE_1)
	s_and_not1_b32 vcc_lo, exec_lo, s7
	s_cbranch_vccnz .LBB95_1672
; %bb.1671:
	s_wait_loadcnt 0x0
	global_load_u16 v0, v[10:11], off
	s_wait_loadcnt 0x0
	v_cvt_i16_f16_e32 v4, v0
.LBB95_1672:
	s_cbranch_execnz .LBB95_1691
.LBB95_1673:
	s_sext_i32_i16 s7, s0
	s_delay_alu instid0(SALU_CYCLE_1)
	s_cmp_lt_i32 s7, 2
	s_cbranch_scc1 .LBB95_1677
; %bb.1674:
	s_cmp_lt_i32 s7, 3
	s_cbranch_scc1 .LBB95_1678
; %bb.1675:
	s_cmp_gt_i32 s7, 3
	s_cbranch_scc0 .LBB95_1679
; %bb.1676:
	s_wait_loadcnt 0x0
	global_load_b64 v[4:5], v[10:11], off
	s_mov_b32 s7, 0
	s_branch .LBB95_1680
.LBB95_1677:
                                        ; implicit-def: $vgpr4
	s_branch .LBB95_1686
.LBB95_1678:
	s_mov_b32 s7, -1
                                        ; implicit-def: $vgpr4
	s_branch .LBB95_1683
.LBB95_1679:
	s_mov_b32 s7, -1
                                        ; implicit-def: $vgpr4
.LBB95_1680:
	s_delay_alu instid0(SALU_CYCLE_1)
	s_and_not1_b32 vcc_lo, exec_lo, s7
	s_cbranch_vccnz .LBB95_1682
; %bb.1681:
	s_wait_loadcnt 0x0
	global_load_b32 v4, v[10:11], off
.LBB95_1682:
	s_mov_b32 s7, 0
.LBB95_1683:
	s_delay_alu instid0(SALU_CYCLE_1)
	s_and_not1_b32 vcc_lo, exec_lo, s7
	s_cbranch_vccnz .LBB95_1685
; %bb.1684:
	s_wait_loadcnt 0x0
	global_load_u16 v4, v[10:11], off
.LBB95_1685:
	s_cbranch_execnz .LBB95_1691
.LBB95_1686:
	s_sext_i32_i16 s0, s0
	s_delay_alu instid0(SALU_CYCLE_1)
	s_cmp_gt_i32 s0, 0
	s_mov_b32 s0, 0
	s_cbranch_scc0 .LBB95_1688
; %bb.1687:
	s_wait_loadcnt 0x0
	global_load_i8 v4, v[10:11], off
	s_branch .LBB95_1689
.LBB95_1688:
	s_mov_b32 s0, -1
                                        ; implicit-def: $vgpr4
.LBB95_1689:
	s_delay_alu instid0(SALU_CYCLE_1)
	s_and_not1_b32 vcc_lo, exec_lo, s0
	s_cbranch_vccnz .LBB95_1691
; %bb.1690:
	s_wait_loadcnt 0x0
	global_load_u8 v4, v[10:11], off
.LBB95_1691:
	s_or_b32 s30, s30, exec_lo
.LBB95_1692:
	s_wait_xcnt 0x0
	s_or_b32 exec_lo, exec_lo, s6
	s_mov_b32 s13, 0
	s_mov_b32 s12, 0
	;; [unrolled: 1-line block ×3, first 2 shown]
                                        ; implicit-def: $sgpr0
                                        ; implicit-def: $vgpr10_vgpr11
                                        ; implicit-def: $vgpr0
	s_and_saveexec_b32 s6, s30
	s_cbranch_execz .LBB95_1700
; %bb.1693:
	s_wait_loadcnt 0x0
	v_mov_b32_e32 v9, 0
	s_and_b32 s0, s41, 0xff
	s_delay_alu instid0(SALU_CYCLE_1) | instskip(NEXT) | instid1(VALU_DEP_1)
	s_cmp_lt_i32 s0, 11
	v_add_nc_u64_e32 v[10:11], s[8:9], v[8:9]
	s_cbranch_scc1 .LBB95_1703
; %bb.1694:
	s_and_b32 s7, 0xffff, s0
	s_mov_b32 s9, 0
	s_cmp_gt_i32 s7, 25
	s_cbranch_scc0 .LBB95_1704
; %bb.1695:
	s_cmp_gt_i32 s7, 28
	s_cbranch_scc0 .LBB95_1705
; %bb.1696:
	;; [unrolled: 3-line block ×4, first 2 shown]
	s_cmp_eq_u32 s7, 46
	s_cbranch_scc0 .LBB95_1708
; %bb.1699:
	global_load_b32 v0, v[10:11], off
	s_mov_b32 s8, 0
	s_mov_b32 s12, -1
	s_wait_loadcnt 0x0
	v_lshlrev_b32_e32 v0, 16, v0
	s_delay_alu instid0(VALU_DEP_1)
	v_cvt_i32_f32_e32 v0, v0
	s_branch .LBB95_1710
.LBB95_1700:
	s_or_b32 exec_lo, exec_lo, s6
	s_and_saveexec_b32 s6, s49
	s_cbranch_execnz .LBB95_1769
.LBB95_1701:
	s_or_b32 exec_lo, exec_lo, s6
	s_and_saveexec_b32 s6, s13
	s_delay_alu instid0(SALU_CYCLE_1)
	s_xor_b32 s6, exec_lo, s6
	s_cbranch_execz .LBB95_1770
.LBB95_1702:
	s_wait_loadcnt 0x0
	global_load_u8 v0, v[10:11], off
	s_or_b32 s7, s7, exec_lo
	s_wait_loadcnt 0x0
	v_cmp_ne_u16_e32 vcc_lo, 0, v0
	v_cndmask_b32_e64 v0, 0, 1, vcc_lo
	s_wait_xcnt 0x0
	s_or_b32 exec_lo, exec_lo, s6
	s_and_saveexec_b32 s6, s12
	s_cbranch_execz .LBB95_1816
	s_branch .LBB95_1771
.LBB95_1703:
	s_mov_b32 s13, -1
	s_mov_b32 s9, 0
	s_mov_b32 s8, s49
                                        ; implicit-def: $vgpr0
	s_branch .LBB95_1768
.LBB95_1704:
	s_mov_b32 s8, s49
                                        ; implicit-def: $vgpr0
	s_cbranch_execnz .LBB95_1737
	s_branch .LBB95_1767
.LBB95_1705:
	s_mov_b32 s13, -1
	s_mov_b32 s8, s49
                                        ; implicit-def: $vgpr0
	s_branch .LBB95_1720
.LBB95_1706:
	s_mov_b32 s13, -1
	s_mov_b32 s8, s49
                                        ; implicit-def: $vgpr0
	s_branch .LBB95_1715
.LBB95_1707:
	s_mov_b32 s13, -1
	s_mov_b32 s8, s49
	s_branch .LBB95_1709
.LBB95_1708:
	s_mov_b32 s8, -1
.LBB95_1709:
                                        ; implicit-def: $vgpr0
.LBB95_1710:
	s_and_b32 vcc_lo, exec_lo, s13
	s_cbranch_vccz .LBB95_1714
; %bb.1711:
	s_cmp_eq_u32 s7, 44
	s_cbranch_scc0 .LBB95_1713
; %bb.1712:
	global_load_u8 v0, v[10:11], off
	s_mov_b32 s8, 0
	s_mov_b32 s12, -1
	s_wait_loadcnt 0x0
	v_lshlrev_b32_e32 v1, 23, v0
	v_cmp_ne_u32_e32 vcc_lo, 0, v0
	s_delay_alu instid0(VALU_DEP_2) | instskip(NEXT) | instid1(VALU_DEP_1)
	v_cvt_i32_f32_e32 v1, v1
	v_cndmask_b32_e32 v0, 0, v1, vcc_lo
	s_branch .LBB95_1714
.LBB95_1713:
	s_mov_b32 s8, -1
                                        ; implicit-def: $vgpr0
.LBB95_1714:
	s_mov_b32 s13, 0
.LBB95_1715:
	s_delay_alu instid0(SALU_CYCLE_1)
	s_and_b32 vcc_lo, exec_lo, s13
	s_cbranch_vccz .LBB95_1719
; %bb.1716:
	s_cmp_eq_u32 s7, 29
	s_cbranch_scc0 .LBB95_1718
; %bb.1717:
	global_load_b64 v[0:1], v[10:11], off
	s_mov_b32 s8, 0
	s_mov_b32 s12, -1
	s_branch .LBB95_1719
.LBB95_1718:
	s_mov_b32 s8, -1
                                        ; implicit-def: $vgpr0
.LBB95_1719:
	s_mov_b32 s13, 0
.LBB95_1720:
	s_delay_alu instid0(SALU_CYCLE_1)
	s_and_b32 vcc_lo, exec_lo, s13
	s_cbranch_vccz .LBB95_1736
; %bb.1721:
	s_cmp_lt_i32 s7, 27
	s_cbranch_scc1 .LBB95_1724
; %bb.1722:
	s_cmp_gt_i32 s7, 27
	s_cbranch_scc0 .LBB95_1725
; %bb.1723:
	s_wait_loadcnt 0x0
	global_load_b32 v0, v[10:11], off
	s_mov_b32 s12, 0
	s_branch .LBB95_1726
.LBB95_1724:
	s_mov_b32 s12, -1
                                        ; implicit-def: $vgpr0
	s_branch .LBB95_1729
.LBB95_1725:
	s_mov_b32 s12, -1
                                        ; implicit-def: $vgpr0
.LBB95_1726:
	s_delay_alu instid0(SALU_CYCLE_1)
	s_and_not1_b32 vcc_lo, exec_lo, s12
	s_cbranch_vccnz .LBB95_1728
; %bb.1727:
	s_wait_loadcnt 0x0
	global_load_u16 v0, v[10:11], off
.LBB95_1728:
	s_mov_b32 s12, 0
.LBB95_1729:
	s_delay_alu instid0(SALU_CYCLE_1)
	s_and_not1_b32 vcc_lo, exec_lo, s12
	s_cbranch_vccnz .LBB95_1735
; %bb.1730:
	s_wait_loadcnt 0x0
	global_load_u8 v1, v[10:11], off
	s_mov_b32 s13, 0
	s_mov_b32 s12, exec_lo
	s_wait_loadcnt 0x0
	v_cmpx_lt_i16_e32 0x7f, v1
	s_xor_b32 s12, exec_lo, s12
	s_cbranch_execz .LBB95_1746
; %bb.1731:
	v_cmp_ne_u16_e32 vcc_lo, 0x80, v1
	s_and_b32 s13, vcc_lo, exec_lo
	s_and_not1_saveexec_b32 s12, s12
	s_cbranch_execnz .LBB95_1747
.LBB95_1732:
	s_or_b32 exec_lo, exec_lo, s12
	v_mov_b32_e32 v0, 0
	s_and_saveexec_b32 s12, s13
	s_cbranch_execz .LBB95_1734
.LBB95_1733:
	v_and_b32_e32 v0, 0xffff, v1
	s_delay_alu instid0(VALU_DEP_1) | instskip(SKIP_1) | instid1(VALU_DEP_2)
	v_and_b32_e32 v3, 7, v0
	v_bfe_u32 v8, v0, 3, 4
	v_clz_i32_u32_e32 v5, v3
	s_delay_alu instid0(VALU_DEP_2) | instskip(NEXT) | instid1(VALU_DEP_2)
	v_cmp_eq_u32_e32 vcc_lo, 0, v8
	v_min_u32_e32 v5, 32, v5
	s_delay_alu instid0(VALU_DEP_1) | instskip(NEXT) | instid1(VALU_DEP_1)
	v_subrev_nc_u32_e32 v7, 28, v5
	v_dual_lshlrev_b32 v0, v7, v0 :: v_dual_sub_nc_u32 v5, 29, v5
	s_delay_alu instid0(VALU_DEP_1) | instskip(NEXT) | instid1(VALU_DEP_1)
	v_dual_lshlrev_b32 v1, 24, v1 :: v_dual_bitop2_b32 v0, 7, v0 bitop3:0x40
	v_dual_cndmask_b32 v0, v3, v0 :: v_dual_cndmask_b32 v5, v8, v5
	s_delay_alu instid0(VALU_DEP_2) | instskip(NEXT) | instid1(VALU_DEP_2)
	v_and_b32_e32 v1, 0x80000000, v1
	v_lshlrev_b32_e32 v0, 20, v0
	s_delay_alu instid0(VALU_DEP_3) | instskip(NEXT) | instid1(VALU_DEP_1)
	v_lshl_add_u32 v3, v5, 23, 0x3b800000
	v_or3_b32 v0, v1, v3, v0
	s_delay_alu instid0(VALU_DEP_1)
	v_cvt_i32_f32_e32 v0, v0
.LBB95_1734:
	s_or_b32 exec_lo, exec_lo, s12
.LBB95_1735:
	s_mov_b32 s12, -1
.LBB95_1736:
	s_branch .LBB95_1767
.LBB95_1737:
	s_cmp_gt_i32 s7, 22
	s_cbranch_scc0 .LBB95_1745
; %bb.1738:
	s_cmp_lt_i32 s7, 24
	s_cbranch_scc1 .LBB95_1748
; %bb.1739:
	s_cmp_gt_i32 s7, 24
	s_cbranch_scc0 .LBB95_1749
; %bb.1740:
	s_wait_loadcnt 0x0
	global_load_u8 v1, v[10:11], off
	s_mov_b32 s12, 0
	s_mov_b32 s9, exec_lo
	s_wait_loadcnt 0x0
	v_cmpx_lt_i16_e32 0x7f, v1
	s_xor_b32 s9, exec_lo, s9
	s_cbranch_execz .LBB95_1761
; %bb.1741:
	v_cmp_ne_u16_e32 vcc_lo, 0x80, v1
	s_and_b32 s12, vcc_lo, exec_lo
	s_and_not1_saveexec_b32 s9, s9
	s_cbranch_execnz .LBB95_1762
.LBB95_1742:
	s_or_b32 exec_lo, exec_lo, s9
	v_mov_b32_e32 v0, 0
	s_and_saveexec_b32 s9, s12
	s_cbranch_execz .LBB95_1744
.LBB95_1743:
	v_and_b32_e32 v0, 0xffff, v1
	s_delay_alu instid0(VALU_DEP_1) | instskip(SKIP_1) | instid1(VALU_DEP_2)
	v_and_b32_e32 v3, 3, v0
	v_bfe_u32 v8, v0, 2, 5
	v_clz_i32_u32_e32 v5, v3
	s_delay_alu instid0(VALU_DEP_2) | instskip(NEXT) | instid1(VALU_DEP_2)
	v_cmp_eq_u32_e32 vcc_lo, 0, v8
	v_min_u32_e32 v5, 32, v5
	s_delay_alu instid0(VALU_DEP_1) | instskip(NEXT) | instid1(VALU_DEP_1)
	v_subrev_nc_u32_e32 v7, 29, v5
	v_dual_lshlrev_b32 v0, v7, v0 :: v_dual_sub_nc_u32 v5, 30, v5
	s_delay_alu instid0(VALU_DEP_1) | instskip(NEXT) | instid1(VALU_DEP_1)
	v_dual_lshlrev_b32 v1, 24, v1 :: v_dual_bitop2_b32 v0, 3, v0 bitop3:0x40
	v_dual_cndmask_b32 v0, v3, v0 :: v_dual_cndmask_b32 v5, v8, v5
	s_delay_alu instid0(VALU_DEP_2) | instskip(NEXT) | instid1(VALU_DEP_2)
	v_and_b32_e32 v1, 0x80000000, v1
	v_lshlrev_b32_e32 v0, 21, v0
	s_delay_alu instid0(VALU_DEP_3) | instskip(NEXT) | instid1(VALU_DEP_1)
	v_lshl_add_u32 v3, v5, 23, 0x37800000
	v_or3_b32 v0, v1, v3, v0
	s_delay_alu instid0(VALU_DEP_1)
	v_cvt_i32_f32_e32 v0, v0
.LBB95_1744:
	s_or_b32 exec_lo, exec_lo, s9
	s_mov_b32 s9, 0
	s_branch .LBB95_1750
.LBB95_1745:
	s_mov_b32 s9, -1
                                        ; implicit-def: $vgpr0
	s_branch .LBB95_1756
.LBB95_1746:
	s_and_not1_saveexec_b32 s12, s12
	s_cbranch_execz .LBB95_1732
.LBB95_1747:
	v_cmp_ne_u16_e32 vcc_lo, 0, v1
	s_and_not1_b32 s13, s13, exec_lo
	s_and_b32 s14, vcc_lo, exec_lo
	s_delay_alu instid0(SALU_CYCLE_1)
	s_or_b32 s13, s13, s14
	s_or_b32 exec_lo, exec_lo, s12
	v_mov_b32_e32 v0, 0
	s_and_saveexec_b32 s12, s13
	s_cbranch_execnz .LBB95_1733
	s_branch .LBB95_1734
.LBB95_1748:
	s_mov_b32 s9, -1
                                        ; implicit-def: $vgpr0
	s_branch .LBB95_1753
.LBB95_1749:
	s_mov_b32 s9, -1
                                        ; implicit-def: $vgpr0
.LBB95_1750:
	s_delay_alu instid0(SALU_CYCLE_1)
	s_and_b32 vcc_lo, exec_lo, s9
	s_cbranch_vccz .LBB95_1752
; %bb.1751:
	s_wait_loadcnt 0x0
	global_load_u8 v0, v[10:11], off
	s_wait_loadcnt 0x0
	v_lshlrev_b32_e32 v0, 24, v0
	s_delay_alu instid0(VALU_DEP_1) | instskip(NEXT) | instid1(VALU_DEP_1)
	v_and_b32_e32 v1, 0x7f000000, v0
	v_clz_i32_u32_e32 v3, v1
	v_add_nc_u32_e32 v7, 0x1000000, v1
	v_cmp_ne_u32_e32 vcc_lo, 0, v1
	s_delay_alu instid0(VALU_DEP_3) | instskip(NEXT) | instid1(VALU_DEP_1)
	v_min_u32_e32 v3, 32, v3
	v_sub_nc_u32_e64 v3, v3, 4 clamp
	s_delay_alu instid0(VALU_DEP_1) | instskip(NEXT) | instid1(VALU_DEP_1)
	v_dual_lshlrev_b32 v5, v3, v1 :: v_dual_lshlrev_b32 v3, 23, v3
	v_lshrrev_b32_e32 v5, 4, v5
	s_delay_alu instid0(VALU_DEP_1) | instskip(SKIP_1) | instid1(VALU_DEP_2)
	v_sub_nc_u32_e32 v3, v5, v3
	v_ashrrev_i32_e32 v5, 8, v7
	v_add_nc_u32_e32 v3, 0x3c000000, v3
	s_delay_alu instid0(VALU_DEP_1) | instskip(NEXT) | instid1(VALU_DEP_1)
	v_and_or_b32 v3, 0x7f800000, v5, v3
	v_cndmask_b32_e32 v1, 0, v3, vcc_lo
	s_delay_alu instid0(VALU_DEP_1) | instskip(NEXT) | instid1(VALU_DEP_1)
	v_and_or_b32 v0, 0x80000000, v0, v1
	v_cvt_i32_f32_e32 v0, v0
.LBB95_1752:
	s_mov_b32 s9, 0
.LBB95_1753:
	s_delay_alu instid0(SALU_CYCLE_1)
	s_and_not1_b32 vcc_lo, exec_lo, s9
	s_cbranch_vccnz .LBB95_1755
; %bb.1754:
	s_wait_loadcnt 0x0
	global_load_u8 v0, v[10:11], off
	s_wait_loadcnt 0x0
	v_lshlrev_b32_e32 v1, 25, v0
	v_lshlrev_b16 v0, 8, v0
	s_delay_alu instid0(VALU_DEP_1) | instskip(SKIP_1) | instid1(VALU_DEP_2)
	v_and_or_b32 v5, 0x7f00, v0, 0.5
	v_bfe_i32 v0, v0, 0, 16
	v_add_f32_e32 v5, -0.5, v5
	v_lshrrev_b32_e32 v3, 4, v1
	v_cmp_gt_u32_e32 vcc_lo, 0x8000000, v1
	s_delay_alu instid0(VALU_DEP_2) | instskip(NEXT) | instid1(VALU_DEP_1)
	v_or_b32_e32 v3, 0x70000000, v3
	v_mul_f32_e32 v3, 0x7800000, v3
	s_delay_alu instid0(VALU_DEP_1) | instskip(NEXT) | instid1(VALU_DEP_1)
	v_cndmask_b32_e32 v1, v3, v5, vcc_lo
	v_and_or_b32 v0, 0x80000000, v0, v1
	s_delay_alu instid0(VALU_DEP_1)
	v_cvt_i32_f32_e32 v0, v0
.LBB95_1755:
	s_mov_b32 s9, 0
	s_mov_b32 s12, -1
.LBB95_1756:
	s_and_not1_b32 vcc_lo, exec_lo, s9
	s_mov_b32 s9, 0
	s_cbranch_vccnz .LBB95_1767
; %bb.1757:
	s_cmp_gt_i32 s7, 14
	s_cbranch_scc0 .LBB95_1760
; %bb.1758:
	s_cmp_eq_u32 s7, 15
	s_cbranch_scc0 .LBB95_1763
; %bb.1759:
	s_wait_loadcnt 0x0
	global_load_u16 v0, v[10:11], off
	s_mov_b32 s8, 0
	s_mov_b32 s12, -1
	s_wait_loadcnt 0x0
	v_lshlrev_b32_e32 v0, 16, v0
	s_delay_alu instid0(VALU_DEP_1)
	v_cvt_i32_f32_e32 v0, v0
	s_branch .LBB95_1765
.LBB95_1760:
	s_mov_b32 s9, -1
	s_branch .LBB95_1764
.LBB95_1761:
	s_and_not1_saveexec_b32 s9, s9
	s_cbranch_execz .LBB95_1742
.LBB95_1762:
	v_cmp_ne_u16_e32 vcc_lo, 0, v1
	s_and_not1_b32 s12, s12, exec_lo
	s_and_b32 s13, vcc_lo, exec_lo
	s_delay_alu instid0(SALU_CYCLE_1)
	s_or_b32 s12, s12, s13
	s_or_b32 exec_lo, exec_lo, s9
	v_mov_b32_e32 v0, 0
	s_and_saveexec_b32 s9, s12
	s_cbranch_execnz .LBB95_1743
	s_branch .LBB95_1744
.LBB95_1763:
	s_mov_b32 s8, -1
.LBB95_1764:
                                        ; implicit-def: $vgpr0
.LBB95_1765:
	s_and_b32 vcc_lo, exec_lo, s9
	s_mov_b32 s9, 0
	s_cbranch_vccz .LBB95_1767
; %bb.1766:
	s_cmp_lg_u32 s7, 11
	s_mov_b32 s9, -1
	s_cselect_b32 s7, -1, 0
	s_and_not1_b32 s8, s8, exec_lo
	s_and_b32 s7, s7, exec_lo
	s_delay_alu instid0(SALU_CYCLE_1)
	s_or_b32 s8, s8, s7
.LBB95_1767:
	s_mov_b32 s13, 0
.LBB95_1768:
	s_and_not1_b32 s14, s49, exec_lo
	s_and_b32 s8, s8, exec_lo
	s_and_b32 s7, s12, exec_lo
	;; [unrolled: 1-line block ×4, first 2 shown]
	s_or_b32 s49, s14, s8
	s_wait_xcnt 0x0
	s_or_b32 exec_lo, exec_lo, s6
	s_and_saveexec_b32 s6, s49
	s_cbranch_execz .LBB95_1701
.LBB95_1769:
	s_or_b32 s1, s1, exec_lo
	s_and_not1_b32 s13, s13, exec_lo
	s_trap 2
	s_or_b32 exec_lo, exec_lo, s6
	s_and_saveexec_b32 s6, s13
	s_delay_alu instid0(SALU_CYCLE_1)
	s_xor_b32 s6, exec_lo, s6
	s_cbranch_execnz .LBB95_1702
.LBB95_1770:
	s_or_b32 exec_lo, exec_lo, s6
	s_and_saveexec_b32 s6, s12
	s_cbranch_execz .LBB95_1816
.LBB95_1771:
	s_sext_i32_i16 s8, s0
	s_delay_alu instid0(SALU_CYCLE_1)
	s_cmp_lt_i32 s8, 5
	s_cbranch_scc1 .LBB95_1776
; %bb.1772:
	s_cmp_lt_i32 s8, 8
	s_cbranch_scc1 .LBB95_1777
; %bb.1773:
	;; [unrolled: 3-line block ×3, first 2 shown]
	s_cmp_gt_i32 s8, 9
	s_cbranch_scc0 .LBB95_1779
; %bb.1775:
	s_wait_loadcnt 0x0
	global_load_b64 v[0:1], v[10:11], off
	s_mov_b32 s8, 0
	s_wait_loadcnt 0x0
	v_cvt_i32_f64_e32 v0, v[0:1]
	s_branch .LBB95_1780
.LBB95_1776:
                                        ; implicit-def: $vgpr0
	s_branch .LBB95_1797
.LBB95_1777:
                                        ; implicit-def: $vgpr0
	s_branch .LBB95_1786
.LBB95_1778:
	s_mov_b32 s8, -1
                                        ; implicit-def: $vgpr0
	s_branch .LBB95_1783
.LBB95_1779:
	s_mov_b32 s8, -1
                                        ; implicit-def: $vgpr0
.LBB95_1780:
	s_delay_alu instid0(SALU_CYCLE_1)
	s_and_not1_b32 vcc_lo, exec_lo, s8
	s_cbranch_vccnz .LBB95_1782
; %bb.1781:
	s_wait_loadcnt 0x0
	global_load_b32 v0, v[10:11], off
	s_wait_loadcnt 0x0
	v_cvt_i32_f32_e32 v0, v0
.LBB95_1782:
	s_mov_b32 s8, 0
.LBB95_1783:
	s_delay_alu instid0(SALU_CYCLE_1)
	s_and_not1_b32 vcc_lo, exec_lo, s8
	s_cbranch_vccnz .LBB95_1785
; %bb.1784:
	s_wait_loadcnt 0x0
	global_load_b32 v0, v[10:11], off
	s_wait_loadcnt 0x0
	v_cvt_i16_f16_e32 v0, v0
.LBB95_1785:
	s_cbranch_execnz .LBB95_1796
.LBB95_1786:
	s_sext_i32_i16 s8, s0
	s_delay_alu instid0(SALU_CYCLE_1)
	s_cmp_lt_i32 s8, 6
	s_cbranch_scc1 .LBB95_1789
; %bb.1787:
	s_cmp_gt_i32 s8, 6
	s_cbranch_scc0 .LBB95_1790
; %bb.1788:
	s_wait_loadcnt 0x0
	global_load_b64 v[0:1], v[10:11], off
	s_mov_b32 s8, 0
	s_wait_loadcnt 0x0
	v_cvt_i32_f64_e32 v0, v[0:1]
	s_branch .LBB95_1791
.LBB95_1789:
	s_mov_b32 s8, -1
                                        ; implicit-def: $vgpr0
	s_branch .LBB95_1794
.LBB95_1790:
	s_mov_b32 s8, -1
                                        ; implicit-def: $vgpr0
.LBB95_1791:
	s_delay_alu instid0(SALU_CYCLE_1)
	s_and_not1_b32 vcc_lo, exec_lo, s8
	s_cbranch_vccnz .LBB95_1793
; %bb.1792:
	s_wait_loadcnt 0x0
	global_load_b32 v0, v[10:11], off
	s_wait_loadcnt 0x0
	v_cvt_i32_f32_e32 v0, v0
.LBB95_1793:
	s_mov_b32 s8, 0
.LBB95_1794:
	s_delay_alu instid0(SALU_CYCLE_1)
	s_and_not1_b32 vcc_lo, exec_lo, s8
	s_cbranch_vccnz .LBB95_1796
; %bb.1795:
	s_wait_loadcnt 0x0
	global_load_u16 v0, v[10:11], off
	s_wait_loadcnt 0x0
	v_cvt_i16_f16_e32 v0, v0
.LBB95_1796:
	s_cbranch_execnz .LBB95_1815
.LBB95_1797:
	s_sext_i32_i16 s8, s0
	s_delay_alu instid0(SALU_CYCLE_1)
	s_cmp_lt_i32 s8, 2
	s_cbranch_scc1 .LBB95_1801
; %bb.1798:
	s_cmp_lt_i32 s8, 3
	s_cbranch_scc1 .LBB95_1802
; %bb.1799:
	s_cmp_gt_i32 s8, 3
	s_cbranch_scc0 .LBB95_1803
; %bb.1800:
	s_wait_loadcnt 0x0
	global_load_b64 v[0:1], v[10:11], off
	s_mov_b32 s8, 0
	s_branch .LBB95_1804
.LBB95_1801:
                                        ; implicit-def: $vgpr0
	s_branch .LBB95_1810
.LBB95_1802:
	s_mov_b32 s8, -1
                                        ; implicit-def: $vgpr0
	s_branch .LBB95_1807
.LBB95_1803:
	s_mov_b32 s8, -1
                                        ; implicit-def: $vgpr0
.LBB95_1804:
	s_delay_alu instid0(SALU_CYCLE_1)
	s_and_not1_b32 vcc_lo, exec_lo, s8
	s_cbranch_vccnz .LBB95_1806
; %bb.1805:
	s_wait_loadcnt 0x0
	global_load_b32 v0, v[10:11], off
.LBB95_1806:
	s_mov_b32 s8, 0
.LBB95_1807:
	s_delay_alu instid0(SALU_CYCLE_1)
	s_and_not1_b32 vcc_lo, exec_lo, s8
	s_cbranch_vccnz .LBB95_1809
; %bb.1808:
	s_wait_loadcnt 0x0
	global_load_u16 v0, v[10:11], off
.LBB95_1809:
	s_cbranch_execnz .LBB95_1815
.LBB95_1810:
	s_sext_i32_i16 s0, s0
	s_delay_alu instid0(SALU_CYCLE_1)
	s_cmp_gt_i32 s0, 0
	s_mov_b32 s0, 0
	s_cbranch_scc0 .LBB95_1812
; %bb.1811:
	s_wait_loadcnt 0x0
	global_load_i8 v0, v[10:11], off
	s_branch .LBB95_1813
.LBB95_1812:
	s_mov_b32 s0, -1
                                        ; implicit-def: $vgpr0
.LBB95_1813:
	s_delay_alu instid0(SALU_CYCLE_1)
	s_and_not1_b32 vcc_lo, exec_lo, s0
	s_cbranch_vccnz .LBB95_1815
; %bb.1814:
	s_wait_loadcnt 0x0
	global_load_u8 v0, v[10:11], off
.LBB95_1815:
	s_or_b32 s7, s7, exec_lo
.LBB95_1816:
	s_wait_xcnt 0x0
	s_or_b32 exec_lo, exec_lo, s6
	s_mov_b32 s9, 0
	s_mov_b32 s6, 0
	;; [unrolled: 1-line block ×3, first 2 shown]
                                        ; implicit-def: $vgpr8_vgpr9
                                        ; implicit-def: $vgpr10
	s_and_saveexec_b32 s0, s7
	s_cbranch_execz .LBB95_1824
; %bb.1817:
	v_mov_b32_e32 v7, 0
	s_and_b32 s6, 0xffff, s40
	s_delay_alu instid0(SALU_CYCLE_1) | instskip(SKIP_1) | instid1(VALU_DEP_1)
	s_cmp_lt_i32 s6, 11
	s_wait_loadcnt 0x0
	v_add_nc_u64_e32 v[8:9], s[10:11], v[6:7]
	s_cbranch_scc1 .LBB95_1827
; %bb.1818:
	s_cmp_gt_i32 s6, 25
	s_cbranch_scc0 .LBB95_1828
; %bb.1819:
	s_cmp_gt_i32 s6, 28
	s_cbranch_scc0 .LBB95_1829
	;; [unrolled: 3-line block ×4, first 2 shown]
; %bb.1822:
	s_cmp_eq_u32 s6, 46
	s_mov_b32 s10, 0
	s_cbranch_scc0 .LBB95_1832
; %bb.1823:
	global_load_b32 v1, v[8:9], off
	s_mov_b32 s7, 0
	s_mov_b32 s8, -1
	s_wait_loadcnt 0x0
	v_lshlrev_b32_e32 v1, 16, v1
	s_delay_alu instid0(VALU_DEP_1)
	v_cvt_i32_f32_e32 v10, v1
	s_branch .LBB95_1834
.LBB95_1824:
	s_or_b32 exec_lo, exec_lo, s0
	s_and_saveexec_b32 s0, s48
	s_cbranch_execnz .LBB95_1893
.LBB95_1825:
	s_or_b32 exec_lo, exec_lo, s0
	s_and_saveexec_b32 s0, s9
	s_delay_alu instid0(SALU_CYCLE_1)
	s_xor_b32 s0, exec_lo, s0
	s_cbranch_execz .LBB95_1894
.LBB95_1826:
	s_wait_loadcnt 0x0
	global_load_u8 v1, v[8:9], off
	s_or_b32 s8, s8, exec_lo
	s_wait_loadcnt 0x0
	v_cmp_ne_u16_e32 vcc_lo, 0, v1
	v_cndmask_b32_e64 v10, 0, 1, vcc_lo
	s_wait_xcnt 0x0
	s_or_b32 exec_lo, exec_lo, s0
	s_and_saveexec_b32 s0, s6
	s_cbranch_execz .LBB95_1940
	s_branch .LBB95_1895
.LBB95_1827:
	s_mov_b32 s6, -1
	s_mov_b32 s7, s48
                                        ; implicit-def: $vgpr10
	s_branch .LBB95_1892
.LBB95_1828:
	s_mov_b32 s7, s48
                                        ; implicit-def: $vgpr10
	s_cbranch_execnz .LBB95_1861
	s_branch .LBB95_1891
.LBB95_1829:
	s_mov_b32 s10, -1
	s_mov_b32 s7, s48
                                        ; implicit-def: $vgpr10
	s_branch .LBB95_1844
.LBB95_1830:
	s_mov_b32 s10, -1
	s_mov_b32 s7, s48
                                        ; implicit-def: $vgpr10
	s_branch .LBB95_1839
.LBB95_1831:
	s_mov_b32 s10, -1
	s_mov_b32 s7, s48
	s_branch .LBB95_1833
.LBB95_1832:
	s_mov_b32 s7, -1
.LBB95_1833:
                                        ; implicit-def: $vgpr10
.LBB95_1834:
	s_and_b32 vcc_lo, exec_lo, s10
	s_cbranch_vccz .LBB95_1838
; %bb.1835:
	s_cmp_eq_u32 s6, 44
	s_cbranch_scc0 .LBB95_1837
; %bb.1836:
	global_load_u8 v1, v[8:9], off
	s_mov_b32 s7, 0
	s_mov_b32 s8, -1
	s_wait_loadcnt 0x0
	v_lshlrev_b32_e32 v3, 23, v1
	v_cmp_ne_u32_e32 vcc_lo, 0, v1
	s_delay_alu instid0(VALU_DEP_2) | instskip(NEXT) | instid1(VALU_DEP_1)
	v_cvt_i32_f32_e32 v3, v3
	v_cndmask_b32_e32 v10, 0, v3, vcc_lo
	s_branch .LBB95_1838
.LBB95_1837:
	s_mov_b32 s7, -1
                                        ; implicit-def: $vgpr10
.LBB95_1838:
	s_mov_b32 s10, 0
.LBB95_1839:
	s_delay_alu instid0(SALU_CYCLE_1)
	s_and_b32 vcc_lo, exec_lo, s10
	s_cbranch_vccz .LBB95_1843
; %bb.1840:
	s_cmp_eq_u32 s6, 29
	s_cbranch_scc0 .LBB95_1842
; %bb.1841:
	global_load_b64 v[10:11], v[8:9], off
	s_mov_b32 s7, 0
	s_mov_b32 s8, -1
	s_branch .LBB95_1843
.LBB95_1842:
	s_mov_b32 s7, -1
                                        ; implicit-def: $vgpr10
.LBB95_1843:
	s_mov_b32 s10, 0
.LBB95_1844:
	s_delay_alu instid0(SALU_CYCLE_1)
	s_and_b32 vcc_lo, exec_lo, s10
	s_cbranch_vccz .LBB95_1860
; %bb.1845:
	s_cmp_lt_i32 s6, 27
	s_cbranch_scc1 .LBB95_1848
; %bb.1846:
	s_cmp_gt_i32 s6, 27
	s_cbranch_scc0 .LBB95_1849
; %bb.1847:
	s_wait_loadcnt 0x0
	global_load_b32 v10, v[8:9], off
	s_mov_b32 s8, 0
	s_branch .LBB95_1850
.LBB95_1848:
	s_mov_b32 s8, -1
                                        ; implicit-def: $vgpr10
	s_branch .LBB95_1853
.LBB95_1849:
	s_mov_b32 s8, -1
                                        ; implicit-def: $vgpr10
.LBB95_1850:
	s_delay_alu instid0(SALU_CYCLE_1)
	s_and_not1_b32 vcc_lo, exec_lo, s8
	s_cbranch_vccnz .LBB95_1852
; %bb.1851:
	s_wait_loadcnt 0x0
	global_load_u16 v10, v[8:9], off
.LBB95_1852:
	s_mov_b32 s8, 0
.LBB95_1853:
	s_delay_alu instid0(SALU_CYCLE_1)
	s_and_not1_b32 vcc_lo, exec_lo, s8
	s_cbranch_vccnz .LBB95_1859
; %bb.1854:
	global_load_u8 v1, v[8:9], off
	s_mov_b32 s10, 0
	s_mov_b32 s8, exec_lo
	s_wait_loadcnt 0x0
	v_cmpx_lt_i16_e32 0x7f, v1
	s_xor_b32 s8, exec_lo, s8
	s_cbranch_execz .LBB95_1870
; %bb.1855:
	v_cmp_ne_u16_e32 vcc_lo, 0x80, v1
	s_and_b32 s10, vcc_lo, exec_lo
	s_and_not1_saveexec_b32 s8, s8
	s_cbranch_execnz .LBB95_1871
.LBB95_1856:
	s_or_b32 exec_lo, exec_lo, s8
	v_mov_b32_e32 v10, 0
	s_and_saveexec_b32 s8, s10
	s_cbranch_execz .LBB95_1858
.LBB95_1857:
	v_and_b32_e32 v3, 0xffff, v1
	s_delay_alu instid0(VALU_DEP_1) | instskip(SKIP_1) | instid1(VALU_DEP_2)
	v_and_b32_e32 v5, 7, v3
	v_bfe_u32 v10, v3, 3, 4
	v_clz_i32_u32_e32 v6, v5
	s_delay_alu instid0(VALU_DEP_2) | instskip(NEXT) | instid1(VALU_DEP_2)
	v_cmp_eq_u32_e32 vcc_lo, 0, v10
	v_min_u32_e32 v6, 32, v6
	s_delay_alu instid0(VALU_DEP_1) | instskip(NEXT) | instid1(VALU_DEP_1)
	v_subrev_nc_u32_e32 v7, 28, v6
	v_dual_lshlrev_b32 v3, v7, v3 :: v_dual_sub_nc_u32 v6, 29, v6
	s_delay_alu instid0(VALU_DEP_1) | instskip(NEXT) | instid1(VALU_DEP_1)
	v_dual_lshlrev_b32 v1, 24, v1 :: v_dual_bitop2_b32 v3, 7, v3 bitop3:0x40
	v_dual_cndmask_b32 v6, v10, v6 :: v_dual_cndmask_b32 v3, v5, v3
	s_delay_alu instid0(VALU_DEP_2) | instskip(NEXT) | instid1(VALU_DEP_2)
	v_and_b32_e32 v1, 0x80000000, v1
	v_lshl_add_u32 v5, v6, 23, 0x3b800000
	s_delay_alu instid0(VALU_DEP_3) | instskip(NEXT) | instid1(VALU_DEP_1)
	v_lshlrev_b32_e32 v3, 20, v3
	v_or3_b32 v1, v1, v5, v3
	s_delay_alu instid0(VALU_DEP_1)
	v_cvt_i32_f32_e32 v10, v1
.LBB95_1858:
	s_or_b32 exec_lo, exec_lo, s8
.LBB95_1859:
	s_mov_b32 s8, -1
.LBB95_1860:
	s_branch .LBB95_1891
.LBB95_1861:
	s_cmp_gt_i32 s6, 22
	s_cbranch_scc0 .LBB95_1869
; %bb.1862:
	s_cmp_lt_i32 s6, 24
	s_cbranch_scc1 .LBB95_1872
; %bb.1863:
	s_cmp_gt_i32 s6, 24
	s_cbranch_scc0 .LBB95_1873
; %bb.1864:
	global_load_u8 v1, v[8:9], off
	s_mov_b32 s8, exec_lo
	s_wait_loadcnt 0x0
	v_cmpx_lt_i16_e32 0x7f, v1
	s_xor_b32 s8, exec_lo, s8
	s_cbranch_execz .LBB95_1885
; %bb.1865:
	v_cmp_ne_u16_e32 vcc_lo, 0x80, v1
	s_and_b32 s9, vcc_lo, exec_lo
	s_and_not1_saveexec_b32 s8, s8
	s_cbranch_execnz .LBB95_1886
.LBB95_1866:
	s_or_b32 exec_lo, exec_lo, s8
	v_mov_b32_e32 v10, 0
	s_and_saveexec_b32 s8, s9
	s_cbranch_execz .LBB95_1868
.LBB95_1867:
	v_and_b32_e32 v3, 0xffff, v1
	s_delay_alu instid0(VALU_DEP_1) | instskip(SKIP_1) | instid1(VALU_DEP_2)
	v_and_b32_e32 v5, 3, v3
	v_bfe_u32 v10, v3, 2, 5
	v_clz_i32_u32_e32 v6, v5
	s_delay_alu instid0(VALU_DEP_2) | instskip(NEXT) | instid1(VALU_DEP_2)
	v_cmp_eq_u32_e32 vcc_lo, 0, v10
	v_min_u32_e32 v6, 32, v6
	s_delay_alu instid0(VALU_DEP_1) | instskip(NEXT) | instid1(VALU_DEP_1)
	v_subrev_nc_u32_e32 v7, 29, v6
	v_dual_lshlrev_b32 v3, v7, v3 :: v_dual_sub_nc_u32 v6, 30, v6
	s_delay_alu instid0(VALU_DEP_1) | instskip(NEXT) | instid1(VALU_DEP_1)
	v_dual_lshlrev_b32 v1, 24, v1 :: v_dual_bitop2_b32 v3, 3, v3 bitop3:0x40
	v_dual_cndmask_b32 v6, v10, v6 :: v_dual_cndmask_b32 v3, v5, v3
	s_delay_alu instid0(VALU_DEP_2) | instskip(NEXT) | instid1(VALU_DEP_2)
	v_and_b32_e32 v1, 0x80000000, v1
	v_lshl_add_u32 v5, v6, 23, 0x37800000
	s_delay_alu instid0(VALU_DEP_3) | instskip(NEXT) | instid1(VALU_DEP_1)
	v_lshlrev_b32_e32 v3, 21, v3
	v_or3_b32 v1, v1, v5, v3
	s_delay_alu instid0(VALU_DEP_1)
	v_cvt_i32_f32_e32 v10, v1
.LBB95_1868:
	s_or_b32 exec_lo, exec_lo, s8
	s_mov_b32 s8, 0
	s_branch .LBB95_1874
.LBB95_1869:
	s_mov_b32 s9, -1
                                        ; implicit-def: $vgpr10
	s_branch .LBB95_1880
.LBB95_1870:
	s_and_not1_saveexec_b32 s8, s8
	s_cbranch_execz .LBB95_1856
.LBB95_1871:
	v_cmp_ne_u16_e32 vcc_lo, 0, v1
	s_and_not1_b32 s10, s10, exec_lo
	s_and_b32 s11, vcc_lo, exec_lo
	s_delay_alu instid0(SALU_CYCLE_1)
	s_or_b32 s10, s10, s11
	s_or_b32 exec_lo, exec_lo, s8
	v_mov_b32_e32 v10, 0
	s_and_saveexec_b32 s8, s10
	s_cbranch_execnz .LBB95_1857
	s_branch .LBB95_1858
.LBB95_1872:
	s_mov_b32 s8, -1
                                        ; implicit-def: $vgpr10
	s_branch .LBB95_1877
.LBB95_1873:
	s_mov_b32 s8, -1
                                        ; implicit-def: $vgpr10
.LBB95_1874:
	s_delay_alu instid0(SALU_CYCLE_1)
	s_and_b32 vcc_lo, exec_lo, s8
	s_cbranch_vccz .LBB95_1876
; %bb.1875:
	global_load_u8 v1, v[8:9], off
	s_wait_loadcnt 0x0
	v_lshlrev_b32_e32 v1, 24, v1
	s_delay_alu instid0(VALU_DEP_1) | instskip(NEXT) | instid1(VALU_DEP_1)
	v_and_b32_e32 v3, 0x7f000000, v1
	v_clz_i32_u32_e32 v5, v3
	v_add_nc_u32_e32 v7, 0x1000000, v3
	v_cmp_ne_u32_e32 vcc_lo, 0, v3
	s_delay_alu instid0(VALU_DEP_3) | instskip(NEXT) | instid1(VALU_DEP_1)
	v_min_u32_e32 v5, 32, v5
	v_sub_nc_u32_e64 v5, v5, 4 clamp
	s_delay_alu instid0(VALU_DEP_1) | instskip(NEXT) | instid1(VALU_DEP_1)
	v_dual_lshlrev_b32 v6, v5, v3 :: v_dual_lshlrev_b32 v5, 23, v5
	v_lshrrev_b32_e32 v6, 4, v6
	s_delay_alu instid0(VALU_DEP_1) | instskip(NEXT) | instid1(VALU_DEP_1)
	v_dual_sub_nc_u32 v5, v6, v5 :: v_dual_ashrrev_i32 v6, 8, v7
	v_add_nc_u32_e32 v5, 0x3c000000, v5
	s_delay_alu instid0(VALU_DEP_1) | instskip(NEXT) | instid1(VALU_DEP_1)
	v_and_or_b32 v5, 0x7f800000, v6, v5
	v_cndmask_b32_e32 v3, 0, v5, vcc_lo
	s_delay_alu instid0(VALU_DEP_1) | instskip(NEXT) | instid1(VALU_DEP_1)
	v_and_or_b32 v1, 0x80000000, v1, v3
	v_cvt_i32_f32_e32 v10, v1
.LBB95_1876:
	s_mov_b32 s8, 0
.LBB95_1877:
	s_delay_alu instid0(SALU_CYCLE_1)
	s_and_not1_b32 vcc_lo, exec_lo, s8
	s_cbranch_vccnz .LBB95_1879
; %bb.1878:
	global_load_u8 v1, v[8:9], off
	s_wait_loadcnt 0x0
	v_lshlrev_b32_e32 v3, 25, v1
	v_lshlrev_b16 v1, 8, v1
	s_delay_alu instid0(VALU_DEP_1) | instskip(SKIP_1) | instid1(VALU_DEP_2)
	v_and_or_b32 v6, 0x7f00, v1, 0.5
	v_bfe_i32 v1, v1, 0, 16
	v_dual_add_f32 v6, -0.5, v6 :: v_dual_lshrrev_b32 v5, 4, v3
	v_cmp_gt_u32_e32 vcc_lo, 0x8000000, v3
	s_delay_alu instid0(VALU_DEP_2) | instskip(NEXT) | instid1(VALU_DEP_1)
	v_or_b32_e32 v5, 0x70000000, v5
	v_mul_f32_e32 v5, 0x7800000, v5
	s_delay_alu instid0(VALU_DEP_1) | instskip(NEXT) | instid1(VALU_DEP_1)
	v_cndmask_b32_e32 v3, v5, v6, vcc_lo
	v_and_or_b32 v1, 0x80000000, v1, v3
	s_delay_alu instid0(VALU_DEP_1)
	v_cvt_i32_f32_e32 v10, v1
.LBB95_1879:
	s_mov_b32 s9, 0
	s_mov_b32 s8, -1
.LBB95_1880:
	s_and_not1_b32 vcc_lo, exec_lo, s9
	s_mov_b32 s9, 0
	s_cbranch_vccnz .LBB95_1891
; %bb.1881:
	s_cmp_gt_i32 s6, 14
	s_cbranch_scc0 .LBB95_1884
; %bb.1882:
	s_cmp_eq_u32 s6, 15
	s_cbranch_scc0 .LBB95_1887
; %bb.1883:
	global_load_u16 v1, v[8:9], off
	s_mov_b32 s7, 0
	s_mov_b32 s8, -1
	s_wait_loadcnt 0x0
	v_lshlrev_b32_e32 v1, 16, v1
	s_delay_alu instid0(VALU_DEP_1)
	v_cvt_i32_f32_e32 v10, v1
	s_branch .LBB95_1889
.LBB95_1884:
	s_mov_b32 s9, -1
	s_branch .LBB95_1888
.LBB95_1885:
	s_and_not1_saveexec_b32 s8, s8
	s_cbranch_execz .LBB95_1866
.LBB95_1886:
	v_cmp_ne_u16_e32 vcc_lo, 0, v1
	s_and_not1_b32 s9, s9, exec_lo
	s_and_b32 s10, vcc_lo, exec_lo
	s_delay_alu instid0(SALU_CYCLE_1)
	s_or_b32 s9, s9, s10
	s_or_b32 exec_lo, exec_lo, s8
	v_mov_b32_e32 v10, 0
	s_and_saveexec_b32 s8, s9
	s_cbranch_execnz .LBB95_1867
	s_branch .LBB95_1868
.LBB95_1887:
	s_mov_b32 s7, -1
.LBB95_1888:
                                        ; implicit-def: $vgpr10
.LBB95_1889:
	s_and_b32 vcc_lo, exec_lo, s9
	s_mov_b32 s9, 0
	s_cbranch_vccz .LBB95_1891
; %bb.1890:
	s_cmp_lg_u32 s6, 11
	s_mov_b32 s9, -1
	s_cselect_b32 s6, -1, 0
	s_and_not1_b32 s7, s7, exec_lo
	s_and_b32 s6, s6, exec_lo
	s_delay_alu instid0(SALU_CYCLE_1)
	s_or_b32 s7, s7, s6
.LBB95_1891:
	s_mov_b32 s6, 0
.LBB95_1892:
	s_and_not1_b32 s10, s48, exec_lo
	s_and_b32 s7, s7, exec_lo
	s_and_b32 s8, s8, exec_lo
	;; [unrolled: 1-line block ×4, first 2 shown]
	s_or_b32 s48, s10, s7
	s_wait_xcnt 0x0
	s_or_b32 exec_lo, exec_lo, s0
	s_and_saveexec_b32 s0, s48
	s_cbranch_execz .LBB95_1825
.LBB95_1893:
	s_or_b32 s1, s1, exec_lo
	s_and_not1_b32 s9, s9, exec_lo
	s_trap 2
	s_or_b32 exec_lo, exec_lo, s0
	s_and_saveexec_b32 s0, s9
	s_delay_alu instid0(SALU_CYCLE_1)
	s_xor_b32 s0, exec_lo, s0
	s_cbranch_execnz .LBB95_1826
.LBB95_1894:
	s_or_b32 exec_lo, exec_lo, s0
	s_and_saveexec_b32 s0, s6
	s_cbranch_execz .LBB95_1940
.LBB95_1895:
	s_sext_i32_i16 s6, s40
	s_delay_alu instid0(SALU_CYCLE_1)
	s_cmp_lt_i32 s6, 5
	s_cbranch_scc1 .LBB95_1900
; %bb.1896:
	s_cmp_lt_i32 s6, 8
	s_cbranch_scc1 .LBB95_1901
; %bb.1897:
	;; [unrolled: 3-line block ×3, first 2 shown]
	s_cmp_gt_i32 s6, 9
	s_cbranch_scc0 .LBB95_1903
; %bb.1899:
	s_wait_loadcnt 0x0
	global_load_b64 v[6:7], v[8:9], off
	s_mov_b32 s6, 0
	s_wait_loadcnt 0x0
	v_cvt_i32_f64_e32 v10, v[6:7]
	s_branch .LBB95_1904
.LBB95_1900:
                                        ; implicit-def: $vgpr10
	s_branch .LBB95_1921
.LBB95_1901:
                                        ; implicit-def: $vgpr10
	s_branch .LBB95_1910
.LBB95_1902:
	s_mov_b32 s6, -1
                                        ; implicit-def: $vgpr10
	s_branch .LBB95_1907
.LBB95_1903:
	s_mov_b32 s6, -1
                                        ; implicit-def: $vgpr10
.LBB95_1904:
	s_delay_alu instid0(SALU_CYCLE_1)
	s_and_not1_b32 vcc_lo, exec_lo, s6
	s_cbranch_vccnz .LBB95_1906
; %bb.1905:
	s_wait_loadcnt 0x0
	global_load_b32 v1, v[8:9], off
	s_wait_loadcnt 0x0
	v_cvt_i32_f32_e32 v10, v1
.LBB95_1906:
	s_mov_b32 s6, 0
.LBB95_1907:
	s_delay_alu instid0(SALU_CYCLE_1)
	s_and_not1_b32 vcc_lo, exec_lo, s6
	s_cbranch_vccnz .LBB95_1909
; %bb.1908:
	s_wait_loadcnt 0x0
	global_load_b32 v1, v[8:9], off
	s_wait_loadcnt 0x0
	v_cvt_i16_f16_e32 v10, v1
.LBB95_1909:
	s_cbranch_execnz .LBB95_1920
.LBB95_1910:
	s_sext_i32_i16 s6, s40
	s_delay_alu instid0(SALU_CYCLE_1)
	s_cmp_lt_i32 s6, 6
	s_cbranch_scc1 .LBB95_1913
; %bb.1911:
	s_cmp_gt_i32 s6, 6
	s_cbranch_scc0 .LBB95_1914
; %bb.1912:
	s_wait_loadcnt 0x0
	global_load_b64 v[6:7], v[8:9], off
	s_mov_b32 s6, 0
	s_wait_loadcnt 0x0
	v_cvt_i32_f64_e32 v10, v[6:7]
	s_branch .LBB95_1915
.LBB95_1913:
	s_mov_b32 s6, -1
                                        ; implicit-def: $vgpr10
	s_branch .LBB95_1918
.LBB95_1914:
	s_mov_b32 s6, -1
                                        ; implicit-def: $vgpr10
.LBB95_1915:
	s_delay_alu instid0(SALU_CYCLE_1)
	s_and_not1_b32 vcc_lo, exec_lo, s6
	s_cbranch_vccnz .LBB95_1917
; %bb.1916:
	s_wait_loadcnt 0x0
	global_load_b32 v1, v[8:9], off
	s_wait_loadcnt 0x0
	v_cvt_i32_f32_e32 v10, v1
.LBB95_1917:
	s_mov_b32 s6, 0
.LBB95_1918:
	s_delay_alu instid0(SALU_CYCLE_1)
	s_and_not1_b32 vcc_lo, exec_lo, s6
	s_cbranch_vccnz .LBB95_1920
; %bb.1919:
	s_wait_loadcnt 0x0
	global_load_u16 v1, v[8:9], off
	s_wait_loadcnt 0x0
	v_cvt_i16_f16_e32 v10, v1
.LBB95_1920:
	s_cbranch_execnz .LBB95_1939
.LBB95_1921:
	s_sext_i32_i16 s6, s40
	s_delay_alu instid0(SALU_CYCLE_1)
	s_cmp_lt_i32 s6, 2
	s_cbranch_scc1 .LBB95_1925
; %bb.1922:
	s_cmp_lt_i32 s6, 3
	s_cbranch_scc1 .LBB95_1926
; %bb.1923:
	s_cmp_gt_i32 s6, 3
	s_cbranch_scc0 .LBB95_1927
; %bb.1924:
	s_wait_loadcnt 0x0
	global_load_b64 v[10:11], v[8:9], off
	s_mov_b32 s6, 0
	s_branch .LBB95_1928
.LBB95_1925:
                                        ; implicit-def: $vgpr10
	s_branch .LBB95_1934
.LBB95_1926:
	s_mov_b32 s6, -1
                                        ; implicit-def: $vgpr10
	s_branch .LBB95_1931
.LBB95_1927:
	s_mov_b32 s6, -1
                                        ; implicit-def: $vgpr10
.LBB95_1928:
	s_delay_alu instid0(SALU_CYCLE_1)
	s_and_not1_b32 vcc_lo, exec_lo, s6
	s_cbranch_vccnz .LBB95_1930
; %bb.1929:
	s_wait_loadcnt 0x0
	global_load_b32 v10, v[8:9], off
.LBB95_1930:
	s_mov_b32 s6, 0
.LBB95_1931:
	s_delay_alu instid0(SALU_CYCLE_1)
	s_and_not1_b32 vcc_lo, exec_lo, s6
	s_cbranch_vccnz .LBB95_1933
; %bb.1932:
	s_wait_loadcnt 0x0
	global_load_u16 v10, v[8:9], off
.LBB95_1933:
	s_cbranch_execnz .LBB95_1939
.LBB95_1934:
	s_sext_i32_i16 s6, s40
	s_delay_alu instid0(SALU_CYCLE_1)
	s_cmp_gt_i32 s6, 0
	s_mov_b32 s6, 0
	s_cbranch_scc0 .LBB95_1936
; %bb.1935:
	s_wait_loadcnt 0x0
	global_load_i8 v10, v[8:9], off
	s_branch .LBB95_1937
.LBB95_1936:
	s_mov_b32 s6, -1
                                        ; implicit-def: $vgpr10
.LBB95_1937:
	s_delay_alu instid0(SALU_CYCLE_1)
	s_and_not1_b32 vcc_lo, exec_lo, s6
	s_cbranch_vccnz .LBB95_1939
; %bb.1938:
	s_wait_loadcnt 0x0
	global_load_u8 v10, v[8:9], off
.LBB95_1939:
	s_or_b32 s8, s8, exec_lo
.LBB95_1940:
	s_wait_xcnt 0x0
	s_or_b32 exec_lo, exec_lo, s0
	s_mov_b32 s0, 0
	s_mov_b32 s9, 0
                                        ; implicit-def: $sgpr6
                                        ; implicit-def: $vgpr6_vgpr7
                                        ; implicit-def: $vgpr3
	s_and_saveexec_b32 s7, s8
	s_cbranch_execz .LBB95_1948
; %bb.1941:
	v_mov_b32_e32 v3, 0
	s_wait_loadcnt 0x0
	v_mul_lo_u16 v1, v4, s24
	v_mul_lo_u16 v0, v0, s21
	s_and_b32 s6, s25, 0xff
	s_delay_alu instid0(SALU_CYCLE_1) | instskip(SKIP_1) | instid1(VALU_DEP_2)
	s_cmp_lt_i32 s6, 11
	v_add_nc_u64_e32 v[6:7], s[4:5], v[2:3]
	v_mad_u16 v3, v0, v10, v1
	s_cbranch_scc1 .LBB95_1951
; %bb.1942:
	s_and_b32 s4, 0xffff, s6
	s_mov_b32 s5, -1
	s_cmp_gt_i32 s4, 25
	s_mov_b32 s0, s44
	s_cbranch_scc0 .LBB95_1979
; %bb.1943:
	s_cmp_gt_i32 s4, 28
	s_mov_b32 s0, s44
	s_cbranch_scc0 .LBB95_1963
; %bb.1944:
	;; [unrolled: 4-line block ×4, first 2 shown]
	s_cmp_eq_u32 s4, 46
	s_mov_b32 s0, -1
	s_cbranch_scc0 .LBB95_1952
; %bb.1947:
	v_bfe_i32 v0, v3, 0, 16
	s_mov_b32 s0, 0
	s_mov_b32 s5, 0
	s_delay_alu instid0(VALU_DEP_1) | instskip(NEXT) | instid1(VALU_DEP_1)
	v_cvt_f32_i32_e32 v0, v0
	v_bfe_u32 v1, v0, 16, 1
	s_delay_alu instid0(VALU_DEP_1) | instskip(NEXT) | instid1(VALU_DEP_1)
	v_add3_u32 v0, v0, v1, 0x7fff
	v_lshrrev_b32_e32 v0, 16, v0
	global_store_b32 v[6:7], v0, off
	s_branch .LBB95_1953
.LBB95_1948:
	s_or_b32 exec_lo, exec_lo, s7
	s_and_saveexec_b32 s4, s44
	s_cbranch_execnz .LBB95_2021
.LBB95_1949:
	s_or_b32 exec_lo, exec_lo, s4
	s_and_saveexec_b32 s4, s0
	s_delay_alu instid0(SALU_CYCLE_1)
	s_xor_b32 s0, exec_lo, s4
	s_cbranch_execz .LBB95_2022
.LBB95_1950:
	v_cmp_ne_u16_e32 vcc_lo, 0, v3
	s_wait_loadcnt 0x0
	v_cndmask_b32_e64 v0, 0, 1, vcc_lo
	global_store_b8 v[6:7], v0, off
	s_wait_xcnt 0x0
	s_or_b32 exec_lo, exec_lo, s0
	s_and_saveexec_b32 s0, s9
	s_delay_alu instid0(SALU_CYCLE_1)
	s_xor_b32 s0, exec_lo, s0
	s_cbranch_execz .LBB95_2060
	s_branch .LBB95_2023
.LBB95_1951:
	s_mov_b32 s8, 0
	s_mov_b32 s5, -1
	s_mov_b32 s0, s44
	s_branch .LBB95_2020
.LBB95_1952:
	s_mov_b32 s5, 0
.LBB95_1953:
	s_delay_alu instid0(SALU_CYCLE_1)
	s_and_b32 vcc_lo, exec_lo, s5
	s_cbranch_vccz .LBB95_1958
; %bb.1954:
	s_cmp_eq_u32 s4, 44
	s_mov_b32 s0, -1
	s_cbranch_scc0 .LBB95_1958
; %bb.1955:
	s_wait_xcnt 0x0
	v_bfe_i32 v0, v3, 0, 16
	v_mov_b32_e32 v1, 0xff
	s_mov_b32 s5, exec_lo
	s_delay_alu instid0(VALU_DEP_2) | instskip(NEXT) | instid1(VALU_DEP_1)
	v_cvt_f32_i32_e32 v0, v0
	v_bfe_u32 v2, v0, 23, 8
	s_delay_alu instid0(VALU_DEP_1)
	v_cmpx_ne_u32_e32 0xff, v2
	s_cbranch_execz .LBB95_1957
; %bb.1956:
	v_and_b32_e32 v1, 0x400000, v0
	v_and_or_b32 v2, 0x3fffff, v0, v2
	v_lshrrev_b32_e32 v0, 23, v0
	s_delay_alu instid0(VALU_DEP_3) | instskip(NEXT) | instid1(VALU_DEP_3)
	v_cmp_ne_u32_e32 vcc_lo, 0, v1
	v_cmp_ne_u32_e64 s0, 0, v2
	s_and_b32 s0, vcc_lo, s0
	s_delay_alu instid0(SALU_CYCLE_1) | instskip(NEXT) | instid1(VALU_DEP_1)
	v_cndmask_b32_e64 v1, 0, 1, s0
	v_add_nc_u32_e32 v1, v0, v1
.LBB95_1957:
	s_or_b32 exec_lo, exec_lo, s5
	s_mov_b32 s0, 0
	global_store_b8 v[6:7], v1, off
.LBB95_1958:
	s_mov_b32 s5, 0
.LBB95_1959:
	s_delay_alu instid0(SALU_CYCLE_1)
	s_and_b32 vcc_lo, exec_lo, s5
	s_cbranch_vccz .LBB95_1962
; %bb.1960:
	s_cmp_eq_u32 s4, 29
	s_mov_b32 s0, -1
	s_cbranch_scc0 .LBB95_1962
; %bb.1961:
	s_wait_xcnt 0x0
	v_bfe_i32 v0, v3, 0, 16
	s_mov_b32 s0, 0
	s_mov_b32 s5, 0
	s_delay_alu instid0(VALU_DEP_1)
	v_ashrrev_i32_e32 v1, 31, v0
	global_store_b64 v[6:7], v[0:1], off
	s_branch .LBB95_1963
.LBB95_1962:
	s_mov_b32 s5, 0
.LBB95_1963:
	s_delay_alu instid0(SALU_CYCLE_1)
	s_and_b32 vcc_lo, exec_lo, s5
	s_cbranch_vccz .LBB95_1978
; %bb.1964:
	s_cmp_lt_i32 s4, 27
	s_mov_b32 s5, -1
	s_cbranch_scc1 .LBB95_1970
; %bb.1965:
	s_cmp_gt_i32 s4, 27
	s_cbranch_scc0 .LBB95_1967
; %bb.1966:
	s_wait_xcnt 0x0
	v_bfe_i32 v0, v3, 0, 16
	s_mov_b32 s5, 0
	global_store_b32 v[6:7], v0, off
.LBB95_1967:
	s_and_not1_b32 vcc_lo, exec_lo, s5
	s_cbranch_vccnz .LBB95_1969
; %bb.1968:
	global_store_b16 v[6:7], v3, off
.LBB95_1969:
	s_mov_b32 s5, 0
.LBB95_1970:
	s_delay_alu instid0(SALU_CYCLE_1)
	s_and_not1_b32 vcc_lo, exec_lo, s5
	s_cbranch_vccnz .LBB95_1978
; %bb.1971:
	s_wait_xcnt 0x0
	v_bfe_i32 v0, v3, 0, 16
	v_mov_b32_e32 v2, 0x80
	s_mov_b32 s5, exec_lo
	s_delay_alu instid0(VALU_DEP_2) | instskip(NEXT) | instid1(VALU_DEP_1)
	v_cvt_f32_i32_e32 v0, v0
	v_and_b32_e32 v1, 0x7fffffff, v0
	s_delay_alu instid0(VALU_DEP_1)
	v_cmpx_gt_u32_e32 0x43800000, v1
	s_cbranch_execz .LBB95_1977
; %bb.1972:
	v_cmp_lt_u32_e32 vcc_lo, 0x3bffffff, v1
	s_mov_b32 s8, 0
                                        ; implicit-def: $vgpr1
	s_and_saveexec_b32 s9, vcc_lo
	s_delay_alu instid0(SALU_CYCLE_1)
	s_xor_b32 s9, exec_lo, s9
	s_cbranch_execz .LBB95_2119
; %bb.1973:
	v_bfe_u32 v1, v0, 20, 1
	s_mov_b32 s8, exec_lo
	s_delay_alu instid0(VALU_DEP_1) | instskip(NEXT) | instid1(VALU_DEP_1)
	v_add3_u32 v1, v0, v1, 0x487ffff
	v_lshrrev_b32_e32 v1, 20, v1
	s_and_not1_saveexec_b32 s9, s9
	s_cbranch_execnz .LBB95_2120
.LBB95_1974:
	s_or_b32 exec_lo, exec_lo, s9
	v_mov_b32_e32 v2, 0
	s_and_saveexec_b32 s9, s8
.LBB95_1975:
	v_lshrrev_b32_e32 v0, 24, v0
	s_delay_alu instid0(VALU_DEP_1)
	v_and_or_b32 v2, 0x80, v0, v1
.LBB95_1976:
	s_or_b32 exec_lo, exec_lo, s9
.LBB95_1977:
	s_delay_alu instid0(SALU_CYCLE_1)
	s_or_b32 exec_lo, exec_lo, s5
	global_store_b8 v[6:7], v2, off
.LBB95_1978:
	s_mov_b32 s5, 0
.LBB95_1979:
	s_delay_alu instid0(SALU_CYCLE_1)
	s_and_b32 vcc_lo, exec_lo, s5
	s_mov_b32 s5, 0
	s_cbranch_vccz .LBB95_2019
; %bb.1980:
	s_cmp_gt_i32 s4, 22
	s_mov_b32 s8, -1
	s_cbranch_scc0 .LBB95_2012
; %bb.1981:
	s_cmp_lt_i32 s4, 24
	s_cbranch_scc1 .LBB95_2001
; %bb.1982:
	s_cmp_gt_i32 s4, 24
	s_cbranch_scc0 .LBB95_1990
; %bb.1983:
	s_wait_xcnt 0x0
	v_bfe_i32 v0, v3, 0, 16
	v_mov_b32_e32 v2, 0x80
	s_mov_b32 s8, exec_lo
	s_delay_alu instid0(VALU_DEP_2) | instskip(NEXT) | instid1(VALU_DEP_1)
	v_cvt_f32_i32_e32 v0, v0
	v_and_b32_e32 v1, 0x7fffffff, v0
	s_delay_alu instid0(VALU_DEP_1)
	v_cmpx_gt_u32_e32 0x47800000, v1
	s_cbranch_execz .LBB95_1989
; %bb.1984:
	v_cmp_lt_u32_e32 vcc_lo, 0x37ffffff, v1
	s_mov_b32 s9, 0
                                        ; implicit-def: $vgpr1
	s_and_saveexec_b32 s10, vcc_lo
	s_delay_alu instid0(SALU_CYCLE_1)
	s_xor_b32 s10, exec_lo, s10
	s_cbranch_execz .LBB95_2240
; %bb.1985:
	v_bfe_u32 v1, v0, 21, 1
	s_mov_b32 s9, exec_lo
	s_delay_alu instid0(VALU_DEP_1) | instskip(NEXT) | instid1(VALU_DEP_1)
	v_add3_u32 v1, v0, v1, 0x88fffff
	v_lshrrev_b32_e32 v1, 21, v1
	s_and_not1_saveexec_b32 s10, s10
	s_cbranch_execnz .LBB95_2241
.LBB95_1986:
	s_or_b32 exec_lo, exec_lo, s10
	v_mov_b32_e32 v2, 0
	s_and_saveexec_b32 s10, s9
.LBB95_1987:
	v_lshrrev_b32_e32 v0, 24, v0
	s_delay_alu instid0(VALU_DEP_1)
	v_and_or_b32 v2, 0x80, v0, v1
.LBB95_1988:
	s_or_b32 exec_lo, exec_lo, s10
.LBB95_1989:
	s_delay_alu instid0(SALU_CYCLE_1)
	s_or_b32 exec_lo, exec_lo, s8
	s_mov_b32 s8, 0
	global_store_b8 v[6:7], v2, off
.LBB95_1990:
	s_and_b32 vcc_lo, exec_lo, s8
	s_cbranch_vccz .LBB95_2000
; %bb.1991:
	s_wait_xcnt 0x0
	v_bfe_i32 v0, v3, 0, 16
	s_mov_b32 s8, exec_lo
                                        ; implicit-def: $vgpr1
	s_delay_alu instid0(VALU_DEP_1) | instskip(NEXT) | instid1(VALU_DEP_1)
	v_cvt_f32_i32_e32 v0, v0
	v_and_b32_e32 v2, 0x7fffffff, v0
	s_delay_alu instid0(VALU_DEP_1)
	v_cmpx_gt_u32_e32 0x43f00000, v2
	s_xor_b32 s8, exec_lo, s8
	s_cbranch_execz .LBB95_1997
; %bb.1992:
	s_mov_b32 s9, exec_lo
                                        ; implicit-def: $vgpr1
	v_cmpx_lt_u32_e32 0x3c7fffff, v2
	s_xor_b32 s9, exec_lo, s9
; %bb.1993:
	v_bfe_u32 v1, v0, 20, 1
	s_delay_alu instid0(VALU_DEP_1) | instskip(NEXT) | instid1(VALU_DEP_1)
	v_add3_u32 v1, v0, v1, 0x407ffff
	v_and_b32_e32 v2, 0xff00000, v1
	v_lshrrev_b32_e32 v1, 20, v1
	s_delay_alu instid0(VALU_DEP_2) | instskip(NEXT) | instid1(VALU_DEP_2)
	v_cmp_ne_u32_e32 vcc_lo, 0x7f00000, v2
	v_cndmask_b32_e32 v1, 0x7e, v1, vcc_lo
; %bb.1994:
	s_and_not1_saveexec_b32 s9, s9
; %bb.1995:
	v_add_f32_e64 v1, 0x46800000, |v0|
; %bb.1996:
	s_or_b32 exec_lo, exec_lo, s9
                                        ; implicit-def: $vgpr2
.LBB95_1997:
	s_and_not1_saveexec_b32 s8, s8
; %bb.1998:
	v_mov_b32_e32 v1, 0x7f
	v_cmp_lt_u32_e32 vcc_lo, 0x7f800000, v2
	s_delay_alu instid0(VALU_DEP_2)
	v_cndmask_b32_e32 v1, 0x7e, v1, vcc_lo
; %bb.1999:
	s_or_b32 exec_lo, exec_lo, s8
	v_lshrrev_b32_e32 v0, 24, v0
	s_delay_alu instid0(VALU_DEP_1)
	v_and_or_b32 v0, 0x80, v0, v1
	global_store_b8 v[6:7], v0, off
.LBB95_2000:
	s_mov_b32 s8, 0
.LBB95_2001:
	s_delay_alu instid0(SALU_CYCLE_1)
	s_and_not1_b32 vcc_lo, exec_lo, s8
	s_cbranch_vccnz .LBB95_2011
; %bb.2002:
	s_wait_xcnt 0x0
	v_bfe_i32 v0, v3, 0, 16
	s_mov_b32 s8, exec_lo
                                        ; implicit-def: $vgpr1
	s_delay_alu instid0(VALU_DEP_1) | instskip(NEXT) | instid1(VALU_DEP_1)
	v_cvt_f32_i32_e32 v0, v0
	v_and_b32_e32 v2, 0x7fffffff, v0
	s_delay_alu instid0(VALU_DEP_1)
	v_cmpx_gt_u32_e32 0x47800000, v2
	s_xor_b32 s8, exec_lo, s8
	s_cbranch_execz .LBB95_2008
; %bb.2003:
	s_mov_b32 s9, exec_lo
                                        ; implicit-def: $vgpr1
	v_cmpx_lt_u32_e32 0x387fffff, v2
	s_xor_b32 s9, exec_lo, s9
; %bb.2004:
	v_bfe_u32 v1, v0, 21, 1
	s_delay_alu instid0(VALU_DEP_1) | instskip(NEXT) | instid1(VALU_DEP_1)
	v_add3_u32 v1, v0, v1, 0x80fffff
	v_lshrrev_b32_e32 v1, 21, v1
; %bb.2005:
	s_and_not1_saveexec_b32 s9, s9
; %bb.2006:
	v_add_f32_e64 v1, 0x43000000, |v0|
; %bb.2007:
	s_or_b32 exec_lo, exec_lo, s9
                                        ; implicit-def: $vgpr2
.LBB95_2008:
	s_and_not1_saveexec_b32 s8, s8
; %bb.2009:
	v_mov_b32_e32 v1, 0x7f
	v_cmp_lt_u32_e32 vcc_lo, 0x7f800000, v2
	s_delay_alu instid0(VALU_DEP_2)
	v_cndmask_b32_e32 v1, 0x7c, v1, vcc_lo
; %bb.2010:
	s_or_b32 exec_lo, exec_lo, s8
	v_lshrrev_b32_e32 v0, 24, v0
	s_delay_alu instid0(VALU_DEP_1)
	v_and_or_b32 v0, 0x80, v0, v1
	global_store_b8 v[6:7], v0, off
.LBB95_2011:
	s_mov_b32 s8, 0
.LBB95_2012:
	s_delay_alu instid0(SALU_CYCLE_1)
	s_and_not1_b32 vcc_lo, exec_lo, s8
	s_mov_b32 s8, 0
	s_cbranch_vccnz .LBB95_2020
; %bb.2013:
	s_cmp_gt_i32 s4, 14
	s_mov_b32 s8, -1
	s_cbranch_scc0 .LBB95_2017
; %bb.2014:
	s_cmp_eq_u32 s4, 15
	s_mov_b32 s0, -1
	s_cbranch_scc0 .LBB95_2016
; %bb.2015:
	s_wait_xcnt 0x0
	v_bfe_i32 v0, v3, 0, 16
	s_mov_b32 s0, 0
	s_delay_alu instid0(VALU_DEP_1) | instskip(NEXT) | instid1(VALU_DEP_1)
	v_cvt_f32_i32_e32 v0, v0
	v_bfe_u32 v1, v0, 16, 1
	s_delay_alu instid0(VALU_DEP_1)
	v_add3_u32 v0, v0, v1, 0x7fff
	global_store_d16_hi_b16 v[6:7], v0, off
.LBB95_2016:
	s_mov_b32 s8, 0
.LBB95_2017:
	s_delay_alu instid0(SALU_CYCLE_1)
	s_and_b32 vcc_lo, exec_lo, s8
	s_mov_b32 s8, 0
	s_cbranch_vccz .LBB95_2020
; %bb.2018:
	s_cmp_lg_u32 s4, 11
	s_mov_b32 s8, -1
	s_cselect_b32 s4, -1, 0
	s_and_not1_b32 s0, s0, exec_lo
	s_and_b32 s4, s4, exec_lo
	s_delay_alu instid0(SALU_CYCLE_1)
	s_or_b32 s0, s0, s4
	s_branch .LBB95_2020
.LBB95_2019:
	s_mov_b32 s8, 0
.LBB95_2020:
	s_and_b32 s9, s5, exec_lo
	s_and_not1_b32 s4, s44, exec_lo
	s_and_b32 s5, s0, exec_lo
	s_and_b32 s0, s8, exec_lo
	s_or_b32 s44, s4, s5
	s_wait_xcnt 0x0
	s_or_b32 exec_lo, exec_lo, s7
	s_and_saveexec_b32 s4, s44
	s_cbranch_execz .LBB95_1949
.LBB95_2021:
	s_or_b32 s1, s1, exec_lo
	s_and_not1_b32 s0, s0, exec_lo
	s_trap 2
	s_or_b32 exec_lo, exec_lo, s4
	s_and_saveexec_b32 s4, s0
	s_delay_alu instid0(SALU_CYCLE_1)
	s_xor_b32 s0, exec_lo, s4
	s_cbranch_execnz .LBB95_1950
.LBB95_2022:
	s_or_b32 exec_lo, exec_lo, s0
	s_and_saveexec_b32 s0, s9
	s_delay_alu instid0(SALU_CYCLE_1)
	s_xor_b32 s0, exec_lo, s0
	s_cbranch_execz .LBB95_2060
.LBB95_2023:
	s_sext_i32_i16 s5, s6
	s_mov_b32 s4, -1
	s_cmp_lt_i32 s5, 5
	s_cbranch_scc1 .LBB95_2044
; %bb.2024:
	s_cmp_lt_i32 s5, 8
	s_cbranch_scc1 .LBB95_2034
; %bb.2025:
	;; [unrolled: 3-line block ×3, first 2 shown]
	s_cmp_gt_i32 s5, 9
	s_cbranch_scc0 .LBB95_2028
; %bb.2027:
	s_wait_loadcnt 0x0
	v_bfe_i32 v0, v3, 0, 16
	v_mov_b32_e32 v10, 0
	s_mov_b32 s4, 0
	s_delay_alu instid0(VALU_DEP_2) | instskip(NEXT) | instid1(VALU_DEP_2)
	v_cvt_f64_i32_e32 v[8:9], v0
	v_mov_b32_e32 v11, v10
	global_store_b128 v[6:7], v[8:11], off
.LBB95_2028:
	s_and_not1_b32 vcc_lo, exec_lo, s4
	s_cbranch_vccnz .LBB95_2030
; %bb.2029:
	s_wait_loadcnt 0x0
	v_bfe_i32 v0, v3, 0, 16
	v_mov_b32_e32 v1, 0
	s_delay_alu instid0(VALU_DEP_2)
	v_cvt_f32_i32_e32 v0, v0
	global_store_b64 v[6:7], v[0:1], off
.LBB95_2030:
	s_mov_b32 s4, 0
.LBB95_2031:
	s_delay_alu instid0(SALU_CYCLE_1)
	s_and_not1_b32 vcc_lo, exec_lo, s4
	s_cbranch_vccnz .LBB95_2033
; %bb.2032:
	s_wait_loadcnt 0x0
	v_cvt_f16_i16_e32 v0, v3
	s_delay_alu instid0(VALU_DEP_1)
	v_and_b32_e32 v0, 0xffff, v0
	global_store_b32 v[6:7], v0, off
.LBB95_2033:
	s_mov_b32 s4, 0
.LBB95_2034:
	s_delay_alu instid0(SALU_CYCLE_1)
	s_and_not1_b32 vcc_lo, exec_lo, s4
	s_cbranch_vccnz .LBB95_2043
; %bb.2035:
	s_sext_i32_i16 s5, s6
	s_mov_b32 s4, -1
	s_cmp_lt_i32 s5, 6
	s_cbranch_scc1 .LBB95_2041
; %bb.2036:
	s_cmp_gt_i32 s5, 6
	s_cbranch_scc0 .LBB95_2038
; %bb.2037:
	s_wait_loadcnt 0x0
	v_bfe_i32 v0, v3, 0, 16
	s_mov_b32 s4, 0
	s_delay_alu instid0(VALU_DEP_1)
	v_cvt_f64_i32_e32 v[0:1], v0
	global_store_b64 v[6:7], v[0:1], off
.LBB95_2038:
	s_and_not1_b32 vcc_lo, exec_lo, s4
	s_cbranch_vccnz .LBB95_2040
; %bb.2039:
	s_wait_loadcnt 0x0
	v_bfe_i32 v0, v3, 0, 16
	s_delay_alu instid0(VALU_DEP_1)
	v_cvt_f32_i32_e32 v0, v0
	global_store_b32 v[6:7], v0, off
.LBB95_2040:
	s_mov_b32 s4, 0
.LBB95_2041:
	s_delay_alu instid0(SALU_CYCLE_1)
	s_and_not1_b32 vcc_lo, exec_lo, s4
	s_cbranch_vccnz .LBB95_2043
; %bb.2042:
	s_wait_loadcnt 0x0
	v_cvt_f16_i16_e32 v0, v3
	global_store_b16 v[6:7], v0, off
.LBB95_2043:
	s_mov_b32 s4, 0
.LBB95_2044:
	s_delay_alu instid0(SALU_CYCLE_1)
	s_and_not1_b32 vcc_lo, exec_lo, s4
	s_cbranch_vccnz .LBB95_2060
; %bb.2045:
	s_sext_i32_i16 s5, s6
	s_mov_b32 s4, -1
	s_cmp_lt_i32 s5, 2
	s_cbranch_scc1 .LBB95_2055
; %bb.2046:
	s_cmp_lt_i32 s5, 3
	s_cbranch_scc1 .LBB95_2052
; %bb.2047:
	s_wait_loadcnt 0x0
	v_bfe_i32 v0, v3, 0, 16
	s_cmp_gt_i32 s5, 3
	s_cbranch_scc0 .LBB95_2049
; %bb.2048:
	s_delay_alu instid0(VALU_DEP_1)
	v_ashrrev_i32_e32 v1, 31, v0
	s_mov_b32 s4, 0
	global_store_b64 v[6:7], v[0:1], off
.LBB95_2049:
	s_and_not1_b32 vcc_lo, exec_lo, s4
	s_cbranch_vccnz .LBB95_2051
; %bb.2050:
	global_store_b32 v[6:7], v0, off
.LBB95_2051:
	s_mov_b32 s4, 0
.LBB95_2052:
	s_delay_alu instid0(SALU_CYCLE_1)
	s_and_not1_b32 vcc_lo, exec_lo, s4
	s_cbranch_vccnz .LBB95_2054
; %bb.2053:
	global_store_b16 v[6:7], v3, off
.LBB95_2054:
	s_mov_b32 s4, 0
.LBB95_2055:
	s_delay_alu instid0(SALU_CYCLE_1)
	s_and_not1_b32 vcc_lo, exec_lo, s4
	s_cbranch_vccnz .LBB95_2060
; %bb.2056:
	s_sext_i32_i16 s4, s6
	s_delay_alu instid0(SALU_CYCLE_1)
	s_cmp_gt_i32 s4, 0
	s_mov_b32 s4, -1
	s_cbranch_scc0 .LBB95_2058
; %bb.2057:
	s_mov_b32 s4, 0
	global_store_b8 v[6:7], v3, off
.LBB95_2058:
	s_and_not1_b32 vcc_lo, exec_lo, s4
	s_cbranch_vccnz .LBB95_2060
; %bb.2059:
	global_store_b8 v[6:7], v3, off
.LBB95_2060:
	s_wait_xcnt 0x0
	s_or_b32 exec_lo, exec_lo, s0
	s_delay_alu instid0(SALU_CYCLE_1)
	s_and_b32 s10, s1, exec_lo
                                        ; implicit-def: $vgpr1
                                        ; implicit-def: $vgpr0
.LBB95_2061:
	s_or_saveexec_b32 s11, s39
	s_mov_b32 s0, 0
                                        ; implicit-def: $vgpr2_vgpr3
                                        ; implicit-def: $sgpr1
                                        ; implicit-def: $vgpr4
	s_xor_b32 exec_lo, exec_lo, s11
	s_cbranch_execz .LBB95_4060
; %bb.2062:
	v_cndmask_b32_e64 v3, 0, 1, s38
	s_and_not1_b32 vcc_lo, exec_lo, s38
	s_cbranch_vccnz .LBB95_2068
; %bb.2063:
	s_cmp_lg_u32 s33, 0
	s_mov_b32 s6, 0
	s_cbranch_scc0 .LBB95_2072
; %bb.2064:
	s_min_u32 s7, s36, 15
	s_wait_loadcnt 0x0
	v_dual_mov_b32 v12, 0 :: v_dual_mov_b32 v2, v0
	v_dual_mov_b32 v18, 0 :: v_dual_mov_b32 v6, 0
	v_mov_b32_e32 v8, 0
	s_add_co_i32 s4, s7, 1
	s_mov_b64 s[0:1], 0xffffffffffffffe0
	s_and_b32 s8, s4, 30
	s_add_nc_u64 s[0:1], s[2:3], s[0:1]
	s_mov_b64 s[4:5], s[2:3]
.LBB95_2065:                            ; =>This Inner Loop Header: Depth=1
	s_clause 0x1
	s_load_b128 s[20:23], s[4:5], 0x4
	s_load_b64 s[24:25], s[4:5], 0x14
	s_load_b256 s[12:19], s[0:1], 0xe4
	s_add_co_i32 s8, s8, -2
	s_wait_xcnt 0x0
	s_add_nc_u64 s[4:5], s[4:5], 24
	s_cmp_lg_u32 s8, 0
	s_add_nc_u64 s[0:1], s[0:1], 32
	s_wait_kmcnt 0x0
	v_mul_hi_u32 v4, s21, v2
	s_delay_alu instid0(VALU_DEP_1) | instskip(NEXT) | instid1(VALU_DEP_1)
	v_add_nc_u32_e32 v4, v2, v4
	v_lshrrev_b32_e32 v4, s22, v4
	s_delay_alu instid0(VALU_DEP_1) | instskip(SKIP_1) | instid1(VALU_DEP_1)
	v_mul_hi_u32 v5, s24, v4
	v_mul_lo_u32 v7, v4, s20
	v_dual_add_nc_u32 v5, v4, v5 :: v_dual_sub_nc_u32 v7, v2, v7
	s_delay_alu instid0(VALU_DEP_1) | instskip(NEXT) | instid1(VALU_DEP_2)
	v_lshrrev_b32_e32 v2, s25, v5
	v_mad_u32 v8, v7, s13, v8
	v_mad_u32 v6, v7, s12, v6
	;; [unrolled: 1-line block ×4, first 2 shown]
	v_mul_lo_u32 v5, v2, s23
	s_delay_alu instid0(VALU_DEP_1) | instskip(NEXT) | instid1(VALU_DEP_1)
	v_sub_nc_u32_e32 v4, v4, v5
	v_mad_u32 v8, v4, s17, v8
	v_mad_u32 v6, v4, s16, v6
	;; [unrolled: 1-line block ×4, first 2 shown]
	s_cbranch_scc1 .LBB95_2065
; %bb.2066:
	s_bitcmp1_b32 s7, 0
	s_cselect_b32 s7, -1, 0
	s_delay_alu instid0(SALU_CYCLE_1)
	s_and_b32 vcc_lo, exec_lo, s7
	s_cbranch_vccnz .LBB95_2069
; %bb.2067:
	s_load_b96 s[16:18], s[4:5], 0x4
	s_load_b128 s[12:15], s[0:1], 0xe4
	s_wait_kmcnt 0x0
	v_mul_hi_u32 v4, s17, v2
	s_delay_alu instid0(VALU_DEP_1) | instskip(NEXT) | instid1(VALU_DEP_1)
	v_add_nc_u32_e32 v4, v2, v4
	v_lshrrev_b32_e32 v4, s18, v4
	s_delay_alu instid0(VALU_DEP_1) | instskip(NEXT) | instid1(VALU_DEP_1)
	v_mul_lo_u32 v4, v4, s16
	v_sub_nc_u32_e32 v2, v2, v4
	s_delay_alu instid0(VALU_DEP_1)
	v_mad_u32 v6, v2, s12, v6
	v_mad_u32 v8, v2, s13, v8
	;; [unrolled: 1-line block ×4, first 2 shown]
	s_and_not1_b32 vcc_lo, exec_lo, s6
	s_cbranch_vccz .LBB95_2070
	s_branch .LBB95_2073
.LBB95_2068:
	s_mov_b32 s6, -1
                                        ; implicit-def: $vgpr8
                                        ; implicit-def: $vgpr6
                                        ; implicit-def: $vgpr18
                                        ; implicit-def: $vgpr12
.LBB95_2069:
	s_delay_alu instid0(SALU_CYCLE_1)
	s_and_not1_b32 vcc_lo, exec_lo, s6
	s_cbranch_vccnz .LBB95_2073
.LBB95_2070:
	s_clause 0x1
	s_load_b96 s[12:14], s[2:3], 0x4
	s_load_b128 s[4:7], s[2:3], 0xc4
	s_cmp_lt_u32 s33, 2
	s_wait_loadcnt 0x0
	s_wait_kmcnt 0x0
	v_mul_hi_u32 v2, s13, v0
	s_delay_alu instid0(VALU_DEP_1) | instskip(NEXT) | instid1(VALU_DEP_1)
	v_add_nc_u32_e32 v2, v0, v2
	v_lshrrev_b32_e32 v2, s14, v2
	s_delay_alu instid0(VALU_DEP_1) | instskip(NEXT) | instid1(VALU_DEP_1)
	v_mul_lo_u32 v4, v2, s12
	v_sub_nc_u32_e32 v4, v0, v4
	s_delay_alu instid0(VALU_DEP_1)
	v_mul_lo_u32 v8, v4, s5
	v_mul_lo_u32 v6, v4, s4
	;; [unrolled: 1-line block ×4, first 2 shown]
	s_cbranch_scc1 .LBB95_2073
; %bb.2071:
	s_clause 0x1
	s_load_b96 s[12:14], s[2:3], 0x10
	s_load_b128 s[4:7], s[2:3], 0xd4
	s_wait_kmcnt 0x0
	v_mul_hi_u32 v4, s13, v2
	s_delay_alu instid0(VALU_DEP_1) | instskip(NEXT) | instid1(VALU_DEP_1)
	v_add_nc_u32_e32 v4, v2, v4
	v_lshrrev_b32_e32 v4, s14, v4
	s_delay_alu instid0(VALU_DEP_1) | instskip(NEXT) | instid1(VALU_DEP_1)
	v_mul_lo_u32 v4, v4, s12
	v_sub_nc_u32_e32 v2, v2, v4
	s_delay_alu instid0(VALU_DEP_1)
	v_mad_u32 v6, v2, s4, v6
	v_mad_u32 v8, v2, s5, v8
	v_mad_u32 v12, v2, s6, v12
	v_mad_u32 v18, v2, s7, v18
	s_branch .LBB95_2073
.LBB95_2072:
	s_wait_loadcnt 0x0
	v_dual_mov_b32 v8, 0 :: v_dual_mov_b32 v6, 0
	v_dual_mov_b32 v18, 0 :: v_dual_mov_b32 v12, 0
	s_and_not1_b32 vcc_lo, exec_lo, s6
	s_cbranch_vccz .LBB95_2070
.LBB95_2073:
	v_cmp_ne_u32_e32 vcc_lo, 1, v3
	s_wait_loadcnt 0x0
	v_add_nc_u32_e32 v2, 0x80, v0
	s_cbranch_vccnz .LBB95_2079
; %bb.2074:
	s_cmp_lg_u32 s33, 0
	s_mov_b32 s6, 0
	s_cbranch_scc0 .LBB95_2083
; %bb.2075:
	s_min_u32 s7, s36, 15
	v_dual_mov_b32 v22, 0 :: v_dual_mov_b32 v5, v2
	v_dual_mov_b32 v28, 0 :: v_dual_mov_b32 v4, 0
	v_mov_b32_e32 v16, 0
	s_add_co_i32 s4, s7, 1
	s_mov_b64 s[0:1], 0xffffffffffffffe0
	s_and_b32 s8, s4, 30
	s_add_nc_u64 s[0:1], s[2:3], s[0:1]
	s_mov_b64 s[4:5], s[2:3]
.LBB95_2076:                            ; =>This Inner Loop Header: Depth=1
	s_clause 0x1
	s_load_b128 s[20:23], s[4:5], 0x4
	s_load_b64 s[24:25], s[4:5], 0x14
	s_load_b256 s[12:19], s[0:1], 0xe4
	s_add_co_i32 s8, s8, -2
	s_wait_xcnt 0x0
	s_add_nc_u64 s[4:5], s[4:5], 24
	s_cmp_lg_u32 s8, 0
	s_add_nc_u64 s[0:1], s[0:1], 32
	s_wait_kmcnt 0x0
	v_mul_hi_u32 v7, s21, v5
	s_delay_alu instid0(VALU_DEP_1) | instskip(NEXT) | instid1(VALU_DEP_1)
	v_add_nc_u32_e32 v7, v5, v7
	v_lshrrev_b32_e32 v7, s22, v7
	s_delay_alu instid0(VALU_DEP_1) | instskip(SKIP_1) | instid1(VALU_DEP_1)
	v_mul_hi_u32 v9, s24, v7
	v_mul_lo_u32 v10, v7, s20
	v_dual_add_nc_u32 v9, v7, v9 :: v_dual_sub_nc_u32 v10, v5, v10
	s_delay_alu instid0(VALU_DEP_1) | instskip(NEXT) | instid1(VALU_DEP_2)
	v_lshrrev_b32_e32 v5, s25, v9
	v_mad_u32 v11, v10, s13, v16
	v_mad_u32 v4, v10, s12, v4
	;; [unrolled: 1-line block ×4, first 2 shown]
	v_mul_lo_u32 v9, v5, s23
	s_delay_alu instid0(VALU_DEP_1) | instskip(NEXT) | instid1(VALU_DEP_1)
	v_sub_nc_u32_e32 v7, v7, v9
	v_mad_u32 v16, v7, s17, v11
	v_mad_u32 v4, v7, s16, v4
	;; [unrolled: 1-line block ×4, first 2 shown]
	s_cbranch_scc1 .LBB95_2076
; %bb.2077:
	s_bitcmp1_b32 s7, 0
	s_cselect_b32 s7, -1, 0
	s_delay_alu instid0(SALU_CYCLE_1)
	s_and_b32 vcc_lo, exec_lo, s7
	s_cbranch_vccnz .LBB95_2080
; %bb.2078:
	s_load_b96 s[16:18], s[4:5], 0x4
	s_load_b128 s[12:15], s[0:1], 0xe4
	s_wait_kmcnt 0x0
	v_mul_hi_u32 v7, s17, v5
	s_delay_alu instid0(VALU_DEP_1) | instskip(NEXT) | instid1(VALU_DEP_1)
	v_add_nc_u32_e32 v7, v5, v7
	v_lshrrev_b32_e32 v7, s18, v7
	s_delay_alu instid0(VALU_DEP_1) | instskip(NEXT) | instid1(VALU_DEP_1)
	v_mul_lo_u32 v7, v7, s16
	v_sub_nc_u32_e32 v5, v5, v7
	s_delay_alu instid0(VALU_DEP_1)
	v_mad_u32 v4, v5, s12, v4
	v_mad_u32 v16, v5, s13, v16
	;; [unrolled: 1-line block ×4, first 2 shown]
	s_and_not1_b32 vcc_lo, exec_lo, s6
	s_cbranch_vccz .LBB95_2081
	s_branch .LBB95_2084
.LBB95_2079:
	s_mov_b32 s6, -1
                                        ; implicit-def: $vgpr16
                                        ; implicit-def: $vgpr4
                                        ; implicit-def: $vgpr28
                                        ; implicit-def: $vgpr22
.LBB95_2080:
	s_delay_alu instid0(SALU_CYCLE_1)
	s_and_not1_b32 vcc_lo, exec_lo, s6
	s_cbranch_vccnz .LBB95_2084
.LBB95_2081:
	s_clause 0x1
	s_load_b96 s[12:14], s[2:3], 0x4
	s_load_b128 s[4:7], s[2:3], 0xc4
	s_cmp_lt_u32 s33, 2
	s_wait_kmcnt 0x0
	v_mul_hi_u32 v4, s13, v2
	s_delay_alu instid0(VALU_DEP_1) | instskip(NEXT) | instid1(VALU_DEP_1)
	v_add_nc_u32_e32 v4, v2, v4
	v_lshrrev_b32_e32 v5, s14, v4
	s_delay_alu instid0(VALU_DEP_1) | instskip(NEXT) | instid1(VALU_DEP_1)
	v_mul_lo_u32 v4, v5, s12
	v_sub_nc_u32_e32 v2, v2, v4
	s_delay_alu instid0(VALU_DEP_1)
	v_mul_lo_u32 v16, v2, s5
	v_mul_lo_u32 v4, v2, s4
	;; [unrolled: 1-line block ×4, first 2 shown]
	s_cbranch_scc1 .LBB95_2084
; %bb.2082:
	s_clause 0x1
	s_load_b96 s[12:14], s[2:3], 0x10
	s_load_b128 s[4:7], s[2:3], 0xd4
	s_wait_kmcnt 0x0
	v_mul_hi_u32 v2, s13, v5
	s_delay_alu instid0(VALU_DEP_1) | instskip(NEXT) | instid1(VALU_DEP_1)
	v_add_nc_u32_e32 v2, v5, v2
	v_lshrrev_b32_e32 v2, s14, v2
	s_delay_alu instid0(VALU_DEP_1) | instskip(NEXT) | instid1(VALU_DEP_1)
	v_mul_lo_u32 v2, v2, s12
	v_sub_nc_u32_e32 v2, v5, v2
	s_delay_alu instid0(VALU_DEP_1)
	v_mad_u32 v4, v2, s4, v4
	v_mad_u32 v16, v2, s5, v16
	v_mad_u32 v22, v2, s6, v22
	v_mad_u32 v28, v2, s7, v28
	s_branch .LBB95_2084
.LBB95_2083:
	v_dual_mov_b32 v16, 0 :: v_dual_mov_b32 v4, 0
	v_dual_mov_b32 v28, 0 :: v_dual_mov_b32 v22, 0
	s_and_not1_b32 vcc_lo, exec_lo, s6
	s_cbranch_vccz .LBB95_2081
.LBB95_2084:
	v_cmp_ne_u32_e32 vcc_lo, 1, v3
	v_add_nc_u32_e32 v0, 0x100, v0
	s_cbranch_vccnz .LBB95_2090
; %bb.2085:
	s_cmp_lg_u32 s33, 0
	s_mov_b32 s6, 0
	s_cbranch_scc0 .LBB95_2094
; %bb.2086:
	s_min_u32 s7, s36, 15
	v_dual_mov_b32 v30, 0 :: v_dual_mov_b32 v5, v0
	v_dual_mov_b32 v24, 0 :: v_dual_mov_b32 v2, 0
	v_mov_b32_e32 v26, 0
	s_add_co_i32 s4, s7, 1
	s_mov_b64 s[0:1], 0xffffffffffffffe0
	s_and_b32 s8, s4, 30
	s_add_nc_u64 s[0:1], s[2:3], s[0:1]
	s_mov_b64 s[4:5], s[2:3]
.LBB95_2087:                            ; =>This Inner Loop Header: Depth=1
	s_clause 0x1
	s_load_b128 s[20:23], s[4:5], 0x4
	s_load_b64 s[24:25], s[4:5], 0x14
	s_load_b256 s[12:19], s[0:1], 0xe4
	s_add_co_i32 s8, s8, -2
	s_wait_xcnt 0x0
	s_add_nc_u64 s[4:5], s[4:5], 24
	s_cmp_lg_u32 s8, 0
	s_add_nc_u64 s[0:1], s[0:1], 32
	s_wait_kmcnt 0x0
	v_mul_hi_u32 v7, s21, v5
	s_delay_alu instid0(VALU_DEP_1) | instskip(NEXT) | instid1(VALU_DEP_1)
	v_add_nc_u32_e32 v7, v5, v7
	v_lshrrev_b32_e32 v7, s22, v7
	s_delay_alu instid0(VALU_DEP_1) | instskip(SKIP_1) | instid1(VALU_DEP_1)
	v_mul_hi_u32 v9, s24, v7
	v_mul_lo_u32 v10, v7, s20
	v_dual_add_nc_u32 v9, v7, v9 :: v_dual_sub_nc_u32 v10, v5, v10
	s_delay_alu instid0(VALU_DEP_1) | instskip(NEXT) | instid1(VALU_DEP_2)
	v_lshrrev_b32_e32 v5, s25, v9
	v_mad_u32 v11, v10, s13, v26
	v_mad_u32 v2, v10, s12, v2
	;; [unrolled: 1-line block ×4, first 2 shown]
	v_mul_lo_u32 v9, v5, s23
	s_delay_alu instid0(VALU_DEP_1) | instskip(NEXT) | instid1(VALU_DEP_1)
	v_sub_nc_u32_e32 v7, v7, v9
	v_mad_u32 v26, v7, s17, v11
	v_mad_u32 v2, v7, s16, v2
	;; [unrolled: 1-line block ×4, first 2 shown]
	s_cbranch_scc1 .LBB95_2087
; %bb.2088:
	s_bitcmp1_b32 s7, 0
	s_cselect_b32 s7, -1, 0
	s_delay_alu instid0(SALU_CYCLE_1)
	s_and_b32 vcc_lo, exec_lo, s7
	s_cbranch_vccnz .LBB95_2091
; %bb.2089:
	s_load_b96 s[16:18], s[4:5], 0x4
	s_load_b128 s[12:15], s[0:1], 0xe4
	s_wait_kmcnt 0x0
	v_mul_hi_u32 v7, s17, v5
	s_delay_alu instid0(VALU_DEP_1) | instskip(NEXT) | instid1(VALU_DEP_1)
	v_add_nc_u32_e32 v7, v5, v7
	v_lshrrev_b32_e32 v7, s18, v7
	s_delay_alu instid0(VALU_DEP_1) | instskip(NEXT) | instid1(VALU_DEP_1)
	v_mul_lo_u32 v7, v7, s16
	v_sub_nc_u32_e32 v5, v5, v7
	s_delay_alu instid0(VALU_DEP_1)
	v_mad_u32 v2, v5, s12, v2
	v_mad_u32 v26, v5, s13, v26
	v_mad_u32 v30, v5, s14, v30
	v_mad_u32 v24, v5, s15, v24
	s_and_not1_b32 vcc_lo, exec_lo, s6
	s_cbranch_vccz .LBB95_2092
	s_branch .LBB95_2095
.LBB95_2090:
	s_mov_b32 s6, -1
                                        ; implicit-def: $vgpr26
                                        ; implicit-def: $vgpr2
                                        ; implicit-def: $vgpr24
                                        ; implicit-def: $vgpr30
.LBB95_2091:
	s_delay_alu instid0(SALU_CYCLE_1)
	s_and_not1_b32 vcc_lo, exec_lo, s6
	s_cbranch_vccnz .LBB95_2095
.LBB95_2092:
	s_clause 0x1
	s_load_b96 s[12:14], s[2:3], 0x4
	s_load_b128 s[4:7], s[2:3], 0xc4
	s_cmp_lt_u32 s33, 2
	s_wait_kmcnt 0x0
	v_mul_hi_u32 v2, s13, v0
	s_delay_alu instid0(VALU_DEP_1) | instskip(NEXT) | instid1(VALU_DEP_1)
	v_add_nc_u32_e32 v2, v0, v2
	v_lshrrev_b32_e32 v5, s14, v2
	s_delay_alu instid0(VALU_DEP_1) | instskip(NEXT) | instid1(VALU_DEP_1)
	v_mul_lo_u32 v2, v5, s12
	v_sub_nc_u32_e32 v0, v0, v2
	s_delay_alu instid0(VALU_DEP_1)
	v_mul_lo_u32 v26, v0, s5
	v_mul_lo_u32 v2, v0, s4
	v_mul_lo_u32 v24, v0, s7
	v_mul_lo_u32 v30, v0, s6
	s_cbranch_scc1 .LBB95_2095
; %bb.2093:
	s_clause 0x1
	s_load_b96 s[12:14], s[2:3], 0x10
	s_load_b128 s[4:7], s[2:3], 0xd4
	s_wait_kmcnt 0x0
	v_mul_hi_u32 v0, s13, v5
	s_delay_alu instid0(VALU_DEP_1) | instskip(NEXT) | instid1(VALU_DEP_1)
	v_add_nc_u32_e32 v0, v5, v0
	v_lshrrev_b32_e32 v0, s14, v0
	s_delay_alu instid0(VALU_DEP_1) | instskip(NEXT) | instid1(VALU_DEP_1)
	v_mul_lo_u32 v0, v0, s12
	v_sub_nc_u32_e32 v0, v5, v0
	s_delay_alu instid0(VALU_DEP_1)
	v_mad_u32 v2, v0, s4, v2
	v_mad_u32 v26, v0, s5, v26
	;; [unrolled: 1-line block ×4, first 2 shown]
	s_branch .LBB95_2095
.LBB95_2094:
	v_dual_mov_b32 v26, 0 :: v_dual_mov_b32 v2, 0
	v_dual_mov_b32 v24, 0 :: v_dual_mov_b32 v30, 0
	s_and_not1_b32 vcc_lo, exec_lo, s6
	s_cbranch_vccz .LBB95_2092
.LBB95_2095:
	v_cmp_ne_u32_e32 vcc_lo, 1, v3
	s_cbranch_vccnz .LBB95_2101
; %bb.2096:
	s_cmp_lg_u32 s33, 0
	s_mov_b32 s6, 0
	s_cbranch_scc0 .LBB95_2105
; %bb.2097:
	s_min_u32 s7, s36, 15
	v_dual_mov_b32 v14, 0 :: v_dual_mov_b32 v3, v1
	v_dual_mov_b32 v10, 0 :: v_dual_mov_b32 v0, 0
	v_mov_b32_e32 v20, 0
	s_add_co_i32 s4, s7, 1
	s_mov_b64 s[0:1], 0xffffffffffffffe0
	s_and_b32 s8, s4, 30
	s_add_nc_u64 s[0:1], s[2:3], s[0:1]
	s_mov_b64 s[4:5], s[2:3]
.LBB95_2098:                            ; =>This Inner Loop Header: Depth=1
	s_clause 0x1
	s_load_b128 s[20:23], s[4:5], 0x4
	s_load_b64 s[24:25], s[4:5], 0x14
	s_load_b256 s[12:19], s[0:1], 0xe4
	s_add_co_i32 s8, s8, -2
	s_wait_xcnt 0x0
	s_add_nc_u64 s[4:5], s[4:5], 24
	s_cmp_lg_u32 s8, 0
	s_add_nc_u64 s[0:1], s[0:1], 32
	s_wait_kmcnt 0x0
	v_mul_hi_u32 v5, s21, v3
	s_delay_alu instid0(VALU_DEP_1) | instskip(NEXT) | instid1(VALU_DEP_1)
	v_add_nc_u32_e32 v5, v3, v5
	v_lshrrev_b32_e32 v5, s22, v5
	s_delay_alu instid0(VALU_DEP_1) | instskip(SKIP_1) | instid1(VALU_DEP_1)
	v_mul_hi_u32 v7, s24, v5
	v_mul_lo_u32 v9, v5, s20
	v_dual_add_nc_u32 v7, v5, v7 :: v_dual_sub_nc_u32 v9, v3, v9
	s_delay_alu instid0(VALU_DEP_1) | instskip(NEXT) | instid1(VALU_DEP_2)
	v_lshrrev_b32_e32 v3, s25, v7
	v_mad_u32 v11, v9, s13, v20
	v_mad_u32 v0, v9, s12, v0
	;; [unrolled: 1-line block ×4, first 2 shown]
	v_mul_lo_u32 v7, v3, s23
	s_delay_alu instid0(VALU_DEP_1) | instskip(NEXT) | instid1(VALU_DEP_1)
	v_sub_nc_u32_e32 v5, v5, v7
	v_mad_u32 v20, v5, s17, v11
	v_mad_u32 v0, v5, s16, v0
	;; [unrolled: 1-line block ×4, first 2 shown]
	s_cbranch_scc1 .LBB95_2098
; %bb.2099:
	s_bitcmp1_b32 s7, 0
	s_cselect_b32 s7, -1, 0
	s_delay_alu instid0(SALU_CYCLE_1)
	s_and_b32 vcc_lo, exec_lo, s7
	s_cbranch_vccnz .LBB95_2102
; %bb.2100:
	s_load_b96 s[16:18], s[4:5], 0x4
	s_load_b128 s[12:15], s[0:1], 0xe4
	s_wait_kmcnt 0x0
	v_mul_hi_u32 v5, s17, v3
	s_delay_alu instid0(VALU_DEP_1) | instskip(NEXT) | instid1(VALU_DEP_1)
	v_add_nc_u32_e32 v5, v3, v5
	v_lshrrev_b32_e32 v5, s18, v5
	s_delay_alu instid0(VALU_DEP_1) | instskip(NEXT) | instid1(VALU_DEP_1)
	v_mul_lo_u32 v5, v5, s16
	v_sub_nc_u32_e32 v3, v3, v5
	s_delay_alu instid0(VALU_DEP_1)
	v_mad_u32 v0, v3, s12, v0
	v_mad_u32 v20, v3, s13, v20
	;; [unrolled: 1-line block ×4, first 2 shown]
	s_and_not1_b32 vcc_lo, exec_lo, s6
	s_cbranch_vccz .LBB95_2103
	s_branch .LBB95_2106
.LBB95_2101:
	s_mov_b32 s6, -1
                                        ; implicit-def: $vgpr20
                                        ; implicit-def: $vgpr0
                                        ; implicit-def: $vgpr10
                                        ; implicit-def: $vgpr14
.LBB95_2102:
	s_delay_alu instid0(SALU_CYCLE_1)
	s_and_not1_b32 vcc_lo, exec_lo, s6
	s_cbranch_vccnz .LBB95_2106
.LBB95_2103:
	s_clause 0x1
	s_load_b96 s[12:14], s[2:3], 0x4
	s_load_b128 s[4:7], s[2:3], 0xc4
	s_cmp_lt_u32 s33, 2
	s_wait_kmcnt 0x0
	v_mul_hi_u32 v0, s13, v1
	s_delay_alu instid0(VALU_DEP_1) | instskip(NEXT) | instid1(VALU_DEP_1)
	v_add_nc_u32_e32 v0, v1, v0
	v_lshrrev_b32_e32 v3, s14, v0
	s_delay_alu instid0(VALU_DEP_1) | instskip(NEXT) | instid1(VALU_DEP_1)
	v_mul_lo_u32 v0, v3, s12
	v_sub_nc_u32_e32 v1, v1, v0
	s_delay_alu instid0(VALU_DEP_1)
	v_mul_lo_u32 v20, v1, s5
	v_mul_lo_u32 v0, v1, s4
	;; [unrolled: 1-line block ×4, first 2 shown]
	s_cbranch_scc1 .LBB95_2106
; %bb.2104:
	s_clause 0x1
	s_load_b96 s[12:14], s[2:3], 0x10
	s_load_b128 s[4:7], s[2:3], 0xd4
	s_wait_kmcnt 0x0
	v_mul_hi_u32 v1, s13, v3
	s_delay_alu instid0(VALU_DEP_1) | instskip(NEXT) | instid1(VALU_DEP_1)
	v_add_nc_u32_e32 v1, v3, v1
	v_lshrrev_b32_e32 v1, s14, v1
	s_delay_alu instid0(VALU_DEP_1) | instskip(NEXT) | instid1(VALU_DEP_1)
	v_mul_lo_u32 v1, v1, s12
	v_sub_nc_u32_e32 v1, v3, v1
	s_delay_alu instid0(VALU_DEP_1)
	v_mad_u32 v0, v1, s4, v0
	v_mad_u32 v20, v1, s5, v20
	;; [unrolled: 1-line block ×4, first 2 shown]
	s_branch .LBB95_2106
.LBB95_2105:
	v_dual_mov_b32 v20, 0 :: v_dual_mov_b32 v0, 0
	v_dual_mov_b32 v10, 0 :: v_dual_mov_b32 v14, 0
	s_and_not1_b32 vcc_lo, exec_lo, s6
	s_cbranch_vccz .LBB95_2103
.LBB95_2106:
	v_mov_b32_e32 v9, 0
	s_load_b128 s[4:7], s[2:3], 0x1c8
	global_load_u8 v1, v9, s[2:3] offset:493
	s_wait_kmcnt 0x0
	v_add_nc_u64_e32 v[32:33], s[6:7], v[8:9]
	s_wait_loadcnt 0x0
	v_and_b32_e32 v3, 0xffff, v1
	v_readfirstlane_b32 s13, v1
	s_delay_alu instid0(VALU_DEP_2)
	v_cmp_gt_i32_e32 vcc_lo, 11, v3
	s_cbranch_vccnz .LBB95_2113
; %bb.2107:
	s_and_b32 s0, 0xffff, s13
	s_mov_b32 s8, 0
	s_cmp_gt_i32 s0, 25
	s_cbranch_scc0 .LBB95_2115
; %bb.2108:
	s_cmp_gt_i32 s0, 28
	s_cbranch_scc0 .LBB95_2116
; %bb.2109:
	;; [unrolled: 3-line block ×4, first 2 shown]
	s_cmp_eq_u32 s0, 46
	s_mov_b32 s12, 0
	s_cbranch_scc0 .LBB95_2121
; %bb.2112:
	global_load_b32 v1, v[32:33], off
	s_mov_b32 s1, 0
	s_mov_b32 s9, -1
	s_wait_loadcnt 0x0
	v_lshlrev_b32_e32 v1, 16, v1
	s_delay_alu instid0(VALU_DEP_1)
	v_cvt_i32_f32_e32 v8, v1
	s_branch .LBB95_2123
.LBB95_2113:
	s_mov_b32 s9, 0
	s_mov_b32 s12, s10
                                        ; implicit-def: $vgpr8
	s_cbranch_execnz .LBB95_2181
.LBB95_2114:
	s_and_not1_b32 vcc_lo, exec_lo, s9
	s_cbranch_vccz .LBB95_2226
	s_branch .LBB95_4058
.LBB95_2115:
	s_mov_b32 s9, 0
	s_mov_b32 s1, 0
                                        ; implicit-def: $vgpr8
	s_cbranch_execnz .LBB95_2148
	s_branch .LBB95_2177
.LBB95_2116:
	s_mov_b32 s9, 0
	s_mov_b32 s1, 0
                                        ; implicit-def: $vgpr8
	s_cbranch_execz .LBB95_2147
	s_branch .LBB95_2132
.LBB95_2117:
	s_mov_b32 s9, 0
	s_mov_b32 s1, 0
                                        ; implicit-def: $vgpr8
	s_cbranch_execnz .LBB95_2128
	s_branch .LBB95_2131
.LBB95_2118:
	s_mov_b32 s12, -1
	s_mov_b32 s9, 0
	s_mov_b32 s1, 0
	s_branch .LBB95_2122
.LBB95_2119:
	s_and_not1_saveexec_b32 s9, s9
	s_cbranch_execz .LBB95_1974
.LBB95_2120:
	v_add_f32_e64 v1, 0x46000000, |v0|
	s_and_not1_b32 s8, s8, exec_lo
	s_delay_alu instid0(VALU_DEP_1) | instskip(NEXT) | instid1(VALU_DEP_1)
	v_and_b32_e32 v1, 0xff, v1
	v_cmp_ne_u32_e32 vcc_lo, 0, v1
	s_and_b32 s10, vcc_lo, exec_lo
	s_delay_alu instid0(SALU_CYCLE_1)
	s_or_b32 s8, s8, s10
	s_or_b32 exec_lo, exec_lo, s9
	v_mov_b32_e32 v2, 0
	s_and_saveexec_b32 s9, s8
	s_cbranch_execnz .LBB95_1975
	s_branch .LBB95_1976
.LBB95_2121:
	s_mov_b32 s1, -1
	s_mov_b32 s9, 0
.LBB95_2122:
                                        ; implicit-def: $vgpr8
.LBB95_2123:
	s_and_b32 vcc_lo, exec_lo, s12
	s_cbranch_vccz .LBB95_2126
; %bb.2124:
	s_cmp_eq_u32 s0, 44
	s_cbranch_scc0 .LBB95_2127
; %bb.2125:
	global_load_u8 v1, v[32:33], off
	s_mov_b32 s1, 0
	s_mov_b32 s9, -1
	s_wait_loadcnt 0x0
	v_lshlrev_b32_e32 v3, 23, v1
	v_cmp_ne_u32_e32 vcc_lo, 0, v1
	s_delay_alu instid0(VALU_DEP_2) | instskip(NEXT) | instid1(VALU_DEP_1)
	v_cvt_i32_f32_e32 v3, v3
	v_cndmask_b32_e32 v8, 0, v3, vcc_lo
.LBB95_2126:
	s_branch .LBB95_2131
.LBB95_2127:
	s_mov_b32 s1, -1
                                        ; implicit-def: $vgpr8
	s_branch .LBB95_2131
.LBB95_2128:
	s_cmp_eq_u32 s0, 29
	s_cbranch_scc0 .LBB95_2130
; %bb.2129:
	global_load_b64 v[8:9], v[32:33], off
	s_mov_b32 s1, 0
	s_mov_b32 s9, -1
	s_branch .LBB95_2131
.LBB95_2130:
	s_mov_b32 s1, -1
                                        ; implicit-def: $vgpr8
.LBB95_2131:
	s_branch .LBB95_2147
.LBB95_2132:
	s_cmp_lt_i32 s0, 27
	s_cbranch_scc1 .LBB95_2135
; %bb.2133:
	s_cmp_gt_i32 s0, 27
	s_cbranch_scc0 .LBB95_2136
; %bb.2134:
	s_wait_loadcnt 0x0
	global_load_b32 v8, v[32:33], off
	s_mov_b32 s9, 0
	s_branch .LBB95_2137
.LBB95_2135:
	s_mov_b32 s9, -1
                                        ; implicit-def: $vgpr8
	s_branch .LBB95_2140
.LBB95_2136:
	s_mov_b32 s9, -1
                                        ; implicit-def: $vgpr8
.LBB95_2137:
	s_delay_alu instid0(SALU_CYCLE_1)
	s_and_not1_b32 vcc_lo, exec_lo, s9
	s_cbranch_vccnz .LBB95_2139
; %bb.2138:
	s_wait_loadcnt 0x0
	global_load_u16 v8, v[32:33], off
.LBB95_2139:
	s_mov_b32 s9, 0
.LBB95_2140:
	s_delay_alu instid0(SALU_CYCLE_1)
	s_and_not1_b32 vcc_lo, exec_lo, s9
	s_cbranch_vccnz .LBB95_2146
; %bb.2141:
	global_load_u8 v1, v[32:33], off
	s_mov_b32 s12, 0
	s_mov_b32 s9, exec_lo
	s_wait_loadcnt 0x0
	v_cmpx_lt_i16_e32 0x7f, v1
	s_xor_b32 s9, exec_lo, s9
	s_cbranch_execz .LBB95_2157
; %bb.2142:
	v_cmp_ne_u16_e32 vcc_lo, 0x80, v1
	s_and_b32 s12, vcc_lo, exec_lo
	s_and_not1_saveexec_b32 s9, s9
	s_cbranch_execnz .LBB95_2158
.LBB95_2143:
	s_or_b32 exec_lo, exec_lo, s9
	v_mov_b32_e32 v8, 0
	s_and_saveexec_b32 s9, s12
	s_cbranch_execz .LBB95_2145
.LBB95_2144:
	v_and_b32_e32 v3, 0xffff, v1
	s_delay_alu instid0(VALU_DEP_1) | instskip(SKIP_1) | instid1(VALU_DEP_2)
	v_dual_lshlrev_b32 v1, 24, v1 :: v_dual_bitop2_b32 v5, 7, v3 bitop3:0x40
	v_bfe_u32 v9, v3, 3, 4
	v_and_b32_e32 v1, 0x80000000, v1
	s_delay_alu instid0(VALU_DEP_3) | instskip(NEXT) | instid1(VALU_DEP_3)
	v_clz_i32_u32_e32 v7, v5
	v_cmp_eq_u32_e32 vcc_lo, 0, v9
	s_delay_alu instid0(VALU_DEP_2) | instskip(NEXT) | instid1(VALU_DEP_1)
	v_min_u32_e32 v7, 32, v7
	v_subrev_nc_u32_e32 v8, 28, v7
	v_sub_nc_u32_e32 v7, 29, v7
	s_delay_alu instid0(VALU_DEP_2) | instskip(NEXT) | instid1(VALU_DEP_2)
	v_lshlrev_b32_e32 v3, v8, v3
	v_cndmask_b32_e32 v7, v9, v7, vcc_lo
	s_delay_alu instid0(VALU_DEP_2) | instskip(NEXT) | instid1(VALU_DEP_1)
	v_and_b32_e32 v3, 7, v3
	v_cndmask_b32_e32 v3, v5, v3, vcc_lo
	s_delay_alu instid0(VALU_DEP_3) | instskip(NEXT) | instid1(VALU_DEP_2)
	v_lshl_add_u32 v5, v7, 23, 0x3b800000
	v_lshlrev_b32_e32 v3, 20, v3
	s_delay_alu instid0(VALU_DEP_1) | instskip(NEXT) | instid1(VALU_DEP_1)
	v_or3_b32 v1, v1, v5, v3
	v_cvt_i32_f32_e32 v8, v1
.LBB95_2145:
	s_or_b32 exec_lo, exec_lo, s9
.LBB95_2146:
	s_mov_b32 s9, -1
.LBB95_2147:
	s_branch .LBB95_2177
.LBB95_2148:
	s_cmp_gt_i32 s0, 22
	s_cbranch_scc0 .LBB95_2156
; %bb.2149:
	s_cmp_lt_i32 s0, 24
	s_cbranch_scc1 .LBB95_2159
; %bb.2150:
	s_cmp_gt_i32 s0, 24
	s_cbranch_scc0 .LBB95_2160
; %bb.2151:
	global_load_u8 v1, v[32:33], off
	s_mov_b32 s9, 0
	s_mov_b32 s8, exec_lo
	s_wait_loadcnt 0x0
	v_cmpx_lt_i16_e32 0x7f, v1
	s_xor_b32 s8, exec_lo, s8
	s_cbranch_execz .LBB95_2171
; %bb.2152:
	v_cmp_ne_u16_e32 vcc_lo, 0x80, v1
	s_and_b32 s9, vcc_lo, exec_lo
	s_and_not1_saveexec_b32 s8, s8
	s_cbranch_execnz .LBB95_2172
.LBB95_2153:
	s_or_b32 exec_lo, exec_lo, s8
	v_mov_b32_e32 v8, 0
	s_and_saveexec_b32 s8, s9
	s_cbranch_execz .LBB95_2155
.LBB95_2154:
	v_and_b32_e32 v3, 0xffff, v1
	s_delay_alu instid0(VALU_DEP_1) | instskip(SKIP_1) | instid1(VALU_DEP_2)
	v_dual_lshlrev_b32 v1, 24, v1 :: v_dual_bitop2_b32 v5, 3, v3 bitop3:0x40
	v_bfe_u32 v9, v3, 2, 5
	v_and_b32_e32 v1, 0x80000000, v1
	s_delay_alu instid0(VALU_DEP_3) | instskip(NEXT) | instid1(VALU_DEP_3)
	v_clz_i32_u32_e32 v7, v5
	v_cmp_eq_u32_e32 vcc_lo, 0, v9
	s_delay_alu instid0(VALU_DEP_2) | instskip(NEXT) | instid1(VALU_DEP_1)
	v_min_u32_e32 v7, 32, v7
	v_subrev_nc_u32_e32 v8, 29, v7
	v_sub_nc_u32_e32 v7, 30, v7
	s_delay_alu instid0(VALU_DEP_2) | instskip(NEXT) | instid1(VALU_DEP_2)
	v_lshlrev_b32_e32 v3, v8, v3
	v_cndmask_b32_e32 v7, v9, v7, vcc_lo
	s_delay_alu instid0(VALU_DEP_2) | instskip(NEXT) | instid1(VALU_DEP_1)
	v_and_b32_e32 v3, 3, v3
	v_cndmask_b32_e32 v3, v5, v3, vcc_lo
	s_delay_alu instid0(VALU_DEP_3) | instskip(NEXT) | instid1(VALU_DEP_2)
	v_lshl_add_u32 v5, v7, 23, 0x37800000
	v_lshlrev_b32_e32 v3, 21, v3
	s_delay_alu instid0(VALU_DEP_1) | instskip(NEXT) | instid1(VALU_DEP_1)
	v_or3_b32 v1, v1, v5, v3
	v_cvt_i32_f32_e32 v8, v1
.LBB95_2155:
	s_or_b32 exec_lo, exec_lo, s8
	s_mov_b32 s8, 0
	s_branch .LBB95_2161
.LBB95_2156:
                                        ; implicit-def: $vgpr8
	s_mov_b32 s8, 0
	s_branch .LBB95_2167
.LBB95_2157:
	s_and_not1_saveexec_b32 s9, s9
	s_cbranch_execz .LBB95_2143
.LBB95_2158:
	v_cmp_ne_u16_e32 vcc_lo, 0, v1
	s_and_not1_b32 s12, s12, exec_lo
	s_and_b32 s14, vcc_lo, exec_lo
	s_delay_alu instid0(SALU_CYCLE_1)
	s_or_b32 s12, s12, s14
	s_or_b32 exec_lo, exec_lo, s9
	v_mov_b32_e32 v8, 0
	s_and_saveexec_b32 s9, s12
	s_cbranch_execnz .LBB95_2144
	s_branch .LBB95_2145
.LBB95_2159:
	s_mov_b32 s8, -1
                                        ; implicit-def: $vgpr8
	s_branch .LBB95_2164
.LBB95_2160:
	s_mov_b32 s8, -1
                                        ; implicit-def: $vgpr8
.LBB95_2161:
	s_delay_alu instid0(SALU_CYCLE_1)
	s_and_b32 vcc_lo, exec_lo, s8
	s_cbranch_vccz .LBB95_2163
; %bb.2162:
	global_load_u8 v1, v[32:33], off
	s_wait_loadcnt 0x0
	v_lshlrev_b32_e32 v1, 24, v1
	s_delay_alu instid0(VALU_DEP_1) | instskip(NEXT) | instid1(VALU_DEP_1)
	v_and_b32_e32 v3, 0x7f000000, v1
	v_clz_i32_u32_e32 v5, v3
	v_cmp_ne_u32_e32 vcc_lo, 0, v3
	v_add_nc_u32_e32 v8, 0x1000000, v3
	s_delay_alu instid0(VALU_DEP_3) | instskip(NEXT) | instid1(VALU_DEP_1)
	v_min_u32_e32 v5, 32, v5
	v_sub_nc_u32_e64 v5, v5, 4 clamp
	s_delay_alu instid0(VALU_DEP_1) | instskip(NEXT) | instid1(VALU_DEP_1)
	v_dual_lshlrev_b32 v7, v5, v3 :: v_dual_lshlrev_b32 v5, 23, v5
	v_lshrrev_b32_e32 v7, 4, v7
	s_delay_alu instid0(VALU_DEP_1) | instskip(NEXT) | instid1(VALU_DEP_1)
	v_dual_sub_nc_u32 v5, v7, v5 :: v_dual_ashrrev_i32 v7, 8, v8
	v_add_nc_u32_e32 v5, 0x3c000000, v5
	s_delay_alu instid0(VALU_DEP_1) | instskip(NEXT) | instid1(VALU_DEP_1)
	v_and_or_b32 v5, 0x7f800000, v7, v5
	v_cndmask_b32_e32 v3, 0, v5, vcc_lo
	s_delay_alu instid0(VALU_DEP_1) | instskip(NEXT) | instid1(VALU_DEP_1)
	v_and_or_b32 v1, 0x80000000, v1, v3
	v_cvt_i32_f32_e32 v8, v1
.LBB95_2163:
	s_mov_b32 s8, 0
.LBB95_2164:
	s_delay_alu instid0(SALU_CYCLE_1)
	s_and_not1_b32 vcc_lo, exec_lo, s8
	s_cbranch_vccnz .LBB95_2166
; %bb.2165:
	global_load_u8 v1, v[32:33], off
	s_wait_loadcnt 0x0
	v_lshlrev_b32_e32 v3, 25, v1
	v_lshlrev_b16 v1, 8, v1
	s_delay_alu instid0(VALU_DEP_1) | instskip(SKIP_1) | instid1(VALU_DEP_2)
	v_and_or_b32 v7, 0x7f00, v1, 0.5
	v_bfe_i32 v1, v1, 0, 16
	v_add_f32_e32 v7, -0.5, v7
	v_lshrrev_b32_e32 v5, 4, v3
	v_cmp_gt_u32_e32 vcc_lo, 0x8000000, v3
	s_delay_alu instid0(VALU_DEP_2) | instskip(NEXT) | instid1(VALU_DEP_1)
	v_or_b32_e32 v5, 0x70000000, v5
	v_mul_f32_e32 v5, 0x7800000, v5
	s_delay_alu instid0(VALU_DEP_1) | instskip(NEXT) | instid1(VALU_DEP_1)
	v_cndmask_b32_e32 v3, v5, v7, vcc_lo
	v_and_or_b32 v1, 0x80000000, v1, v3
	s_delay_alu instid0(VALU_DEP_1)
	v_cvt_i32_f32_e32 v8, v1
.LBB95_2166:
	s_mov_b32 s9, -1
	s_mov_b32 s8, 0
	s_cbranch_execnz .LBB95_2177
.LBB95_2167:
	s_cmp_gt_i32 s0, 14
	s_cbranch_scc0 .LBB95_2170
; %bb.2168:
	s_cmp_eq_u32 s0, 15
	s_cbranch_scc0 .LBB95_2173
; %bb.2169:
	global_load_u16 v1, v[32:33], off
	s_mov_b32 s1, 0
	s_mov_b32 s9, -1
	s_wait_loadcnt 0x0
	v_lshlrev_b32_e32 v1, 16, v1
	s_delay_alu instid0(VALU_DEP_1)
	v_cvt_i32_f32_e32 v8, v1
	s_branch .LBB95_2175
.LBB95_2170:
	s_mov_b32 s8, -1
	s_branch .LBB95_2174
.LBB95_2171:
	s_and_not1_saveexec_b32 s8, s8
	s_cbranch_execz .LBB95_2153
.LBB95_2172:
	v_cmp_ne_u16_e32 vcc_lo, 0, v1
	s_and_not1_b32 s9, s9, exec_lo
	s_and_b32 s12, vcc_lo, exec_lo
	s_delay_alu instid0(SALU_CYCLE_1)
	s_or_b32 s9, s9, s12
	s_or_b32 exec_lo, exec_lo, s8
	v_mov_b32_e32 v8, 0
	s_and_saveexec_b32 s8, s9
	s_cbranch_execnz .LBB95_2154
	s_branch .LBB95_2155
.LBB95_2173:
	s_mov_b32 s1, -1
.LBB95_2174:
                                        ; implicit-def: $vgpr8
.LBB95_2175:
	s_and_b32 vcc_lo, exec_lo, s8
	s_mov_b32 s8, 0
	s_cbranch_vccz .LBB95_2177
; %bb.2176:
	s_cmp_lg_u32 s0, 11
	s_mov_b32 s8, -1
	s_cselect_b32 s1, -1, 0
.LBB95_2177:
	s_delay_alu instid0(SALU_CYCLE_1)
	s_and_b32 vcc_lo, exec_lo, s1
	s_mov_b32 s12, s10
	s_cbranch_vccnz .LBB95_2238
; %bb.2178:
	s_and_not1_b32 vcc_lo, exec_lo, s8
	s_cbranch_vccnz .LBB95_2180
.LBB95_2179:
	global_load_u8 v1, v[32:33], off
	s_mov_b32 s9, -1
	s_wait_loadcnt 0x0
	v_cmp_ne_u16_e32 vcc_lo, 0, v1
	v_cndmask_b32_e64 v8, 0, 1, vcc_lo
.LBB95_2180:
	s_branch .LBB95_2114
.LBB95_2181:
	s_and_b32 s0, 0xffff, s13
	s_delay_alu instid0(SALU_CYCLE_1)
	s_cmp_lt_i32 s0, 5
	s_cbranch_scc1 .LBB95_2186
; %bb.2182:
	s_cmp_lt_i32 s0, 8
	s_cbranch_scc1 .LBB95_2187
; %bb.2183:
	;; [unrolled: 3-line block ×3, first 2 shown]
	s_cmp_gt_i32 s0, 9
	s_cbranch_scc0 .LBB95_2189
; %bb.2185:
	s_wait_loadcnt 0x0
	global_load_b64 v[8:9], v[32:33], off
	s_mov_b32 s1, 0
	s_wait_loadcnt 0x0
	v_cvt_i32_f64_e32 v8, v[8:9]
	s_branch .LBB95_2190
.LBB95_2186:
                                        ; implicit-def: $vgpr8
	s_branch .LBB95_2207
.LBB95_2187:
                                        ; implicit-def: $vgpr8
	s_branch .LBB95_2196
.LBB95_2188:
	s_mov_b32 s1, -1
                                        ; implicit-def: $vgpr8
	s_branch .LBB95_2193
.LBB95_2189:
	s_mov_b32 s1, -1
                                        ; implicit-def: $vgpr8
.LBB95_2190:
	s_delay_alu instid0(SALU_CYCLE_1)
	s_and_not1_b32 vcc_lo, exec_lo, s1
	s_cbranch_vccnz .LBB95_2192
; %bb.2191:
	global_load_b32 v1, v[32:33], off
	s_wait_loadcnt 0x0
	v_cvt_i32_f32_e32 v8, v1
.LBB95_2192:
	s_mov_b32 s1, 0
.LBB95_2193:
	s_delay_alu instid0(SALU_CYCLE_1)
	s_and_not1_b32 vcc_lo, exec_lo, s1
	s_cbranch_vccnz .LBB95_2195
; %bb.2194:
	global_load_b32 v1, v[32:33], off
	s_wait_loadcnt 0x0
	v_cvt_i16_f16_e32 v8, v1
.LBB95_2195:
	s_cbranch_execnz .LBB95_2206
.LBB95_2196:
	s_cmp_lt_i32 s0, 6
	s_cbranch_scc1 .LBB95_2199
; %bb.2197:
	s_cmp_gt_i32 s0, 6
	s_cbranch_scc0 .LBB95_2200
; %bb.2198:
	s_wait_loadcnt 0x0
	global_load_b64 v[8:9], v[32:33], off
	s_mov_b32 s1, 0
	s_wait_loadcnt 0x0
	v_cvt_i32_f64_e32 v8, v[8:9]
	s_branch .LBB95_2201
.LBB95_2199:
	s_mov_b32 s1, -1
                                        ; implicit-def: $vgpr8
	s_branch .LBB95_2204
.LBB95_2200:
	s_mov_b32 s1, -1
                                        ; implicit-def: $vgpr8
.LBB95_2201:
	s_delay_alu instid0(SALU_CYCLE_1)
	s_and_not1_b32 vcc_lo, exec_lo, s1
	s_cbranch_vccnz .LBB95_2203
; %bb.2202:
	global_load_b32 v1, v[32:33], off
	s_wait_loadcnt 0x0
	v_cvt_i32_f32_e32 v8, v1
.LBB95_2203:
	s_mov_b32 s1, 0
.LBB95_2204:
	s_delay_alu instid0(SALU_CYCLE_1)
	s_and_not1_b32 vcc_lo, exec_lo, s1
	s_cbranch_vccnz .LBB95_2206
; %bb.2205:
	global_load_u16 v1, v[32:33], off
	s_wait_loadcnt 0x0
	v_cvt_i16_f16_e32 v8, v1
.LBB95_2206:
	s_cbranch_execnz .LBB95_2225
.LBB95_2207:
	s_cmp_lt_i32 s0, 2
	s_cbranch_scc1 .LBB95_2211
; %bb.2208:
	s_cmp_lt_i32 s0, 3
	s_cbranch_scc1 .LBB95_2212
; %bb.2209:
	s_cmp_gt_i32 s0, 3
	s_cbranch_scc0 .LBB95_2213
; %bb.2210:
	s_wait_loadcnt 0x0
	global_load_b64 v[8:9], v[32:33], off
	s_mov_b32 s1, 0
	s_branch .LBB95_2214
.LBB95_2211:
                                        ; implicit-def: $vgpr8
	s_branch .LBB95_2220
.LBB95_2212:
	s_mov_b32 s1, -1
                                        ; implicit-def: $vgpr8
	s_branch .LBB95_2217
.LBB95_2213:
	s_mov_b32 s1, -1
                                        ; implicit-def: $vgpr8
.LBB95_2214:
	s_delay_alu instid0(SALU_CYCLE_1)
	s_and_not1_b32 vcc_lo, exec_lo, s1
	s_cbranch_vccnz .LBB95_2216
; %bb.2215:
	s_wait_loadcnt 0x0
	global_load_b32 v8, v[32:33], off
.LBB95_2216:
	s_mov_b32 s1, 0
.LBB95_2217:
	s_delay_alu instid0(SALU_CYCLE_1)
	s_and_not1_b32 vcc_lo, exec_lo, s1
	s_cbranch_vccnz .LBB95_2219
; %bb.2218:
	s_wait_loadcnt 0x0
	global_load_u16 v8, v[32:33], off
.LBB95_2219:
	s_cbranch_execnz .LBB95_2225
.LBB95_2220:
	s_cmp_gt_i32 s0, 0
	s_mov_b32 s0, 0
	s_cbranch_scc0 .LBB95_2222
; %bb.2221:
	s_wait_loadcnt 0x0
	global_load_i8 v8, v[32:33], off
	s_branch .LBB95_2223
.LBB95_2222:
	s_mov_b32 s0, -1
                                        ; implicit-def: $vgpr8
.LBB95_2223:
	s_delay_alu instid0(SALU_CYCLE_1)
	s_and_not1_b32 vcc_lo, exec_lo, s0
	s_cbranch_vccnz .LBB95_2225
; %bb.2224:
	s_wait_loadcnt 0x0
	global_load_u8 v8, v[32:33], off
.LBB95_2225:
.LBB95_2226:
	v_mov_b32_e32 v13, 0
	s_load_b64 s[0:1], s[2:3], 0x1d8
	global_load_u8 v1, v13, s[2:3] offset:494
	s_wait_kmcnt 0x0
	v_add_nc_u64_e32 v[32:33], s[0:1], v[12:13]
	s_wait_loadcnt 0x0
	v_and_b32_e32 v3, 0xffff, v1
	v_readfirstlane_b32 s14, v1
	s_delay_alu instid0(VALU_DEP_2)
	v_cmp_gt_i32_e32 vcc_lo, 11, v3
	s_cbranch_vccnz .LBB95_2233
; %bb.2227:
	s_and_b32 s8, 0xffff, s14
	s_mov_b32 s15, 0
	s_cmp_gt_i32 s8, 25
	s_cbranch_scc0 .LBB95_2235
; %bb.2228:
	s_cmp_gt_i32 s8, 28
	s_cbranch_scc0 .LBB95_2236
; %bb.2229:
	s_cmp_gt_i32 s8, 43
	s_cbranch_scc0 .LBB95_2237
; %bb.2230:
	s_cmp_gt_i32 s8, 45
	s_cbranch_scc0 .LBB95_2239
; %bb.2231:
	s_cmp_eq_u32 s8, 46
	s_mov_b32 s17, 0
	s_cbranch_scc0 .LBB95_2242
; %bb.2232:
	global_load_b32 v1, v[32:33], off
	s_mov_b32 s9, 0
	s_mov_b32 s16, -1
	s_wait_loadcnt 0x0
	v_lshlrev_b32_e32 v1, 16, v1
	s_delay_alu instid0(VALU_DEP_1)
	v_cvt_i32_f32_e32 v12, v1
	s_branch .LBB95_2244
.LBB95_2233:
	s_mov_b32 s16, 0
                                        ; implicit-def: $vgpr12
	s_cbranch_execnz .LBB95_2305
.LBB95_2234:
	s_and_not1_b32 vcc_lo, exec_lo, s16
	s_cbranch_vccnz .LBB95_4058
	s_branch .LBB95_2352
.LBB95_2235:
	s_mov_b32 s16, 0
	s_mov_b32 s9, 0
                                        ; implicit-def: $vgpr12
	s_cbranch_execnz .LBB95_2271
	s_branch .LBB95_2301
.LBB95_2236:
	s_mov_b32 s17, -1
	s_mov_b32 s16, 0
	s_mov_b32 s9, 0
                                        ; implicit-def: $vgpr12
	s_branch .LBB95_2254
.LBB95_2237:
	s_mov_b32 s17, -1
	s_mov_b32 s16, 0
	s_mov_b32 s9, 0
                                        ; implicit-def: $vgpr12
	s_branch .LBB95_2249
.LBB95_2238:
	s_or_b32 s12, s10, exec_lo
	s_trap 2
	s_cbranch_execz .LBB95_2179
	s_branch .LBB95_2180
.LBB95_2239:
	s_mov_b32 s17, -1
	s_mov_b32 s16, 0
	s_mov_b32 s9, 0
	s_branch .LBB95_2243
.LBB95_2240:
	s_and_not1_saveexec_b32 s10, s10
	s_cbranch_execz .LBB95_1986
.LBB95_2241:
	v_add_f32_e64 v1, 0x42800000, |v0|
	s_and_not1_b32 s9, s9, exec_lo
	s_delay_alu instid0(VALU_DEP_1) | instskip(NEXT) | instid1(VALU_DEP_1)
	v_and_b32_e32 v1, 0xff, v1
	v_cmp_ne_u32_e32 vcc_lo, 0, v1
	s_and_b32 s11, vcc_lo, exec_lo
	s_delay_alu instid0(SALU_CYCLE_1)
	s_or_b32 s9, s9, s11
	s_or_b32 exec_lo, exec_lo, s10
	v_mov_b32_e32 v2, 0
	s_and_saveexec_b32 s10, s9
	s_cbranch_execnz .LBB95_1987
	s_branch .LBB95_1988
.LBB95_2242:
	s_mov_b32 s9, -1
	s_mov_b32 s16, 0
.LBB95_2243:
                                        ; implicit-def: $vgpr12
.LBB95_2244:
	s_and_b32 vcc_lo, exec_lo, s17
	s_cbranch_vccz .LBB95_2248
; %bb.2245:
	s_cmp_eq_u32 s8, 44
	s_cbranch_scc0 .LBB95_2247
; %bb.2246:
	global_load_u8 v1, v[32:33], off
	s_mov_b32 s9, 0
	s_mov_b32 s16, -1
	s_wait_loadcnt 0x0
	v_lshlrev_b32_e32 v3, 23, v1
	v_cmp_ne_u32_e32 vcc_lo, 0, v1
	s_delay_alu instid0(VALU_DEP_2) | instskip(NEXT) | instid1(VALU_DEP_1)
	v_cvt_i32_f32_e32 v3, v3
	v_cndmask_b32_e32 v12, 0, v3, vcc_lo
	s_branch .LBB95_2248
.LBB95_2247:
	s_mov_b32 s9, -1
                                        ; implicit-def: $vgpr12
.LBB95_2248:
	s_mov_b32 s17, 0
.LBB95_2249:
	s_delay_alu instid0(SALU_CYCLE_1)
	s_and_b32 vcc_lo, exec_lo, s17
	s_cbranch_vccz .LBB95_2253
; %bb.2250:
	s_cmp_eq_u32 s8, 29
	s_cbranch_scc0 .LBB95_2252
; %bb.2251:
	global_load_b64 v[12:13], v[32:33], off
	s_mov_b32 s9, 0
	s_mov_b32 s16, -1
	s_branch .LBB95_2253
.LBB95_2252:
	s_mov_b32 s9, -1
                                        ; implicit-def: $vgpr12
.LBB95_2253:
	s_mov_b32 s17, 0
.LBB95_2254:
	s_delay_alu instid0(SALU_CYCLE_1)
	s_and_b32 vcc_lo, exec_lo, s17
	s_cbranch_vccz .LBB95_2270
; %bb.2255:
	s_cmp_lt_i32 s8, 27
	s_cbranch_scc1 .LBB95_2258
; %bb.2256:
	s_cmp_gt_i32 s8, 27
	s_cbranch_scc0 .LBB95_2259
; %bb.2257:
	s_wait_loadcnt 0x0
	global_load_b32 v12, v[32:33], off
	s_mov_b32 s16, 0
	s_branch .LBB95_2260
.LBB95_2258:
	s_mov_b32 s16, -1
                                        ; implicit-def: $vgpr12
	s_branch .LBB95_2263
.LBB95_2259:
	s_mov_b32 s16, -1
                                        ; implicit-def: $vgpr12
.LBB95_2260:
	s_delay_alu instid0(SALU_CYCLE_1)
	s_and_not1_b32 vcc_lo, exec_lo, s16
	s_cbranch_vccnz .LBB95_2262
; %bb.2261:
	s_wait_loadcnt 0x0
	global_load_u16 v12, v[32:33], off
.LBB95_2262:
	s_mov_b32 s16, 0
.LBB95_2263:
	s_delay_alu instid0(SALU_CYCLE_1)
	s_and_not1_b32 vcc_lo, exec_lo, s16
	s_cbranch_vccnz .LBB95_2269
; %bb.2264:
	global_load_u8 v1, v[32:33], off
	s_mov_b32 s17, 0
	s_mov_b32 s16, exec_lo
	s_wait_loadcnt 0x0
	v_cmpx_lt_i16_e32 0x7f, v1
	s_xor_b32 s16, exec_lo, s16
	s_cbranch_execz .LBB95_2280
; %bb.2265:
	v_cmp_ne_u16_e32 vcc_lo, 0x80, v1
	s_and_b32 s17, vcc_lo, exec_lo
	s_and_not1_saveexec_b32 s16, s16
	s_cbranch_execnz .LBB95_2281
.LBB95_2266:
	s_or_b32 exec_lo, exec_lo, s16
	v_mov_b32_e32 v12, 0
	s_and_saveexec_b32 s16, s17
	s_cbranch_execz .LBB95_2268
.LBB95_2267:
	v_and_b32_e32 v3, 0xffff, v1
	s_delay_alu instid0(VALU_DEP_1) | instskip(SKIP_1) | instid1(VALU_DEP_2)
	v_dual_lshlrev_b32 v1, 24, v1 :: v_dual_bitop2_b32 v5, 7, v3 bitop3:0x40
	v_bfe_u32 v11, v3, 3, 4
	v_and_b32_e32 v1, 0x80000000, v1
	s_delay_alu instid0(VALU_DEP_3) | instskip(NEXT) | instid1(VALU_DEP_3)
	v_clz_i32_u32_e32 v7, v5
	v_cmp_eq_u32_e32 vcc_lo, 0, v11
	s_delay_alu instid0(VALU_DEP_2) | instskip(NEXT) | instid1(VALU_DEP_1)
	v_min_u32_e32 v7, 32, v7
	v_subrev_nc_u32_e32 v9, 28, v7
	v_sub_nc_u32_e32 v7, 29, v7
	s_delay_alu instid0(VALU_DEP_2) | instskip(NEXT) | instid1(VALU_DEP_2)
	v_lshlrev_b32_e32 v3, v9, v3
	v_cndmask_b32_e32 v7, v11, v7, vcc_lo
	s_delay_alu instid0(VALU_DEP_2) | instskip(NEXT) | instid1(VALU_DEP_1)
	v_and_b32_e32 v3, 7, v3
	v_cndmask_b32_e32 v3, v5, v3, vcc_lo
	s_delay_alu instid0(VALU_DEP_3) | instskip(NEXT) | instid1(VALU_DEP_2)
	v_lshl_add_u32 v5, v7, 23, 0x3b800000
	v_lshlrev_b32_e32 v3, 20, v3
	s_delay_alu instid0(VALU_DEP_1) | instskip(NEXT) | instid1(VALU_DEP_1)
	v_or3_b32 v1, v1, v5, v3
	v_cvt_i32_f32_e32 v12, v1
.LBB95_2268:
	s_or_b32 exec_lo, exec_lo, s16
.LBB95_2269:
	s_mov_b32 s16, -1
.LBB95_2270:
	s_branch .LBB95_2301
.LBB95_2271:
	s_cmp_gt_i32 s8, 22
	s_cbranch_scc0 .LBB95_2279
; %bb.2272:
	s_cmp_lt_i32 s8, 24
	s_cbranch_scc1 .LBB95_2282
; %bb.2273:
	s_cmp_gt_i32 s8, 24
	s_cbranch_scc0 .LBB95_2283
; %bb.2274:
	global_load_u8 v1, v[32:33], off
	s_mov_b32 s16, 0
	s_mov_b32 s15, exec_lo
	s_wait_loadcnt 0x0
	v_cmpx_lt_i16_e32 0x7f, v1
	s_xor_b32 s15, exec_lo, s15
	s_cbranch_execz .LBB95_2295
; %bb.2275:
	v_cmp_ne_u16_e32 vcc_lo, 0x80, v1
	s_and_b32 s16, vcc_lo, exec_lo
	s_and_not1_saveexec_b32 s15, s15
	s_cbranch_execnz .LBB95_2296
.LBB95_2276:
	s_or_b32 exec_lo, exec_lo, s15
	v_mov_b32_e32 v12, 0
	s_and_saveexec_b32 s15, s16
	s_cbranch_execz .LBB95_2278
.LBB95_2277:
	v_and_b32_e32 v3, 0xffff, v1
	s_delay_alu instid0(VALU_DEP_1) | instskip(SKIP_1) | instid1(VALU_DEP_2)
	v_dual_lshlrev_b32 v1, 24, v1 :: v_dual_bitop2_b32 v5, 3, v3 bitop3:0x40
	v_bfe_u32 v11, v3, 2, 5
	v_and_b32_e32 v1, 0x80000000, v1
	s_delay_alu instid0(VALU_DEP_3) | instskip(NEXT) | instid1(VALU_DEP_3)
	v_clz_i32_u32_e32 v7, v5
	v_cmp_eq_u32_e32 vcc_lo, 0, v11
	s_delay_alu instid0(VALU_DEP_2) | instskip(NEXT) | instid1(VALU_DEP_1)
	v_min_u32_e32 v7, 32, v7
	v_subrev_nc_u32_e32 v9, 29, v7
	v_sub_nc_u32_e32 v7, 30, v7
	s_delay_alu instid0(VALU_DEP_2) | instskip(NEXT) | instid1(VALU_DEP_2)
	v_lshlrev_b32_e32 v3, v9, v3
	v_cndmask_b32_e32 v7, v11, v7, vcc_lo
	s_delay_alu instid0(VALU_DEP_2) | instskip(NEXT) | instid1(VALU_DEP_1)
	v_and_b32_e32 v3, 3, v3
	v_cndmask_b32_e32 v3, v5, v3, vcc_lo
	s_delay_alu instid0(VALU_DEP_3) | instskip(NEXT) | instid1(VALU_DEP_2)
	v_lshl_add_u32 v5, v7, 23, 0x37800000
	v_lshlrev_b32_e32 v3, 21, v3
	s_delay_alu instid0(VALU_DEP_1) | instskip(NEXT) | instid1(VALU_DEP_1)
	v_or3_b32 v1, v1, v5, v3
	v_cvt_i32_f32_e32 v12, v1
.LBB95_2278:
	s_or_b32 exec_lo, exec_lo, s15
	s_mov_b32 s15, 0
	s_branch .LBB95_2284
.LBB95_2279:
	s_mov_b32 s15, -1
                                        ; implicit-def: $vgpr12
	s_branch .LBB95_2290
.LBB95_2280:
	s_and_not1_saveexec_b32 s16, s16
	s_cbranch_execz .LBB95_2266
.LBB95_2281:
	v_cmp_ne_u16_e32 vcc_lo, 0, v1
	s_and_not1_b32 s17, s17, exec_lo
	s_and_b32 s18, vcc_lo, exec_lo
	s_delay_alu instid0(SALU_CYCLE_1)
	s_or_b32 s17, s17, s18
	s_or_b32 exec_lo, exec_lo, s16
	v_mov_b32_e32 v12, 0
	s_and_saveexec_b32 s16, s17
	s_cbranch_execnz .LBB95_2267
	s_branch .LBB95_2268
.LBB95_2282:
	s_mov_b32 s15, -1
                                        ; implicit-def: $vgpr12
	s_branch .LBB95_2287
.LBB95_2283:
	s_mov_b32 s15, -1
                                        ; implicit-def: $vgpr12
.LBB95_2284:
	s_delay_alu instid0(SALU_CYCLE_1)
	s_and_b32 vcc_lo, exec_lo, s15
	s_cbranch_vccz .LBB95_2286
; %bb.2285:
	global_load_u8 v1, v[32:33], off
	s_wait_loadcnt 0x0
	v_lshlrev_b32_e32 v1, 24, v1
	s_delay_alu instid0(VALU_DEP_1) | instskip(NEXT) | instid1(VALU_DEP_1)
	v_and_b32_e32 v3, 0x7f000000, v1
	v_clz_i32_u32_e32 v5, v3
	v_add_nc_u32_e32 v9, 0x1000000, v3
	v_cmp_ne_u32_e32 vcc_lo, 0, v3
	s_delay_alu instid0(VALU_DEP_3) | instskip(NEXT) | instid1(VALU_DEP_1)
	v_min_u32_e32 v5, 32, v5
	v_sub_nc_u32_e64 v5, v5, 4 clamp
	s_delay_alu instid0(VALU_DEP_1) | instskip(NEXT) | instid1(VALU_DEP_1)
	v_dual_lshlrev_b32 v7, v5, v3 :: v_dual_lshlrev_b32 v5, 23, v5
	v_lshrrev_b32_e32 v7, 4, v7
	s_delay_alu instid0(VALU_DEP_1) | instskip(SKIP_1) | instid1(VALU_DEP_2)
	v_sub_nc_u32_e32 v5, v7, v5
	v_ashrrev_i32_e32 v7, 8, v9
	v_add_nc_u32_e32 v5, 0x3c000000, v5
	s_delay_alu instid0(VALU_DEP_1) | instskip(NEXT) | instid1(VALU_DEP_1)
	v_and_or_b32 v5, 0x7f800000, v7, v5
	v_cndmask_b32_e32 v3, 0, v5, vcc_lo
	s_delay_alu instid0(VALU_DEP_1) | instskip(NEXT) | instid1(VALU_DEP_1)
	v_and_or_b32 v1, 0x80000000, v1, v3
	v_cvt_i32_f32_e32 v12, v1
.LBB95_2286:
	s_mov_b32 s15, 0
.LBB95_2287:
	s_delay_alu instid0(SALU_CYCLE_1)
	s_and_not1_b32 vcc_lo, exec_lo, s15
	s_cbranch_vccnz .LBB95_2289
; %bb.2288:
	global_load_u8 v1, v[32:33], off
	s_wait_loadcnt 0x0
	v_lshlrev_b32_e32 v3, 25, v1
	v_lshlrev_b16 v1, 8, v1
	s_delay_alu instid0(VALU_DEP_1) | instskip(SKIP_1) | instid1(VALU_DEP_2)
	v_and_or_b32 v7, 0x7f00, v1, 0.5
	v_bfe_i32 v1, v1, 0, 16
	v_add_f32_e32 v7, -0.5, v7
	v_lshrrev_b32_e32 v5, 4, v3
	v_cmp_gt_u32_e32 vcc_lo, 0x8000000, v3
	s_delay_alu instid0(VALU_DEP_2) | instskip(NEXT) | instid1(VALU_DEP_1)
	v_or_b32_e32 v5, 0x70000000, v5
	v_mul_f32_e32 v5, 0x7800000, v5
	s_delay_alu instid0(VALU_DEP_1) | instskip(NEXT) | instid1(VALU_DEP_1)
	v_cndmask_b32_e32 v3, v5, v7, vcc_lo
	v_and_or_b32 v1, 0x80000000, v1, v3
	s_delay_alu instid0(VALU_DEP_1)
	v_cvt_i32_f32_e32 v12, v1
.LBB95_2289:
	s_mov_b32 s15, 0
	s_mov_b32 s16, -1
.LBB95_2290:
	s_and_not1_b32 vcc_lo, exec_lo, s15
	s_mov_b32 s15, 0
	s_cbranch_vccnz .LBB95_2301
; %bb.2291:
	s_cmp_gt_i32 s8, 14
	s_cbranch_scc0 .LBB95_2294
; %bb.2292:
	s_cmp_eq_u32 s8, 15
	s_cbranch_scc0 .LBB95_2297
; %bb.2293:
	global_load_u16 v1, v[32:33], off
	s_mov_b32 s9, 0
	s_mov_b32 s16, -1
	s_wait_loadcnt 0x0
	v_lshlrev_b32_e32 v1, 16, v1
	s_delay_alu instid0(VALU_DEP_1)
	v_cvt_i32_f32_e32 v12, v1
	s_branch .LBB95_2299
.LBB95_2294:
	s_mov_b32 s15, -1
	s_branch .LBB95_2298
.LBB95_2295:
	s_and_not1_saveexec_b32 s15, s15
	s_cbranch_execz .LBB95_2276
.LBB95_2296:
	v_cmp_ne_u16_e32 vcc_lo, 0, v1
	s_and_not1_b32 s16, s16, exec_lo
	s_and_b32 s17, vcc_lo, exec_lo
	s_delay_alu instid0(SALU_CYCLE_1)
	s_or_b32 s16, s16, s17
	s_or_b32 exec_lo, exec_lo, s15
	v_mov_b32_e32 v12, 0
	s_and_saveexec_b32 s15, s16
	s_cbranch_execnz .LBB95_2277
	s_branch .LBB95_2278
.LBB95_2297:
	s_mov_b32 s9, -1
.LBB95_2298:
                                        ; implicit-def: $vgpr12
.LBB95_2299:
	s_and_b32 vcc_lo, exec_lo, s15
	s_mov_b32 s15, 0
	s_cbranch_vccz .LBB95_2301
; %bb.2300:
	s_cmp_lg_u32 s8, 11
	s_mov_b32 s15, -1
	s_cselect_b32 s9, -1, 0
.LBB95_2301:
	s_delay_alu instid0(SALU_CYCLE_1)
	s_and_b32 vcc_lo, exec_lo, s9
	s_cbranch_vccnz .LBB95_2364
; %bb.2302:
	s_and_not1_b32 vcc_lo, exec_lo, s15
	s_cbranch_vccnz .LBB95_2304
.LBB95_2303:
	global_load_u8 v1, v[32:33], off
	s_mov_b32 s16, -1
	s_wait_loadcnt 0x0
	v_cmp_ne_u16_e32 vcc_lo, 0, v1
	v_cndmask_b32_e64 v12, 0, 1, vcc_lo
.LBB95_2304:
	s_branch .LBB95_2234
.LBB95_2305:
	s_and_b32 s8, 0xffff, s14
	s_delay_alu instid0(SALU_CYCLE_1)
	s_cmp_lt_i32 s8, 5
	s_cbranch_scc1 .LBB95_2310
; %bb.2306:
	s_cmp_lt_i32 s8, 8
	s_cbranch_scc1 .LBB95_2311
; %bb.2307:
	;; [unrolled: 3-line block ×3, first 2 shown]
	s_cmp_gt_i32 s8, 9
	s_cbranch_scc0 .LBB95_2313
; %bb.2309:
	s_wait_loadcnt 0x0
	global_load_b64 v[12:13], v[32:33], off
	s_mov_b32 s9, 0
	s_wait_loadcnt 0x0
	v_cvt_i32_f64_e32 v12, v[12:13]
	s_branch .LBB95_2314
.LBB95_2310:
                                        ; implicit-def: $vgpr12
	s_branch .LBB95_2332
.LBB95_2311:
	s_mov_b32 s9, -1
                                        ; implicit-def: $vgpr12
	s_branch .LBB95_2320
.LBB95_2312:
	s_mov_b32 s9, -1
                                        ; implicit-def: $vgpr12
	s_branch .LBB95_2317
.LBB95_2313:
	s_mov_b32 s9, -1
                                        ; implicit-def: $vgpr12
.LBB95_2314:
	s_delay_alu instid0(SALU_CYCLE_1)
	s_and_not1_b32 vcc_lo, exec_lo, s9
	s_cbranch_vccnz .LBB95_2316
; %bb.2315:
	global_load_b32 v1, v[32:33], off
	s_wait_loadcnt 0x0
	v_cvt_i32_f32_e32 v12, v1
.LBB95_2316:
	s_mov_b32 s9, 0
.LBB95_2317:
	s_delay_alu instid0(SALU_CYCLE_1)
	s_and_not1_b32 vcc_lo, exec_lo, s9
	s_cbranch_vccnz .LBB95_2319
; %bb.2318:
	global_load_b32 v1, v[32:33], off
	s_wait_loadcnt 0x0
	v_cvt_i16_f16_e32 v12, v1
.LBB95_2319:
	s_mov_b32 s9, 0
.LBB95_2320:
	s_delay_alu instid0(SALU_CYCLE_1)
	s_and_not1_b32 vcc_lo, exec_lo, s9
	s_cbranch_vccnz .LBB95_2331
; %bb.2321:
	s_cmp_lt_i32 s8, 6
	s_cbranch_scc1 .LBB95_2324
; %bb.2322:
	s_cmp_gt_i32 s8, 6
	s_cbranch_scc0 .LBB95_2325
; %bb.2323:
	s_wait_loadcnt 0x0
	global_load_b64 v[12:13], v[32:33], off
	s_mov_b32 s9, 0
	s_wait_loadcnt 0x0
	v_cvt_i32_f64_e32 v12, v[12:13]
	s_branch .LBB95_2326
.LBB95_2324:
	s_mov_b32 s9, -1
                                        ; implicit-def: $vgpr12
	s_branch .LBB95_2329
.LBB95_2325:
	s_mov_b32 s9, -1
                                        ; implicit-def: $vgpr12
.LBB95_2326:
	s_delay_alu instid0(SALU_CYCLE_1)
	s_and_not1_b32 vcc_lo, exec_lo, s9
	s_cbranch_vccnz .LBB95_2328
; %bb.2327:
	global_load_b32 v1, v[32:33], off
	s_wait_loadcnt 0x0
	v_cvt_i32_f32_e32 v12, v1
.LBB95_2328:
	s_mov_b32 s9, 0
.LBB95_2329:
	s_delay_alu instid0(SALU_CYCLE_1)
	s_and_not1_b32 vcc_lo, exec_lo, s9
	s_cbranch_vccnz .LBB95_2331
; %bb.2330:
	global_load_u16 v1, v[32:33], off
	s_wait_loadcnt 0x0
	v_cvt_i16_f16_e32 v12, v1
.LBB95_2331:
	s_cbranch_execnz .LBB95_2351
.LBB95_2332:
	s_cmp_lt_i32 s8, 2
	s_cbranch_scc1 .LBB95_2336
; %bb.2333:
	s_cmp_lt_i32 s8, 3
	s_cbranch_scc1 .LBB95_2337
; %bb.2334:
	s_cmp_gt_i32 s8, 3
	s_cbranch_scc0 .LBB95_2338
; %bb.2335:
	s_wait_loadcnt 0x0
	global_load_b64 v[12:13], v[32:33], off
	s_mov_b32 s9, 0
	s_branch .LBB95_2339
.LBB95_2336:
	s_mov_b32 s9, -1
                                        ; implicit-def: $vgpr12
	s_branch .LBB95_2345
.LBB95_2337:
	s_mov_b32 s9, -1
                                        ; implicit-def: $vgpr12
	s_branch .LBB95_2342
.LBB95_2338:
	s_mov_b32 s9, -1
                                        ; implicit-def: $vgpr12
.LBB95_2339:
	s_delay_alu instid0(SALU_CYCLE_1)
	s_and_not1_b32 vcc_lo, exec_lo, s9
	s_cbranch_vccnz .LBB95_2341
; %bb.2340:
	s_wait_loadcnt 0x0
	global_load_b32 v12, v[32:33], off
.LBB95_2341:
	s_mov_b32 s9, 0
.LBB95_2342:
	s_delay_alu instid0(SALU_CYCLE_1)
	s_and_not1_b32 vcc_lo, exec_lo, s9
	s_cbranch_vccnz .LBB95_2344
; %bb.2343:
	s_wait_loadcnt 0x0
	global_load_u16 v12, v[32:33], off
.LBB95_2344:
	s_mov_b32 s9, 0
.LBB95_2345:
	s_delay_alu instid0(SALU_CYCLE_1)
	s_and_not1_b32 vcc_lo, exec_lo, s9
	s_cbranch_vccnz .LBB95_2351
; %bb.2346:
	s_cmp_gt_i32 s8, 0
	s_mov_b32 s8, 0
	s_cbranch_scc0 .LBB95_2348
; %bb.2347:
	s_wait_loadcnt 0x0
	global_load_i8 v12, v[32:33], off
	s_branch .LBB95_2349
.LBB95_2348:
	s_mov_b32 s8, -1
                                        ; implicit-def: $vgpr12
.LBB95_2349:
	s_delay_alu instid0(SALU_CYCLE_1)
	s_and_not1_b32 vcc_lo, exec_lo, s8
	s_cbranch_vccnz .LBB95_2351
; %bb.2350:
	s_wait_loadcnt 0x0
	global_load_u8 v12, v[32:33], off
.LBB95_2351:
.LBB95_2352:
	v_mov_b32_e32 v19, 0
	s_load_b64 s[8:9], s[2:3], 0x1e0
	global_load_u8 v1, v19, s[2:3] offset:495
	s_wait_kmcnt 0x0
	v_add_nc_u64_e32 v[32:33], s[8:9], v[18:19]
	s_wait_loadcnt 0x0
	v_and_b32_e32 v3, 0xffff, v1
	v_readfirstlane_b32 s15, v1
	s_delay_alu instid0(VALU_DEP_2)
	v_cmp_gt_i32_e32 vcc_lo, 11, v3
	s_cbranch_vccnz .LBB95_2359
; %bb.2353:
	s_and_b32 s16, 0xffff, s15
	s_mov_b32 s18, 0
	s_cmp_gt_i32 s16, 25
	s_cbranch_scc0 .LBB95_2361
; %bb.2354:
	s_cmp_gt_i32 s16, 28
	s_cbranch_scc0 .LBB95_2362
; %bb.2355:
	s_cmp_gt_i32 s16, 43
	s_cbranch_scc0 .LBB95_2363
; %bb.2356:
	s_cmp_gt_i32 s16, 45
	s_cbranch_scc0 .LBB95_2365
; %bb.2357:
	s_cmp_eq_u32 s16, 46
	s_mov_b32 s20, 0
	s_cbranch_scc0 .LBB95_2366
; %bb.2358:
	global_load_b32 v1, v[32:33], off
	s_mov_b32 s17, 0
	s_mov_b32 s19, -1
	s_wait_loadcnt 0x0
	v_lshlrev_b32_e32 v1, 16, v1
	s_delay_alu instid0(VALU_DEP_1)
	v_cvt_i32_f32_e32 v18, v1
	s_branch .LBB95_2368
.LBB95_2359:
	s_mov_b32 s19, 0
                                        ; implicit-def: $vgpr18
	s_cbranch_execnz .LBB95_2430
.LBB95_2360:
	s_and_not1_b32 vcc_lo, exec_lo, s19
	s_cbranch_vccnz .LBB95_4058
	s_branch .LBB95_2478
.LBB95_2361:
	s_mov_b32 s20, -1
	s_mov_b32 s19, 0
	s_mov_b32 s17, 0
                                        ; implicit-def: $vgpr18
	s_branch .LBB95_2395
.LBB95_2362:
	s_mov_b32 s20, -1
	s_mov_b32 s19, 0
	s_mov_b32 s17, 0
                                        ; implicit-def: $vgpr18
	s_branch .LBB95_2378
.LBB95_2363:
	s_mov_b32 s20, -1
	s_mov_b32 s19, 0
	s_mov_b32 s17, 0
                                        ; implicit-def: $vgpr18
	s_branch .LBB95_2373
.LBB95_2364:
	s_or_b32 s12, s12, exec_lo
	s_trap 2
	s_cbranch_execz .LBB95_2303
	s_branch .LBB95_2304
.LBB95_2365:
	s_mov_b32 s20, -1
	s_mov_b32 s19, 0
	s_mov_b32 s17, 0
	s_branch .LBB95_2367
.LBB95_2366:
	s_mov_b32 s17, -1
	s_mov_b32 s19, 0
.LBB95_2367:
                                        ; implicit-def: $vgpr18
.LBB95_2368:
	s_and_b32 vcc_lo, exec_lo, s20
	s_cbranch_vccz .LBB95_2372
; %bb.2369:
	s_cmp_eq_u32 s16, 44
	s_cbranch_scc0 .LBB95_2371
; %bb.2370:
	global_load_u8 v1, v[32:33], off
	s_mov_b32 s17, 0
	s_mov_b32 s19, -1
	s_wait_loadcnt 0x0
	v_lshlrev_b32_e32 v3, 23, v1
	v_cmp_ne_u32_e32 vcc_lo, 0, v1
	s_delay_alu instid0(VALU_DEP_2) | instskip(NEXT) | instid1(VALU_DEP_1)
	v_cvt_i32_f32_e32 v3, v3
	v_cndmask_b32_e32 v18, 0, v3, vcc_lo
	s_branch .LBB95_2372
.LBB95_2371:
	s_mov_b32 s17, -1
                                        ; implicit-def: $vgpr18
.LBB95_2372:
	s_mov_b32 s20, 0
.LBB95_2373:
	s_delay_alu instid0(SALU_CYCLE_1)
	s_and_b32 vcc_lo, exec_lo, s20
	s_cbranch_vccz .LBB95_2377
; %bb.2374:
	s_cmp_eq_u32 s16, 29
	s_cbranch_scc0 .LBB95_2376
; %bb.2375:
	global_load_b64 v[18:19], v[32:33], off
	s_mov_b32 s17, 0
	s_mov_b32 s19, -1
	s_branch .LBB95_2377
.LBB95_2376:
	s_mov_b32 s17, -1
                                        ; implicit-def: $vgpr18
.LBB95_2377:
	s_mov_b32 s20, 0
.LBB95_2378:
	s_delay_alu instid0(SALU_CYCLE_1)
	s_and_b32 vcc_lo, exec_lo, s20
	s_cbranch_vccz .LBB95_2394
; %bb.2379:
	s_cmp_lt_i32 s16, 27
	s_cbranch_scc1 .LBB95_2382
; %bb.2380:
	s_cmp_gt_i32 s16, 27
	s_cbranch_scc0 .LBB95_2383
; %bb.2381:
	s_wait_loadcnt 0x0
	global_load_b32 v18, v[32:33], off
	s_mov_b32 s19, 0
	s_branch .LBB95_2384
.LBB95_2382:
	s_mov_b32 s19, -1
                                        ; implicit-def: $vgpr18
	s_branch .LBB95_2387
.LBB95_2383:
	s_mov_b32 s19, -1
                                        ; implicit-def: $vgpr18
.LBB95_2384:
	s_delay_alu instid0(SALU_CYCLE_1)
	s_and_not1_b32 vcc_lo, exec_lo, s19
	s_cbranch_vccnz .LBB95_2386
; %bb.2385:
	s_wait_loadcnt 0x0
	global_load_u16 v18, v[32:33], off
.LBB95_2386:
	s_mov_b32 s19, 0
.LBB95_2387:
	s_delay_alu instid0(SALU_CYCLE_1)
	s_and_not1_b32 vcc_lo, exec_lo, s19
	s_cbranch_vccnz .LBB95_2393
; %bb.2388:
	global_load_u8 v1, v[32:33], off
	s_mov_b32 s20, 0
	s_mov_b32 s19, exec_lo
	s_wait_loadcnt 0x0
	v_cmpx_lt_i16_e32 0x7f, v1
	s_xor_b32 s19, exec_lo, s19
	s_cbranch_execz .LBB95_2405
; %bb.2389:
	v_cmp_ne_u16_e32 vcc_lo, 0x80, v1
	s_and_b32 s20, vcc_lo, exec_lo
	s_and_not1_saveexec_b32 s19, s19
	s_cbranch_execnz .LBB95_2406
.LBB95_2390:
	s_or_b32 exec_lo, exec_lo, s19
	v_mov_b32_e32 v18, 0
	s_and_saveexec_b32 s19, s20
	s_cbranch_execz .LBB95_2392
.LBB95_2391:
	v_and_b32_e32 v3, 0xffff, v1
	s_delay_alu instid0(VALU_DEP_1) | instskip(SKIP_1) | instid1(VALU_DEP_2)
	v_dual_lshlrev_b32 v1, 24, v1 :: v_dual_bitop2_b32 v5, 7, v3 bitop3:0x40
	v_bfe_u32 v11, v3, 3, 4
	v_and_b32_e32 v1, 0x80000000, v1
	s_delay_alu instid0(VALU_DEP_3) | instskip(NEXT) | instid1(VALU_DEP_3)
	v_clz_i32_u32_e32 v7, v5
	v_cmp_eq_u32_e32 vcc_lo, 0, v11
	s_delay_alu instid0(VALU_DEP_2) | instskip(NEXT) | instid1(VALU_DEP_1)
	v_min_u32_e32 v7, 32, v7
	v_subrev_nc_u32_e32 v9, 28, v7
	v_sub_nc_u32_e32 v7, 29, v7
	s_delay_alu instid0(VALU_DEP_2) | instskip(NEXT) | instid1(VALU_DEP_2)
	v_lshlrev_b32_e32 v3, v9, v3
	v_cndmask_b32_e32 v7, v11, v7, vcc_lo
	s_delay_alu instid0(VALU_DEP_2) | instskip(NEXT) | instid1(VALU_DEP_1)
	v_and_b32_e32 v3, 7, v3
	v_cndmask_b32_e32 v3, v5, v3, vcc_lo
	s_delay_alu instid0(VALU_DEP_3) | instskip(NEXT) | instid1(VALU_DEP_2)
	v_lshl_add_u32 v5, v7, 23, 0x3b800000
	v_lshlrev_b32_e32 v3, 20, v3
	s_delay_alu instid0(VALU_DEP_1) | instskip(NEXT) | instid1(VALU_DEP_1)
	v_or3_b32 v1, v1, v5, v3
	v_cvt_i32_f32_e32 v18, v1
.LBB95_2392:
	s_or_b32 exec_lo, exec_lo, s19
.LBB95_2393:
	s_mov_b32 s19, -1
.LBB95_2394:
	s_mov_b32 s20, 0
.LBB95_2395:
	s_delay_alu instid0(SALU_CYCLE_1)
	s_and_b32 vcc_lo, exec_lo, s20
	s_cbranch_vccz .LBB95_2426
; %bb.2396:
	s_cmp_gt_i32 s16, 22
	s_cbranch_scc0 .LBB95_2404
; %bb.2397:
	s_cmp_lt_i32 s16, 24
	s_cbranch_scc1 .LBB95_2407
; %bb.2398:
	s_cmp_gt_i32 s16, 24
	s_cbranch_scc0 .LBB95_2408
; %bb.2399:
	global_load_u8 v1, v[32:33], off
	s_mov_b32 s19, 0
	s_mov_b32 s18, exec_lo
	s_wait_loadcnt 0x0
	v_cmpx_lt_i16_e32 0x7f, v1
	s_xor_b32 s18, exec_lo, s18
	s_cbranch_execz .LBB95_2420
; %bb.2400:
	v_cmp_ne_u16_e32 vcc_lo, 0x80, v1
	s_and_b32 s19, vcc_lo, exec_lo
	s_and_not1_saveexec_b32 s18, s18
	s_cbranch_execnz .LBB95_2421
.LBB95_2401:
	s_or_b32 exec_lo, exec_lo, s18
	v_mov_b32_e32 v18, 0
	s_and_saveexec_b32 s18, s19
	s_cbranch_execz .LBB95_2403
.LBB95_2402:
	v_and_b32_e32 v3, 0xffff, v1
	s_delay_alu instid0(VALU_DEP_1) | instskip(SKIP_1) | instid1(VALU_DEP_2)
	v_dual_lshlrev_b32 v1, 24, v1 :: v_dual_bitop2_b32 v5, 3, v3 bitop3:0x40
	v_bfe_u32 v11, v3, 2, 5
	v_and_b32_e32 v1, 0x80000000, v1
	s_delay_alu instid0(VALU_DEP_3) | instskip(NEXT) | instid1(VALU_DEP_3)
	v_clz_i32_u32_e32 v7, v5
	v_cmp_eq_u32_e32 vcc_lo, 0, v11
	s_delay_alu instid0(VALU_DEP_2) | instskip(NEXT) | instid1(VALU_DEP_1)
	v_min_u32_e32 v7, 32, v7
	v_subrev_nc_u32_e32 v9, 29, v7
	v_sub_nc_u32_e32 v7, 30, v7
	s_delay_alu instid0(VALU_DEP_2) | instskip(NEXT) | instid1(VALU_DEP_2)
	v_lshlrev_b32_e32 v3, v9, v3
	v_cndmask_b32_e32 v7, v11, v7, vcc_lo
	s_delay_alu instid0(VALU_DEP_2) | instskip(NEXT) | instid1(VALU_DEP_1)
	v_and_b32_e32 v3, 3, v3
	v_cndmask_b32_e32 v3, v5, v3, vcc_lo
	s_delay_alu instid0(VALU_DEP_3) | instskip(NEXT) | instid1(VALU_DEP_2)
	v_lshl_add_u32 v5, v7, 23, 0x37800000
	v_lshlrev_b32_e32 v3, 21, v3
	s_delay_alu instid0(VALU_DEP_1) | instskip(NEXT) | instid1(VALU_DEP_1)
	v_or3_b32 v1, v1, v5, v3
	v_cvt_i32_f32_e32 v18, v1
.LBB95_2403:
	s_or_b32 exec_lo, exec_lo, s18
	s_mov_b32 s18, 0
	s_branch .LBB95_2409
.LBB95_2404:
	s_mov_b32 s18, -1
                                        ; implicit-def: $vgpr18
	s_branch .LBB95_2415
.LBB95_2405:
	s_and_not1_saveexec_b32 s19, s19
	s_cbranch_execz .LBB95_2390
.LBB95_2406:
	v_cmp_ne_u16_e32 vcc_lo, 0, v1
	s_and_not1_b32 s20, s20, exec_lo
	s_and_b32 s21, vcc_lo, exec_lo
	s_delay_alu instid0(SALU_CYCLE_1)
	s_or_b32 s20, s20, s21
	s_or_b32 exec_lo, exec_lo, s19
	v_mov_b32_e32 v18, 0
	s_and_saveexec_b32 s19, s20
	s_cbranch_execnz .LBB95_2391
	s_branch .LBB95_2392
.LBB95_2407:
	s_mov_b32 s18, -1
                                        ; implicit-def: $vgpr18
	s_branch .LBB95_2412
.LBB95_2408:
	s_mov_b32 s18, -1
                                        ; implicit-def: $vgpr18
.LBB95_2409:
	s_delay_alu instid0(SALU_CYCLE_1)
	s_and_b32 vcc_lo, exec_lo, s18
	s_cbranch_vccz .LBB95_2411
; %bb.2410:
	global_load_u8 v1, v[32:33], off
	s_wait_loadcnt 0x0
	v_lshlrev_b32_e32 v1, 24, v1
	s_delay_alu instid0(VALU_DEP_1) | instskip(NEXT) | instid1(VALU_DEP_1)
	v_and_b32_e32 v3, 0x7f000000, v1
	v_clz_i32_u32_e32 v5, v3
	v_add_nc_u32_e32 v9, 0x1000000, v3
	v_cmp_ne_u32_e32 vcc_lo, 0, v3
	s_delay_alu instid0(VALU_DEP_3) | instskip(NEXT) | instid1(VALU_DEP_1)
	v_min_u32_e32 v5, 32, v5
	v_sub_nc_u32_e64 v5, v5, 4 clamp
	s_delay_alu instid0(VALU_DEP_1) | instskip(NEXT) | instid1(VALU_DEP_1)
	v_dual_lshlrev_b32 v7, v5, v3 :: v_dual_lshlrev_b32 v5, 23, v5
	v_lshrrev_b32_e32 v7, 4, v7
	s_delay_alu instid0(VALU_DEP_1) | instskip(SKIP_1) | instid1(VALU_DEP_2)
	v_sub_nc_u32_e32 v5, v7, v5
	v_ashrrev_i32_e32 v7, 8, v9
	v_add_nc_u32_e32 v5, 0x3c000000, v5
	s_delay_alu instid0(VALU_DEP_1) | instskip(NEXT) | instid1(VALU_DEP_1)
	v_and_or_b32 v5, 0x7f800000, v7, v5
	v_cndmask_b32_e32 v3, 0, v5, vcc_lo
	s_delay_alu instid0(VALU_DEP_1) | instskip(NEXT) | instid1(VALU_DEP_1)
	v_and_or_b32 v1, 0x80000000, v1, v3
	v_cvt_i32_f32_e32 v18, v1
.LBB95_2411:
	s_mov_b32 s18, 0
.LBB95_2412:
	s_delay_alu instid0(SALU_CYCLE_1)
	s_and_not1_b32 vcc_lo, exec_lo, s18
	s_cbranch_vccnz .LBB95_2414
; %bb.2413:
	global_load_u8 v1, v[32:33], off
	s_wait_loadcnt 0x0
	v_lshlrev_b32_e32 v3, 25, v1
	v_lshlrev_b16 v1, 8, v1
	s_delay_alu instid0(VALU_DEP_1) | instskip(SKIP_1) | instid1(VALU_DEP_2)
	v_and_or_b32 v7, 0x7f00, v1, 0.5
	v_bfe_i32 v1, v1, 0, 16
	v_add_f32_e32 v7, -0.5, v7
	v_lshrrev_b32_e32 v5, 4, v3
	v_cmp_gt_u32_e32 vcc_lo, 0x8000000, v3
	s_delay_alu instid0(VALU_DEP_2) | instskip(NEXT) | instid1(VALU_DEP_1)
	v_or_b32_e32 v5, 0x70000000, v5
	v_mul_f32_e32 v5, 0x7800000, v5
	s_delay_alu instid0(VALU_DEP_1) | instskip(NEXT) | instid1(VALU_DEP_1)
	v_cndmask_b32_e32 v3, v5, v7, vcc_lo
	v_and_or_b32 v1, 0x80000000, v1, v3
	s_delay_alu instid0(VALU_DEP_1)
	v_cvt_i32_f32_e32 v18, v1
.LBB95_2414:
	s_mov_b32 s18, 0
	s_mov_b32 s19, -1
.LBB95_2415:
	s_and_not1_b32 vcc_lo, exec_lo, s18
	s_mov_b32 s18, 0
	s_cbranch_vccnz .LBB95_2426
; %bb.2416:
	s_cmp_gt_i32 s16, 14
	s_cbranch_scc0 .LBB95_2419
; %bb.2417:
	s_cmp_eq_u32 s16, 15
	s_cbranch_scc0 .LBB95_2422
; %bb.2418:
	global_load_u16 v1, v[32:33], off
	s_mov_b32 s17, 0
	s_mov_b32 s19, -1
	s_wait_loadcnt 0x0
	v_lshlrev_b32_e32 v1, 16, v1
	s_delay_alu instid0(VALU_DEP_1)
	v_cvt_i32_f32_e32 v18, v1
	s_branch .LBB95_2424
.LBB95_2419:
	s_mov_b32 s18, -1
	s_branch .LBB95_2423
.LBB95_2420:
	s_and_not1_saveexec_b32 s18, s18
	s_cbranch_execz .LBB95_2401
.LBB95_2421:
	v_cmp_ne_u16_e32 vcc_lo, 0, v1
	s_and_not1_b32 s19, s19, exec_lo
	s_and_b32 s20, vcc_lo, exec_lo
	s_delay_alu instid0(SALU_CYCLE_1)
	s_or_b32 s19, s19, s20
	s_or_b32 exec_lo, exec_lo, s18
	v_mov_b32_e32 v18, 0
	s_and_saveexec_b32 s18, s19
	s_cbranch_execnz .LBB95_2402
	s_branch .LBB95_2403
.LBB95_2422:
	s_mov_b32 s17, -1
.LBB95_2423:
                                        ; implicit-def: $vgpr18
.LBB95_2424:
	s_and_b32 vcc_lo, exec_lo, s18
	s_mov_b32 s18, 0
	s_cbranch_vccz .LBB95_2426
; %bb.2425:
	s_cmp_lg_u32 s16, 11
	s_mov_b32 s18, -1
	s_cselect_b32 s17, -1, 0
.LBB95_2426:
	s_delay_alu instid0(SALU_CYCLE_1)
	s_and_b32 vcc_lo, exec_lo, s17
	s_cbranch_vccnz .LBB95_2489
; %bb.2427:
	s_and_not1_b32 vcc_lo, exec_lo, s18
	s_cbranch_vccnz .LBB95_2429
.LBB95_2428:
	global_load_u8 v1, v[32:33], off
	s_mov_b32 s19, -1
	s_wait_loadcnt 0x0
	v_cmp_ne_u16_e32 vcc_lo, 0, v1
	v_cndmask_b32_e64 v18, 0, 1, vcc_lo
.LBB95_2429:
	s_branch .LBB95_2360
.LBB95_2430:
	s_and_b32 s16, 0xffff, s15
	s_delay_alu instid0(SALU_CYCLE_1)
	s_cmp_lt_i32 s16, 5
	s_cbranch_scc1 .LBB95_2435
; %bb.2431:
	s_cmp_lt_i32 s16, 8
	s_cbranch_scc1 .LBB95_2436
; %bb.2432:
	;; [unrolled: 3-line block ×3, first 2 shown]
	s_cmp_gt_i32 s16, 9
	s_cbranch_scc0 .LBB95_2438
; %bb.2434:
	s_wait_loadcnt 0x0
	global_load_b64 v[18:19], v[32:33], off
	s_mov_b32 s17, 0
	s_wait_loadcnt 0x0
	v_cvt_i32_f64_e32 v18, v[18:19]
	s_branch .LBB95_2439
.LBB95_2435:
	s_mov_b32 s17, -1
                                        ; implicit-def: $vgpr18
	s_branch .LBB95_2457
.LBB95_2436:
	s_mov_b32 s17, -1
                                        ; implicit-def: $vgpr18
	s_branch .LBB95_2445
.LBB95_2437:
	s_mov_b32 s17, -1
                                        ; implicit-def: $vgpr18
	s_branch .LBB95_2442
.LBB95_2438:
	s_mov_b32 s17, -1
                                        ; implicit-def: $vgpr18
.LBB95_2439:
	s_delay_alu instid0(SALU_CYCLE_1)
	s_and_not1_b32 vcc_lo, exec_lo, s17
	s_cbranch_vccnz .LBB95_2441
; %bb.2440:
	global_load_b32 v1, v[32:33], off
	s_wait_loadcnt 0x0
	v_cvt_i32_f32_e32 v18, v1
.LBB95_2441:
	s_mov_b32 s17, 0
.LBB95_2442:
	s_delay_alu instid0(SALU_CYCLE_1)
	s_and_not1_b32 vcc_lo, exec_lo, s17
	s_cbranch_vccnz .LBB95_2444
; %bb.2443:
	global_load_b32 v1, v[32:33], off
	s_wait_loadcnt 0x0
	v_cvt_i16_f16_e32 v18, v1
.LBB95_2444:
	s_mov_b32 s17, 0
.LBB95_2445:
	s_delay_alu instid0(SALU_CYCLE_1)
	s_and_not1_b32 vcc_lo, exec_lo, s17
	s_cbranch_vccnz .LBB95_2456
; %bb.2446:
	s_cmp_lt_i32 s16, 6
	s_cbranch_scc1 .LBB95_2449
; %bb.2447:
	s_cmp_gt_i32 s16, 6
	s_cbranch_scc0 .LBB95_2450
; %bb.2448:
	s_wait_loadcnt 0x0
	global_load_b64 v[18:19], v[32:33], off
	s_mov_b32 s17, 0
	s_wait_loadcnt 0x0
	v_cvt_i32_f64_e32 v18, v[18:19]
	s_branch .LBB95_2451
.LBB95_2449:
	s_mov_b32 s17, -1
                                        ; implicit-def: $vgpr18
	s_branch .LBB95_2454
.LBB95_2450:
	s_mov_b32 s17, -1
                                        ; implicit-def: $vgpr18
.LBB95_2451:
	s_delay_alu instid0(SALU_CYCLE_1)
	s_and_not1_b32 vcc_lo, exec_lo, s17
	s_cbranch_vccnz .LBB95_2453
; %bb.2452:
	global_load_b32 v1, v[32:33], off
	s_wait_loadcnt 0x0
	v_cvt_i32_f32_e32 v18, v1
.LBB95_2453:
	s_mov_b32 s17, 0
.LBB95_2454:
	s_delay_alu instid0(SALU_CYCLE_1)
	s_and_not1_b32 vcc_lo, exec_lo, s17
	s_cbranch_vccnz .LBB95_2456
; %bb.2455:
	global_load_u16 v1, v[32:33], off
	s_wait_loadcnt 0x0
	v_cvt_i16_f16_e32 v18, v1
.LBB95_2456:
	s_mov_b32 s17, 0
.LBB95_2457:
	s_delay_alu instid0(SALU_CYCLE_1)
	s_and_not1_b32 vcc_lo, exec_lo, s17
	s_cbranch_vccnz .LBB95_2477
; %bb.2458:
	s_cmp_lt_i32 s16, 2
	s_cbranch_scc1 .LBB95_2462
; %bb.2459:
	s_cmp_lt_i32 s16, 3
	s_cbranch_scc1 .LBB95_2463
; %bb.2460:
	s_cmp_gt_i32 s16, 3
	s_cbranch_scc0 .LBB95_2464
; %bb.2461:
	s_wait_loadcnt 0x0
	global_load_b64 v[18:19], v[32:33], off
	s_mov_b32 s17, 0
	s_branch .LBB95_2465
.LBB95_2462:
	s_mov_b32 s17, -1
                                        ; implicit-def: $vgpr18
	s_branch .LBB95_2471
.LBB95_2463:
	s_mov_b32 s17, -1
                                        ; implicit-def: $vgpr18
	s_branch .LBB95_2468
.LBB95_2464:
	s_mov_b32 s17, -1
                                        ; implicit-def: $vgpr18
.LBB95_2465:
	s_delay_alu instid0(SALU_CYCLE_1)
	s_and_not1_b32 vcc_lo, exec_lo, s17
	s_cbranch_vccnz .LBB95_2467
; %bb.2466:
	s_wait_loadcnt 0x0
	global_load_b32 v18, v[32:33], off
.LBB95_2467:
	s_mov_b32 s17, 0
.LBB95_2468:
	s_delay_alu instid0(SALU_CYCLE_1)
	s_and_not1_b32 vcc_lo, exec_lo, s17
	s_cbranch_vccnz .LBB95_2470
; %bb.2469:
	s_wait_loadcnt 0x0
	global_load_u16 v18, v[32:33], off
.LBB95_2470:
	s_mov_b32 s17, 0
.LBB95_2471:
	s_delay_alu instid0(SALU_CYCLE_1)
	s_and_not1_b32 vcc_lo, exec_lo, s17
	s_cbranch_vccnz .LBB95_2477
; %bb.2472:
	s_cmp_gt_i32 s16, 0
	s_mov_b32 s16, 0
	s_cbranch_scc0 .LBB95_2474
; %bb.2473:
	s_wait_loadcnt 0x0
	global_load_i8 v18, v[32:33], off
	s_branch .LBB95_2475
.LBB95_2474:
	s_mov_b32 s16, -1
                                        ; implicit-def: $vgpr18
.LBB95_2475:
	s_delay_alu instid0(SALU_CYCLE_1)
	s_and_not1_b32 vcc_lo, exec_lo, s16
	s_cbranch_vccnz .LBB95_2477
; %bb.2476:
	s_wait_loadcnt 0x0
	global_load_u8 v18, v[32:33], off
.LBB95_2477:
.LBB95_2478:
	v_mov_b32_e32 v17, 0
	s_and_b32 s13, 0xffff, s13
	s_delay_alu instid0(SALU_CYCLE_1) | instskip(SKIP_1) | instid1(VALU_DEP_1)
	s_cmp_lt_i32 s13, 11
	s_wait_xcnt 0x0
	v_add_nc_u64_e32 v[32:33], s[6:7], v[16:17]
	s_cbranch_scc1 .LBB95_2485
; %bb.2479:
	s_cmp_gt_i32 s13, 25
	s_mov_b32 s17, 0
	s_cbranch_scc0 .LBB95_2486
; %bb.2480:
	s_cmp_gt_i32 s13, 28
	s_cbranch_scc0 .LBB95_2487
; %bb.2481:
	s_cmp_gt_i32 s13, 43
	;; [unrolled: 3-line block ×3, first 2 shown]
	s_cbranch_scc0 .LBB95_2490
; %bb.2483:
	s_cmp_eq_u32 s13, 46
	s_mov_b32 s19, 0
	s_cbranch_scc0 .LBB95_2491
; %bb.2484:
	global_load_b32 v1, v[32:33], off
	s_mov_b32 s16, 0
	s_mov_b32 s18, -1
	s_wait_loadcnt 0x0
	v_lshlrev_b32_e32 v1, 16, v1
	s_delay_alu instid0(VALU_DEP_1)
	v_cvt_i32_f32_e32 v16, v1
	s_branch .LBB95_2493
.LBB95_2485:
	s_mov_b32 s16, -1
	s_mov_b32 s18, 0
                                        ; implicit-def: $vgpr16
	s_branch .LBB95_2555
.LBB95_2486:
	s_mov_b32 s19, -1
	s_mov_b32 s18, 0
	s_mov_b32 s16, 0
                                        ; implicit-def: $vgpr16
	s_branch .LBB95_2520
.LBB95_2487:
	s_mov_b32 s19, -1
	s_mov_b32 s18, 0
	s_mov_b32 s16, 0
                                        ; implicit-def: $vgpr16
	s_branch .LBB95_2503
.LBB95_2488:
	s_mov_b32 s19, -1
	s_mov_b32 s18, 0
	s_mov_b32 s16, 0
                                        ; implicit-def: $vgpr16
	s_branch .LBB95_2498
.LBB95_2489:
	s_or_b32 s12, s12, exec_lo
	s_trap 2
	s_cbranch_execz .LBB95_2428
	s_branch .LBB95_2429
.LBB95_2490:
	s_mov_b32 s19, -1
	s_mov_b32 s18, 0
	s_mov_b32 s16, 0
	s_branch .LBB95_2492
.LBB95_2491:
	s_mov_b32 s16, -1
	s_mov_b32 s18, 0
.LBB95_2492:
                                        ; implicit-def: $vgpr16
.LBB95_2493:
	s_and_b32 vcc_lo, exec_lo, s19
	s_cbranch_vccz .LBB95_2497
; %bb.2494:
	s_cmp_eq_u32 s13, 44
	s_cbranch_scc0 .LBB95_2496
; %bb.2495:
	global_load_u8 v1, v[32:33], off
	s_mov_b32 s16, 0
	s_mov_b32 s18, -1
	s_wait_loadcnt 0x0
	v_lshlrev_b32_e32 v3, 23, v1
	v_cmp_ne_u32_e32 vcc_lo, 0, v1
	s_delay_alu instid0(VALU_DEP_2) | instskip(NEXT) | instid1(VALU_DEP_1)
	v_cvt_i32_f32_e32 v3, v3
	v_cndmask_b32_e32 v16, 0, v3, vcc_lo
	s_branch .LBB95_2497
.LBB95_2496:
	s_mov_b32 s16, -1
                                        ; implicit-def: $vgpr16
.LBB95_2497:
	s_mov_b32 s19, 0
.LBB95_2498:
	s_delay_alu instid0(SALU_CYCLE_1)
	s_and_b32 vcc_lo, exec_lo, s19
	s_cbranch_vccz .LBB95_2502
; %bb.2499:
	s_cmp_eq_u32 s13, 29
	s_cbranch_scc0 .LBB95_2501
; %bb.2500:
	global_load_b64 v[16:17], v[32:33], off
	s_mov_b32 s16, 0
	s_mov_b32 s18, -1
	s_branch .LBB95_2502
.LBB95_2501:
	s_mov_b32 s16, -1
                                        ; implicit-def: $vgpr16
.LBB95_2502:
	s_mov_b32 s19, 0
.LBB95_2503:
	s_delay_alu instid0(SALU_CYCLE_1)
	s_and_b32 vcc_lo, exec_lo, s19
	s_cbranch_vccz .LBB95_2519
; %bb.2504:
	s_cmp_lt_i32 s13, 27
	s_cbranch_scc1 .LBB95_2507
; %bb.2505:
	s_cmp_gt_i32 s13, 27
	s_cbranch_scc0 .LBB95_2508
; %bb.2506:
	s_wait_loadcnt 0x0
	global_load_b32 v16, v[32:33], off
	s_mov_b32 s18, 0
	s_branch .LBB95_2509
.LBB95_2507:
	s_mov_b32 s18, -1
                                        ; implicit-def: $vgpr16
	s_branch .LBB95_2512
.LBB95_2508:
	s_mov_b32 s18, -1
                                        ; implicit-def: $vgpr16
.LBB95_2509:
	s_delay_alu instid0(SALU_CYCLE_1)
	s_and_not1_b32 vcc_lo, exec_lo, s18
	s_cbranch_vccnz .LBB95_2511
; %bb.2510:
	s_wait_loadcnt 0x0
	global_load_u16 v16, v[32:33], off
.LBB95_2511:
	s_mov_b32 s18, 0
.LBB95_2512:
	s_delay_alu instid0(SALU_CYCLE_1)
	s_and_not1_b32 vcc_lo, exec_lo, s18
	s_cbranch_vccnz .LBB95_2518
; %bb.2513:
	global_load_u8 v1, v[32:33], off
	s_mov_b32 s19, 0
	s_mov_b32 s18, exec_lo
	s_wait_loadcnt 0x0
	v_cmpx_lt_i16_e32 0x7f, v1
	s_xor_b32 s18, exec_lo, s18
	s_cbranch_execz .LBB95_2530
; %bb.2514:
	v_cmp_ne_u16_e32 vcc_lo, 0x80, v1
	s_and_b32 s19, vcc_lo, exec_lo
	s_and_not1_saveexec_b32 s18, s18
	s_cbranch_execnz .LBB95_2531
.LBB95_2515:
	s_or_b32 exec_lo, exec_lo, s18
	v_mov_b32_e32 v16, 0
	s_and_saveexec_b32 s18, s19
	s_cbranch_execz .LBB95_2517
.LBB95_2516:
	v_and_b32_e32 v3, 0xffff, v1
	s_delay_alu instid0(VALU_DEP_1) | instskip(SKIP_1) | instid1(VALU_DEP_2)
	v_dual_lshlrev_b32 v1, 24, v1 :: v_dual_bitop2_b32 v5, 7, v3 bitop3:0x40
	v_bfe_u32 v11, v3, 3, 4
	v_and_b32_e32 v1, 0x80000000, v1
	s_delay_alu instid0(VALU_DEP_3) | instskip(NEXT) | instid1(VALU_DEP_3)
	v_clz_i32_u32_e32 v7, v5
	v_cmp_eq_u32_e32 vcc_lo, 0, v11
	s_delay_alu instid0(VALU_DEP_2) | instskip(NEXT) | instid1(VALU_DEP_1)
	v_min_u32_e32 v7, 32, v7
	v_subrev_nc_u32_e32 v9, 28, v7
	v_sub_nc_u32_e32 v7, 29, v7
	s_delay_alu instid0(VALU_DEP_2) | instskip(NEXT) | instid1(VALU_DEP_2)
	v_lshlrev_b32_e32 v3, v9, v3
	v_cndmask_b32_e32 v7, v11, v7, vcc_lo
	s_delay_alu instid0(VALU_DEP_2) | instskip(NEXT) | instid1(VALU_DEP_1)
	v_and_b32_e32 v3, 7, v3
	v_cndmask_b32_e32 v3, v5, v3, vcc_lo
	s_delay_alu instid0(VALU_DEP_3) | instskip(NEXT) | instid1(VALU_DEP_2)
	v_lshl_add_u32 v5, v7, 23, 0x3b800000
	v_lshlrev_b32_e32 v3, 20, v3
	s_delay_alu instid0(VALU_DEP_1) | instskip(NEXT) | instid1(VALU_DEP_1)
	v_or3_b32 v1, v1, v5, v3
	v_cvt_i32_f32_e32 v16, v1
.LBB95_2517:
	s_or_b32 exec_lo, exec_lo, s18
.LBB95_2518:
	s_mov_b32 s18, -1
.LBB95_2519:
	s_mov_b32 s19, 0
.LBB95_2520:
	s_delay_alu instid0(SALU_CYCLE_1)
	s_and_b32 vcc_lo, exec_lo, s19
	s_cbranch_vccz .LBB95_2551
; %bb.2521:
	s_cmp_gt_i32 s13, 22
	s_cbranch_scc0 .LBB95_2529
; %bb.2522:
	s_cmp_lt_i32 s13, 24
	s_cbranch_scc1 .LBB95_2532
; %bb.2523:
	s_cmp_gt_i32 s13, 24
	s_cbranch_scc0 .LBB95_2533
; %bb.2524:
	global_load_u8 v1, v[32:33], off
	s_mov_b32 s18, 0
	s_mov_b32 s17, exec_lo
	s_wait_loadcnt 0x0
	v_cmpx_lt_i16_e32 0x7f, v1
	s_xor_b32 s17, exec_lo, s17
	s_cbranch_execz .LBB95_2545
; %bb.2525:
	v_cmp_ne_u16_e32 vcc_lo, 0x80, v1
	s_and_b32 s18, vcc_lo, exec_lo
	s_and_not1_saveexec_b32 s17, s17
	s_cbranch_execnz .LBB95_2546
.LBB95_2526:
	s_or_b32 exec_lo, exec_lo, s17
	v_mov_b32_e32 v16, 0
	s_and_saveexec_b32 s17, s18
	s_cbranch_execz .LBB95_2528
.LBB95_2527:
	v_and_b32_e32 v3, 0xffff, v1
	s_delay_alu instid0(VALU_DEP_1) | instskip(SKIP_1) | instid1(VALU_DEP_2)
	v_dual_lshlrev_b32 v1, 24, v1 :: v_dual_bitop2_b32 v5, 3, v3 bitop3:0x40
	v_bfe_u32 v11, v3, 2, 5
	v_and_b32_e32 v1, 0x80000000, v1
	s_delay_alu instid0(VALU_DEP_3) | instskip(NEXT) | instid1(VALU_DEP_3)
	v_clz_i32_u32_e32 v7, v5
	v_cmp_eq_u32_e32 vcc_lo, 0, v11
	s_delay_alu instid0(VALU_DEP_2) | instskip(NEXT) | instid1(VALU_DEP_1)
	v_min_u32_e32 v7, 32, v7
	v_subrev_nc_u32_e32 v9, 29, v7
	v_sub_nc_u32_e32 v7, 30, v7
	s_delay_alu instid0(VALU_DEP_2) | instskip(NEXT) | instid1(VALU_DEP_2)
	v_lshlrev_b32_e32 v3, v9, v3
	v_cndmask_b32_e32 v7, v11, v7, vcc_lo
	s_delay_alu instid0(VALU_DEP_2) | instskip(NEXT) | instid1(VALU_DEP_1)
	v_and_b32_e32 v3, 3, v3
	v_cndmask_b32_e32 v3, v5, v3, vcc_lo
	s_delay_alu instid0(VALU_DEP_3) | instskip(NEXT) | instid1(VALU_DEP_2)
	v_lshl_add_u32 v5, v7, 23, 0x37800000
	v_lshlrev_b32_e32 v3, 21, v3
	s_delay_alu instid0(VALU_DEP_1) | instskip(NEXT) | instid1(VALU_DEP_1)
	v_or3_b32 v1, v1, v5, v3
	v_cvt_i32_f32_e32 v16, v1
.LBB95_2528:
	s_or_b32 exec_lo, exec_lo, s17
	s_mov_b32 s17, 0
	s_branch .LBB95_2534
.LBB95_2529:
	s_mov_b32 s17, -1
                                        ; implicit-def: $vgpr16
	s_branch .LBB95_2540
.LBB95_2530:
	s_and_not1_saveexec_b32 s18, s18
	s_cbranch_execz .LBB95_2515
.LBB95_2531:
	v_cmp_ne_u16_e32 vcc_lo, 0, v1
	s_and_not1_b32 s19, s19, exec_lo
	s_and_b32 s20, vcc_lo, exec_lo
	s_delay_alu instid0(SALU_CYCLE_1)
	s_or_b32 s19, s19, s20
	s_or_b32 exec_lo, exec_lo, s18
	v_mov_b32_e32 v16, 0
	s_and_saveexec_b32 s18, s19
	s_cbranch_execnz .LBB95_2516
	s_branch .LBB95_2517
.LBB95_2532:
	s_mov_b32 s17, -1
                                        ; implicit-def: $vgpr16
	s_branch .LBB95_2537
.LBB95_2533:
	s_mov_b32 s17, -1
                                        ; implicit-def: $vgpr16
.LBB95_2534:
	s_delay_alu instid0(SALU_CYCLE_1)
	s_and_b32 vcc_lo, exec_lo, s17
	s_cbranch_vccz .LBB95_2536
; %bb.2535:
	global_load_u8 v1, v[32:33], off
	s_wait_loadcnt 0x0
	v_lshlrev_b32_e32 v1, 24, v1
	s_delay_alu instid0(VALU_DEP_1) | instskip(NEXT) | instid1(VALU_DEP_1)
	v_and_b32_e32 v3, 0x7f000000, v1
	v_clz_i32_u32_e32 v5, v3
	v_add_nc_u32_e32 v9, 0x1000000, v3
	v_cmp_ne_u32_e32 vcc_lo, 0, v3
	s_delay_alu instid0(VALU_DEP_3) | instskip(NEXT) | instid1(VALU_DEP_1)
	v_min_u32_e32 v5, 32, v5
	v_sub_nc_u32_e64 v5, v5, 4 clamp
	s_delay_alu instid0(VALU_DEP_1) | instskip(NEXT) | instid1(VALU_DEP_1)
	v_dual_lshlrev_b32 v7, v5, v3 :: v_dual_lshlrev_b32 v5, 23, v5
	v_lshrrev_b32_e32 v7, 4, v7
	s_delay_alu instid0(VALU_DEP_1) | instskip(SKIP_1) | instid1(VALU_DEP_2)
	v_sub_nc_u32_e32 v5, v7, v5
	v_ashrrev_i32_e32 v7, 8, v9
	v_add_nc_u32_e32 v5, 0x3c000000, v5
	s_delay_alu instid0(VALU_DEP_1) | instskip(NEXT) | instid1(VALU_DEP_1)
	v_and_or_b32 v5, 0x7f800000, v7, v5
	v_cndmask_b32_e32 v3, 0, v5, vcc_lo
	s_delay_alu instid0(VALU_DEP_1) | instskip(NEXT) | instid1(VALU_DEP_1)
	v_and_or_b32 v1, 0x80000000, v1, v3
	v_cvt_i32_f32_e32 v16, v1
.LBB95_2536:
	s_mov_b32 s17, 0
.LBB95_2537:
	s_delay_alu instid0(SALU_CYCLE_1)
	s_and_not1_b32 vcc_lo, exec_lo, s17
	s_cbranch_vccnz .LBB95_2539
; %bb.2538:
	global_load_u8 v1, v[32:33], off
	s_wait_loadcnt 0x0
	v_lshlrev_b32_e32 v3, 25, v1
	v_lshlrev_b16 v1, 8, v1
	s_delay_alu instid0(VALU_DEP_1) | instskip(SKIP_1) | instid1(VALU_DEP_2)
	v_and_or_b32 v7, 0x7f00, v1, 0.5
	v_bfe_i32 v1, v1, 0, 16
	v_add_f32_e32 v7, -0.5, v7
	v_lshrrev_b32_e32 v5, 4, v3
	v_cmp_gt_u32_e32 vcc_lo, 0x8000000, v3
	s_delay_alu instid0(VALU_DEP_2) | instskip(NEXT) | instid1(VALU_DEP_1)
	v_or_b32_e32 v5, 0x70000000, v5
	v_mul_f32_e32 v5, 0x7800000, v5
	s_delay_alu instid0(VALU_DEP_1) | instskip(NEXT) | instid1(VALU_DEP_1)
	v_cndmask_b32_e32 v3, v5, v7, vcc_lo
	v_and_or_b32 v1, 0x80000000, v1, v3
	s_delay_alu instid0(VALU_DEP_1)
	v_cvt_i32_f32_e32 v16, v1
.LBB95_2539:
	s_mov_b32 s17, 0
	s_mov_b32 s18, -1
.LBB95_2540:
	s_and_not1_b32 vcc_lo, exec_lo, s17
	s_mov_b32 s17, 0
	s_cbranch_vccnz .LBB95_2551
; %bb.2541:
	s_cmp_gt_i32 s13, 14
	s_cbranch_scc0 .LBB95_2544
; %bb.2542:
	s_cmp_eq_u32 s13, 15
	s_cbranch_scc0 .LBB95_2547
; %bb.2543:
	global_load_u16 v1, v[32:33], off
	s_mov_b32 s16, 0
	s_mov_b32 s18, -1
	s_wait_loadcnt 0x0
	v_lshlrev_b32_e32 v1, 16, v1
	s_delay_alu instid0(VALU_DEP_1)
	v_cvt_i32_f32_e32 v16, v1
	s_branch .LBB95_2549
.LBB95_2544:
	s_mov_b32 s17, -1
	s_branch .LBB95_2548
.LBB95_2545:
	s_and_not1_saveexec_b32 s17, s17
	s_cbranch_execz .LBB95_2526
.LBB95_2546:
	v_cmp_ne_u16_e32 vcc_lo, 0, v1
	s_and_not1_b32 s18, s18, exec_lo
	s_and_b32 s19, vcc_lo, exec_lo
	s_delay_alu instid0(SALU_CYCLE_1)
	s_or_b32 s18, s18, s19
	s_or_b32 exec_lo, exec_lo, s17
	v_mov_b32_e32 v16, 0
	s_and_saveexec_b32 s17, s18
	s_cbranch_execnz .LBB95_2527
	s_branch .LBB95_2528
.LBB95_2547:
	s_mov_b32 s16, -1
.LBB95_2548:
                                        ; implicit-def: $vgpr16
.LBB95_2549:
	s_and_b32 vcc_lo, exec_lo, s17
	s_mov_b32 s17, 0
	s_cbranch_vccz .LBB95_2551
; %bb.2550:
	s_cmp_lg_u32 s13, 11
	s_mov_b32 s17, -1
	s_cselect_b32 s16, -1, 0
.LBB95_2551:
	s_delay_alu instid0(SALU_CYCLE_1)
	s_and_b32 vcc_lo, exec_lo, s16
	s_cbranch_vccnz .LBB95_2616
; %bb.2552:
	s_and_not1_b32 vcc_lo, exec_lo, s17
	s_cbranch_vccnz .LBB95_2554
.LBB95_2553:
	global_load_u8 v1, v[32:33], off
	s_mov_b32 s18, -1
	s_wait_loadcnt 0x0
	v_cmp_ne_u16_e32 vcc_lo, 0, v1
	v_cndmask_b32_e64 v16, 0, 1, vcc_lo
.LBB95_2554:
	s_mov_b32 s16, 0
.LBB95_2555:
	s_delay_alu instid0(SALU_CYCLE_1)
	s_and_b32 vcc_lo, exec_lo, s16
	s_cbranch_vccz .LBB95_2604
; %bb.2556:
	s_cmp_lt_i32 s13, 5
	s_cbranch_scc1 .LBB95_2561
; %bb.2557:
	s_cmp_lt_i32 s13, 8
	s_cbranch_scc1 .LBB95_2562
	;; [unrolled: 3-line block ×3, first 2 shown]
; %bb.2559:
	s_cmp_gt_i32 s13, 9
	s_cbranch_scc0 .LBB95_2564
; %bb.2560:
	s_wait_loadcnt 0x0
	global_load_b64 v[16:17], v[32:33], off
	s_mov_b32 s16, 0
	s_wait_loadcnt 0x0
	v_cvt_i32_f64_e32 v16, v[16:17]
	s_branch .LBB95_2565
.LBB95_2561:
	s_mov_b32 s16, -1
                                        ; implicit-def: $vgpr16
	s_branch .LBB95_2583
.LBB95_2562:
	s_mov_b32 s16, -1
                                        ; implicit-def: $vgpr16
	s_branch .LBB95_2571
.LBB95_2563:
	s_mov_b32 s16, -1
                                        ; implicit-def: $vgpr16
	s_branch .LBB95_2568
.LBB95_2564:
	s_mov_b32 s16, -1
                                        ; implicit-def: $vgpr16
.LBB95_2565:
	s_delay_alu instid0(SALU_CYCLE_1)
	s_and_not1_b32 vcc_lo, exec_lo, s16
	s_cbranch_vccnz .LBB95_2567
; %bb.2566:
	global_load_b32 v1, v[32:33], off
	s_wait_loadcnt 0x0
	v_cvt_i32_f32_e32 v16, v1
.LBB95_2567:
	s_mov_b32 s16, 0
.LBB95_2568:
	s_delay_alu instid0(SALU_CYCLE_1)
	s_and_not1_b32 vcc_lo, exec_lo, s16
	s_cbranch_vccnz .LBB95_2570
; %bb.2569:
	global_load_b32 v1, v[32:33], off
	s_wait_loadcnt 0x0
	v_cvt_i16_f16_e32 v16, v1
.LBB95_2570:
	s_mov_b32 s16, 0
.LBB95_2571:
	s_delay_alu instid0(SALU_CYCLE_1)
	s_and_not1_b32 vcc_lo, exec_lo, s16
	s_cbranch_vccnz .LBB95_2582
; %bb.2572:
	s_cmp_lt_i32 s13, 6
	s_cbranch_scc1 .LBB95_2575
; %bb.2573:
	s_cmp_gt_i32 s13, 6
	s_cbranch_scc0 .LBB95_2576
; %bb.2574:
	s_wait_loadcnt 0x0
	global_load_b64 v[16:17], v[32:33], off
	s_mov_b32 s16, 0
	s_wait_loadcnt 0x0
	v_cvt_i32_f64_e32 v16, v[16:17]
	s_branch .LBB95_2577
.LBB95_2575:
	s_mov_b32 s16, -1
                                        ; implicit-def: $vgpr16
	s_branch .LBB95_2580
.LBB95_2576:
	s_mov_b32 s16, -1
                                        ; implicit-def: $vgpr16
.LBB95_2577:
	s_delay_alu instid0(SALU_CYCLE_1)
	s_and_not1_b32 vcc_lo, exec_lo, s16
	s_cbranch_vccnz .LBB95_2579
; %bb.2578:
	global_load_b32 v1, v[32:33], off
	s_wait_loadcnt 0x0
	v_cvt_i32_f32_e32 v16, v1
.LBB95_2579:
	s_mov_b32 s16, 0
.LBB95_2580:
	s_delay_alu instid0(SALU_CYCLE_1)
	s_and_not1_b32 vcc_lo, exec_lo, s16
	s_cbranch_vccnz .LBB95_2582
; %bb.2581:
	global_load_u16 v1, v[32:33], off
	s_wait_loadcnt 0x0
	v_cvt_i16_f16_e32 v16, v1
.LBB95_2582:
	s_mov_b32 s16, 0
.LBB95_2583:
	s_delay_alu instid0(SALU_CYCLE_1)
	s_and_not1_b32 vcc_lo, exec_lo, s16
	s_cbranch_vccnz .LBB95_2603
; %bb.2584:
	s_cmp_lt_i32 s13, 2
	s_cbranch_scc1 .LBB95_2588
; %bb.2585:
	s_cmp_lt_i32 s13, 3
	s_cbranch_scc1 .LBB95_2589
; %bb.2586:
	s_cmp_gt_i32 s13, 3
	s_cbranch_scc0 .LBB95_2590
; %bb.2587:
	s_wait_loadcnt 0x0
	global_load_b64 v[16:17], v[32:33], off
	s_mov_b32 s16, 0
	s_branch .LBB95_2591
.LBB95_2588:
	s_mov_b32 s16, -1
                                        ; implicit-def: $vgpr16
	s_branch .LBB95_2597
.LBB95_2589:
	s_mov_b32 s16, -1
                                        ; implicit-def: $vgpr16
	s_branch .LBB95_2594
.LBB95_2590:
	s_mov_b32 s16, -1
                                        ; implicit-def: $vgpr16
.LBB95_2591:
	s_delay_alu instid0(SALU_CYCLE_1)
	s_and_not1_b32 vcc_lo, exec_lo, s16
	s_cbranch_vccnz .LBB95_2593
; %bb.2592:
	s_wait_loadcnt 0x0
	global_load_b32 v16, v[32:33], off
.LBB95_2593:
	s_mov_b32 s16, 0
.LBB95_2594:
	s_delay_alu instid0(SALU_CYCLE_1)
	s_and_not1_b32 vcc_lo, exec_lo, s16
	s_cbranch_vccnz .LBB95_2596
; %bb.2595:
	s_wait_loadcnt 0x0
	global_load_u16 v16, v[32:33], off
.LBB95_2596:
	s_mov_b32 s16, 0
.LBB95_2597:
	s_delay_alu instid0(SALU_CYCLE_1)
	s_and_not1_b32 vcc_lo, exec_lo, s16
	s_cbranch_vccnz .LBB95_2603
; %bb.2598:
	s_cmp_gt_i32 s13, 0
	s_mov_b32 s16, 0
	s_cbranch_scc0 .LBB95_2600
; %bb.2599:
	s_wait_loadcnt 0x0
	global_load_i8 v16, v[32:33], off
	s_branch .LBB95_2601
.LBB95_2600:
	s_mov_b32 s16, -1
                                        ; implicit-def: $vgpr16
.LBB95_2601:
	s_delay_alu instid0(SALU_CYCLE_1)
	s_and_not1_b32 vcc_lo, exec_lo, s16
	s_cbranch_vccnz .LBB95_2603
; %bb.2602:
	s_wait_loadcnt 0x0
	global_load_u8 v16, v[32:33], off
.LBB95_2603:
	s_mov_b32 s18, -1
.LBB95_2604:
	s_delay_alu instid0(SALU_CYCLE_1)
	s_and_not1_b32 vcc_lo, exec_lo, s18
	s_cbranch_vccnz .LBB95_4058
; %bb.2605:
	v_mov_b32_e32 v23, 0
	s_and_b32 s14, 0xffff, s14
	s_delay_alu instid0(SALU_CYCLE_1) | instskip(SKIP_1) | instid1(VALU_DEP_1)
	s_cmp_lt_i32 s14, 11
	s_wait_xcnt 0x0
	v_add_nc_u64_e32 v[32:33], s[0:1], v[22:23]
	s_cbranch_scc1 .LBB95_2612
; %bb.2606:
	s_cmp_gt_i32 s14, 25
	s_mov_b32 s17, 0
	s_cbranch_scc0 .LBB95_2613
; %bb.2607:
	s_cmp_gt_i32 s14, 28
	s_cbranch_scc0 .LBB95_2614
; %bb.2608:
	s_cmp_gt_i32 s14, 43
	;; [unrolled: 3-line block ×3, first 2 shown]
	s_cbranch_scc0 .LBB95_2617
; %bb.2610:
	s_cmp_eq_u32 s14, 46
	s_mov_b32 s19, 0
	s_cbranch_scc0 .LBB95_2618
; %bb.2611:
	global_load_b32 v1, v[32:33], off
	s_mov_b32 s16, 0
	s_mov_b32 s18, -1
	s_wait_loadcnt 0x0
	v_lshlrev_b32_e32 v1, 16, v1
	s_delay_alu instid0(VALU_DEP_1)
	v_cvt_i32_f32_e32 v22, v1
	s_branch .LBB95_2620
.LBB95_2612:
	s_mov_b32 s16, -1
	s_mov_b32 s18, 0
                                        ; implicit-def: $vgpr22
	s_branch .LBB95_2682
.LBB95_2613:
	s_mov_b32 s19, -1
	s_mov_b32 s18, 0
	s_mov_b32 s16, 0
                                        ; implicit-def: $vgpr22
	s_branch .LBB95_2647
.LBB95_2614:
	s_mov_b32 s19, -1
	s_mov_b32 s18, 0
	s_mov_b32 s16, 0
                                        ; implicit-def: $vgpr22
	s_branch .LBB95_2630
.LBB95_2615:
	s_mov_b32 s19, -1
	s_mov_b32 s18, 0
	s_mov_b32 s16, 0
                                        ; implicit-def: $vgpr22
	s_branch .LBB95_2625
.LBB95_2616:
	s_or_b32 s12, s12, exec_lo
	s_trap 2
	s_cbranch_execz .LBB95_2553
	s_branch .LBB95_2554
.LBB95_2617:
	s_mov_b32 s19, -1
	s_mov_b32 s18, 0
	s_mov_b32 s16, 0
	s_branch .LBB95_2619
.LBB95_2618:
	s_mov_b32 s16, -1
	s_mov_b32 s18, 0
.LBB95_2619:
                                        ; implicit-def: $vgpr22
.LBB95_2620:
	s_and_b32 vcc_lo, exec_lo, s19
	s_cbranch_vccz .LBB95_2624
; %bb.2621:
	s_cmp_eq_u32 s14, 44
	s_cbranch_scc0 .LBB95_2623
; %bb.2622:
	global_load_u8 v1, v[32:33], off
	s_mov_b32 s16, 0
	s_mov_b32 s18, -1
	s_wait_loadcnt 0x0
	v_lshlrev_b32_e32 v3, 23, v1
	v_cmp_ne_u32_e32 vcc_lo, 0, v1
	s_delay_alu instid0(VALU_DEP_2) | instskip(NEXT) | instid1(VALU_DEP_1)
	v_cvt_i32_f32_e32 v3, v3
	v_cndmask_b32_e32 v22, 0, v3, vcc_lo
	s_branch .LBB95_2624
.LBB95_2623:
	s_mov_b32 s16, -1
                                        ; implicit-def: $vgpr22
.LBB95_2624:
	s_mov_b32 s19, 0
.LBB95_2625:
	s_delay_alu instid0(SALU_CYCLE_1)
	s_and_b32 vcc_lo, exec_lo, s19
	s_cbranch_vccz .LBB95_2629
; %bb.2626:
	s_cmp_eq_u32 s14, 29
	s_cbranch_scc0 .LBB95_2628
; %bb.2627:
	global_load_b64 v[22:23], v[32:33], off
	s_mov_b32 s16, 0
	s_mov_b32 s18, -1
	s_branch .LBB95_2629
.LBB95_2628:
	s_mov_b32 s16, -1
                                        ; implicit-def: $vgpr22
.LBB95_2629:
	s_mov_b32 s19, 0
.LBB95_2630:
	s_delay_alu instid0(SALU_CYCLE_1)
	s_and_b32 vcc_lo, exec_lo, s19
	s_cbranch_vccz .LBB95_2646
; %bb.2631:
	s_cmp_lt_i32 s14, 27
	s_cbranch_scc1 .LBB95_2634
; %bb.2632:
	s_cmp_gt_i32 s14, 27
	s_cbranch_scc0 .LBB95_2635
; %bb.2633:
	s_wait_loadcnt 0x0
	global_load_b32 v22, v[32:33], off
	s_mov_b32 s18, 0
	s_branch .LBB95_2636
.LBB95_2634:
	s_mov_b32 s18, -1
                                        ; implicit-def: $vgpr22
	s_branch .LBB95_2639
.LBB95_2635:
	s_mov_b32 s18, -1
                                        ; implicit-def: $vgpr22
.LBB95_2636:
	s_delay_alu instid0(SALU_CYCLE_1)
	s_and_not1_b32 vcc_lo, exec_lo, s18
	s_cbranch_vccnz .LBB95_2638
; %bb.2637:
	s_wait_loadcnt 0x0
	global_load_u16 v22, v[32:33], off
.LBB95_2638:
	s_mov_b32 s18, 0
.LBB95_2639:
	s_delay_alu instid0(SALU_CYCLE_1)
	s_and_not1_b32 vcc_lo, exec_lo, s18
	s_cbranch_vccnz .LBB95_2645
; %bb.2640:
	global_load_u8 v1, v[32:33], off
	s_mov_b32 s19, 0
	s_mov_b32 s18, exec_lo
	s_wait_loadcnt 0x0
	v_cmpx_lt_i16_e32 0x7f, v1
	s_xor_b32 s18, exec_lo, s18
	s_cbranch_execz .LBB95_2657
; %bb.2641:
	v_cmp_ne_u16_e32 vcc_lo, 0x80, v1
	s_and_b32 s19, vcc_lo, exec_lo
	s_and_not1_saveexec_b32 s18, s18
	s_cbranch_execnz .LBB95_2658
.LBB95_2642:
	s_or_b32 exec_lo, exec_lo, s18
	v_mov_b32_e32 v22, 0
	s_and_saveexec_b32 s18, s19
	s_cbranch_execz .LBB95_2644
.LBB95_2643:
	v_and_b32_e32 v3, 0xffff, v1
	s_delay_alu instid0(VALU_DEP_1) | instskip(SKIP_1) | instid1(VALU_DEP_2)
	v_dual_lshlrev_b32 v1, 24, v1 :: v_dual_bitop2_b32 v5, 7, v3 bitop3:0x40
	v_bfe_u32 v11, v3, 3, 4
	v_and_b32_e32 v1, 0x80000000, v1
	s_delay_alu instid0(VALU_DEP_3) | instskip(NEXT) | instid1(VALU_DEP_3)
	v_clz_i32_u32_e32 v7, v5
	v_cmp_eq_u32_e32 vcc_lo, 0, v11
	s_delay_alu instid0(VALU_DEP_2) | instskip(NEXT) | instid1(VALU_DEP_1)
	v_min_u32_e32 v7, 32, v7
	v_subrev_nc_u32_e32 v9, 28, v7
	v_sub_nc_u32_e32 v7, 29, v7
	s_delay_alu instid0(VALU_DEP_2) | instskip(NEXT) | instid1(VALU_DEP_2)
	v_lshlrev_b32_e32 v3, v9, v3
	v_cndmask_b32_e32 v7, v11, v7, vcc_lo
	s_delay_alu instid0(VALU_DEP_2) | instskip(NEXT) | instid1(VALU_DEP_1)
	v_and_b32_e32 v3, 7, v3
	v_cndmask_b32_e32 v3, v5, v3, vcc_lo
	s_delay_alu instid0(VALU_DEP_3) | instskip(NEXT) | instid1(VALU_DEP_2)
	v_lshl_add_u32 v5, v7, 23, 0x3b800000
	v_lshlrev_b32_e32 v3, 20, v3
	s_delay_alu instid0(VALU_DEP_1) | instskip(NEXT) | instid1(VALU_DEP_1)
	v_or3_b32 v1, v1, v5, v3
	v_cvt_i32_f32_e32 v22, v1
.LBB95_2644:
	s_or_b32 exec_lo, exec_lo, s18
.LBB95_2645:
	s_mov_b32 s18, -1
.LBB95_2646:
	s_mov_b32 s19, 0
.LBB95_2647:
	s_delay_alu instid0(SALU_CYCLE_1)
	s_and_b32 vcc_lo, exec_lo, s19
	s_cbranch_vccz .LBB95_2678
; %bb.2648:
	s_cmp_gt_i32 s14, 22
	s_cbranch_scc0 .LBB95_2656
; %bb.2649:
	s_cmp_lt_i32 s14, 24
	s_cbranch_scc1 .LBB95_2659
; %bb.2650:
	s_cmp_gt_i32 s14, 24
	s_cbranch_scc0 .LBB95_2660
; %bb.2651:
	global_load_u8 v1, v[32:33], off
	s_mov_b32 s18, 0
	s_mov_b32 s17, exec_lo
	s_wait_loadcnt 0x0
	v_cmpx_lt_i16_e32 0x7f, v1
	s_xor_b32 s17, exec_lo, s17
	s_cbranch_execz .LBB95_2672
; %bb.2652:
	v_cmp_ne_u16_e32 vcc_lo, 0x80, v1
	s_and_b32 s18, vcc_lo, exec_lo
	s_and_not1_saveexec_b32 s17, s17
	s_cbranch_execnz .LBB95_2673
.LBB95_2653:
	s_or_b32 exec_lo, exec_lo, s17
	v_mov_b32_e32 v22, 0
	s_and_saveexec_b32 s17, s18
	s_cbranch_execz .LBB95_2655
.LBB95_2654:
	v_and_b32_e32 v3, 0xffff, v1
	s_delay_alu instid0(VALU_DEP_1) | instskip(SKIP_1) | instid1(VALU_DEP_2)
	v_dual_lshlrev_b32 v1, 24, v1 :: v_dual_bitop2_b32 v5, 3, v3 bitop3:0x40
	v_bfe_u32 v11, v3, 2, 5
	v_and_b32_e32 v1, 0x80000000, v1
	s_delay_alu instid0(VALU_DEP_3) | instskip(NEXT) | instid1(VALU_DEP_3)
	v_clz_i32_u32_e32 v7, v5
	v_cmp_eq_u32_e32 vcc_lo, 0, v11
	s_delay_alu instid0(VALU_DEP_2) | instskip(NEXT) | instid1(VALU_DEP_1)
	v_min_u32_e32 v7, 32, v7
	v_subrev_nc_u32_e32 v9, 29, v7
	v_sub_nc_u32_e32 v7, 30, v7
	s_delay_alu instid0(VALU_DEP_2) | instskip(NEXT) | instid1(VALU_DEP_2)
	v_lshlrev_b32_e32 v3, v9, v3
	v_cndmask_b32_e32 v7, v11, v7, vcc_lo
	s_delay_alu instid0(VALU_DEP_2) | instskip(NEXT) | instid1(VALU_DEP_1)
	v_and_b32_e32 v3, 3, v3
	v_cndmask_b32_e32 v3, v5, v3, vcc_lo
	s_delay_alu instid0(VALU_DEP_3) | instskip(NEXT) | instid1(VALU_DEP_2)
	v_lshl_add_u32 v5, v7, 23, 0x37800000
	v_lshlrev_b32_e32 v3, 21, v3
	s_delay_alu instid0(VALU_DEP_1) | instskip(NEXT) | instid1(VALU_DEP_1)
	v_or3_b32 v1, v1, v5, v3
	v_cvt_i32_f32_e32 v22, v1
.LBB95_2655:
	s_or_b32 exec_lo, exec_lo, s17
	s_mov_b32 s17, 0
	s_branch .LBB95_2661
.LBB95_2656:
	s_mov_b32 s17, -1
                                        ; implicit-def: $vgpr22
	s_branch .LBB95_2667
.LBB95_2657:
	s_and_not1_saveexec_b32 s18, s18
	s_cbranch_execz .LBB95_2642
.LBB95_2658:
	v_cmp_ne_u16_e32 vcc_lo, 0, v1
	s_and_not1_b32 s19, s19, exec_lo
	s_and_b32 s20, vcc_lo, exec_lo
	s_delay_alu instid0(SALU_CYCLE_1)
	s_or_b32 s19, s19, s20
	s_or_b32 exec_lo, exec_lo, s18
	v_mov_b32_e32 v22, 0
	s_and_saveexec_b32 s18, s19
	s_cbranch_execnz .LBB95_2643
	s_branch .LBB95_2644
.LBB95_2659:
	s_mov_b32 s17, -1
                                        ; implicit-def: $vgpr22
	s_branch .LBB95_2664
.LBB95_2660:
	s_mov_b32 s17, -1
                                        ; implicit-def: $vgpr22
.LBB95_2661:
	s_delay_alu instid0(SALU_CYCLE_1)
	s_and_b32 vcc_lo, exec_lo, s17
	s_cbranch_vccz .LBB95_2663
; %bb.2662:
	global_load_u8 v1, v[32:33], off
	s_wait_loadcnt 0x0
	v_lshlrev_b32_e32 v1, 24, v1
	s_delay_alu instid0(VALU_DEP_1) | instskip(NEXT) | instid1(VALU_DEP_1)
	v_and_b32_e32 v3, 0x7f000000, v1
	v_clz_i32_u32_e32 v5, v3
	v_add_nc_u32_e32 v9, 0x1000000, v3
	v_cmp_ne_u32_e32 vcc_lo, 0, v3
	s_delay_alu instid0(VALU_DEP_3) | instskip(NEXT) | instid1(VALU_DEP_1)
	v_min_u32_e32 v5, 32, v5
	v_sub_nc_u32_e64 v5, v5, 4 clamp
	s_delay_alu instid0(VALU_DEP_1) | instskip(NEXT) | instid1(VALU_DEP_1)
	v_dual_lshlrev_b32 v7, v5, v3 :: v_dual_lshlrev_b32 v5, 23, v5
	v_lshrrev_b32_e32 v7, 4, v7
	s_delay_alu instid0(VALU_DEP_1) | instskip(SKIP_1) | instid1(VALU_DEP_2)
	v_sub_nc_u32_e32 v5, v7, v5
	v_ashrrev_i32_e32 v7, 8, v9
	v_add_nc_u32_e32 v5, 0x3c000000, v5
	s_delay_alu instid0(VALU_DEP_1) | instskip(NEXT) | instid1(VALU_DEP_1)
	v_and_or_b32 v5, 0x7f800000, v7, v5
	v_cndmask_b32_e32 v3, 0, v5, vcc_lo
	s_delay_alu instid0(VALU_DEP_1) | instskip(NEXT) | instid1(VALU_DEP_1)
	v_and_or_b32 v1, 0x80000000, v1, v3
	v_cvt_i32_f32_e32 v22, v1
.LBB95_2663:
	s_mov_b32 s17, 0
.LBB95_2664:
	s_delay_alu instid0(SALU_CYCLE_1)
	s_and_not1_b32 vcc_lo, exec_lo, s17
	s_cbranch_vccnz .LBB95_2666
; %bb.2665:
	global_load_u8 v1, v[32:33], off
	s_wait_loadcnt 0x0
	v_lshlrev_b32_e32 v3, 25, v1
	v_lshlrev_b16 v1, 8, v1
	s_delay_alu instid0(VALU_DEP_1) | instskip(SKIP_1) | instid1(VALU_DEP_2)
	v_and_or_b32 v7, 0x7f00, v1, 0.5
	v_bfe_i32 v1, v1, 0, 16
	v_add_f32_e32 v7, -0.5, v7
	v_lshrrev_b32_e32 v5, 4, v3
	v_cmp_gt_u32_e32 vcc_lo, 0x8000000, v3
	s_delay_alu instid0(VALU_DEP_2) | instskip(NEXT) | instid1(VALU_DEP_1)
	v_or_b32_e32 v5, 0x70000000, v5
	v_mul_f32_e32 v5, 0x7800000, v5
	s_delay_alu instid0(VALU_DEP_1) | instskip(NEXT) | instid1(VALU_DEP_1)
	v_cndmask_b32_e32 v3, v5, v7, vcc_lo
	v_and_or_b32 v1, 0x80000000, v1, v3
	s_delay_alu instid0(VALU_DEP_1)
	v_cvt_i32_f32_e32 v22, v1
.LBB95_2666:
	s_mov_b32 s17, 0
	s_mov_b32 s18, -1
.LBB95_2667:
	s_and_not1_b32 vcc_lo, exec_lo, s17
	s_mov_b32 s17, 0
	s_cbranch_vccnz .LBB95_2678
; %bb.2668:
	s_cmp_gt_i32 s14, 14
	s_cbranch_scc0 .LBB95_2671
; %bb.2669:
	s_cmp_eq_u32 s14, 15
	s_cbranch_scc0 .LBB95_2674
; %bb.2670:
	global_load_u16 v1, v[32:33], off
	s_mov_b32 s16, 0
	s_mov_b32 s18, -1
	s_wait_loadcnt 0x0
	v_lshlrev_b32_e32 v1, 16, v1
	s_delay_alu instid0(VALU_DEP_1)
	v_cvt_i32_f32_e32 v22, v1
	s_branch .LBB95_2676
.LBB95_2671:
	s_mov_b32 s17, -1
	s_branch .LBB95_2675
.LBB95_2672:
	s_and_not1_saveexec_b32 s17, s17
	s_cbranch_execz .LBB95_2653
.LBB95_2673:
	v_cmp_ne_u16_e32 vcc_lo, 0, v1
	s_and_not1_b32 s18, s18, exec_lo
	s_and_b32 s19, vcc_lo, exec_lo
	s_delay_alu instid0(SALU_CYCLE_1)
	s_or_b32 s18, s18, s19
	s_or_b32 exec_lo, exec_lo, s17
	v_mov_b32_e32 v22, 0
	s_and_saveexec_b32 s17, s18
	s_cbranch_execnz .LBB95_2654
	s_branch .LBB95_2655
.LBB95_2674:
	s_mov_b32 s16, -1
.LBB95_2675:
                                        ; implicit-def: $vgpr22
.LBB95_2676:
	s_and_b32 vcc_lo, exec_lo, s17
	s_mov_b32 s17, 0
	s_cbranch_vccz .LBB95_2678
; %bb.2677:
	s_cmp_lg_u32 s14, 11
	s_mov_b32 s17, -1
	s_cselect_b32 s16, -1, 0
.LBB95_2678:
	s_delay_alu instid0(SALU_CYCLE_1)
	s_and_b32 vcc_lo, exec_lo, s16
	s_cbranch_vccnz .LBB95_2743
; %bb.2679:
	s_and_not1_b32 vcc_lo, exec_lo, s17
	s_cbranch_vccnz .LBB95_2681
.LBB95_2680:
	global_load_u8 v1, v[32:33], off
	s_mov_b32 s18, -1
	s_wait_loadcnt 0x0
	v_cmp_ne_u16_e32 vcc_lo, 0, v1
	v_cndmask_b32_e64 v22, 0, 1, vcc_lo
.LBB95_2681:
	s_mov_b32 s16, 0
.LBB95_2682:
	s_delay_alu instid0(SALU_CYCLE_1)
	s_and_b32 vcc_lo, exec_lo, s16
	s_cbranch_vccz .LBB95_2731
; %bb.2683:
	s_cmp_lt_i32 s14, 5
	s_cbranch_scc1 .LBB95_2688
; %bb.2684:
	s_cmp_lt_i32 s14, 8
	s_cbranch_scc1 .LBB95_2689
	;; [unrolled: 3-line block ×3, first 2 shown]
; %bb.2686:
	s_cmp_gt_i32 s14, 9
	s_cbranch_scc0 .LBB95_2691
; %bb.2687:
	s_wait_loadcnt 0x0
	global_load_b64 v[22:23], v[32:33], off
	s_mov_b32 s16, 0
	s_wait_loadcnt 0x0
	v_cvt_i32_f64_e32 v22, v[22:23]
	s_branch .LBB95_2692
.LBB95_2688:
	s_mov_b32 s16, -1
                                        ; implicit-def: $vgpr22
	s_branch .LBB95_2710
.LBB95_2689:
	s_mov_b32 s16, -1
                                        ; implicit-def: $vgpr22
	s_branch .LBB95_2698
.LBB95_2690:
	s_mov_b32 s16, -1
                                        ; implicit-def: $vgpr22
	s_branch .LBB95_2695
.LBB95_2691:
	s_mov_b32 s16, -1
                                        ; implicit-def: $vgpr22
.LBB95_2692:
	s_delay_alu instid0(SALU_CYCLE_1)
	s_and_not1_b32 vcc_lo, exec_lo, s16
	s_cbranch_vccnz .LBB95_2694
; %bb.2693:
	global_load_b32 v1, v[32:33], off
	s_wait_loadcnt 0x0
	v_cvt_i32_f32_e32 v22, v1
.LBB95_2694:
	s_mov_b32 s16, 0
.LBB95_2695:
	s_delay_alu instid0(SALU_CYCLE_1)
	s_and_not1_b32 vcc_lo, exec_lo, s16
	s_cbranch_vccnz .LBB95_2697
; %bb.2696:
	global_load_b32 v1, v[32:33], off
	s_wait_loadcnt 0x0
	v_cvt_i16_f16_e32 v22, v1
.LBB95_2697:
	s_mov_b32 s16, 0
.LBB95_2698:
	s_delay_alu instid0(SALU_CYCLE_1)
	s_and_not1_b32 vcc_lo, exec_lo, s16
	s_cbranch_vccnz .LBB95_2709
; %bb.2699:
	s_cmp_lt_i32 s14, 6
	s_cbranch_scc1 .LBB95_2702
; %bb.2700:
	s_cmp_gt_i32 s14, 6
	s_cbranch_scc0 .LBB95_2703
; %bb.2701:
	s_wait_loadcnt 0x0
	global_load_b64 v[22:23], v[32:33], off
	s_mov_b32 s16, 0
	s_wait_loadcnt 0x0
	v_cvt_i32_f64_e32 v22, v[22:23]
	s_branch .LBB95_2704
.LBB95_2702:
	s_mov_b32 s16, -1
                                        ; implicit-def: $vgpr22
	s_branch .LBB95_2707
.LBB95_2703:
	s_mov_b32 s16, -1
                                        ; implicit-def: $vgpr22
.LBB95_2704:
	s_delay_alu instid0(SALU_CYCLE_1)
	s_and_not1_b32 vcc_lo, exec_lo, s16
	s_cbranch_vccnz .LBB95_2706
; %bb.2705:
	global_load_b32 v1, v[32:33], off
	s_wait_loadcnt 0x0
	v_cvt_i32_f32_e32 v22, v1
.LBB95_2706:
	s_mov_b32 s16, 0
.LBB95_2707:
	s_delay_alu instid0(SALU_CYCLE_1)
	s_and_not1_b32 vcc_lo, exec_lo, s16
	s_cbranch_vccnz .LBB95_2709
; %bb.2708:
	global_load_u16 v1, v[32:33], off
	s_wait_loadcnt 0x0
	v_cvt_i16_f16_e32 v22, v1
.LBB95_2709:
	s_mov_b32 s16, 0
.LBB95_2710:
	s_delay_alu instid0(SALU_CYCLE_1)
	s_and_not1_b32 vcc_lo, exec_lo, s16
	s_cbranch_vccnz .LBB95_2730
; %bb.2711:
	s_cmp_lt_i32 s14, 2
	s_cbranch_scc1 .LBB95_2715
; %bb.2712:
	s_cmp_lt_i32 s14, 3
	s_cbranch_scc1 .LBB95_2716
; %bb.2713:
	s_cmp_gt_i32 s14, 3
	s_cbranch_scc0 .LBB95_2717
; %bb.2714:
	s_wait_loadcnt 0x0
	global_load_b64 v[22:23], v[32:33], off
	s_mov_b32 s16, 0
	s_branch .LBB95_2718
.LBB95_2715:
	s_mov_b32 s16, -1
                                        ; implicit-def: $vgpr22
	s_branch .LBB95_2724
.LBB95_2716:
	s_mov_b32 s16, -1
                                        ; implicit-def: $vgpr22
	s_branch .LBB95_2721
.LBB95_2717:
	s_mov_b32 s16, -1
                                        ; implicit-def: $vgpr22
.LBB95_2718:
	s_delay_alu instid0(SALU_CYCLE_1)
	s_and_not1_b32 vcc_lo, exec_lo, s16
	s_cbranch_vccnz .LBB95_2720
; %bb.2719:
	s_wait_loadcnt 0x0
	global_load_b32 v22, v[32:33], off
.LBB95_2720:
	s_mov_b32 s16, 0
.LBB95_2721:
	s_delay_alu instid0(SALU_CYCLE_1)
	s_and_not1_b32 vcc_lo, exec_lo, s16
	s_cbranch_vccnz .LBB95_2723
; %bb.2722:
	s_wait_loadcnt 0x0
	global_load_u16 v22, v[32:33], off
.LBB95_2723:
	s_mov_b32 s16, 0
.LBB95_2724:
	s_delay_alu instid0(SALU_CYCLE_1)
	s_and_not1_b32 vcc_lo, exec_lo, s16
	s_cbranch_vccnz .LBB95_2730
; %bb.2725:
	s_cmp_gt_i32 s14, 0
	s_mov_b32 s16, 0
	s_cbranch_scc0 .LBB95_2727
; %bb.2726:
	s_wait_loadcnt 0x0
	global_load_i8 v22, v[32:33], off
	s_branch .LBB95_2728
.LBB95_2727:
	s_mov_b32 s16, -1
                                        ; implicit-def: $vgpr22
.LBB95_2728:
	s_delay_alu instid0(SALU_CYCLE_1)
	s_and_not1_b32 vcc_lo, exec_lo, s16
	s_cbranch_vccnz .LBB95_2730
; %bb.2729:
	s_wait_loadcnt 0x0
	global_load_u8 v22, v[32:33], off
.LBB95_2730:
	s_mov_b32 s18, -1
.LBB95_2731:
	s_delay_alu instid0(SALU_CYCLE_1)
	s_and_not1_b32 vcc_lo, exec_lo, s18
	s_cbranch_vccnz .LBB95_4058
; %bb.2732:
	v_mov_b32_e32 v29, 0
	s_and_b32 s15, 0xffff, s15
	s_delay_alu instid0(SALU_CYCLE_1) | instskip(SKIP_1) | instid1(VALU_DEP_1)
	s_cmp_lt_i32 s15, 11
	s_wait_xcnt 0x0
	v_add_nc_u64_e32 v[32:33], s[8:9], v[28:29]
	s_cbranch_scc1 .LBB95_2739
; %bb.2733:
	s_cmp_gt_i32 s15, 25
	s_mov_b32 s17, 0
	s_cbranch_scc0 .LBB95_2740
; %bb.2734:
	s_cmp_gt_i32 s15, 28
	s_cbranch_scc0 .LBB95_2741
; %bb.2735:
	s_cmp_gt_i32 s15, 43
	;; [unrolled: 3-line block ×3, first 2 shown]
	s_cbranch_scc0 .LBB95_2744
; %bb.2737:
	s_cmp_eq_u32 s15, 46
	s_mov_b32 s19, 0
	s_cbranch_scc0 .LBB95_2747
; %bb.2738:
	global_load_b32 v1, v[32:33], off
	s_mov_b32 s16, 0
	s_mov_b32 s18, -1
	s_wait_loadcnt 0x0
	v_lshlrev_b32_e32 v1, 16, v1
	s_delay_alu instid0(VALU_DEP_1)
	v_cvt_i32_f32_e32 v28, v1
	s_branch .LBB95_2749
.LBB95_2739:
	s_mov_b32 s16, -1
	s_mov_b32 s18, 0
                                        ; implicit-def: $vgpr28
	s_branch .LBB95_2811
.LBB95_2740:
	s_mov_b32 s19, -1
	s_mov_b32 s18, 0
	s_mov_b32 s16, 0
                                        ; implicit-def: $vgpr28
	s_branch .LBB95_2776
.LBB95_2741:
	s_mov_b32 s19, -1
	s_mov_b32 s18, 0
	s_mov_b32 s16, 0
                                        ; implicit-def: $vgpr28
	s_branch .LBB95_2759
.LBB95_2742:
	s_mov_b32 s19, -1
	s_mov_b32 s18, 0
	s_mov_b32 s16, 0
                                        ; implicit-def: $vgpr28
	s_branch .LBB95_2754
.LBB95_2743:
	s_or_b32 s12, s12, exec_lo
	s_trap 2
	s_cbranch_execz .LBB95_2680
	s_branch .LBB95_2681
.LBB95_2744:
	s_mov_b32 s19, -1
	s_mov_b32 s18, 0
	s_mov_b32 s16, 0
	s_branch .LBB95_2748
.LBB95_2745:
	s_and_not1_saveexec_b32 s61, s61
	s_cbranch_execz .LBB95_1462
.LBB95_2746:
	v_add_f32_e64 v5, 0x46000000, |v4|
	s_and_not1_b32 s60, s60, exec_lo
	s_delay_alu instid0(VALU_DEP_1) | instskip(NEXT) | instid1(VALU_DEP_1)
	v_and_b32_e32 v5, 0xff, v5
	v_cmp_ne_u32_e32 vcc_lo, 0, v5
	s_and_b32 s62, vcc_lo, exec_lo
	s_delay_alu instid0(SALU_CYCLE_1)
	s_or_b32 s60, s60, s62
	s_or_b32 exec_lo, exec_lo, s61
	v_mov_b32_e32 v6, 0
	s_and_saveexec_b32 s61, s60
	s_cbranch_execnz .LBB95_1463
	s_branch .LBB95_1464
.LBB95_2747:
	s_mov_b32 s16, -1
	s_mov_b32 s18, 0
.LBB95_2748:
                                        ; implicit-def: $vgpr28
.LBB95_2749:
	s_and_b32 vcc_lo, exec_lo, s19
	s_cbranch_vccz .LBB95_2753
; %bb.2750:
	s_cmp_eq_u32 s15, 44
	s_cbranch_scc0 .LBB95_2752
; %bb.2751:
	global_load_u8 v1, v[32:33], off
	s_mov_b32 s16, 0
	s_mov_b32 s18, -1
	s_wait_loadcnt 0x0
	v_lshlrev_b32_e32 v3, 23, v1
	v_cmp_ne_u32_e32 vcc_lo, 0, v1
	s_delay_alu instid0(VALU_DEP_2) | instskip(NEXT) | instid1(VALU_DEP_1)
	v_cvt_i32_f32_e32 v3, v3
	v_cndmask_b32_e32 v28, 0, v3, vcc_lo
	s_branch .LBB95_2753
.LBB95_2752:
	s_mov_b32 s16, -1
                                        ; implicit-def: $vgpr28
.LBB95_2753:
	s_mov_b32 s19, 0
.LBB95_2754:
	s_delay_alu instid0(SALU_CYCLE_1)
	s_and_b32 vcc_lo, exec_lo, s19
	s_cbranch_vccz .LBB95_2758
; %bb.2755:
	s_cmp_eq_u32 s15, 29
	s_cbranch_scc0 .LBB95_2757
; %bb.2756:
	global_load_b64 v[28:29], v[32:33], off
	s_mov_b32 s16, 0
	s_mov_b32 s18, -1
	s_branch .LBB95_2758
.LBB95_2757:
	s_mov_b32 s16, -1
                                        ; implicit-def: $vgpr28
.LBB95_2758:
	s_mov_b32 s19, 0
.LBB95_2759:
	s_delay_alu instid0(SALU_CYCLE_1)
	s_and_b32 vcc_lo, exec_lo, s19
	s_cbranch_vccz .LBB95_2775
; %bb.2760:
	s_cmp_lt_i32 s15, 27
	s_cbranch_scc1 .LBB95_2763
; %bb.2761:
	s_cmp_gt_i32 s15, 27
	s_cbranch_scc0 .LBB95_2764
; %bb.2762:
	s_wait_loadcnt 0x0
	global_load_b32 v28, v[32:33], off
	s_mov_b32 s18, 0
	s_branch .LBB95_2765
.LBB95_2763:
	s_mov_b32 s18, -1
                                        ; implicit-def: $vgpr28
	s_branch .LBB95_2768
.LBB95_2764:
	s_mov_b32 s18, -1
                                        ; implicit-def: $vgpr28
.LBB95_2765:
	s_delay_alu instid0(SALU_CYCLE_1)
	s_and_not1_b32 vcc_lo, exec_lo, s18
	s_cbranch_vccnz .LBB95_2767
; %bb.2766:
	s_wait_loadcnt 0x0
	global_load_u16 v28, v[32:33], off
.LBB95_2767:
	s_mov_b32 s18, 0
.LBB95_2768:
	s_delay_alu instid0(SALU_CYCLE_1)
	s_and_not1_b32 vcc_lo, exec_lo, s18
	s_cbranch_vccnz .LBB95_2774
; %bb.2769:
	global_load_u8 v1, v[32:33], off
	s_mov_b32 s19, 0
	s_mov_b32 s18, exec_lo
	s_wait_loadcnt 0x0
	v_cmpx_lt_i16_e32 0x7f, v1
	s_xor_b32 s18, exec_lo, s18
	s_cbranch_execz .LBB95_2786
; %bb.2770:
	v_cmp_ne_u16_e32 vcc_lo, 0x80, v1
	s_and_b32 s19, vcc_lo, exec_lo
	s_and_not1_saveexec_b32 s18, s18
	s_cbranch_execnz .LBB95_2787
.LBB95_2771:
	s_or_b32 exec_lo, exec_lo, s18
	v_mov_b32_e32 v28, 0
	s_and_saveexec_b32 s18, s19
	s_cbranch_execz .LBB95_2773
.LBB95_2772:
	v_and_b32_e32 v3, 0xffff, v1
	s_delay_alu instid0(VALU_DEP_1) | instskip(SKIP_1) | instid1(VALU_DEP_2)
	v_dual_lshlrev_b32 v1, 24, v1 :: v_dual_bitop2_b32 v5, 7, v3 bitop3:0x40
	v_bfe_u32 v11, v3, 3, 4
	v_and_b32_e32 v1, 0x80000000, v1
	s_delay_alu instid0(VALU_DEP_3) | instskip(NEXT) | instid1(VALU_DEP_3)
	v_clz_i32_u32_e32 v7, v5
	v_cmp_eq_u32_e32 vcc_lo, 0, v11
	s_delay_alu instid0(VALU_DEP_2) | instskip(NEXT) | instid1(VALU_DEP_1)
	v_min_u32_e32 v7, 32, v7
	v_subrev_nc_u32_e32 v9, 28, v7
	v_sub_nc_u32_e32 v7, 29, v7
	s_delay_alu instid0(VALU_DEP_2) | instskip(NEXT) | instid1(VALU_DEP_2)
	v_lshlrev_b32_e32 v3, v9, v3
	v_cndmask_b32_e32 v7, v11, v7, vcc_lo
	s_delay_alu instid0(VALU_DEP_2) | instskip(NEXT) | instid1(VALU_DEP_1)
	v_and_b32_e32 v3, 7, v3
	v_cndmask_b32_e32 v3, v5, v3, vcc_lo
	s_delay_alu instid0(VALU_DEP_3) | instskip(NEXT) | instid1(VALU_DEP_2)
	v_lshl_add_u32 v5, v7, 23, 0x3b800000
	v_lshlrev_b32_e32 v3, 20, v3
	s_delay_alu instid0(VALU_DEP_1) | instskip(NEXT) | instid1(VALU_DEP_1)
	v_or3_b32 v1, v1, v5, v3
	v_cvt_i32_f32_e32 v28, v1
.LBB95_2773:
	s_or_b32 exec_lo, exec_lo, s18
.LBB95_2774:
	s_mov_b32 s18, -1
.LBB95_2775:
	s_mov_b32 s19, 0
.LBB95_2776:
	s_delay_alu instid0(SALU_CYCLE_1)
	s_and_b32 vcc_lo, exec_lo, s19
	s_cbranch_vccz .LBB95_2807
; %bb.2777:
	s_cmp_gt_i32 s15, 22
	s_cbranch_scc0 .LBB95_2785
; %bb.2778:
	s_cmp_lt_i32 s15, 24
	s_cbranch_scc1 .LBB95_2788
; %bb.2779:
	s_cmp_gt_i32 s15, 24
	s_cbranch_scc0 .LBB95_2789
; %bb.2780:
	global_load_u8 v1, v[32:33], off
	s_mov_b32 s18, 0
	s_mov_b32 s17, exec_lo
	s_wait_loadcnt 0x0
	v_cmpx_lt_i16_e32 0x7f, v1
	s_xor_b32 s17, exec_lo, s17
	s_cbranch_execz .LBB95_2801
; %bb.2781:
	v_cmp_ne_u16_e32 vcc_lo, 0x80, v1
	s_and_b32 s18, vcc_lo, exec_lo
	s_and_not1_saveexec_b32 s17, s17
	s_cbranch_execnz .LBB95_2802
.LBB95_2782:
	s_or_b32 exec_lo, exec_lo, s17
	v_mov_b32_e32 v28, 0
	s_and_saveexec_b32 s17, s18
	s_cbranch_execz .LBB95_2784
.LBB95_2783:
	v_and_b32_e32 v3, 0xffff, v1
	s_delay_alu instid0(VALU_DEP_1) | instskip(SKIP_1) | instid1(VALU_DEP_2)
	v_dual_lshlrev_b32 v1, 24, v1 :: v_dual_bitop2_b32 v5, 3, v3 bitop3:0x40
	v_bfe_u32 v11, v3, 2, 5
	v_and_b32_e32 v1, 0x80000000, v1
	s_delay_alu instid0(VALU_DEP_3) | instskip(NEXT) | instid1(VALU_DEP_3)
	v_clz_i32_u32_e32 v7, v5
	v_cmp_eq_u32_e32 vcc_lo, 0, v11
	s_delay_alu instid0(VALU_DEP_2) | instskip(NEXT) | instid1(VALU_DEP_1)
	v_min_u32_e32 v7, 32, v7
	v_subrev_nc_u32_e32 v9, 29, v7
	v_sub_nc_u32_e32 v7, 30, v7
	s_delay_alu instid0(VALU_DEP_2) | instskip(NEXT) | instid1(VALU_DEP_2)
	v_lshlrev_b32_e32 v3, v9, v3
	v_cndmask_b32_e32 v7, v11, v7, vcc_lo
	s_delay_alu instid0(VALU_DEP_2) | instskip(NEXT) | instid1(VALU_DEP_1)
	v_and_b32_e32 v3, 3, v3
	v_cndmask_b32_e32 v3, v5, v3, vcc_lo
	s_delay_alu instid0(VALU_DEP_3) | instskip(NEXT) | instid1(VALU_DEP_2)
	v_lshl_add_u32 v5, v7, 23, 0x37800000
	v_lshlrev_b32_e32 v3, 21, v3
	s_delay_alu instid0(VALU_DEP_1) | instskip(NEXT) | instid1(VALU_DEP_1)
	v_or3_b32 v1, v1, v5, v3
	v_cvt_i32_f32_e32 v28, v1
.LBB95_2784:
	s_or_b32 exec_lo, exec_lo, s17
	s_mov_b32 s17, 0
	s_branch .LBB95_2790
.LBB95_2785:
	s_mov_b32 s17, -1
                                        ; implicit-def: $vgpr28
	s_branch .LBB95_2796
.LBB95_2786:
	s_and_not1_saveexec_b32 s18, s18
	s_cbranch_execz .LBB95_2771
.LBB95_2787:
	v_cmp_ne_u16_e32 vcc_lo, 0, v1
	s_and_not1_b32 s19, s19, exec_lo
	s_and_b32 s20, vcc_lo, exec_lo
	s_delay_alu instid0(SALU_CYCLE_1)
	s_or_b32 s19, s19, s20
	s_or_b32 exec_lo, exec_lo, s18
	v_mov_b32_e32 v28, 0
	s_and_saveexec_b32 s18, s19
	s_cbranch_execnz .LBB95_2772
	s_branch .LBB95_2773
.LBB95_2788:
	s_mov_b32 s17, -1
                                        ; implicit-def: $vgpr28
	s_branch .LBB95_2793
.LBB95_2789:
	s_mov_b32 s17, -1
                                        ; implicit-def: $vgpr28
.LBB95_2790:
	s_delay_alu instid0(SALU_CYCLE_1)
	s_and_b32 vcc_lo, exec_lo, s17
	s_cbranch_vccz .LBB95_2792
; %bb.2791:
	global_load_u8 v1, v[32:33], off
	s_wait_loadcnt 0x0
	v_lshlrev_b32_e32 v1, 24, v1
	s_delay_alu instid0(VALU_DEP_1) | instskip(NEXT) | instid1(VALU_DEP_1)
	v_and_b32_e32 v3, 0x7f000000, v1
	v_clz_i32_u32_e32 v5, v3
	v_add_nc_u32_e32 v9, 0x1000000, v3
	v_cmp_ne_u32_e32 vcc_lo, 0, v3
	s_delay_alu instid0(VALU_DEP_3) | instskip(NEXT) | instid1(VALU_DEP_1)
	v_min_u32_e32 v5, 32, v5
	v_sub_nc_u32_e64 v5, v5, 4 clamp
	s_delay_alu instid0(VALU_DEP_1) | instskip(NEXT) | instid1(VALU_DEP_1)
	v_dual_lshlrev_b32 v7, v5, v3 :: v_dual_lshlrev_b32 v5, 23, v5
	v_lshrrev_b32_e32 v7, 4, v7
	s_delay_alu instid0(VALU_DEP_1) | instskip(SKIP_1) | instid1(VALU_DEP_2)
	v_sub_nc_u32_e32 v5, v7, v5
	v_ashrrev_i32_e32 v7, 8, v9
	v_add_nc_u32_e32 v5, 0x3c000000, v5
	s_delay_alu instid0(VALU_DEP_1) | instskip(NEXT) | instid1(VALU_DEP_1)
	v_and_or_b32 v5, 0x7f800000, v7, v5
	v_cndmask_b32_e32 v3, 0, v5, vcc_lo
	s_delay_alu instid0(VALU_DEP_1) | instskip(NEXT) | instid1(VALU_DEP_1)
	v_and_or_b32 v1, 0x80000000, v1, v3
	v_cvt_i32_f32_e32 v28, v1
.LBB95_2792:
	s_mov_b32 s17, 0
.LBB95_2793:
	s_delay_alu instid0(SALU_CYCLE_1)
	s_and_not1_b32 vcc_lo, exec_lo, s17
	s_cbranch_vccnz .LBB95_2795
; %bb.2794:
	global_load_u8 v1, v[32:33], off
	s_wait_loadcnt 0x0
	v_lshlrev_b32_e32 v3, 25, v1
	v_lshlrev_b16 v1, 8, v1
	s_delay_alu instid0(VALU_DEP_1) | instskip(SKIP_1) | instid1(VALU_DEP_2)
	v_and_or_b32 v7, 0x7f00, v1, 0.5
	v_bfe_i32 v1, v1, 0, 16
	v_add_f32_e32 v7, -0.5, v7
	v_lshrrev_b32_e32 v5, 4, v3
	v_cmp_gt_u32_e32 vcc_lo, 0x8000000, v3
	s_delay_alu instid0(VALU_DEP_2) | instskip(NEXT) | instid1(VALU_DEP_1)
	v_or_b32_e32 v5, 0x70000000, v5
	v_mul_f32_e32 v5, 0x7800000, v5
	s_delay_alu instid0(VALU_DEP_1) | instskip(NEXT) | instid1(VALU_DEP_1)
	v_cndmask_b32_e32 v3, v5, v7, vcc_lo
	v_and_or_b32 v1, 0x80000000, v1, v3
	s_delay_alu instid0(VALU_DEP_1)
	v_cvt_i32_f32_e32 v28, v1
.LBB95_2795:
	s_mov_b32 s17, 0
	s_mov_b32 s18, -1
.LBB95_2796:
	s_and_not1_b32 vcc_lo, exec_lo, s17
	s_mov_b32 s17, 0
	s_cbranch_vccnz .LBB95_2807
; %bb.2797:
	s_cmp_gt_i32 s15, 14
	s_cbranch_scc0 .LBB95_2800
; %bb.2798:
	s_cmp_eq_u32 s15, 15
	s_cbranch_scc0 .LBB95_2803
; %bb.2799:
	global_load_u16 v1, v[32:33], off
	s_mov_b32 s16, 0
	s_mov_b32 s18, -1
	s_wait_loadcnt 0x0
	v_lshlrev_b32_e32 v1, 16, v1
	s_delay_alu instid0(VALU_DEP_1)
	v_cvt_i32_f32_e32 v28, v1
	s_branch .LBB95_2805
.LBB95_2800:
	s_mov_b32 s17, -1
	s_branch .LBB95_2804
.LBB95_2801:
	s_and_not1_saveexec_b32 s17, s17
	s_cbranch_execz .LBB95_2782
.LBB95_2802:
	v_cmp_ne_u16_e32 vcc_lo, 0, v1
	s_and_not1_b32 s18, s18, exec_lo
	s_and_b32 s19, vcc_lo, exec_lo
	s_delay_alu instid0(SALU_CYCLE_1)
	s_or_b32 s18, s18, s19
	s_or_b32 exec_lo, exec_lo, s17
	v_mov_b32_e32 v28, 0
	s_and_saveexec_b32 s17, s18
	s_cbranch_execnz .LBB95_2783
	s_branch .LBB95_2784
.LBB95_2803:
	s_mov_b32 s16, -1
.LBB95_2804:
                                        ; implicit-def: $vgpr28
.LBB95_2805:
	s_and_b32 vcc_lo, exec_lo, s17
	s_mov_b32 s17, 0
	s_cbranch_vccz .LBB95_2807
; %bb.2806:
	s_cmp_lg_u32 s15, 11
	s_mov_b32 s17, -1
	s_cselect_b32 s16, -1, 0
.LBB95_2807:
	s_delay_alu instid0(SALU_CYCLE_1)
	s_and_b32 vcc_lo, exec_lo, s16
	s_cbranch_vccnz .LBB95_2872
; %bb.2808:
	s_and_not1_b32 vcc_lo, exec_lo, s17
	s_cbranch_vccnz .LBB95_2810
.LBB95_2809:
	global_load_u8 v1, v[32:33], off
	s_mov_b32 s18, -1
	s_wait_loadcnt 0x0
	v_cmp_ne_u16_e32 vcc_lo, 0, v1
	v_cndmask_b32_e64 v28, 0, 1, vcc_lo
.LBB95_2810:
	s_mov_b32 s16, 0
.LBB95_2811:
	s_delay_alu instid0(SALU_CYCLE_1)
	s_and_b32 vcc_lo, exec_lo, s16
	s_cbranch_vccz .LBB95_2860
; %bb.2812:
	s_cmp_lt_i32 s15, 5
	s_cbranch_scc1 .LBB95_2817
; %bb.2813:
	s_cmp_lt_i32 s15, 8
	s_cbranch_scc1 .LBB95_2818
	;; [unrolled: 3-line block ×3, first 2 shown]
; %bb.2815:
	s_cmp_gt_i32 s15, 9
	s_cbranch_scc0 .LBB95_2820
; %bb.2816:
	s_wait_loadcnt 0x0
	global_load_b64 v[28:29], v[32:33], off
	s_mov_b32 s16, 0
	s_wait_loadcnt 0x0
	v_cvt_i32_f64_e32 v28, v[28:29]
	s_branch .LBB95_2821
.LBB95_2817:
	s_mov_b32 s16, -1
                                        ; implicit-def: $vgpr28
	s_branch .LBB95_2839
.LBB95_2818:
	s_mov_b32 s16, -1
                                        ; implicit-def: $vgpr28
	s_branch .LBB95_2827
.LBB95_2819:
	s_mov_b32 s16, -1
                                        ; implicit-def: $vgpr28
	s_branch .LBB95_2824
.LBB95_2820:
	s_mov_b32 s16, -1
                                        ; implicit-def: $vgpr28
.LBB95_2821:
	s_delay_alu instid0(SALU_CYCLE_1)
	s_and_not1_b32 vcc_lo, exec_lo, s16
	s_cbranch_vccnz .LBB95_2823
; %bb.2822:
	global_load_b32 v1, v[32:33], off
	s_wait_loadcnt 0x0
	v_cvt_i32_f32_e32 v28, v1
.LBB95_2823:
	s_mov_b32 s16, 0
.LBB95_2824:
	s_delay_alu instid0(SALU_CYCLE_1)
	s_and_not1_b32 vcc_lo, exec_lo, s16
	s_cbranch_vccnz .LBB95_2826
; %bb.2825:
	global_load_b32 v1, v[32:33], off
	s_wait_loadcnt 0x0
	v_cvt_i16_f16_e32 v28, v1
.LBB95_2826:
	s_mov_b32 s16, 0
.LBB95_2827:
	s_delay_alu instid0(SALU_CYCLE_1)
	s_and_not1_b32 vcc_lo, exec_lo, s16
	s_cbranch_vccnz .LBB95_2838
; %bb.2828:
	s_cmp_lt_i32 s15, 6
	s_cbranch_scc1 .LBB95_2831
; %bb.2829:
	s_cmp_gt_i32 s15, 6
	s_cbranch_scc0 .LBB95_2832
; %bb.2830:
	s_wait_loadcnt 0x0
	global_load_b64 v[28:29], v[32:33], off
	s_mov_b32 s16, 0
	s_wait_loadcnt 0x0
	v_cvt_i32_f64_e32 v28, v[28:29]
	s_branch .LBB95_2833
.LBB95_2831:
	s_mov_b32 s16, -1
                                        ; implicit-def: $vgpr28
	s_branch .LBB95_2836
.LBB95_2832:
	s_mov_b32 s16, -1
                                        ; implicit-def: $vgpr28
.LBB95_2833:
	s_delay_alu instid0(SALU_CYCLE_1)
	s_and_not1_b32 vcc_lo, exec_lo, s16
	s_cbranch_vccnz .LBB95_2835
; %bb.2834:
	global_load_b32 v1, v[32:33], off
	s_wait_loadcnt 0x0
	v_cvt_i32_f32_e32 v28, v1
.LBB95_2835:
	s_mov_b32 s16, 0
.LBB95_2836:
	s_delay_alu instid0(SALU_CYCLE_1)
	s_and_not1_b32 vcc_lo, exec_lo, s16
	s_cbranch_vccnz .LBB95_2838
; %bb.2837:
	global_load_u16 v1, v[32:33], off
	s_wait_loadcnt 0x0
	v_cvt_i16_f16_e32 v28, v1
.LBB95_2838:
	s_mov_b32 s16, 0
.LBB95_2839:
	s_delay_alu instid0(SALU_CYCLE_1)
	s_and_not1_b32 vcc_lo, exec_lo, s16
	s_cbranch_vccnz .LBB95_2859
; %bb.2840:
	s_cmp_lt_i32 s15, 2
	s_cbranch_scc1 .LBB95_2844
; %bb.2841:
	s_cmp_lt_i32 s15, 3
	s_cbranch_scc1 .LBB95_2845
; %bb.2842:
	s_cmp_gt_i32 s15, 3
	s_cbranch_scc0 .LBB95_2846
; %bb.2843:
	s_wait_loadcnt 0x0
	global_load_b64 v[28:29], v[32:33], off
	s_mov_b32 s16, 0
	s_branch .LBB95_2847
.LBB95_2844:
	s_mov_b32 s16, -1
                                        ; implicit-def: $vgpr28
	s_branch .LBB95_2853
.LBB95_2845:
	s_mov_b32 s16, -1
                                        ; implicit-def: $vgpr28
	s_branch .LBB95_2850
.LBB95_2846:
	s_mov_b32 s16, -1
                                        ; implicit-def: $vgpr28
.LBB95_2847:
	s_delay_alu instid0(SALU_CYCLE_1)
	s_and_not1_b32 vcc_lo, exec_lo, s16
	s_cbranch_vccnz .LBB95_2849
; %bb.2848:
	s_wait_loadcnt 0x0
	global_load_b32 v28, v[32:33], off
.LBB95_2849:
	s_mov_b32 s16, 0
.LBB95_2850:
	s_delay_alu instid0(SALU_CYCLE_1)
	s_and_not1_b32 vcc_lo, exec_lo, s16
	s_cbranch_vccnz .LBB95_2852
; %bb.2851:
	s_wait_loadcnt 0x0
	global_load_u16 v28, v[32:33], off
.LBB95_2852:
	s_mov_b32 s16, 0
.LBB95_2853:
	s_delay_alu instid0(SALU_CYCLE_1)
	s_and_not1_b32 vcc_lo, exec_lo, s16
	s_cbranch_vccnz .LBB95_2859
; %bb.2854:
	s_cmp_gt_i32 s15, 0
	s_mov_b32 s16, 0
	s_cbranch_scc0 .LBB95_2856
; %bb.2855:
	s_wait_loadcnt 0x0
	global_load_i8 v28, v[32:33], off
	s_branch .LBB95_2857
.LBB95_2856:
	s_mov_b32 s16, -1
                                        ; implicit-def: $vgpr28
.LBB95_2857:
	s_delay_alu instid0(SALU_CYCLE_1)
	s_and_not1_b32 vcc_lo, exec_lo, s16
	s_cbranch_vccnz .LBB95_2859
; %bb.2858:
	s_wait_loadcnt 0x0
	global_load_u8 v28, v[32:33], off
.LBB95_2859:
	s_mov_b32 s18, -1
.LBB95_2860:
	s_delay_alu instid0(SALU_CYCLE_1)
	s_and_not1_b32 vcc_lo, exec_lo, s18
	s_cbranch_vccnz .LBB95_4058
; %bb.2861:
	v_mov_b32_e32 v27, 0
	s_cmp_lt_i32 s13, 11
	s_wait_xcnt 0x0
	s_delay_alu instid0(VALU_DEP_1)
	v_add_nc_u64_e32 v[32:33], s[6:7], v[26:27]
	s_cbranch_scc1 .LBB95_2868
; %bb.2862:
	s_cmp_gt_i32 s13, 25
	s_mov_b32 s17, 0
	s_cbranch_scc0 .LBB95_2869
; %bb.2863:
	s_cmp_gt_i32 s13, 28
	s_cbranch_scc0 .LBB95_2870
; %bb.2864:
	s_cmp_gt_i32 s13, 43
	;; [unrolled: 3-line block ×3, first 2 shown]
	s_cbranch_scc0 .LBB95_2873
; %bb.2866:
	s_cmp_eq_u32 s13, 46
	s_mov_b32 s19, 0
	s_cbranch_scc0 .LBB95_2876
; %bb.2867:
	global_load_b32 v1, v[32:33], off
	s_mov_b32 s16, 0
	s_mov_b32 s18, -1
	s_wait_loadcnt 0x0
	v_lshlrev_b32_e32 v1, 16, v1
	s_delay_alu instid0(VALU_DEP_1)
	v_cvt_i32_f32_e32 v26, v1
	s_branch .LBB95_2878
.LBB95_2868:
	s_mov_b32 s16, -1
	s_mov_b32 s18, 0
                                        ; implicit-def: $vgpr26
	s_branch .LBB95_2940
.LBB95_2869:
	s_mov_b32 s19, -1
	s_mov_b32 s18, 0
	s_mov_b32 s16, 0
                                        ; implicit-def: $vgpr26
	s_branch .LBB95_2905
.LBB95_2870:
	s_mov_b32 s19, -1
	s_mov_b32 s18, 0
	s_mov_b32 s16, 0
                                        ; implicit-def: $vgpr26
	s_branch .LBB95_2888
.LBB95_2871:
	s_mov_b32 s19, -1
	s_mov_b32 s18, 0
	s_mov_b32 s16, 0
                                        ; implicit-def: $vgpr26
	s_branch .LBB95_2883
.LBB95_2872:
	s_or_b32 s12, s12, exec_lo
	s_trap 2
	s_cbranch_execz .LBB95_2809
	s_branch .LBB95_2810
.LBB95_2873:
	s_mov_b32 s19, -1
	s_mov_b32 s18, 0
	s_mov_b32 s16, 0
	s_branch .LBB95_2877
.LBB95_2874:
	s_and_not1_saveexec_b32 s61, s61
	s_cbranch_execz .LBB95_1475
.LBB95_2875:
	v_add_f32_e64 v5, 0x42800000, |v4|
	s_and_not1_b32 s60, s60, exec_lo
	s_delay_alu instid0(VALU_DEP_1) | instskip(NEXT) | instid1(VALU_DEP_1)
	v_and_b32_e32 v5, 0xff, v5
	v_cmp_ne_u32_e32 vcc_lo, 0, v5
	s_and_b32 s62, vcc_lo, exec_lo
	s_delay_alu instid0(SALU_CYCLE_1)
	s_or_b32 s60, s60, s62
	s_or_b32 exec_lo, exec_lo, s61
	v_mov_b32_e32 v6, 0
	s_and_saveexec_b32 s61, s60
	s_cbranch_execnz .LBB95_1476
	s_branch .LBB95_1477
.LBB95_2876:
	s_mov_b32 s16, -1
	s_mov_b32 s18, 0
.LBB95_2877:
                                        ; implicit-def: $vgpr26
.LBB95_2878:
	s_and_b32 vcc_lo, exec_lo, s19
	s_cbranch_vccz .LBB95_2882
; %bb.2879:
	s_cmp_eq_u32 s13, 44
	s_cbranch_scc0 .LBB95_2881
; %bb.2880:
	global_load_u8 v1, v[32:33], off
	s_mov_b32 s16, 0
	s_mov_b32 s18, -1
	s_wait_loadcnt 0x0
	v_lshlrev_b32_e32 v3, 23, v1
	v_cmp_ne_u32_e32 vcc_lo, 0, v1
	s_delay_alu instid0(VALU_DEP_2) | instskip(NEXT) | instid1(VALU_DEP_1)
	v_cvt_i32_f32_e32 v3, v3
	v_cndmask_b32_e32 v26, 0, v3, vcc_lo
	s_branch .LBB95_2882
.LBB95_2881:
	s_mov_b32 s16, -1
                                        ; implicit-def: $vgpr26
.LBB95_2882:
	s_mov_b32 s19, 0
.LBB95_2883:
	s_delay_alu instid0(SALU_CYCLE_1)
	s_and_b32 vcc_lo, exec_lo, s19
	s_cbranch_vccz .LBB95_2887
; %bb.2884:
	s_cmp_eq_u32 s13, 29
	s_cbranch_scc0 .LBB95_2886
; %bb.2885:
	global_load_b64 v[26:27], v[32:33], off
	s_mov_b32 s16, 0
	s_mov_b32 s18, -1
	s_branch .LBB95_2887
.LBB95_2886:
	s_mov_b32 s16, -1
                                        ; implicit-def: $vgpr26
.LBB95_2887:
	s_mov_b32 s19, 0
.LBB95_2888:
	s_delay_alu instid0(SALU_CYCLE_1)
	s_and_b32 vcc_lo, exec_lo, s19
	s_cbranch_vccz .LBB95_2904
; %bb.2889:
	s_cmp_lt_i32 s13, 27
	s_cbranch_scc1 .LBB95_2892
; %bb.2890:
	s_cmp_gt_i32 s13, 27
	s_cbranch_scc0 .LBB95_2893
; %bb.2891:
	s_wait_loadcnt 0x0
	global_load_b32 v26, v[32:33], off
	s_mov_b32 s18, 0
	s_branch .LBB95_2894
.LBB95_2892:
	s_mov_b32 s18, -1
                                        ; implicit-def: $vgpr26
	s_branch .LBB95_2897
.LBB95_2893:
	s_mov_b32 s18, -1
                                        ; implicit-def: $vgpr26
.LBB95_2894:
	s_delay_alu instid0(SALU_CYCLE_1)
	s_and_not1_b32 vcc_lo, exec_lo, s18
	s_cbranch_vccnz .LBB95_2896
; %bb.2895:
	s_wait_loadcnt 0x0
	global_load_u16 v26, v[32:33], off
.LBB95_2896:
	s_mov_b32 s18, 0
.LBB95_2897:
	s_delay_alu instid0(SALU_CYCLE_1)
	s_and_not1_b32 vcc_lo, exec_lo, s18
	s_cbranch_vccnz .LBB95_2903
; %bb.2898:
	global_load_u8 v1, v[32:33], off
	s_mov_b32 s19, 0
	s_mov_b32 s18, exec_lo
	s_wait_loadcnt 0x0
	v_cmpx_lt_i16_e32 0x7f, v1
	s_xor_b32 s18, exec_lo, s18
	s_cbranch_execz .LBB95_2915
; %bb.2899:
	v_cmp_ne_u16_e32 vcc_lo, 0x80, v1
	s_and_b32 s19, vcc_lo, exec_lo
	s_and_not1_saveexec_b32 s18, s18
	s_cbranch_execnz .LBB95_2916
.LBB95_2900:
	s_or_b32 exec_lo, exec_lo, s18
	v_mov_b32_e32 v26, 0
	s_and_saveexec_b32 s18, s19
	s_cbranch_execz .LBB95_2902
.LBB95_2901:
	v_and_b32_e32 v3, 0xffff, v1
	s_delay_alu instid0(VALU_DEP_1) | instskip(SKIP_1) | instid1(VALU_DEP_2)
	v_dual_lshlrev_b32 v1, 24, v1 :: v_dual_bitop2_b32 v5, 7, v3 bitop3:0x40
	v_bfe_u32 v11, v3, 3, 4
	v_and_b32_e32 v1, 0x80000000, v1
	s_delay_alu instid0(VALU_DEP_3) | instskip(NEXT) | instid1(VALU_DEP_3)
	v_clz_i32_u32_e32 v7, v5
	v_cmp_eq_u32_e32 vcc_lo, 0, v11
	s_delay_alu instid0(VALU_DEP_2) | instskip(NEXT) | instid1(VALU_DEP_1)
	v_min_u32_e32 v7, 32, v7
	v_subrev_nc_u32_e32 v9, 28, v7
	v_sub_nc_u32_e32 v7, 29, v7
	s_delay_alu instid0(VALU_DEP_2) | instskip(NEXT) | instid1(VALU_DEP_2)
	v_lshlrev_b32_e32 v3, v9, v3
	v_cndmask_b32_e32 v7, v11, v7, vcc_lo
	s_delay_alu instid0(VALU_DEP_2) | instskip(NEXT) | instid1(VALU_DEP_1)
	v_and_b32_e32 v3, 7, v3
	v_cndmask_b32_e32 v3, v5, v3, vcc_lo
	s_delay_alu instid0(VALU_DEP_3) | instskip(NEXT) | instid1(VALU_DEP_2)
	v_lshl_add_u32 v5, v7, 23, 0x3b800000
	v_lshlrev_b32_e32 v3, 20, v3
	s_delay_alu instid0(VALU_DEP_1) | instskip(NEXT) | instid1(VALU_DEP_1)
	v_or3_b32 v1, v1, v5, v3
	v_cvt_i32_f32_e32 v26, v1
.LBB95_2902:
	s_or_b32 exec_lo, exec_lo, s18
.LBB95_2903:
	s_mov_b32 s18, -1
.LBB95_2904:
	s_mov_b32 s19, 0
.LBB95_2905:
	s_delay_alu instid0(SALU_CYCLE_1)
	s_and_b32 vcc_lo, exec_lo, s19
	s_cbranch_vccz .LBB95_2936
; %bb.2906:
	s_cmp_gt_i32 s13, 22
	s_cbranch_scc0 .LBB95_2914
; %bb.2907:
	s_cmp_lt_i32 s13, 24
	s_cbranch_scc1 .LBB95_2917
; %bb.2908:
	s_cmp_gt_i32 s13, 24
	s_cbranch_scc0 .LBB95_2918
; %bb.2909:
	global_load_u8 v1, v[32:33], off
	s_mov_b32 s18, 0
	s_mov_b32 s17, exec_lo
	s_wait_loadcnt 0x0
	v_cmpx_lt_i16_e32 0x7f, v1
	s_xor_b32 s17, exec_lo, s17
	s_cbranch_execz .LBB95_2930
; %bb.2910:
	v_cmp_ne_u16_e32 vcc_lo, 0x80, v1
	s_and_b32 s18, vcc_lo, exec_lo
	s_and_not1_saveexec_b32 s17, s17
	s_cbranch_execnz .LBB95_2931
.LBB95_2911:
	s_or_b32 exec_lo, exec_lo, s17
	v_mov_b32_e32 v26, 0
	s_and_saveexec_b32 s17, s18
	s_cbranch_execz .LBB95_2913
.LBB95_2912:
	v_and_b32_e32 v3, 0xffff, v1
	s_delay_alu instid0(VALU_DEP_1) | instskip(SKIP_1) | instid1(VALU_DEP_2)
	v_dual_lshlrev_b32 v1, 24, v1 :: v_dual_bitop2_b32 v5, 3, v3 bitop3:0x40
	v_bfe_u32 v11, v3, 2, 5
	v_and_b32_e32 v1, 0x80000000, v1
	s_delay_alu instid0(VALU_DEP_3) | instskip(NEXT) | instid1(VALU_DEP_3)
	v_clz_i32_u32_e32 v7, v5
	v_cmp_eq_u32_e32 vcc_lo, 0, v11
	s_delay_alu instid0(VALU_DEP_2) | instskip(NEXT) | instid1(VALU_DEP_1)
	v_min_u32_e32 v7, 32, v7
	v_subrev_nc_u32_e32 v9, 29, v7
	v_sub_nc_u32_e32 v7, 30, v7
	s_delay_alu instid0(VALU_DEP_2) | instskip(NEXT) | instid1(VALU_DEP_2)
	v_lshlrev_b32_e32 v3, v9, v3
	v_cndmask_b32_e32 v7, v11, v7, vcc_lo
	s_delay_alu instid0(VALU_DEP_2) | instskip(NEXT) | instid1(VALU_DEP_1)
	v_and_b32_e32 v3, 3, v3
	v_cndmask_b32_e32 v3, v5, v3, vcc_lo
	s_delay_alu instid0(VALU_DEP_3) | instskip(NEXT) | instid1(VALU_DEP_2)
	v_lshl_add_u32 v5, v7, 23, 0x37800000
	v_lshlrev_b32_e32 v3, 21, v3
	s_delay_alu instid0(VALU_DEP_1) | instskip(NEXT) | instid1(VALU_DEP_1)
	v_or3_b32 v1, v1, v5, v3
	v_cvt_i32_f32_e32 v26, v1
.LBB95_2913:
	s_or_b32 exec_lo, exec_lo, s17
	s_mov_b32 s17, 0
	s_branch .LBB95_2919
.LBB95_2914:
	s_mov_b32 s17, -1
                                        ; implicit-def: $vgpr26
	s_branch .LBB95_2925
.LBB95_2915:
	s_and_not1_saveexec_b32 s18, s18
	s_cbranch_execz .LBB95_2900
.LBB95_2916:
	v_cmp_ne_u16_e32 vcc_lo, 0, v1
	s_and_not1_b32 s19, s19, exec_lo
	s_and_b32 s20, vcc_lo, exec_lo
	s_delay_alu instid0(SALU_CYCLE_1)
	s_or_b32 s19, s19, s20
	s_or_b32 exec_lo, exec_lo, s18
	v_mov_b32_e32 v26, 0
	s_and_saveexec_b32 s18, s19
	s_cbranch_execnz .LBB95_2901
	s_branch .LBB95_2902
.LBB95_2917:
	s_mov_b32 s17, -1
                                        ; implicit-def: $vgpr26
	s_branch .LBB95_2922
.LBB95_2918:
	s_mov_b32 s17, -1
                                        ; implicit-def: $vgpr26
.LBB95_2919:
	s_delay_alu instid0(SALU_CYCLE_1)
	s_and_b32 vcc_lo, exec_lo, s17
	s_cbranch_vccz .LBB95_2921
; %bb.2920:
	global_load_u8 v1, v[32:33], off
	s_wait_loadcnt 0x0
	v_lshlrev_b32_e32 v1, 24, v1
	s_delay_alu instid0(VALU_DEP_1) | instskip(NEXT) | instid1(VALU_DEP_1)
	v_and_b32_e32 v3, 0x7f000000, v1
	v_clz_i32_u32_e32 v5, v3
	v_add_nc_u32_e32 v9, 0x1000000, v3
	v_cmp_ne_u32_e32 vcc_lo, 0, v3
	s_delay_alu instid0(VALU_DEP_3) | instskip(NEXT) | instid1(VALU_DEP_1)
	v_min_u32_e32 v5, 32, v5
	v_sub_nc_u32_e64 v5, v5, 4 clamp
	s_delay_alu instid0(VALU_DEP_1) | instskip(NEXT) | instid1(VALU_DEP_1)
	v_dual_lshlrev_b32 v7, v5, v3 :: v_dual_lshlrev_b32 v5, 23, v5
	v_lshrrev_b32_e32 v7, 4, v7
	s_delay_alu instid0(VALU_DEP_1) | instskip(SKIP_1) | instid1(VALU_DEP_2)
	v_sub_nc_u32_e32 v5, v7, v5
	v_ashrrev_i32_e32 v7, 8, v9
	v_add_nc_u32_e32 v5, 0x3c000000, v5
	s_delay_alu instid0(VALU_DEP_1) | instskip(NEXT) | instid1(VALU_DEP_1)
	v_and_or_b32 v5, 0x7f800000, v7, v5
	v_cndmask_b32_e32 v3, 0, v5, vcc_lo
	s_delay_alu instid0(VALU_DEP_1) | instskip(NEXT) | instid1(VALU_DEP_1)
	v_and_or_b32 v1, 0x80000000, v1, v3
	v_cvt_i32_f32_e32 v26, v1
.LBB95_2921:
	s_mov_b32 s17, 0
.LBB95_2922:
	s_delay_alu instid0(SALU_CYCLE_1)
	s_and_not1_b32 vcc_lo, exec_lo, s17
	s_cbranch_vccnz .LBB95_2924
; %bb.2923:
	global_load_u8 v1, v[32:33], off
	s_wait_loadcnt 0x0
	v_lshlrev_b32_e32 v3, 25, v1
	v_lshlrev_b16 v1, 8, v1
	s_delay_alu instid0(VALU_DEP_1) | instskip(SKIP_1) | instid1(VALU_DEP_2)
	v_and_or_b32 v7, 0x7f00, v1, 0.5
	v_bfe_i32 v1, v1, 0, 16
	v_add_f32_e32 v7, -0.5, v7
	v_lshrrev_b32_e32 v5, 4, v3
	v_cmp_gt_u32_e32 vcc_lo, 0x8000000, v3
	s_delay_alu instid0(VALU_DEP_2) | instskip(NEXT) | instid1(VALU_DEP_1)
	v_or_b32_e32 v5, 0x70000000, v5
	v_mul_f32_e32 v5, 0x7800000, v5
	s_delay_alu instid0(VALU_DEP_1) | instskip(NEXT) | instid1(VALU_DEP_1)
	v_cndmask_b32_e32 v3, v5, v7, vcc_lo
	v_and_or_b32 v1, 0x80000000, v1, v3
	s_delay_alu instid0(VALU_DEP_1)
	v_cvt_i32_f32_e32 v26, v1
.LBB95_2924:
	s_mov_b32 s17, 0
	s_mov_b32 s18, -1
.LBB95_2925:
	s_and_not1_b32 vcc_lo, exec_lo, s17
	s_mov_b32 s17, 0
	s_cbranch_vccnz .LBB95_2936
; %bb.2926:
	s_cmp_gt_i32 s13, 14
	s_cbranch_scc0 .LBB95_2929
; %bb.2927:
	s_cmp_eq_u32 s13, 15
	s_cbranch_scc0 .LBB95_2932
; %bb.2928:
	global_load_u16 v1, v[32:33], off
	s_mov_b32 s16, 0
	s_mov_b32 s18, -1
	s_wait_loadcnt 0x0
	v_lshlrev_b32_e32 v1, 16, v1
	s_delay_alu instid0(VALU_DEP_1)
	v_cvt_i32_f32_e32 v26, v1
	s_branch .LBB95_2934
.LBB95_2929:
	s_mov_b32 s17, -1
	s_branch .LBB95_2933
.LBB95_2930:
	s_and_not1_saveexec_b32 s17, s17
	s_cbranch_execz .LBB95_2911
.LBB95_2931:
	v_cmp_ne_u16_e32 vcc_lo, 0, v1
	s_and_not1_b32 s18, s18, exec_lo
	s_and_b32 s19, vcc_lo, exec_lo
	s_delay_alu instid0(SALU_CYCLE_1)
	s_or_b32 s18, s18, s19
	s_or_b32 exec_lo, exec_lo, s17
	v_mov_b32_e32 v26, 0
	s_and_saveexec_b32 s17, s18
	s_cbranch_execnz .LBB95_2912
	s_branch .LBB95_2913
.LBB95_2932:
	s_mov_b32 s16, -1
.LBB95_2933:
                                        ; implicit-def: $vgpr26
.LBB95_2934:
	s_and_b32 vcc_lo, exec_lo, s17
	s_mov_b32 s17, 0
	s_cbranch_vccz .LBB95_2936
; %bb.2935:
	s_cmp_lg_u32 s13, 11
	s_mov_b32 s17, -1
	s_cselect_b32 s16, -1, 0
.LBB95_2936:
	s_delay_alu instid0(SALU_CYCLE_1)
	s_and_b32 vcc_lo, exec_lo, s16
	s_cbranch_vccnz .LBB95_3001
; %bb.2937:
	s_and_not1_b32 vcc_lo, exec_lo, s17
	s_cbranch_vccnz .LBB95_2939
.LBB95_2938:
	global_load_u8 v1, v[32:33], off
	s_mov_b32 s18, -1
	s_wait_loadcnt 0x0
	v_cmp_ne_u16_e32 vcc_lo, 0, v1
	v_cndmask_b32_e64 v26, 0, 1, vcc_lo
.LBB95_2939:
	s_mov_b32 s16, 0
.LBB95_2940:
	s_delay_alu instid0(SALU_CYCLE_1)
	s_and_b32 vcc_lo, exec_lo, s16
	s_cbranch_vccz .LBB95_2989
; %bb.2941:
	s_cmp_lt_i32 s13, 5
	s_cbranch_scc1 .LBB95_2946
; %bb.2942:
	s_cmp_lt_i32 s13, 8
	s_cbranch_scc1 .LBB95_2947
	;; [unrolled: 3-line block ×3, first 2 shown]
; %bb.2944:
	s_cmp_gt_i32 s13, 9
	s_cbranch_scc0 .LBB95_2949
; %bb.2945:
	s_wait_loadcnt 0x0
	global_load_b64 v[26:27], v[32:33], off
	s_mov_b32 s16, 0
	s_wait_loadcnt 0x0
	v_cvt_i32_f64_e32 v26, v[26:27]
	s_branch .LBB95_2950
.LBB95_2946:
	s_mov_b32 s16, -1
                                        ; implicit-def: $vgpr26
	s_branch .LBB95_2968
.LBB95_2947:
	s_mov_b32 s16, -1
                                        ; implicit-def: $vgpr26
	s_branch .LBB95_2956
.LBB95_2948:
	s_mov_b32 s16, -1
                                        ; implicit-def: $vgpr26
	s_branch .LBB95_2953
.LBB95_2949:
	s_mov_b32 s16, -1
                                        ; implicit-def: $vgpr26
.LBB95_2950:
	s_delay_alu instid0(SALU_CYCLE_1)
	s_and_not1_b32 vcc_lo, exec_lo, s16
	s_cbranch_vccnz .LBB95_2952
; %bb.2951:
	global_load_b32 v1, v[32:33], off
	s_wait_loadcnt 0x0
	v_cvt_i32_f32_e32 v26, v1
.LBB95_2952:
	s_mov_b32 s16, 0
.LBB95_2953:
	s_delay_alu instid0(SALU_CYCLE_1)
	s_and_not1_b32 vcc_lo, exec_lo, s16
	s_cbranch_vccnz .LBB95_2955
; %bb.2954:
	global_load_b32 v1, v[32:33], off
	s_wait_loadcnt 0x0
	v_cvt_i16_f16_e32 v26, v1
.LBB95_2955:
	s_mov_b32 s16, 0
.LBB95_2956:
	s_delay_alu instid0(SALU_CYCLE_1)
	s_and_not1_b32 vcc_lo, exec_lo, s16
	s_cbranch_vccnz .LBB95_2967
; %bb.2957:
	s_cmp_lt_i32 s13, 6
	s_cbranch_scc1 .LBB95_2960
; %bb.2958:
	s_cmp_gt_i32 s13, 6
	s_cbranch_scc0 .LBB95_2961
; %bb.2959:
	s_wait_loadcnt 0x0
	global_load_b64 v[26:27], v[32:33], off
	s_mov_b32 s16, 0
	s_wait_loadcnt 0x0
	v_cvt_i32_f64_e32 v26, v[26:27]
	s_branch .LBB95_2962
.LBB95_2960:
	s_mov_b32 s16, -1
                                        ; implicit-def: $vgpr26
	s_branch .LBB95_2965
.LBB95_2961:
	s_mov_b32 s16, -1
                                        ; implicit-def: $vgpr26
.LBB95_2962:
	s_delay_alu instid0(SALU_CYCLE_1)
	s_and_not1_b32 vcc_lo, exec_lo, s16
	s_cbranch_vccnz .LBB95_2964
; %bb.2963:
	global_load_b32 v1, v[32:33], off
	s_wait_loadcnt 0x0
	v_cvt_i32_f32_e32 v26, v1
.LBB95_2964:
	s_mov_b32 s16, 0
.LBB95_2965:
	s_delay_alu instid0(SALU_CYCLE_1)
	s_and_not1_b32 vcc_lo, exec_lo, s16
	s_cbranch_vccnz .LBB95_2967
; %bb.2966:
	global_load_u16 v1, v[32:33], off
	s_wait_loadcnt 0x0
	v_cvt_i16_f16_e32 v26, v1
.LBB95_2967:
	s_mov_b32 s16, 0
.LBB95_2968:
	s_delay_alu instid0(SALU_CYCLE_1)
	s_and_not1_b32 vcc_lo, exec_lo, s16
	s_cbranch_vccnz .LBB95_2988
; %bb.2969:
	s_cmp_lt_i32 s13, 2
	s_cbranch_scc1 .LBB95_2973
; %bb.2970:
	s_cmp_lt_i32 s13, 3
	s_cbranch_scc1 .LBB95_2974
; %bb.2971:
	s_cmp_gt_i32 s13, 3
	s_cbranch_scc0 .LBB95_2975
; %bb.2972:
	s_wait_loadcnt 0x0
	global_load_b64 v[26:27], v[32:33], off
	s_mov_b32 s16, 0
	s_branch .LBB95_2976
.LBB95_2973:
	s_mov_b32 s16, -1
                                        ; implicit-def: $vgpr26
	s_branch .LBB95_2982
.LBB95_2974:
	s_mov_b32 s16, -1
                                        ; implicit-def: $vgpr26
	s_branch .LBB95_2979
.LBB95_2975:
	s_mov_b32 s16, -1
                                        ; implicit-def: $vgpr26
.LBB95_2976:
	s_delay_alu instid0(SALU_CYCLE_1)
	s_and_not1_b32 vcc_lo, exec_lo, s16
	s_cbranch_vccnz .LBB95_2978
; %bb.2977:
	s_wait_loadcnt 0x0
	global_load_b32 v26, v[32:33], off
.LBB95_2978:
	s_mov_b32 s16, 0
.LBB95_2979:
	s_delay_alu instid0(SALU_CYCLE_1)
	s_and_not1_b32 vcc_lo, exec_lo, s16
	s_cbranch_vccnz .LBB95_2981
; %bb.2980:
	s_wait_loadcnt 0x0
	global_load_u16 v26, v[32:33], off
.LBB95_2981:
	s_mov_b32 s16, 0
.LBB95_2982:
	s_delay_alu instid0(SALU_CYCLE_1)
	s_and_not1_b32 vcc_lo, exec_lo, s16
	s_cbranch_vccnz .LBB95_2988
; %bb.2983:
	s_cmp_gt_i32 s13, 0
	s_mov_b32 s16, 0
	s_cbranch_scc0 .LBB95_2985
; %bb.2984:
	s_wait_loadcnt 0x0
	global_load_i8 v26, v[32:33], off
	s_branch .LBB95_2986
.LBB95_2985:
	s_mov_b32 s16, -1
                                        ; implicit-def: $vgpr26
.LBB95_2986:
	s_delay_alu instid0(SALU_CYCLE_1)
	s_and_not1_b32 vcc_lo, exec_lo, s16
	s_cbranch_vccnz .LBB95_2988
; %bb.2987:
	s_wait_loadcnt 0x0
	global_load_u8 v26, v[32:33], off
.LBB95_2988:
	s_mov_b32 s18, -1
.LBB95_2989:
	s_delay_alu instid0(SALU_CYCLE_1)
	s_and_not1_b32 vcc_lo, exec_lo, s18
	s_cbranch_vccnz .LBB95_4058
; %bb.2990:
	v_mov_b32_e32 v31, 0
	s_cmp_lt_i32 s14, 11
	s_wait_xcnt 0x0
	s_delay_alu instid0(VALU_DEP_1)
	v_add_nc_u64_e32 v[32:33], s[0:1], v[30:31]
	s_cbranch_scc1 .LBB95_2997
; %bb.2991:
	s_cmp_gt_i32 s14, 25
	s_mov_b32 s17, 0
	s_cbranch_scc0 .LBB95_2998
; %bb.2992:
	s_cmp_gt_i32 s14, 28
	s_cbranch_scc0 .LBB95_2999
; %bb.2993:
	s_cmp_gt_i32 s14, 43
	s_cbranch_scc0 .LBB95_3000
; %bb.2994:
	s_cmp_gt_i32 s14, 45
	s_cbranch_scc0 .LBB95_3002
; %bb.2995:
	s_cmp_eq_u32 s14, 46
	s_mov_b32 s19, 0
	s_cbranch_scc0 .LBB95_3003
; %bb.2996:
	global_load_b32 v1, v[32:33], off
	s_mov_b32 s16, 0
	s_mov_b32 s18, -1
	s_wait_loadcnt 0x0
	v_lshlrev_b32_e32 v1, 16, v1
	s_delay_alu instid0(VALU_DEP_1)
	v_cvt_i32_f32_e32 v30, v1
	s_branch .LBB95_3005
.LBB95_2997:
	s_mov_b32 s16, -1
	s_mov_b32 s18, 0
                                        ; implicit-def: $vgpr30
	s_branch .LBB95_3067
.LBB95_2998:
	s_mov_b32 s19, -1
	s_mov_b32 s18, 0
	s_mov_b32 s16, 0
                                        ; implicit-def: $vgpr30
	s_branch .LBB95_3032
.LBB95_2999:
	s_mov_b32 s19, -1
	s_mov_b32 s18, 0
	s_mov_b32 s16, 0
                                        ; implicit-def: $vgpr30
	s_branch .LBB95_3015
.LBB95_3000:
	s_mov_b32 s19, -1
	s_mov_b32 s18, 0
	s_mov_b32 s16, 0
                                        ; implicit-def: $vgpr30
	s_branch .LBB95_3010
.LBB95_3001:
	s_or_b32 s12, s12, exec_lo
	s_trap 2
	s_cbranch_execz .LBB95_2938
	s_branch .LBB95_2939
.LBB95_3002:
	s_mov_b32 s19, -1
	s_mov_b32 s18, 0
	s_mov_b32 s16, 0
	s_branch .LBB95_3004
.LBB95_3003:
	s_mov_b32 s16, -1
	s_mov_b32 s18, 0
.LBB95_3004:
                                        ; implicit-def: $vgpr30
.LBB95_3005:
	s_and_b32 vcc_lo, exec_lo, s19
	s_cbranch_vccz .LBB95_3009
; %bb.3006:
	s_cmp_eq_u32 s14, 44
	s_cbranch_scc0 .LBB95_3008
; %bb.3007:
	global_load_u8 v1, v[32:33], off
	s_mov_b32 s16, 0
	s_mov_b32 s18, -1
	s_wait_loadcnt 0x0
	v_lshlrev_b32_e32 v3, 23, v1
	v_cmp_ne_u32_e32 vcc_lo, 0, v1
	s_delay_alu instid0(VALU_DEP_2) | instskip(NEXT) | instid1(VALU_DEP_1)
	v_cvt_i32_f32_e32 v3, v3
	v_cndmask_b32_e32 v30, 0, v3, vcc_lo
	s_branch .LBB95_3009
.LBB95_3008:
	s_mov_b32 s16, -1
                                        ; implicit-def: $vgpr30
.LBB95_3009:
	s_mov_b32 s19, 0
.LBB95_3010:
	s_delay_alu instid0(SALU_CYCLE_1)
	s_and_b32 vcc_lo, exec_lo, s19
	s_cbranch_vccz .LBB95_3014
; %bb.3011:
	s_cmp_eq_u32 s14, 29
	s_cbranch_scc0 .LBB95_3013
; %bb.3012:
	global_load_b64 v[30:31], v[32:33], off
	s_mov_b32 s16, 0
	s_mov_b32 s18, -1
	s_branch .LBB95_3014
.LBB95_3013:
	s_mov_b32 s16, -1
                                        ; implicit-def: $vgpr30
.LBB95_3014:
	s_mov_b32 s19, 0
.LBB95_3015:
	s_delay_alu instid0(SALU_CYCLE_1)
	s_and_b32 vcc_lo, exec_lo, s19
	s_cbranch_vccz .LBB95_3031
; %bb.3016:
	s_cmp_lt_i32 s14, 27
	s_cbranch_scc1 .LBB95_3019
; %bb.3017:
	s_cmp_gt_i32 s14, 27
	s_cbranch_scc0 .LBB95_3020
; %bb.3018:
	s_wait_loadcnt 0x0
	global_load_b32 v30, v[32:33], off
	s_mov_b32 s18, 0
	s_branch .LBB95_3021
.LBB95_3019:
	s_mov_b32 s18, -1
                                        ; implicit-def: $vgpr30
	s_branch .LBB95_3024
.LBB95_3020:
	s_mov_b32 s18, -1
                                        ; implicit-def: $vgpr30
.LBB95_3021:
	s_delay_alu instid0(SALU_CYCLE_1)
	s_and_not1_b32 vcc_lo, exec_lo, s18
	s_cbranch_vccnz .LBB95_3023
; %bb.3022:
	s_wait_loadcnt 0x0
	global_load_u16 v30, v[32:33], off
.LBB95_3023:
	s_mov_b32 s18, 0
.LBB95_3024:
	s_delay_alu instid0(SALU_CYCLE_1)
	s_and_not1_b32 vcc_lo, exec_lo, s18
	s_cbranch_vccnz .LBB95_3030
; %bb.3025:
	global_load_u8 v1, v[32:33], off
	s_mov_b32 s19, 0
	s_mov_b32 s18, exec_lo
	s_wait_loadcnt 0x0
	v_cmpx_lt_i16_e32 0x7f, v1
	s_xor_b32 s18, exec_lo, s18
	s_cbranch_execz .LBB95_3042
; %bb.3026:
	v_cmp_ne_u16_e32 vcc_lo, 0x80, v1
	s_and_b32 s19, vcc_lo, exec_lo
	s_and_not1_saveexec_b32 s18, s18
	s_cbranch_execnz .LBB95_3043
.LBB95_3027:
	s_or_b32 exec_lo, exec_lo, s18
	v_mov_b32_e32 v30, 0
	s_and_saveexec_b32 s18, s19
	s_cbranch_execz .LBB95_3029
.LBB95_3028:
	v_and_b32_e32 v3, 0xffff, v1
	s_delay_alu instid0(VALU_DEP_1) | instskip(SKIP_1) | instid1(VALU_DEP_2)
	v_dual_lshlrev_b32 v1, 24, v1 :: v_dual_bitop2_b32 v5, 7, v3 bitop3:0x40
	v_bfe_u32 v11, v3, 3, 4
	v_and_b32_e32 v1, 0x80000000, v1
	s_delay_alu instid0(VALU_DEP_3) | instskip(NEXT) | instid1(VALU_DEP_3)
	v_clz_i32_u32_e32 v7, v5
	v_cmp_eq_u32_e32 vcc_lo, 0, v11
	s_delay_alu instid0(VALU_DEP_2) | instskip(NEXT) | instid1(VALU_DEP_1)
	v_min_u32_e32 v7, 32, v7
	v_subrev_nc_u32_e32 v9, 28, v7
	v_sub_nc_u32_e32 v7, 29, v7
	s_delay_alu instid0(VALU_DEP_2) | instskip(NEXT) | instid1(VALU_DEP_2)
	v_lshlrev_b32_e32 v3, v9, v3
	v_cndmask_b32_e32 v7, v11, v7, vcc_lo
	s_delay_alu instid0(VALU_DEP_2) | instskip(NEXT) | instid1(VALU_DEP_1)
	v_and_b32_e32 v3, 7, v3
	v_cndmask_b32_e32 v3, v5, v3, vcc_lo
	s_delay_alu instid0(VALU_DEP_3) | instskip(NEXT) | instid1(VALU_DEP_2)
	v_lshl_add_u32 v5, v7, 23, 0x3b800000
	v_lshlrev_b32_e32 v3, 20, v3
	s_delay_alu instid0(VALU_DEP_1) | instskip(NEXT) | instid1(VALU_DEP_1)
	v_or3_b32 v1, v1, v5, v3
	v_cvt_i32_f32_e32 v30, v1
.LBB95_3029:
	s_or_b32 exec_lo, exec_lo, s18
.LBB95_3030:
	s_mov_b32 s18, -1
.LBB95_3031:
	s_mov_b32 s19, 0
.LBB95_3032:
	s_delay_alu instid0(SALU_CYCLE_1)
	s_and_b32 vcc_lo, exec_lo, s19
	s_cbranch_vccz .LBB95_3063
; %bb.3033:
	s_cmp_gt_i32 s14, 22
	s_cbranch_scc0 .LBB95_3041
; %bb.3034:
	s_cmp_lt_i32 s14, 24
	s_cbranch_scc1 .LBB95_3044
; %bb.3035:
	s_cmp_gt_i32 s14, 24
	s_cbranch_scc0 .LBB95_3045
; %bb.3036:
	global_load_u8 v1, v[32:33], off
	s_mov_b32 s18, 0
	s_mov_b32 s17, exec_lo
	s_wait_loadcnt 0x0
	v_cmpx_lt_i16_e32 0x7f, v1
	s_xor_b32 s17, exec_lo, s17
	s_cbranch_execz .LBB95_3057
; %bb.3037:
	v_cmp_ne_u16_e32 vcc_lo, 0x80, v1
	s_and_b32 s18, vcc_lo, exec_lo
	s_and_not1_saveexec_b32 s17, s17
	s_cbranch_execnz .LBB95_3058
.LBB95_3038:
	s_or_b32 exec_lo, exec_lo, s17
	v_mov_b32_e32 v30, 0
	s_and_saveexec_b32 s17, s18
	s_cbranch_execz .LBB95_3040
.LBB95_3039:
	v_and_b32_e32 v3, 0xffff, v1
	s_delay_alu instid0(VALU_DEP_1) | instskip(SKIP_1) | instid1(VALU_DEP_2)
	v_dual_lshlrev_b32 v1, 24, v1 :: v_dual_bitop2_b32 v5, 3, v3 bitop3:0x40
	v_bfe_u32 v11, v3, 2, 5
	v_and_b32_e32 v1, 0x80000000, v1
	s_delay_alu instid0(VALU_DEP_3) | instskip(NEXT) | instid1(VALU_DEP_3)
	v_clz_i32_u32_e32 v7, v5
	v_cmp_eq_u32_e32 vcc_lo, 0, v11
	s_delay_alu instid0(VALU_DEP_2) | instskip(NEXT) | instid1(VALU_DEP_1)
	v_min_u32_e32 v7, 32, v7
	v_subrev_nc_u32_e32 v9, 29, v7
	v_sub_nc_u32_e32 v7, 30, v7
	s_delay_alu instid0(VALU_DEP_2) | instskip(NEXT) | instid1(VALU_DEP_2)
	v_lshlrev_b32_e32 v3, v9, v3
	v_cndmask_b32_e32 v7, v11, v7, vcc_lo
	s_delay_alu instid0(VALU_DEP_2) | instskip(NEXT) | instid1(VALU_DEP_1)
	v_and_b32_e32 v3, 3, v3
	v_cndmask_b32_e32 v3, v5, v3, vcc_lo
	s_delay_alu instid0(VALU_DEP_3) | instskip(NEXT) | instid1(VALU_DEP_2)
	v_lshl_add_u32 v5, v7, 23, 0x37800000
	v_lshlrev_b32_e32 v3, 21, v3
	s_delay_alu instid0(VALU_DEP_1) | instskip(NEXT) | instid1(VALU_DEP_1)
	v_or3_b32 v1, v1, v5, v3
	v_cvt_i32_f32_e32 v30, v1
.LBB95_3040:
	s_or_b32 exec_lo, exec_lo, s17
	s_mov_b32 s17, 0
	s_branch .LBB95_3046
.LBB95_3041:
	s_mov_b32 s17, -1
                                        ; implicit-def: $vgpr30
	s_branch .LBB95_3052
.LBB95_3042:
	s_and_not1_saveexec_b32 s18, s18
	s_cbranch_execz .LBB95_3027
.LBB95_3043:
	v_cmp_ne_u16_e32 vcc_lo, 0, v1
	s_and_not1_b32 s19, s19, exec_lo
	s_and_b32 s20, vcc_lo, exec_lo
	s_delay_alu instid0(SALU_CYCLE_1)
	s_or_b32 s19, s19, s20
	s_or_b32 exec_lo, exec_lo, s18
	v_mov_b32_e32 v30, 0
	s_and_saveexec_b32 s18, s19
	s_cbranch_execnz .LBB95_3028
	s_branch .LBB95_3029
.LBB95_3044:
	s_mov_b32 s17, -1
                                        ; implicit-def: $vgpr30
	s_branch .LBB95_3049
.LBB95_3045:
	s_mov_b32 s17, -1
                                        ; implicit-def: $vgpr30
.LBB95_3046:
	s_delay_alu instid0(SALU_CYCLE_1)
	s_and_b32 vcc_lo, exec_lo, s17
	s_cbranch_vccz .LBB95_3048
; %bb.3047:
	global_load_u8 v1, v[32:33], off
	s_wait_loadcnt 0x0
	v_lshlrev_b32_e32 v1, 24, v1
	s_delay_alu instid0(VALU_DEP_1) | instskip(NEXT) | instid1(VALU_DEP_1)
	v_and_b32_e32 v3, 0x7f000000, v1
	v_clz_i32_u32_e32 v5, v3
	v_add_nc_u32_e32 v9, 0x1000000, v3
	v_cmp_ne_u32_e32 vcc_lo, 0, v3
	s_delay_alu instid0(VALU_DEP_3) | instskip(NEXT) | instid1(VALU_DEP_1)
	v_min_u32_e32 v5, 32, v5
	v_sub_nc_u32_e64 v5, v5, 4 clamp
	s_delay_alu instid0(VALU_DEP_1) | instskip(NEXT) | instid1(VALU_DEP_1)
	v_dual_lshlrev_b32 v7, v5, v3 :: v_dual_lshlrev_b32 v5, 23, v5
	v_lshrrev_b32_e32 v7, 4, v7
	s_delay_alu instid0(VALU_DEP_1) | instskip(SKIP_1) | instid1(VALU_DEP_2)
	v_sub_nc_u32_e32 v5, v7, v5
	v_ashrrev_i32_e32 v7, 8, v9
	v_add_nc_u32_e32 v5, 0x3c000000, v5
	s_delay_alu instid0(VALU_DEP_1) | instskip(NEXT) | instid1(VALU_DEP_1)
	v_and_or_b32 v5, 0x7f800000, v7, v5
	v_cndmask_b32_e32 v3, 0, v5, vcc_lo
	s_delay_alu instid0(VALU_DEP_1) | instskip(NEXT) | instid1(VALU_DEP_1)
	v_and_or_b32 v1, 0x80000000, v1, v3
	v_cvt_i32_f32_e32 v30, v1
.LBB95_3048:
	s_mov_b32 s17, 0
.LBB95_3049:
	s_delay_alu instid0(SALU_CYCLE_1)
	s_and_not1_b32 vcc_lo, exec_lo, s17
	s_cbranch_vccnz .LBB95_3051
; %bb.3050:
	global_load_u8 v1, v[32:33], off
	s_wait_loadcnt 0x0
	v_lshlrev_b32_e32 v3, 25, v1
	v_lshlrev_b16 v1, 8, v1
	s_delay_alu instid0(VALU_DEP_1) | instskip(SKIP_1) | instid1(VALU_DEP_2)
	v_and_or_b32 v7, 0x7f00, v1, 0.5
	v_bfe_i32 v1, v1, 0, 16
	v_add_f32_e32 v7, -0.5, v7
	v_lshrrev_b32_e32 v5, 4, v3
	v_cmp_gt_u32_e32 vcc_lo, 0x8000000, v3
	s_delay_alu instid0(VALU_DEP_2) | instskip(NEXT) | instid1(VALU_DEP_1)
	v_or_b32_e32 v5, 0x70000000, v5
	v_mul_f32_e32 v5, 0x7800000, v5
	s_delay_alu instid0(VALU_DEP_1) | instskip(NEXT) | instid1(VALU_DEP_1)
	v_cndmask_b32_e32 v3, v5, v7, vcc_lo
	v_and_or_b32 v1, 0x80000000, v1, v3
	s_delay_alu instid0(VALU_DEP_1)
	v_cvt_i32_f32_e32 v30, v1
.LBB95_3051:
	s_mov_b32 s17, 0
	s_mov_b32 s18, -1
.LBB95_3052:
	s_and_not1_b32 vcc_lo, exec_lo, s17
	s_mov_b32 s17, 0
	s_cbranch_vccnz .LBB95_3063
; %bb.3053:
	s_cmp_gt_i32 s14, 14
	s_cbranch_scc0 .LBB95_3056
; %bb.3054:
	s_cmp_eq_u32 s14, 15
	s_cbranch_scc0 .LBB95_3059
; %bb.3055:
	global_load_u16 v1, v[32:33], off
	s_mov_b32 s16, 0
	s_mov_b32 s18, -1
	s_wait_loadcnt 0x0
	v_lshlrev_b32_e32 v1, 16, v1
	s_delay_alu instid0(VALU_DEP_1)
	v_cvt_i32_f32_e32 v30, v1
	s_branch .LBB95_3061
.LBB95_3056:
	s_mov_b32 s17, -1
	s_branch .LBB95_3060
.LBB95_3057:
	s_and_not1_saveexec_b32 s17, s17
	s_cbranch_execz .LBB95_3038
.LBB95_3058:
	v_cmp_ne_u16_e32 vcc_lo, 0, v1
	s_and_not1_b32 s18, s18, exec_lo
	s_and_b32 s19, vcc_lo, exec_lo
	s_delay_alu instid0(SALU_CYCLE_1)
	s_or_b32 s18, s18, s19
	s_or_b32 exec_lo, exec_lo, s17
	v_mov_b32_e32 v30, 0
	s_and_saveexec_b32 s17, s18
	s_cbranch_execnz .LBB95_3039
	s_branch .LBB95_3040
.LBB95_3059:
	s_mov_b32 s16, -1
.LBB95_3060:
                                        ; implicit-def: $vgpr30
.LBB95_3061:
	s_and_b32 vcc_lo, exec_lo, s17
	s_mov_b32 s17, 0
	s_cbranch_vccz .LBB95_3063
; %bb.3062:
	s_cmp_lg_u32 s14, 11
	s_mov_b32 s17, -1
	s_cselect_b32 s16, -1, 0
.LBB95_3063:
	s_delay_alu instid0(SALU_CYCLE_1)
	s_and_b32 vcc_lo, exec_lo, s16
	s_cbranch_vccnz .LBB95_3128
; %bb.3064:
	s_and_not1_b32 vcc_lo, exec_lo, s17
	s_cbranch_vccnz .LBB95_3066
.LBB95_3065:
	global_load_u8 v1, v[32:33], off
	s_mov_b32 s18, -1
	s_wait_loadcnt 0x0
	v_cmp_ne_u16_e32 vcc_lo, 0, v1
	v_cndmask_b32_e64 v30, 0, 1, vcc_lo
.LBB95_3066:
	s_mov_b32 s16, 0
.LBB95_3067:
	s_delay_alu instid0(SALU_CYCLE_1)
	s_and_b32 vcc_lo, exec_lo, s16
	s_cbranch_vccz .LBB95_3116
; %bb.3068:
	s_cmp_lt_i32 s14, 5
	s_cbranch_scc1 .LBB95_3073
; %bb.3069:
	s_cmp_lt_i32 s14, 8
	s_cbranch_scc1 .LBB95_3074
	;; [unrolled: 3-line block ×3, first 2 shown]
; %bb.3071:
	s_cmp_gt_i32 s14, 9
	s_cbranch_scc0 .LBB95_3076
; %bb.3072:
	s_wait_loadcnt 0x0
	global_load_b64 v[30:31], v[32:33], off
	s_mov_b32 s16, 0
	s_wait_loadcnt 0x0
	v_cvt_i32_f64_e32 v30, v[30:31]
	s_branch .LBB95_3077
.LBB95_3073:
	s_mov_b32 s16, -1
                                        ; implicit-def: $vgpr30
	s_branch .LBB95_3095
.LBB95_3074:
	s_mov_b32 s16, -1
                                        ; implicit-def: $vgpr30
	s_branch .LBB95_3083
.LBB95_3075:
	s_mov_b32 s16, -1
                                        ; implicit-def: $vgpr30
	s_branch .LBB95_3080
.LBB95_3076:
	s_mov_b32 s16, -1
                                        ; implicit-def: $vgpr30
.LBB95_3077:
	s_delay_alu instid0(SALU_CYCLE_1)
	s_and_not1_b32 vcc_lo, exec_lo, s16
	s_cbranch_vccnz .LBB95_3079
; %bb.3078:
	global_load_b32 v1, v[32:33], off
	s_wait_loadcnt 0x0
	v_cvt_i32_f32_e32 v30, v1
.LBB95_3079:
	s_mov_b32 s16, 0
.LBB95_3080:
	s_delay_alu instid0(SALU_CYCLE_1)
	s_and_not1_b32 vcc_lo, exec_lo, s16
	s_cbranch_vccnz .LBB95_3082
; %bb.3081:
	global_load_b32 v1, v[32:33], off
	s_wait_loadcnt 0x0
	v_cvt_i16_f16_e32 v30, v1
.LBB95_3082:
	s_mov_b32 s16, 0
.LBB95_3083:
	s_delay_alu instid0(SALU_CYCLE_1)
	s_and_not1_b32 vcc_lo, exec_lo, s16
	s_cbranch_vccnz .LBB95_3094
; %bb.3084:
	s_cmp_lt_i32 s14, 6
	s_cbranch_scc1 .LBB95_3087
; %bb.3085:
	s_cmp_gt_i32 s14, 6
	s_cbranch_scc0 .LBB95_3088
; %bb.3086:
	s_wait_loadcnt 0x0
	global_load_b64 v[30:31], v[32:33], off
	s_mov_b32 s16, 0
	s_wait_loadcnt 0x0
	v_cvt_i32_f64_e32 v30, v[30:31]
	s_branch .LBB95_3089
.LBB95_3087:
	s_mov_b32 s16, -1
                                        ; implicit-def: $vgpr30
	s_branch .LBB95_3092
.LBB95_3088:
	s_mov_b32 s16, -1
                                        ; implicit-def: $vgpr30
.LBB95_3089:
	s_delay_alu instid0(SALU_CYCLE_1)
	s_and_not1_b32 vcc_lo, exec_lo, s16
	s_cbranch_vccnz .LBB95_3091
; %bb.3090:
	global_load_b32 v1, v[32:33], off
	s_wait_loadcnt 0x0
	v_cvt_i32_f32_e32 v30, v1
.LBB95_3091:
	s_mov_b32 s16, 0
.LBB95_3092:
	s_delay_alu instid0(SALU_CYCLE_1)
	s_and_not1_b32 vcc_lo, exec_lo, s16
	s_cbranch_vccnz .LBB95_3094
; %bb.3093:
	global_load_u16 v1, v[32:33], off
	s_wait_loadcnt 0x0
	v_cvt_i16_f16_e32 v30, v1
.LBB95_3094:
	s_mov_b32 s16, 0
.LBB95_3095:
	s_delay_alu instid0(SALU_CYCLE_1)
	s_and_not1_b32 vcc_lo, exec_lo, s16
	s_cbranch_vccnz .LBB95_3115
; %bb.3096:
	s_cmp_lt_i32 s14, 2
	s_cbranch_scc1 .LBB95_3100
; %bb.3097:
	s_cmp_lt_i32 s14, 3
	s_cbranch_scc1 .LBB95_3101
; %bb.3098:
	s_cmp_gt_i32 s14, 3
	s_cbranch_scc0 .LBB95_3102
; %bb.3099:
	s_wait_loadcnt 0x0
	global_load_b64 v[30:31], v[32:33], off
	s_mov_b32 s16, 0
	s_branch .LBB95_3103
.LBB95_3100:
	s_mov_b32 s16, -1
                                        ; implicit-def: $vgpr30
	s_branch .LBB95_3109
.LBB95_3101:
	s_mov_b32 s16, -1
                                        ; implicit-def: $vgpr30
	s_branch .LBB95_3106
.LBB95_3102:
	s_mov_b32 s16, -1
                                        ; implicit-def: $vgpr30
.LBB95_3103:
	s_delay_alu instid0(SALU_CYCLE_1)
	s_and_not1_b32 vcc_lo, exec_lo, s16
	s_cbranch_vccnz .LBB95_3105
; %bb.3104:
	s_wait_loadcnt 0x0
	global_load_b32 v30, v[32:33], off
.LBB95_3105:
	s_mov_b32 s16, 0
.LBB95_3106:
	s_delay_alu instid0(SALU_CYCLE_1)
	s_and_not1_b32 vcc_lo, exec_lo, s16
	s_cbranch_vccnz .LBB95_3108
; %bb.3107:
	s_wait_loadcnt 0x0
	global_load_u16 v30, v[32:33], off
.LBB95_3108:
	s_mov_b32 s16, 0
.LBB95_3109:
	s_delay_alu instid0(SALU_CYCLE_1)
	s_and_not1_b32 vcc_lo, exec_lo, s16
	s_cbranch_vccnz .LBB95_3115
; %bb.3110:
	s_cmp_gt_i32 s14, 0
	s_mov_b32 s16, 0
	s_cbranch_scc0 .LBB95_3112
; %bb.3111:
	s_wait_loadcnt 0x0
	global_load_i8 v30, v[32:33], off
	s_branch .LBB95_3113
.LBB95_3112:
	s_mov_b32 s16, -1
                                        ; implicit-def: $vgpr30
.LBB95_3113:
	s_delay_alu instid0(SALU_CYCLE_1)
	s_and_not1_b32 vcc_lo, exec_lo, s16
	s_cbranch_vccnz .LBB95_3115
; %bb.3114:
	s_wait_loadcnt 0x0
	global_load_u8 v30, v[32:33], off
.LBB95_3115:
	s_mov_b32 s18, -1
.LBB95_3116:
	s_delay_alu instid0(SALU_CYCLE_1)
	s_and_not1_b32 vcc_lo, exec_lo, s18
	s_cbranch_vccnz .LBB95_4058
; %bb.3117:
	v_mov_b32_e32 v25, 0
	s_cmp_lt_i32 s15, 11
	s_wait_xcnt 0x0
	s_delay_alu instid0(VALU_DEP_1)
	v_add_nc_u64_e32 v[32:33], s[8:9], v[24:25]
	s_cbranch_scc1 .LBB95_3124
; %bb.3118:
	s_cmp_gt_i32 s15, 25
	s_mov_b32 s17, 0
	s_cbranch_scc0 .LBB95_3125
; %bb.3119:
	s_cmp_gt_i32 s15, 28
	s_cbranch_scc0 .LBB95_3126
; %bb.3120:
	s_cmp_gt_i32 s15, 43
	;; [unrolled: 3-line block ×3, first 2 shown]
	s_cbranch_scc0 .LBB95_3129
; %bb.3122:
	s_cmp_eq_u32 s15, 46
	s_mov_b32 s19, 0
	s_cbranch_scc0 .LBB95_3130
; %bb.3123:
	global_load_b32 v1, v[32:33], off
	s_mov_b32 s16, 0
	s_mov_b32 s18, -1
	s_wait_loadcnt 0x0
	v_lshlrev_b32_e32 v1, 16, v1
	s_delay_alu instid0(VALU_DEP_1)
	v_cvt_i32_f32_e32 v24, v1
	s_branch .LBB95_3132
.LBB95_3124:
	s_mov_b32 s16, -1
	s_mov_b32 s18, 0
                                        ; implicit-def: $vgpr24
	s_branch .LBB95_3194
.LBB95_3125:
	s_mov_b32 s19, -1
	s_mov_b32 s18, 0
	s_mov_b32 s16, 0
                                        ; implicit-def: $vgpr24
	s_branch .LBB95_3159
.LBB95_3126:
	s_mov_b32 s19, -1
	s_mov_b32 s18, 0
	s_mov_b32 s16, 0
                                        ; implicit-def: $vgpr24
	s_branch .LBB95_3142
.LBB95_3127:
	s_mov_b32 s19, -1
	s_mov_b32 s18, 0
	s_mov_b32 s16, 0
                                        ; implicit-def: $vgpr24
	s_branch .LBB95_3137
.LBB95_3128:
	s_or_b32 s12, s12, exec_lo
	s_trap 2
	s_cbranch_execz .LBB95_3065
	s_branch .LBB95_3066
.LBB95_3129:
	s_mov_b32 s19, -1
	s_mov_b32 s18, 0
	s_mov_b32 s16, 0
	s_branch .LBB95_3131
.LBB95_3130:
	s_mov_b32 s16, -1
	s_mov_b32 s18, 0
.LBB95_3131:
                                        ; implicit-def: $vgpr24
.LBB95_3132:
	s_and_b32 vcc_lo, exec_lo, s19
	s_cbranch_vccz .LBB95_3136
; %bb.3133:
	s_cmp_eq_u32 s15, 44
	s_cbranch_scc0 .LBB95_3135
; %bb.3134:
	global_load_u8 v1, v[32:33], off
	s_mov_b32 s16, 0
	s_mov_b32 s18, -1
	s_wait_loadcnt 0x0
	v_lshlrev_b32_e32 v3, 23, v1
	v_cmp_ne_u32_e32 vcc_lo, 0, v1
	s_delay_alu instid0(VALU_DEP_2) | instskip(NEXT) | instid1(VALU_DEP_1)
	v_cvt_i32_f32_e32 v3, v3
	v_cndmask_b32_e32 v24, 0, v3, vcc_lo
	s_branch .LBB95_3136
.LBB95_3135:
	s_mov_b32 s16, -1
                                        ; implicit-def: $vgpr24
.LBB95_3136:
	s_mov_b32 s19, 0
.LBB95_3137:
	s_delay_alu instid0(SALU_CYCLE_1)
	s_and_b32 vcc_lo, exec_lo, s19
	s_cbranch_vccz .LBB95_3141
; %bb.3138:
	s_cmp_eq_u32 s15, 29
	s_cbranch_scc0 .LBB95_3140
; %bb.3139:
	global_load_b64 v[24:25], v[32:33], off
	s_mov_b32 s16, 0
	s_mov_b32 s18, -1
	s_branch .LBB95_3141
.LBB95_3140:
	s_mov_b32 s16, -1
                                        ; implicit-def: $vgpr24
.LBB95_3141:
	s_mov_b32 s19, 0
.LBB95_3142:
	s_delay_alu instid0(SALU_CYCLE_1)
	s_and_b32 vcc_lo, exec_lo, s19
	s_cbranch_vccz .LBB95_3158
; %bb.3143:
	s_cmp_lt_i32 s15, 27
	s_cbranch_scc1 .LBB95_3146
; %bb.3144:
	s_cmp_gt_i32 s15, 27
	s_cbranch_scc0 .LBB95_3147
; %bb.3145:
	s_wait_loadcnt 0x0
	global_load_b32 v24, v[32:33], off
	s_mov_b32 s18, 0
	s_branch .LBB95_3148
.LBB95_3146:
	s_mov_b32 s18, -1
                                        ; implicit-def: $vgpr24
	s_branch .LBB95_3151
.LBB95_3147:
	s_mov_b32 s18, -1
                                        ; implicit-def: $vgpr24
.LBB95_3148:
	s_delay_alu instid0(SALU_CYCLE_1)
	s_and_not1_b32 vcc_lo, exec_lo, s18
	s_cbranch_vccnz .LBB95_3150
; %bb.3149:
	s_wait_loadcnt 0x0
	global_load_u16 v24, v[32:33], off
.LBB95_3150:
	s_mov_b32 s18, 0
.LBB95_3151:
	s_delay_alu instid0(SALU_CYCLE_1)
	s_and_not1_b32 vcc_lo, exec_lo, s18
	s_cbranch_vccnz .LBB95_3157
; %bb.3152:
	global_load_u8 v1, v[32:33], off
	s_mov_b32 s19, 0
	s_mov_b32 s18, exec_lo
	s_wait_loadcnt 0x0
	v_cmpx_lt_i16_e32 0x7f, v1
	s_xor_b32 s18, exec_lo, s18
	s_cbranch_execz .LBB95_3169
; %bb.3153:
	v_cmp_ne_u16_e32 vcc_lo, 0x80, v1
	s_and_b32 s19, vcc_lo, exec_lo
	s_and_not1_saveexec_b32 s18, s18
	s_cbranch_execnz .LBB95_3170
.LBB95_3154:
	s_or_b32 exec_lo, exec_lo, s18
	v_mov_b32_e32 v24, 0
	s_and_saveexec_b32 s18, s19
	s_cbranch_execz .LBB95_3156
.LBB95_3155:
	v_and_b32_e32 v3, 0xffff, v1
	s_delay_alu instid0(VALU_DEP_1) | instskip(SKIP_1) | instid1(VALU_DEP_2)
	v_dual_lshlrev_b32 v1, 24, v1 :: v_dual_bitop2_b32 v5, 7, v3 bitop3:0x40
	v_bfe_u32 v11, v3, 3, 4
	v_and_b32_e32 v1, 0x80000000, v1
	s_delay_alu instid0(VALU_DEP_3) | instskip(NEXT) | instid1(VALU_DEP_3)
	v_clz_i32_u32_e32 v7, v5
	v_cmp_eq_u32_e32 vcc_lo, 0, v11
	s_delay_alu instid0(VALU_DEP_2) | instskip(NEXT) | instid1(VALU_DEP_1)
	v_min_u32_e32 v7, 32, v7
	v_subrev_nc_u32_e32 v9, 28, v7
	v_sub_nc_u32_e32 v7, 29, v7
	s_delay_alu instid0(VALU_DEP_2) | instskip(NEXT) | instid1(VALU_DEP_2)
	v_lshlrev_b32_e32 v3, v9, v3
	v_cndmask_b32_e32 v7, v11, v7, vcc_lo
	s_delay_alu instid0(VALU_DEP_2) | instskip(NEXT) | instid1(VALU_DEP_1)
	v_and_b32_e32 v3, 7, v3
	v_cndmask_b32_e32 v3, v5, v3, vcc_lo
	s_delay_alu instid0(VALU_DEP_3) | instskip(NEXT) | instid1(VALU_DEP_2)
	v_lshl_add_u32 v5, v7, 23, 0x3b800000
	v_lshlrev_b32_e32 v3, 20, v3
	s_delay_alu instid0(VALU_DEP_1) | instskip(NEXT) | instid1(VALU_DEP_1)
	v_or3_b32 v1, v1, v5, v3
	v_cvt_i32_f32_e32 v24, v1
.LBB95_3156:
	s_or_b32 exec_lo, exec_lo, s18
.LBB95_3157:
	s_mov_b32 s18, -1
.LBB95_3158:
	s_mov_b32 s19, 0
.LBB95_3159:
	s_delay_alu instid0(SALU_CYCLE_1)
	s_and_b32 vcc_lo, exec_lo, s19
	s_cbranch_vccz .LBB95_3190
; %bb.3160:
	s_cmp_gt_i32 s15, 22
	s_cbranch_scc0 .LBB95_3168
; %bb.3161:
	s_cmp_lt_i32 s15, 24
	s_cbranch_scc1 .LBB95_3171
; %bb.3162:
	s_cmp_gt_i32 s15, 24
	s_cbranch_scc0 .LBB95_3172
; %bb.3163:
	global_load_u8 v1, v[32:33], off
	s_mov_b32 s18, 0
	s_mov_b32 s17, exec_lo
	s_wait_loadcnt 0x0
	v_cmpx_lt_i16_e32 0x7f, v1
	s_xor_b32 s17, exec_lo, s17
	s_cbranch_execz .LBB95_3184
; %bb.3164:
	v_cmp_ne_u16_e32 vcc_lo, 0x80, v1
	s_and_b32 s18, vcc_lo, exec_lo
	s_and_not1_saveexec_b32 s17, s17
	s_cbranch_execnz .LBB95_3185
.LBB95_3165:
	s_or_b32 exec_lo, exec_lo, s17
	v_mov_b32_e32 v24, 0
	s_and_saveexec_b32 s17, s18
	s_cbranch_execz .LBB95_3167
.LBB95_3166:
	v_and_b32_e32 v3, 0xffff, v1
	s_delay_alu instid0(VALU_DEP_1) | instskip(SKIP_1) | instid1(VALU_DEP_2)
	v_dual_lshlrev_b32 v1, 24, v1 :: v_dual_bitop2_b32 v5, 3, v3 bitop3:0x40
	v_bfe_u32 v11, v3, 2, 5
	v_and_b32_e32 v1, 0x80000000, v1
	s_delay_alu instid0(VALU_DEP_3) | instskip(NEXT) | instid1(VALU_DEP_3)
	v_clz_i32_u32_e32 v7, v5
	v_cmp_eq_u32_e32 vcc_lo, 0, v11
	s_delay_alu instid0(VALU_DEP_2) | instskip(NEXT) | instid1(VALU_DEP_1)
	v_min_u32_e32 v7, 32, v7
	v_subrev_nc_u32_e32 v9, 29, v7
	v_sub_nc_u32_e32 v7, 30, v7
	s_delay_alu instid0(VALU_DEP_2) | instskip(NEXT) | instid1(VALU_DEP_2)
	v_lshlrev_b32_e32 v3, v9, v3
	v_cndmask_b32_e32 v7, v11, v7, vcc_lo
	s_delay_alu instid0(VALU_DEP_2) | instskip(NEXT) | instid1(VALU_DEP_1)
	v_and_b32_e32 v3, 3, v3
	v_cndmask_b32_e32 v3, v5, v3, vcc_lo
	s_delay_alu instid0(VALU_DEP_3) | instskip(NEXT) | instid1(VALU_DEP_2)
	v_lshl_add_u32 v5, v7, 23, 0x37800000
	v_lshlrev_b32_e32 v3, 21, v3
	s_delay_alu instid0(VALU_DEP_1) | instskip(NEXT) | instid1(VALU_DEP_1)
	v_or3_b32 v1, v1, v5, v3
	v_cvt_i32_f32_e32 v24, v1
.LBB95_3167:
	s_or_b32 exec_lo, exec_lo, s17
	s_mov_b32 s17, 0
	s_branch .LBB95_3173
.LBB95_3168:
	s_mov_b32 s17, -1
                                        ; implicit-def: $vgpr24
	s_branch .LBB95_3179
.LBB95_3169:
	s_and_not1_saveexec_b32 s18, s18
	s_cbranch_execz .LBB95_3154
.LBB95_3170:
	v_cmp_ne_u16_e32 vcc_lo, 0, v1
	s_and_not1_b32 s19, s19, exec_lo
	s_and_b32 s20, vcc_lo, exec_lo
	s_delay_alu instid0(SALU_CYCLE_1)
	s_or_b32 s19, s19, s20
	s_or_b32 exec_lo, exec_lo, s18
	v_mov_b32_e32 v24, 0
	s_and_saveexec_b32 s18, s19
	s_cbranch_execnz .LBB95_3155
	s_branch .LBB95_3156
.LBB95_3171:
	s_mov_b32 s17, -1
                                        ; implicit-def: $vgpr24
	s_branch .LBB95_3176
.LBB95_3172:
	s_mov_b32 s17, -1
                                        ; implicit-def: $vgpr24
.LBB95_3173:
	s_delay_alu instid0(SALU_CYCLE_1)
	s_and_b32 vcc_lo, exec_lo, s17
	s_cbranch_vccz .LBB95_3175
; %bb.3174:
	global_load_u8 v1, v[32:33], off
	s_wait_loadcnt 0x0
	v_lshlrev_b32_e32 v1, 24, v1
	s_delay_alu instid0(VALU_DEP_1) | instskip(NEXT) | instid1(VALU_DEP_1)
	v_and_b32_e32 v3, 0x7f000000, v1
	v_clz_i32_u32_e32 v5, v3
	v_add_nc_u32_e32 v9, 0x1000000, v3
	v_cmp_ne_u32_e32 vcc_lo, 0, v3
	s_delay_alu instid0(VALU_DEP_3) | instskip(NEXT) | instid1(VALU_DEP_1)
	v_min_u32_e32 v5, 32, v5
	v_sub_nc_u32_e64 v5, v5, 4 clamp
	s_delay_alu instid0(VALU_DEP_1) | instskip(NEXT) | instid1(VALU_DEP_1)
	v_dual_lshlrev_b32 v7, v5, v3 :: v_dual_lshlrev_b32 v5, 23, v5
	v_lshrrev_b32_e32 v7, 4, v7
	s_delay_alu instid0(VALU_DEP_1) | instskip(SKIP_1) | instid1(VALU_DEP_2)
	v_sub_nc_u32_e32 v5, v7, v5
	v_ashrrev_i32_e32 v7, 8, v9
	v_add_nc_u32_e32 v5, 0x3c000000, v5
	s_delay_alu instid0(VALU_DEP_1) | instskip(NEXT) | instid1(VALU_DEP_1)
	v_and_or_b32 v5, 0x7f800000, v7, v5
	v_cndmask_b32_e32 v3, 0, v5, vcc_lo
	s_delay_alu instid0(VALU_DEP_1) | instskip(NEXT) | instid1(VALU_DEP_1)
	v_and_or_b32 v1, 0x80000000, v1, v3
	v_cvt_i32_f32_e32 v24, v1
.LBB95_3175:
	s_mov_b32 s17, 0
.LBB95_3176:
	s_delay_alu instid0(SALU_CYCLE_1)
	s_and_not1_b32 vcc_lo, exec_lo, s17
	s_cbranch_vccnz .LBB95_3178
; %bb.3177:
	global_load_u8 v1, v[32:33], off
	s_wait_loadcnt 0x0
	v_lshlrev_b32_e32 v3, 25, v1
	v_lshlrev_b16 v1, 8, v1
	s_delay_alu instid0(VALU_DEP_1) | instskip(SKIP_1) | instid1(VALU_DEP_2)
	v_and_or_b32 v7, 0x7f00, v1, 0.5
	v_bfe_i32 v1, v1, 0, 16
	v_add_f32_e32 v7, -0.5, v7
	v_lshrrev_b32_e32 v5, 4, v3
	v_cmp_gt_u32_e32 vcc_lo, 0x8000000, v3
	s_delay_alu instid0(VALU_DEP_2) | instskip(NEXT) | instid1(VALU_DEP_1)
	v_or_b32_e32 v5, 0x70000000, v5
	v_mul_f32_e32 v5, 0x7800000, v5
	s_delay_alu instid0(VALU_DEP_1) | instskip(NEXT) | instid1(VALU_DEP_1)
	v_cndmask_b32_e32 v3, v5, v7, vcc_lo
	v_and_or_b32 v1, 0x80000000, v1, v3
	s_delay_alu instid0(VALU_DEP_1)
	v_cvt_i32_f32_e32 v24, v1
.LBB95_3178:
	s_mov_b32 s17, 0
	s_mov_b32 s18, -1
.LBB95_3179:
	s_and_not1_b32 vcc_lo, exec_lo, s17
	s_mov_b32 s17, 0
	s_cbranch_vccnz .LBB95_3190
; %bb.3180:
	s_cmp_gt_i32 s15, 14
	s_cbranch_scc0 .LBB95_3183
; %bb.3181:
	s_cmp_eq_u32 s15, 15
	s_cbranch_scc0 .LBB95_3186
; %bb.3182:
	global_load_u16 v1, v[32:33], off
	s_mov_b32 s16, 0
	s_mov_b32 s18, -1
	s_wait_loadcnt 0x0
	v_lshlrev_b32_e32 v1, 16, v1
	s_delay_alu instid0(VALU_DEP_1)
	v_cvt_i32_f32_e32 v24, v1
	s_branch .LBB95_3188
.LBB95_3183:
	s_mov_b32 s17, -1
	s_branch .LBB95_3187
.LBB95_3184:
	s_and_not1_saveexec_b32 s17, s17
	s_cbranch_execz .LBB95_3165
.LBB95_3185:
	v_cmp_ne_u16_e32 vcc_lo, 0, v1
	s_and_not1_b32 s18, s18, exec_lo
	s_and_b32 s19, vcc_lo, exec_lo
	s_delay_alu instid0(SALU_CYCLE_1)
	s_or_b32 s18, s18, s19
	s_or_b32 exec_lo, exec_lo, s17
	v_mov_b32_e32 v24, 0
	s_and_saveexec_b32 s17, s18
	s_cbranch_execnz .LBB95_3166
	s_branch .LBB95_3167
.LBB95_3186:
	s_mov_b32 s16, -1
.LBB95_3187:
                                        ; implicit-def: $vgpr24
.LBB95_3188:
	s_and_b32 vcc_lo, exec_lo, s17
	s_mov_b32 s17, 0
	s_cbranch_vccz .LBB95_3190
; %bb.3189:
	s_cmp_lg_u32 s15, 11
	s_mov_b32 s17, -1
	s_cselect_b32 s16, -1, 0
.LBB95_3190:
	s_delay_alu instid0(SALU_CYCLE_1)
	s_and_b32 vcc_lo, exec_lo, s16
	s_cbranch_vccnz .LBB95_3255
; %bb.3191:
	s_and_not1_b32 vcc_lo, exec_lo, s17
	s_cbranch_vccnz .LBB95_3193
.LBB95_3192:
	global_load_u8 v1, v[32:33], off
	s_mov_b32 s18, -1
	s_wait_loadcnt 0x0
	v_cmp_ne_u16_e32 vcc_lo, 0, v1
	v_cndmask_b32_e64 v24, 0, 1, vcc_lo
.LBB95_3193:
	s_mov_b32 s16, 0
.LBB95_3194:
	s_delay_alu instid0(SALU_CYCLE_1)
	s_and_b32 vcc_lo, exec_lo, s16
	s_cbranch_vccz .LBB95_3243
; %bb.3195:
	s_cmp_lt_i32 s15, 5
	s_cbranch_scc1 .LBB95_3200
; %bb.3196:
	s_cmp_lt_i32 s15, 8
	s_cbranch_scc1 .LBB95_3201
	;; [unrolled: 3-line block ×3, first 2 shown]
; %bb.3198:
	s_cmp_gt_i32 s15, 9
	s_cbranch_scc0 .LBB95_3203
; %bb.3199:
	s_wait_loadcnt 0x0
	global_load_b64 v[24:25], v[32:33], off
	s_mov_b32 s16, 0
	s_wait_loadcnt 0x0
	v_cvt_i32_f64_e32 v24, v[24:25]
	s_branch .LBB95_3204
.LBB95_3200:
	s_mov_b32 s16, -1
                                        ; implicit-def: $vgpr24
	s_branch .LBB95_3222
.LBB95_3201:
	s_mov_b32 s16, -1
                                        ; implicit-def: $vgpr24
	s_branch .LBB95_3210
.LBB95_3202:
	s_mov_b32 s16, -1
                                        ; implicit-def: $vgpr24
	s_branch .LBB95_3207
.LBB95_3203:
	s_mov_b32 s16, -1
                                        ; implicit-def: $vgpr24
.LBB95_3204:
	s_delay_alu instid0(SALU_CYCLE_1)
	s_and_not1_b32 vcc_lo, exec_lo, s16
	s_cbranch_vccnz .LBB95_3206
; %bb.3205:
	global_load_b32 v1, v[32:33], off
	s_wait_loadcnt 0x0
	v_cvt_i32_f32_e32 v24, v1
.LBB95_3206:
	s_mov_b32 s16, 0
.LBB95_3207:
	s_delay_alu instid0(SALU_CYCLE_1)
	s_and_not1_b32 vcc_lo, exec_lo, s16
	s_cbranch_vccnz .LBB95_3209
; %bb.3208:
	global_load_b32 v1, v[32:33], off
	s_wait_loadcnt 0x0
	v_cvt_i16_f16_e32 v24, v1
.LBB95_3209:
	s_mov_b32 s16, 0
.LBB95_3210:
	s_delay_alu instid0(SALU_CYCLE_1)
	s_and_not1_b32 vcc_lo, exec_lo, s16
	s_cbranch_vccnz .LBB95_3221
; %bb.3211:
	s_cmp_lt_i32 s15, 6
	s_cbranch_scc1 .LBB95_3214
; %bb.3212:
	s_cmp_gt_i32 s15, 6
	s_cbranch_scc0 .LBB95_3215
; %bb.3213:
	s_wait_loadcnt 0x0
	global_load_b64 v[24:25], v[32:33], off
	s_mov_b32 s16, 0
	s_wait_loadcnt 0x0
	v_cvt_i32_f64_e32 v24, v[24:25]
	s_branch .LBB95_3216
.LBB95_3214:
	s_mov_b32 s16, -1
                                        ; implicit-def: $vgpr24
	s_branch .LBB95_3219
.LBB95_3215:
	s_mov_b32 s16, -1
                                        ; implicit-def: $vgpr24
.LBB95_3216:
	s_delay_alu instid0(SALU_CYCLE_1)
	s_and_not1_b32 vcc_lo, exec_lo, s16
	s_cbranch_vccnz .LBB95_3218
; %bb.3217:
	global_load_b32 v1, v[32:33], off
	s_wait_loadcnt 0x0
	v_cvt_i32_f32_e32 v24, v1
.LBB95_3218:
	s_mov_b32 s16, 0
.LBB95_3219:
	s_delay_alu instid0(SALU_CYCLE_1)
	s_and_not1_b32 vcc_lo, exec_lo, s16
	s_cbranch_vccnz .LBB95_3221
; %bb.3220:
	global_load_u16 v1, v[32:33], off
	s_wait_loadcnt 0x0
	v_cvt_i16_f16_e32 v24, v1
.LBB95_3221:
	s_mov_b32 s16, 0
.LBB95_3222:
	s_delay_alu instid0(SALU_CYCLE_1)
	s_and_not1_b32 vcc_lo, exec_lo, s16
	s_cbranch_vccnz .LBB95_3242
; %bb.3223:
	s_cmp_lt_i32 s15, 2
	s_cbranch_scc1 .LBB95_3227
; %bb.3224:
	s_cmp_lt_i32 s15, 3
	s_cbranch_scc1 .LBB95_3228
; %bb.3225:
	s_cmp_gt_i32 s15, 3
	s_cbranch_scc0 .LBB95_3229
; %bb.3226:
	s_wait_loadcnt 0x0
	global_load_b64 v[24:25], v[32:33], off
	s_mov_b32 s16, 0
	s_branch .LBB95_3230
.LBB95_3227:
	s_mov_b32 s16, -1
                                        ; implicit-def: $vgpr24
	s_branch .LBB95_3236
.LBB95_3228:
	s_mov_b32 s16, -1
                                        ; implicit-def: $vgpr24
	s_branch .LBB95_3233
.LBB95_3229:
	s_mov_b32 s16, -1
                                        ; implicit-def: $vgpr24
.LBB95_3230:
	s_delay_alu instid0(SALU_CYCLE_1)
	s_and_not1_b32 vcc_lo, exec_lo, s16
	s_cbranch_vccnz .LBB95_3232
; %bb.3231:
	s_wait_loadcnt 0x0
	global_load_b32 v24, v[32:33], off
.LBB95_3232:
	s_mov_b32 s16, 0
.LBB95_3233:
	s_delay_alu instid0(SALU_CYCLE_1)
	s_and_not1_b32 vcc_lo, exec_lo, s16
	s_cbranch_vccnz .LBB95_3235
; %bb.3234:
	s_wait_loadcnt 0x0
	global_load_u16 v24, v[32:33], off
.LBB95_3235:
	s_mov_b32 s16, 0
.LBB95_3236:
	s_delay_alu instid0(SALU_CYCLE_1)
	s_and_not1_b32 vcc_lo, exec_lo, s16
	s_cbranch_vccnz .LBB95_3242
; %bb.3237:
	s_cmp_gt_i32 s15, 0
	s_mov_b32 s16, 0
	s_cbranch_scc0 .LBB95_3239
; %bb.3238:
	s_wait_loadcnt 0x0
	global_load_i8 v24, v[32:33], off
	s_branch .LBB95_3240
.LBB95_3239:
	s_mov_b32 s16, -1
                                        ; implicit-def: $vgpr24
.LBB95_3240:
	s_delay_alu instid0(SALU_CYCLE_1)
	s_and_not1_b32 vcc_lo, exec_lo, s16
	s_cbranch_vccnz .LBB95_3242
; %bb.3241:
	s_wait_loadcnt 0x0
	global_load_u8 v24, v[32:33], off
.LBB95_3242:
	s_mov_b32 s18, -1
.LBB95_3243:
	s_delay_alu instid0(SALU_CYCLE_1)
	s_and_not1_b32 vcc_lo, exec_lo, s18
	s_cbranch_vccnz .LBB95_4058
; %bb.3244:
	v_mov_b32_e32 v21, 0
	s_cmp_lt_i32 s13, 11
	s_wait_xcnt 0x0
	s_delay_alu instid0(VALU_DEP_1)
	v_add_nc_u64_e32 v[32:33], s[6:7], v[20:21]
	s_cbranch_scc1 .LBB95_3251
; %bb.3245:
	s_cmp_gt_i32 s13, 25
	s_mov_b32 s7, 0
	s_cbranch_scc0 .LBB95_3252
; %bb.3246:
	s_cmp_gt_i32 s13, 28
	s_cbranch_scc0 .LBB95_3253
; %bb.3247:
	s_cmp_gt_i32 s13, 43
	;; [unrolled: 3-line block ×3, first 2 shown]
	s_cbranch_scc0 .LBB95_3256
; %bb.3249:
	s_cmp_eq_u32 s13, 46
	s_mov_b32 s17, 0
	s_cbranch_scc0 .LBB95_3257
; %bb.3250:
	global_load_b32 v1, v[32:33], off
	s_mov_b32 s6, 0
	s_mov_b32 s16, -1
	s_wait_loadcnt 0x0
	v_lshlrev_b32_e32 v1, 16, v1
	s_delay_alu instid0(VALU_DEP_1)
	v_cvt_i32_f32_e32 v20, v1
	s_branch .LBB95_3259
.LBB95_3251:
	s_mov_b32 s6, -1
	s_mov_b32 s16, 0
                                        ; implicit-def: $vgpr20
	s_branch .LBB95_3321
.LBB95_3252:
	s_mov_b32 s17, -1
	s_mov_b32 s16, 0
	s_mov_b32 s6, 0
                                        ; implicit-def: $vgpr20
	s_branch .LBB95_3286
.LBB95_3253:
	s_mov_b32 s17, -1
	s_mov_b32 s16, 0
	s_mov_b32 s6, 0
                                        ; implicit-def: $vgpr20
	s_branch .LBB95_3269
.LBB95_3254:
	s_mov_b32 s17, -1
	s_mov_b32 s16, 0
	s_mov_b32 s6, 0
                                        ; implicit-def: $vgpr20
	s_branch .LBB95_3264
.LBB95_3255:
	s_or_b32 s12, s12, exec_lo
	s_trap 2
	s_cbranch_execz .LBB95_3192
	s_branch .LBB95_3193
.LBB95_3256:
	s_mov_b32 s17, -1
	s_mov_b32 s16, 0
	s_mov_b32 s6, 0
	s_branch .LBB95_3258
.LBB95_3257:
	s_mov_b32 s6, -1
	s_mov_b32 s16, 0
.LBB95_3258:
                                        ; implicit-def: $vgpr20
.LBB95_3259:
	s_and_b32 vcc_lo, exec_lo, s17
	s_cbranch_vccz .LBB95_3263
; %bb.3260:
	s_cmp_eq_u32 s13, 44
	s_cbranch_scc0 .LBB95_3262
; %bb.3261:
	global_load_u8 v1, v[32:33], off
	s_mov_b32 s6, 0
	s_mov_b32 s16, -1
	s_wait_loadcnt 0x0
	v_lshlrev_b32_e32 v3, 23, v1
	v_cmp_ne_u32_e32 vcc_lo, 0, v1
	s_delay_alu instid0(VALU_DEP_2) | instskip(NEXT) | instid1(VALU_DEP_1)
	v_cvt_i32_f32_e32 v3, v3
	v_cndmask_b32_e32 v20, 0, v3, vcc_lo
	s_branch .LBB95_3263
.LBB95_3262:
	s_mov_b32 s6, -1
                                        ; implicit-def: $vgpr20
.LBB95_3263:
	s_mov_b32 s17, 0
.LBB95_3264:
	s_delay_alu instid0(SALU_CYCLE_1)
	s_and_b32 vcc_lo, exec_lo, s17
	s_cbranch_vccz .LBB95_3268
; %bb.3265:
	s_cmp_eq_u32 s13, 29
	s_cbranch_scc0 .LBB95_3267
; %bb.3266:
	global_load_b64 v[20:21], v[32:33], off
	s_mov_b32 s6, 0
	s_mov_b32 s16, -1
	s_branch .LBB95_3268
.LBB95_3267:
	s_mov_b32 s6, -1
                                        ; implicit-def: $vgpr20
.LBB95_3268:
	s_mov_b32 s17, 0
.LBB95_3269:
	s_delay_alu instid0(SALU_CYCLE_1)
	s_and_b32 vcc_lo, exec_lo, s17
	s_cbranch_vccz .LBB95_3285
; %bb.3270:
	s_cmp_lt_i32 s13, 27
	s_cbranch_scc1 .LBB95_3273
; %bb.3271:
	s_cmp_gt_i32 s13, 27
	s_cbranch_scc0 .LBB95_3274
; %bb.3272:
	s_wait_loadcnt 0x0
	global_load_b32 v20, v[32:33], off
	s_mov_b32 s16, 0
	s_branch .LBB95_3275
.LBB95_3273:
	s_mov_b32 s16, -1
                                        ; implicit-def: $vgpr20
	s_branch .LBB95_3278
.LBB95_3274:
	s_mov_b32 s16, -1
                                        ; implicit-def: $vgpr20
.LBB95_3275:
	s_delay_alu instid0(SALU_CYCLE_1)
	s_and_not1_b32 vcc_lo, exec_lo, s16
	s_cbranch_vccnz .LBB95_3277
; %bb.3276:
	s_wait_loadcnt 0x0
	global_load_u16 v20, v[32:33], off
.LBB95_3277:
	s_mov_b32 s16, 0
.LBB95_3278:
	s_delay_alu instid0(SALU_CYCLE_1)
	s_and_not1_b32 vcc_lo, exec_lo, s16
	s_cbranch_vccnz .LBB95_3284
; %bb.3279:
	global_load_u8 v1, v[32:33], off
	s_mov_b32 s17, 0
	s_mov_b32 s16, exec_lo
	s_wait_loadcnt 0x0
	v_cmpx_lt_i16_e32 0x7f, v1
	s_xor_b32 s16, exec_lo, s16
	s_cbranch_execz .LBB95_3296
; %bb.3280:
	v_cmp_ne_u16_e32 vcc_lo, 0x80, v1
	s_and_b32 s17, vcc_lo, exec_lo
	s_and_not1_saveexec_b32 s16, s16
	s_cbranch_execnz .LBB95_3297
.LBB95_3281:
	s_or_b32 exec_lo, exec_lo, s16
	v_mov_b32_e32 v20, 0
	s_and_saveexec_b32 s16, s17
	s_cbranch_execz .LBB95_3283
.LBB95_3282:
	v_and_b32_e32 v3, 0xffff, v1
	s_delay_alu instid0(VALU_DEP_1) | instskip(SKIP_1) | instid1(VALU_DEP_2)
	v_dual_lshlrev_b32 v1, 24, v1 :: v_dual_bitop2_b32 v5, 7, v3 bitop3:0x40
	v_bfe_u32 v11, v3, 3, 4
	v_and_b32_e32 v1, 0x80000000, v1
	s_delay_alu instid0(VALU_DEP_3) | instskip(NEXT) | instid1(VALU_DEP_3)
	v_clz_i32_u32_e32 v7, v5
	v_cmp_eq_u32_e32 vcc_lo, 0, v11
	s_delay_alu instid0(VALU_DEP_2) | instskip(NEXT) | instid1(VALU_DEP_1)
	v_min_u32_e32 v7, 32, v7
	v_subrev_nc_u32_e32 v9, 28, v7
	v_sub_nc_u32_e32 v7, 29, v7
	s_delay_alu instid0(VALU_DEP_2) | instskip(NEXT) | instid1(VALU_DEP_2)
	v_lshlrev_b32_e32 v3, v9, v3
	v_cndmask_b32_e32 v7, v11, v7, vcc_lo
	s_delay_alu instid0(VALU_DEP_2) | instskip(NEXT) | instid1(VALU_DEP_1)
	v_and_b32_e32 v3, 7, v3
	v_cndmask_b32_e32 v3, v5, v3, vcc_lo
	s_delay_alu instid0(VALU_DEP_3) | instskip(NEXT) | instid1(VALU_DEP_2)
	v_lshl_add_u32 v5, v7, 23, 0x3b800000
	v_lshlrev_b32_e32 v3, 20, v3
	s_delay_alu instid0(VALU_DEP_1) | instskip(NEXT) | instid1(VALU_DEP_1)
	v_or3_b32 v1, v1, v5, v3
	v_cvt_i32_f32_e32 v20, v1
.LBB95_3283:
	s_or_b32 exec_lo, exec_lo, s16
.LBB95_3284:
	s_mov_b32 s16, -1
.LBB95_3285:
	s_mov_b32 s17, 0
.LBB95_3286:
	s_delay_alu instid0(SALU_CYCLE_1)
	s_and_b32 vcc_lo, exec_lo, s17
	s_cbranch_vccz .LBB95_3317
; %bb.3287:
	s_cmp_gt_i32 s13, 22
	s_cbranch_scc0 .LBB95_3295
; %bb.3288:
	s_cmp_lt_i32 s13, 24
	s_cbranch_scc1 .LBB95_3298
; %bb.3289:
	s_cmp_gt_i32 s13, 24
	s_cbranch_scc0 .LBB95_3299
; %bb.3290:
	global_load_u8 v1, v[32:33], off
	s_mov_b32 s16, 0
	s_mov_b32 s7, exec_lo
	s_wait_loadcnt 0x0
	v_cmpx_lt_i16_e32 0x7f, v1
	s_xor_b32 s7, exec_lo, s7
	s_cbranch_execz .LBB95_3311
; %bb.3291:
	v_cmp_ne_u16_e32 vcc_lo, 0x80, v1
	s_and_b32 s16, vcc_lo, exec_lo
	s_and_not1_saveexec_b32 s7, s7
	s_cbranch_execnz .LBB95_3312
.LBB95_3292:
	s_or_b32 exec_lo, exec_lo, s7
	v_mov_b32_e32 v20, 0
	s_and_saveexec_b32 s7, s16
	s_cbranch_execz .LBB95_3294
.LBB95_3293:
	v_and_b32_e32 v3, 0xffff, v1
	s_delay_alu instid0(VALU_DEP_1) | instskip(SKIP_1) | instid1(VALU_DEP_2)
	v_dual_lshlrev_b32 v1, 24, v1 :: v_dual_bitop2_b32 v5, 3, v3 bitop3:0x40
	v_bfe_u32 v11, v3, 2, 5
	v_and_b32_e32 v1, 0x80000000, v1
	s_delay_alu instid0(VALU_DEP_3) | instskip(NEXT) | instid1(VALU_DEP_3)
	v_clz_i32_u32_e32 v7, v5
	v_cmp_eq_u32_e32 vcc_lo, 0, v11
	s_delay_alu instid0(VALU_DEP_2) | instskip(NEXT) | instid1(VALU_DEP_1)
	v_min_u32_e32 v7, 32, v7
	v_subrev_nc_u32_e32 v9, 29, v7
	v_sub_nc_u32_e32 v7, 30, v7
	s_delay_alu instid0(VALU_DEP_2) | instskip(NEXT) | instid1(VALU_DEP_2)
	v_lshlrev_b32_e32 v3, v9, v3
	v_cndmask_b32_e32 v7, v11, v7, vcc_lo
	s_delay_alu instid0(VALU_DEP_2) | instskip(NEXT) | instid1(VALU_DEP_1)
	v_and_b32_e32 v3, 3, v3
	v_cndmask_b32_e32 v3, v5, v3, vcc_lo
	s_delay_alu instid0(VALU_DEP_3) | instskip(NEXT) | instid1(VALU_DEP_2)
	v_lshl_add_u32 v5, v7, 23, 0x37800000
	v_lshlrev_b32_e32 v3, 21, v3
	s_delay_alu instid0(VALU_DEP_1) | instskip(NEXT) | instid1(VALU_DEP_1)
	v_or3_b32 v1, v1, v5, v3
	v_cvt_i32_f32_e32 v20, v1
.LBB95_3294:
	s_or_b32 exec_lo, exec_lo, s7
	s_mov_b32 s7, 0
	s_branch .LBB95_3300
.LBB95_3295:
	s_mov_b32 s7, -1
                                        ; implicit-def: $vgpr20
	s_branch .LBB95_3306
.LBB95_3296:
	s_and_not1_saveexec_b32 s16, s16
	s_cbranch_execz .LBB95_3281
.LBB95_3297:
	v_cmp_ne_u16_e32 vcc_lo, 0, v1
	s_and_not1_b32 s17, s17, exec_lo
	s_and_b32 s18, vcc_lo, exec_lo
	s_delay_alu instid0(SALU_CYCLE_1)
	s_or_b32 s17, s17, s18
	s_or_b32 exec_lo, exec_lo, s16
	v_mov_b32_e32 v20, 0
	s_and_saveexec_b32 s16, s17
	s_cbranch_execnz .LBB95_3282
	s_branch .LBB95_3283
.LBB95_3298:
	s_mov_b32 s7, -1
                                        ; implicit-def: $vgpr20
	s_branch .LBB95_3303
.LBB95_3299:
	s_mov_b32 s7, -1
                                        ; implicit-def: $vgpr20
.LBB95_3300:
	s_delay_alu instid0(SALU_CYCLE_1)
	s_and_b32 vcc_lo, exec_lo, s7
	s_cbranch_vccz .LBB95_3302
; %bb.3301:
	global_load_u8 v1, v[32:33], off
	s_wait_loadcnt 0x0
	v_lshlrev_b32_e32 v1, 24, v1
	s_delay_alu instid0(VALU_DEP_1) | instskip(NEXT) | instid1(VALU_DEP_1)
	v_and_b32_e32 v3, 0x7f000000, v1
	v_clz_i32_u32_e32 v5, v3
	v_add_nc_u32_e32 v9, 0x1000000, v3
	v_cmp_ne_u32_e32 vcc_lo, 0, v3
	s_delay_alu instid0(VALU_DEP_3) | instskip(NEXT) | instid1(VALU_DEP_1)
	v_min_u32_e32 v5, 32, v5
	v_sub_nc_u32_e64 v5, v5, 4 clamp
	s_delay_alu instid0(VALU_DEP_1) | instskip(NEXT) | instid1(VALU_DEP_1)
	v_dual_lshlrev_b32 v7, v5, v3 :: v_dual_lshlrev_b32 v5, 23, v5
	v_lshrrev_b32_e32 v7, 4, v7
	s_delay_alu instid0(VALU_DEP_1) | instskip(SKIP_1) | instid1(VALU_DEP_2)
	v_sub_nc_u32_e32 v5, v7, v5
	v_ashrrev_i32_e32 v7, 8, v9
	v_add_nc_u32_e32 v5, 0x3c000000, v5
	s_delay_alu instid0(VALU_DEP_1) | instskip(NEXT) | instid1(VALU_DEP_1)
	v_and_or_b32 v5, 0x7f800000, v7, v5
	v_cndmask_b32_e32 v3, 0, v5, vcc_lo
	s_delay_alu instid0(VALU_DEP_1) | instskip(NEXT) | instid1(VALU_DEP_1)
	v_and_or_b32 v1, 0x80000000, v1, v3
	v_cvt_i32_f32_e32 v20, v1
.LBB95_3302:
	s_mov_b32 s7, 0
.LBB95_3303:
	s_delay_alu instid0(SALU_CYCLE_1)
	s_and_not1_b32 vcc_lo, exec_lo, s7
	s_cbranch_vccnz .LBB95_3305
; %bb.3304:
	global_load_u8 v1, v[32:33], off
	s_wait_loadcnt 0x0
	v_lshlrev_b32_e32 v3, 25, v1
	v_lshlrev_b16 v1, 8, v1
	s_delay_alu instid0(VALU_DEP_1) | instskip(SKIP_1) | instid1(VALU_DEP_2)
	v_and_or_b32 v7, 0x7f00, v1, 0.5
	v_bfe_i32 v1, v1, 0, 16
	v_add_f32_e32 v7, -0.5, v7
	v_lshrrev_b32_e32 v5, 4, v3
	v_cmp_gt_u32_e32 vcc_lo, 0x8000000, v3
	s_delay_alu instid0(VALU_DEP_2) | instskip(NEXT) | instid1(VALU_DEP_1)
	v_or_b32_e32 v5, 0x70000000, v5
	v_mul_f32_e32 v5, 0x7800000, v5
	s_delay_alu instid0(VALU_DEP_1) | instskip(NEXT) | instid1(VALU_DEP_1)
	v_cndmask_b32_e32 v3, v5, v7, vcc_lo
	v_and_or_b32 v1, 0x80000000, v1, v3
	s_delay_alu instid0(VALU_DEP_1)
	v_cvt_i32_f32_e32 v20, v1
.LBB95_3305:
	s_mov_b32 s7, 0
	s_mov_b32 s16, -1
.LBB95_3306:
	s_and_not1_b32 vcc_lo, exec_lo, s7
	s_mov_b32 s7, 0
	s_cbranch_vccnz .LBB95_3317
; %bb.3307:
	s_cmp_gt_i32 s13, 14
	s_cbranch_scc0 .LBB95_3310
; %bb.3308:
	s_cmp_eq_u32 s13, 15
	s_cbranch_scc0 .LBB95_3313
; %bb.3309:
	global_load_u16 v1, v[32:33], off
	s_mov_b32 s6, 0
	s_mov_b32 s16, -1
	s_wait_loadcnt 0x0
	v_lshlrev_b32_e32 v1, 16, v1
	s_delay_alu instid0(VALU_DEP_1)
	v_cvt_i32_f32_e32 v20, v1
	s_branch .LBB95_3315
.LBB95_3310:
	s_mov_b32 s7, -1
	s_branch .LBB95_3314
.LBB95_3311:
	s_and_not1_saveexec_b32 s7, s7
	s_cbranch_execz .LBB95_3292
.LBB95_3312:
	v_cmp_ne_u16_e32 vcc_lo, 0, v1
	s_and_not1_b32 s16, s16, exec_lo
	s_and_b32 s17, vcc_lo, exec_lo
	s_delay_alu instid0(SALU_CYCLE_1)
	s_or_b32 s16, s16, s17
	s_or_b32 exec_lo, exec_lo, s7
	v_mov_b32_e32 v20, 0
	s_and_saveexec_b32 s7, s16
	s_cbranch_execnz .LBB95_3293
	s_branch .LBB95_3294
.LBB95_3313:
	s_mov_b32 s6, -1
.LBB95_3314:
                                        ; implicit-def: $vgpr20
.LBB95_3315:
	s_and_b32 vcc_lo, exec_lo, s7
	s_mov_b32 s7, 0
	s_cbranch_vccz .LBB95_3317
; %bb.3316:
	s_cmp_lg_u32 s13, 11
	s_mov_b32 s7, -1
	s_cselect_b32 s6, -1, 0
.LBB95_3317:
	s_delay_alu instid0(SALU_CYCLE_1)
	s_and_b32 vcc_lo, exec_lo, s6
	s_cbranch_vccnz .LBB95_3382
; %bb.3318:
	s_and_not1_b32 vcc_lo, exec_lo, s7
	s_cbranch_vccnz .LBB95_3320
.LBB95_3319:
	global_load_u8 v1, v[32:33], off
	s_mov_b32 s16, -1
	s_wait_loadcnt 0x0
	v_cmp_ne_u16_e32 vcc_lo, 0, v1
	v_cndmask_b32_e64 v20, 0, 1, vcc_lo
.LBB95_3320:
	s_mov_b32 s6, 0
.LBB95_3321:
	s_delay_alu instid0(SALU_CYCLE_1)
	s_and_b32 vcc_lo, exec_lo, s6
	s_cbranch_vccz .LBB95_3370
; %bb.3322:
	s_cmp_lt_i32 s13, 5
	s_cbranch_scc1 .LBB95_3327
; %bb.3323:
	s_cmp_lt_i32 s13, 8
	s_cbranch_scc1 .LBB95_3328
	;; [unrolled: 3-line block ×3, first 2 shown]
; %bb.3325:
	s_cmp_gt_i32 s13, 9
	s_cbranch_scc0 .LBB95_3330
; %bb.3326:
	s_wait_loadcnt 0x0
	global_load_b64 v[20:21], v[32:33], off
	s_mov_b32 s6, 0
	s_wait_loadcnt 0x0
	v_cvt_i32_f64_e32 v20, v[20:21]
	s_branch .LBB95_3331
.LBB95_3327:
	s_mov_b32 s6, -1
                                        ; implicit-def: $vgpr20
	s_branch .LBB95_3349
.LBB95_3328:
	s_mov_b32 s6, -1
                                        ; implicit-def: $vgpr20
	s_branch .LBB95_3337
.LBB95_3329:
	s_mov_b32 s6, -1
                                        ; implicit-def: $vgpr20
	s_branch .LBB95_3334
.LBB95_3330:
	s_mov_b32 s6, -1
                                        ; implicit-def: $vgpr20
.LBB95_3331:
	s_delay_alu instid0(SALU_CYCLE_1)
	s_and_not1_b32 vcc_lo, exec_lo, s6
	s_cbranch_vccnz .LBB95_3333
; %bb.3332:
	global_load_b32 v1, v[32:33], off
	s_wait_loadcnt 0x0
	v_cvt_i32_f32_e32 v20, v1
.LBB95_3333:
	s_mov_b32 s6, 0
.LBB95_3334:
	s_delay_alu instid0(SALU_CYCLE_1)
	s_and_not1_b32 vcc_lo, exec_lo, s6
	s_cbranch_vccnz .LBB95_3336
; %bb.3335:
	global_load_b32 v1, v[32:33], off
	s_wait_loadcnt 0x0
	v_cvt_i16_f16_e32 v20, v1
.LBB95_3336:
	s_mov_b32 s6, 0
.LBB95_3337:
	s_delay_alu instid0(SALU_CYCLE_1)
	s_and_not1_b32 vcc_lo, exec_lo, s6
	s_cbranch_vccnz .LBB95_3348
; %bb.3338:
	s_cmp_lt_i32 s13, 6
	s_cbranch_scc1 .LBB95_3341
; %bb.3339:
	s_cmp_gt_i32 s13, 6
	s_cbranch_scc0 .LBB95_3342
; %bb.3340:
	s_wait_loadcnt 0x0
	global_load_b64 v[20:21], v[32:33], off
	s_mov_b32 s6, 0
	s_wait_loadcnt 0x0
	v_cvt_i32_f64_e32 v20, v[20:21]
	s_branch .LBB95_3343
.LBB95_3341:
	s_mov_b32 s6, -1
                                        ; implicit-def: $vgpr20
	s_branch .LBB95_3346
.LBB95_3342:
	s_mov_b32 s6, -1
                                        ; implicit-def: $vgpr20
.LBB95_3343:
	s_delay_alu instid0(SALU_CYCLE_1)
	s_and_not1_b32 vcc_lo, exec_lo, s6
	s_cbranch_vccnz .LBB95_3345
; %bb.3344:
	global_load_b32 v1, v[32:33], off
	s_wait_loadcnt 0x0
	v_cvt_i32_f32_e32 v20, v1
.LBB95_3345:
	s_mov_b32 s6, 0
.LBB95_3346:
	s_delay_alu instid0(SALU_CYCLE_1)
	s_and_not1_b32 vcc_lo, exec_lo, s6
	s_cbranch_vccnz .LBB95_3348
; %bb.3347:
	global_load_u16 v1, v[32:33], off
	s_wait_loadcnt 0x0
	v_cvt_i16_f16_e32 v20, v1
.LBB95_3348:
	s_mov_b32 s6, 0
.LBB95_3349:
	s_delay_alu instid0(SALU_CYCLE_1)
	s_and_not1_b32 vcc_lo, exec_lo, s6
	s_cbranch_vccnz .LBB95_3369
; %bb.3350:
	s_cmp_lt_i32 s13, 2
	s_cbranch_scc1 .LBB95_3354
; %bb.3351:
	s_cmp_lt_i32 s13, 3
	s_cbranch_scc1 .LBB95_3355
; %bb.3352:
	s_cmp_gt_i32 s13, 3
	s_cbranch_scc0 .LBB95_3356
; %bb.3353:
	s_wait_loadcnt 0x0
	global_load_b64 v[20:21], v[32:33], off
	s_mov_b32 s6, 0
	s_branch .LBB95_3357
.LBB95_3354:
	s_mov_b32 s6, -1
                                        ; implicit-def: $vgpr20
	s_branch .LBB95_3363
.LBB95_3355:
	s_mov_b32 s6, -1
                                        ; implicit-def: $vgpr20
	s_branch .LBB95_3360
.LBB95_3356:
	s_mov_b32 s6, -1
                                        ; implicit-def: $vgpr20
.LBB95_3357:
	s_delay_alu instid0(SALU_CYCLE_1)
	s_and_not1_b32 vcc_lo, exec_lo, s6
	s_cbranch_vccnz .LBB95_3359
; %bb.3358:
	s_wait_loadcnt 0x0
	global_load_b32 v20, v[32:33], off
.LBB95_3359:
	s_mov_b32 s6, 0
.LBB95_3360:
	s_delay_alu instid0(SALU_CYCLE_1)
	s_and_not1_b32 vcc_lo, exec_lo, s6
	s_cbranch_vccnz .LBB95_3362
; %bb.3361:
	s_wait_loadcnt 0x0
	global_load_u16 v20, v[32:33], off
.LBB95_3362:
	s_mov_b32 s6, 0
.LBB95_3363:
	s_delay_alu instid0(SALU_CYCLE_1)
	s_and_not1_b32 vcc_lo, exec_lo, s6
	s_cbranch_vccnz .LBB95_3369
; %bb.3364:
	s_cmp_gt_i32 s13, 0
	s_mov_b32 s6, 0
	s_cbranch_scc0 .LBB95_3366
; %bb.3365:
	s_wait_loadcnt 0x0
	global_load_i8 v20, v[32:33], off
	s_branch .LBB95_3367
.LBB95_3366:
	s_mov_b32 s6, -1
                                        ; implicit-def: $vgpr20
.LBB95_3367:
	s_delay_alu instid0(SALU_CYCLE_1)
	s_and_not1_b32 vcc_lo, exec_lo, s6
	s_cbranch_vccnz .LBB95_3369
; %bb.3368:
	s_wait_loadcnt 0x0
	global_load_u8 v20, v[32:33], off
.LBB95_3369:
	s_mov_b32 s16, -1
.LBB95_3370:
	s_delay_alu instid0(SALU_CYCLE_1)
	s_and_not1_b32 vcc_lo, exec_lo, s16
	s_cbranch_vccnz .LBB95_4058
; %bb.3371:
	v_mov_b32_e32 v15, 0
	s_cmp_lt_i32 s14, 11
	s_wait_xcnt 0x0
	s_delay_alu instid0(VALU_DEP_1)
	v_add_nc_u64_e32 v[32:33], s[0:1], v[14:15]
	s_cbranch_scc1 .LBB95_3378
; %bb.3372:
	s_cmp_gt_i32 s14, 25
	s_mov_b32 s1, 0
	s_cbranch_scc0 .LBB95_3379
; %bb.3373:
	s_cmp_gt_i32 s14, 28
	s_cbranch_scc0 .LBB95_3380
; %bb.3374:
	s_cmp_gt_i32 s14, 43
	;; [unrolled: 3-line block ×3, first 2 shown]
	s_cbranch_scc0 .LBB95_3383
; %bb.3376:
	s_cmp_eq_u32 s14, 46
	s_mov_b32 s7, 0
	s_cbranch_scc0 .LBB95_3384
; %bb.3377:
	global_load_b32 v1, v[32:33], off
	s_mov_b32 s0, 0
	s_mov_b32 s6, -1
	s_wait_loadcnt 0x0
	v_lshlrev_b32_e32 v1, 16, v1
	s_delay_alu instid0(VALU_DEP_1)
	v_cvt_i32_f32_e32 v14, v1
	s_branch .LBB95_3386
.LBB95_3378:
	s_mov_b32 s0, -1
	s_mov_b32 s6, 0
                                        ; implicit-def: $vgpr14
	s_branch .LBB95_3448
.LBB95_3379:
	s_mov_b32 s7, -1
	s_mov_b32 s6, 0
	s_mov_b32 s0, 0
                                        ; implicit-def: $vgpr14
	s_branch .LBB95_3413
.LBB95_3380:
	s_mov_b32 s7, -1
	s_mov_b32 s6, 0
	s_mov_b32 s0, 0
                                        ; implicit-def: $vgpr14
	s_branch .LBB95_3396
.LBB95_3381:
	s_mov_b32 s7, -1
	s_mov_b32 s6, 0
	s_mov_b32 s0, 0
                                        ; implicit-def: $vgpr14
	s_branch .LBB95_3391
.LBB95_3382:
	s_or_b32 s12, s12, exec_lo
	s_trap 2
	s_cbranch_execz .LBB95_3319
	s_branch .LBB95_3320
.LBB95_3383:
	s_mov_b32 s7, -1
	s_mov_b32 s6, 0
	s_mov_b32 s0, 0
	s_branch .LBB95_3385
.LBB95_3384:
	s_mov_b32 s0, -1
	s_mov_b32 s6, 0
.LBB95_3385:
                                        ; implicit-def: $vgpr14
.LBB95_3386:
	s_and_b32 vcc_lo, exec_lo, s7
	s_cbranch_vccz .LBB95_3390
; %bb.3387:
	s_cmp_eq_u32 s14, 44
	s_cbranch_scc0 .LBB95_3389
; %bb.3388:
	global_load_u8 v1, v[32:33], off
	s_mov_b32 s0, 0
	s_mov_b32 s6, -1
	s_wait_loadcnt 0x0
	v_lshlrev_b32_e32 v3, 23, v1
	v_cmp_ne_u32_e32 vcc_lo, 0, v1
	s_delay_alu instid0(VALU_DEP_2) | instskip(NEXT) | instid1(VALU_DEP_1)
	v_cvt_i32_f32_e32 v3, v3
	v_cndmask_b32_e32 v14, 0, v3, vcc_lo
	s_branch .LBB95_3390
.LBB95_3389:
	s_mov_b32 s0, -1
                                        ; implicit-def: $vgpr14
.LBB95_3390:
	s_mov_b32 s7, 0
.LBB95_3391:
	s_delay_alu instid0(SALU_CYCLE_1)
	s_and_b32 vcc_lo, exec_lo, s7
	s_cbranch_vccz .LBB95_3395
; %bb.3392:
	s_cmp_eq_u32 s14, 29
	s_cbranch_scc0 .LBB95_3394
; %bb.3393:
	global_load_b64 v[14:15], v[32:33], off
	s_mov_b32 s0, 0
	s_mov_b32 s6, -1
	s_branch .LBB95_3395
.LBB95_3394:
	s_mov_b32 s0, -1
                                        ; implicit-def: $vgpr14
.LBB95_3395:
	s_mov_b32 s7, 0
.LBB95_3396:
	s_delay_alu instid0(SALU_CYCLE_1)
	s_and_b32 vcc_lo, exec_lo, s7
	s_cbranch_vccz .LBB95_3412
; %bb.3397:
	s_cmp_lt_i32 s14, 27
	s_cbranch_scc1 .LBB95_3400
; %bb.3398:
	s_cmp_gt_i32 s14, 27
	s_cbranch_scc0 .LBB95_3401
; %bb.3399:
	s_wait_loadcnt 0x0
	global_load_b32 v14, v[32:33], off
	s_mov_b32 s6, 0
	s_branch .LBB95_3402
.LBB95_3400:
	s_mov_b32 s6, -1
                                        ; implicit-def: $vgpr14
	s_branch .LBB95_3405
.LBB95_3401:
	s_mov_b32 s6, -1
                                        ; implicit-def: $vgpr14
.LBB95_3402:
	s_delay_alu instid0(SALU_CYCLE_1)
	s_and_not1_b32 vcc_lo, exec_lo, s6
	s_cbranch_vccnz .LBB95_3404
; %bb.3403:
	s_wait_loadcnt 0x0
	global_load_u16 v14, v[32:33], off
.LBB95_3404:
	s_mov_b32 s6, 0
.LBB95_3405:
	s_delay_alu instid0(SALU_CYCLE_1)
	s_and_not1_b32 vcc_lo, exec_lo, s6
	s_cbranch_vccnz .LBB95_3411
; %bb.3406:
	global_load_u8 v1, v[32:33], off
	s_mov_b32 s7, 0
	s_mov_b32 s6, exec_lo
	s_wait_loadcnt 0x0
	v_cmpx_lt_i16_e32 0x7f, v1
	s_xor_b32 s6, exec_lo, s6
	s_cbranch_execz .LBB95_3423
; %bb.3407:
	v_cmp_ne_u16_e32 vcc_lo, 0x80, v1
	s_and_b32 s7, vcc_lo, exec_lo
	s_and_not1_saveexec_b32 s6, s6
	s_cbranch_execnz .LBB95_3424
.LBB95_3408:
	s_or_b32 exec_lo, exec_lo, s6
	v_mov_b32_e32 v14, 0
	s_and_saveexec_b32 s6, s7
	s_cbranch_execz .LBB95_3410
.LBB95_3409:
	v_and_b32_e32 v3, 0xffff, v1
	s_delay_alu instid0(VALU_DEP_1) | instskip(SKIP_1) | instid1(VALU_DEP_2)
	v_dual_lshlrev_b32 v1, 24, v1 :: v_dual_bitop2_b32 v5, 7, v3 bitop3:0x40
	v_bfe_u32 v11, v3, 3, 4
	v_and_b32_e32 v1, 0x80000000, v1
	s_delay_alu instid0(VALU_DEP_3) | instskip(NEXT) | instid1(VALU_DEP_3)
	v_clz_i32_u32_e32 v7, v5
	v_cmp_eq_u32_e32 vcc_lo, 0, v11
	s_delay_alu instid0(VALU_DEP_2) | instskip(NEXT) | instid1(VALU_DEP_1)
	v_min_u32_e32 v7, 32, v7
	v_subrev_nc_u32_e32 v9, 28, v7
	v_sub_nc_u32_e32 v7, 29, v7
	s_delay_alu instid0(VALU_DEP_2) | instskip(NEXT) | instid1(VALU_DEP_2)
	v_lshlrev_b32_e32 v3, v9, v3
	v_cndmask_b32_e32 v7, v11, v7, vcc_lo
	s_delay_alu instid0(VALU_DEP_2) | instskip(NEXT) | instid1(VALU_DEP_1)
	v_and_b32_e32 v3, 7, v3
	v_cndmask_b32_e32 v3, v5, v3, vcc_lo
	s_delay_alu instid0(VALU_DEP_3) | instskip(NEXT) | instid1(VALU_DEP_2)
	v_lshl_add_u32 v5, v7, 23, 0x3b800000
	v_lshlrev_b32_e32 v3, 20, v3
	s_delay_alu instid0(VALU_DEP_1) | instskip(NEXT) | instid1(VALU_DEP_1)
	v_or3_b32 v1, v1, v5, v3
	v_cvt_i32_f32_e32 v14, v1
.LBB95_3410:
	s_or_b32 exec_lo, exec_lo, s6
.LBB95_3411:
	s_mov_b32 s6, -1
.LBB95_3412:
	s_mov_b32 s7, 0
.LBB95_3413:
	s_delay_alu instid0(SALU_CYCLE_1)
	s_and_b32 vcc_lo, exec_lo, s7
	s_cbranch_vccz .LBB95_3444
; %bb.3414:
	s_cmp_gt_i32 s14, 22
	s_cbranch_scc0 .LBB95_3422
; %bb.3415:
	s_cmp_lt_i32 s14, 24
	s_cbranch_scc1 .LBB95_3425
; %bb.3416:
	s_cmp_gt_i32 s14, 24
	s_cbranch_scc0 .LBB95_3426
; %bb.3417:
	global_load_u8 v1, v[32:33], off
	s_mov_b32 s6, 0
	s_mov_b32 s1, exec_lo
	s_wait_loadcnt 0x0
	v_cmpx_lt_i16_e32 0x7f, v1
	s_xor_b32 s1, exec_lo, s1
	s_cbranch_execz .LBB95_3438
; %bb.3418:
	v_cmp_ne_u16_e32 vcc_lo, 0x80, v1
	s_and_b32 s6, vcc_lo, exec_lo
	s_and_not1_saveexec_b32 s1, s1
	s_cbranch_execnz .LBB95_3439
.LBB95_3419:
	s_or_b32 exec_lo, exec_lo, s1
	v_mov_b32_e32 v14, 0
	s_and_saveexec_b32 s1, s6
	s_cbranch_execz .LBB95_3421
.LBB95_3420:
	v_and_b32_e32 v3, 0xffff, v1
	s_delay_alu instid0(VALU_DEP_1) | instskip(SKIP_1) | instid1(VALU_DEP_2)
	v_dual_lshlrev_b32 v1, 24, v1 :: v_dual_bitop2_b32 v5, 3, v3 bitop3:0x40
	v_bfe_u32 v11, v3, 2, 5
	v_and_b32_e32 v1, 0x80000000, v1
	s_delay_alu instid0(VALU_DEP_3) | instskip(NEXT) | instid1(VALU_DEP_3)
	v_clz_i32_u32_e32 v7, v5
	v_cmp_eq_u32_e32 vcc_lo, 0, v11
	s_delay_alu instid0(VALU_DEP_2) | instskip(NEXT) | instid1(VALU_DEP_1)
	v_min_u32_e32 v7, 32, v7
	v_subrev_nc_u32_e32 v9, 29, v7
	v_sub_nc_u32_e32 v7, 30, v7
	s_delay_alu instid0(VALU_DEP_2) | instskip(NEXT) | instid1(VALU_DEP_2)
	v_lshlrev_b32_e32 v3, v9, v3
	v_cndmask_b32_e32 v7, v11, v7, vcc_lo
	s_delay_alu instid0(VALU_DEP_2) | instskip(NEXT) | instid1(VALU_DEP_1)
	v_and_b32_e32 v3, 3, v3
	v_cndmask_b32_e32 v3, v5, v3, vcc_lo
	s_delay_alu instid0(VALU_DEP_3) | instskip(NEXT) | instid1(VALU_DEP_2)
	v_lshl_add_u32 v5, v7, 23, 0x37800000
	v_lshlrev_b32_e32 v3, 21, v3
	s_delay_alu instid0(VALU_DEP_1) | instskip(NEXT) | instid1(VALU_DEP_1)
	v_or3_b32 v1, v1, v5, v3
	v_cvt_i32_f32_e32 v14, v1
.LBB95_3421:
	s_or_b32 exec_lo, exec_lo, s1
	s_mov_b32 s1, 0
	s_branch .LBB95_3427
.LBB95_3422:
	s_mov_b32 s1, -1
                                        ; implicit-def: $vgpr14
	s_branch .LBB95_3433
.LBB95_3423:
	s_and_not1_saveexec_b32 s6, s6
	s_cbranch_execz .LBB95_3408
.LBB95_3424:
	v_cmp_ne_u16_e32 vcc_lo, 0, v1
	s_and_not1_b32 s7, s7, exec_lo
	s_and_b32 s13, vcc_lo, exec_lo
	s_delay_alu instid0(SALU_CYCLE_1)
	s_or_b32 s7, s7, s13
	s_or_b32 exec_lo, exec_lo, s6
	v_mov_b32_e32 v14, 0
	s_and_saveexec_b32 s6, s7
	s_cbranch_execnz .LBB95_3409
	s_branch .LBB95_3410
.LBB95_3425:
	s_mov_b32 s1, -1
                                        ; implicit-def: $vgpr14
	s_branch .LBB95_3430
.LBB95_3426:
	s_mov_b32 s1, -1
                                        ; implicit-def: $vgpr14
.LBB95_3427:
	s_delay_alu instid0(SALU_CYCLE_1)
	s_and_b32 vcc_lo, exec_lo, s1
	s_cbranch_vccz .LBB95_3429
; %bb.3428:
	global_load_u8 v1, v[32:33], off
	s_wait_loadcnt 0x0
	v_lshlrev_b32_e32 v1, 24, v1
	s_delay_alu instid0(VALU_DEP_1) | instskip(NEXT) | instid1(VALU_DEP_1)
	v_and_b32_e32 v3, 0x7f000000, v1
	v_clz_i32_u32_e32 v5, v3
	v_add_nc_u32_e32 v9, 0x1000000, v3
	v_cmp_ne_u32_e32 vcc_lo, 0, v3
	s_delay_alu instid0(VALU_DEP_3) | instskip(NEXT) | instid1(VALU_DEP_1)
	v_min_u32_e32 v5, 32, v5
	v_sub_nc_u32_e64 v5, v5, 4 clamp
	s_delay_alu instid0(VALU_DEP_1) | instskip(NEXT) | instid1(VALU_DEP_1)
	v_dual_lshlrev_b32 v7, v5, v3 :: v_dual_lshlrev_b32 v5, 23, v5
	v_lshrrev_b32_e32 v7, 4, v7
	s_delay_alu instid0(VALU_DEP_1) | instskip(SKIP_1) | instid1(VALU_DEP_2)
	v_sub_nc_u32_e32 v5, v7, v5
	v_ashrrev_i32_e32 v7, 8, v9
	v_add_nc_u32_e32 v5, 0x3c000000, v5
	s_delay_alu instid0(VALU_DEP_1) | instskip(NEXT) | instid1(VALU_DEP_1)
	v_and_or_b32 v5, 0x7f800000, v7, v5
	v_cndmask_b32_e32 v3, 0, v5, vcc_lo
	s_delay_alu instid0(VALU_DEP_1) | instskip(NEXT) | instid1(VALU_DEP_1)
	v_and_or_b32 v1, 0x80000000, v1, v3
	v_cvt_i32_f32_e32 v14, v1
.LBB95_3429:
	s_mov_b32 s1, 0
.LBB95_3430:
	s_delay_alu instid0(SALU_CYCLE_1)
	s_and_not1_b32 vcc_lo, exec_lo, s1
	s_cbranch_vccnz .LBB95_3432
; %bb.3431:
	global_load_u8 v1, v[32:33], off
	s_wait_loadcnt 0x0
	v_lshlrev_b32_e32 v3, 25, v1
	v_lshlrev_b16 v1, 8, v1
	s_delay_alu instid0(VALU_DEP_1) | instskip(SKIP_1) | instid1(VALU_DEP_2)
	v_and_or_b32 v7, 0x7f00, v1, 0.5
	v_bfe_i32 v1, v1, 0, 16
	v_add_f32_e32 v7, -0.5, v7
	v_lshrrev_b32_e32 v5, 4, v3
	v_cmp_gt_u32_e32 vcc_lo, 0x8000000, v3
	s_delay_alu instid0(VALU_DEP_2) | instskip(NEXT) | instid1(VALU_DEP_1)
	v_or_b32_e32 v5, 0x70000000, v5
	v_mul_f32_e32 v5, 0x7800000, v5
	s_delay_alu instid0(VALU_DEP_1) | instskip(NEXT) | instid1(VALU_DEP_1)
	v_cndmask_b32_e32 v3, v5, v7, vcc_lo
	v_and_or_b32 v1, 0x80000000, v1, v3
	s_delay_alu instid0(VALU_DEP_1)
	v_cvt_i32_f32_e32 v14, v1
.LBB95_3432:
	s_mov_b32 s1, 0
	s_mov_b32 s6, -1
.LBB95_3433:
	s_and_not1_b32 vcc_lo, exec_lo, s1
	s_mov_b32 s1, 0
	s_cbranch_vccnz .LBB95_3444
; %bb.3434:
	s_cmp_gt_i32 s14, 14
	s_cbranch_scc0 .LBB95_3437
; %bb.3435:
	s_cmp_eq_u32 s14, 15
	s_cbranch_scc0 .LBB95_3440
; %bb.3436:
	global_load_u16 v1, v[32:33], off
	s_mov_b32 s0, 0
	s_mov_b32 s6, -1
	s_wait_loadcnt 0x0
	v_lshlrev_b32_e32 v1, 16, v1
	s_delay_alu instid0(VALU_DEP_1)
	v_cvt_i32_f32_e32 v14, v1
	s_branch .LBB95_3442
.LBB95_3437:
	s_mov_b32 s1, -1
	s_branch .LBB95_3441
.LBB95_3438:
	s_and_not1_saveexec_b32 s1, s1
	s_cbranch_execz .LBB95_3419
.LBB95_3439:
	v_cmp_ne_u16_e32 vcc_lo, 0, v1
	s_and_not1_b32 s6, s6, exec_lo
	s_and_b32 s7, vcc_lo, exec_lo
	s_delay_alu instid0(SALU_CYCLE_1)
	s_or_b32 s6, s6, s7
	s_or_b32 exec_lo, exec_lo, s1
	v_mov_b32_e32 v14, 0
	s_and_saveexec_b32 s1, s6
	s_cbranch_execnz .LBB95_3420
	s_branch .LBB95_3421
.LBB95_3440:
	s_mov_b32 s0, -1
.LBB95_3441:
                                        ; implicit-def: $vgpr14
.LBB95_3442:
	s_and_b32 vcc_lo, exec_lo, s1
	s_mov_b32 s1, 0
	s_cbranch_vccz .LBB95_3444
; %bb.3443:
	s_cmp_lg_u32 s14, 11
	s_mov_b32 s1, -1
	s_cselect_b32 s0, -1, 0
.LBB95_3444:
	s_delay_alu instid0(SALU_CYCLE_1)
	s_and_b32 vcc_lo, exec_lo, s0
	s_cbranch_vccnz .LBB95_3509
; %bb.3445:
	s_and_not1_b32 vcc_lo, exec_lo, s1
	s_cbranch_vccnz .LBB95_3447
.LBB95_3446:
	global_load_u8 v1, v[32:33], off
	s_mov_b32 s6, -1
	s_wait_loadcnt 0x0
	v_cmp_ne_u16_e32 vcc_lo, 0, v1
	v_cndmask_b32_e64 v14, 0, 1, vcc_lo
.LBB95_3447:
	s_mov_b32 s0, 0
.LBB95_3448:
	s_delay_alu instid0(SALU_CYCLE_1)
	s_and_b32 vcc_lo, exec_lo, s0
	s_cbranch_vccz .LBB95_3497
; %bb.3449:
	s_cmp_lt_i32 s14, 5
	s_cbranch_scc1 .LBB95_3454
; %bb.3450:
	s_cmp_lt_i32 s14, 8
	s_cbranch_scc1 .LBB95_3455
	;; [unrolled: 3-line block ×3, first 2 shown]
; %bb.3452:
	s_cmp_gt_i32 s14, 9
	s_cbranch_scc0 .LBB95_3457
; %bb.3453:
	s_wait_loadcnt 0x0
	global_load_b64 v[14:15], v[32:33], off
	s_mov_b32 s0, 0
	s_wait_loadcnt 0x0
	v_cvt_i32_f64_e32 v14, v[14:15]
	s_branch .LBB95_3458
.LBB95_3454:
	s_mov_b32 s0, -1
                                        ; implicit-def: $vgpr14
	s_branch .LBB95_3476
.LBB95_3455:
	s_mov_b32 s0, -1
                                        ; implicit-def: $vgpr14
	s_branch .LBB95_3464
.LBB95_3456:
	s_mov_b32 s0, -1
                                        ; implicit-def: $vgpr14
	s_branch .LBB95_3461
.LBB95_3457:
	s_mov_b32 s0, -1
                                        ; implicit-def: $vgpr14
.LBB95_3458:
	s_delay_alu instid0(SALU_CYCLE_1)
	s_and_not1_b32 vcc_lo, exec_lo, s0
	s_cbranch_vccnz .LBB95_3460
; %bb.3459:
	global_load_b32 v1, v[32:33], off
	s_wait_loadcnt 0x0
	v_cvt_i32_f32_e32 v14, v1
.LBB95_3460:
	s_mov_b32 s0, 0
.LBB95_3461:
	s_delay_alu instid0(SALU_CYCLE_1)
	s_and_not1_b32 vcc_lo, exec_lo, s0
	s_cbranch_vccnz .LBB95_3463
; %bb.3462:
	global_load_b32 v1, v[32:33], off
	s_wait_loadcnt 0x0
	v_cvt_i16_f16_e32 v14, v1
.LBB95_3463:
	s_mov_b32 s0, 0
.LBB95_3464:
	s_delay_alu instid0(SALU_CYCLE_1)
	s_and_not1_b32 vcc_lo, exec_lo, s0
	s_cbranch_vccnz .LBB95_3475
; %bb.3465:
	s_cmp_lt_i32 s14, 6
	s_cbranch_scc1 .LBB95_3468
; %bb.3466:
	s_cmp_gt_i32 s14, 6
	s_cbranch_scc0 .LBB95_3469
; %bb.3467:
	s_wait_loadcnt 0x0
	global_load_b64 v[14:15], v[32:33], off
	s_mov_b32 s0, 0
	s_wait_loadcnt 0x0
	v_cvt_i32_f64_e32 v14, v[14:15]
	s_branch .LBB95_3470
.LBB95_3468:
	s_mov_b32 s0, -1
                                        ; implicit-def: $vgpr14
	s_branch .LBB95_3473
.LBB95_3469:
	s_mov_b32 s0, -1
                                        ; implicit-def: $vgpr14
.LBB95_3470:
	s_delay_alu instid0(SALU_CYCLE_1)
	s_and_not1_b32 vcc_lo, exec_lo, s0
	s_cbranch_vccnz .LBB95_3472
; %bb.3471:
	global_load_b32 v1, v[32:33], off
	s_wait_loadcnt 0x0
	v_cvt_i32_f32_e32 v14, v1
.LBB95_3472:
	s_mov_b32 s0, 0
.LBB95_3473:
	s_delay_alu instid0(SALU_CYCLE_1)
	s_and_not1_b32 vcc_lo, exec_lo, s0
	s_cbranch_vccnz .LBB95_3475
; %bb.3474:
	global_load_u16 v1, v[32:33], off
	s_wait_loadcnt 0x0
	v_cvt_i16_f16_e32 v14, v1
.LBB95_3475:
	s_mov_b32 s0, 0
.LBB95_3476:
	s_delay_alu instid0(SALU_CYCLE_1)
	s_and_not1_b32 vcc_lo, exec_lo, s0
	s_cbranch_vccnz .LBB95_3496
; %bb.3477:
	s_cmp_lt_i32 s14, 2
	s_cbranch_scc1 .LBB95_3481
; %bb.3478:
	s_cmp_lt_i32 s14, 3
	s_cbranch_scc1 .LBB95_3482
; %bb.3479:
	s_cmp_gt_i32 s14, 3
	s_cbranch_scc0 .LBB95_3483
; %bb.3480:
	s_wait_loadcnt 0x0
	global_load_b64 v[14:15], v[32:33], off
	s_mov_b32 s0, 0
	s_branch .LBB95_3484
.LBB95_3481:
	s_mov_b32 s0, -1
                                        ; implicit-def: $vgpr14
	s_branch .LBB95_3490
.LBB95_3482:
	s_mov_b32 s0, -1
                                        ; implicit-def: $vgpr14
	s_branch .LBB95_3487
.LBB95_3483:
	s_mov_b32 s0, -1
                                        ; implicit-def: $vgpr14
.LBB95_3484:
	s_delay_alu instid0(SALU_CYCLE_1)
	s_and_not1_b32 vcc_lo, exec_lo, s0
	s_cbranch_vccnz .LBB95_3486
; %bb.3485:
	s_wait_loadcnt 0x0
	global_load_b32 v14, v[32:33], off
.LBB95_3486:
	s_mov_b32 s0, 0
.LBB95_3487:
	s_delay_alu instid0(SALU_CYCLE_1)
	s_and_not1_b32 vcc_lo, exec_lo, s0
	s_cbranch_vccnz .LBB95_3489
; %bb.3488:
	s_wait_loadcnt 0x0
	global_load_u16 v14, v[32:33], off
.LBB95_3489:
	s_mov_b32 s0, 0
.LBB95_3490:
	s_delay_alu instid0(SALU_CYCLE_1)
	s_and_not1_b32 vcc_lo, exec_lo, s0
	s_cbranch_vccnz .LBB95_3496
; %bb.3491:
	s_cmp_gt_i32 s14, 0
	s_mov_b32 s0, 0
	s_cbranch_scc0 .LBB95_3493
; %bb.3492:
	s_wait_loadcnt 0x0
	global_load_i8 v14, v[32:33], off
	s_branch .LBB95_3494
.LBB95_3493:
	s_mov_b32 s0, -1
                                        ; implicit-def: $vgpr14
.LBB95_3494:
	s_delay_alu instid0(SALU_CYCLE_1)
	s_and_not1_b32 vcc_lo, exec_lo, s0
	s_cbranch_vccnz .LBB95_3496
; %bb.3495:
	s_wait_loadcnt 0x0
	global_load_u8 v14, v[32:33], off
.LBB95_3496:
	s_mov_b32 s6, -1
.LBB95_3497:
	s_delay_alu instid0(SALU_CYCLE_1)
	s_and_not1_b32 vcc_lo, exec_lo, s6
	s_cbranch_vccnz .LBB95_4058
; %bb.3498:
	v_mov_b32_e32 v11, 0
	s_cmp_lt_i32 s15, 11
	s_wait_xcnt 0x0
	s_delay_alu instid0(VALU_DEP_1)
	v_add_nc_u64_e32 v[32:33], s[8:9], v[10:11]
	s_cbranch_scc1 .LBB95_3505
; %bb.3499:
	s_cmp_gt_i32 s15, 25
	s_mov_b32 s1, 0
	s_cbranch_scc0 .LBB95_3506
; %bb.3500:
	s_cmp_gt_i32 s15, 28
	s_cbranch_scc0 .LBB95_3507
; %bb.3501:
	s_cmp_gt_i32 s15, 43
	;; [unrolled: 3-line block ×3, first 2 shown]
	s_cbranch_scc0 .LBB95_3510
; %bb.3503:
	s_cmp_eq_u32 s15, 46
	s_mov_b32 s7, 0
	s_cbranch_scc0 .LBB95_3511
; %bb.3504:
	global_load_b32 v1, v[32:33], off
	s_mov_b32 s0, 0
	s_mov_b32 s6, -1
	s_wait_loadcnt 0x0
	v_lshlrev_b32_e32 v1, 16, v1
	s_delay_alu instid0(VALU_DEP_1)
	v_cvt_i32_f32_e32 v10, v1
	s_branch .LBB95_3513
.LBB95_3505:
	s_mov_b32 s0, -1
	s_mov_b32 s6, 0
                                        ; implicit-def: $vgpr10
	s_branch .LBB95_3575
.LBB95_3506:
	s_mov_b32 s7, -1
	s_mov_b32 s6, 0
	s_mov_b32 s0, 0
                                        ; implicit-def: $vgpr10
	s_branch .LBB95_3540
.LBB95_3507:
	s_mov_b32 s7, -1
	s_mov_b32 s6, 0
	s_mov_b32 s0, 0
                                        ; implicit-def: $vgpr10
	s_branch .LBB95_3523
.LBB95_3508:
	s_mov_b32 s7, -1
	s_mov_b32 s6, 0
	s_mov_b32 s0, 0
                                        ; implicit-def: $vgpr10
	s_branch .LBB95_3518
.LBB95_3509:
	s_or_b32 s12, s12, exec_lo
	s_trap 2
	s_cbranch_execz .LBB95_3446
	s_branch .LBB95_3447
.LBB95_3510:
	s_mov_b32 s7, -1
	s_mov_b32 s6, 0
	s_mov_b32 s0, 0
	s_branch .LBB95_3512
.LBB95_3511:
	s_mov_b32 s0, -1
	s_mov_b32 s6, 0
.LBB95_3512:
                                        ; implicit-def: $vgpr10
.LBB95_3513:
	s_and_b32 vcc_lo, exec_lo, s7
	s_cbranch_vccz .LBB95_3517
; %bb.3514:
	s_cmp_eq_u32 s15, 44
	s_cbranch_scc0 .LBB95_3516
; %bb.3515:
	global_load_u8 v1, v[32:33], off
	s_mov_b32 s0, 0
	s_mov_b32 s6, -1
	s_wait_loadcnt 0x0
	v_lshlrev_b32_e32 v3, 23, v1
	v_cmp_ne_u32_e32 vcc_lo, 0, v1
	s_delay_alu instid0(VALU_DEP_2) | instskip(NEXT) | instid1(VALU_DEP_1)
	v_cvt_i32_f32_e32 v3, v3
	v_cndmask_b32_e32 v10, 0, v3, vcc_lo
	s_branch .LBB95_3517
.LBB95_3516:
	s_mov_b32 s0, -1
                                        ; implicit-def: $vgpr10
.LBB95_3517:
	s_mov_b32 s7, 0
.LBB95_3518:
	s_delay_alu instid0(SALU_CYCLE_1)
	s_and_b32 vcc_lo, exec_lo, s7
	s_cbranch_vccz .LBB95_3522
; %bb.3519:
	s_cmp_eq_u32 s15, 29
	s_cbranch_scc0 .LBB95_3521
; %bb.3520:
	global_load_b64 v[10:11], v[32:33], off
	s_mov_b32 s0, 0
	s_mov_b32 s6, -1
	s_branch .LBB95_3522
.LBB95_3521:
	s_mov_b32 s0, -1
                                        ; implicit-def: $vgpr10
.LBB95_3522:
	s_mov_b32 s7, 0
.LBB95_3523:
	s_delay_alu instid0(SALU_CYCLE_1)
	s_and_b32 vcc_lo, exec_lo, s7
	s_cbranch_vccz .LBB95_3539
; %bb.3524:
	s_cmp_lt_i32 s15, 27
	s_cbranch_scc1 .LBB95_3527
; %bb.3525:
	s_cmp_gt_i32 s15, 27
	s_cbranch_scc0 .LBB95_3528
; %bb.3526:
	s_wait_loadcnt 0x0
	global_load_b32 v10, v[32:33], off
	s_mov_b32 s6, 0
	s_branch .LBB95_3529
.LBB95_3527:
	s_mov_b32 s6, -1
                                        ; implicit-def: $vgpr10
	s_branch .LBB95_3532
.LBB95_3528:
	s_mov_b32 s6, -1
                                        ; implicit-def: $vgpr10
.LBB95_3529:
	s_delay_alu instid0(SALU_CYCLE_1)
	s_and_not1_b32 vcc_lo, exec_lo, s6
	s_cbranch_vccnz .LBB95_3531
; %bb.3530:
	s_wait_loadcnt 0x0
	global_load_u16 v10, v[32:33], off
.LBB95_3531:
	s_mov_b32 s6, 0
.LBB95_3532:
	s_delay_alu instid0(SALU_CYCLE_1)
	s_and_not1_b32 vcc_lo, exec_lo, s6
	s_cbranch_vccnz .LBB95_3538
; %bb.3533:
	global_load_u8 v1, v[32:33], off
	s_mov_b32 s7, 0
	s_mov_b32 s6, exec_lo
	s_wait_loadcnt 0x0
	v_cmpx_lt_i16_e32 0x7f, v1
	s_xor_b32 s6, exec_lo, s6
	s_cbranch_execz .LBB95_3550
; %bb.3534:
	v_cmp_ne_u16_e32 vcc_lo, 0x80, v1
	s_and_b32 s7, vcc_lo, exec_lo
	s_and_not1_saveexec_b32 s6, s6
	s_cbranch_execnz .LBB95_3551
.LBB95_3535:
	s_or_b32 exec_lo, exec_lo, s6
	v_mov_b32_e32 v10, 0
	s_and_saveexec_b32 s6, s7
	s_cbranch_execz .LBB95_3537
.LBB95_3536:
	v_and_b32_e32 v3, 0xffff, v1
	s_delay_alu instid0(VALU_DEP_1) | instskip(SKIP_1) | instid1(VALU_DEP_2)
	v_dual_lshlrev_b32 v1, 24, v1 :: v_dual_bitop2_b32 v5, 7, v3 bitop3:0x40
	v_bfe_u32 v10, v3, 3, 4
	v_and_b32_e32 v1, 0x80000000, v1
	s_delay_alu instid0(VALU_DEP_3) | instskip(NEXT) | instid1(VALU_DEP_3)
	v_clz_i32_u32_e32 v7, v5
	v_cmp_eq_u32_e32 vcc_lo, 0, v10
	s_delay_alu instid0(VALU_DEP_2) | instskip(NEXT) | instid1(VALU_DEP_1)
	v_min_u32_e32 v7, 32, v7
	v_subrev_nc_u32_e32 v9, 28, v7
	v_sub_nc_u32_e32 v7, 29, v7
	s_delay_alu instid0(VALU_DEP_2) | instskip(NEXT) | instid1(VALU_DEP_2)
	v_lshlrev_b32_e32 v3, v9, v3
	v_cndmask_b32_e32 v7, v10, v7, vcc_lo
	s_delay_alu instid0(VALU_DEP_2) | instskip(NEXT) | instid1(VALU_DEP_1)
	v_and_b32_e32 v3, 7, v3
	v_cndmask_b32_e32 v3, v5, v3, vcc_lo
	s_delay_alu instid0(VALU_DEP_3) | instskip(NEXT) | instid1(VALU_DEP_2)
	v_lshl_add_u32 v5, v7, 23, 0x3b800000
	v_lshlrev_b32_e32 v3, 20, v3
	s_delay_alu instid0(VALU_DEP_1) | instskip(NEXT) | instid1(VALU_DEP_1)
	v_or3_b32 v1, v1, v5, v3
	v_cvt_i32_f32_e32 v10, v1
.LBB95_3537:
	s_or_b32 exec_lo, exec_lo, s6
.LBB95_3538:
	s_mov_b32 s6, -1
.LBB95_3539:
	s_mov_b32 s7, 0
.LBB95_3540:
	s_delay_alu instid0(SALU_CYCLE_1)
	s_and_b32 vcc_lo, exec_lo, s7
	s_cbranch_vccz .LBB95_3571
; %bb.3541:
	s_cmp_gt_i32 s15, 22
	s_cbranch_scc0 .LBB95_3549
; %bb.3542:
	s_cmp_lt_i32 s15, 24
	s_cbranch_scc1 .LBB95_3552
; %bb.3543:
	s_cmp_gt_i32 s15, 24
	s_cbranch_scc0 .LBB95_3553
; %bb.3544:
	global_load_u8 v1, v[32:33], off
	s_mov_b32 s6, 0
	s_mov_b32 s1, exec_lo
	s_wait_loadcnt 0x0
	v_cmpx_lt_i16_e32 0x7f, v1
	s_xor_b32 s1, exec_lo, s1
	s_cbranch_execz .LBB95_3565
; %bb.3545:
	v_cmp_ne_u16_e32 vcc_lo, 0x80, v1
	s_and_b32 s6, vcc_lo, exec_lo
	s_and_not1_saveexec_b32 s1, s1
	s_cbranch_execnz .LBB95_3566
.LBB95_3546:
	s_or_b32 exec_lo, exec_lo, s1
	v_mov_b32_e32 v10, 0
	s_and_saveexec_b32 s1, s6
	s_cbranch_execz .LBB95_3548
.LBB95_3547:
	v_and_b32_e32 v3, 0xffff, v1
	s_delay_alu instid0(VALU_DEP_1) | instskip(SKIP_1) | instid1(VALU_DEP_2)
	v_dual_lshlrev_b32 v1, 24, v1 :: v_dual_bitop2_b32 v5, 3, v3 bitop3:0x40
	v_bfe_u32 v10, v3, 2, 5
	v_and_b32_e32 v1, 0x80000000, v1
	s_delay_alu instid0(VALU_DEP_3) | instskip(NEXT) | instid1(VALU_DEP_3)
	v_clz_i32_u32_e32 v7, v5
	v_cmp_eq_u32_e32 vcc_lo, 0, v10
	s_delay_alu instid0(VALU_DEP_2) | instskip(NEXT) | instid1(VALU_DEP_1)
	v_min_u32_e32 v7, 32, v7
	v_subrev_nc_u32_e32 v9, 29, v7
	v_sub_nc_u32_e32 v7, 30, v7
	s_delay_alu instid0(VALU_DEP_2) | instskip(NEXT) | instid1(VALU_DEP_2)
	v_lshlrev_b32_e32 v3, v9, v3
	v_cndmask_b32_e32 v7, v10, v7, vcc_lo
	s_delay_alu instid0(VALU_DEP_2) | instskip(NEXT) | instid1(VALU_DEP_1)
	v_and_b32_e32 v3, 3, v3
	v_cndmask_b32_e32 v3, v5, v3, vcc_lo
	s_delay_alu instid0(VALU_DEP_3) | instskip(NEXT) | instid1(VALU_DEP_2)
	v_lshl_add_u32 v5, v7, 23, 0x37800000
	v_lshlrev_b32_e32 v3, 21, v3
	s_delay_alu instid0(VALU_DEP_1) | instskip(NEXT) | instid1(VALU_DEP_1)
	v_or3_b32 v1, v1, v5, v3
	v_cvt_i32_f32_e32 v10, v1
.LBB95_3548:
	s_or_b32 exec_lo, exec_lo, s1
	s_mov_b32 s1, 0
	s_branch .LBB95_3554
.LBB95_3549:
	s_mov_b32 s1, -1
                                        ; implicit-def: $vgpr10
	s_branch .LBB95_3560
.LBB95_3550:
	s_and_not1_saveexec_b32 s6, s6
	s_cbranch_execz .LBB95_3535
.LBB95_3551:
	v_cmp_ne_u16_e32 vcc_lo, 0, v1
	s_and_not1_b32 s7, s7, exec_lo
	s_and_b32 s8, vcc_lo, exec_lo
	s_delay_alu instid0(SALU_CYCLE_1)
	s_or_b32 s7, s7, s8
	s_or_b32 exec_lo, exec_lo, s6
	v_mov_b32_e32 v10, 0
	s_and_saveexec_b32 s6, s7
	s_cbranch_execnz .LBB95_3536
	s_branch .LBB95_3537
.LBB95_3552:
	s_mov_b32 s1, -1
                                        ; implicit-def: $vgpr10
	s_branch .LBB95_3557
.LBB95_3553:
	s_mov_b32 s1, -1
                                        ; implicit-def: $vgpr10
.LBB95_3554:
	s_delay_alu instid0(SALU_CYCLE_1)
	s_and_b32 vcc_lo, exec_lo, s1
	s_cbranch_vccz .LBB95_3556
; %bb.3555:
	global_load_u8 v1, v[32:33], off
	s_wait_loadcnt 0x0
	v_lshlrev_b32_e32 v1, 24, v1
	s_delay_alu instid0(VALU_DEP_1) | instskip(NEXT) | instid1(VALU_DEP_1)
	v_and_b32_e32 v3, 0x7f000000, v1
	v_clz_i32_u32_e32 v5, v3
	v_add_nc_u32_e32 v9, 0x1000000, v3
	v_cmp_ne_u32_e32 vcc_lo, 0, v3
	s_delay_alu instid0(VALU_DEP_3) | instskip(NEXT) | instid1(VALU_DEP_1)
	v_min_u32_e32 v5, 32, v5
	v_sub_nc_u32_e64 v5, v5, 4 clamp
	s_delay_alu instid0(VALU_DEP_1) | instskip(NEXT) | instid1(VALU_DEP_1)
	v_dual_lshlrev_b32 v7, v5, v3 :: v_dual_lshlrev_b32 v5, 23, v5
	v_lshrrev_b32_e32 v7, 4, v7
	s_delay_alu instid0(VALU_DEP_1) | instskip(SKIP_1) | instid1(VALU_DEP_2)
	v_sub_nc_u32_e32 v5, v7, v5
	v_ashrrev_i32_e32 v7, 8, v9
	v_add_nc_u32_e32 v5, 0x3c000000, v5
	s_delay_alu instid0(VALU_DEP_1) | instskip(NEXT) | instid1(VALU_DEP_1)
	v_and_or_b32 v5, 0x7f800000, v7, v5
	v_cndmask_b32_e32 v3, 0, v5, vcc_lo
	s_delay_alu instid0(VALU_DEP_1) | instskip(NEXT) | instid1(VALU_DEP_1)
	v_and_or_b32 v1, 0x80000000, v1, v3
	v_cvt_i32_f32_e32 v10, v1
.LBB95_3556:
	s_mov_b32 s1, 0
.LBB95_3557:
	s_delay_alu instid0(SALU_CYCLE_1)
	s_and_not1_b32 vcc_lo, exec_lo, s1
	s_cbranch_vccnz .LBB95_3559
; %bb.3558:
	global_load_u8 v1, v[32:33], off
	s_wait_loadcnt 0x0
	v_lshlrev_b32_e32 v3, 25, v1
	v_lshlrev_b16 v1, 8, v1
	s_delay_alu instid0(VALU_DEP_1) | instskip(SKIP_1) | instid1(VALU_DEP_2)
	v_and_or_b32 v7, 0x7f00, v1, 0.5
	v_bfe_i32 v1, v1, 0, 16
	v_add_f32_e32 v7, -0.5, v7
	v_lshrrev_b32_e32 v5, 4, v3
	v_cmp_gt_u32_e32 vcc_lo, 0x8000000, v3
	s_delay_alu instid0(VALU_DEP_2) | instskip(NEXT) | instid1(VALU_DEP_1)
	v_or_b32_e32 v5, 0x70000000, v5
	v_mul_f32_e32 v5, 0x7800000, v5
	s_delay_alu instid0(VALU_DEP_1) | instskip(NEXT) | instid1(VALU_DEP_1)
	v_cndmask_b32_e32 v3, v5, v7, vcc_lo
	v_and_or_b32 v1, 0x80000000, v1, v3
	s_delay_alu instid0(VALU_DEP_1)
	v_cvt_i32_f32_e32 v10, v1
.LBB95_3559:
	s_mov_b32 s1, 0
	s_mov_b32 s6, -1
.LBB95_3560:
	s_and_not1_b32 vcc_lo, exec_lo, s1
	s_mov_b32 s1, 0
	s_cbranch_vccnz .LBB95_3571
; %bb.3561:
	s_cmp_gt_i32 s15, 14
	s_cbranch_scc0 .LBB95_3564
; %bb.3562:
	s_cmp_eq_u32 s15, 15
	s_cbranch_scc0 .LBB95_3567
; %bb.3563:
	global_load_u16 v1, v[32:33], off
	s_mov_b32 s0, 0
	s_mov_b32 s6, -1
	s_wait_loadcnt 0x0
	v_lshlrev_b32_e32 v1, 16, v1
	s_delay_alu instid0(VALU_DEP_1)
	v_cvt_i32_f32_e32 v10, v1
	s_branch .LBB95_3569
.LBB95_3564:
	s_mov_b32 s1, -1
	s_branch .LBB95_3568
.LBB95_3565:
	s_and_not1_saveexec_b32 s1, s1
	s_cbranch_execz .LBB95_3546
.LBB95_3566:
	v_cmp_ne_u16_e32 vcc_lo, 0, v1
	s_and_not1_b32 s6, s6, exec_lo
	s_and_b32 s7, vcc_lo, exec_lo
	s_delay_alu instid0(SALU_CYCLE_1)
	s_or_b32 s6, s6, s7
	s_or_b32 exec_lo, exec_lo, s1
	v_mov_b32_e32 v10, 0
	s_and_saveexec_b32 s1, s6
	s_cbranch_execnz .LBB95_3547
	s_branch .LBB95_3548
.LBB95_3567:
	s_mov_b32 s0, -1
.LBB95_3568:
                                        ; implicit-def: $vgpr10
.LBB95_3569:
	s_and_b32 vcc_lo, exec_lo, s1
	s_mov_b32 s1, 0
	s_cbranch_vccz .LBB95_3571
; %bb.3570:
	s_cmp_lg_u32 s15, 11
	s_mov_b32 s1, -1
	s_cselect_b32 s0, -1, 0
.LBB95_3571:
	s_delay_alu instid0(SALU_CYCLE_1)
	s_and_b32 vcc_lo, exec_lo, s0
	s_cbranch_vccnz .LBB95_4104
; %bb.3572:
	s_and_not1_b32 vcc_lo, exec_lo, s1
	s_cbranch_vccnz .LBB95_3574
.LBB95_3573:
	global_load_u8 v1, v[32:33], off
	s_mov_b32 s6, -1
	s_wait_loadcnt 0x0
	v_cmp_ne_u16_e32 vcc_lo, 0, v1
	v_cndmask_b32_e64 v10, 0, 1, vcc_lo
.LBB95_3574:
	s_mov_b32 s0, 0
.LBB95_3575:
	s_delay_alu instid0(SALU_CYCLE_1)
	s_and_b32 vcc_lo, exec_lo, s0
	s_cbranch_vccz .LBB95_3624
; %bb.3576:
	s_cmp_lt_i32 s15, 5
	s_cbranch_scc1 .LBB95_3581
; %bb.3577:
	s_cmp_lt_i32 s15, 8
	s_cbranch_scc1 .LBB95_3582
	;; [unrolled: 3-line block ×3, first 2 shown]
; %bb.3579:
	s_cmp_gt_i32 s15, 9
	s_cbranch_scc0 .LBB95_3584
; %bb.3580:
	s_wait_loadcnt 0x0
	global_load_b64 v[10:11], v[32:33], off
	s_mov_b32 s0, 0
	s_wait_loadcnt 0x0
	v_cvt_i32_f64_e32 v10, v[10:11]
	s_branch .LBB95_3585
.LBB95_3581:
	s_mov_b32 s0, -1
                                        ; implicit-def: $vgpr10
	s_branch .LBB95_3603
.LBB95_3582:
	s_mov_b32 s0, -1
                                        ; implicit-def: $vgpr10
	s_branch .LBB95_3591
.LBB95_3583:
	s_mov_b32 s0, -1
                                        ; implicit-def: $vgpr10
	s_branch .LBB95_3588
.LBB95_3584:
	s_mov_b32 s0, -1
                                        ; implicit-def: $vgpr10
.LBB95_3585:
	s_delay_alu instid0(SALU_CYCLE_1)
	s_and_not1_b32 vcc_lo, exec_lo, s0
	s_cbranch_vccnz .LBB95_3587
; %bb.3586:
	global_load_b32 v1, v[32:33], off
	s_wait_loadcnt 0x0
	v_cvt_i32_f32_e32 v10, v1
.LBB95_3587:
	s_mov_b32 s0, 0
.LBB95_3588:
	s_delay_alu instid0(SALU_CYCLE_1)
	s_and_not1_b32 vcc_lo, exec_lo, s0
	s_cbranch_vccnz .LBB95_3590
; %bb.3589:
	global_load_b32 v1, v[32:33], off
	s_wait_loadcnt 0x0
	v_cvt_i16_f16_e32 v10, v1
.LBB95_3590:
	s_mov_b32 s0, 0
.LBB95_3591:
	s_delay_alu instid0(SALU_CYCLE_1)
	s_and_not1_b32 vcc_lo, exec_lo, s0
	s_cbranch_vccnz .LBB95_3602
; %bb.3592:
	s_cmp_lt_i32 s15, 6
	s_cbranch_scc1 .LBB95_3595
; %bb.3593:
	s_cmp_gt_i32 s15, 6
	s_cbranch_scc0 .LBB95_3596
; %bb.3594:
	s_wait_loadcnt 0x0
	global_load_b64 v[10:11], v[32:33], off
	s_mov_b32 s0, 0
	s_wait_loadcnt 0x0
	v_cvt_i32_f64_e32 v10, v[10:11]
	s_branch .LBB95_3597
.LBB95_3595:
	s_mov_b32 s0, -1
                                        ; implicit-def: $vgpr10
	s_branch .LBB95_3600
.LBB95_3596:
	s_mov_b32 s0, -1
                                        ; implicit-def: $vgpr10
.LBB95_3597:
	s_delay_alu instid0(SALU_CYCLE_1)
	s_and_not1_b32 vcc_lo, exec_lo, s0
	s_cbranch_vccnz .LBB95_3599
; %bb.3598:
	global_load_b32 v1, v[32:33], off
	s_wait_loadcnt 0x0
	v_cvt_i32_f32_e32 v10, v1
.LBB95_3599:
	s_mov_b32 s0, 0
.LBB95_3600:
	s_delay_alu instid0(SALU_CYCLE_1)
	s_and_not1_b32 vcc_lo, exec_lo, s0
	s_cbranch_vccnz .LBB95_3602
; %bb.3601:
	global_load_u16 v1, v[32:33], off
	s_wait_loadcnt 0x0
	v_cvt_i16_f16_e32 v10, v1
.LBB95_3602:
	s_mov_b32 s0, 0
.LBB95_3603:
	s_delay_alu instid0(SALU_CYCLE_1)
	s_and_not1_b32 vcc_lo, exec_lo, s0
	s_cbranch_vccnz .LBB95_3623
; %bb.3604:
	s_cmp_lt_i32 s15, 2
	s_cbranch_scc1 .LBB95_3608
; %bb.3605:
	s_cmp_lt_i32 s15, 3
	s_cbranch_scc1 .LBB95_3609
; %bb.3606:
	s_cmp_gt_i32 s15, 3
	s_cbranch_scc0 .LBB95_3610
; %bb.3607:
	s_wait_loadcnt 0x0
	global_load_b64 v[10:11], v[32:33], off
	s_mov_b32 s0, 0
	s_branch .LBB95_3611
.LBB95_3608:
	s_mov_b32 s0, -1
                                        ; implicit-def: $vgpr10
	s_branch .LBB95_3617
.LBB95_3609:
	s_mov_b32 s0, -1
                                        ; implicit-def: $vgpr10
	s_branch .LBB95_3614
.LBB95_3610:
	s_mov_b32 s0, -1
                                        ; implicit-def: $vgpr10
.LBB95_3611:
	s_delay_alu instid0(SALU_CYCLE_1)
	s_and_not1_b32 vcc_lo, exec_lo, s0
	s_cbranch_vccnz .LBB95_3613
; %bb.3612:
	s_wait_loadcnt 0x0
	global_load_b32 v10, v[32:33], off
.LBB95_3613:
	s_mov_b32 s0, 0
.LBB95_3614:
	s_delay_alu instid0(SALU_CYCLE_1)
	s_and_not1_b32 vcc_lo, exec_lo, s0
	s_cbranch_vccnz .LBB95_3616
; %bb.3615:
	s_wait_loadcnt 0x0
	global_load_u16 v10, v[32:33], off
.LBB95_3616:
	s_mov_b32 s0, 0
.LBB95_3617:
	s_delay_alu instid0(SALU_CYCLE_1)
	s_and_not1_b32 vcc_lo, exec_lo, s0
	s_cbranch_vccnz .LBB95_3623
; %bb.3618:
	s_cmp_gt_i32 s15, 0
	s_mov_b32 s0, 0
	s_cbranch_scc0 .LBB95_3620
; %bb.3619:
	s_wait_loadcnt 0x0
	global_load_i8 v10, v[32:33], off
	s_branch .LBB95_3621
.LBB95_3620:
	s_mov_b32 s0, -1
                                        ; implicit-def: $vgpr10
.LBB95_3621:
	s_delay_alu instid0(SALU_CYCLE_1)
	s_and_not1_b32 vcc_lo, exec_lo, s0
	s_cbranch_vccnz .LBB95_3623
; %bb.3622:
	s_wait_loadcnt 0x0
	global_load_u8 v10, v[32:33], off
.LBB95_3623:
	s_mov_b32 s6, -1
.LBB95_3624:
	s_delay_alu instid0(SALU_CYCLE_1)
	s_and_not1_b32 vcc_lo, exec_lo, s6
	s_cbranch_vccnz .LBB95_4058
; %bb.3625:
	s_load_b64 s[2:3], s[2:3], 0x1e8
	v_mov_b32_e32 v7, 0
	s_delay_alu instid0(VALU_DEP_1)
	v_add_nc_u64_e32 v[6:7], s[4:5], v[6:7]
	s_wait_kmcnt 0x0
	s_lshr_b32 s6, s2, 16
	v_mul_lo_u16 v1, v8, s2
	v_mul_lo_u16 v3, v12, s6
	s_and_b32 s1, s3, 0xff
	s_delay_alu instid0(SALU_CYCLE_1) | instskip(SKIP_1) | instid1(VALU_DEP_1)
	s_cmp_lt_i32 s1, 11
	s_wait_loadcnt 0x0
	v_mad_u16 v1, v3, v18, v1
	s_cbranch_scc1 .LBB95_3703
; %bb.3626:
	s_and_b32 s3, 0xffff, s1
	s_mov_b32 s9, -1
	s_mov_b32 s7, 0
	s_cmp_gt_i32 s3, 25
	s_mov_b32 s8, 0
	s_mov_b32 s0, 0
	s_cbranch_scc0 .LBB95_3659
; %bb.3627:
	s_cmp_gt_i32 s3, 28
	s_cbranch_scc0 .LBB95_3642
; %bb.3628:
	s_cmp_gt_i32 s3, 43
	;; [unrolled: 3-line block ×3, first 2 shown]
	s_cbranch_scc0 .LBB95_3632
; %bb.3630:
	s_mov_b32 s0, -1
	s_mov_b32 s9, 0
	s_cmp_eq_u32 s3, 46
	s_cbranch_scc0 .LBB95_3632
; %bb.3631:
	v_bfe_i32 v3, v1, 0, 16
	s_mov_b32 s0, 0
	s_mov_b32 s8, -1
	s_delay_alu instid0(VALU_DEP_1) | instskip(NEXT) | instid1(VALU_DEP_1)
	v_cvt_f32_i32_e32 v3, v3
	v_bfe_u32 v5, v3, 16, 1
	s_delay_alu instid0(VALU_DEP_1) | instskip(NEXT) | instid1(VALU_DEP_1)
	v_add3_u32 v3, v3, v5, 0x7fff
	v_lshrrev_b32_e32 v3, 16, v3
	global_store_b32 v[6:7], v3, off
.LBB95_3632:
	s_and_b32 vcc_lo, exec_lo, s9
	s_cbranch_vccz .LBB95_3637
; %bb.3633:
	s_cmp_eq_u32 s3, 44
	s_mov_b32 s0, -1
	s_cbranch_scc0 .LBB95_3637
; %bb.3634:
	s_wait_xcnt 0x0
	v_bfe_i32 v3, v1, 0, 16
	v_mov_b32_e32 v5, 0xff
	s_mov_b32 s8, exec_lo
	s_delay_alu instid0(VALU_DEP_2) | instskip(NEXT) | instid1(VALU_DEP_1)
	v_cvt_f32_i32_e32 v3, v3
	v_bfe_u32 v8, v3, 23, 8
	s_delay_alu instid0(VALU_DEP_1)
	v_cmpx_ne_u32_e32 0xff, v8
	s_cbranch_execz .LBB95_3636
; %bb.3635:
	v_and_b32_e32 v5, 0x400000, v3
	v_and_or_b32 v8, 0x3fffff, v3, v8
	v_lshrrev_b32_e32 v3, 23, v3
	s_delay_alu instid0(VALU_DEP_3) | instskip(NEXT) | instid1(VALU_DEP_3)
	v_cmp_ne_u32_e32 vcc_lo, 0, v5
	v_cmp_ne_u32_e64 s0, 0, v8
	s_and_b32 s0, vcc_lo, s0
	s_delay_alu instid0(SALU_CYCLE_1) | instskip(NEXT) | instid1(VALU_DEP_1)
	v_cndmask_b32_e64 v5, 0, 1, s0
	v_add_nc_u32_e32 v5, v3, v5
.LBB95_3636:
	s_or_b32 exec_lo, exec_lo, s8
	s_mov_b32 s0, 0
	s_mov_b32 s8, -1
	global_store_b8 v[6:7], v5, off
.LBB95_3637:
	s_mov_b32 s9, 0
.LBB95_3638:
	s_delay_alu instid0(SALU_CYCLE_1)
	s_and_b32 vcc_lo, exec_lo, s9
	s_cbranch_vccz .LBB95_3641
; %bb.3639:
	s_cmp_eq_u32 s3, 29
	s_mov_b32 s0, -1
	s_cbranch_scc0 .LBB95_3641
; %bb.3640:
	v_bfe_i32 v8, v1, 0, 16
	s_mov_b32 s0, 0
	s_mov_b32 s8, -1
	s_delay_alu instid0(VALU_DEP_1)
	v_ashrrev_i32_e32 v9, 31, v8
	global_store_b64 v[6:7], v[8:9], off
.LBB95_3641:
	s_mov_b32 s9, 0
.LBB95_3642:
	s_delay_alu instid0(SALU_CYCLE_1)
	s_and_b32 vcc_lo, exec_lo, s9
	s_cbranch_vccz .LBB95_3658
; %bb.3643:
	s_cmp_lt_i32 s3, 27
	s_mov_b32 s8, -1
	s_cbranch_scc1 .LBB95_3649
; %bb.3644:
	s_cmp_gt_i32 s3, 27
	s_cbranch_scc0 .LBB95_3646
; %bb.3645:
	s_wait_xcnt 0x0
	v_bfe_i32 v3, v1, 0, 16
	s_mov_b32 s8, 0
	global_store_b32 v[6:7], v3, off
.LBB95_3646:
	s_and_not1_b32 vcc_lo, exec_lo, s8
	s_cbranch_vccnz .LBB95_3648
; %bb.3647:
	global_store_b16 v[6:7], v1, off
.LBB95_3648:
	s_mov_b32 s8, 0
.LBB95_3649:
	s_delay_alu instid0(SALU_CYCLE_1)
	s_and_not1_b32 vcc_lo, exec_lo, s8
	s_cbranch_vccnz .LBB95_3657
; %bb.3650:
	s_wait_xcnt 0x0
	v_bfe_i32 v3, v1, 0, 16
	v_mov_b32_e32 v8, 0x80
	s_mov_b32 s8, exec_lo
	s_delay_alu instid0(VALU_DEP_2) | instskip(NEXT) | instid1(VALU_DEP_1)
	v_cvt_f32_i32_e32 v3, v3
	v_and_b32_e32 v5, 0x7fffffff, v3
	s_delay_alu instid0(VALU_DEP_1)
	v_cmpx_gt_u32_e32 0x43800000, v5
	s_cbranch_execz .LBB95_3656
; %bb.3651:
	v_cmp_lt_u32_e32 vcc_lo, 0x3bffffff, v5
	s_mov_b32 s9, 0
                                        ; implicit-def: $vgpr5
	s_and_saveexec_b32 s13, vcc_lo
	s_delay_alu instid0(SALU_CYCLE_1)
	s_xor_b32 s13, exec_lo, s13
	s_cbranch_execz .LBB95_4105
; %bb.3652:
	v_bfe_u32 v5, v3, 20, 1
	s_mov_b32 s9, exec_lo
	s_delay_alu instid0(VALU_DEP_1) | instskip(NEXT) | instid1(VALU_DEP_1)
	v_add3_u32 v5, v3, v5, 0x487ffff
	v_lshrrev_b32_e32 v5, 20, v5
	s_and_not1_saveexec_b32 s13, s13
	s_cbranch_execnz .LBB95_4106
.LBB95_3653:
	s_or_b32 exec_lo, exec_lo, s13
	v_mov_b32_e32 v8, 0
	s_and_saveexec_b32 s13, s9
.LBB95_3654:
	v_lshrrev_b32_e32 v3, 24, v3
	s_delay_alu instid0(VALU_DEP_1)
	v_and_or_b32 v8, 0x80, v3, v5
.LBB95_3655:
	s_or_b32 exec_lo, exec_lo, s13
.LBB95_3656:
	s_delay_alu instid0(SALU_CYCLE_1)
	s_or_b32 exec_lo, exec_lo, s8
	global_store_b8 v[6:7], v8, off
.LBB95_3657:
	s_mov_b32 s8, -1
.LBB95_3658:
	s_mov_b32 s9, 0
.LBB95_3659:
	s_delay_alu instid0(SALU_CYCLE_1)
	s_and_b32 vcc_lo, exec_lo, s9
	s_cbranch_vccz .LBB95_3699
; %bb.3660:
	s_cmp_gt_i32 s3, 22
	s_mov_b32 s7, -1
	s_cbranch_scc0 .LBB95_3692
; %bb.3661:
	s_cmp_lt_i32 s3, 24
	s_cbranch_scc1 .LBB95_3681
; %bb.3662:
	s_cmp_gt_i32 s3, 24
	s_cbranch_scc0 .LBB95_3670
; %bb.3663:
	s_wait_xcnt 0x0
	v_bfe_i32 v3, v1, 0, 16
	v_mov_b32_e32 v8, 0x80
	s_mov_b32 s7, exec_lo
	s_delay_alu instid0(VALU_DEP_2) | instskip(NEXT) | instid1(VALU_DEP_1)
	v_cvt_f32_i32_e32 v3, v3
	v_and_b32_e32 v5, 0x7fffffff, v3
	s_delay_alu instid0(VALU_DEP_1)
	v_cmpx_gt_u32_e32 0x47800000, v5
	s_cbranch_execz .LBB95_3669
; %bb.3664:
	v_cmp_lt_u32_e32 vcc_lo, 0x37ffffff, v5
	s_mov_b32 s8, 0
                                        ; implicit-def: $vgpr5
	s_and_saveexec_b32 s9, vcc_lo
	s_delay_alu instid0(SALU_CYCLE_1)
	s_xor_b32 s9, exec_lo, s9
	s_cbranch_execz .LBB95_4108
; %bb.3665:
	v_bfe_u32 v5, v3, 21, 1
	s_mov_b32 s8, exec_lo
	s_delay_alu instid0(VALU_DEP_1) | instskip(NEXT) | instid1(VALU_DEP_1)
	v_add3_u32 v5, v3, v5, 0x88fffff
	v_lshrrev_b32_e32 v5, 21, v5
	s_and_not1_saveexec_b32 s9, s9
	s_cbranch_execnz .LBB95_4109
.LBB95_3666:
	s_or_b32 exec_lo, exec_lo, s9
	v_mov_b32_e32 v8, 0
	s_and_saveexec_b32 s9, s8
.LBB95_3667:
	v_lshrrev_b32_e32 v3, 24, v3
	s_delay_alu instid0(VALU_DEP_1)
	v_and_or_b32 v8, 0x80, v3, v5
.LBB95_3668:
	s_or_b32 exec_lo, exec_lo, s9
.LBB95_3669:
	s_delay_alu instid0(SALU_CYCLE_1)
	s_or_b32 exec_lo, exec_lo, s7
	s_mov_b32 s7, 0
	global_store_b8 v[6:7], v8, off
.LBB95_3670:
	s_and_b32 vcc_lo, exec_lo, s7
	s_cbranch_vccz .LBB95_3680
; %bb.3671:
	s_wait_xcnt 0x0
	v_bfe_i32 v3, v1, 0, 16
	s_mov_b32 s7, exec_lo
                                        ; implicit-def: $vgpr5
	s_delay_alu instid0(VALU_DEP_1) | instskip(NEXT) | instid1(VALU_DEP_1)
	v_cvt_f32_i32_e32 v3, v3
	v_and_b32_e32 v8, 0x7fffffff, v3
	s_delay_alu instid0(VALU_DEP_1)
	v_cmpx_gt_u32_e32 0x43f00000, v8
	s_xor_b32 s7, exec_lo, s7
	s_cbranch_execz .LBB95_3677
; %bb.3672:
	s_mov_b32 s8, exec_lo
                                        ; implicit-def: $vgpr5
	v_cmpx_lt_u32_e32 0x3c7fffff, v8
	s_xor_b32 s8, exec_lo, s8
; %bb.3673:
	v_bfe_u32 v5, v3, 20, 1
	s_delay_alu instid0(VALU_DEP_1) | instskip(NEXT) | instid1(VALU_DEP_1)
	v_add3_u32 v5, v3, v5, 0x407ffff
	v_and_b32_e32 v8, 0xff00000, v5
	v_lshrrev_b32_e32 v5, 20, v5
	s_delay_alu instid0(VALU_DEP_2) | instskip(NEXT) | instid1(VALU_DEP_2)
	v_cmp_ne_u32_e32 vcc_lo, 0x7f00000, v8
	v_cndmask_b32_e32 v5, 0x7e, v5, vcc_lo
; %bb.3674:
	s_and_not1_saveexec_b32 s8, s8
; %bb.3675:
	v_add_f32_e64 v5, 0x46800000, |v3|
; %bb.3676:
	s_or_b32 exec_lo, exec_lo, s8
                                        ; implicit-def: $vgpr8
.LBB95_3677:
	s_and_not1_saveexec_b32 s7, s7
; %bb.3678:
	v_mov_b32_e32 v5, 0x7f
	v_cmp_lt_u32_e32 vcc_lo, 0x7f800000, v8
	s_delay_alu instid0(VALU_DEP_2)
	v_cndmask_b32_e32 v5, 0x7e, v5, vcc_lo
; %bb.3679:
	s_or_b32 exec_lo, exec_lo, s7
	v_lshrrev_b32_e32 v3, 24, v3
	s_delay_alu instid0(VALU_DEP_1)
	v_and_or_b32 v3, 0x80, v3, v5
	global_store_b8 v[6:7], v3, off
.LBB95_3680:
	s_mov_b32 s7, 0
.LBB95_3681:
	s_delay_alu instid0(SALU_CYCLE_1)
	s_and_not1_b32 vcc_lo, exec_lo, s7
	s_cbranch_vccnz .LBB95_3691
; %bb.3682:
	s_wait_xcnt 0x0
	v_bfe_i32 v3, v1, 0, 16
	s_mov_b32 s7, exec_lo
                                        ; implicit-def: $vgpr5
	s_delay_alu instid0(VALU_DEP_1) | instskip(NEXT) | instid1(VALU_DEP_1)
	v_cvt_f32_i32_e32 v3, v3
	v_and_b32_e32 v8, 0x7fffffff, v3
	s_delay_alu instid0(VALU_DEP_1)
	v_cmpx_gt_u32_e32 0x47800000, v8
	s_xor_b32 s7, exec_lo, s7
	s_cbranch_execz .LBB95_3688
; %bb.3683:
	s_mov_b32 s8, exec_lo
                                        ; implicit-def: $vgpr5
	v_cmpx_lt_u32_e32 0x387fffff, v8
	s_xor_b32 s8, exec_lo, s8
; %bb.3684:
	v_bfe_u32 v5, v3, 21, 1
	s_delay_alu instid0(VALU_DEP_1) | instskip(NEXT) | instid1(VALU_DEP_1)
	v_add3_u32 v5, v3, v5, 0x80fffff
	v_lshrrev_b32_e32 v5, 21, v5
; %bb.3685:
	s_and_not1_saveexec_b32 s8, s8
; %bb.3686:
	v_add_f32_e64 v5, 0x43000000, |v3|
; %bb.3687:
	s_or_b32 exec_lo, exec_lo, s8
                                        ; implicit-def: $vgpr8
.LBB95_3688:
	s_and_not1_saveexec_b32 s7, s7
; %bb.3689:
	v_mov_b32_e32 v5, 0x7f
	v_cmp_lt_u32_e32 vcc_lo, 0x7f800000, v8
	s_delay_alu instid0(VALU_DEP_2)
	v_cndmask_b32_e32 v5, 0x7c, v5, vcc_lo
; %bb.3690:
	s_or_b32 exec_lo, exec_lo, s7
	v_lshrrev_b32_e32 v3, 24, v3
	s_delay_alu instid0(VALU_DEP_1)
	v_and_or_b32 v3, 0x80, v3, v5
	global_store_b8 v[6:7], v3, off
.LBB95_3691:
	s_mov_b32 s7, 0
	s_mov_b32 s8, -1
.LBB95_3692:
	s_and_not1_b32 vcc_lo, exec_lo, s7
	s_mov_b32 s7, 0
	s_cbranch_vccnz .LBB95_3699
; %bb.3693:
	s_cmp_gt_i32 s3, 14
	s_mov_b32 s7, -1
	s_cbranch_scc0 .LBB95_3697
; %bb.3694:
	s_cmp_eq_u32 s3, 15
	s_mov_b32 s0, -1
	s_cbranch_scc0 .LBB95_3696
; %bb.3695:
	s_wait_xcnt 0x0
	v_bfe_i32 v3, v1, 0, 16
	s_mov_b32 s0, 0
	s_mov_b32 s8, -1
	s_delay_alu instid0(VALU_DEP_1) | instskip(NEXT) | instid1(VALU_DEP_1)
	v_cvt_f32_i32_e32 v3, v3
	v_bfe_u32 v5, v3, 16, 1
	s_delay_alu instid0(VALU_DEP_1)
	v_add3_u32 v3, v3, v5, 0x7fff
	global_store_d16_hi_b16 v[6:7], v3, off
.LBB95_3696:
	s_mov_b32 s7, 0
.LBB95_3697:
	s_delay_alu instid0(SALU_CYCLE_1)
	s_and_b32 vcc_lo, exec_lo, s7
	s_mov_b32 s7, 0
	s_cbranch_vccz .LBB95_3699
; %bb.3698:
	s_cmp_lg_u32 s3, 11
	s_mov_b32 s7, -1
	s_cselect_b32 s0, -1, 0
.LBB95_3699:
	s_delay_alu instid0(SALU_CYCLE_1)
	s_and_b32 vcc_lo, exec_lo, s0
	s_cbranch_vccnz .LBB95_4107
; %bb.3700:
	s_and_not1_b32 vcc_lo, exec_lo, s7
	s_cbranch_vccnz .LBB95_3702
.LBB95_3701:
	v_cmp_ne_u16_e32 vcc_lo, 0, v1
	s_mov_b32 s8, -1
	s_wait_xcnt 0x0
	v_cndmask_b32_e64 v3, 0, 1, vcc_lo
	global_store_b8 v[6:7], v3, off
.LBB95_3702:
	s_mov_b32 s0, 0
	s_branch .LBB95_3704
.LBB95_3703:
	s_mov_b32 s0, -1
	s_mov_b32 s8, 0
.LBB95_3704:
	s_and_b32 vcc_lo, exec_lo, s0
	s_cbranch_vccz .LBB95_3743
; %bb.3705:
	s_and_b32 s0, 0xffff, s1
	s_mov_b32 s3, -1
	s_cmp_lt_i32 s0, 5
	s_cbranch_scc1 .LBB95_3726
; %bb.3706:
	s_cmp_lt_i32 s0, 8
	s_cbranch_scc1 .LBB95_3716
; %bb.3707:
	;; [unrolled: 3-line block ×3, first 2 shown]
	s_cmp_gt_i32 s0, 9
	s_cbranch_scc0 .LBB95_3710
; %bb.3709:
	s_wait_xcnt 0x0
	v_bfe_i32 v3, v1, 0, 16
	v_mov_b32_e32 v34, 0
	s_mov_b32 s3, 0
	s_delay_alu instid0(VALU_DEP_2) | instskip(NEXT) | instid1(VALU_DEP_2)
	v_cvt_f64_i32_e32 v[32:33], v3
	v_mov_b32_e32 v35, v34
	global_store_b128 v[6:7], v[32:35], off
.LBB95_3710:
	s_and_not1_b32 vcc_lo, exec_lo, s3
	s_cbranch_vccnz .LBB95_3712
; %bb.3711:
	s_wait_xcnt 0x0
	v_bfe_i32 v3, v1, 0, 16
	v_mov_b32_e32 v9, 0
	s_delay_alu instid0(VALU_DEP_2)
	v_cvt_f32_i32_e32 v8, v3
	global_store_b64 v[6:7], v[8:9], off
.LBB95_3712:
	s_mov_b32 s3, 0
.LBB95_3713:
	s_delay_alu instid0(SALU_CYCLE_1)
	s_and_not1_b32 vcc_lo, exec_lo, s3
	s_cbranch_vccnz .LBB95_3715
; %bb.3714:
	s_wait_xcnt 0x0
	v_cvt_f16_i16_e32 v3, v1
	s_delay_alu instid0(VALU_DEP_1)
	v_and_b32_e32 v3, 0xffff, v3
	global_store_b32 v[6:7], v3, off
.LBB95_3715:
	s_mov_b32 s3, 0
.LBB95_3716:
	s_delay_alu instid0(SALU_CYCLE_1)
	s_and_not1_b32 vcc_lo, exec_lo, s3
	s_cbranch_vccnz .LBB95_3725
; %bb.3717:
	s_cmp_lt_i32 s0, 6
	s_mov_b32 s3, -1
	s_cbranch_scc1 .LBB95_3723
; %bb.3718:
	s_cmp_gt_i32 s0, 6
	s_cbranch_scc0 .LBB95_3720
; %bb.3719:
	s_wait_xcnt 0x0
	v_bfe_i32 v3, v1, 0, 16
	s_mov_b32 s3, 0
	s_delay_alu instid0(VALU_DEP_1)
	v_cvt_f64_i32_e32 v[8:9], v3
	global_store_b64 v[6:7], v[8:9], off
.LBB95_3720:
	s_and_not1_b32 vcc_lo, exec_lo, s3
	s_cbranch_vccnz .LBB95_3722
; %bb.3721:
	s_wait_xcnt 0x0
	v_bfe_i32 v3, v1, 0, 16
	s_delay_alu instid0(VALU_DEP_1)
	v_cvt_f32_i32_e32 v3, v3
	global_store_b32 v[6:7], v3, off
.LBB95_3722:
	s_mov_b32 s3, 0
.LBB95_3723:
	s_delay_alu instid0(SALU_CYCLE_1)
	s_and_not1_b32 vcc_lo, exec_lo, s3
	s_cbranch_vccnz .LBB95_3725
; %bb.3724:
	s_wait_xcnt 0x0
	v_cvt_f16_i16_e32 v3, v1
	global_store_b16 v[6:7], v3, off
.LBB95_3725:
	s_mov_b32 s3, 0
.LBB95_3726:
	s_delay_alu instid0(SALU_CYCLE_1)
	s_and_not1_b32 vcc_lo, exec_lo, s3
	s_cbranch_vccnz .LBB95_3742
; %bb.3727:
	s_cmp_lt_i32 s0, 2
	s_mov_b32 s3, -1
	s_cbranch_scc1 .LBB95_3737
; %bb.3728:
	s_cmp_lt_i32 s0, 3
	s_cbranch_scc1 .LBB95_3734
; %bb.3729:
	s_wait_xcnt 0x0
	v_bfe_i32 v8, v1, 0, 16
	s_cmp_gt_i32 s0, 3
	s_cbranch_scc0 .LBB95_3731
; %bb.3730:
	s_delay_alu instid0(VALU_DEP_1)
	v_ashrrev_i32_e32 v9, 31, v8
	s_mov_b32 s3, 0
	global_store_b64 v[6:7], v[8:9], off
.LBB95_3731:
	s_and_not1_b32 vcc_lo, exec_lo, s3
	s_cbranch_vccnz .LBB95_3733
; %bb.3732:
	global_store_b32 v[6:7], v8, off
.LBB95_3733:
	s_mov_b32 s3, 0
.LBB95_3734:
	s_delay_alu instid0(SALU_CYCLE_1)
	s_and_not1_b32 vcc_lo, exec_lo, s3
	s_cbranch_vccnz .LBB95_3736
; %bb.3735:
	global_store_b16 v[6:7], v1, off
.LBB95_3736:
	s_mov_b32 s3, 0
.LBB95_3737:
	s_delay_alu instid0(SALU_CYCLE_1)
	s_and_not1_b32 vcc_lo, exec_lo, s3
	s_cbranch_vccnz .LBB95_3742
; %bb.3738:
	s_cmp_gt_i32 s0, 0
	s_mov_b32 s0, -1
	s_cbranch_scc0 .LBB95_3740
; %bb.3739:
	s_mov_b32 s0, 0
	global_store_b8 v[6:7], v1, off
.LBB95_3740:
	s_and_not1_b32 vcc_lo, exec_lo, s0
	s_cbranch_vccnz .LBB95_3742
; %bb.3741:
	global_store_b8 v[6:7], v1, off
.LBB95_3742:
	s_mov_b32 s8, -1
.LBB95_3743:
	s_delay_alu instid0(SALU_CYCLE_1)
	s_and_not1_b32 vcc_lo, exec_lo, s8
	s_cbranch_vccnz .LBB95_4058
; %bb.3744:
	s_wait_xcnt 0x0
	v_mov_b32_e32 v5, 0
	v_mul_lo_u16 v1, v16, s2
	v_mul_lo_u16 v3, v22, s6
	s_and_b32 s3, 0xffff, s1
	s_delay_alu instid0(SALU_CYCLE_1) | instskip(SKIP_1) | instid1(VALU_DEP_2)
	s_cmp_lt_i32 s3, 11
	v_add_nc_u64_e32 v[4:5], s[4:5], v[4:5]
	v_mad_u16 v1, v3, v28, v1
	s_cbranch_scc1 .LBB95_3822
; %bb.3745:
	s_mov_b32 s9, -1
	s_mov_b32 s7, 0
	s_cmp_gt_i32 s3, 25
	s_mov_b32 s8, 0
	s_mov_b32 s0, 0
	s_cbranch_scc0 .LBB95_3778
; %bb.3746:
	s_cmp_gt_i32 s3, 28
	s_cbranch_scc0 .LBB95_3761
; %bb.3747:
	s_cmp_gt_i32 s3, 43
	s_cbranch_scc0 .LBB95_3757
; %bb.3748:
	s_cmp_gt_i32 s3, 45
	s_cbranch_scc0 .LBB95_3751
; %bb.3749:
	s_mov_b32 s0, -1
	s_mov_b32 s9, 0
	s_cmp_eq_u32 s3, 46
	s_cbranch_scc0 .LBB95_3751
; %bb.3750:
	v_bfe_i32 v3, v1, 0, 16
	s_mov_b32 s0, 0
	s_mov_b32 s8, -1
	s_delay_alu instid0(VALU_DEP_1) | instskip(NEXT) | instid1(VALU_DEP_1)
	v_cvt_f32_i32_e32 v3, v3
	v_bfe_u32 v6, v3, 16, 1
	s_delay_alu instid0(VALU_DEP_1) | instskip(NEXT) | instid1(VALU_DEP_1)
	v_add3_u32 v3, v3, v6, 0x7fff
	v_lshrrev_b32_e32 v3, 16, v3
	global_store_b32 v[4:5], v3, off
.LBB95_3751:
	s_and_b32 vcc_lo, exec_lo, s9
	s_cbranch_vccz .LBB95_3756
; %bb.3752:
	s_cmp_eq_u32 s3, 44
	s_mov_b32 s0, -1
	s_cbranch_scc0 .LBB95_3756
; %bb.3753:
	s_wait_xcnt 0x0
	v_bfe_i32 v3, v1, 0, 16
	v_mov_b32_e32 v6, 0xff
	s_mov_b32 s8, exec_lo
	s_delay_alu instid0(VALU_DEP_2) | instskip(NEXT) | instid1(VALU_DEP_1)
	v_cvt_f32_i32_e32 v3, v3
	v_bfe_u32 v7, v3, 23, 8
	s_delay_alu instid0(VALU_DEP_1)
	v_cmpx_ne_u32_e32 0xff, v7
	s_cbranch_execz .LBB95_3755
; %bb.3754:
	v_and_b32_e32 v6, 0x400000, v3
	v_and_or_b32 v7, 0x3fffff, v3, v7
	v_lshrrev_b32_e32 v3, 23, v3
	s_delay_alu instid0(VALU_DEP_3) | instskip(NEXT) | instid1(VALU_DEP_3)
	v_cmp_ne_u32_e32 vcc_lo, 0, v6
	v_cmp_ne_u32_e64 s0, 0, v7
	s_and_b32 s0, vcc_lo, s0
	s_delay_alu instid0(SALU_CYCLE_1) | instskip(NEXT) | instid1(VALU_DEP_1)
	v_cndmask_b32_e64 v6, 0, 1, s0
	v_add_nc_u32_e32 v6, v3, v6
.LBB95_3755:
	s_or_b32 exec_lo, exec_lo, s8
	s_mov_b32 s0, 0
	s_mov_b32 s8, -1
	global_store_b8 v[4:5], v6, off
.LBB95_3756:
	s_mov_b32 s9, 0
.LBB95_3757:
	s_delay_alu instid0(SALU_CYCLE_1)
	s_and_b32 vcc_lo, exec_lo, s9
	s_cbranch_vccz .LBB95_3760
; %bb.3758:
	s_cmp_eq_u32 s3, 29
	s_mov_b32 s0, -1
	s_cbranch_scc0 .LBB95_3760
; %bb.3759:
	s_wait_xcnt 0x0
	v_bfe_i32 v6, v1, 0, 16
	s_mov_b32 s0, 0
	s_mov_b32 s8, -1
	s_delay_alu instid0(VALU_DEP_1)
	v_ashrrev_i32_e32 v7, 31, v6
	global_store_b64 v[4:5], v[6:7], off
.LBB95_3760:
	s_mov_b32 s9, 0
.LBB95_3761:
	s_delay_alu instid0(SALU_CYCLE_1)
	s_and_b32 vcc_lo, exec_lo, s9
	s_cbranch_vccz .LBB95_3777
; %bb.3762:
	s_cmp_lt_i32 s3, 27
	s_mov_b32 s8, -1
	s_cbranch_scc1 .LBB95_3768
; %bb.3763:
	s_cmp_gt_i32 s3, 27
	s_cbranch_scc0 .LBB95_3765
; %bb.3764:
	s_wait_xcnt 0x0
	v_bfe_i32 v3, v1, 0, 16
	s_mov_b32 s8, 0
	global_store_b32 v[4:5], v3, off
.LBB95_3765:
	s_and_not1_b32 vcc_lo, exec_lo, s8
	s_cbranch_vccnz .LBB95_3767
; %bb.3766:
	global_store_b16 v[4:5], v1, off
.LBB95_3767:
	s_mov_b32 s8, 0
.LBB95_3768:
	s_delay_alu instid0(SALU_CYCLE_1)
	s_and_not1_b32 vcc_lo, exec_lo, s8
	s_cbranch_vccnz .LBB95_3776
; %bb.3769:
	s_wait_xcnt 0x0
	v_bfe_i32 v3, v1, 0, 16
	v_mov_b32_e32 v7, 0x80
	s_mov_b32 s8, exec_lo
	s_delay_alu instid0(VALU_DEP_2) | instskip(NEXT) | instid1(VALU_DEP_1)
	v_cvt_f32_i32_e32 v3, v3
	v_and_b32_e32 v6, 0x7fffffff, v3
	s_delay_alu instid0(VALU_DEP_1)
	v_cmpx_gt_u32_e32 0x43800000, v6
	s_cbranch_execz .LBB95_3775
; %bb.3770:
	v_cmp_lt_u32_e32 vcc_lo, 0x3bffffff, v6
	s_mov_b32 s9, 0
                                        ; implicit-def: $vgpr6
	s_and_saveexec_b32 s13, vcc_lo
	s_delay_alu instid0(SALU_CYCLE_1)
	s_xor_b32 s13, exec_lo, s13
	s_cbranch_execz .LBB95_4110
; %bb.3771:
	v_bfe_u32 v6, v3, 20, 1
	s_mov_b32 s9, exec_lo
	s_delay_alu instid0(VALU_DEP_1) | instskip(NEXT) | instid1(VALU_DEP_1)
	v_add3_u32 v6, v3, v6, 0x487ffff
	v_lshrrev_b32_e32 v6, 20, v6
	s_and_not1_saveexec_b32 s13, s13
	s_cbranch_execnz .LBB95_4111
.LBB95_3772:
	s_or_b32 exec_lo, exec_lo, s13
	v_mov_b32_e32 v7, 0
	s_and_saveexec_b32 s13, s9
.LBB95_3773:
	v_lshrrev_b32_e32 v3, 24, v3
	s_delay_alu instid0(VALU_DEP_1)
	v_and_or_b32 v7, 0x80, v3, v6
.LBB95_3774:
	s_or_b32 exec_lo, exec_lo, s13
.LBB95_3775:
	s_delay_alu instid0(SALU_CYCLE_1)
	s_or_b32 exec_lo, exec_lo, s8
	global_store_b8 v[4:5], v7, off
.LBB95_3776:
	s_mov_b32 s8, -1
.LBB95_3777:
	s_mov_b32 s9, 0
.LBB95_3778:
	s_delay_alu instid0(SALU_CYCLE_1)
	s_and_b32 vcc_lo, exec_lo, s9
	s_cbranch_vccz .LBB95_3818
; %bb.3779:
	s_cmp_gt_i32 s3, 22
	s_mov_b32 s7, -1
	s_cbranch_scc0 .LBB95_3811
; %bb.3780:
	s_cmp_lt_i32 s3, 24
	s_cbranch_scc1 .LBB95_3800
; %bb.3781:
	s_cmp_gt_i32 s3, 24
	s_cbranch_scc0 .LBB95_3789
; %bb.3782:
	s_wait_xcnt 0x0
	v_bfe_i32 v3, v1, 0, 16
	v_mov_b32_e32 v7, 0x80
	s_mov_b32 s7, exec_lo
	s_delay_alu instid0(VALU_DEP_2) | instskip(NEXT) | instid1(VALU_DEP_1)
	v_cvt_f32_i32_e32 v3, v3
	v_and_b32_e32 v6, 0x7fffffff, v3
	s_delay_alu instid0(VALU_DEP_1)
	v_cmpx_gt_u32_e32 0x47800000, v6
	s_cbranch_execz .LBB95_3788
; %bb.3783:
	v_cmp_lt_u32_e32 vcc_lo, 0x37ffffff, v6
	s_mov_b32 s8, 0
                                        ; implicit-def: $vgpr6
	s_and_saveexec_b32 s9, vcc_lo
	s_delay_alu instid0(SALU_CYCLE_1)
	s_xor_b32 s9, exec_lo, s9
	s_cbranch_execz .LBB95_4113
; %bb.3784:
	v_bfe_u32 v6, v3, 21, 1
	s_mov_b32 s8, exec_lo
	s_delay_alu instid0(VALU_DEP_1) | instskip(NEXT) | instid1(VALU_DEP_1)
	v_add3_u32 v6, v3, v6, 0x88fffff
	v_lshrrev_b32_e32 v6, 21, v6
	s_and_not1_saveexec_b32 s9, s9
	s_cbranch_execnz .LBB95_4114
.LBB95_3785:
	s_or_b32 exec_lo, exec_lo, s9
	v_mov_b32_e32 v7, 0
	s_and_saveexec_b32 s9, s8
.LBB95_3786:
	v_lshrrev_b32_e32 v3, 24, v3
	s_delay_alu instid0(VALU_DEP_1)
	v_and_or_b32 v7, 0x80, v3, v6
.LBB95_3787:
	s_or_b32 exec_lo, exec_lo, s9
.LBB95_3788:
	s_delay_alu instid0(SALU_CYCLE_1)
	s_or_b32 exec_lo, exec_lo, s7
	s_mov_b32 s7, 0
	global_store_b8 v[4:5], v7, off
.LBB95_3789:
	s_and_b32 vcc_lo, exec_lo, s7
	s_cbranch_vccz .LBB95_3799
; %bb.3790:
	s_wait_xcnt 0x0
	v_bfe_i32 v3, v1, 0, 16
	s_mov_b32 s7, exec_lo
                                        ; implicit-def: $vgpr6
	s_delay_alu instid0(VALU_DEP_1) | instskip(NEXT) | instid1(VALU_DEP_1)
	v_cvt_f32_i32_e32 v3, v3
	v_and_b32_e32 v7, 0x7fffffff, v3
	s_delay_alu instid0(VALU_DEP_1)
	v_cmpx_gt_u32_e32 0x43f00000, v7
	s_xor_b32 s7, exec_lo, s7
	s_cbranch_execz .LBB95_3796
; %bb.3791:
	s_mov_b32 s8, exec_lo
                                        ; implicit-def: $vgpr6
	v_cmpx_lt_u32_e32 0x3c7fffff, v7
	s_xor_b32 s8, exec_lo, s8
; %bb.3792:
	v_bfe_u32 v6, v3, 20, 1
	s_delay_alu instid0(VALU_DEP_1) | instskip(NEXT) | instid1(VALU_DEP_1)
	v_add3_u32 v6, v3, v6, 0x407ffff
	v_and_b32_e32 v7, 0xff00000, v6
	v_lshrrev_b32_e32 v6, 20, v6
	s_delay_alu instid0(VALU_DEP_2) | instskip(NEXT) | instid1(VALU_DEP_2)
	v_cmp_ne_u32_e32 vcc_lo, 0x7f00000, v7
	v_cndmask_b32_e32 v6, 0x7e, v6, vcc_lo
; %bb.3793:
	s_and_not1_saveexec_b32 s8, s8
; %bb.3794:
	v_add_f32_e64 v6, 0x46800000, |v3|
; %bb.3795:
	s_or_b32 exec_lo, exec_lo, s8
                                        ; implicit-def: $vgpr7
.LBB95_3796:
	s_and_not1_saveexec_b32 s7, s7
; %bb.3797:
	v_mov_b32_e32 v6, 0x7f
	v_cmp_lt_u32_e32 vcc_lo, 0x7f800000, v7
	s_delay_alu instid0(VALU_DEP_2)
	v_cndmask_b32_e32 v6, 0x7e, v6, vcc_lo
; %bb.3798:
	s_or_b32 exec_lo, exec_lo, s7
	v_lshrrev_b32_e32 v3, 24, v3
	s_delay_alu instid0(VALU_DEP_1)
	v_and_or_b32 v3, 0x80, v3, v6
	global_store_b8 v[4:5], v3, off
.LBB95_3799:
	s_mov_b32 s7, 0
.LBB95_3800:
	s_delay_alu instid0(SALU_CYCLE_1)
	s_and_not1_b32 vcc_lo, exec_lo, s7
	s_cbranch_vccnz .LBB95_3810
; %bb.3801:
	s_wait_xcnt 0x0
	v_bfe_i32 v3, v1, 0, 16
	s_mov_b32 s7, exec_lo
                                        ; implicit-def: $vgpr6
	s_delay_alu instid0(VALU_DEP_1) | instskip(NEXT) | instid1(VALU_DEP_1)
	v_cvt_f32_i32_e32 v3, v3
	v_and_b32_e32 v7, 0x7fffffff, v3
	s_delay_alu instid0(VALU_DEP_1)
	v_cmpx_gt_u32_e32 0x47800000, v7
	s_xor_b32 s7, exec_lo, s7
	s_cbranch_execz .LBB95_3807
; %bb.3802:
	s_mov_b32 s8, exec_lo
                                        ; implicit-def: $vgpr6
	v_cmpx_lt_u32_e32 0x387fffff, v7
	s_xor_b32 s8, exec_lo, s8
; %bb.3803:
	v_bfe_u32 v6, v3, 21, 1
	s_delay_alu instid0(VALU_DEP_1) | instskip(NEXT) | instid1(VALU_DEP_1)
	v_add3_u32 v6, v3, v6, 0x80fffff
	v_lshrrev_b32_e32 v6, 21, v6
; %bb.3804:
	s_and_not1_saveexec_b32 s8, s8
; %bb.3805:
	v_add_f32_e64 v6, 0x43000000, |v3|
; %bb.3806:
	s_or_b32 exec_lo, exec_lo, s8
                                        ; implicit-def: $vgpr7
.LBB95_3807:
	s_and_not1_saveexec_b32 s7, s7
; %bb.3808:
	v_mov_b32_e32 v6, 0x7f
	v_cmp_lt_u32_e32 vcc_lo, 0x7f800000, v7
	s_delay_alu instid0(VALU_DEP_2)
	v_cndmask_b32_e32 v6, 0x7c, v6, vcc_lo
; %bb.3809:
	s_or_b32 exec_lo, exec_lo, s7
	v_lshrrev_b32_e32 v3, 24, v3
	s_delay_alu instid0(VALU_DEP_1)
	v_and_or_b32 v3, 0x80, v3, v6
	global_store_b8 v[4:5], v3, off
.LBB95_3810:
	s_mov_b32 s7, 0
	s_mov_b32 s8, -1
.LBB95_3811:
	s_and_not1_b32 vcc_lo, exec_lo, s7
	s_mov_b32 s7, 0
	s_cbranch_vccnz .LBB95_3818
; %bb.3812:
	s_cmp_gt_i32 s3, 14
	s_mov_b32 s7, -1
	s_cbranch_scc0 .LBB95_3816
; %bb.3813:
	s_cmp_eq_u32 s3, 15
	s_mov_b32 s0, -1
	s_cbranch_scc0 .LBB95_3815
; %bb.3814:
	s_wait_xcnt 0x0
	v_bfe_i32 v3, v1, 0, 16
	s_mov_b32 s0, 0
	s_mov_b32 s8, -1
	s_delay_alu instid0(VALU_DEP_1) | instskip(NEXT) | instid1(VALU_DEP_1)
	v_cvt_f32_i32_e32 v3, v3
	v_bfe_u32 v6, v3, 16, 1
	s_delay_alu instid0(VALU_DEP_1)
	v_add3_u32 v3, v3, v6, 0x7fff
	global_store_d16_hi_b16 v[4:5], v3, off
.LBB95_3815:
	s_mov_b32 s7, 0
.LBB95_3816:
	s_delay_alu instid0(SALU_CYCLE_1)
	s_and_b32 vcc_lo, exec_lo, s7
	s_mov_b32 s7, 0
	s_cbranch_vccz .LBB95_3818
; %bb.3817:
	s_cmp_lg_u32 s3, 11
	s_mov_b32 s7, -1
	s_cselect_b32 s0, -1, 0
.LBB95_3818:
	s_delay_alu instid0(SALU_CYCLE_1)
	s_and_b32 vcc_lo, exec_lo, s0
	s_cbranch_vccnz .LBB95_4112
; %bb.3819:
	s_and_not1_b32 vcc_lo, exec_lo, s7
	s_cbranch_vccnz .LBB95_3821
.LBB95_3820:
	v_cmp_ne_u16_e32 vcc_lo, 0, v1
	s_mov_b32 s8, -1
	s_wait_xcnt 0x0
	v_cndmask_b32_e64 v3, 0, 1, vcc_lo
	global_store_b8 v[4:5], v3, off
.LBB95_3821:
	s_mov_b32 s0, 0
	s_branch .LBB95_3823
.LBB95_3822:
	s_mov_b32 s0, -1
	s_mov_b32 s8, 0
.LBB95_3823:
	s_and_b32 vcc_lo, exec_lo, s0
	s_cbranch_vccz .LBB95_3862
; %bb.3824:
	s_cmp_lt_i32 s3, 5
	s_mov_b32 s0, -1
	s_cbranch_scc1 .LBB95_3845
; %bb.3825:
	s_cmp_lt_i32 s3, 8
	s_cbranch_scc1 .LBB95_3835
; %bb.3826:
	s_cmp_lt_i32 s3, 9
	s_cbranch_scc1 .LBB95_3832
; %bb.3827:
	s_cmp_gt_i32 s3, 9
	s_cbranch_scc0 .LBB95_3829
; %bb.3828:
	s_wait_xcnt 0x0
	v_bfe_i32 v3, v1, 0, 16
	v_mov_b32_e32 v8, 0
	s_mov_b32 s0, 0
	s_delay_alu instid0(VALU_DEP_2) | instskip(NEXT) | instid1(VALU_DEP_2)
	v_cvt_f64_i32_e32 v[6:7], v3
	v_mov_b32_e32 v9, v8
	global_store_b128 v[4:5], v[6:9], off
.LBB95_3829:
	s_and_not1_b32 vcc_lo, exec_lo, s0
	s_cbranch_vccnz .LBB95_3831
; %bb.3830:
	s_wait_xcnt 0x0
	v_bfe_i32 v3, v1, 0, 16
	v_mov_b32_e32 v7, 0
	s_delay_alu instid0(VALU_DEP_2)
	v_cvt_f32_i32_e32 v6, v3
	global_store_b64 v[4:5], v[6:7], off
.LBB95_3831:
	s_mov_b32 s0, 0
.LBB95_3832:
	s_delay_alu instid0(SALU_CYCLE_1)
	s_and_not1_b32 vcc_lo, exec_lo, s0
	s_cbranch_vccnz .LBB95_3834
; %bb.3833:
	s_wait_xcnt 0x0
	v_cvt_f16_i16_e32 v3, v1
	s_delay_alu instid0(VALU_DEP_1)
	v_and_b32_e32 v3, 0xffff, v3
	global_store_b32 v[4:5], v3, off
.LBB95_3834:
	s_mov_b32 s0, 0
.LBB95_3835:
	s_delay_alu instid0(SALU_CYCLE_1)
	s_and_not1_b32 vcc_lo, exec_lo, s0
	s_cbranch_vccnz .LBB95_3844
; %bb.3836:
	s_cmp_lt_i32 s3, 6
	s_mov_b32 s0, -1
	s_cbranch_scc1 .LBB95_3842
; %bb.3837:
	s_cmp_gt_i32 s3, 6
	s_cbranch_scc0 .LBB95_3839
; %bb.3838:
	s_wait_xcnt 0x0
	v_bfe_i32 v3, v1, 0, 16
	s_mov_b32 s0, 0
	s_delay_alu instid0(VALU_DEP_1)
	v_cvt_f64_i32_e32 v[6:7], v3
	global_store_b64 v[4:5], v[6:7], off
.LBB95_3839:
	s_and_not1_b32 vcc_lo, exec_lo, s0
	s_cbranch_vccnz .LBB95_3841
; %bb.3840:
	s_wait_xcnt 0x0
	v_bfe_i32 v3, v1, 0, 16
	s_delay_alu instid0(VALU_DEP_1)
	v_cvt_f32_i32_e32 v3, v3
	global_store_b32 v[4:5], v3, off
.LBB95_3841:
	s_mov_b32 s0, 0
.LBB95_3842:
	s_delay_alu instid0(SALU_CYCLE_1)
	s_and_not1_b32 vcc_lo, exec_lo, s0
	s_cbranch_vccnz .LBB95_3844
; %bb.3843:
	s_wait_xcnt 0x0
	v_cvt_f16_i16_e32 v3, v1
	global_store_b16 v[4:5], v3, off
.LBB95_3844:
	s_mov_b32 s0, 0
.LBB95_3845:
	s_delay_alu instid0(SALU_CYCLE_1)
	s_and_not1_b32 vcc_lo, exec_lo, s0
	s_cbranch_vccnz .LBB95_3861
; %bb.3846:
	s_cmp_lt_i32 s3, 2
	s_mov_b32 s0, -1
	s_cbranch_scc1 .LBB95_3856
; %bb.3847:
	s_cmp_lt_i32 s3, 3
	s_cbranch_scc1 .LBB95_3853
; %bb.3848:
	s_cmp_gt_i32 s3, 3
	s_cbranch_scc0 .LBB95_3850
; %bb.3849:
	s_wait_xcnt 0x0
	v_bfe_i32 v6, v1, 0, 16
	s_mov_b32 s0, 0
	s_delay_alu instid0(VALU_DEP_1)
	v_ashrrev_i32_e32 v7, 31, v6
	global_store_b64 v[4:5], v[6:7], off
.LBB95_3850:
	s_and_not1_b32 vcc_lo, exec_lo, s0
	s_cbranch_vccnz .LBB95_3852
; %bb.3851:
	s_wait_xcnt 0x0
	v_bfe_i32 v3, v1, 0, 16
	global_store_b32 v[4:5], v3, off
.LBB95_3852:
	s_mov_b32 s0, 0
.LBB95_3853:
	s_delay_alu instid0(SALU_CYCLE_1)
	s_and_not1_b32 vcc_lo, exec_lo, s0
	s_cbranch_vccnz .LBB95_3855
; %bb.3854:
	global_store_b16 v[4:5], v1, off
.LBB95_3855:
	s_mov_b32 s0, 0
.LBB95_3856:
	s_delay_alu instid0(SALU_CYCLE_1)
	s_and_not1_b32 vcc_lo, exec_lo, s0
	s_cbranch_vccnz .LBB95_3861
; %bb.3857:
	s_cmp_gt_i32 s3, 0
	s_mov_b32 s0, -1
	s_cbranch_scc0 .LBB95_3859
; %bb.3858:
	s_mov_b32 s0, 0
	global_store_b8 v[4:5], v1, off
.LBB95_3859:
	s_and_not1_b32 vcc_lo, exec_lo, s0
	s_cbranch_vccnz .LBB95_3861
; %bb.3860:
	global_store_b8 v[4:5], v1, off
.LBB95_3861:
	s_mov_b32 s8, -1
.LBB95_3862:
	s_delay_alu instid0(SALU_CYCLE_1)
	s_and_not1_b32 vcc_lo, exec_lo, s8
	s_cbranch_vccnz .LBB95_4058
; %bb.3863:
	s_wait_xcnt 0x0
	v_mov_b32_e32 v3, 0
	v_mul_lo_u16 v1, v26, s2
	v_mul_lo_u16 v4, v30, s6
	s_cmp_lt_i32 s3, 11
	s_delay_alu instid0(VALU_DEP_3) | instskip(NEXT) | instid1(VALU_DEP_2)
	v_add_nc_u64_e32 v[2:3], s[4:5], v[2:3]
	v_mad_u16 v1, v4, v24, v1
	s_cbranch_scc1 .LBB95_3941
; %bb.3864:
	s_mov_b32 s9, -1
	s_mov_b32 s7, 0
	s_cmp_gt_i32 s3, 25
	s_mov_b32 s8, 0
	s_mov_b32 s0, 0
	s_cbranch_scc0 .LBB95_3897
; %bb.3865:
	s_cmp_gt_i32 s3, 28
	s_cbranch_scc0 .LBB95_3880
; %bb.3866:
	s_cmp_gt_i32 s3, 43
	;; [unrolled: 3-line block ×3, first 2 shown]
	s_cbranch_scc0 .LBB95_3870
; %bb.3868:
	s_mov_b32 s0, -1
	s_mov_b32 s9, 0
	s_cmp_eq_u32 s3, 46
	s_cbranch_scc0 .LBB95_3870
; %bb.3869:
	v_bfe_i32 v4, v1, 0, 16
	s_mov_b32 s0, 0
	s_mov_b32 s8, -1
	s_delay_alu instid0(VALU_DEP_1) | instskip(NEXT) | instid1(VALU_DEP_1)
	v_cvt_f32_i32_e32 v4, v4
	v_bfe_u32 v5, v4, 16, 1
	s_delay_alu instid0(VALU_DEP_1) | instskip(NEXT) | instid1(VALU_DEP_1)
	v_add3_u32 v4, v4, v5, 0x7fff
	v_lshrrev_b32_e32 v4, 16, v4
	global_store_b32 v[2:3], v4, off
.LBB95_3870:
	s_and_b32 vcc_lo, exec_lo, s9
	s_cbranch_vccz .LBB95_3875
; %bb.3871:
	s_cmp_eq_u32 s3, 44
	s_mov_b32 s0, -1
	s_cbranch_scc0 .LBB95_3875
; %bb.3872:
	s_wait_xcnt 0x0
	v_bfe_i32 v4, v1, 0, 16
	v_mov_b32_e32 v5, 0xff
	s_mov_b32 s8, exec_lo
	s_delay_alu instid0(VALU_DEP_2) | instskip(NEXT) | instid1(VALU_DEP_1)
	v_cvt_f32_i32_e32 v4, v4
	v_bfe_u32 v6, v4, 23, 8
	s_delay_alu instid0(VALU_DEP_1)
	v_cmpx_ne_u32_e32 0xff, v6
	s_cbranch_execz .LBB95_3874
; %bb.3873:
	v_and_b32_e32 v5, 0x400000, v4
	v_and_or_b32 v6, 0x3fffff, v4, v6
	v_lshrrev_b32_e32 v4, 23, v4
	s_delay_alu instid0(VALU_DEP_3) | instskip(NEXT) | instid1(VALU_DEP_3)
	v_cmp_ne_u32_e32 vcc_lo, 0, v5
	v_cmp_ne_u32_e64 s0, 0, v6
	s_and_b32 s0, vcc_lo, s0
	s_delay_alu instid0(SALU_CYCLE_1) | instskip(NEXT) | instid1(VALU_DEP_1)
	v_cndmask_b32_e64 v5, 0, 1, s0
	v_add_nc_u32_e32 v5, v4, v5
.LBB95_3874:
	s_or_b32 exec_lo, exec_lo, s8
	s_mov_b32 s0, 0
	s_mov_b32 s8, -1
	global_store_b8 v[2:3], v5, off
.LBB95_3875:
	s_mov_b32 s9, 0
.LBB95_3876:
	s_delay_alu instid0(SALU_CYCLE_1)
	s_and_b32 vcc_lo, exec_lo, s9
	s_cbranch_vccz .LBB95_3879
; %bb.3877:
	s_cmp_eq_u32 s3, 29
	s_mov_b32 s0, -1
	s_cbranch_scc0 .LBB95_3879
; %bb.3878:
	s_wait_xcnt 0x0
	v_bfe_i32 v4, v1, 0, 16
	s_mov_b32 s0, 0
	s_mov_b32 s8, -1
	s_delay_alu instid0(VALU_DEP_1)
	v_ashrrev_i32_e32 v5, 31, v4
	global_store_b64 v[2:3], v[4:5], off
.LBB95_3879:
	s_mov_b32 s9, 0
.LBB95_3880:
	s_delay_alu instid0(SALU_CYCLE_1)
	s_and_b32 vcc_lo, exec_lo, s9
	s_cbranch_vccz .LBB95_3896
; %bb.3881:
	s_cmp_lt_i32 s3, 27
	s_mov_b32 s8, -1
	s_cbranch_scc1 .LBB95_3887
; %bb.3882:
	s_cmp_gt_i32 s3, 27
	s_cbranch_scc0 .LBB95_3884
; %bb.3883:
	s_wait_xcnt 0x0
	v_bfe_i32 v4, v1, 0, 16
	s_mov_b32 s8, 0
	global_store_b32 v[2:3], v4, off
.LBB95_3884:
	s_and_not1_b32 vcc_lo, exec_lo, s8
	s_cbranch_vccnz .LBB95_3886
; %bb.3885:
	global_store_b16 v[2:3], v1, off
.LBB95_3886:
	s_mov_b32 s8, 0
.LBB95_3887:
	s_delay_alu instid0(SALU_CYCLE_1)
	s_and_not1_b32 vcc_lo, exec_lo, s8
	s_cbranch_vccnz .LBB95_3895
; %bb.3888:
	s_wait_xcnt 0x0
	v_bfe_i32 v4, v1, 0, 16
	v_mov_b32_e32 v6, 0x80
	s_mov_b32 s8, exec_lo
	s_delay_alu instid0(VALU_DEP_2) | instskip(NEXT) | instid1(VALU_DEP_1)
	v_cvt_f32_i32_e32 v4, v4
	v_and_b32_e32 v5, 0x7fffffff, v4
	s_delay_alu instid0(VALU_DEP_1)
	v_cmpx_gt_u32_e32 0x43800000, v5
	s_cbranch_execz .LBB95_3894
; %bb.3889:
	v_cmp_lt_u32_e32 vcc_lo, 0x3bffffff, v5
	s_mov_b32 s9, 0
                                        ; implicit-def: $vgpr5
	s_and_saveexec_b32 s13, vcc_lo
	s_delay_alu instid0(SALU_CYCLE_1)
	s_xor_b32 s13, exec_lo, s13
	s_cbranch_execz .LBB95_4115
; %bb.3890:
	v_bfe_u32 v5, v4, 20, 1
	s_mov_b32 s9, exec_lo
	s_delay_alu instid0(VALU_DEP_1) | instskip(NEXT) | instid1(VALU_DEP_1)
	v_add3_u32 v5, v4, v5, 0x487ffff
	v_lshrrev_b32_e32 v5, 20, v5
	s_and_not1_saveexec_b32 s13, s13
	s_cbranch_execnz .LBB95_4116
.LBB95_3891:
	s_or_b32 exec_lo, exec_lo, s13
	v_mov_b32_e32 v6, 0
	s_and_saveexec_b32 s13, s9
.LBB95_3892:
	v_lshrrev_b32_e32 v4, 24, v4
	s_delay_alu instid0(VALU_DEP_1)
	v_and_or_b32 v6, 0x80, v4, v5
.LBB95_3893:
	s_or_b32 exec_lo, exec_lo, s13
.LBB95_3894:
	s_delay_alu instid0(SALU_CYCLE_1)
	s_or_b32 exec_lo, exec_lo, s8
	global_store_b8 v[2:3], v6, off
.LBB95_3895:
	s_mov_b32 s8, -1
.LBB95_3896:
	s_mov_b32 s9, 0
.LBB95_3897:
	s_delay_alu instid0(SALU_CYCLE_1)
	s_and_b32 vcc_lo, exec_lo, s9
	s_cbranch_vccz .LBB95_3937
; %bb.3898:
	s_cmp_gt_i32 s3, 22
	s_mov_b32 s7, -1
	s_cbranch_scc0 .LBB95_3930
; %bb.3899:
	s_cmp_lt_i32 s3, 24
	s_cbranch_scc1 .LBB95_3919
; %bb.3900:
	s_cmp_gt_i32 s3, 24
	s_cbranch_scc0 .LBB95_3908
; %bb.3901:
	s_wait_xcnt 0x0
	v_bfe_i32 v4, v1, 0, 16
	v_mov_b32_e32 v6, 0x80
	s_mov_b32 s7, exec_lo
	s_delay_alu instid0(VALU_DEP_2) | instskip(NEXT) | instid1(VALU_DEP_1)
	v_cvt_f32_i32_e32 v4, v4
	v_and_b32_e32 v5, 0x7fffffff, v4
	s_delay_alu instid0(VALU_DEP_1)
	v_cmpx_gt_u32_e32 0x47800000, v5
	s_cbranch_execz .LBB95_3907
; %bb.3902:
	v_cmp_lt_u32_e32 vcc_lo, 0x37ffffff, v5
	s_mov_b32 s8, 0
                                        ; implicit-def: $vgpr5
	s_and_saveexec_b32 s9, vcc_lo
	s_delay_alu instid0(SALU_CYCLE_1)
	s_xor_b32 s9, exec_lo, s9
	s_cbranch_execz .LBB95_4118
; %bb.3903:
	v_bfe_u32 v5, v4, 21, 1
	s_mov_b32 s8, exec_lo
	s_delay_alu instid0(VALU_DEP_1) | instskip(NEXT) | instid1(VALU_DEP_1)
	v_add3_u32 v5, v4, v5, 0x88fffff
	v_lshrrev_b32_e32 v5, 21, v5
	s_and_not1_saveexec_b32 s9, s9
	s_cbranch_execnz .LBB95_4119
.LBB95_3904:
	s_or_b32 exec_lo, exec_lo, s9
	v_mov_b32_e32 v6, 0
	s_and_saveexec_b32 s9, s8
.LBB95_3905:
	v_lshrrev_b32_e32 v4, 24, v4
	s_delay_alu instid0(VALU_DEP_1)
	v_and_or_b32 v6, 0x80, v4, v5
.LBB95_3906:
	s_or_b32 exec_lo, exec_lo, s9
.LBB95_3907:
	s_delay_alu instid0(SALU_CYCLE_1)
	s_or_b32 exec_lo, exec_lo, s7
	s_mov_b32 s7, 0
	global_store_b8 v[2:3], v6, off
.LBB95_3908:
	s_and_b32 vcc_lo, exec_lo, s7
	s_cbranch_vccz .LBB95_3918
; %bb.3909:
	s_wait_xcnt 0x0
	v_bfe_i32 v4, v1, 0, 16
	s_mov_b32 s7, exec_lo
                                        ; implicit-def: $vgpr5
	s_delay_alu instid0(VALU_DEP_1) | instskip(NEXT) | instid1(VALU_DEP_1)
	v_cvt_f32_i32_e32 v4, v4
	v_and_b32_e32 v6, 0x7fffffff, v4
	s_delay_alu instid0(VALU_DEP_1)
	v_cmpx_gt_u32_e32 0x43f00000, v6
	s_xor_b32 s7, exec_lo, s7
	s_cbranch_execz .LBB95_3915
; %bb.3910:
	s_mov_b32 s8, exec_lo
                                        ; implicit-def: $vgpr5
	v_cmpx_lt_u32_e32 0x3c7fffff, v6
	s_xor_b32 s8, exec_lo, s8
; %bb.3911:
	v_bfe_u32 v5, v4, 20, 1
	s_delay_alu instid0(VALU_DEP_1) | instskip(NEXT) | instid1(VALU_DEP_1)
	v_add3_u32 v5, v4, v5, 0x407ffff
	v_and_b32_e32 v6, 0xff00000, v5
	v_lshrrev_b32_e32 v5, 20, v5
	s_delay_alu instid0(VALU_DEP_2) | instskip(NEXT) | instid1(VALU_DEP_2)
	v_cmp_ne_u32_e32 vcc_lo, 0x7f00000, v6
	v_cndmask_b32_e32 v5, 0x7e, v5, vcc_lo
; %bb.3912:
	s_and_not1_saveexec_b32 s8, s8
; %bb.3913:
	v_add_f32_e64 v5, 0x46800000, |v4|
; %bb.3914:
	s_or_b32 exec_lo, exec_lo, s8
                                        ; implicit-def: $vgpr6
.LBB95_3915:
	s_and_not1_saveexec_b32 s7, s7
; %bb.3916:
	v_mov_b32_e32 v5, 0x7f
	v_cmp_lt_u32_e32 vcc_lo, 0x7f800000, v6
	s_delay_alu instid0(VALU_DEP_2)
	v_cndmask_b32_e32 v5, 0x7e, v5, vcc_lo
; %bb.3917:
	s_or_b32 exec_lo, exec_lo, s7
	v_lshrrev_b32_e32 v4, 24, v4
	s_delay_alu instid0(VALU_DEP_1)
	v_and_or_b32 v4, 0x80, v4, v5
	global_store_b8 v[2:3], v4, off
.LBB95_3918:
	s_mov_b32 s7, 0
.LBB95_3919:
	s_delay_alu instid0(SALU_CYCLE_1)
	s_and_not1_b32 vcc_lo, exec_lo, s7
	s_cbranch_vccnz .LBB95_3929
; %bb.3920:
	s_wait_xcnt 0x0
	v_bfe_i32 v4, v1, 0, 16
	s_mov_b32 s7, exec_lo
                                        ; implicit-def: $vgpr5
	s_delay_alu instid0(VALU_DEP_1) | instskip(NEXT) | instid1(VALU_DEP_1)
	v_cvt_f32_i32_e32 v4, v4
	v_and_b32_e32 v6, 0x7fffffff, v4
	s_delay_alu instid0(VALU_DEP_1)
	v_cmpx_gt_u32_e32 0x47800000, v6
	s_xor_b32 s7, exec_lo, s7
	s_cbranch_execz .LBB95_3926
; %bb.3921:
	s_mov_b32 s8, exec_lo
                                        ; implicit-def: $vgpr5
	v_cmpx_lt_u32_e32 0x387fffff, v6
	s_xor_b32 s8, exec_lo, s8
; %bb.3922:
	v_bfe_u32 v5, v4, 21, 1
	s_delay_alu instid0(VALU_DEP_1) | instskip(NEXT) | instid1(VALU_DEP_1)
	v_add3_u32 v5, v4, v5, 0x80fffff
	v_lshrrev_b32_e32 v5, 21, v5
; %bb.3923:
	s_and_not1_saveexec_b32 s8, s8
; %bb.3924:
	v_add_f32_e64 v5, 0x43000000, |v4|
; %bb.3925:
	s_or_b32 exec_lo, exec_lo, s8
                                        ; implicit-def: $vgpr6
.LBB95_3926:
	s_and_not1_saveexec_b32 s7, s7
; %bb.3927:
	v_mov_b32_e32 v5, 0x7f
	v_cmp_lt_u32_e32 vcc_lo, 0x7f800000, v6
	s_delay_alu instid0(VALU_DEP_2)
	v_cndmask_b32_e32 v5, 0x7c, v5, vcc_lo
; %bb.3928:
	s_or_b32 exec_lo, exec_lo, s7
	v_lshrrev_b32_e32 v4, 24, v4
	s_delay_alu instid0(VALU_DEP_1)
	v_and_or_b32 v4, 0x80, v4, v5
	global_store_b8 v[2:3], v4, off
.LBB95_3929:
	s_mov_b32 s7, 0
	s_mov_b32 s8, -1
.LBB95_3930:
	s_and_not1_b32 vcc_lo, exec_lo, s7
	s_mov_b32 s7, 0
	s_cbranch_vccnz .LBB95_3937
; %bb.3931:
	s_cmp_gt_i32 s3, 14
	s_mov_b32 s7, -1
	s_cbranch_scc0 .LBB95_3935
; %bb.3932:
	s_cmp_eq_u32 s3, 15
	s_mov_b32 s0, -1
	s_cbranch_scc0 .LBB95_3934
; %bb.3933:
	s_wait_xcnt 0x0
	v_bfe_i32 v4, v1, 0, 16
	s_mov_b32 s0, 0
	s_mov_b32 s8, -1
	s_delay_alu instid0(VALU_DEP_1) | instskip(NEXT) | instid1(VALU_DEP_1)
	v_cvt_f32_i32_e32 v4, v4
	v_bfe_u32 v5, v4, 16, 1
	s_delay_alu instid0(VALU_DEP_1)
	v_add3_u32 v4, v4, v5, 0x7fff
	global_store_d16_hi_b16 v[2:3], v4, off
.LBB95_3934:
	s_mov_b32 s7, 0
.LBB95_3935:
	s_delay_alu instid0(SALU_CYCLE_1)
	s_and_b32 vcc_lo, exec_lo, s7
	s_mov_b32 s7, 0
	s_cbranch_vccz .LBB95_3937
; %bb.3936:
	s_cmp_lg_u32 s3, 11
	s_mov_b32 s7, -1
	s_cselect_b32 s0, -1, 0
.LBB95_3937:
	s_delay_alu instid0(SALU_CYCLE_1)
	s_and_b32 vcc_lo, exec_lo, s0
	s_cbranch_vccnz .LBB95_4117
; %bb.3938:
	s_and_not1_b32 vcc_lo, exec_lo, s7
	s_cbranch_vccnz .LBB95_3940
.LBB95_3939:
	v_cmp_ne_u16_e32 vcc_lo, 0, v1
	s_mov_b32 s8, -1
	s_wait_xcnt 0x0
	v_cndmask_b32_e64 v4, 0, 1, vcc_lo
	global_store_b8 v[2:3], v4, off
.LBB95_3940:
	s_mov_b32 s0, 0
	s_branch .LBB95_3942
.LBB95_3941:
	s_mov_b32 s0, -1
	s_mov_b32 s8, 0
.LBB95_3942:
	s_and_b32 vcc_lo, exec_lo, s0
	s_cbranch_vccz .LBB95_3981
; %bb.3943:
	s_cmp_lt_i32 s3, 5
	s_mov_b32 s0, -1
	s_cbranch_scc1 .LBB95_3964
; %bb.3944:
	s_cmp_lt_i32 s3, 8
	s_cbranch_scc1 .LBB95_3954
; %bb.3945:
	s_cmp_lt_i32 s3, 9
	s_cbranch_scc1 .LBB95_3951
; %bb.3946:
	s_cmp_gt_i32 s3, 9
	s_cbranch_scc0 .LBB95_3948
; %bb.3947:
	s_wait_xcnt 0x0
	v_bfe_i32 v4, v1, 0, 16
	v_mov_b32_e32 v6, 0
	s_mov_b32 s0, 0
	s_delay_alu instid0(VALU_DEP_2) | instskip(NEXT) | instid1(VALU_DEP_2)
	v_cvt_f64_i32_e32 v[4:5], v4
	v_mov_b32_e32 v7, v6
	global_store_b128 v[2:3], v[4:7], off
.LBB95_3948:
	s_and_not1_b32 vcc_lo, exec_lo, s0
	s_cbranch_vccnz .LBB95_3950
; %bb.3949:
	s_wait_xcnt 0x0
	v_bfe_i32 v4, v1, 0, 16
	v_mov_b32_e32 v5, 0
	s_delay_alu instid0(VALU_DEP_2)
	v_cvt_f32_i32_e32 v4, v4
	global_store_b64 v[2:3], v[4:5], off
.LBB95_3950:
	s_mov_b32 s0, 0
.LBB95_3951:
	s_delay_alu instid0(SALU_CYCLE_1)
	s_and_not1_b32 vcc_lo, exec_lo, s0
	s_cbranch_vccnz .LBB95_3953
; %bb.3952:
	s_wait_xcnt 0x0
	v_cvt_f16_i16_e32 v4, v1
	s_delay_alu instid0(VALU_DEP_1)
	v_and_b32_e32 v4, 0xffff, v4
	global_store_b32 v[2:3], v4, off
.LBB95_3953:
	s_mov_b32 s0, 0
.LBB95_3954:
	s_delay_alu instid0(SALU_CYCLE_1)
	s_and_not1_b32 vcc_lo, exec_lo, s0
	s_cbranch_vccnz .LBB95_3963
; %bb.3955:
	s_cmp_lt_i32 s3, 6
	s_mov_b32 s0, -1
	s_cbranch_scc1 .LBB95_3961
; %bb.3956:
	s_cmp_gt_i32 s3, 6
	s_cbranch_scc0 .LBB95_3958
; %bb.3957:
	s_wait_xcnt 0x0
	v_bfe_i32 v4, v1, 0, 16
	s_mov_b32 s0, 0
	s_delay_alu instid0(VALU_DEP_1)
	v_cvt_f64_i32_e32 v[4:5], v4
	global_store_b64 v[2:3], v[4:5], off
.LBB95_3958:
	s_and_not1_b32 vcc_lo, exec_lo, s0
	s_cbranch_vccnz .LBB95_3960
; %bb.3959:
	s_wait_xcnt 0x0
	v_bfe_i32 v4, v1, 0, 16
	s_delay_alu instid0(VALU_DEP_1)
	v_cvt_f32_i32_e32 v4, v4
	global_store_b32 v[2:3], v4, off
.LBB95_3960:
	s_mov_b32 s0, 0
.LBB95_3961:
	s_delay_alu instid0(SALU_CYCLE_1)
	s_and_not1_b32 vcc_lo, exec_lo, s0
	s_cbranch_vccnz .LBB95_3963
; %bb.3962:
	s_wait_xcnt 0x0
	v_cvt_f16_i16_e32 v4, v1
	global_store_b16 v[2:3], v4, off
.LBB95_3963:
	s_mov_b32 s0, 0
.LBB95_3964:
	s_delay_alu instid0(SALU_CYCLE_1)
	s_and_not1_b32 vcc_lo, exec_lo, s0
	s_cbranch_vccnz .LBB95_3980
; %bb.3965:
	s_cmp_lt_i32 s3, 2
	s_mov_b32 s0, -1
	s_cbranch_scc1 .LBB95_3975
; %bb.3966:
	s_cmp_lt_i32 s3, 3
	s_cbranch_scc1 .LBB95_3972
; %bb.3967:
	s_cmp_gt_i32 s3, 3
	s_cbranch_scc0 .LBB95_3969
; %bb.3968:
	s_wait_xcnt 0x0
	v_bfe_i32 v4, v1, 0, 16
	s_mov_b32 s0, 0
	s_delay_alu instid0(VALU_DEP_1)
	v_ashrrev_i32_e32 v5, 31, v4
	global_store_b64 v[2:3], v[4:5], off
.LBB95_3969:
	s_and_not1_b32 vcc_lo, exec_lo, s0
	s_cbranch_vccnz .LBB95_3971
; %bb.3970:
	s_wait_xcnt 0x0
	v_bfe_i32 v4, v1, 0, 16
	global_store_b32 v[2:3], v4, off
.LBB95_3971:
	s_mov_b32 s0, 0
.LBB95_3972:
	s_delay_alu instid0(SALU_CYCLE_1)
	s_and_not1_b32 vcc_lo, exec_lo, s0
	s_cbranch_vccnz .LBB95_3974
; %bb.3973:
	global_store_b16 v[2:3], v1, off
.LBB95_3974:
	s_mov_b32 s0, 0
.LBB95_3975:
	s_delay_alu instid0(SALU_CYCLE_1)
	s_and_not1_b32 vcc_lo, exec_lo, s0
	s_cbranch_vccnz .LBB95_3980
; %bb.3976:
	s_cmp_gt_i32 s3, 0
	s_mov_b32 s0, -1
	s_cbranch_scc0 .LBB95_3978
; %bb.3977:
	s_mov_b32 s0, 0
	global_store_b8 v[2:3], v1, off
.LBB95_3978:
	s_and_not1_b32 vcc_lo, exec_lo, s0
	s_cbranch_vccnz .LBB95_3980
; %bb.3979:
	global_store_b8 v[2:3], v1, off
.LBB95_3980:
	s_mov_b32 s8, -1
.LBB95_3981:
	s_delay_alu instid0(SALU_CYCLE_1)
	s_and_not1_b32 vcc_lo, exec_lo, s8
	s_cbranch_vccnz .LBB95_4058
; %bb.3982:
	s_wait_xcnt 0x0
	v_mov_b32_e32 v1, 0
	v_mul_lo_u16 v4, v20, s2
	v_mul_lo_u16 v5, v14, s6
	s_cmp_lt_i32 s3, 11
	s_delay_alu instid0(VALU_DEP_3) | instskip(NEXT) | instid1(VALU_DEP_2)
	v_add_nc_u64_e32 v[2:3], s[4:5], v[0:1]
	v_mad_u16 v4, v5, v10, v4
	s_cbranch_scc1 .LBB95_4103
; %bb.3983:
	s_mov_b32 s4, -1
	s_mov_b32 s2, 0
	s_cmp_gt_i32 s3, 25
	s_mov_b32 s0, 0
	s_cbranch_scc0 .LBB95_4016
; %bb.3984:
	s_cmp_gt_i32 s3, 28
	s_cbranch_scc0 .LBB95_4000
; %bb.3985:
	s_cmp_gt_i32 s3, 43
	;; [unrolled: 3-line block ×3, first 2 shown]
	s_cbranch_scc0 .LBB95_3990
; %bb.3987:
	s_cmp_eq_u32 s3, 46
	s_mov_b32 s0, -1
	s_cbranch_scc0 .LBB95_3989
; %bb.3988:
	v_bfe_i32 v0, v4, 0, 16
	s_mov_b32 s0, 0
	s_delay_alu instid0(VALU_DEP_1) | instskip(NEXT) | instid1(VALU_DEP_1)
	v_cvt_f32_i32_e32 v0, v0
	v_bfe_u32 v1, v0, 16, 1
	s_delay_alu instid0(VALU_DEP_1) | instskip(NEXT) | instid1(VALU_DEP_1)
	v_add3_u32 v0, v0, v1, 0x7fff
	v_lshrrev_b32_e32 v0, 16, v0
	global_store_b32 v[2:3], v0, off
.LBB95_3989:
	s_mov_b32 s4, 0
.LBB95_3990:
	s_delay_alu instid0(SALU_CYCLE_1)
	s_and_b32 vcc_lo, exec_lo, s4
	s_cbranch_vccz .LBB95_3995
; %bb.3991:
	s_cmp_eq_u32 s3, 44
	s_mov_b32 s0, -1
	s_cbranch_scc0 .LBB95_3995
; %bb.3992:
	s_wait_xcnt 0x0
	v_bfe_i32 v0, v4, 0, 16
	v_mov_b32_e32 v1, 0xff
	s_mov_b32 s4, exec_lo
	s_delay_alu instid0(VALU_DEP_2) | instskip(NEXT) | instid1(VALU_DEP_1)
	v_cvt_f32_i32_e32 v0, v0
	v_bfe_u32 v5, v0, 23, 8
	s_delay_alu instid0(VALU_DEP_1)
	v_cmpx_ne_u32_e32 0xff, v5
	s_cbranch_execz .LBB95_3994
; %bb.3993:
	v_and_b32_e32 v1, 0x400000, v0
	v_and_or_b32 v5, 0x3fffff, v0, v5
	v_lshrrev_b32_e32 v0, 23, v0
	s_delay_alu instid0(VALU_DEP_3) | instskip(NEXT) | instid1(VALU_DEP_3)
	v_cmp_ne_u32_e32 vcc_lo, 0, v1
	v_cmp_ne_u32_e64 s0, 0, v5
	s_and_b32 s0, vcc_lo, s0
	s_delay_alu instid0(SALU_CYCLE_1) | instskip(NEXT) | instid1(VALU_DEP_1)
	v_cndmask_b32_e64 v1, 0, 1, s0
	v_add_nc_u32_e32 v1, v0, v1
.LBB95_3994:
	s_or_b32 exec_lo, exec_lo, s4
	s_mov_b32 s0, 0
	global_store_b8 v[2:3], v1, off
.LBB95_3995:
	s_mov_b32 s4, 0
.LBB95_3996:
	s_delay_alu instid0(SALU_CYCLE_1)
	s_and_b32 vcc_lo, exec_lo, s4
	s_cbranch_vccz .LBB95_3999
; %bb.3997:
	s_cmp_eq_u32 s3, 29
	s_mov_b32 s0, -1
	s_cbranch_scc0 .LBB95_3999
; %bb.3998:
	s_wait_xcnt 0x0
	v_bfe_i32 v0, v4, 0, 16
	s_mov_b32 s0, 0
	s_delay_alu instid0(VALU_DEP_1)
	v_ashrrev_i32_e32 v1, 31, v0
	global_store_b64 v[2:3], v[0:1], off
.LBB95_3999:
	s_mov_b32 s4, 0
.LBB95_4000:
	s_delay_alu instid0(SALU_CYCLE_1)
	s_and_b32 vcc_lo, exec_lo, s4
	s_cbranch_vccz .LBB95_4015
; %bb.4001:
	s_cmp_lt_i32 s3, 27
	s_mov_b32 s4, -1
	s_cbranch_scc1 .LBB95_4007
; %bb.4002:
	s_cmp_gt_i32 s3, 27
	s_cbranch_scc0 .LBB95_4004
; %bb.4003:
	s_wait_xcnt 0x0
	v_bfe_i32 v0, v4, 0, 16
	s_mov_b32 s4, 0
	global_store_b32 v[2:3], v0, off
.LBB95_4004:
	s_and_not1_b32 vcc_lo, exec_lo, s4
	s_cbranch_vccnz .LBB95_4006
; %bb.4005:
	global_store_b16 v[2:3], v4, off
.LBB95_4006:
	s_mov_b32 s4, 0
.LBB95_4007:
	s_delay_alu instid0(SALU_CYCLE_1)
	s_and_not1_b32 vcc_lo, exec_lo, s4
	s_cbranch_vccnz .LBB95_4015
; %bb.4008:
	s_wait_xcnt 0x0
	v_bfe_i32 v0, v4, 0, 16
	v_mov_b32_e32 v5, 0x80
	s_mov_b32 s4, exec_lo
	s_delay_alu instid0(VALU_DEP_2) | instskip(NEXT) | instid1(VALU_DEP_1)
	v_cvt_f32_i32_e32 v0, v0
	v_and_b32_e32 v1, 0x7fffffff, v0
	s_delay_alu instid0(VALU_DEP_1)
	v_cmpx_gt_u32_e32 0x43800000, v1
	s_cbranch_execz .LBB95_4014
; %bb.4009:
	v_cmp_lt_u32_e32 vcc_lo, 0x3bffffff, v1
	s_mov_b32 s5, 0
                                        ; implicit-def: $vgpr1
	s_and_saveexec_b32 s6, vcc_lo
	s_delay_alu instid0(SALU_CYCLE_1)
	s_xor_b32 s6, exec_lo, s6
	s_cbranch_execz .LBB95_4120
; %bb.4010:
	v_bfe_u32 v1, v0, 20, 1
	s_mov_b32 s5, exec_lo
	s_delay_alu instid0(VALU_DEP_1) | instskip(NEXT) | instid1(VALU_DEP_1)
	v_add3_u32 v1, v0, v1, 0x487ffff
	v_lshrrev_b32_e32 v1, 20, v1
	s_and_not1_saveexec_b32 s6, s6
	s_cbranch_execnz .LBB95_4121
.LBB95_4011:
	s_or_b32 exec_lo, exec_lo, s6
	v_mov_b32_e32 v5, 0
	s_and_saveexec_b32 s6, s5
.LBB95_4012:
	v_lshrrev_b32_e32 v0, 24, v0
	s_delay_alu instid0(VALU_DEP_1)
	v_and_or_b32 v5, 0x80, v0, v1
.LBB95_4013:
	s_or_b32 exec_lo, exec_lo, s6
.LBB95_4014:
	s_delay_alu instid0(SALU_CYCLE_1)
	s_or_b32 exec_lo, exec_lo, s4
	global_store_b8 v[2:3], v5, off
.LBB95_4015:
	s_mov_b32 s4, 0
.LBB95_4016:
	s_delay_alu instid0(SALU_CYCLE_1)
	s_and_b32 vcc_lo, exec_lo, s4
	s_cbranch_vccz .LBB95_4056
; %bb.4017:
	s_cmp_gt_i32 s3, 22
	s_mov_b32 s2, -1
	s_cbranch_scc0 .LBB95_4049
; %bb.4018:
	s_cmp_lt_i32 s3, 24
	s_cbranch_scc1 .LBB95_4038
; %bb.4019:
	s_cmp_gt_i32 s3, 24
	s_cbranch_scc0 .LBB95_4027
; %bb.4020:
	s_wait_xcnt 0x0
	v_bfe_i32 v0, v4, 0, 16
	v_mov_b32_e32 v5, 0x80
	s_mov_b32 s2, exec_lo
	s_delay_alu instid0(VALU_DEP_2) | instskip(NEXT) | instid1(VALU_DEP_1)
	v_cvt_f32_i32_e32 v0, v0
	v_and_b32_e32 v1, 0x7fffffff, v0
	s_delay_alu instid0(VALU_DEP_1)
	v_cmpx_gt_u32_e32 0x47800000, v1
	s_cbranch_execz .LBB95_4026
; %bb.4021:
	v_cmp_lt_u32_e32 vcc_lo, 0x37ffffff, v1
	s_mov_b32 s4, 0
                                        ; implicit-def: $vgpr1
	s_and_saveexec_b32 s5, vcc_lo
	s_delay_alu instid0(SALU_CYCLE_1)
	s_xor_b32 s5, exec_lo, s5
	s_cbranch_execz .LBB95_4123
; %bb.4022:
	v_bfe_u32 v1, v0, 21, 1
	s_mov_b32 s4, exec_lo
	s_delay_alu instid0(VALU_DEP_1) | instskip(NEXT) | instid1(VALU_DEP_1)
	v_add3_u32 v1, v0, v1, 0x88fffff
	v_lshrrev_b32_e32 v1, 21, v1
	s_and_not1_saveexec_b32 s5, s5
	s_cbranch_execnz .LBB95_4124
.LBB95_4023:
	s_or_b32 exec_lo, exec_lo, s5
	v_mov_b32_e32 v5, 0
	s_and_saveexec_b32 s5, s4
.LBB95_4024:
	v_lshrrev_b32_e32 v0, 24, v0
	s_delay_alu instid0(VALU_DEP_1)
	v_and_or_b32 v5, 0x80, v0, v1
.LBB95_4025:
	s_or_b32 exec_lo, exec_lo, s5
.LBB95_4026:
	s_delay_alu instid0(SALU_CYCLE_1)
	s_or_b32 exec_lo, exec_lo, s2
	s_mov_b32 s2, 0
	global_store_b8 v[2:3], v5, off
.LBB95_4027:
	s_and_b32 vcc_lo, exec_lo, s2
	s_cbranch_vccz .LBB95_4037
; %bb.4028:
	s_wait_xcnt 0x0
	v_bfe_i32 v0, v4, 0, 16
	s_mov_b32 s2, exec_lo
                                        ; implicit-def: $vgpr1
	s_delay_alu instid0(VALU_DEP_1) | instskip(NEXT) | instid1(VALU_DEP_1)
	v_cvt_f32_i32_e32 v0, v0
	v_and_b32_e32 v5, 0x7fffffff, v0
	s_delay_alu instid0(VALU_DEP_1)
	v_cmpx_gt_u32_e32 0x43f00000, v5
	s_xor_b32 s2, exec_lo, s2
	s_cbranch_execz .LBB95_4034
; %bb.4029:
	s_mov_b32 s4, exec_lo
                                        ; implicit-def: $vgpr1
	v_cmpx_lt_u32_e32 0x3c7fffff, v5
	s_xor_b32 s4, exec_lo, s4
; %bb.4030:
	v_bfe_u32 v1, v0, 20, 1
	s_delay_alu instid0(VALU_DEP_1) | instskip(NEXT) | instid1(VALU_DEP_1)
	v_add3_u32 v1, v0, v1, 0x407ffff
	v_and_b32_e32 v5, 0xff00000, v1
	v_lshrrev_b32_e32 v1, 20, v1
	s_delay_alu instid0(VALU_DEP_2) | instskip(NEXT) | instid1(VALU_DEP_2)
	v_cmp_ne_u32_e32 vcc_lo, 0x7f00000, v5
	v_cndmask_b32_e32 v1, 0x7e, v1, vcc_lo
; %bb.4031:
	s_and_not1_saveexec_b32 s4, s4
; %bb.4032:
	v_add_f32_e64 v1, 0x46800000, |v0|
; %bb.4033:
	s_or_b32 exec_lo, exec_lo, s4
                                        ; implicit-def: $vgpr5
.LBB95_4034:
	s_and_not1_saveexec_b32 s2, s2
; %bb.4035:
	v_mov_b32_e32 v1, 0x7f
	v_cmp_lt_u32_e32 vcc_lo, 0x7f800000, v5
	s_delay_alu instid0(VALU_DEP_2)
	v_cndmask_b32_e32 v1, 0x7e, v1, vcc_lo
; %bb.4036:
	s_or_b32 exec_lo, exec_lo, s2
	v_lshrrev_b32_e32 v0, 24, v0
	s_delay_alu instid0(VALU_DEP_1)
	v_and_or_b32 v0, 0x80, v0, v1
	global_store_b8 v[2:3], v0, off
.LBB95_4037:
	s_mov_b32 s2, 0
.LBB95_4038:
	s_delay_alu instid0(SALU_CYCLE_1)
	s_and_not1_b32 vcc_lo, exec_lo, s2
	s_cbranch_vccnz .LBB95_4048
; %bb.4039:
	s_wait_xcnt 0x0
	v_bfe_i32 v0, v4, 0, 16
	s_mov_b32 s2, exec_lo
                                        ; implicit-def: $vgpr1
	s_delay_alu instid0(VALU_DEP_1) | instskip(NEXT) | instid1(VALU_DEP_1)
	v_cvt_f32_i32_e32 v0, v0
	v_and_b32_e32 v5, 0x7fffffff, v0
	s_delay_alu instid0(VALU_DEP_1)
	v_cmpx_gt_u32_e32 0x47800000, v5
	s_xor_b32 s2, exec_lo, s2
	s_cbranch_execz .LBB95_4045
; %bb.4040:
	s_mov_b32 s4, exec_lo
                                        ; implicit-def: $vgpr1
	v_cmpx_lt_u32_e32 0x387fffff, v5
	s_xor_b32 s4, exec_lo, s4
; %bb.4041:
	v_bfe_u32 v1, v0, 21, 1
	s_delay_alu instid0(VALU_DEP_1) | instskip(NEXT) | instid1(VALU_DEP_1)
	v_add3_u32 v1, v0, v1, 0x80fffff
	v_lshrrev_b32_e32 v1, 21, v1
; %bb.4042:
	s_and_not1_saveexec_b32 s4, s4
; %bb.4043:
	v_add_f32_e64 v1, 0x43000000, |v0|
; %bb.4044:
	s_or_b32 exec_lo, exec_lo, s4
                                        ; implicit-def: $vgpr5
.LBB95_4045:
	s_and_not1_saveexec_b32 s2, s2
; %bb.4046:
	v_mov_b32_e32 v1, 0x7f
	v_cmp_lt_u32_e32 vcc_lo, 0x7f800000, v5
	s_delay_alu instid0(VALU_DEP_2)
	v_cndmask_b32_e32 v1, 0x7c, v1, vcc_lo
; %bb.4047:
	s_or_b32 exec_lo, exec_lo, s2
	v_lshrrev_b32_e32 v0, 24, v0
	s_delay_alu instid0(VALU_DEP_1)
	v_and_or_b32 v0, 0x80, v0, v1
	global_store_b8 v[2:3], v0, off
.LBB95_4048:
	s_mov_b32 s2, 0
.LBB95_4049:
	s_delay_alu instid0(SALU_CYCLE_1)
	s_and_not1_b32 vcc_lo, exec_lo, s2
	s_mov_b32 s2, 0
	s_cbranch_vccnz .LBB95_4056
; %bb.4050:
	s_cmp_gt_i32 s3, 14
	s_mov_b32 s2, -1
	s_cbranch_scc0 .LBB95_4054
; %bb.4051:
	s_cmp_eq_u32 s3, 15
	s_mov_b32 s0, -1
	s_cbranch_scc0 .LBB95_4053
; %bb.4052:
	s_wait_xcnt 0x0
	v_bfe_i32 v0, v4, 0, 16
	s_mov_b32 s0, 0
	s_delay_alu instid0(VALU_DEP_1) | instskip(NEXT) | instid1(VALU_DEP_1)
	v_cvt_f32_i32_e32 v0, v0
	v_bfe_u32 v1, v0, 16, 1
	s_delay_alu instid0(VALU_DEP_1)
	v_add3_u32 v0, v0, v1, 0x7fff
	global_store_d16_hi_b16 v[2:3], v0, off
.LBB95_4053:
	s_mov_b32 s2, 0
.LBB95_4054:
	s_delay_alu instid0(SALU_CYCLE_1)
	s_and_b32 vcc_lo, exec_lo, s2
	s_mov_b32 s2, 0
	s_cbranch_vccz .LBB95_4056
; %bb.4055:
	s_cmp_lg_u32 s3, 11
	s_mov_b32 s2, -1
	s_cselect_b32 s0, -1, 0
.LBB95_4056:
	s_delay_alu instid0(SALU_CYCLE_1)
	s_and_b32 vcc_lo, exec_lo, s0
	s_cbranch_vccnz .LBB95_4122
.LBB95_4057:
	s_mov_b32 s0, 0
	s_branch .LBB95_4059
.LBB95_4058:
	s_mov_b32 s0, 0
	s_wait_xcnt 0x0
	s_mov_b32 s2, 0
                                        ; implicit-def: $vgpr2_vgpr3
                                        ; implicit-def: $sgpr1
                                        ; implicit-def: $vgpr4
.LBB95_4059:
	s_and_not1_b32 s3, s10, exec_lo
	s_and_b32 s4, s12, exec_lo
	s_and_b32 s0, s0, exec_lo
	;; [unrolled: 1-line block ×3, first 2 shown]
	s_or_b32 s10, s3, s4
.LBB95_4060:
	s_wait_xcnt 0x0
	s_or_b32 exec_lo, exec_lo, s11
	s_and_saveexec_b32 s2, s10
	s_cbranch_execz .LBB95_4063
; %bb.4061:
	; divergent unreachable
	s_or_b32 exec_lo, exec_lo, s2
	s_and_saveexec_b32 s2, s37
	s_delay_alu instid0(SALU_CYCLE_1)
	s_xor_b32 s2, exec_lo, s2
	s_cbranch_execnz .LBB95_4064
.LBB95_4062:
	s_or_b32 exec_lo, exec_lo, s2
	s_and_saveexec_b32 s2, s0
	s_cbranch_execnz .LBB95_4065
	s_branch .LBB95_4102
.LBB95_4063:
	s_or_b32 exec_lo, exec_lo, s2
	s_and_saveexec_b32 s2, s37
	s_delay_alu instid0(SALU_CYCLE_1)
	s_xor_b32 s2, exec_lo, s2
	s_cbranch_execz .LBB95_4062
.LBB95_4064:
	s_wait_loadcnt 0x0
	v_cmp_ne_u16_e32 vcc_lo, 0, v4
	v_cndmask_b32_e64 v0, 0, 1, vcc_lo
	global_store_b8 v[2:3], v0, off
	s_wait_xcnt 0x0
	s_or_b32 exec_lo, exec_lo, s2
	s_and_saveexec_b32 s2, s0
	s_cbranch_execz .LBB95_4102
.LBB95_4065:
	s_sext_i32_i16 s2, s1
	s_mov_b32 s0, -1
	s_cmp_lt_i32 s2, 5
	s_cbranch_scc1 .LBB95_4086
; %bb.4066:
	s_cmp_lt_i32 s2, 8
	s_cbranch_scc1 .LBB95_4076
; %bb.4067:
	;; [unrolled: 3-line block ×3, first 2 shown]
	s_cmp_gt_i32 s2, 9
	s_cbranch_scc0 .LBB95_4070
; %bb.4069:
	s_wait_loadcnt 0x0
	v_bfe_i32 v0, v4, 0, 16
	v_mov_b32_e32 v8, 0
	s_mov_b32 s0, 0
	s_delay_alu instid0(VALU_DEP_2) | instskip(NEXT) | instid1(VALU_DEP_2)
	v_cvt_f64_i32_e32 v[6:7], v0
	v_mov_b32_e32 v9, v8
	global_store_b128 v[2:3], v[6:9], off
.LBB95_4070:
	s_and_not1_b32 vcc_lo, exec_lo, s0
	s_cbranch_vccnz .LBB95_4072
; %bb.4071:
	s_wait_loadcnt 0x0
	v_bfe_i32 v0, v4, 0, 16
	v_mov_b32_e32 v1, 0
	s_delay_alu instid0(VALU_DEP_2)
	v_cvt_f32_i32_e32 v0, v0
	global_store_b64 v[2:3], v[0:1], off
.LBB95_4072:
	s_mov_b32 s0, 0
.LBB95_4073:
	s_delay_alu instid0(SALU_CYCLE_1)
	s_and_not1_b32 vcc_lo, exec_lo, s0
	s_cbranch_vccnz .LBB95_4075
; %bb.4074:
	s_wait_loadcnt 0x0
	v_cvt_f16_i16_e32 v0, v4
	s_delay_alu instid0(VALU_DEP_1)
	v_and_b32_e32 v0, 0xffff, v0
	global_store_b32 v[2:3], v0, off
.LBB95_4075:
	s_mov_b32 s0, 0
.LBB95_4076:
	s_delay_alu instid0(SALU_CYCLE_1)
	s_and_not1_b32 vcc_lo, exec_lo, s0
	s_cbranch_vccnz .LBB95_4085
; %bb.4077:
	s_sext_i32_i16 s2, s1
	s_mov_b32 s0, -1
	s_cmp_lt_i32 s2, 6
	s_cbranch_scc1 .LBB95_4083
; %bb.4078:
	s_cmp_gt_i32 s2, 6
	s_cbranch_scc0 .LBB95_4080
; %bb.4079:
	s_wait_loadcnt 0x0
	v_bfe_i32 v0, v4, 0, 16
	s_mov_b32 s0, 0
	s_delay_alu instid0(VALU_DEP_1)
	v_cvt_f64_i32_e32 v[0:1], v0
	global_store_b64 v[2:3], v[0:1], off
.LBB95_4080:
	s_and_not1_b32 vcc_lo, exec_lo, s0
	s_cbranch_vccnz .LBB95_4082
; %bb.4081:
	s_wait_loadcnt 0x0
	v_bfe_i32 v0, v4, 0, 16
	s_delay_alu instid0(VALU_DEP_1)
	v_cvt_f32_i32_e32 v0, v0
	global_store_b32 v[2:3], v0, off
.LBB95_4082:
	s_mov_b32 s0, 0
.LBB95_4083:
	s_delay_alu instid0(SALU_CYCLE_1)
	s_and_not1_b32 vcc_lo, exec_lo, s0
	s_cbranch_vccnz .LBB95_4085
; %bb.4084:
	s_wait_loadcnt 0x0
	v_cvt_f16_i16_e32 v0, v4
	global_store_b16 v[2:3], v0, off
.LBB95_4085:
	s_mov_b32 s0, 0
.LBB95_4086:
	s_delay_alu instid0(SALU_CYCLE_1)
	s_and_not1_b32 vcc_lo, exec_lo, s0
	s_cbranch_vccnz .LBB95_4102
; %bb.4087:
	s_sext_i32_i16 s2, s1
	s_mov_b32 s0, -1
	s_cmp_lt_i32 s2, 2
	s_cbranch_scc1 .LBB95_4097
; %bb.4088:
	s_cmp_lt_i32 s2, 3
	s_cbranch_scc1 .LBB95_4094
; %bb.4089:
	s_wait_loadcnt 0x0
	v_bfe_i32 v0, v4, 0, 16
	s_cmp_gt_i32 s2, 3
	s_cbranch_scc0 .LBB95_4091
; %bb.4090:
	s_delay_alu instid0(VALU_DEP_1)
	v_ashrrev_i32_e32 v1, 31, v0
	s_mov_b32 s0, 0
	global_store_b64 v[2:3], v[0:1], off
.LBB95_4091:
	s_and_not1_b32 vcc_lo, exec_lo, s0
	s_cbranch_vccnz .LBB95_4093
; %bb.4092:
	global_store_b32 v[2:3], v0, off
.LBB95_4093:
	s_mov_b32 s0, 0
.LBB95_4094:
	s_delay_alu instid0(SALU_CYCLE_1)
	s_and_not1_b32 vcc_lo, exec_lo, s0
	s_cbranch_vccnz .LBB95_4096
; %bb.4095:
	s_wait_loadcnt 0x0
	global_store_b16 v[2:3], v4, off
.LBB95_4096:
	s_mov_b32 s0, 0
.LBB95_4097:
	s_delay_alu instid0(SALU_CYCLE_1)
	s_and_not1_b32 vcc_lo, exec_lo, s0
	s_cbranch_vccnz .LBB95_4102
; %bb.4098:
	s_sext_i32_i16 s0, s1
	s_delay_alu instid0(SALU_CYCLE_1)
	s_cmp_gt_i32 s0, 0
	s_mov_b32 s0, -1
	s_cbranch_scc0 .LBB95_4100
; %bb.4099:
	s_mov_b32 s0, 0
	s_wait_loadcnt 0x0
	global_store_b8 v[2:3], v4, off
.LBB95_4100:
	s_and_not1_b32 vcc_lo, exec_lo, s0
	s_cbranch_vccnz .LBB95_4102
; %bb.4101:
	s_wait_loadcnt 0x0
	global_store_b8 v[2:3], v4, off
	s_endpgm
.LBB95_4102:
	s_endpgm
.LBB95_4103:
	s_mov_b32 s2, 0
	s_mov_b32 s0, -1
	s_branch .LBB95_4059
.LBB95_4104:
	s_or_b32 s12, s12, exec_lo
	s_trap 2
	s_cbranch_execz .LBB95_3573
	s_branch .LBB95_3574
.LBB95_4105:
	s_and_not1_saveexec_b32 s13, s13
	s_cbranch_execz .LBB95_3653
.LBB95_4106:
	v_add_f32_e64 v5, 0x46000000, |v3|
	s_and_not1_b32 s9, s9, exec_lo
	s_delay_alu instid0(VALU_DEP_1) | instskip(NEXT) | instid1(VALU_DEP_1)
	v_and_b32_e32 v5, 0xff, v5
	v_cmp_ne_u32_e32 vcc_lo, 0, v5
	s_and_b32 s14, vcc_lo, exec_lo
	s_delay_alu instid0(SALU_CYCLE_1)
	s_or_b32 s9, s9, s14
	s_or_b32 exec_lo, exec_lo, s13
	v_mov_b32_e32 v8, 0
	s_and_saveexec_b32 s13, s9
	s_cbranch_execnz .LBB95_3654
	s_branch .LBB95_3655
.LBB95_4107:
	s_or_b32 s12, s12, exec_lo
	s_trap 2
	s_cbranch_execz .LBB95_3701
	s_branch .LBB95_3702
.LBB95_4108:
	s_and_not1_saveexec_b32 s9, s9
	s_cbranch_execz .LBB95_3666
.LBB95_4109:
	v_add_f32_e64 v5, 0x42800000, |v3|
	s_and_not1_b32 s8, s8, exec_lo
	s_delay_alu instid0(VALU_DEP_1) | instskip(NEXT) | instid1(VALU_DEP_1)
	v_and_b32_e32 v5, 0xff, v5
	v_cmp_ne_u32_e32 vcc_lo, 0, v5
	s_and_b32 s13, vcc_lo, exec_lo
	s_delay_alu instid0(SALU_CYCLE_1)
	s_or_b32 s8, s8, s13
	s_or_b32 exec_lo, exec_lo, s9
	v_mov_b32_e32 v8, 0
	s_and_saveexec_b32 s9, s8
	s_cbranch_execnz .LBB95_3667
	s_branch .LBB95_3668
.LBB95_4110:
	s_and_not1_saveexec_b32 s13, s13
	s_cbranch_execz .LBB95_3772
.LBB95_4111:
	v_add_f32_e64 v6, 0x46000000, |v3|
	s_and_not1_b32 s9, s9, exec_lo
	s_delay_alu instid0(VALU_DEP_1) | instskip(NEXT) | instid1(VALU_DEP_1)
	v_and_b32_e32 v6, 0xff, v6
	v_cmp_ne_u32_e32 vcc_lo, 0, v6
	s_and_b32 s14, vcc_lo, exec_lo
	s_delay_alu instid0(SALU_CYCLE_1)
	s_or_b32 s9, s9, s14
	s_or_b32 exec_lo, exec_lo, s13
	v_mov_b32_e32 v7, 0
	s_and_saveexec_b32 s13, s9
	s_cbranch_execnz .LBB95_3773
	s_branch .LBB95_3774
.LBB95_4112:
	s_or_b32 s12, s12, exec_lo
	s_trap 2
	s_cbranch_execz .LBB95_3820
	s_branch .LBB95_3821
.LBB95_4113:
	s_and_not1_saveexec_b32 s9, s9
	s_cbranch_execz .LBB95_3785
.LBB95_4114:
	v_add_f32_e64 v6, 0x42800000, |v3|
	s_and_not1_b32 s8, s8, exec_lo
	s_delay_alu instid0(VALU_DEP_1) | instskip(NEXT) | instid1(VALU_DEP_1)
	v_and_b32_e32 v6, 0xff, v6
	v_cmp_ne_u32_e32 vcc_lo, 0, v6
	s_and_b32 s13, vcc_lo, exec_lo
	s_delay_alu instid0(SALU_CYCLE_1)
	s_or_b32 s8, s8, s13
	s_or_b32 exec_lo, exec_lo, s9
	v_mov_b32_e32 v7, 0
	s_and_saveexec_b32 s9, s8
	s_cbranch_execnz .LBB95_3786
	s_branch .LBB95_3787
.LBB95_4115:
	s_and_not1_saveexec_b32 s13, s13
	s_cbranch_execz .LBB95_3891
.LBB95_4116:
	v_add_f32_e64 v5, 0x46000000, |v4|
	s_and_not1_b32 s9, s9, exec_lo
	s_delay_alu instid0(VALU_DEP_1) | instskip(NEXT) | instid1(VALU_DEP_1)
	v_and_b32_e32 v5, 0xff, v5
	v_cmp_ne_u32_e32 vcc_lo, 0, v5
	s_and_b32 s14, vcc_lo, exec_lo
	s_delay_alu instid0(SALU_CYCLE_1)
	s_or_b32 s9, s9, s14
	s_or_b32 exec_lo, exec_lo, s13
	v_mov_b32_e32 v6, 0
	s_and_saveexec_b32 s13, s9
	s_cbranch_execnz .LBB95_3892
	s_branch .LBB95_3893
.LBB95_4117:
	s_or_b32 s12, s12, exec_lo
	s_trap 2
	s_cbranch_execz .LBB95_3939
	s_branch .LBB95_3940
.LBB95_4118:
	s_and_not1_saveexec_b32 s9, s9
	s_cbranch_execz .LBB95_3904
.LBB95_4119:
	v_add_f32_e64 v5, 0x42800000, |v4|
	s_and_not1_b32 s8, s8, exec_lo
	s_delay_alu instid0(VALU_DEP_1) | instskip(NEXT) | instid1(VALU_DEP_1)
	v_and_b32_e32 v5, 0xff, v5
	v_cmp_ne_u32_e32 vcc_lo, 0, v5
	s_and_b32 s13, vcc_lo, exec_lo
	s_delay_alu instid0(SALU_CYCLE_1)
	s_or_b32 s8, s8, s13
	s_or_b32 exec_lo, exec_lo, s9
	v_mov_b32_e32 v6, 0
	s_and_saveexec_b32 s9, s8
	s_cbranch_execnz .LBB95_3905
	s_branch .LBB95_3906
.LBB95_4120:
	s_and_not1_saveexec_b32 s6, s6
	s_cbranch_execz .LBB95_4011
.LBB95_4121:
	v_add_f32_e64 v1, 0x46000000, |v0|
	s_and_not1_b32 s5, s5, exec_lo
	s_delay_alu instid0(VALU_DEP_1) | instskip(NEXT) | instid1(VALU_DEP_1)
	v_and_b32_e32 v1, 0xff, v1
	v_cmp_ne_u32_e32 vcc_lo, 0, v1
	s_and_b32 s7, vcc_lo, exec_lo
	s_delay_alu instid0(SALU_CYCLE_1)
	s_or_b32 s5, s5, s7
	s_or_b32 exec_lo, exec_lo, s6
	v_mov_b32_e32 v5, 0
	s_and_saveexec_b32 s6, s5
	s_cbranch_execnz .LBB95_4012
	s_branch .LBB95_4013
.LBB95_4122:
	s_mov_b32 s2, 0
	s_or_b32 s12, s12, exec_lo
	s_trap 2
	s_branch .LBB95_4057
.LBB95_4123:
	s_and_not1_saveexec_b32 s5, s5
	s_cbranch_execz .LBB95_4023
.LBB95_4124:
	v_add_f32_e64 v1, 0x42800000, |v0|
	s_and_not1_b32 s4, s4, exec_lo
	s_delay_alu instid0(VALU_DEP_1) | instskip(NEXT) | instid1(VALU_DEP_1)
	v_and_b32_e32 v1, 0xff, v1
	v_cmp_ne_u32_e32 vcc_lo, 0, v1
	s_and_b32 s6, vcc_lo, exec_lo
	s_delay_alu instid0(SALU_CYCLE_1)
	s_or_b32 s4, s4, s6
	s_or_b32 exec_lo, exec_lo, s5
	v_mov_b32_e32 v5, 0
	s_and_saveexec_b32 s5, s4
	s_cbranch_execnz .LBB95_4024
	s_branch .LBB95_4025
	.section	.rodata,"a",@progbits
	.p2align	6, 0x0
	.amdhsa_kernel _ZN2at6native32elementwise_kernel_manual_unrollILi128ELi4EZNS0_15gpu_kernel_implIZZZNS0_12_GLOBAL__N_116addr_kernel_cudaERNS_14TensorIteratorERKN3c106ScalarES9_ENKUlvE_clEvENKUlvE3_clEvEUlsssE0_EEvRNS_18TensorIteratorBaseERKT_EUlibE0_EEviT1_
		.amdhsa_group_segment_fixed_size 0
		.amdhsa_private_segment_fixed_size 0
		.amdhsa_kernarg_size 504
		.amdhsa_user_sgpr_count 2
		.amdhsa_user_sgpr_dispatch_ptr 0
		.amdhsa_user_sgpr_queue_ptr 0
		.amdhsa_user_sgpr_kernarg_segment_ptr 1
		.amdhsa_user_sgpr_dispatch_id 0
		.amdhsa_user_sgpr_kernarg_preload_length 0
		.amdhsa_user_sgpr_kernarg_preload_offset 0
		.amdhsa_user_sgpr_private_segment_size 0
		.amdhsa_wavefront_size32 1
		.amdhsa_uses_dynamic_stack 0
		.amdhsa_enable_private_segment 0
		.amdhsa_system_sgpr_workgroup_id_x 1
		.amdhsa_system_sgpr_workgroup_id_y 0
		.amdhsa_system_sgpr_workgroup_id_z 0
		.amdhsa_system_sgpr_workgroup_info 0
		.amdhsa_system_vgpr_workitem_id 0
		.amdhsa_next_free_vgpr 36
		.amdhsa_next_free_sgpr 76
		.amdhsa_named_barrier_count 0
		.amdhsa_reserve_vcc 1
		.amdhsa_float_round_mode_32 0
		.amdhsa_float_round_mode_16_64 0
		.amdhsa_float_denorm_mode_32 3
		.amdhsa_float_denorm_mode_16_64 3
		.amdhsa_fp16_overflow 0
		.amdhsa_memory_ordered 1
		.amdhsa_forward_progress 1
		.amdhsa_inst_pref_size 255
		.amdhsa_round_robin_scheduling 0
		.amdhsa_exception_fp_ieee_invalid_op 0
		.amdhsa_exception_fp_denorm_src 0
		.amdhsa_exception_fp_ieee_div_zero 0
		.amdhsa_exception_fp_ieee_overflow 0
		.amdhsa_exception_fp_ieee_underflow 0
		.amdhsa_exception_fp_ieee_inexact 0
		.amdhsa_exception_int_div_zero 0
	.end_amdhsa_kernel
	.section	.text._ZN2at6native32elementwise_kernel_manual_unrollILi128ELi4EZNS0_15gpu_kernel_implIZZZNS0_12_GLOBAL__N_116addr_kernel_cudaERNS_14TensorIteratorERKN3c106ScalarES9_ENKUlvE_clEvENKUlvE3_clEvEUlsssE0_EEvRNS_18TensorIteratorBaseERKT_EUlibE0_EEviT1_,"axG",@progbits,_ZN2at6native32elementwise_kernel_manual_unrollILi128ELi4EZNS0_15gpu_kernel_implIZZZNS0_12_GLOBAL__N_116addr_kernel_cudaERNS_14TensorIteratorERKN3c106ScalarES9_ENKUlvE_clEvENKUlvE3_clEvEUlsssE0_EEvRNS_18TensorIteratorBaseERKT_EUlibE0_EEviT1_,comdat
.Lfunc_end95:
	.size	_ZN2at6native32elementwise_kernel_manual_unrollILi128ELi4EZNS0_15gpu_kernel_implIZZZNS0_12_GLOBAL__N_116addr_kernel_cudaERNS_14TensorIteratorERKN3c106ScalarES9_ENKUlvE_clEvENKUlvE3_clEvEUlsssE0_EEvRNS_18TensorIteratorBaseERKT_EUlibE0_EEviT1_, .Lfunc_end95-_ZN2at6native32elementwise_kernel_manual_unrollILi128ELi4EZNS0_15gpu_kernel_implIZZZNS0_12_GLOBAL__N_116addr_kernel_cudaERNS_14TensorIteratorERKN3c106ScalarES9_ENKUlvE_clEvENKUlvE3_clEvEUlsssE0_EEvRNS_18TensorIteratorBaseERKT_EUlibE0_EEviT1_
                                        ; -- End function
	.set _ZN2at6native32elementwise_kernel_manual_unrollILi128ELi4EZNS0_15gpu_kernel_implIZZZNS0_12_GLOBAL__N_116addr_kernel_cudaERNS_14TensorIteratorERKN3c106ScalarES9_ENKUlvE_clEvENKUlvE3_clEvEUlsssE0_EEvRNS_18TensorIteratorBaseERKT_EUlibE0_EEviT1_.num_vgpr, 36
	.set _ZN2at6native32elementwise_kernel_manual_unrollILi128ELi4EZNS0_15gpu_kernel_implIZZZNS0_12_GLOBAL__N_116addr_kernel_cudaERNS_14TensorIteratorERKN3c106ScalarES9_ENKUlvE_clEvENKUlvE3_clEvEUlsssE0_EEvRNS_18TensorIteratorBaseERKT_EUlibE0_EEviT1_.num_agpr, 0
	.set _ZN2at6native32elementwise_kernel_manual_unrollILi128ELi4EZNS0_15gpu_kernel_implIZZZNS0_12_GLOBAL__N_116addr_kernel_cudaERNS_14TensorIteratorERKN3c106ScalarES9_ENKUlvE_clEvENKUlvE3_clEvEUlsssE0_EEvRNS_18TensorIteratorBaseERKT_EUlibE0_EEviT1_.numbered_sgpr, 76
	.set _ZN2at6native32elementwise_kernel_manual_unrollILi128ELi4EZNS0_15gpu_kernel_implIZZZNS0_12_GLOBAL__N_116addr_kernel_cudaERNS_14TensorIteratorERKN3c106ScalarES9_ENKUlvE_clEvENKUlvE3_clEvEUlsssE0_EEvRNS_18TensorIteratorBaseERKT_EUlibE0_EEviT1_.num_named_barrier, 0
	.set _ZN2at6native32elementwise_kernel_manual_unrollILi128ELi4EZNS0_15gpu_kernel_implIZZZNS0_12_GLOBAL__N_116addr_kernel_cudaERNS_14TensorIteratorERKN3c106ScalarES9_ENKUlvE_clEvENKUlvE3_clEvEUlsssE0_EEvRNS_18TensorIteratorBaseERKT_EUlibE0_EEviT1_.private_seg_size, 0
	.set _ZN2at6native32elementwise_kernel_manual_unrollILi128ELi4EZNS0_15gpu_kernel_implIZZZNS0_12_GLOBAL__N_116addr_kernel_cudaERNS_14TensorIteratorERKN3c106ScalarES9_ENKUlvE_clEvENKUlvE3_clEvEUlsssE0_EEvRNS_18TensorIteratorBaseERKT_EUlibE0_EEviT1_.uses_vcc, 1
	.set _ZN2at6native32elementwise_kernel_manual_unrollILi128ELi4EZNS0_15gpu_kernel_implIZZZNS0_12_GLOBAL__N_116addr_kernel_cudaERNS_14TensorIteratorERKN3c106ScalarES9_ENKUlvE_clEvENKUlvE3_clEvEUlsssE0_EEvRNS_18TensorIteratorBaseERKT_EUlibE0_EEviT1_.uses_flat_scratch, 0
	.set _ZN2at6native32elementwise_kernel_manual_unrollILi128ELi4EZNS0_15gpu_kernel_implIZZZNS0_12_GLOBAL__N_116addr_kernel_cudaERNS_14TensorIteratorERKN3c106ScalarES9_ENKUlvE_clEvENKUlvE3_clEvEUlsssE0_EEvRNS_18TensorIteratorBaseERKT_EUlibE0_EEviT1_.has_dyn_sized_stack, 0
	.set _ZN2at6native32elementwise_kernel_manual_unrollILi128ELi4EZNS0_15gpu_kernel_implIZZZNS0_12_GLOBAL__N_116addr_kernel_cudaERNS_14TensorIteratorERKN3c106ScalarES9_ENKUlvE_clEvENKUlvE3_clEvEUlsssE0_EEvRNS_18TensorIteratorBaseERKT_EUlibE0_EEviT1_.has_recursion, 0
	.set _ZN2at6native32elementwise_kernel_manual_unrollILi128ELi4EZNS0_15gpu_kernel_implIZZZNS0_12_GLOBAL__N_116addr_kernel_cudaERNS_14TensorIteratorERKN3c106ScalarES9_ENKUlvE_clEvENKUlvE3_clEvEUlsssE0_EEvRNS_18TensorIteratorBaseERKT_EUlibE0_EEviT1_.has_indirect_call, 0
	.section	.AMDGPU.csdata,"",@progbits
; Kernel info:
; codeLenInByte = 73788
; TotalNumSgprs: 78
; NumVgprs: 36
; ScratchSize: 0
; MemoryBound: 1
; FloatMode: 240
; IeeeMode: 1
; LDSByteSize: 0 bytes/workgroup (compile time only)
; SGPRBlocks: 0
; VGPRBlocks: 2
; NumSGPRsForWavesPerEU: 78
; NumVGPRsForWavesPerEU: 36
; NamedBarCnt: 0
; Occupancy: 16
; WaveLimiterHint : 1
; COMPUTE_PGM_RSRC2:SCRATCH_EN: 0
; COMPUTE_PGM_RSRC2:USER_SGPR: 2
; COMPUTE_PGM_RSRC2:TRAP_HANDLER: 0
; COMPUTE_PGM_RSRC2:TGID_X_EN: 1
; COMPUTE_PGM_RSRC2:TGID_Y_EN: 0
; COMPUTE_PGM_RSRC2:TGID_Z_EN: 0
; COMPUTE_PGM_RSRC2:TIDIG_COMP_CNT: 0
	.section	.text._ZN2at6native29vectorized_elementwise_kernelILi16EZZZNS0_12_GLOBAL__N_116addr_kernel_cudaERNS_14TensorIteratorERKN3c106ScalarES8_ENKUlvE_clEvENKUlvE4_clEvEUldddE_St5arrayIPcLm4EEEEviT0_T1_,"axG",@progbits,_ZN2at6native29vectorized_elementwise_kernelILi16EZZZNS0_12_GLOBAL__N_116addr_kernel_cudaERNS_14TensorIteratorERKN3c106ScalarES8_ENKUlvE_clEvENKUlvE4_clEvEUldddE_St5arrayIPcLm4EEEEviT0_T1_,comdat
	.globl	_ZN2at6native29vectorized_elementwise_kernelILi16EZZZNS0_12_GLOBAL__N_116addr_kernel_cudaERNS_14TensorIteratorERKN3c106ScalarES8_ENKUlvE_clEvENKUlvE4_clEvEUldddE_St5arrayIPcLm4EEEEviT0_T1_ ; -- Begin function _ZN2at6native29vectorized_elementwise_kernelILi16EZZZNS0_12_GLOBAL__N_116addr_kernel_cudaERNS_14TensorIteratorERKN3c106ScalarES8_ENKUlvE_clEvENKUlvE4_clEvEUldddE_St5arrayIPcLm4EEEEviT0_T1_
	.p2align	8
	.type	_ZN2at6native29vectorized_elementwise_kernelILi16EZZZNS0_12_GLOBAL__N_116addr_kernel_cudaERNS_14TensorIteratorERKN3c106ScalarES8_ENKUlvE_clEvENKUlvE4_clEvEUldddE_St5arrayIPcLm4EEEEviT0_T1_,@function
_ZN2at6native29vectorized_elementwise_kernelILi16EZZZNS0_12_GLOBAL__N_116addr_kernel_cudaERNS_14TensorIteratorERKN3c106ScalarES8_ENKUlvE_clEvENKUlvE4_clEvEUldddE_St5arrayIPcLm4EEEEviT0_T1_: ; @_ZN2at6native29vectorized_elementwise_kernelILi16EZZZNS0_12_GLOBAL__N_116addr_kernel_cudaERNS_14TensorIteratorERKN3c106ScalarES8_ENKUlvE_clEvENKUlvE4_clEvEUldddE_St5arrayIPcLm4EEEEviT0_T1_
; %bb.0:
	s_clause 0x2
	s_load_b32 s3, s[0:1], 0x0
	s_load_b128 s[4:7], s[0:1], 0x8
	s_load_b128 s[8:11], s[0:1], 0x20
	s_wait_xcnt 0x0
	s_bfe_u32 s0, ttmp6, 0x4000c
	s_and_b32 s1, ttmp6, 15
	s_add_co_i32 s0, s0, 1
	s_getreg_b32 s2, hwreg(HW_REG_IB_STS2, 6, 4)
	s_mul_i32 s0, ttmp9, s0
	s_delay_alu instid0(SALU_CYCLE_1) | instskip(SKIP_2) | instid1(SALU_CYCLE_1)
	s_add_co_i32 s1, s1, s0
	s_cmp_eq_u32 s2, 0
	s_cselect_b32 s0, ttmp9, s1
	s_lshl_b32 s2, s0, 10
	s_mov_b32 s0, -1
	s_wait_kmcnt 0x0
	s_sub_co_i32 s1, s3, s2
	s_delay_alu instid0(SALU_CYCLE_1)
	s_cmp_gt_i32 s1, 0x3ff
	s_cbranch_scc0 .LBB96_2
; %bb.1:
	s_ashr_i32 s3, s2, 31
	v_lshlrev_b32_e32 v1, 5, v0
	s_lshl_b64 s[12:13], s[2:3], 3
	s_mov_b32 s0, 0
	s_add_nc_u64 s[14:15], s[8:9], s[12:13]
	s_clause 0x1
	global_load_b128 v[2:5], v1, s[14:15]
	global_load_b128 v[6:9], v1, s[14:15] offset:16
	s_wait_xcnt 0x0
	s_add_nc_u64 s[14:15], s[10:11], s[12:13]
	s_add_nc_u64 s[12:13], s[6:7], s[12:13]
	s_wait_loadcnt 0x1
	v_mul_f64_e32 v[2:3], s[4:5], v[2:3]
	s_clause 0x1
	global_load_b128 v[10:13], v1, s[14:15]
	global_load_b128 v[14:17], v1, s[14:15] offset:16
	v_mul_f64_e32 v[4:5], s[4:5], v[4:5]
	s_wait_loadcnt 0x2
	v_mul_f64_e32 v[6:7], s[4:5], v[6:7]
	v_mul_f64_e32 v[8:9], s[4:5], v[8:9]
	s_wait_loadcnt 0x1
	v_mul_f64_e32 v[2:3], v[2:3], v[10:11]
	s_delay_alu instid0(VALU_DEP_4) | instskip(SKIP_1) | instid1(VALU_DEP_4)
	v_mul_f64_e32 v[4:5], v[4:5], v[12:13]
	s_wait_loadcnt 0x0
	v_mul_f64_e32 v[6:7], v[6:7], v[14:15]
	s_delay_alu instid0(VALU_DEP_4)
	v_mul_f64_e32 v[8:9], v[8:9], v[16:17]
	s_clause 0x1
	global_store_b128 v1, v[2:5], s[12:13]
	global_store_b128 v1, v[6:9], s[12:13] offset:16
.LBB96_2:
	s_and_not1_b32 vcc_lo, exec_lo, s0
	s_cbranch_vccnz .LBB96_23
; %bb.3:
	s_wait_xcnt 0x1
	v_mov_b64_e32 v[2:3], 0
	v_mov_b64_e32 v[4:5], 0
	s_wait_xcnt 0x0
	v_mov_b64_e32 v[6:7], 0
	v_cmp_gt_i32_e32 vcc_lo, s1, v0
	v_dual_mov_b32 v18, v0 :: v_dual_bitop2_b32 v1, s2, v0 bitop3:0x54
	v_or_b32_e32 v20, 0x100, v0
	s_and_saveexec_b32 s0, vcc_lo
	s_cbranch_execz .LBB96_5
; %bb.4:
	s_clause 0x1
	global_load_b64 v[4:5], v1, s[8:9] scale_offset
	global_load_b64 v[6:7], v1, s[10:11] scale_offset
	v_or_b32_e32 v18, 0x100, v0
.LBB96_5:
	s_wait_xcnt 0x0
	s_or_b32 exec_lo, exec_lo, s0
	v_mov_b64_e32 v[10:11], 0
	s_mov_b32 s3, exec_lo
	v_cmpx_gt_i32_e64 s1, v18
	s_cbranch_execz .LBB96_7
; %bb.6:
	v_add_nc_u32_e32 v8, s2, v18
	v_add_nc_u32_e32 v18, 0x100, v18
	s_clause 0x1
	global_load_b64 v[2:3], v8, s[8:9] scale_offset
	global_load_b64 v[10:11], v8, s[10:11] scale_offset
.LBB96_7:
	s_wait_xcnt 0x0
	s_or_b32 exec_lo, exec_lo, s3
	v_mov_b64_e32 v[8:9], 0
	v_mov_b64_e32 v[12:13], 0
	;; [unrolled: 1-line block ×3, first 2 shown]
	s_mov_b32 s3, exec_lo
	v_cmpx_gt_i32_e64 s1, v18
	s_cbranch_execz .LBB96_9
; %bb.8:
	v_add_nc_u32_e32 v16, s2, v18
	v_add_nc_u32_e32 v18, 0x100, v18
	s_clause 0x1
	global_load_b64 v[12:13], v16, s[8:9] scale_offset
	global_load_b64 v[14:15], v16, s[10:11] scale_offset
.LBB96_9:
	s_wait_xcnt 0x0
	s_or_b32 exec_lo, exec_lo, s3
	v_mov_b64_e32 v[16:17], 0
	s_mov_b32 s3, exec_lo
	v_cmpx_gt_i32_e64 s1, v18
	s_cbranch_execz .LBB96_11
; %bb.10:
	v_add_nc_u32_e32 v18, s2, v18
	s_clause 0x1
	global_load_b64 v[8:9], v18, s[8:9] scale_offset
	global_load_b64 v[16:17], v18, s[10:11] scale_offset
	s_wait_xcnt 0x0
	s_or_b32 exec_lo, exec_lo, s3
                                        ; implicit-def: $vgpr18_vgpr19
	s_and_saveexec_b32 s0, vcc_lo
	s_cbranch_execz .LBB96_13
	s_branch .LBB96_12
.LBB96_11:
	s_or_b32 exec_lo, exec_lo, s3
                                        ; implicit-def: $vgpr18_vgpr19
	s_and_saveexec_b32 s0, vcc_lo
	s_cbranch_execz .LBB96_13
.LBB96_12:
	s_wait_loadcnt 0x1
	v_mul_f64_e32 v[4:5], s[4:5], v[4:5]
	s_wait_loadcnt 0x0
	s_delay_alu instid0(VALU_DEP_1)
	v_mul_f64_e32 v[18:19], v[6:7], v[4:5]
.LBB96_13:
	s_or_b32 exec_lo, exec_lo, s0
	s_delay_alu instid0(SALU_CYCLE_1)
	s_mov_b32 s3, exec_lo
                                        ; implicit-def: $vgpr4_vgpr5
	v_cmpx_gt_i32_e64 s1, v20
	s_cbranch_execz .LBB96_15
; %bb.14:
	s_wait_loadcnt 0x1
	v_mul_f64_e32 v[2:3], s[4:5], v[2:3]
	s_wait_loadcnt 0x0
	s_delay_alu instid0(VALU_DEP_1)
	v_mul_f64_e32 v[4:5], v[10:11], v[2:3]
.LBB96_15:
	s_or_b32 exec_lo, exec_lo, s3
	s_wait_loadcnt 0x1
	v_or_b32_e32 v2, 0x200, v0
	s_delay_alu instid0(VALU_DEP_1)
	v_cmp_gt_i32_e64 s0, s1, v2
                                        ; implicit-def: $vgpr2_vgpr3
	s_and_saveexec_b32 s3, s0
	s_cbranch_execz .LBB96_17
; %bb.16:
	v_mul_f64_e32 v[2:3], s[4:5], v[12:13]
	s_wait_loadcnt 0x0
	s_delay_alu instid0(VALU_DEP_1)
	v_mul_f64_e32 v[2:3], v[14:15], v[2:3]
.LBB96_17:
	s_or_b32 exec_lo, exec_lo, s3
	s_wait_loadcnt 0x0
	v_or_b32_e32 v6, 0x300, v0
	s_delay_alu instid0(VALU_DEP_1)
	v_cmp_gt_i32_e64 s0, s1, v6
                                        ; implicit-def: $vgpr6_vgpr7
	s_and_saveexec_b32 s3, s0
	s_cbranch_execz .LBB96_24
; %bb.18:
	v_mul_f64_e32 v[6:7], s[4:5], v[8:9]
	s_delay_alu instid0(VALU_DEP_1) | instskip(SKIP_2) | instid1(SALU_CYCLE_1)
	v_mul_f64_e32 v[6:7], v[16:17], v[6:7]
	s_or_b32 exec_lo, exec_lo, s3
	s_and_saveexec_b32 s0, vcc_lo
	s_xor_b32 s0, exec_lo, s0
	s_cbranch_execnz .LBB96_25
.LBB96_19:
	s_or_b32 exec_lo, exec_lo, s0
	s_delay_alu instid0(SALU_CYCLE_1)
	s_mov_b32 s0, exec_lo
	v_cmpx_gt_i32_e64 s1, v0
	s_cbranch_execz .LBB96_26
.LBB96_20:
	v_add_nc_u32_e32 v1, s2, v0
	v_add_nc_u32_e32 v0, 0x100, v0
	global_store_b64 v1, v[4:5], s[6:7] scale_offset
	s_wait_xcnt 0x0
	s_or_b32 exec_lo, exec_lo, s0
	s_delay_alu instid0(SALU_CYCLE_1)
	s_mov_b32 s0, exec_lo
	v_cmpx_gt_i32_e64 s1, v0
	s_cbranch_execnz .LBB96_27
.LBB96_21:
	s_or_b32 exec_lo, exec_lo, s0
	s_delay_alu instid0(SALU_CYCLE_1)
	s_mov_b32 s0, exec_lo
	v_cmpx_gt_i32_e64 s1, v0
	s_cbranch_execz .LBB96_23
.LBB96_22:
	v_add_nc_u32_e32 v0, s2, v0
	global_store_b64 v0, v[6:7], s[6:7] scale_offset
.LBB96_23:
	s_endpgm
.LBB96_24:
	s_or_b32 exec_lo, exec_lo, s3
	s_and_saveexec_b32 s0, vcc_lo
	s_delay_alu instid0(SALU_CYCLE_1)
	s_xor_b32 s0, exec_lo, s0
	s_cbranch_execz .LBB96_19
.LBB96_25:
	v_mov_b32_e32 v0, v20
	global_store_b64 v1, v[18:19], s[6:7] scale_offset
	s_wait_xcnt 0x0
	s_or_b32 exec_lo, exec_lo, s0
	s_delay_alu instid0(SALU_CYCLE_1)
	s_mov_b32 s0, exec_lo
	v_cmpx_gt_i32_e64 s1, v0
	s_cbranch_execnz .LBB96_20
.LBB96_26:
	s_or_b32 exec_lo, exec_lo, s0
	s_delay_alu instid0(SALU_CYCLE_1)
	s_mov_b32 s0, exec_lo
	v_cmpx_gt_i32_e64 s1, v0
	s_cbranch_execz .LBB96_21
.LBB96_27:
	v_add_nc_u32_e32 v1, s2, v0
	v_add_nc_u32_e32 v0, 0x100, v0
	global_store_b64 v1, v[2:3], s[6:7] scale_offset
	s_wait_xcnt 0x0
	s_or_b32 exec_lo, exec_lo, s0
	s_delay_alu instid0(SALU_CYCLE_1)
	s_mov_b32 s0, exec_lo
	v_cmpx_gt_i32_e64 s1, v0
	s_cbranch_execnz .LBB96_22
	s_branch .LBB96_23
	.section	.rodata,"a",@progbits
	.p2align	6, 0x0
	.amdhsa_kernel _ZN2at6native29vectorized_elementwise_kernelILi16EZZZNS0_12_GLOBAL__N_116addr_kernel_cudaERNS_14TensorIteratorERKN3c106ScalarES8_ENKUlvE_clEvENKUlvE4_clEvEUldddE_St5arrayIPcLm4EEEEviT0_T1_
		.amdhsa_group_segment_fixed_size 0
		.amdhsa_private_segment_fixed_size 0
		.amdhsa_kernarg_size 48
		.amdhsa_user_sgpr_count 2
		.amdhsa_user_sgpr_dispatch_ptr 0
		.amdhsa_user_sgpr_queue_ptr 0
		.amdhsa_user_sgpr_kernarg_segment_ptr 1
		.amdhsa_user_sgpr_dispatch_id 0
		.amdhsa_user_sgpr_kernarg_preload_length 0
		.amdhsa_user_sgpr_kernarg_preload_offset 0
		.amdhsa_user_sgpr_private_segment_size 0
		.amdhsa_wavefront_size32 1
		.amdhsa_uses_dynamic_stack 0
		.amdhsa_enable_private_segment 0
		.amdhsa_system_sgpr_workgroup_id_x 1
		.amdhsa_system_sgpr_workgroup_id_y 0
		.amdhsa_system_sgpr_workgroup_id_z 0
		.amdhsa_system_sgpr_workgroup_info 0
		.amdhsa_system_vgpr_workitem_id 0
		.amdhsa_next_free_vgpr 21
		.amdhsa_next_free_sgpr 16
		.amdhsa_named_barrier_count 0
		.amdhsa_reserve_vcc 1
		.amdhsa_float_round_mode_32 0
		.amdhsa_float_round_mode_16_64 0
		.amdhsa_float_denorm_mode_32 3
		.amdhsa_float_denorm_mode_16_64 3
		.amdhsa_fp16_overflow 0
		.amdhsa_memory_ordered 1
		.amdhsa_forward_progress 1
		.amdhsa_inst_pref_size 9
		.amdhsa_round_robin_scheduling 0
		.amdhsa_exception_fp_ieee_invalid_op 0
		.amdhsa_exception_fp_denorm_src 0
		.amdhsa_exception_fp_ieee_div_zero 0
		.amdhsa_exception_fp_ieee_overflow 0
		.amdhsa_exception_fp_ieee_underflow 0
		.amdhsa_exception_fp_ieee_inexact 0
		.amdhsa_exception_int_div_zero 0
	.end_amdhsa_kernel
	.section	.text._ZN2at6native29vectorized_elementwise_kernelILi16EZZZNS0_12_GLOBAL__N_116addr_kernel_cudaERNS_14TensorIteratorERKN3c106ScalarES8_ENKUlvE_clEvENKUlvE4_clEvEUldddE_St5arrayIPcLm4EEEEviT0_T1_,"axG",@progbits,_ZN2at6native29vectorized_elementwise_kernelILi16EZZZNS0_12_GLOBAL__N_116addr_kernel_cudaERNS_14TensorIteratorERKN3c106ScalarES8_ENKUlvE_clEvENKUlvE4_clEvEUldddE_St5arrayIPcLm4EEEEviT0_T1_,comdat
.Lfunc_end96:
	.size	_ZN2at6native29vectorized_elementwise_kernelILi16EZZZNS0_12_GLOBAL__N_116addr_kernel_cudaERNS_14TensorIteratorERKN3c106ScalarES8_ENKUlvE_clEvENKUlvE4_clEvEUldddE_St5arrayIPcLm4EEEEviT0_T1_, .Lfunc_end96-_ZN2at6native29vectorized_elementwise_kernelILi16EZZZNS0_12_GLOBAL__N_116addr_kernel_cudaERNS_14TensorIteratorERKN3c106ScalarES8_ENKUlvE_clEvENKUlvE4_clEvEUldddE_St5arrayIPcLm4EEEEviT0_T1_
                                        ; -- End function
	.set _ZN2at6native29vectorized_elementwise_kernelILi16EZZZNS0_12_GLOBAL__N_116addr_kernel_cudaERNS_14TensorIteratorERKN3c106ScalarES8_ENKUlvE_clEvENKUlvE4_clEvEUldddE_St5arrayIPcLm4EEEEviT0_T1_.num_vgpr, 21
	.set _ZN2at6native29vectorized_elementwise_kernelILi16EZZZNS0_12_GLOBAL__N_116addr_kernel_cudaERNS_14TensorIteratorERKN3c106ScalarES8_ENKUlvE_clEvENKUlvE4_clEvEUldddE_St5arrayIPcLm4EEEEviT0_T1_.num_agpr, 0
	.set _ZN2at6native29vectorized_elementwise_kernelILi16EZZZNS0_12_GLOBAL__N_116addr_kernel_cudaERNS_14TensorIteratorERKN3c106ScalarES8_ENKUlvE_clEvENKUlvE4_clEvEUldddE_St5arrayIPcLm4EEEEviT0_T1_.numbered_sgpr, 16
	.set _ZN2at6native29vectorized_elementwise_kernelILi16EZZZNS0_12_GLOBAL__N_116addr_kernel_cudaERNS_14TensorIteratorERKN3c106ScalarES8_ENKUlvE_clEvENKUlvE4_clEvEUldddE_St5arrayIPcLm4EEEEviT0_T1_.num_named_barrier, 0
	.set _ZN2at6native29vectorized_elementwise_kernelILi16EZZZNS0_12_GLOBAL__N_116addr_kernel_cudaERNS_14TensorIteratorERKN3c106ScalarES8_ENKUlvE_clEvENKUlvE4_clEvEUldddE_St5arrayIPcLm4EEEEviT0_T1_.private_seg_size, 0
	.set _ZN2at6native29vectorized_elementwise_kernelILi16EZZZNS0_12_GLOBAL__N_116addr_kernel_cudaERNS_14TensorIteratorERKN3c106ScalarES8_ENKUlvE_clEvENKUlvE4_clEvEUldddE_St5arrayIPcLm4EEEEviT0_T1_.uses_vcc, 1
	.set _ZN2at6native29vectorized_elementwise_kernelILi16EZZZNS0_12_GLOBAL__N_116addr_kernel_cudaERNS_14TensorIteratorERKN3c106ScalarES8_ENKUlvE_clEvENKUlvE4_clEvEUldddE_St5arrayIPcLm4EEEEviT0_T1_.uses_flat_scratch, 0
	.set _ZN2at6native29vectorized_elementwise_kernelILi16EZZZNS0_12_GLOBAL__N_116addr_kernel_cudaERNS_14TensorIteratorERKN3c106ScalarES8_ENKUlvE_clEvENKUlvE4_clEvEUldddE_St5arrayIPcLm4EEEEviT0_T1_.has_dyn_sized_stack, 0
	.set _ZN2at6native29vectorized_elementwise_kernelILi16EZZZNS0_12_GLOBAL__N_116addr_kernel_cudaERNS_14TensorIteratorERKN3c106ScalarES8_ENKUlvE_clEvENKUlvE4_clEvEUldddE_St5arrayIPcLm4EEEEviT0_T1_.has_recursion, 0
	.set _ZN2at6native29vectorized_elementwise_kernelILi16EZZZNS0_12_GLOBAL__N_116addr_kernel_cudaERNS_14TensorIteratorERKN3c106ScalarES8_ENKUlvE_clEvENKUlvE4_clEvEUldddE_St5arrayIPcLm4EEEEviT0_T1_.has_indirect_call, 0
	.section	.AMDGPU.csdata,"",@progbits
; Kernel info:
; codeLenInByte = 1052
; TotalNumSgprs: 18
; NumVgprs: 21
; ScratchSize: 0
; MemoryBound: 0
; FloatMode: 240
; IeeeMode: 1
; LDSByteSize: 0 bytes/workgroup (compile time only)
; SGPRBlocks: 0
; VGPRBlocks: 1
; NumSGPRsForWavesPerEU: 18
; NumVGPRsForWavesPerEU: 21
; NamedBarCnt: 0
; Occupancy: 16
; WaveLimiterHint : 0
; COMPUTE_PGM_RSRC2:SCRATCH_EN: 0
; COMPUTE_PGM_RSRC2:USER_SGPR: 2
; COMPUTE_PGM_RSRC2:TRAP_HANDLER: 0
; COMPUTE_PGM_RSRC2:TGID_X_EN: 1
; COMPUTE_PGM_RSRC2:TGID_Y_EN: 0
; COMPUTE_PGM_RSRC2:TGID_Z_EN: 0
; COMPUTE_PGM_RSRC2:TIDIG_COMP_CNT: 0
	.section	.text._ZN2at6native29vectorized_elementwise_kernelILi8EZZZNS0_12_GLOBAL__N_116addr_kernel_cudaERNS_14TensorIteratorERKN3c106ScalarES8_ENKUlvE_clEvENKUlvE4_clEvEUldddE_St5arrayIPcLm4EEEEviT0_T1_,"axG",@progbits,_ZN2at6native29vectorized_elementwise_kernelILi8EZZZNS0_12_GLOBAL__N_116addr_kernel_cudaERNS_14TensorIteratorERKN3c106ScalarES8_ENKUlvE_clEvENKUlvE4_clEvEUldddE_St5arrayIPcLm4EEEEviT0_T1_,comdat
	.globl	_ZN2at6native29vectorized_elementwise_kernelILi8EZZZNS0_12_GLOBAL__N_116addr_kernel_cudaERNS_14TensorIteratorERKN3c106ScalarES8_ENKUlvE_clEvENKUlvE4_clEvEUldddE_St5arrayIPcLm4EEEEviT0_T1_ ; -- Begin function _ZN2at6native29vectorized_elementwise_kernelILi8EZZZNS0_12_GLOBAL__N_116addr_kernel_cudaERNS_14TensorIteratorERKN3c106ScalarES8_ENKUlvE_clEvENKUlvE4_clEvEUldddE_St5arrayIPcLm4EEEEviT0_T1_
	.p2align	8
	.type	_ZN2at6native29vectorized_elementwise_kernelILi8EZZZNS0_12_GLOBAL__N_116addr_kernel_cudaERNS_14TensorIteratorERKN3c106ScalarES8_ENKUlvE_clEvENKUlvE4_clEvEUldddE_St5arrayIPcLm4EEEEviT0_T1_,@function
_ZN2at6native29vectorized_elementwise_kernelILi8EZZZNS0_12_GLOBAL__N_116addr_kernel_cudaERNS_14TensorIteratorERKN3c106ScalarES8_ENKUlvE_clEvENKUlvE4_clEvEUldddE_St5arrayIPcLm4EEEEviT0_T1_: ; @_ZN2at6native29vectorized_elementwise_kernelILi8EZZZNS0_12_GLOBAL__N_116addr_kernel_cudaERNS_14TensorIteratorERKN3c106ScalarES8_ENKUlvE_clEvENKUlvE4_clEvEUldddE_St5arrayIPcLm4EEEEviT0_T1_
; %bb.0:
	s_clause 0x2
	s_load_b32 s3, s[0:1], 0x0
	s_load_b128 s[4:7], s[0:1], 0x8
	s_load_b128 s[8:11], s[0:1], 0x20
	s_wait_xcnt 0x0
	s_bfe_u32 s0, ttmp6, 0x4000c
	s_and_b32 s1, ttmp6, 15
	s_add_co_i32 s0, s0, 1
	s_getreg_b32 s2, hwreg(HW_REG_IB_STS2, 6, 4)
	s_mul_i32 s0, ttmp9, s0
	s_delay_alu instid0(SALU_CYCLE_1) | instskip(SKIP_2) | instid1(SALU_CYCLE_1)
	s_add_co_i32 s1, s1, s0
	s_cmp_eq_u32 s2, 0
	s_cselect_b32 s0, ttmp9, s1
	s_lshl_b32 s2, s0, 10
	s_mov_b32 s0, -1
	s_wait_kmcnt 0x0
	s_sub_co_i32 s1, s3, s2
	s_delay_alu instid0(SALU_CYCLE_1)
	s_cmp_gt_i32 s1, 0x3ff
	s_cbranch_scc0 .LBB97_2
; %bb.1:
	s_ashr_i32 s3, s2, 31
	v_lshlrev_b32_e32 v1, 5, v0
	s_lshl_b64 s[12:13], s[2:3], 3
	s_mov_b32 s0, 0
	s_add_nc_u64 s[14:15], s[8:9], s[12:13]
	s_clause 0x1
	global_load_b128 v[2:5], v1, s[14:15]
	global_load_b128 v[6:9], v1, s[14:15] offset:16
	s_wait_xcnt 0x0
	s_add_nc_u64 s[14:15], s[10:11], s[12:13]
	s_add_nc_u64 s[12:13], s[6:7], s[12:13]
	s_wait_loadcnt 0x1
	v_mul_f64_e32 v[2:3], s[4:5], v[2:3]
	s_clause 0x1
	global_load_b128 v[10:13], v1, s[14:15]
	global_load_b128 v[14:17], v1, s[14:15] offset:16
	v_mul_f64_e32 v[4:5], s[4:5], v[4:5]
	s_wait_loadcnt 0x2
	v_mul_f64_e32 v[6:7], s[4:5], v[6:7]
	v_mul_f64_e32 v[8:9], s[4:5], v[8:9]
	s_wait_loadcnt 0x1
	v_mul_f64_e32 v[2:3], v[2:3], v[10:11]
	s_delay_alu instid0(VALU_DEP_4) | instskip(SKIP_1) | instid1(VALU_DEP_4)
	v_mul_f64_e32 v[4:5], v[4:5], v[12:13]
	s_wait_loadcnt 0x0
	v_mul_f64_e32 v[6:7], v[6:7], v[14:15]
	s_delay_alu instid0(VALU_DEP_4)
	v_mul_f64_e32 v[8:9], v[8:9], v[16:17]
	s_clause 0x1
	global_store_b128 v1, v[2:5], s[12:13]
	global_store_b128 v1, v[6:9], s[12:13] offset:16
.LBB97_2:
	s_and_not1_b32 vcc_lo, exec_lo, s0
	s_cbranch_vccnz .LBB97_23
; %bb.3:
	s_wait_xcnt 0x1
	v_mov_b64_e32 v[2:3], 0
	v_mov_b64_e32 v[4:5], 0
	s_wait_xcnt 0x0
	v_mov_b64_e32 v[6:7], 0
	v_cmp_gt_i32_e32 vcc_lo, s1, v0
	v_dual_mov_b32 v18, v0 :: v_dual_bitop2_b32 v1, s2, v0 bitop3:0x54
	v_or_b32_e32 v20, 0x100, v0
	s_and_saveexec_b32 s0, vcc_lo
	s_cbranch_execz .LBB97_5
; %bb.4:
	s_clause 0x1
	global_load_b64 v[4:5], v1, s[8:9] scale_offset
	global_load_b64 v[6:7], v1, s[10:11] scale_offset
	v_or_b32_e32 v18, 0x100, v0
.LBB97_5:
	s_wait_xcnt 0x0
	s_or_b32 exec_lo, exec_lo, s0
	v_mov_b64_e32 v[10:11], 0
	s_mov_b32 s3, exec_lo
	v_cmpx_gt_i32_e64 s1, v18
	s_cbranch_execz .LBB97_7
; %bb.6:
	v_add_nc_u32_e32 v8, s2, v18
	v_add_nc_u32_e32 v18, 0x100, v18
	s_clause 0x1
	global_load_b64 v[2:3], v8, s[8:9] scale_offset
	global_load_b64 v[10:11], v8, s[10:11] scale_offset
.LBB97_7:
	s_wait_xcnt 0x0
	s_or_b32 exec_lo, exec_lo, s3
	v_mov_b64_e32 v[8:9], 0
	v_mov_b64_e32 v[12:13], 0
	;; [unrolled: 1-line block ×3, first 2 shown]
	s_mov_b32 s3, exec_lo
	v_cmpx_gt_i32_e64 s1, v18
	s_cbranch_execz .LBB97_9
; %bb.8:
	v_add_nc_u32_e32 v16, s2, v18
	v_add_nc_u32_e32 v18, 0x100, v18
	s_clause 0x1
	global_load_b64 v[12:13], v16, s[8:9] scale_offset
	global_load_b64 v[14:15], v16, s[10:11] scale_offset
.LBB97_9:
	s_wait_xcnt 0x0
	s_or_b32 exec_lo, exec_lo, s3
	v_mov_b64_e32 v[16:17], 0
	s_mov_b32 s3, exec_lo
	v_cmpx_gt_i32_e64 s1, v18
	s_cbranch_execz .LBB97_11
; %bb.10:
	v_add_nc_u32_e32 v18, s2, v18
	s_clause 0x1
	global_load_b64 v[8:9], v18, s[8:9] scale_offset
	global_load_b64 v[16:17], v18, s[10:11] scale_offset
	s_wait_xcnt 0x0
	s_or_b32 exec_lo, exec_lo, s3
                                        ; implicit-def: $vgpr18_vgpr19
	s_and_saveexec_b32 s0, vcc_lo
	s_cbranch_execz .LBB97_13
	s_branch .LBB97_12
.LBB97_11:
	s_or_b32 exec_lo, exec_lo, s3
                                        ; implicit-def: $vgpr18_vgpr19
	s_and_saveexec_b32 s0, vcc_lo
	s_cbranch_execz .LBB97_13
.LBB97_12:
	s_wait_loadcnt 0x1
	v_mul_f64_e32 v[4:5], s[4:5], v[4:5]
	s_wait_loadcnt 0x0
	s_delay_alu instid0(VALU_DEP_1)
	v_mul_f64_e32 v[18:19], v[6:7], v[4:5]
.LBB97_13:
	s_or_b32 exec_lo, exec_lo, s0
	s_delay_alu instid0(SALU_CYCLE_1)
	s_mov_b32 s3, exec_lo
                                        ; implicit-def: $vgpr4_vgpr5
	v_cmpx_gt_i32_e64 s1, v20
	s_cbranch_execz .LBB97_15
; %bb.14:
	s_wait_loadcnt 0x1
	v_mul_f64_e32 v[2:3], s[4:5], v[2:3]
	s_wait_loadcnt 0x0
	s_delay_alu instid0(VALU_DEP_1)
	v_mul_f64_e32 v[4:5], v[10:11], v[2:3]
.LBB97_15:
	s_or_b32 exec_lo, exec_lo, s3
	s_wait_loadcnt 0x1
	v_or_b32_e32 v2, 0x200, v0
	s_delay_alu instid0(VALU_DEP_1)
	v_cmp_gt_i32_e64 s0, s1, v2
                                        ; implicit-def: $vgpr2_vgpr3
	s_and_saveexec_b32 s3, s0
	s_cbranch_execz .LBB97_17
; %bb.16:
	v_mul_f64_e32 v[2:3], s[4:5], v[12:13]
	s_wait_loadcnt 0x0
	s_delay_alu instid0(VALU_DEP_1)
	v_mul_f64_e32 v[2:3], v[14:15], v[2:3]
.LBB97_17:
	s_or_b32 exec_lo, exec_lo, s3
	s_wait_loadcnt 0x0
	v_or_b32_e32 v6, 0x300, v0
	s_delay_alu instid0(VALU_DEP_1)
	v_cmp_gt_i32_e64 s0, s1, v6
                                        ; implicit-def: $vgpr6_vgpr7
	s_and_saveexec_b32 s3, s0
	s_cbranch_execz .LBB97_24
; %bb.18:
	v_mul_f64_e32 v[6:7], s[4:5], v[8:9]
	s_delay_alu instid0(VALU_DEP_1) | instskip(SKIP_2) | instid1(SALU_CYCLE_1)
	v_mul_f64_e32 v[6:7], v[16:17], v[6:7]
	s_or_b32 exec_lo, exec_lo, s3
	s_and_saveexec_b32 s0, vcc_lo
	s_xor_b32 s0, exec_lo, s0
	s_cbranch_execnz .LBB97_25
.LBB97_19:
	s_or_b32 exec_lo, exec_lo, s0
	s_delay_alu instid0(SALU_CYCLE_1)
	s_mov_b32 s0, exec_lo
	v_cmpx_gt_i32_e64 s1, v0
	s_cbranch_execz .LBB97_26
.LBB97_20:
	v_add_nc_u32_e32 v1, s2, v0
	v_add_nc_u32_e32 v0, 0x100, v0
	global_store_b64 v1, v[4:5], s[6:7] scale_offset
	s_wait_xcnt 0x0
	s_or_b32 exec_lo, exec_lo, s0
	s_delay_alu instid0(SALU_CYCLE_1)
	s_mov_b32 s0, exec_lo
	v_cmpx_gt_i32_e64 s1, v0
	s_cbranch_execnz .LBB97_27
.LBB97_21:
	s_or_b32 exec_lo, exec_lo, s0
	s_delay_alu instid0(SALU_CYCLE_1)
	s_mov_b32 s0, exec_lo
	v_cmpx_gt_i32_e64 s1, v0
	s_cbranch_execz .LBB97_23
.LBB97_22:
	v_add_nc_u32_e32 v0, s2, v0
	global_store_b64 v0, v[6:7], s[6:7] scale_offset
.LBB97_23:
	s_endpgm
.LBB97_24:
	s_or_b32 exec_lo, exec_lo, s3
	s_and_saveexec_b32 s0, vcc_lo
	s_delay_alu instid0(SALU_CYCLE_1)
	s_xor_b32 s0, exec_lo, s0
	s_cbranch_execz .LBB97_19
.LBB97_25:
	v_mov_b32_e32 v0, v20
	global_store_b64 v1, v[18:19], s[6:7] scale_offset
	s_wait_xcnt 0x0
	s_or_b32 exec_lo, exec_lo, s0
	s_delay_alu instid0(SALU_CYCLE_1)
	s_mov_b32 s0, exec_lo
	v_cmpx_gt_i32_e64 s1, v0
	s_cbranch_execnz .LBB97_20
.LBB97_26:
	s_or_b32 exec_lo, exec_lo, s0
	s_delay_alu instid0(SALU_CYCLE_1)
	s_mov_b32 s0, exec_lo
	v_cmpx_gt_i32_e64 s1, v0
	s_cbranch_execz .LBB97_21
.LBB97_27:
	v_add_nc_u32_e32 v1, s2, v0
	v_add_nc_u32_e32 v0, 0x100, v0
	global_store_b64 v1, v[2:3], s[6:7] scale_offset
	s_wait_xcnt 0x0
	s_or_b32 exec_lo, exec_lo, s0
	s_delay_alu instid0(SALU_CYCLE_1)
	s_mov_b32 s0, exec_lo
	v_cmpx_gt_i32_e64 s1, v0
	s_cbranch_execnz .LBB97_22
	s_branch .LBB97_23
	.section	.rodata,"a",@progbits
	.p2align	6, 0x0
	.amdhsa_kernel _ZN2at6native29vectorized_elementwise_kernelILi8EZZZNS0_12_GLOBAL__N_116addr_kernel_cudaERNS_14TensorIteratorERKN3c106ScalarES8_ENKUlvE_clEvENKUlvE4_clEvEUldddE_St5arrayIPcLm4EEEEviT0_T1_
		.amdhsa_group_segment_fixed_size 0
		.amdhsa_private_segment_fixed_size 0
		.amdhsa_kernarg_size 48
		.amdhsa_user_sgpr_count 2
		.amdhsa_user_sgpr_dispatch_ptr 0
		.amdhsa_user_sgpr_queue_ptr 0
		.amdhsa_user_sgpr_kernarg_segment_ptr 1
		.amdhsa_user_sgpr_dispatch_id 0
		.amdhsa_user_sgpr_kernarg_preload_length 0
		.amdhsa_user_sgpr_kernarg_preload_offset 0
		.amdhsa_user_sgpr_private_segment_size 0
		.amdhsa_wavefront_size32 1
		.amdhsa_uses_dynamic_stack 0
		.amdhsa_enable_private_segment 0
		.amdhsa_system_sgpr_workgroup_id_x 1
		.amdhsa_system_sgpr_workgroup_id_y 0
		.amdhsa_system_sgpr_workgroup_id_z 0
		.amdhsa_system_sgpr_workgroup_info 0
		.amdhsa_system_vgpr_workitem_id 0
		.amdhsa_next_free_vgpr 21
		.amdhsa_next_free_sgpr 16
		.amdhsa_named_barrier_count 0
		.amdhsa_reserve_vcc 1
		.amdhsa_float_round_mode_32 0
		.amdhsa_float_round_mode_16_64 0
		.amdhsa_float_denorm_mode_32 3
		.amdhsa_float_denorm_mode_16_64 3
		.amdhsa_fp16_overflow 0
		.amdhsa_memory_ordered 1
		.amdhsa_forward_progress 1
		.amdhsa_inst_pref_size 9
		.amdhsa_round_robin_scheduling 0
		.amdhsa_exception_fp_ieee_invalid_op 0
		.amdhsa_exception_fp_denorm_src 0
		.amdhsa_exception_fp_ieee_div_zero 0
		.amdhsa_exception_fp_ieee_overflow 0
		.amdhsa_exception_fp_ieee_underflow 0
		.amdhsa_exception_fp_ieee_inexact 0
		.amdhsa_exception_int_div_zero 0
	.end_amdhsa_kernel
	.section	.text._ZN2at6native29vectorized_elementwise_kernelILi8EZZZNS0_12_GLOBAL__N_116addr_kernel_cudaERNS_14TensorIteratorERKN3c106ScalarES8_ENKUlvE_clEvENKUlvE4_clEvEUldddE_St5arrayIPcLm4EEEEviT0_T1_,"axG",@progbits,_ZN2at6native29vectorized_elementwise_kernelILi8EZZZNS0_12_GLOBAL__N_116addr_kernel_cudaERNS_14TensorIteratorERKN3c106ScalarES8_ENKUlvE_clEvENKUlvE4_clEvEUldddE_St5arrayIPcLm4EEEEviT0_T1_,comdat
.Lfunc_end97:
	.size	_ZN2at6native29vectorized_elementwise_kernelILi8EZZZNS0_12_GLOBAL__N_116addr_kernel_cudaERNS_14TensorIteratorERKN3c106ScalarES8_ENKUlvE_clEvENKUlvE4_clEvEUldddE_St5arrayIPcLm4EEEEviT0_T1_, .Lfunc_end97-_ZN2at6native29vectorized_elementwise_kernelILi8EZZZNS0_12_GLOBAL__N_116addr_kernel_cudaERNS_14TensorIteratorERKN3c106ScalarES8_ENKUlvE_clEvENKUlvE4_clEvEUldddE_St5arrayIPcLm4EEEEviT0_T1_
                                        ; -- End function
	.set _ZN2at6native29vectorized_elementwise_kernelILi8EZZZNS0_12_GLOBAL__N_116addr_kernel_cudaERNS_14TensorIteratorERKN3c106ScalarES8_ENKUlvE_clEvENKUlvE4_clEvEUldddE_St5arrayIPcLm4EEEEviT0_T1_.num_vgpr, 21
	.set _ZN2at6native29vectorized_elementwise_kernelILi8EZZZNS0_12_GLOBAL__N_116addr_kernel_cudaERNS_14TensorIteratorERKN3c106ScalarES8_ENKUlvE_clEvENKUlvE4_clEvEUldddE_St5arrayIPcLm4EEEEviT0_T1_.num_agpr, 0
	.set _ZN2at6native29vectorized_elementwise_kernelILi8EZZZNS0_12_GLOBAL__N_116addr_kernel_cudaERNS_14TensorIteratorERKN3c106ScalarES8_ENKUlvE_clEvENKUlvE4_clEvEUldddE_St5arrayIPcLm4EEEEviT0_T1_.numbered_sgpr, 16
	.set _ZN2at6native29vectorized_elementwise_kernelILi8EZZZNS0_12_GLOBAL__N_116addr_kernel_cudaERNS_14TensorIteratorERKN3c106ScalarES8_ENKUlvE_clEvENKUlvE4_clEvEUldddE_St5arrayIPcLm4EEEEviT0_T1_.num_named_barrier, 0
	.set _ZN2at6native29vectorized_elementwise_kernelILi8EZZZNS0_12_GLOBAL__N_116addr_kernel_cudaERNS_14TensorIteratorERKN3c106ScalarES8_ENKUlvE_clEvENKUlvE4_clEvEUldddE_St5arrayIPcLm4EEEEviT0_T1_.private_seg_size, 0
	.set _ZN2at6native29vectorized_elementwise_kernelILi8EZZZNS0_12_GLOBAL__N_116addr_kernel_cudaERNS_14TensorIteratorERKN3c106ScalarES8_ENKUlvE_clEvENKUlvE4_clEvEUldddE_St5arrayIPcLm4EEEEviT0_T1_.uses_vcc, 1
	.set _ZN2at6native29vectorized_elementwise_kernelILi8EZZZNS0_12_GLOBAL__N_116addr_kernel_cudaERNS_14TensorIteratorERKN3c106ScalarES8_ENKUlvE_clEvENKUlvE4_clEvEUldddE_St5arrayIPcLm4EEEEviT0_T1_.uses_flat_scratch, 0
	.set _ZN2at6native29vectorized_elementwise_kernelILi8EZZZNS0_12_GLOBAL__N_116addr_kernel_cudaERNS_14TensorIteratorERKN3c106ScalarES8_ENKUlvE_clEvENKUlvE4_clEvEUldddE_St5arrayIPcLm4EEEEviT0_T1_.has_dyn_sized_stack, 0
	.set _ZN2at6native29vectorized_elementwise_kernelILi8EZZZNS0_12_GLOBAL__N_116addr_kernel_cudaERNS_14TensorIteratorERKN3c106ScalarES8_ENKUlvE_clEvENKUlvE4_clEvEUldddE_St5arrayIPcLm4EEEEviT0_T1_.has_recursion, 0
	.set _ZN2at6native29vectorized_elementwise_kernelILi8EZZZNS0_12_GLOBAL__N_116addr_kernel_cudaERNS_14TensorIteratorERKN3c106ScalarES8_ENKUlvE_clEvENKUlvE4_clEvEUldddE_St5arrayIPcLm4EEEEviT0_T1_.has_indirect_call, 0
	.section	.AMDGPU.csdata,"",@progbits
; Kernel info:
; codeLenInByte = 1052
; TotalNumSgprs: 18
; NumVgprs: 21
; ScratchSize: 0
; MemoryBound: 0
; FloatMode: 240
; IeeeMode: 1
; LDSByteSize: 0 bytes/workgroup (compile time only)
; SGPRBlocks: 0
; VGPRBlocks: 1
; NumSGPRsForWavesPerEU: 18
; NumVGPRsForWavesPerEU: 21
; NamedBarCnt: 0
; Occupancy: 16
; WaveLimiterHint : 0
; COMPUTE_PGM_RSRC2:SCRATCH_EN: 0
; COMPUTE_PGM_RSRC2:USER_SGPR: 2
; COMPUTE_PGM_RSRC2:TRAP_HANDLER: 0
; COMPUTE_PGM_RSRC2:TGID_X_EN: 1
; COMPUTE_PGM_RSRC2:TGID_Y_EN: 0
; COMPUTE_PGM_RSRC2:TGID_Z_EN: 0
; COMPUTE_PGM_RSRC2:TIDIG_COMP_CNT: 0
	.section	.text._ZN2at6native29vectorized_elementwise_kernelILi4EZZZNS0_12_GLOBAL__N_116addr_kernel_cudaERNS_14TensorIteratorERKN3c106ScalarES8_ENKUlvE_clEvENKUlvE4_clEvEUldddE_St5arrayIPcLm4EEEEviT0_T1_,"axG",@progbits,_ZN2at6native29vectorized_elementwise_kernelILi4EZZZNS0_12_GLOBAL__N_116addr_kernel_cudaERNS_14TensorIteratorERKN3c106ScalarES8_ENKUlvE_clEvENKUlvE4_clEvEUldddE_St5arrayIPcLm4EEEEviT0_T1_,comdat
	.globl	_ZN2at6native29vectorized_elementwise_kernelILi4EZZZNS0_12_GLOBAL__N_116addr_kernel_cudaERNS_14TensorIteratorERKN3c106ScalarES8_ENKUlvE_clEvENKUlvE4_clEvEUldddE_St5arrayIPcLm4EEEEviT0_T1_ ; -- Begin function _ZN2at6native29vectorized_elementwise_kernelILi4EZZZNS0_12_GLOBAL__N_116addr_kernel_cudaERNS_14TensorIteratorERKN3c106ScalarES8_ENKUlvE_clEvENKUlvE4_clEvEUldddE_St5arrayIPcLm4EEEEviT0_T1_
	.p2align	8
	.type	_ZN2at6native29vectorized_elementwise_kernelILi4EZZZNS0_12_GLOBAL__N_116addr_kernel_cudaERNS_14TensorIteratorERKN3c106ScalarES8_ENKUlvE_clEvENKUlvE4_clEvEUldddE_St5arrayIPcLm4EEEEviT0_T1_,@function
_ZN2at6native29vectorized_elementwise_kernelILi4EZZZNS0_12_GLOBAL__N_116addr_kernel_cudaERNS_14TensorIteratorERKN3c106ScalarES8_ENKUlvE_clEvENKUlvE4_clEvEUldddE_St5arrayIPcLm4EEEEviT0_T1_: ; @_ZN2at6native29vectorized_elementwise_kernelILi4EZZZNS0_12_GLOBAL__N_116addr_kernel_cudaERNS_14TensorIteratorERKN3c106ScalarES8_ENKUlvE_clEvENKUlvE4_clEvEUldddE_St5arrayIPcLm4EEEEviT0_T1_
; %bb.0:
	s_clause 0x2
	s_load_b32 s3, s[0:1], 0x0
	s_load_b128 s[4:7], s[0:1], 0x8
	s_load_b128 s[8:11], s[0:1], 0x20
	s_wait_xcnt 0x0
	s_bfe_u32 s0, ttmp6, 0x4000c
	s_and_b32 s1, ttmp6, 15
	s_add_co_i32 s0, s0, 1
	s_getreg_b32 s2, hwreg(HW_REG_IB_STS2, 6, 4)
	s_mul_i32 s0, ttmp9, s0
	s_delay_alu instid0(SALU_CYCLE_1) | instskip(SKIP_2) | instid1(SALU_CYCLE_1)
	s_add_co_i32 s1, s1, s0
	s_cmp_eq_u32 s2, 0
	s_cselect_b32 s0, ttmp9, s1
	s_lshl_b32 s2, s0, 10
	s_mov_b32 s0, -1
	s_wait_kmcnt 0x0
	s_sub_co_i32 s1, s3, s2
	s_delay_alu instid0(SALU_CYCLE_1)
	s_cmp_gt_i32 s1, 0x3ff
	s_cbranch_scc0 .LBB98_2
; %bb.1:
	s_ashr_i32 s3, s2, 31
	v_lshlrev_b32_e32 v1, 5, v0
	s_lshl_b64 s[12:13], s[2:3], 3
	s_mov_b32 s0, 0
	s_add_nc_u64 s[14:15], s[8:9], s[12:13]
	s_clause 0x1
	global_load_b128 v[2:5], v1, s[14:15]
	global_load_b128 v[6:9], v1, s[14:15] offset:16
	s_wait_xcnt 0x0
	s_add_nc_u64 s[14:15], s[10:11], s[12:13]
	s_add_nc_u64 s[12:13], s[6:7], s[12:13]
	s_wait_loadcnt 0x1
	v_mul_f64_e32 v[2:3], s[4:5], v[2:3]
	s_clause 0x1
	global_load_b128 v[10:13], v1, s[14:15]
	global_load_b128 v[14:17], v1, s[14:15] offset:16
	v_mul_f64_e32 v[4:5], s[4:5], v[4:5]
	s_wait_loadcnt 0x2
	v_mul_f64_e32 v[6:7], s[4:5], v[6:7]
	v_mul_f64_e32 v[8:9], s[4:5], v[8:9]
	s_wait_loadcnt 0x1
	v_mul_f64_e32 v[2:3], v[2:3], v[10:11]
	s_delay_alu instid0(VALU_DEP_4) | instskip(SKIP_1) | instid1(VALU_DEP_4)
	v_mul_f64_e32 v[4:5], v[4:5], v[12:13]
	s_wait_loadcnt 0x0
	v_mul_f64_e32 v[6:7], v[6:7], v[14:15]
	s_delay_alu instid0(VALU_DEP_4)
	v_mul_f64_e32 v[8:9], v[8:9], v[16:17]
	s_clause 0x1
	global_store_b128 v1, v[2:5], s[12:13]
	global_store_b128 v1, v[6:9], s[12:13] offset:16
.LBB98_2:
	s_and_not1_b32 vcc_lo, exec_lo, s0
	s_cbranch_vccnz .LBB98_23
; %bb.3:
	s_wait_xcnt 0x1
	v_mov_b64_e32 v[2:3], 0
	v_mov_b64_e32 v[4:5], 0
	s_wait_xcnt 0x0
	v_mov_b64_e32 v[6:7], 0
	v_cmp_gt_i32_e32 vcc_lo, s1, v0
	v_dual_mov_b32 v18, v0 :: v_dual_bitop2_b32 v1, s2, v0 bitop3:0x54
	v_or_b32_e32 v20, 0x100, v0
	s_and_saveexec_b32 s0, vcc_lo
	s_cbranch_execz .LBB98_5
; %bb.4:
	s_clause 0x1
	global_load_b64 v[4:5], v1, s[8:9] scale_offset
	global_load_b64 v[6:7], v1, s[10:11] scale_offset
	v_or_b32_e32 v18, 0x100, v0
.LBB98_5:
	s_wait_xcnt 0x0
	s_or_b32 exec_lo, exec_lo, s0
	v_mov_b64_e32 v[10:11], 0
	s_mov_b32 s3, exec_lo
	v_cmpx_gt_i32_e64 s1, v18
	s_cbranch_execz .LBB98_7
; %bb.6:
	v_add_nc_u32_e32 v8, s2, v18
	v_add_nc_u32_e32 v18, 0x100, v18
	s_clause 0x1
	global_load_b64 v[2:3], v8, s[8:9] scale_offset
	global_load_b64 v[10:11], v8, s[10:11] scale_offset
.LBB98_7:
	s_wait_xcnt 0x0
	s_or_b32 exec_lo, exec_lo, s3
	v_mov_b64_e32 v[8:9], 0
	v_mov_b64_e32 v[12:13], 0
	;; [unrolled: 1-line block ×3, first 2 shown]
	s_mov_b32 s3, exec_lo
	v_cmpx_gt_i32_e64 s1, v18
	s_cbranch_execz .LBB98_9
; %bb.8:
	v_add_nc_u32_e32 v16, s2, v18
	v_add_nc_u32_e32 v18, 0x100, v18
	s_clause 0x1
	global_load_b64 v[12:13], v16, s[8:9] scale_offset
	global_load_b64 v[14:15], v16, s[10:11] scale_offset
.LBB98_9:
	s_wait_xcnt 0x0
	s_or_b32 exec_lo, exec_lo, s3
	v_mov_b64_e32 v[16:17], 0
	s_mov_b32 s3, exec_lo
	v_cmpx_gt_i32_e64 s1, v18
	s_cbranch_execz .LBB98_11
; %bb.10:
	v_add_nc_u32_e32 v18, s2, v18
	s_clause 0x1
	global_load_b64 v[8:9], v18, s[8:9] scale_offset
	global_load_b64 v[16:17], v18, s[10:11] scale_offset
	s_wait_xcnt 0x0
	s_or_b32 exec_lo, exec_lo, s3
                                        ; implicit-def: $vgpr18_vgpr19
	s_and_saveexec_b32 s0, vcc_lo
	s_cbranch_execz .LBB98_13
	s_branch .LBB98_12
.LBB98_11:
	s_or_b32 exec_lo, exec_lo, s3
                                        ; implicit-def: $vgpr18_vgpr19
	s_and_saveexec_b32 s0, vcc_lo
	s_cbranch_execz .LBB98_13
.LBB98_12:
	s_wait_loadcnt 0x1
	v_mul_f64_e32 v[4:5], s[4:5], v[4:5]
	s_wait_loadcnt 0x0
	s_delay_alu instid0(VALU_DEP_1)
	v_mul_f64_e32 v[18:19], v[6:7], v[4:5]
.LBB98_13:
	s_or_b32 exec_lo, exec_lo, s0
	s_delay_alu instid0(SALU_CYCLE_1)
	s_mov_b32 s3, exec_lo
                                        ; implicit-def: $vgpr4_vgpr5
	v_cmpx_gt_i32_e64 s1, v20
	s_cbranch_execz .LBB98_15
; %bb.14:
	s_wait_loadcnt 0x1
	v_mul_f64_e32 v[2:3], s[4:5], v[2:3]
	s_wait_loadcnt 0x0
	s_delay_alu instid0(VALU_DEP_1)
	v_mul_f64_e32 v[4:5], v[10:11], v[2:3]
.LBB98_15:
	s_or_b32 exec_lo, exec_lo, s3
	s_wait_loadcnt 0x1
	v_or_b32_e32 v2, 0x200, v0
	s_delay_alu instid0(VALU_DEP_1)
	v_cmp_gt_i32_e64 s0, s1, v2
                                        ; implicit-def: $vgpr2_vgpr3
	s_and_saveexec_b32 s3, s0
	s_cbranch_execz .LBB98_17
; %bb.16:
	v_mul_f64_e32 v[2:3], s[4:5], v[12:13]
	s_wait_loadcnt 0x0
	s_delay_alu instid0(VALU_DEP_1)
	v_mul_f64_e32 v[2:3], v[14:15], v[2:3]
.LBB98_17:
	s_or_b32 exec_lo, exec_lo, s3
	s_wait_loadcnt 0x0
	v_or_b32_e32 v6, 0x300, v0
	s_delay_alu instid0(VALU_DEP_1)
	v_cmp_gt_i32_e64 s0, s1, v6
                                        ; implicit-def: $vgpr6_vgpr7
	s_and_saveexec_b32 s3, s0
	s_cbranch_execz .LBB98_24
; %bb.18:
	v_mul_f64_e32 v[6:7], s[4:5], v[8:9]
	s_delay_alu instid0(VALU_DEP_1) | instskip(SKIP_2) | instid1(SALU_CYCLE_1)
	v_mul_f64_e32 v[6:7], v[16:17], v[6:7]
	s_or_b32 exec_lo, exec_lo, s3
	s_and_saveexec_b32 s0, vcc_lo
	s_xor_b32 s0, exec_lo, s0
	s_cbranch_execnz .LBB98_25
.LBB98_19:
	s_or_b32 exec_lo, exec_lo, s0
	s_delay_alu instid0(SALU_CYCLE_1)
	s_mov_b32 s0, exec_lo
	v_cmpx_gt_i32_e64 s1, v0
	s_cbranch_execz .LBB98_26
.LBB98_20:
	v_add_nc_u32_e32 v1, s2, v0
	v_add_nc_u32_e32 v0, 0x100, v0
	global_store_b64 v1, v[4:5], s[6:7] scale_offset
	s_wait_xcnt 0x0
	s_or_b32 exec_lo, exec_lo, s0
	s_delay_alu instid0(SALU_CYCLE_1)
	s_mov_b32 s0, exec_lo
	v_cmpx_gt_i32_e64 s1, v0
	s_cbranch_execnz .LBB98_27
.LBB98_21:
	s_or_b32 exec_lo, exec_lo, s0
	s_delay_alu instid0(SALU_CYCLE_1)
	s_mov_b32 s0, exec_lo
	v_cmpx_gt_i32_e64 s1, v0
	s_cbranch_execz .LBB98_23
.LBB98_22:
	v_add_nc_u32_e32 v0, s2, v0
	global_store_b64 v0, v[6:7], s[6:7] scale_offset
.LBB98_23:
	s_endpgm
.LBB98_24:
	s_or_b32 exec_lo, exec_lo, s3
	s_and_saveexec_b32 s0, vcc_lo
	s_delay_alu instid0(SALU_CYCLE_1)
	s_xor_b32 s0, exec_lo, s0
	s_cbranch_execz .LBB98_19
.LBB98_25:
	v_mov_b32_e32 v0, v20
	global_store_b64 v1, v[18:19], s[6:7] scale_offset
	s_wait_xcnt 0x0
	s_or_b32 exec_lo, exec_lo, s0
	s_delay_alu instid0(SALU_CYCLE_1)
	s_mov_b32 s0, exec_lo
	v_cmpx_gt_i32_e64 s1, v0
	s_cbranch_execnz .LBB98_20
.LBB98_26:
	s_or_b32 exec_lo, exec_lo, s0
	s_delay_alu instid0(SALU_CYCLE_1)
	s_mov_b32 s0, exec_lo
	v_cmpx_gt_i32_e64 s1, v0
	s_cbranch_execz .LBB98_21
.LBB98_27:
	v_add_nc_u32_e32 v1, s2, v0
	v_add_nc_u32_e32 v0, 0x100, v0
	global_store_b64 v1, v[2:3], s[6:7] scale_offset
	s_wait_xcnt 0x0
	s_or_b32 exec_lo, exec_lo, s0
	s_delay_alu instid0(SALU_CYCLE_1)
	s_mov_b32 s0, exec_lo
	v_cmpx_gt_i32_e64 s1, v0
	s_cbranch_execnz .LBB98_22
	s_branch .LBB98_23
	.section	.rodata,"a",@progbits
	.p2align	6, 0x0
	.amdhsa_kernel _ZN2at6native29vectorized_elementwise_kernelILi4EZZZNS0_12_GLOBAL__N_116addr_kernel_cudaERNS_14TensorIteratorERKN3c106ScalarES8_ENKUlvE_clEvENKUlvE4_clEvEUldddE_St5arrayIPcLm4EEEEviT0_T1_
		.amdhsa_group_segment_fixed_size 0
		.amdhsa_private_segment_fixed_size 0
		.amdhsa_kernarg_size 48
		.amdhsa_user_sgpr_count 2
		.amdhsa_user_sgpr_dispatch_ptr 0
		.amdhsa_user_sgpr_queue_ptr 0
		.amdhsa_user_sgpr_kernarg_segment_ptr 1
		.amdhsa_user_sgpr_dispatch_id 0
		.amdhsa_user_sgpr_kernarg_preload_length 0
		.amdhsa_user_sgpr_kernarg_preload_offset 0
		.amdhsa_user_sgpr_private_segment_size 0
		.amdhsa_wavefront_size32 1
		.amdhsa_uses_dynamic_stack 0
		.amdhsa_enable_private_segment 0
		.amdhsa_system_sgpr_workgroup_id_x 1
		.amdhsa_system_sgpr_workgroup_id_y 0
		.amdhsa_system_sgpr_workgroup_id_z 0
		.amdhsa_system_sgpr_workgroup_info 0
		.amdhsa_system_vgpr_workitem_id 0
		.amdhsa_next_free_vgpr 21
		.amdhsa_next_free_sgpr 16
		.amdhsa_named_barrier_count 0
		.amdhsa_reserve_vcc 1
		.amdhsa_float_round_mode_32 0
		.amdhsa_float_round_mode_16_64 0
		.amdhsa_float_denorm_mode_32 3
		.amdhsa_float_denorm_mode_16_64 3
		.amdhsa_fp16_overflow 0
		.amdhsa_memory_ordered 1
		.amdhsa_forward_progress 1
		.amdhsa_inst_pref_size 9
		.amdhsa_round_robin_scheduling 0
		.amdhsa_exception_fp_ieee_invalid_op 0
		.amdhsa_exception_fp_denorm_src 0
		.amdhsa_exception_fp_ieee_div_zero 0
		.amdhsa_exception_fp_ieee_overflow 0
		.amdhsa_exception_fp_ieee_underflow 0
		.amdhsa_exception_fp_ieee_inexact 0
		.amdhsa_exception_int_div_zero 0
	.end_amdhsa_kernel
	.section	.text._ZN2at6native29vectorized_elementwise_kernelILi4EZZZNS0_12_GLOBAL__N_116addr_kernel_cudaERNS_14TensorIteratorERKN3c106ScalarES8_ENKUlvE_clEvENKUlvE4_clEvEUldddE_St5arrayIPcLm4EEEEviT0_T1_,"axG",@progbits,_ZN2at6native29vectorized_elementwise_kernelILi4EZZZNS0_12_GLOBAL__N_116addr_kernel_cudaERNS_14TensorIteratorERKN3c106ScalarES8_ENKUlvE_clEvENKUlvE4_clEvEUldddE_St5arrayIPcLm4EEEEviT0_T1_,comdat
.Lfunc_end98:
	.size	_ZN2at6native29vectorized_elementwise_kernelILi4EZZZNS0_12_GLOBAL__N_116addr_kernel_cudaERNS_14TensorIteratorERKN3c106ScalarES8_ENKUlvE_clEvENKUlvE4_clEvEUldddE_St5arrayIPcLm4EEEEviT0_T1_, .Lfunc_end98-_ZN2at6native29vectorized_elementwise_kernelILi4EZZZNS0_12_GLOBAL__N_116addr_kernel_cudaERNS_14TensorIteratorERKN3c106ScalarES8_ENKUlvE_clEvENKUlvE4_clEvEUldddE_St5arrayIPcLm4EEEEviT0_T1_
                                        ; -- End function
	.set _ZN2at6native29vectorized_elementwise_kernelILi4EZZZNS0_12_GLOBAL__N_116addr_kernel_cudaERNS_14TensorIteratorERKN3c106ScalarES8_ENKUlvE_clEvENKUlvE4_clEvEUldddE_St5arrayIPcLm4EEEEviT0_T1_.num_vgpr, 21
	.set _ZN2at6native29vectorized_elementwise_kernelILi4EZZZNS0_12_GLOBAL__N_116addr_kernel_cudaERNS_14TensorIteratorERKN3c106ScalarES8_ENKUlvE_clEvENKUlvE4_clEvEUldddE_St5arrayIPcLm4EEEEviT0_T1_.num_agpr, 0
	.set _ZN2at6native29vectorized_elementwise_kernelILi4EZZZNS0_12_GLOBAL__N_116addr_kernel_cudaERNS_14TensorIteratorERKN3c106ScalarES8_ENKUlvE_clEvENKUlvE4_clEvEUldddE_St5arrayIPcLm4EEEEviT0_T1_.numbered_sgpr, 16
	.set _ZN2at6native29vectorized_elementwise_kernelILi4EZZZNS0_12_GLOBAL__N_116addr_kernel_cudaERNS_14TensorIteratorERKN3c106ScalarES8_ENKUlvE_clEvENKUlvE4_clEvEUldddE_St5arrayIPcLm4EEEEviT0_T1_.num_named_barrier, 0
	.set _ZN2at6native29vectorized_elementwise_kernelILi4EZZZNS0_12_GLOBAL__N_116addr_kernel_cudaERNS_14TensorIteratorERKN3c106ScalarES8_ENKUlvE_clEvENKUlvE4_clEvEUldddE_St5arrayIPcLm4EEEEviT0_T1_.private_seg_size, 0
	.set _ZN2at6native29vectorized_elementwise_kernelILi4EZZZNS0_12_GLOBAL__N_116addr_kernel_cudaERNS_14TensorIteratorERKN3c106ScalarES8_ENKUlvE_clEvENKUlvE4_clEvEUldddE_St5arrayIPcLm4EEEEviT0_T1_.uses_vcc, 1
	.set _ZN2at6native29vectorized_elementwise_kernelILi4EZZZNS0_12_GLOBAL__N_116addr_kernel_cudaERNS_14TensorIteratorERKN3c106ScalarES8_ENKUlvE_clEvENKUlvE4_clEvEUldddE_St5arrayIPcLm4EEEEviT0_T1_.uses_flat_scratch, 0
	.set _ZN2at6native29vectorized_elementwise_kernelILi4EZZZNS0_12_GLOBAL__N_116addr_kernel_cudaERNS_14TensorIteratorERKN3c106ScalarES8_ENKUlvE_clEvENKUlvE4_clEvEUldddE_St5arrayIPcLm4EEEEviT0_T1_.has_dyn_sized_stack, 0
	.set _ZN2at6native29vectorized_elementwise_kernelILi4EZZZNS0_12_GLOBAL__N_116addr_kernel_cudaERNS_14TensorIteratorERKN3c106ScalarES8_ENKUlvE_clEvENKUlvE4_clEvEUldddE_St5arrayIPcLm4EEEEviT0_T1_.has_recursion, 0
	.set _ZN2at6native29vectorized_elementwise_kernelILi4EZZZNS0_12_GLOBAL__N_116addr_kernel_cudaERNS_14TensorIteratorERKN3c106ScalarES8_ENKUlvE_clEvENKUlvE4_clEvEUldddE_St5arrayIPcLm4EEEEviT0_T1_.has_indirect_call, 0
	.section	.AMDGPU.csdata,"",@progbits
; Kernel info:
; codeLenInByte = 1052
; TotalNumSgprs: 18
; NumVgprs: 21
; ScratchSize: 0
; MemoryBound: 0
; FloatMode: 240
; IeeeMode: 1
; LDSByteSize: 0 bytes/workgroup (compile time only)
; SGPRBlocks: 0
; VGPRBlocks: 1
; NumSGPRsForWavesPerEU: 18
; NumVGPRsForWavesPerEU: 21
; NamedBarCnt: 0
; Occupancy: 16
; WaveLimiterHint : 0
; COMPUTE_PGM_RSRC2:SCRATCH_EN: 0
; COMPUTE_PGM_RSRC2:USER_SGPR: 2
; COMPUTE_PGM_RSRC2:TRAP_HANDLER: 0
; COMPUTE_PGM_RSRC2:TGID_X_EN: 1
; COMPUTE_PGM_RSRC2:TGID_Y_EN: 0
; COMPUTE_PGM_RSRC2:TGID_Z_EN: 0
; COMPUTE_PGM_RSRC2:TIDIG_COMP_CNT: 0
	.section	.text._ZN2at6native29vectorized_elementwise_kernelILi2EZZZNS0_12_GLOBAL__N_116addr_kernel_cudaERNS_14TensorIteratorERKN3c106ScalarES8_ENKUlvE_clEvENKUlvE4_clEvEUldddE_St5arrayIPcLm4EEEEviT0_T1_,"axG",@progbits,_ZN2at6native29vectorized_elementwise_kernelILi2EZZZNS0_12_GLOBAL__N_116addr_kernel_cudaERNS_14TensorIteratorERKN3c106ScalarES8_ENKUlvE_clEvENKUlvE4_clEvEUldddE_St5arrayIPcLm4EEEEviT0_T1_,comdat
	.globl	_ZN2at6native29vectorized_elementwise_kernelILi2EZZZNS0_12_GLOBAL__N_116addr_kernel_cudaERNS_14TensorIteratorERKN3c106ScalarES8_ENKUlvE_clEvENKUlvE4_clEvEUldddE_St5arrayIPcLm4EEEEviT0_T1_ ; -- Begin function _ZN2at6native29vectorized_elementwise_kernelILi2EZZZNS0_12_GLOBAL__N_116addr_kernel_cudaERNS_14TensorIteratorERKN3c106ScalarES8_ENKUlvE_clEvENKUlvE4_clEvEUldddE_St5arrayIPcLm4EEEEviT0_T1_
	.p2align	8
	.type	_ZN2at6native29vectorized_elementwise_kernelILi2EZZZNS0_12_GLOBAL__N_116addr_kernel_cudaERNS_14TensorIteratorERKN3c106ScalarES8_ENKUlvE_clEvENKUlvE4_clEvEUldddE_St5arrayIPcLm4EEEEviT0_T1_,@function
_ZN2at6native29vectorized_elementwise_kernelILi2EZZZNS0_12_GLOBAL__N_116addr_kernel_cudaERNS_14TensorIteratorERKN3c106ScalarES8_ENKUlvE_clEvENKUlvE4_clEvEUldddE_St5arrayIPcLm4EEEEviT0_T1_: ; @_ZN2at6native29vectorized_elementwise_kernelILi2EZZZNS0_12_GLOBAL__N_116addr_kernel_cudaERNS_14TensorIteratorERKN3c106ScalarES8_ENKUlvE_clEvENKUlvE4_clEvEUldddE_St5arrayIPcLm4EEEEviT0_T1_
; %bb.0:
	s_clause 0x2
	s_load_b32 s3, s[0:1], 0x0
	s_load_b128 s[4:7], s[0:1], 0x8
	s_load_b128 s[8:11], s[0:1], 0x20
	s_wait_xcnt 0x0
	s_bfe_u32 s0, ttmp6, 0x4000c
	s_and_b32 s1, ttmp6, 15
	s_add_co_i32 s0, s0, 1
	s_getreg_b32 s2, hwreg(HW_REG_IB_STS2, 6, 4)
	s_mul_i32 s0, ttmp9, s0
	s_delay_alu instid0(SALU_CYCLE_1) | instskip(SKIP_2) | instid1(SALU_CYCLE_1)
	s_add_co_i32 s1, s1, s0
	s_cmp_eq_u32 s2, 0
	s_cselect_b32 s0, ttmp9, s1
	s_lshl_b32 s2, s0, 10
	s_mov_b32 s0, -1
	s_wait_kmcnt 0x0
	s_sub_co_i32 s1, s3, s2
	s_delay_alu instid0(SALU_CYCLE_1)
	s_cmp_gt_i32 s1, 0x3ff
	s_cbranch_scc0 .LBB99_2
; %bb.1:
	s_ashr_i32 s3, s2, 31
	s_mov_b32 s0, 0
	s_lshl_b64 s[12:13], s[2:3], 3
	s_delay_alu instid0(SALU_CYCLE_1)
	s_add_nc_u64 s[14:15], s[8:9], s[12:13]
	s_clause 0x1
	global_load_b128 v[2:5], v0, s[14:15] scale_offset
	global_load_b128 v[6:9], v0, s[14:15] offset:4096 scale_offset
	s_wait_xcnt 0x0
	s_add_nc_u64 s[14:15], s[10:11], s[12:13]
	s_clause 0x1
	global_load_b128 v[10:13], v0, s[14:15] scale_offset
	global_load_b128 v[14:17], v0, s[14:15] offset:4096 scale_offset
	s_add_nc_u64 s[12:13], s[6:7], s[12:13]
	s_wait_loadcnt 0x3
	v_mul_f64_e32 v[2:3], s[4:5], v[2:3]
	v_mul_f64_e32 v[4:5], s[4:5], v[4:5]
	s_wait_loadcnt 0x2
	v_mul_f64_e32 v[6:7], s[4:5], v[6:7]
	v_mul_f64_e32 v[8:9], s[4:5], v[8:9]
	s_wait_loadcnt 0x1
	s_delay_alu instid0(VALU_DEP_4) | instskip(NEXT) | instid1(VALU_DEP_4)
	v_mul_f64_e32 v[2:3], v[2:3], v[10:11]
	v_mul_f64_e32 v[4:5], v[4:5], v[12:13]
	s_wait_loadcnt 0x0
	s_delay_alu instid0(VALU_DEP_4) | instskip(NEXT) | instid1(VALU_DEP_4)
	v_mul_f64_e32 v[6:7], v[6:7], v[14:15]
	v_mul_f64_e32 v[8:9], v[8:9], v[16:17]
	s_clause 0x1
	global_store_b128 v0, v[2:5], s[12:13] scale_offset
	global_store_b128 v0, v[6:9], s[12:13] offset:4096 scale_offset
.LBB99_2:
	s_and_not1_b32 vcc_lo, exec_lo, s0
	s_cbranch_vccnz .LBB99_23
; %bb.3:
	s_wait_xcnt 0x1
	v_mov_b64_e32 v[2:3], 0
	v_mov_b64_e32 v[4:5], 0
	s_wait_xcnt 0x0
	v_mov_b64_e32 v[6:7], 0
	v_cmp_gt_i32_e32 vcc_lo, s1, v0
	v_dual_mov_b32 v18, v0 :: v_dual_bitop2_b32 v1, s2, v0 bitop3:0x54
	v_or_b32_e32 v20, 0x100, v0
	s_and_saveexec_b32 s0, vcc_lo
	s_cbranch_execz .LBB99_5
; %bb.4:
	s_clause 0x1
	global_load_b64 v[4:5], v1, s[8:9] scale_offset
	global_load_b64 v[6:7], v1, s[10:11] scale_offset
	v_or_b32_e32 v18, 0x100, v0
.LBB99_5:
	s_wait_xcnt 0x0
	s_or_b32 exec_lo, exec_lo, s0
	v_mov_b64_e32 v[10:11], 0
	s_mov_b32 s3, exec_lo
	v_cmpx_gt_i32_e64 s1, v18
	s_cbranch_execz .LBB99_7
; %bb.6:
	v_add_nc_u32_e32 v8, s2, v18
	v_add_nc_u32_e32 v18, 0x100, v18
	s_clause 0x1
	global_load_b64 v[2:3], v8, s[8:9] scale_offset
	global_load_b64 v[10:11], v8, s[10:11] scale_offset
.LBB99_7:
	s_wait_xcnt 0x0
	s_or_b32 exec_lo, exec_lo, s3
	v_mov_b64_e32 v[8:9], 0
	v_mov_b64_e32 v[12:13], 0
	;; [unrolled: 1-line block ×3, first 2 shown]
	s_mov_b32 s3, exec_lo
	v_cmpx_gt_i32_e64 s1, v18
	s_cbranch_execz .LBB99_9
; %bb.8:
	v_add_nc_u32_e32 v16, s2, v18
	v_add_nc_u32_e32 v18, 0x100, v18
	s_clause 0x1
	global_load_b64 v[12:13], v16, s[8:9] scale_offset
	global_load_b64 v[14:15], v16, s[10:11] scale_offset
.LBB99_9:
	s_wait_xcnt 0x0
	s_or_b32 exec_lo, exec_lo, s3
	v_mov_b64_e32 v[16:17], 0
	s_mov_b32 s3, exec_lo
	v_cmpx_gt_i32_e64 s1, v18
	s_cbranch_execz .LBB99_11
; %bb.10:
	v_add_nc_u32_e32 v18, s2, v18
	s_clause 0x1
	global_load_b64 v[8:9], v18, s[8:9] scale_offset
	global_load_b64 v[16:17], v18, s[10:11] scale_offset
	s_wait_xcnt 0x0
	s_or_b32 exec_lo, exec_lo, s3
                                        ; implicit-def: $vgpr18_vgpr19
	s_and_saveexec_b32 s0, vcc_lo
	s_cbranch_execz .LBB99_13
	s_branch .LBB99_12
.LBB99_11:
	s_or_b32 exec_lo, exec_lo, s3
                                        ; implicit-def: $vgpr18_vgpr19
	s_and_saveexec_b32 s0, vcc_lo
	s_cbranch_execz .LBB99_13
.LBB99_12:
	s_wait_loadcnt 0x1
	v_mul_f64_e32 v[4:5], s[4:5], v[4:5]
	s_wait_loadcnt 0x0
	s_delay_alu instid0(VALU_DEP_1)
	v_mul_f64_e32 v[18:19], v[6:7], v[4:5]
.LBB99_13:
	s_or_b32 exec_lo, exec_lo, s0
	s_delay_alu instid0(SALU_CYCLE_1)
	s_mov_b32 s3, exec_lo
                                        ; implicit-def: $vgpr4_vgpr5
	v_cmpx_gt_i32_e64 s1, v20
	s_cbranch_execz .LBB99_15
; %bb.14:
	s_wait_loadcnt 0x1
	v_mul_f64_e32 v[2:3], s[4:5], v[2:3]
	s_wait_loadcnt 0x0
	s_delay_alu instid0(VALU_DEP_1)
	v_mul_f64_e32 v[4:5], v[10:11], v[2:3]
.LBB99_15:
	s_or_b32 exec_lo, exec_lo, s3
	s_wait_loadcnt 0x1
	v_or_b32_e32 v2, 0x200, v0
	s_delay_alu instid0(VALU_DEP_1)
	v_cmp_gt_i32_e64 s0, s1, v2
                                        ; implicit-def: $vgpr2_vgpr3
	s_and_saveexec_b32 s3, s0
	s_cbranch_execz .LBB99_17
; %bb.16:
	v_mul_f64_e32 v[2:3], s[4:5], v[12:13]
	s_wait_loadcnt 0x0
	s_delay_alu instid0(VALU_DEP_1)
	v_mul_f64_e32 v[2:3], v[14:15], v[2:3]
.LBB99_17:
	s_or_b32 exec_lo, exec_lo, s3
	s_wait_loadcnt 0x0
	v_or_b32_e32 v6, 0x300, v0
	s_delay_alu instid0(VALU_DEP_1)
	v_cmp_gt_i32_e64 s0, s1, v6
                                        ; implicit-def: $vgpr6_vgpr7
	s_and_saveexec_b32 s3, s0
	s_cbranch_execz .LBB99_24
; %bb.18:
	v_mul_f64_e32 v[6:7], s[4:5], v[8:9]
	s_delay_alu instid0(VALU_DEP_1) | instskip(SKIP_2) | instid1(SALU_CYCLE_1)
	v_mul_f64_e32 v[6:7], v[16:17], v[6:7]
	s_or_b32 exec_lo, exec_lo, s3
	s_and_saveexec_b32 s0, vcc_lo
	s_xor_b32 s0, exec_lo, s0
	s_cbranch_execnz .LBB99_25
.LBB99_19:
	s_or_b32 exec_lo, exec_lo, s0
	s_delay_alu instid0(SALU_CYCLE_1)
	s_mov_b32 s0, exec_lo
	v_cmpx_gt_i32_e64 s1, v0
	s_cbranch_execz .LBB99_26
.LBB99_20:
	v_add_nc_u32_e32 v1, s2, v0
	v_add_nc_u32_e32 v0, 0x100, v0
	global_store_b64 v1, v[4:5], s[6:7] scale_offset
	s_wait_xcnt 0x0
	s_or_b32 exec_lo, exec_lo, s0
	s_delay_alu instid0(SALU_CYCLE_1)
	s_mov_b32 s0, exec_lo
	v_cmpx_gt_i32_e64 s1, v0
	s_cbranch_execnz .LBB99_27
.LBB99_21:
	s_or_b32 exec_lo, exec_lo, s0
	s_delay_alu instid0(SALU_CYCLE_1)
	s_mov_b32 s0, exec_lo
	v_cmpx_gt_i32_e64 s1, v0
	s_cbranch_execz .LBB99_23
.LBB99_22:
	v_add_nc_u32_e32 v0, s2, v0
	global_store_b64 v0, v[6:7], s[6:7] scale_offset
.LBB99_23:
	s_endpgm
.LBB99_24:
	s_or_b32 exec_lo, exec_lo, s3
	s_and_saveexec_b32 s0, vcc_lo
	s_delay_alu instid0(SALU_CYCLE_1)
	s_xor_b32 s0, exec_lo, s0
	s_cbranch_execz .LBB99_19
.LBB99_25:
	v_mov_b32_e32 v0, v20
	global_store_b64 v1, v[18:19], s[6:7] scale_offset
	s_wait_xcnt 0x0
	s_or_b32 exec_lo, exec_lo, s0
	s_delay_alu instid0(SALU_CYCLE_1)
	s_mov_b32 s0, exec_lo
	v_cmpx_gt_i32_e64 s1, v0
	s_cbranch_execnz .LBB99_20
.LBB99_26:
	s_or_b32 exec_lo, exec_lo, s0
	s_delay_alu instid0(SALU_CYCLE_1)
	s_mov_b32 s0, exec_lo
	v_cmpx_gt_i32_e64 s1, v0
	s_cbranch_execz .LBB99_21
.LBB99_27:
	v_add_nc_u32_e32 v1, s2, v0
	v_add_nc_u32_e32 v0, 0x100, v0
	global_store_b64 v1, v[2:3], s[6:7] scale_offset
	s_wait_xcnt 0x0
	s_or_b32 exec_lo, exec_lo, s0
	s_delay_alu instid0(SALU_CYCLE_1)
	s_mov_b32 s0, exec_lo
	v_cmpx_gt_i32_e64 s1, v0
	s_cbranch_execnz .LBB99_22
	s_branch .LBB99_23
	.section	.rodata,"a",@progbits
	.p2align	6, 0x0
	.amdhsa_kernel _ZN2at6native29vectorized_elementwise_kernelILi2EZZZNS0_12_GLOBAL__N_116addr_kernel_cudaERNS_14TensorIteratorERKN3c106ScalarES8_ENKUlvE_clEvENKUlvE4_clEvEUldddE_St5arrayIPcLm4EEEEviT0_T1_
		.amdhsa_group_segment_fixed_size 0
		.amdhsa_private_segment_fixed_size 0
		.amdhsa_kernarg_size 48
		.amdhsa_user_sgpr_count 2
		.amdhsa_user_sgpr_dispatch_ptr 0
		.amdhsa_user_sgpr_queue_ptr 0
		.amdhsa_user_sgpr_kernarg_segment_ptr 1
		.amdhsa_user_sgpr_dispatch_id 0
		.amdhsa_user_sgpr_kernarg_preload_length 0
		.amdhsa_user_sgpr_kernarg_preload_offset 0
		.amdhsa_user_sgpr_private_segment_size 0
		.amdhsa_wavefront_size32 1
		.amdhsa_uses_dynamic_stack 0
		.amdhsa_enable_private_segment 0
		.amdhsa_system_sgpr_workgroup_id_x 1
		.amdhsa_system_sgpr_workgroup_id_y 0
		.amdhsa_system_sgpr_workgroup_id_z 0
		.amdhsa_system_sgpr_workgroup_info 0
		.amdhsa_system_vgpr_workitem_id 0
		.amdhsa_next_free_vgpr 21
		.amdhsa_next_free_sgpr 16
		.amdhsa_named_barrier_count 0
		.amdhsa_reserve_vcc 1
		.amdhsa_float_round_mode_32 0
		.amdhsa_float_round_mode_16_64 0
		.amdhsa_float_denorm_mode_32 3
		.amdhsa_float_denorm_mode_16_64 3
		.amdhsa_fp16_overflow 0
		.amdhsa_memory_ordered 1
		.amdhsa_forward_progress 1
		.amdhsa_inst_pref_size 9
		.amdhsa_round_robin_scheduling 0
		.amdhsa_exception_fp_ieee_invalid_op 0
		.amdhsa_exception_fp_denorm_src 0
		.amdhsa_exception_fp_ieee_div_zero 0
		.amdhsa_exception_fp_ieee_overflow 0
		.amdhsa_exception_fp_ieee_underflow 0
		.amdhsa_exception_fp_ieee_inexact 0
		.amdhsa_exception_int_div_zero 0
	.end_amdhsa_kernel
	.section	.text._ZN2at6native29vectorized_elementwise_kernelILi2EZZZNS0_12_GLOBAL__N_116addr_kernel_cudaERNS_14TensorIteratorERKN3c106ScalarES8_ENKUlvE_clEvENKUlvE4_clEvEUldddE_St5arrayIPcLm4EEEEviT0_T1_,"axG",@progbits,_ZN2at6native29vectorized_elementwise_kernelILi2EZZZNS0_12_GLOBAL__N_116addr_kernel_cudaERNS_14TensorIteratorERKN3c106ScalarES8_ENKUlvE_clEvENKUlvE4_clEvEUldddE_St5arrayIPcLm4EEEEviT0_T1_,comdat
.Lfunc_end99:
	.size	_ZN2at6native29vectorized_elementwise_kernelILi2EZZZNS0_12_GLOBAL__N_116addr_kernel_cudaERNS_14TensorIteratorERKN3c106ScalarES8_ENKUlvE_clEvENKUlvE4_clEvEUldddE_St5arrayIPcLm4EEEEviT0_T1_, .Lfunc_end99-_ZN2at6native29vectorized_elementwise_kernelILi2EZZZNS0_12_GLOBAL__N_116addr_kernel_cudaERNS_14TensorIteratorERKN3c106ScalarES8_ENKUlvE_clEvENKUlvE4_clEvEUldddE_St5arrayIPcLm4EEEEviT0_T1_
                                        ; -- End function
	.set _ZN2at6native29vectorized_elementwise_kernelILi2EZZZNS0_12_GLOBAL__N_116addr_kernel_cudaERNS_14TensorIteratorERKN3c106ScalarES8_ENKUlvE_clEvENKUlvE4_clEvEUldddE_St5arrayIPcLm4EEEEviT0_T1_.num_vgpr, 21
	.set _ZN2at6native29vectorized_elementwise_kernelILi2EZZZNS0_12_GLOBAL__N_116addr_kernel_cudaERNS_14TensorIteratorERKN3c106ScalarES8_ENKUlvE_clEvENKUlvE4_clEvEUldddE_St5arrayIPcLm4EEEEviT0_T1_.num_agpr, 0
	.set _ZN2at6native29vectorized_elementwise_kernelILi2EZZZNS0_12_GLOBAL__N_116addr_kernel_cudaERNS_14TensorIteratorERKN3c106ScalarES8_ENKUlvE_clEvENKUlvE4_clEvEUldddE_St5arrayIPcLm4EEEEviT0_T1_.numbered_sgpr, 16
	.set _ZN2at6native29vectorized_elementwise_kernelILi2EZZZNS0_12_GLOBAL__N_116addr_kernel_cudaERNS_14TensorIteratorERKN3c106ScalarES8_ENKUlvE_clEvENKUlvE4_clEvEUldddE_St5arrayIPcLm4EEEEviT0_T1_.num_named_barrier, 0
	.set _ZN2at6native29vectorized_elementwise_kernelILi2EZZZNS0_12_GLOBAL__N_116addr_kernel_cudaERNS_14TensorIteratorERKN3c106ScalarES8_ENKUlvE_clEvENKUlvE4_clEvEUldddE_St5arrayIPcLm4EEEEviT0_T1_.private_seg_size, 0
	.set _ZN2at6native29vectorized_elementwise_kernelILi2EZZZNS0_12_GLOBAL__N_116addr_kernel_cudaERNS_14TensorIteratorERKN3c106ScalarES8_ENKUlvE_clEvENKUlvE4_clEvEUldddE_St5arrayIPcLm4EEEEviT0_T1_.uses_vcc, 1
	.set _ZN2at6native29vectorized_elementwise_kernelILi2EZZZNS0_12_GLOBAL__N_116addr_kernel_cudaERNS_14TensorIteratorERKN3c106ScalarES8_ENKUlvE_clEvENKUlvE4_clEvEUldddE_St5arrayIPcLm4EEEEviT0_T1_.uses_flat_scratch, 0
	.set _ZN2at6native29vectorized_elementwise_kernelILi2EZZZNS0_12_GLOBAL__N_116addr_kernel_cudaERNS_14TensorIteratorERKN3c106ScalarES8_ENKUlvE_clEvENKUlvE4_clEvEUldddE_St5arrayIPcLm4EEEEviT0_T1_.has_dyn_sized_stack, 0
	.set _ZN2at6native29vectorized_elementwise_kernelILi2EZZZNS0_12_GLOBAL__N_116addr_kernel_cudaERNS_14TensorIteratorERKN3c106ScalarES8_ENKUlvE_clEvENKUlvE4_clEvEUldddE_St5arrayIPcLm4EEEEviT0_T1_.has_recursion, 0
	.set _ZN2at6native29vectorized_elementwise_kernelILi2EZZZNS0_12_GLOBAL__N_116addr_kernel_cudaERNS_14TensorIteratorERKN3c106ScalarES8_ENKUlvE_clEvENKUlvE4_clEvEUldddE_St5arrayIPcLm4EEEEviT0_T1_.has_indirect_call, 0
	.section	.AMDGPU.csdata,"",@progbits
; Kernel info:
; codeLenInByte = 1052
; TotalNumSgprs: 18
; NumVgprs: 21
; ScratchSize: 0
; MemoryBound: 0
; FloatMode: 240
; IeeeMode: 1
; LDSByteSize: 0 bytes/workgroup (compile time only)
; SGPRBlocks: 0
; VGPRBlocks: 1
; NumSGPRsForWavesPerEU: 18
; NumVGPRsForWavesPerEU: 21
; NamedBarCnt: 0
; Occupancy: 16
; WaveLimiterHint : 1
; COMPUTE_PGM_RSRC2:SCRATCH_EN: 0
; COMPUTE_PGM_RSRC2:USER_SGPR: 2
; COMPUTE_PGM_RSRC2:TRAP_HANDLER: 0
; COMPUTE_PGM_RSRC2:TGID_X_EN: 1
; COMPUTE_PGM_RSRC2:TGID_Y_EN: 0
; COMPUTE_PGM_RSRC2:TGID_Z_EN: 0
; COMPUTE_PGM_RSRC2:TIDIG_COMP_CNT: 0
	.section	.text._ZN2at6native27unrolled_elementwise_kernelIZZZNS0_12_GLOBAL__N_116addr_kernel_cudaERNS_14TensorIteratorERKN3c106ScalarES8_ENKUlvE_clEvENKUlvE4_clEvEUldddE_St5arrayIPcLm4EELi4E23TrivialOffsetCalculatorILi3EjESF_ILi1EjENS0_6memory15LoadWithoutCastENSI_16StoreWithoutCastEEEviT_T0_T2_T3_T4_T5_,"axG",@progbits,_ZN2at6native27unrolled_elementwise_kernelIZZZNS0_12_GLOBAL__N_116addr_kernel_cudaERNS_14TensorIteratorERKN3c106ScalarES8_ENKUlvE_clEvENKUlvE4_clEvEUldddE_St5arrayIPcLm4EELi4E23TrivialOffsetCalculatorILi3EjESF_ILi1EjENS0_6memory15LoadWithoutCastENSI_16StoreWithoutCastEEEviT_T0_T2_T3_T4_T5_,comdat
	.globl	_ZN2at6native27unrolled_elementwise_kernelIZZZNS0_12_GLOBAL__N_116addr_kernel_cudaERNS_14TensorIteratorERKN3c106ScalarES8_ENKUlvE_clEvENKUlvE4_clEvEUldddE_St5arrayIPcLm4EELi4E23TrivialOffsetCalculatorILi3EjESF_ILi1EjENS0_6memory15LoadWithoutCastENSI_16StoreWithoutCastEEEviT_T0_T2_T3_T4_T5_ ; -- Begin function _ZN2at6native27unrolled_elementwise_kernelIZZZNS0_12_GLOBAL__N_116addr_kernel_cudaERNS_14TensorIteratorERKN3c106ScalarES8_ENKUlvE_clEvENKUlvE4_clEvEUldddE_St5arrayIPcLm4EELi4E23TrivialOffsetCalculatorILi3EjESF_ILi1EjENS0_6memory15LoadWithoutCastENSI_16StoreWithoutCastEEEviT_T0_T2_T3_T4_T5_
	.p2align	8
	.type	_ZN2at6native27unrolled_elementwise_kernelIZZZNS0_12_GLOBAL__N_116addr_kernel_cudaERNS_14TensorIteratorERKN3c106ScalarES8_ENKUlvE_clEvENKUlvE4_clEvEUldddE_St5arrayIPcLm4EELi4E23TrivialOffsetCalculatorILi3EjESF_ILi1EjENS0_6memory15LoadWithoutCastENSI_16StoreWithoutCastEEEviT_T0_T2_T3_T4_T5_,@function
_ZN2at6native27unrolled_elementwise_kernelIZZZNS0_12_GLOBAL__N_116addr_kernel_cudaERNS_14TensorIteratorERKN3c106ScalarES8_ENKUlvE_clEvENKUlvE4_clEvEUldddE_St5arrayIPcLm4EELi4E23TrivialOffsetCalculatorILi3EjESF_ILi1EjENS0_6memory15LoadWithoutCastENSI_16StoreWithoutCastEEEviT_T0_T2_T3_T4_T5_: ; @_ZN2at6native27unrolled_elementwise_kernelIZZZNS0_12_GLOBAL__N_116addr_kernel_cudaERNS_14TensorIteratorERKN3c106ScalarES8_ENKUlvE_clEvENKUlvE4_clEvEUldddE_St5arrayIPcLm4EELi4E23TrivialOffsetCalculatorILi3EjESF_ILi1EjENS0_6memory15LoadWithoutCastENSI_16StoreWithoutCastEEEviT_T0_T2_T3_T4_T5_
; %bb.0:
	s_clause 0x1
	s_load_b32 s2, s[0:1], 0x0
	s_load_b128 s[8:11], s[0:1], 0x20
	s_bfe_u32 s4, ttmp6, 0x4000c
	s_and_b32 s3, ttmp6, 15
	s_add_co_i32 s4, s4, 1
	s_getreg_b32 s5, hwreg(HW_REG_IB_STS2, 6, 4)
	s_mul_i32 s4, ttmp9, s4
	v_mov_b64_e32 v[2:3], 0
	s_add_co_i32 s3, s3, s4
	s_cmp_eq_u32 s5, 0
	v_mov_b64_e32 v[4:5], 0
	s_cselect_b32 s3, ttmp9, s3
	v_mov_b64_e32 v[6:7], 0
	s_lshl_b32 s3, s3, 10
	v_or_b32_e32 v1, 0x100, v0
	v_dual_mov_b32 v18, v0 :: v_dual_bitop2_b32 v20, s3, v0 bitop3:0x54
	s_wait_kmcnt 0x0
	s_sub_co_i32 s12, s2, s3
	s_delay_alu instid0(SALU_CYCLE_1)
	v_cmp_gt_i32_e32 vcc_lo, s12, v0
	s_and_saveexec_b32 s2, vcc_lo
	s_cbranch_execz .LBB100_2
; %bb.1:
	s_clause 0x1
	global_load_b64 v[4:5], v20, s[8:9] scale_offset
	global_load_b64 v[6:7], v20, s[10:11] scale_offset
	v_or_b32_e32 v18, 0x100, v0
.LBB100_2:
	s_wait_xcnt 0x0
	s_or_b32 exec_lo, exec_lo, s2
	v_mov_b64_e32 v[10:11], 0
	s_mov_b32 s4, exec_lo
	v_cmpx_gt_i32_e64 s12, v18
	s_cbranch_execz .LBB100_4
; %bb.3:
	v_add_nc_u32_e32 v8, s3, v18
	v_add_nc_u32_e32 v18, 0x100, v18
	s_clause 0x1
	global_load_b64 v[2:3], v8, s[8:9] scale_offset
	global_load_b64 v[10:11], v8, s[10:11] scale_offset
.LBB100_4:
	s_wait_xcnt 0x0
	s_or_b32 exec_lo, exec_lo, s4
	v_mov_b64_e32 v[8:9], 0
	v_mov_b64_e32 v[12:13], 0
	;; [unrolled: 1-line block ×3, first 2 shown]
	s_mov_b32 s4, exec_lo
	v_cmpx_gt_i32_e64 s12, v18
	s_cbranch_execz .LBB100_6
; %bb.5:
	v_add_nc_u32_e32 v16, s3, v18
	v_add_nc_u32_e32 v18, 0x100, v18
	s_clause 0x1
	global_load_b64 v[12:13], v16, s[8:9] scale_offset
	global_load_b64 v[14:15], v16, s[10:11] scale_offset
.LBB100_6:
	s_wait_xcnt 0x0
	s_or_b32 exec_lo, exec_lo, s4
	s_load_b128 s[4:7], s[0:1], 0x8
	v_mov_b64_e32 v[16:17], 0
	s_wait_xcnt 0x0
	s_mov_b32 s1, exec_lo
	v_cmpx_gt_i32_e64 s12, v18
	s_cbranch_execz .LBB100_8
; %bb.7:
	v_add_nc_u32_e32 v18, s3, v18
	s_clause 0x1
	global_load_b64 v[8:9], v18, s[8:9] scale_offset
	global_load_b64 v[16:17], v18, s[10:11] scale_offset
	s_wait_xcnt 0x0
	s_or_b32 exec_lo, exec_lo, s1
                                        ; implicit-def: $vgpr18_vgpr19
	s_and_saveexec_b32 s0, vcc_lo
	s_cbranch_execz .LBB100_10
	s_branch .LBB100_9
.LBB100_8:
	s_or_b32 exec_lo, exec_lo, s1
                                        ; implicit-def: $vgpr18_vgpr19
	s_and_saveexec_b32 s0, vcc_lo
	s_cbranch_execz .LBB100_10
.LBB100_9:
	s_wait_loadcnt 0x1
	s_wait_kmcnt 0x0
	v_mul_f64_e32 v[4:5], s[4:5], v[4:5]
	s_wait_loadcnt 0x0
	s_delay_alu instid0(VALU_DEP_1)
	v_mul_f64_e32 v[18:19], v[6:7], v[4:5]
.LBB100_10:
	s_or_b32 exec_lo, exec_lo, s0
	s_delay_alu instid0(SALU_CYCLE_1)
	s_mov_b32 s1, exec_lo
                                        ; implicit-def: $vgpr4_vgpr5
	v_cmpx_gt_i32_e64 s12, v1
	s_cbranch_execz .LBB100_12
; %bb.11:
	s_wait_loadcnt 0x1
	s_wait_kmcnt 0x0
	v_mul_f64_e32 v[2:3], s[4:5], v[2:3]
	s_wait_loadcnt 0x0
	s_delay_alu instid0(VALU_DEP_1)
	v_mul_f64_e32 v[4:5], v[10:11], v[2:3]
.LBB100_12:
	s_or_b32 exec_lo, exec_lo, s1
	s_wait_loadcnt 0x1
	v_or_b32_e32 v2, 0x200, v0
	s_delay_alu instid0(VALU_DEP_1)
	v_cmp_gt_i32_e64 s0, s12, v2
                                        ; implicit-def: $vgpr2_vgpr3
	s_and_saveexec_b32 s1, s0
	s_cbranch_execz .LBB100_14
; %bb.13:
	s_wait_kmcnt 0x0
	v_mul_f64_e32 v[2:3], s[4:5], v[12:13]
	s_wait_loadcnt 0x0
	s_delay_alu instid0(VALU_DEP_1)
	v_mul_f64_e32 v[2:3], v[14:15], v[2:3]
.LBB100_14:
	s_or_b32 exec_lo, exec_lo, s1
	s_wait_loadcnt 0x0
	v_or_b32_e32 v6, 0x300, v0
	s_delay_alu instid0(VALU_DEP_1)
	v_cmp_gt_i32_e64 s0, s12, v6
                                        ; implicit-def: $vgpr6_vgpr7
	s_and_saveexec_b32 s1, s0
	s_cbranch_execz .LBB100_20
; %bb.15:
	s_wait_kmcnt 0x0
	v_mul_f64_e32 v[6:7], s[4:5], v[8:9]
	s_delay_alu instid0(VALU_DEP_1) | instskip(SKIP_2) | instid1(SALU_CYCLE_1)
	v_mul_f64_e32 v[6:7], v[16:17], v[6:7]
	s_or_b32 exec_lo, exec_lo, s1
	s_and_saveexec_b32 s0, vcc_lo
	s_xor_b32 s0, exec_lo, s0
	s_cbranch_execnz .LBB100_21
.LBB100_16:
	s_or_b32 exec_lo, exec_lo, s0
	s_delay_alu instid0(SALU_CYCLE_1)
	s_mov_b32 s0, exec_lo
	v_cmpx_gt_i32_e64 s12, v0
	s_cbranch_execz .LBB100_22
.LBB100_17:
	v_add_nc_u32_e32 v1, 0x100, v0
	s_delay_alu instid0(VALU_DEP_1) | instskip(SKIP_4) | instid1(SALU_CYCLE_1)
	v_dual_add_nc_u32 v8, s3, v0 :: v_dual_mov_b32 v0, v1
	s_wait_kmcnt 0x0
	global_store_b64 v8, v[4:5], s[6:7] scale_offset
	s_wait_xcnt 0x0
	s_or_b32 exec_lo, exec_lo, s0
	s_mov_b32 s0, exec_lo
	v_cmpx_gt_i32_e64 s12, v0
	s_cbranch_execnz .LBB100_23
.LBB100_18:
	s_or_b32 exec_lo, exec_lo, s0
	s_delay_alu instid0(SALU_CYCLE_1)
	s_mov_b32 s0, exec_lo
	v_cmpx_gt_i32_e64 s12, v0
	s_cbranch_execz .LBB100_24
.LBB100_19:
	v_add_nc_u32_e32 v0, s3, v0
	s_wait_kmcnt 0x0
	global_store_b64 v0, v[6:7], s[6:7] scale_offset
	s_endpgm
.LBB100_20:
	s_or_b32 exec_lo, exec_lo, s1
	s_and_saveexec_b32 s0, vcc_lo
	s_delay_alu instid0(SALU_CYCLE_1)
	s_xor_b32 s0, exec_lo, s0
	s_cbranch_execz .LBB100_16
.LBB100_21:
	v_mov_b32_e32 v0, v1
	s_wait_kmcnt 0x0
	global_store_b64 v20, v[18:19], s[6:7] scale_offset
	s_wait_xcnt 0x0
	s_or_b32 exec_lo, exec_lo, s0
	s_delay_alu instid0(SALU_CYCLE_1)
	s_mov_b32 s0, exec_lo
	v_cmpx_gt_i32_e64 s12, v0
	s_cbranch_execnz .LBB100_17
.LBB100_22:
	s_or_b32 exec_lo, exec_lo, s0
	s_delay_alu instid0(SALU_CYCLE_1)
	s_mov_b32 s0, exec_lo
	v_cmpx_gt_i32_e64 s12, v0
	s_cbranch_execz .LBB100_18
.LBB100_23:
	v_add_nc_u32_e32 v1, 0x100, v0
	s_delay_alu instid0(VALU_DEP_1) | instskip(SKIP_4) | instid1(SALU_CYCLE_1)
	v_dual_add_nc_u32 v4, s3, v0 :: v_dual_mov_b32 v0, v1
	s_wait_kmcnt 0x0
	global_store_b64 v4, v[2:3], s[6:7] scale_offset
	s_wait_xcnt 0x0
	s_or_b32 exec_lo, exec_lo, s0
	s_mov_b32 s0, exec_lo
	v_cmpx_gt_i32_e64 s12, v0
	s_cbranch_execnz .LBB100_19
.LBB100_24:
	s_endpgm
	.section	.rodata,"a",@progbits
	.p2align	6, 0x0
	.amdhsa_kernel _ZN2at6native27unrolled_elementwise_kernelIZZZNS0_12_GLOBAL__N_116addr_kernel_cudaERNS_14TensorIteratorERKN3c106ScalarES8_ENKUlvE_clEvENKUlvE4_clEvEUldddE_St5arrayIPcLm4EELi4E23TrivialOffsetCalculatorILi3EjESF_ILi1EjENS0_6memory15LoadWithoutCastENSI_16StoreWithoutCastEEEviT_T0_T2_T3_T4_T5_
		.amdhsa_group_segment_fixed_size 0
		.amdhsa_private_segment_fixed_size 0
		.amdhsa_kernarg_size 52
		.amdhsa_user_sgpr_count 2
		.amdhsa_user_sgpr_dispatch_ptr 0
		.amdhsa_user_sgpr_queue_ptr 0
		.amdhsa_user_sgpr_kernarg_segment_ptr 1
		.amdhsa_user_sgpr_dispatch_id 0
		.amdhsa_user_sgpr_kernarg_preload_length 0
		.amdhsa_user_sgpr_kernarg_preload_offset 0
		.amdhsa_user_sgpr_private_segment_size 0
		.amdhsa_wavefront_size32 1
		.amdhsa_uses_dynamic_stack 0
		.amdhsa_enable_private_segment 0
		.amdhsa_system_sgpr_workgroup_id_x 1
		.amdhsa_system_sgpr_workgroup_id_y 0
		.amdhsa_system_sgpr_workgroup_id_z 0
		.amdhsa_system_sgpr_workgroup_info 0
		.amdhsa_system_vgpr_workitem_id 0
		.amdhsa_next_free_vgpr 21
		.amdhsa_next_free_sgpr 13
		.amdhsa_named_barrier_count 0
		.amdhsa_reserve_vcc 1
		.amdhsa_float_round_mode_32 0
		.amdhsa_float_round_mode_16_64 0
		.amdhsa_float_denorm_mode_32 3
		.amdhsa_float_denorm_mode_16_64 3
		.amdhsa_fp16_overflow 0
		.amdhsa_memory_ordered 1
		.amdhsa_forward_progress 1
		.amdhsa_inst_pref_size 7
		.amdhsa_round_robin_scheduling 0
		.amdhsa_exception_fp_ieee_invalid_op 0
		.amdhsa_exception_fp_denorm_src 0
		.amdhsa_exception_fp_ieee_div_zero 0
		.amdhsa_exception_fp_ieee_overflow 0
		.amdhsa_exception_fp_ieee_underflow 0
		.amdhsa_exception_fp_ieee_inexact 0
		.amdhsa_exception_int_div_zero 0
	.end_amdhsa_kernel
	.section	.text._ZN2at6native27unrolled_elementwise_kernelIZZZNS0_12_GLOBAL__N_116addr_kernel_cudaERNS_14TensorIteratorERKN3c106ScalarES8_ENKUlvE_clEvENKUlvE4_clEvEUldddE_St5arrayIPcLm4EELi4E23TrivialOffsetCalculatorILi3EjESF_ILi1EjENS0_6memory15LoadWithoutCastENSI_16StoreWithoutCastEEEviT_T0_T2_T3_T4_T5_,"axG",@progbits,_ZN2at6native27unrolled_elementwise_kernelIZZZNS0_12_GLOBAL__N_116addr_kernel_cudaERNS_14TensorIteratorERKN3c106ScalarES8_ENKUlvE_clEvENKUlvE4_clEvEUldddE_St5arrayIPcLm4EELi4E23TrivialOffsetCalculatorILi3EjESF_ILi1EjENS0_6memory15LoadWithoutCastENSI_16StoreWithoutCastEEEviT_T0_T2_T3_T4_T5_,comdat
.Lfunc_end100:
	.size	_ZN2at6native27unrolled_elementwise_kernelIZZZNS0_12_GLOBAL__N_116addr_kernel_cudaERNS_14TensorIteratorERKN3c106ScalarES8_ENKUlvE_clEvENKUlvE4_clEvEUldddE_St5arrayIPcLm4EELi4E23TrivialOffsetCalculatorILi3EjESF_ILi1EjENS0_6memory15LoadWithoutCastENSI_16StoreWithoutCastEEEviT_T0_T2_T3_T4_T5_, .Lfunc_end100-_ZN2at6native27unrolled_elementwise_kernelIZZZNS0_12_GLOBAL__N_116addr_kernel_cudaERNS_14TensorIteratorERKN3c106ScalarES8_ENKUlvE_clEvENKUlvE4_clEvEUldddE_St5arrayIPcLm4EELi4E23TrivialOffsetCalculatorILi3EjESF_ILi1EjENS0_6memory15LoadWithoutCastENSI_16StoreWithoutCastEEEviT_T0_T2_T3_T4_T5_
                                        ; -- End function
	.set _ZN2at6native27unrolled_elementwise_kernelIZZZNS0_12_GLOBAL__N_116addr_kernel_cudaERNS_14TensorIteratorERKN3c106ScalarES8_ENKUlvE_clEvENKUlvE4_clEvEUldddE_St5arrayIPcLm4EELi4E23TrivialOffsetCalculatorILi3EjESF_ILi1EjENS0_6memory15LoadWithoutCastENSI_16StoreWithoutCastEEEviT_T0_T2_T3_T4_T5_.num_vgpr, 21
	.set _ZN2at6native27unrolled_elementwise_kernelIZZZNS0_12_GLOBAL__N_116addr_kernel_cudaERNS_14TensorIteratorERKN3c106ScalarES8_ENKUlvE_clEvENKUlvE4_clEvEUldddE_St5arrayIPcLm4EELi4E23TrivialOffsetCalculatorILi3EjESF_ILi1EjENS0_6memory15LoadWithoutCastENSI_16StoreWithoutCastEEEviT_T0_T2_T3_T4_T5_.num_agpr, 0
	.set _ZN2at6native27unrolled_elementwise_kernelIZZZNS0_12_GLOBAL__N_116addr_kernel_cudaERNS_14TensorIteratorERKN3c106ScalarES8_ENKUlvE_clEvENKUlvE4_clEvEUldddE_St5arrayIPcLm4EELi4E23TrivialOffsetCalculatorILi3EjESF_ILi1EjENS0_6memory15LoadWithoutCastENSI_16StoreWithoutCastEEEviT_T0_T2_T3_T4_T5_.numbered_sgpr, 13
	.set _ZN2at6native27unrolled_elementwise_kernelIZZZNS0_12_GLOBAL__N_116addr_kernel_cudaERNS_14TensorIteratorERKN3c106ScalarES8_ENKUlvE_clEvENKUlvE4_clEvEUldddE_St5arrayIPcLm4EELi4E23TrivialOffsetCalculatorILi3EjESF_ILi1EjENS0_6memory15LoadWithoutCastENSI_16StoreWithoutCastEEEviT_T0_T2_T3_T4_T5_.num_named_barrier, 0
	.set _ZN2at6native27unrolled_elementwise_kernelIZZZNS0_12_GLOBAL__N_116addr_kernel_cudaERNS_14TensorIteratorERKN3c106ScalarES8_ENKUlvE_clEvENKUlvE4_clEvEUldddE_St5arrayIPcLm4EELi4E23TrivialOffsetCalculatorILi3EjESF_ILi1EjENS0_6memory15LoadWithoutCastENSI_16StoreWithoutCastEEEviT_T0_T2_T3_T4_T5_.private_seg_size, 0
	.set _ZN2at6native27unrolled_elementwise_kernelIZZZNS0_12_GLOBAL__N_116addr_kernel_cudaERNS_14TensorIteratorERKN3c106ScalarES8_ENKUlvE_clEvENKUlvE4_clEvEUldddE_St5arrayIPcLm4EELi4E23TrivialOffsetCalculatorILi3EjESF_ILi1EjENS0_6memory15LoadWithoutCastENSI_16StoreWithoutCastEEEviT_T0_T2_T3_T4_T5_.uses_vcc, 1
	.set _ZN2at6native27unrolled_elementwise_kernelIZZZNS0_12_GLOBAL__N_116addr_kernel_cudaERNS_14TensorIteratorERKN3c106ScalarES8_ENKUlvE_clEvENKUlvE4_clEvEUldddE_St5arrayIPcLm4EELi4E23TrivialOffsetCalculatorILi3EjESF_ILi1EjENS0_6memory15LoadWithoutCastENSI_16StoreWithoutCastEEEviT_T0_T2_T3_T4_T5_.uses_flat_scratch, 0
	.set _ZN2at6native27unrolled_elementwise_kernelIZZZNS0_12_GLOBAL__N_116addr_kernel_cudaERNS_14TensorIteratorERKN3c106ScalarES8_ENKUlvE_clEvENKUlvE4_clEvEUldddE_St5arrayIPcLm4EELi4E23TrivialOffsetCalculatorILi3EjESF_ILi1EjENS0_6memory15LoadWithoutCastENSI_16StoreWithoutCastEEEviT_T0_T2_T3_T4_T5_.has_dyn_sized_stack, 0
	.set _ZN2at6native27unrolled_elementwise_kernelIZZZNS0_12_GLOBAL__N_116addr_kernel_cudaERNS_14TensorIteratorERKN3c106ScalarES8_ENKUlvE_clEvENKUlvE4_clEvEUldddE_St5arrayIPcLm4EELi4E23TrivialOffsetCalculatorILi3EjESF_ILi1EjENS0_6memory15LoadWithoutCastENSI_16StoreWithoutCastEEEviT_T0_T2_T3_T4_T5_.has_recursion, 0
	.set _ZN2at6native27unrolled_elementwise_kernelIZZZNS0_12_GLOBAL__N_116addr_kernel_cudaERNS_14TensorIteratorERKN3c106ScalarES8_ENKUlvE_clEvENKUlvE4_clEvEUldddE_St5arrayIPcLm4EELi4E23TrivialOffsetCalculatorILi3EjESF_ILi1EjENS0_6memory15LoadWithoutCastENSI_16StoreWithoutCastEEEviT_T0_T2_T3_T4_T5_.has_indirect_call, 0
	.section	.AMDGPU.csdata,"",@progbits
; Kernel info:
; codeLenInByte = 892
; TotalNumSgprs: 15
; NumVgprs: 21
; ScratchSize: 0
; MemoryBound: 0
; FloatMode: 240
; IeeeMode: 1
; LDSByteSize: 0 bytes/workgroup (compile time only)
; SGPRBlocks: 0
; VGPRBlocks: 1
; NumSGPRsForWavesPerEU: 15
; NumVGPRsForWavesPerEU: 21
; NamedBarCnt: 0
; Occupancy: 16
; WaveLimiterHint : 0
; COMPUTE_PGM_RSRC2:SCRATCH_EN: 0
; COMPUTE_PGM_RSRC2:USER_SGPR: 2
; COMPUTE_PGM_RSRC2:TRAP_HANDLER: 0
; COMPUTE_PGM_RSRC2:TGID_X_EN: 1
; COMPUTE_PGM_RSRC2:TGID_Y_EN: 0
; COMPUTE_PGM_RSRC2:TGID_Z_EN: 0
; COMPUTE_PGM_RSRC2:TIDIG_COMP_CNT: 0
	.section	.text._ZN2at6native32elementwise_kernel_manual_unrollILi128ELi4EZNS0_22gpu_kernel_impl_nocastIZZZNS0_12_GLOBAL__N_116addr_kernel_cudaERNS_14TensorIteratorERKN3c106ScalarES9_ENKUlvE_clEvENKUlvE4_clEvEUldddE_EEvRNS_18TensorIteratorBaseERKT_EUlibE_EEviT1_,"axG",@progbits,_ZN2at6native32elementwise_kernel_manual_unrollILi128ELi4EZNS0_22gpu_kernel_impl_nocastIZZZNS0_12_GLOBAL__N_116addr_kernel_cudaERNS_14TensorIteratorERKN3c106ScalarES9_ENKUlvE_clEvENKUlvE4_clEvEUldddE_EEvRNS_18TensorIteratorBaseERKT_EUlibE_EEviT1_,comdat
	.globl	_ZN2at6native32elementwise_kernel_manual_unrollILi128ELi4EZNS0_22gpu_kernel_impl_nocastIZZZNS0_12_GLOBAL__N_116addr_kernel_cudaERNS_14TensorIteratorERKN3c106ScalarES9_ENKUlvE_clEvENKUlvE4_clEvEUldddE_EEvRNS_18TensorIteratorBaseERKT_EUlibE_EEviT1_ ; -- Begin function _ZN2at6native32elementwise_kernel_manual_unrollILi128ELi4EZNS0_22gpu_kernel_impl_nocastIZZZNS0_12_GLOBAL__N_116addr_kernel_cudaERNS_14TensorIteratorERKN3c106ScalarES9_ENKUlvE_clEvENKUlvE4_clEvEUldddE_EEvRNS_18TensorIteratorBaseERKT_EUlibE_EEviT1_
	.p2align	8
	.type	_ZN2at6native32elementwise_kernel_manual_unrollILi128ELi4EZNS0_22gpu_kernel_impl_nocastIZZZNS0_12_GLOBAL__N_116addr_kernel_cudaERNS_14TensorIteratorERKN3c106ScalarES9_ENKUlvE_clEvENKUlvE4_clEvEUldddE_EEvRNS_18TensorIteratorBaseERKT_EUlibE_EEviT1_,@function
_ZN2at6native32elementwise_kernel_manual_unrollILi128ELi4EZNS0_22gpu_kernel_impl_nocastIZZZNS0_12_GLOBAL__N_116addr_kernel_cudaERNS_14TensorIteratorERKN3c106ScalarES9_ENKUlvE_clEvENKUlvE4_clEvEUldddE_EEvRNS_18TensorIteratorBaseERKT_EUlibE_EEviT1_: ; @_ZN2at6native32elementwise_kernel_manual_unrollILi128ELi4EZNS0_22gpu_kernel_impl_nocastIZZZNS0_12_GLOBAL__N_116addr_kernel_cudaERNS_14TensorIteratorERKN3c106ScalarES9_ENKUlvE_clEvENKUlvE4_clEvEUldddE_EEvRNS_18TensorIteratorBaseERKT_EUlibE_EEviT1_
; %bb.0:
	s_clause 0x1
	s_load_b32 s11, s[0:1], 0x8
	s_load_b32 s37, s[0:1], 0x0
	s_bfe_u32 s2, ttmp6, 0x4000c
	s_and_b32 s3, ttmp6, 15
	s_add_co_i32 s2, s2, 1
	s_getreg_b32 s4, hwreg(HW_REG_IB_STS2, 6, 4)
	s_mul_i32 s2, ttmp9, s2
	s_add_nc_u64 s[12:13], s[0:1], 8
	s_add_co_i32 s3, s3, s2
	s_cmp_eq_u32 s4, 0
	s_mov_b32 s23, 0
	s_cselect_b32 s2, ttmp9, s3
	s_wait_xcnt 0x0
	s_mov_b32 s0, exec_lo
	v_lshl_or_b32 v0, s2, 9, v0
	s_delay_alu instid0(VALU_DEP_1) | instskip(SKIP_2) | instid1(SALU_CYCLE_1)
	v_or_b32_e32 v3, 0x180, v0
	s_wait_kmcnt 0x0
	s_add_co_i32 s30, s11, -1
	s_cmp_gt_u32 s30, 1
	s_cselect_b32 s31, -1, 0
	v_cmpx_le_i32_e64 s37, v3
	s_xor_b32 s33, exec_lo, s0
	s_cbranch_execz .LBB101_54
; %bb.1:
	s_clause 0x7
	s_load_b128 s[4:7], s[12:13], 0x4
	s_load_b64 s[18:19], s[12:13], 0x14
	s_load_b32 s34, s[12:13], 0xc4
	s_load_b96 s[8:10], s[12:13], 0xcc
	s_load_b64 s[20:21], s[12:13], 0xdc
	s_load_b64 s[14:15], s[12:13], 0x1c8
	;; [unrolled: 1-line block ×3, first 2 shown]
	s_load_b128 s[0:3], s[12:13], 0x1d8
	s_cmp_lg_u32 s11, 0
	s_mov_b32 s25, s23
	s_cselect_b32 s38, -1, 0
	s_min_u32 s36, s30, 15
	s_cmp_gt_u32 s11, 1
	s_cselect_b32 s35, -1, 0
	s_wait_kmcnt 0x0
	s_mov_b32 s22, s5
	s_mov_b32 s24, s18
	s_mov_b32 s5, exec_lo
	v_cmpx_gt_i32_e64 s37, v0
	s_cbranch_execnz .LBB101_5
; %bb.2:
	s_or_b32 exec_lo, exec_lo, s5
	s_delay_alu instid0(SALU_CYCLE_1)
	s_mov_b32 s5, exec_lo
	v_cmpx_gt_i32_e64 s37, v0
	s_cbranch_execnz .LBB101_17
.LBB101_3:
	s_or_b32 exec_lo, exec_lo, s5
	s_delay_alu instid0(SALU_CYCLE_1)
	s_mov_b32 s5, exec_lo
	v_cmpx_gt_i32_e64 s37, v0
	s_cbranch_execnz .LBB101_29
.LBB101_4:
	s_or_b32 exec_lo, exec_lo, s5
	s_delay_alu instid0(SALU_CYCLE_1)
	s_mov_b32 s5, exec_lo
	v_cmpx_gt_i32_e64 s37, v0
	s_cbranch_execnz .LBB101_41
	s_branch .LBB101_53
.LBB101_5:
	s_and_not1_b32 vcc_lo, exec_lo, s31
	s_cbranch_vccnz .LBB101_11
; %bb.6:
	s_and_not1_b32 vcc_lo, exec_lo, s38
	s_cbranch_vccnz .LBB101_12
; %bb.7:
	v_dual_mov_b32 v4, 0 :: v_dual_mov_b32 v1, v0
	v_dual_mov_b32 v6, 0 :: v_dual_mov_b32 v5, 0
	s_add_co_i32 s18, s36, 1
	s_mov_b64 s[26:27], 0xffffffffffffffe0
	s_and_b32 s18, s18, 30
	s_add_nc_u64 s[26:27], s[12:13], s[26:27]
	s_mov_b64 s[28:29], s[12:13]
.LBB101_8:                              ; =>This Inner Loop Header: Depth=1
	s_clause 0x1
	s_load_b128 s[40:43], s[28:29], 0x4
	s_load_b64 s[44:45], s[28:29], 0x14
	s_load_b32 s39, s[26:27], 0xe4
	s_add_co_i32 s18, s18, -2
	s_wait_xcnt 0x0
	s_add_nc_u64 s[28:29], s[28:29], 24
	s_cmp_lg_u32 s18, 0
	s_wait_kmcnt 0x0
	v_mul_hi_u32 v2, s41, v1
	s_delay_alu instid0(VALU_DEP_1) | instskip(NEXT) | instid1(VALU_DEP_1)
	v_add_nc_u32_e32 v2, v1, v2
	v_lshrrev_b32_e32 v2, s42, v2
	s_delay_alu instid0(VALU_DEP_1) | instskip(SKIP_2) | instid1(VALU_DEP_2)
	v_mul_hi_u32 v3, s44, v2
	v_mul_lo_u32 v7, v2, s40
	s_load_b96 s[40:42], s[26:27], 0xec
	v_add_nc_u32_e32 v3, v2, v3
	s_delay_alu instid0(VALU_DEP_2) | instskip(NEXT) | instid1(VALU_DEP_2)
	v_sub_nc_u32_e32 v7, v1, v7
	v_lshrrev_b32_e32 v1, s45, v3
	s_load_b64 s[44:45], s[26:27], 0xfc
	s_delay_alu instid0(VALU_DEP_2)
	v_mad_u32 v4, v7, s39, v4
	s_wait_xcnt 0x0
	s_add_nc_u64 s[26:27], s[26:27], 32
	v_mul_lo_u32 v3, v1, s43
	s_wait_kmcnt 0x0
	v_mad_u32 v5, v7, s41, v5
	v_mad_u32 v6, v7, s40, v6
	s_delay_alu instid0(VALU_DEP_3) | instskip(NEXT) | instid1(VALU_DEP_1)
	v_sub_nc_u32_e32 v2, v2, v3
	v_mad_u32 v4, v2, s42, v4
	s_delay_alu instid0(VALU_DEP_4) | instskip(NEXT) | instid1(VALU_DEP_4)
	v_mad_u32 v5, v2, s45, v5
	v_mad_u32 v6, v2, s44, v6
	s_cbranch_scc1 .LBB101_8
; %bb.9:
	s_bitcmp1_b32 s36, 0
	s_cselect_b32 s18, -1, 0
	s_delay_alu instid0(SALU_CYCLE_1)
	s_and_b32 vcc_lo, exec_lo, s18
	s_cbranch_vccnz .LBB101_13
; %bb.10:
	s_load_b96 s[40:42], s[28:29], 0x4
	s_load_b32 s18, s[26:27], 0xe4
	s_wait_xcnt 0x0
	s_load_b64 s[28:29], s[26:27], 0xec
	s_wait_kmcnt 0x0
	v_mul_hi_u32 v2, s41, v1
	s_delay_alu instid0(VALU_DEP_1) | instskip(NEXT) | instid1(VALU_DEP_1)
	v_add_nc_u32_e32 v2, v1, v2
	v_lshrrev_b32_e32 v2, s42, v2
	s_delay_alu instid0(VALU_DEP_1) | instskip(NEXT) | instid1(VALU_DEP_1)
	v_mul_lo_u32 v2, v2, s40
	v_sub_nc_u32_e32 v1, v1, v2
	s_delay_alu instid0(VALU_DEP_1)
	v_mad_u32 v4, v1, s18, v4
	v_mad_u32 v6, v1, s28, v6
	;; [unrolled: 1-line block ×3, first 2 shown]
	s_cbranch_execz .LBB101_14
	s_branch .LBB101_16
.LBB101_11:
                                        ; implicit-def: $vgpr5
                                        ; implicit-def: $vgpr6
                                        ; implicit-def: $vgpr4
	s_branch .LBB101_14
.LBB101_12:
	v_dual_mov_b32 v5, 0 :: v_dual_mov_b32 v6, 0
	v_mov_b32_e32 v4, 0
.LBB101_13:
	s_cbranch_execnz .LBB101_16
.LBB101_14:
	v_mov_b32_e32 v1, 0
	s_and_not1_b32 vcc_lo, exec_lo, s35
	s_delay_alu instid0(VALU_DEP_1) | instskip(NEXT) | instid1(VALU_DEP_1)
	v_mul_u64_e32 v[2:3], s[22:23], v[0:1]
	v_add_nc_u32_e32 v2, v0, v3
	s_delay_alu instid0(VALU_DEP_1) | instskip(NEXT) | instid1(VALU_DEP_1)
	v_lshrrev_b32_e32 v2, s6, v2
	v_mul_lo_u32 v3, v2, s4
	s_delay_alu instid0(VALU_DEP_1) | instskip(NEXT) | instid1(VALU_DEP_1)
	v_sub_nc_u32_e32 v3, v0, v3
	v_mul_lo_u32 v4, v3, s34
	v_mul_lo_u32 v5, v3, s9
	;; [unrolled: 1-line block ×3, first 2 shown]
	s_cbranch_vccnz .LBB101_16
; %bb.15:
	v_mov_b32_e32 v3, v1
	s_delay_alu instid0(VALU_DEP_1) | instskip(NEXT) | instid1(VALU_DEP_1)
	v_mul_u64_e32 v[8:9], s[24:25], v[2:3]
	v_add_nc_u32_e32 v1, v2, v9
	s_delay_alu instid0(VALU_DEP_1) | instskip(NEXT) | instid1(VALU_DEP_1)
	v_lshrrev_b32_e32 v1, s19, v1
	v_mul_lo_u32 v1, v1, s7
	s_delay_alu instid0(VALU_DEP_1) | instskip(NEXT) | instid1(VALU_DEP_1)
	v_sub_nc_u32_e32 v1, v2, v1
	v_mad_u32 v4, v1, s10, v4
	v_mad_u32 v6, v1, s20, v6
	;; [unrolled: 1-line block ×3, first 2 shown]
.LBB101_16:
	global_load_b64 v[2:3], v6, s[0:1]
	global_load_b64 v[8:9], v5, s[2:3]
	v_add_nc_u32_e32 v0, 0x80, v0
	s_wait_loadcnt 0x1
	v_mul_f64_e32 v[2:3], s[16:17], v[2:3]
	s_wait_loadcnt 0x0
	s_delay_alu instid0(VALU_DEP_1) | instskip(SKIP_3) | instid1(SALU_CYCLE_1)
	v_mul_f64_e32 v[2:3], v[2:3], v[8:9]
	global_store_b64 v4, v[2:3], s[14:15]
	s_wait_xcnt 0x0
	s_or_b32 exec_lo, exec_lo, s5
	s_mov_b32 s5, exec_lo
	v_cmpx_gt_i32_e64 s37, v0
	s_cbranch_execz .LBB101_3
.LBB101_17:
	s_and_not1_b32 vcc_lo, exec_lo, s31
	s_cbranch_vccnz .LBB101_23
; %bb.18:
	s_and_not1_b32 vcc_lo, exec_lo, s38
	s_cbranch_vccnz .LBB101_24
; %bb.19:
	v_dual_mov_b32 v4, 0 :: v_dual_mov_b32 v1, v0
	v_dual_mov_b32 v6, 0 :: v_dual_mov_b32 v5, 0
	s_add_co_i32 s18, s36, 1
	s_mov_b64 s[26:27], 0xffffffffffffffe0
	s_and_b32 s18, s18, 30
	s_add_nc_u64 s[26:27], s[12:13], s[26:27]
	s_mov_b64 s[28:29], s[12:13]
.LBB101_20:                             ; =>This Inner Loop Header: Depth=1
	s_clause 0x1
	s_load_b128 s[40:43], s[28:29], 0x4
	s_load_b64 s[44:45], s[28:29], 0x14
	s_load_b32 s39, s[26:27], 0xe4
	s_add_co_i32 s18, s18, -2
	s_wait_xcnt 0x0
	s_add_nc_u64 s[28:29], s[28:29], 24
	s_cmp_eq_u32 s18, 0
	s_wait_kmcnt 0x0
	v_mul_hi_u32 v2, s41, v1
	s_delay_alu instid0(VALU_DEP_1) | instskip(NEXT) | instid1(VALU_DEP_1)
	v_add_nc_u32_e32 v2, v1, v2
	v_lshrrev_b32_e32 v2, s42, v2
	s_delay_alu instid0(VALU_DEP_1) | instskip(SKIP_2) | instid1(VALU_DEP_2)
	v_mul_hi_u32 v3, s44, v2
	v_mul_lo_u32 v7, v2, s40
	s_load_b96 s[40:42], s[26:27], 0xec
	v_add_nc_u32_e32 v3, v2, v3
	s_delay_alu instid0(VALU_DEP_2) | instskip(NEXT) | instid1(VALU_DEP_2)
	v_sub_nc_u32_e32 v7, v1, v7
	v_lshrrev_b32_e32 v1, s45, v3
	s_load_b64 s[44:45], s[26:27], 0xfc
	s_delay_alu instid0(VALU_DEP_2)
	v_mad_u32 v4, v7, s39, v4
	s_wait_xcnt 0x0
	s_add_nc_u64 s[26:27], s[26:27], 32
	v_mul_lo_u32 v3, v1, s43
	s_wait_kmcnt 0x0
	v_mad_u32 v5, v7, s41, v5
	v_mad_u32 v6, v7, s40, v6
	s_delay_alu instid0(VALU_DEP_3) | instskip(NEXT) | instid1(VALU_DEP_1)
	v_sub_nc_u32_e32 v2, v2, v3
	v_mad_u32 v4, v2, s42, v4
	s_delay_alu instid0(VALU_DEP_4) | instskip(NEXT) | instid1(VALU_DEP_4)
	v_mad_u32 v5, v2, s45, v5
	v_mad_u32 v6, v2, s44, v6
	s_cbranch_scc0 .LBB101_20
; %bb.21:
	s_bitcmp1_b32 s36, 0
	s_cselect_b32 s18, -1, 0
	s_delay_alu instid0(SALU_CYCLE_1)
	s_and_b32 vcc_lo, exec_lo, s18
	s_cbranch_vccnz .LBB101_25
; %bb.22:
	s_load_b96 s[40:42], s[28:29], 0x4
	s_load_b32 s18, s[26:27], 0xe4
	s_wait_xcnt 0x0
	s_load_b64 s[28:29], s[26:27], 0xec
	s_wait_kmcnt 0x0
	v_mul_hi_u32 v2, s41, v1
	s_delay_alu instid0(VALU_DEP_1) | instskip(NEXT) | instid1(VALU_DEP_1)
	v_add_nc_u32_e32 v2, v1, v2
	v_lshrrev_b32_e32 v2, s42, v2
	s_delay_alu instid0(VALU_DEP_1) | instskip(NEXT) | instid1(VALU_DEP_1)
	v_mul_lo_u32 v2, v2, s40
	v_sub_nc_u32_e32 v1, v1, v2
	s_delay_alu instid0(VALU_DEP_1)
	v_mad_u32 v4, v1, s18, v4
	v_mad_u32 v6, v1, s28, v6
	;; [unrolled: 1-line block ×3, first 2 shown]
	s_branch .LBB101_25
.LBB101_23:
                                        ; implicit-def: $vgpr5
                                        ; implicit-def: $vgpr6
                                        ; implicit-def: $vgpr4
	s_branch .LBB101_26
.LBB101_24:
	v_dual_mov_b32 v5, 0 :: v_dual_mov_b32 v6, 0
	v_mov_b32_e32 v4, 0
.LBB101_25:
	s_cbranch_execnz .LBB101_28
.LBB101_26:
	v_mov_b32_e32 v1, 0
	s_and_not1_b32 vcc_lo, exec_lo, s35
	s_delay_alu instid0(VALU_DEP_1) | instskip(NEXT) | instid1(VALU_DEP_1)
	v_mul_u64_e32 v[2:3], s[22:23], v[0:1]
	v_add_nc_u32_e32 v2, v0, v3
	s_delay_alu instid0(VALU_DEP_1) | instskip(NEXT) | instid1(VALU_DEP_1)
	v_lshrrev_b32_e32 v2, s6, v2
	v_mul_lo_u32 v3, v2, s4
	s_delay_alu instid0(VALU_DEP_1) | instskip(NEXT) | instid1(VALU_DEP_1)
	v_sub_nc_u32_e32 v3, v0, v3
	v_mul_lo_u32 v4, v3, s34
	v_mul_lo_u32 v5, v3, s9
	;; [unrolled: 1-line block ×3, first 2 shown]
	s_cbranch_vccnz .LBB101_28
; %bb.27:
	v_mov_b32_e32 v3, v1
	s_delay_alu instid0(VALU_DEP_1) | instskip(NEXT) | instid1(VALU_DEP_1)
	v_mul_u64_e32 v[8:9], s[24:25], v[2:3]
	v_add_nc_u32_e32 v1, v2, v9
	s_delay_alu instid0(VALU_DEP_1) | instskip(NEXT) | instid1(VALU_DEP_1)
	v_lshrrev_b32_e32 v1, s19, v1
	v_mul_lo_u32 v1, v1, s7
	s_delay_alu instid0(VALU_DEP_1) | instskip(NEXT) | instid1(VALU_DEP_1)
	v_sub_nc_u32_e32 v1, v2, v1
	v_mad_u32 v4, v1, s10, v4
	v_mad_u32 v6, v1, s20, v6
	;; [unrolled: 1-line block ×3, first 2 shown]
.LBB101_28:
	global_load_b64 v[2:3], v6, s[0:1]
	global_load_b64 v[8:9], v5, s[2:3]
	v_add_nc_u32_e32 v0, 0x80, v0
	s_wait_loadcnt 0x1
	v_mul_f64_e32 v[2:3], s[16:17], v[2:3]
	s_wait_loadcnt 0x0
	s_delay_alu instid0(VALU_DEP_1) | instskip(SKIP_3) | instid1(SALU_CYCLE_1)
	v_mul_f64_e32 v[2:3], v[2:3], v[8:9]
	global_store_b64 v4, v[2:3], s[14:15]
	s_wait_xcnt 0x0
	s_or_b32 exec_lo, exec_lo, s5
	s_mov_b32 s5, exec_lo
	v_cmpx_gt_i32_e64 s37, v0
	s_cbranch_execz .LBB101_4
.LBB101_29:
	s_and_not1_b32 vcc_lo, exec_lo, s31
	s_cbranch_vccnz .LBB101_35
; %bb.30:
	s_and_not1_b32 vcc_lo, exec_lo, s38
	s_cbranch_vccnz .LBB101_36
; %bb.31:
	v_dual_mov_b32 v4, 0 :: v_dual_mov_b32 v1, v0
	v_dual_mov_b32 v6, 0 :: v_dual_mov_b32 v5, 0
	s_add_co_i32 s18, s36, 1
	s_mov_b64 s[26:27], 0xffffffffffffffe0
	s_and_b32 s18, s18, 30
	s_add_nc_u64 s[26:27], s[12:13], s[26:27]
	s_mov_b64 s[28:29], s[12:13]
.LBB101_32:                             ; =>This Inner Loop Header: Depth=1
	s_clause 0x1
	s_load_b128 s[40:43], s[28:29], 0x4
	s_load_b64 s[44:45], s[28:29], 0x14
	s_load_b32 s39, s[26:27], 0xe4
	s_add_co_i32 s18, s18, -2
	s_wait_xcnt 0x0
	s_add_nc_u64 s[28:29], s[28:29], 24
	s_cmp_eq_u32 s18, 0
	s_wait_kmcnt 0x0
	v_mul_hi_u32 v2, s41, v1
	s_delay_alu instid0(VALU_DEP_1) | instskip(NEXT) | instid1(VALU_DEP_1)
	v_add_nc_u32_e32 v2, v1, v2
	v_lshrrev_b32_e32 v2, s42, v2
	s_delay_alu instid0(VALU_DEP_1) | instskip(SKIP_2) | instid1(VALU_DEP_2)
	v_mul_hi_u32 v3, s44, v2
	v_mul_lo_u32 v7, v2, s40
	s_load_b96 s[40:42], s[26:27], 0xec
	v_add_nc_u32_e32 v3, v2, v3
	s_delay_alu instid0(VALU_DEP_2) | instskip(NEXT) | instid1(VALU_DEP_2)
	v_sub_nc_u32_e32 v7, v1, v7
	v_lshrrev_b32_e32 v1, s45, v3
	s_load_b64 s[44:45], s[26:27], 0xfc
	s_delay_alu instid0(VALU_DEP_2)
	v_mad_u32 v4, v7, s39, v4
	s_wait_xcnt 0x0
	s_add_nc_u64 s[26:27], s[26:27], 32
	v_mul_lo_u32 v3, v1, s43
	s_wait_kmcnt 0x0
	v_mad_u32 v5, v7, s41, v5
	v_mad_u32 v6, v7, s40, v6
	s_delay_alu instid0(VALU_DEP_3) | instskip(NEXT) | instid1(VALU_DEP_1)
	v_sub_nc_u32_e32 v2, v2, v3
	v_mad_u32 v4, v2, s42, v4
	s_delay_alu instid0(VALU_DEP_4) | instskip(NEXT) | instid1(VALU_DEP_4)
	v_mad_u32 v5, v2, s45, v5
	v_mad_u32 v6, v2, s44, v6
	s_cbranch_scc0 .LBB101_32
; %bb.33:
	s_bitcmp1_b32 s36, 0
	s_cselect_b32 s18, -1, 0
	s_delay_alu instid0(SALU_CYCLE_1)
	s_and_b32 vcc_lo, exec_lo, s18
	s_cbranch_vccnz .LBB101_37
; %bb.34:
	s_load_b96 s[40:42], s[28:29], 0x4
	s_load_b32 s18, s[26:27], 0xe4
	s_wait_xcnt 0x0
	s_load_b64 s[28:29], s[26:27], 0xec
	s_wait_kmcnt 0x0
	v_mul_hi_u32 v2, s41, v1
	s_delay_alu instid0(VALU_DEP_1) | instskip(NEXT) | instid1(VALU_DEP_1)
	v_add_nc_u32_e32 v2, v1, v2
	v_lshrrev_b32_e32 v2, s42, v2
	s_delay_alu instid0(VALU_DEP_1) | instskip(NEXT) | instid1(VALU_DEP_1)
	v_mul_lo_u32 v2, v2, s40
	v_sub_nc_u32_e32 v1, v1, v2
	s_delay_alu instid0(VALU_DEP_1)
	v_mad_u32 v4, v1, s18, v4
	v_mad_u32 v6, v1, s28, v6
	;; [unrolled: 1-line block ×3, first 2 shown]
	s_branch .LBB101_37
.LBB101_35:
                                        ; implicit-def: $vgpr5
                                        ; implicit-def: $vgpr6
                                        ; implicit-def: $vgpr4
	s_branch .LBB101_38
.LBB101_36:
	v_dual_mov_b32 v5, 0 :: v_dual_mov_b32 v6, 0
	v_mov_b32_e32 v4, 0
.LBB101_37:
	s_cbranch_execnz .LBB101_40
.LBB101_38:
	v_mov_b32_e32 v1, 0
	s_and_not1_b32 vcc_lo, exec_lo, s35
	s_delay_alu instid0(VALU_DEP_1) | instskip(NEXT) | instid1(VALU_DEP_1)
	v_mul_u64_e32 v[2:3], s[22:23], v[0:1]
	v_add_nc_u32_e32 v2, v0, v3
	s_delay_alu instid0(VALU_DEP_1) | instskip(NEXT) | instid1(VALU_DEP_1)
	v_lshrrev_b32_e32 v2, s6, v2
	v_mul_lo_u32 v3, v2, s4
	s_delay_alu instid0(VALU_DEP_1) | instskip(NEXT) | instid1(VALU_DEP_1)
	v_sub_nc_u32_e32 v3, v0, v3
	v_mul_lo_u32 v4, v3, s34
	v_mul_lo_u32 v5, v3, s9
	;; [unrolled: 1-line block ×3, first 2 shown]
	s_cbranch_vccnz .LBB101_40
; %bb.39:
	v_mov_b32_e32 v3, v1
	s_delay_alu instid0(VALU_DEP_1) | instskip(NEXT) | instid1(VALU_DEP_1)
	v_mul_u64_e32 v[8:9], s[24:25], v[2:3]
	v_add_nc_u32_e32 v1, v2, v9
	s_delay_alu instid0(VALU_DEP_1) | instskip(NEXT) | instid1(VALU_DEP_1)
	v_lshrrev_b32_e32 v1, s19, v1
	v_mul_lo_u32 v1, v1, s7
	s_delay_alu instid0(VALU_DEP_1) | instskip(NEXT) | instid1(VALU_DEP_1)
	v_sub_nc_u32_e32 v1, v2, v1
	v_mad_u32 v4, v1, s10, v4
	v_mad_u32 v6, v1, s20, v6
	;; [unrolled: 1-line block ×3, first 2 shown]
.LBB101_40:
	global_load_b64 v[2:3], v6, s[0:1]
	global_load_b64 v[8:9], v5, s[2:3]
	v_add_nc_u32_e32 v0, 0x80, v0
	s_wait_loadcnt 0x1
	v_mul_f64_e32 v[2:3], s[16:17], v[2:3]
	s_wait_loadcnt 0x0
	s_delay_alu instid0(VALU_DEP_1) | instskip(SKIP_3) | instid1(SALU_CYCLE_1)
	v_mul_f64_e32 v[2:3], v[2:3], v[8:9]
	global_store_b64 v4, v[2:3], s[14:15]
	s_wait_xcnt 0x0
	s_or_b32 exec_lo, exec_lo, s5
	s_mov_b32 s5, exec_lo
	v_cmpx_gt_i32_e64 s37, v0
	s_cbranch_execz .LBB101_53
.LBB101_41:
	s_and_not1_b32 vcc_lo, exec_lo, s31
	s_cbranch_vccnz .LBB101_47
; %bb.42:
	s_and_not1_b32 vcc_lo, exec_lo, s38
	s_cbranch_vccnz .LBB101_48
; %bb.43:
	v_dual_mov_b32 v4, 0 :: v_dual_mov_b32 v1, v0
	v_dual_mov_b32 v6, 0 :: v_dual_mov_b32 v5, 0
	s_add_co_i32 s18, s36, 1
	s_mov_b64 s[26:27], 0xffffffffffffffe0
	s_and_b32 s18, s18, 30
	s_add_nc_u64 s[26:27], s[12:13], s[26:27]
	s_mov_b64 s[28:29], s[12:13]
.LBB101_44:                             ; =>This Inner Loop Header: Depth=1
	s_clause 0x1
	s_load_b128 s[40:43], s[28:29], 0x4
	s_load_b64 s[38:39], s[28:29], 0x14
	s_load_b32 s37, s[26:27], 0xe4
	s_add_co_i32 s18, s18, -2
	s_wait_xcnt 0x0
	s_add_nc_u64 s[28:29], s[28:29], 24
	s_cmp_eq_u32 s18, 0
	s_wait_kmcnt 0x0
	v_mul_hi_u32 v2, s41, v1
	s_delay_alu instid0(VALU_DEP_1) | instskip(NEXT) | instid1(VALU_DEP_1)
	v_add_nc_u32_e32 v2, v1, v2
	v_lshrrev_b32_e32 v2, s42, v2
	s_delay_alu instid0(VALU_DEP_1) | instskip(SKIP_2) | instid1(VALU_DEP_2)
	v_mul_hi_u32 v3, s38, v2
	v_mul_lo_u32 v7, v2, s40
	s_load_b96 s[40:42], s[26:27], 0xec
	v_add_nc_u32_e32 v3, v2, v3
	s_delay_alu instid0(VALU_DEP_2) | instskip(NEXT) | instid1(VALU_DEP_2)
	v_sub_nc_u32_e32 v7, v1, v7
	v_lshrrev_b32_e32 v1, s39, v3
	s_load_b64 s[38:39], s[26:27], 0xfc
	s_delay_alu instid0(VALU_DEP_2)
	v_mad_u32 v4, v7, s37, v4
	s_wait_xcnt 0x0
	s_add_nc_u64 s[26:27], s[26:27], 32
	v_mul_lo_u32 v3, v1, s43
	s_wait_kmcnt 0x0
	v_mad_u32 v5, v7, s41, v5
	v_mad_u32 v6, v7, s40, v6
	s_delay_alu instid0(VALU_DEP_3) | instskip(NEXT) | instid1(VALU_DEP_1)
	v_sub_nc_u32_e32 v2, v2, v3
	v_mad_u32 v4, v2, s42, v4
	s_delay_alu instid0(VALU_DEP_4) | instskip(NEXT) | instid1(VALU_DEP_4)
	v_mad_u32 v5, v2, s39, v5
	v_mad_u32 v6, v2, s38, v6
	s_cbranch_scc0 .LBB101_44
; %bb.45:
	s_bitcmp1_b32 s36, 0
	s_cselect_b32 s18, -1, 0
	s_delay_alu instid0(SALU_CYCLE_1)
	s_and_b32 vcc_lo, exec_lo, s18
	s_cbranch_vccnz .LBB101_49
; %bb.46:
	s_load_b96 s[36:38], s[28:29], 0x4
	s_load_b32 s18, s[26:27], 0xe4
	s_wait_xcnt 0x0
	s_load_b64 s[28:29], s[26:27], 0xec
	s_wait_kmcnt 0x0
	v_mul_hi_u32 v2, s37, v1
	s_delay_alu instid0(VALU_DEP_1) | instskip(NEXT) | instid1(VALU_DEP_1)
	v_add_nc_u32_e32 v2, v1, v2
	v_lshrrev_b32_e32 v2, s38, v2
	s_delay_alu instid0(VALU_DEP_1) | instskip(NEXT) | instid1(VALU_DEP_1)
	v_mul_lo_u32 v2, v2, s36
	v_sub_nc_u32_e32 v1, v1, v2
	s_delay_alu instid0(VALU_DEP_1)
	v_mad_u32 v4, v1, s18, v4
	v_mad_u32 v6, v1, s28, v6
	;; [unrolled: 1-line block ×3, first 2 shown]
	s_branch .LBB101_49
.LBB101_47:
                                        ; implicit-def: $vgpr5
                                        ; implicit-def: $vgpr6
                                        ; implicit-def: $vgpr4
	s_branch .LBB101_50
.LBB101_48:
	v_dual_mov_b32 v5, 0 :: v_dual_mov_b32 v6, 0
	v_mov_b32_e32 v4, 0
.LBB101_49:
	s_cbranch_execnz .LBB101_52
.LBB101_50:
	v_mov_b32_e32 v1, 0
	s_and_not1_b32 vcc_lo, exec_lo, s35
	s_delay_alu instid0(VALU_DEP_1) | instskip(NEXT) | instid1(VALU_DEP_1)
	v_mul_u64_e32 v[2:3], s[22:23], v[0:1]
	v_add_nc_u32_e32 v2, v0, v3
	s_delay_alu instid0(VALU_DEP_1) | instskip(NEXT) | instid1(VALU_DEP_1)
	v_lshrrev_b32_e32 v2, s6, v2
	v_mul_lo_u32 v3, v2, s4
	s_delay_alu instid0(VALU_DEP_1) | instskip(NEXT) | instid1(VALU_DEP_1)
	v_sub_nc_u32_e32 v0, v0, v3
	v_mul_lo_u32 v4, v0, s34
	v_mul_lo_u32 v5, v0, s9
	;; [unrolled: 1-line block ×3, first 2 shown]
	s_cbranch_vccnz .LBB101_52
; %bb.51:
	v_mov_b32_e32 v3, v1
	s_delay_alu instid0(VALU_DEP_1) | instskip(NEXT) | instid1(VALU_DEP_1)
	v_mul_u64_e32 v[0:1], s[24:25], v[2:3]
	v_add_nc_u32_e32 v0, v2, v1
	s_delay_alu instid0(VALU_DEP_1) | instskip(NEXT) | instid1(VALU_DEP_1)
	v_lshrrev_b32_e32 v0, s19, v0
	v_mul_lo_u32 v0, v0, s7
	s_delay_alu instid0(VALU_DEP_1) | instskip(NEXT) | instid1(VALU_DEP_1)
	v_sub_nc_u32_e32 v0, v2, v0
	v_mad_u32 v4, v0, s10, v4
	v_mad_u32 v6, v0, s20, v6
	v_mad_u32 v5, v0, s21, v5
.LBB101_52:
	global_load_b64 v[0:1], v6, s[0:1]
	global_load_b64 v[2:3], v5, s[2:3]
	s_wait_loadcnt 0x1
	v_mul_f64_e32 v[0:1], s[16:17], v[0:1]
	s_wait_loadcnt 0x0
	s_delay_alu instid0(VALU_DEP_1)
	v_mul_f64_e32 v[0:1], v[0:1], v[2:3]
	global_store_b64 v4, v[0:1], s[14:15]
.LBB101_53:
	s_wait_xcnt 0x0
	s_or_b32 exec_lo, exec_lo, s5
                                        ; implicit-def: $vgpr3
                                        ; implicit-def: $vgpr0
.LBB101_54:
	s_and_not1_saveexec_b32 s0, s33
	s_cbranch_execz .LBB101_61
; %bb.55:
	v_cndmask_b32_e64 v6, 0, 1, s31
	s_and_not1_b32 vcc_lo, exec_lo, s31
	s_cbranch_vccnz .LBB101_62
; %bb.56:
	s_cmp_lg_u32 s11, 0
	s_mov_b32 s4, 0
	s_cbranch_scc0 .LBB101_66
; %bb.57:
	s_min_u32 s5, s30, 15
	v_dual_mov_b32 v1, 0 :: v_dual_mov_b32 v5, v0
	v_dual_mov_b32 v4, 0 :: v_dual_mov_b32 v2, 0
	s_add_co_i32 s2, s5, 1
	s_mov_b64 s[0:1], 0xffffffffffffffe0
	s_and_b32 s6, s2, 30
	s_add_nc_u64 s[0:1], s[12:13], s[0:1]
	s_mov_b64 s[2:3], s[12:13]
.LBB101_58:                             ; =>This Inner Loop Header: Depth=1
	s_clause 0x1
	s_load_b128 s[16:19], s[2:3], 0x4
	s_load_b64 s[14:15], s[2:3], 0x14
	s_clause 0x1
	s_load_b32 s7, s[0:1], 0xe4
	s_load_b96 s[8:10], s[0:1], 0xec
	s_add_co_i32 s6, s6, -2
	s_wait_xcnt 0x0
	s_add_nc_u64 s[2:3], s[2:3], 24
	s_cmp_lg_u32 s6, 0
	s_wait_kmcnt 0x0
	v_mul_hi_u32 v7, s17, v5
	s_delay_alu instid0(VALU_DEP_1) | instskip(NEXT) | instid1(VALU_DEP_1)
	v_add_nc_u32_e32 v7, v5, v7
	v_lshrrev_b32_e32 v7, s18, v7
	s_delay_alu instid0(VALU_DEP_1) | instskip(SKIP_1) | instid1(VALU_DEP_1)
	v_mul_hi_u32 v8, s14, v7
	v_mul_lo_u32 v9, v7, s16
	v_dual_add_nc_u32 v8, v7, v8 :: v_dual_sub_nc_u32 v9, v5, v9
	s_delay_alu instid0(VALU_DEP_1) | instskip(SKIP_1) | instid1(VALU_DEP_2)
	v_lshrrev_b32_e32 v5, s15, v8
	s_load_b64 s[14:15], s[0:1], 0xfc
	v_mad_u32 v1, v9, s7, v1
	v_mad_u32 v2, v9, s9, v2
	;; [unrolled: 1-line block ×3, first 2 shown]
	v_mul_lo_u32 v8, v5, s19
	s_wait_xcnt 0x0
	s_add_nc_u64 s[0:1], s[0:1], 32
	s_delay_alu instid0(VALU_DEP_1) | instskip(NEXT) | instid1(VALU_DEP_1)
	v_sub_nc_u32_e32 v7, v7, v8
	v_mad_u32 v1, v7, s10, v1
	s_wait_kmcnt 0x0
	v_mad_u32 v2, v7, s15, v2
	v_mad_u32 v4, v7, s14, v4
	s_cbranch_scc1 .LBB101_58
; %bb.59:
	s_bitcmp1_b32 s5, 0
	s_cselect_b32 s5, -1, 0
	s_delay_alu instid0(SALU_CYCLE_1)
	s_and_b32 vcc_lo, exec_lo, s5
	s_cbranch_vccnz .LBB101_63
; %bb.60:
	s_load_b96 s[8:10], s[2:3], 0x4
	s_load_b32 s5, s[0:1], 0xe4
	s_wait_xcnt 0x0
	s_load_b64 s[2:3], s[0:1], 0xec
	s_wait_kmcnt 0x0
	v_mul_hi_u32 v7, s9, v5
	s_delay_alu instid0(VALU_DEP_1) | instskip(NEXT) | instid1(VALU_DEP_1)
	v_add_nc_u32_e32 v7, v5, v7
	v_lshrrev_b32_e32 v7, s10, v7
	s_delay_alu instid0(VALU_DEP_1) | instskip(NEXT) | instid1(VALU_DEP_1)
	v_mul_lo_u32 v7, v7, s8
	v_sub_nc_u32_e32 v5, v5, v7
	s_delay_alu instid0(VALU_DEP_1)
	v_mad_u32 v1, v5, s5, v1
	v_mad_u32 v4, v5, s2, v4
	;; [unrolled: 1-line block ×3, first 2 shown]
	s_and_not1_b32 vcc_lo, exec_lo, s4
	s_cbranch_vccz .LBB101_64
	s_branch .LBB101_67
.LBB101_61:
	s_endpgm
.LBB101_62:
	s_mov_b32 s4, -1
                                        ; implicit-def: $vgpr2
                                        ; implicit-def: $vgpr4
                                        ; implicit-def: $vgpr1
.LBB101_63:
	s_delay_alu instid0(SALU_CYCLE_1)
	s_and_not1_b32 vcc_lo, exec_lo, s4
	s_cbranch_vccnz .LBB101_67
.LBB101_64:
	s_clause 0x2
	s_load_b96 s[0:2], s[12:13], 0x4
	s_load_b32 s3, s[12:13], 0xc4
	s_load_b64 s[4:5], s[12:13], 0xcc
	s_cmp_lt_u32 s11, 2
	s_wait_kmcnt 0x0
	v_mul_hi_u32 v1, s1, v0
	s_delay_alu instid0(VALU_DEP_1) | instskip(NEXT) | instid1(VALU_DEP_1)
	v_add_nc_u32_e32 v1, v0, v1
	v_lshrrev_b32_e32 v5, s2, v1
	s_delay_alu instid0(VALU_DEP_1) | instskip(NEXT) | instid1(VALU_DEP_1)
	v_mul_lo_u32 v1, v5, s0
	v_sub_nc_u32_e32 v4, v0, v1
	s_delay_alu instid0(VALU_DEP_1)
	v_mul_lo_u32 v1, v4, s3
	v_mul_lo_u32 v2, v4, s5
	;; [unrolled: 1-line block ×3, first 2 shown]
	s_cbranch_scc1 .LBB101_67
; %bb.65:
	s_clause 0x2
	s_load_b96 s[0:2], s[12:13], 0x10
	s_load_b32 s3, s[12:13], 0xd4
	s_load_b64 s[4:5], s[12:13], 0xdc
	s_wait_kmcnt 0x0
	v_mul_hi_u32 v7, s1, v5
	s_delay_alu instid0(VALU_DEP_1) | instskip(NEXT) | instid1(VALU_DEP_1)
	v_add_nc_u32_e32 v7, v5, v7
	v_lshrrev_b32_e32 v7, s2, v7
	s_delay_alu instid0(VALU_DEP_1) | instskip(NEXT) | instid1(VALU_DEP_1)
	v_mul_lo_u32 v7, v7, s0
	v_sub_nc_u32_e32 v5, v5, v7
	s_delay_alu instid0(VALU_DEP_1)
	v_mad_u32 v1, v5, s3, v1
	v_mad_u32 v4, v5, s4, v4
	;; [unrolled: 1-line block ×3, first 2 shown]
	s_branch .LBB101_67
.LBB101_66:
	v_dual_mov_b32 v2, 0 :: v_dual_mov_b32 v4, 0
	v_mov_b32_e32 v1, 0
	s_and_not1_b32 vcc_lo, exec_lo, s4
	s_cbranch_vccz .LBB101_64
.LBB101_67:
	v_cmp_ne_u32_e32 vcc_lo, 1, v6
	v_add_nc_u32_e32 v9, 0x80, v0
	s_cbranch_vccnz .LBB101_73
; %bb.68:
	s_cmp_lg_u32 s11, 0
	s_mov_b32 s4, 0
	s_cbranch_scc0 .LBB101_77
; %bb.69:
	s_min_u32 s5, s30, 15
	v_dual_mov_b32 v5, 0 :: v_dual_mov_b32 v10, v9
	v_dual_mov_b32 v7, 0 :: v_dual_mov_b32 v8, 0
	s_add_co_i32 s2, s5, 1
	s_mov_b64 s[0:1], 0xffffffffffffffe0
	s_and_b32 s6, s2, 30
	s_add_nc_u64 s[0:1], s[12:13], s[0:1]
	s_mov_b64 s[2:3], s[12:13]
.LBB101_70:                             ; =>This Inner Loop Header: Depth=1
	s_clause 0x1
	s_load_b128 s[16:19], s[2:3], 0x4
	s_load_b64 s[14:15], s[2:3], 0x14
	s_clause 0x1
	s_load_b32 s7, s[0:1], 0xe4
	s_load_b96 s[8:10], s[0:1], 0xec
	s_add_co_i32 s6, s6, -2
	s_wait_xcnt 0x0
	s_add_nc_u64 s[2:3], s[2:3], 24
	s_cmp_lg_u32 s6, 0
	s_wait_kmcnt 0x0
	v_mul_hi_u32 v11, s17, v10
	s_delay_alu instid0(VALU_DEP_1) | instskip(NEXT) | instid1(VALU_DEP_1)
	v_add_nc_u32_e32 v11, v10, v11
	v_lshrrev_b32_e32 v11, s18, v11
	s_delay_alu instid0(VALU_DEP_1) | instskip(SKIP_1) | instid1(VALU_DEP_1)
	v_mul_hi_u32 v12, s14, v11
	v_mul_lo_u32 v13, v11, s16
	v_dual_add_nc_u32 v12, v11, v12 :: v_dual_sub_nc_u32 v13, v10, v13
	s_delay_alu instid0(VALU_DEP_1) | instskip(SKIP_1) | instid1(VALU_DEP_2)
	v_lshrrev_b32_e32 v10, s15, v12
	s_load_b64 s[14:15], s[0:1], 0xfc
	v_mad_u32 v5, v13, s7, v5
	v_mad_u32 v8, v13, s9, v8
	;; [unrolled: 1-line block ×3, first 2 shown]
	v_mul_lo_u32 v12, v10, s19
	s_wait_xcnt 0x0
	s_add_nc_u64 s[0:1], s[0:1], 32
	s_delay_alu instid0(VALU_DEP_1) | instskip(NEXT) | instid1(VALU_DEP_1)
	v_sub_nc_u32_e32 v11, v11, v12
	v_mad_u32 v5, v11, s10, v5
	s_wait_kmcnt 0x0
	v_mad_u32 v8, v11, s15, v8
	v_mad_u32 v7, v11, s14, v7
	s_cbranch_scc1 .LBB101_70
; %bb.71:
	s_bitcmp1_b32 s5, 0
	s_cselect_b32 s5, -1, 0
	s_delay_alu instid0(SALU_CYCLE_1)
	s_and_b32 vcc_lo, exec_lo, s5
	s_cbranch_vccnz .LBB101_74
; %bb.72:
	s_load_b96 s[8:10], s[2:3], 0x4
	s_load_b32 s5, s[0:1], 0xe4
	s_wait_xcnt 0x0
	s_load_b64 s[2:3], s[0:1], 0xec
	s_wait_kmcnt 0x0
	v_mul_hi_u32 v11, s9, v10
	s_delay_alu instid0(VALU_DEP_1) | instskip(NEXT) | instid1(VALU_DEP_1)
	v_add_nc_u32_e32 v11, v10, v11
	v_lshrrev_b32_e32 v11, s10, v11
	s_delay_alu instid0(VALU_DEP_1) | instskip(NEXT) | instid1(VALU_DEP_1)
	v_mul_lo_u32 v11, v11, s8
	v_sub_nc_u32_e32 v10, v10, v11
	s_delay_alu instid0(VALU_DEP_1)
	v_mad_u32 v5, v10, s5, v5
	v_mad_u32 v7, v10, s2, v7
	;; [unrolled: 1-line block ×3, first 2 shown]
	s_and_not1_b32 vcc_lo, exec_lo, s4
	s_cbranch_vccz .LBB101_75
	s_branch .LBB101_78
.LBB101_73:
	s_mov_b32 s4, -1
                                        ; implicit-def: $vgpr8
                                        ; implicit-def: $vgpr7
                                        ; implicit-def: $vgpr5
.LBB101_74:
	s_delay_alu instid0(SALU_CYCLE_1)
	s_and_not1_b32 vcc_lo, exec_lo, s4
	s_cbranch_vccnz .LBB101_78
.LBB101_75:
	s_clause 0x2
	s_load_b96 s[0:2], s[12:13], 0x4
	s_load_b32 s3, s[12:13], 0xc4
	s_load_b64 s[4:5], s[12:13], 0xcc
	s_cmp_lt_u32 s11, 2
	s_wait_kmcnt 0x0
	v_mul_hi_u32 v5, s1, v9
	s_delay_alu instid0(VALU_DEP_1) | instskip(NEXT) | instid1(VALU_DEP_1)
	v_add_nc_u32_e32 v5, v9, v5
	v_lshrrev_b32_e32 v10, s2, v5
	s_delay_alu instid0(VALU_DEP_1) | instskip(NEXT) | instid1(VALU_DEP_1)
	v_mul_lo_u32 v5, v10, s0
	v_sub_nc_u32_e32 v7, v9, v5
	s_delay_alu instid0(VALU_DEP_1)
	v_mul_lo_u32 v5, v7, s3
	v_mul_lo_u32 v8, v7, s5
	v_mul_lo_u32 v7, v7, s4
	s_cbranch_scc1 .LBB101_78
; %bb.76:
	s_clause 0x2
	s_load_b96 s[0:2], s[12:13], 0x10
	s_load_b32 s3, s[12:13], 0xd4
	s_load_b64 s[4:5], s[12:13], 0xdc
	s_wait_kmcnt 0x0
	v_mul_hi_u32 v9, s1, v10
	s_delay_alu instid0(VALU_DEP_1) | instskip(NEXT) | instid1(VALU_DEP_1)
	v_add_nc_u32_e32 v9, v10, v9
	v_lshrrev_b32_e32 v9, s2, v9
	s_delay_alu instid0(VALU_DEP_1) | instskip(NEXT) | instid1(VALU_DEP_1)
	v_mul_lo_u32 v9, v9, s0
	v_sub_nc_u32_e32 v9, v10, v9
	s_delay_alu instid0(VALU_DEP_1)
	v_mad_u32 v5, v9, s3, v5
	v_mad_u32 v7, v9, s4, v7
	;; [unrolled: 1-line block ×3, first 2 shown]
	s_branch .LBB101_78
.LBB101_77:
	v_dual_mov_b32 v8, 0 :: v_dual_mov_b32 v7, 0
	v_mov_b32_e32 v5, 0
	s_and_not1_b32 vcc_lo, exec_lo, s4
	s_cbranch_vccz .LBB101_75
.LBB101_78:
	v_cmp_ne_u32_e32 vcc_lo, 1, v6
	v_add_nc_u32_e32 v11, 0x100, v0
	s_cbranch_vccnz .LBB101_84
; %bb.79:
	s_cmp_lg_u32 s11, 0
	s_mov_b32 s4, 0
	s_cbranch_scc0 .LBB101_88
; %bb.80:
	s_min_u32 s5, s30, 15
	v_dual_mov_b32 v0, 0 :: v_dual_mov_b32 v12, v11
	v_dual_mov_b32 v10, 0 :: v_dual_mov_b32 v9, 0
	s_add_co_i32 s2, s5, 1
	s_mov_b64 s[0:1], 0xffffffffffffffe0
	s_and_b32 s6, s2, 30
	s_add_nc_u64 s[0:1], s[12:13], s[0:1]
	s_mov_b64 s[2:3], s[12:13]
.LBB101_81:                             ; =>This Inner Loop Header: Depth=1
	s_clause 0x1
	s_load_b128 s[16:19], s[2:3], 0x4
	s_load_b64 s[14:15], s[2:3], 0x14
	s_clause 0x1
	s_load_b32 s7, s[0:1], 0xe4
	s_load_b96 s[8:10], s[0:1], 0xec
	s_add_co_i32 s6, s6, -2
	s_wait_xcnt 0x0
	s_add_nc_u64 s[2:3], s[2:3], 24
	s_cmp_lg_u32 s6, 0
	s_wait_kmcnt 0x0
	v_mul_hi_u32 v13, s17, v12
	s_delay_alu instid0(VALU_DEP_1) | instskip(NEXT) | instid1(VALU_DEP_1)
	v_add_nc_u32_e32 v13, v12, v13
	v_lshrrev_b32_e32 v13, s18, v13
	s_delay_alu instid0(VALU_DEP_1) | instskip(SKIP_1) | instid1(VALU_DEP_1)
	v_mul_hi_u32 v14, s14, v13
	v_mul_lo_u32 v15, v13, s16
	v_dual_add_nc_u32 v14, v13, v14 :: v_dual_sub_nc_u32 v15, v12, v15
	s_delay_alu instid0(VALU_DEP_1) | instskip(SKIP_1) | instid1(VALU_DEP_2)
	v_lshrrev_b32_e32 v12, s15, v14
	s_load_b64 s[14:15], s[0:1], 0xfc
	v_mad_u32 v0, v15, s7, v0
	v_mad_u32 v9, v15, s9, v9
	;; [unrolled: 1-line block ×3, first 2 shown]
	v_mul_lo_u32 v14, v12, s19
	s_wait_xcnt 0x0
	s_add_nc_u64 s[0:1], s[0:1], 32
	s_delay_alu instid0(VALU_DEP_1) | instskip(NEXT) | instid1(VALU_DEP_1)
	v_sub_nc_u32_e32 v13, v13, v14
	v_mad_u32 v0, v13, s10, v0
	s_wait_kmcnt 0x0
	v_mad_u32 v9, v13, s15, v9
	v_mad_u32 v10, v13, s14, v10
	s_cbranch_scc1 .LBB101_81
; %bb.82:
	s_bitcmp1_b32 s5, 0
	s_cselect_b32 s5, -1, 0
	s_delay_alu instid0(SALU_CYCLE_1)
	s_and_b32 vcc_lo, exec_lo, s5
	s_cbranch_vccnz .LBB101_85
; %bb.83:
	s_load_b96 s[8:10], s[2:3], 0x4
	s_load_b32 s5, s[0:1], 0xe4
	s_wait_xcnt 0x0
	s_load_b64 s[2:3], s[0:1], 0xec
	s_wait_kmcnt 0x0
	v_mul_hi_u32 v13, s9, v12
	s_delay_alu instid0(VALU_DEP_1) | instskip(NEXT) | instid1(VALU_DEP_1)
	v_add_nc_u32_e32 v13, v12, v13
	v_lshrrev_b32_e32 v13, s10, v13
	s_delay_alu instid0(VALU_DEP_1) | instskip(NEXT) | instid1(VALU_DEP_1)
	v_mul_lo_u32 v13, v13, s8
	v_sub_nc_u32_e32 v12, v12, v13
	s_delay_alu instid0(VALU_DEP_1)
	v_mad_u32 v0, v12, s5, v0
	v_mad_u32 v10, v12, s2, v10
	;; [unrolled: 1-line block ×3, first 2 shown]
	s_and_not1_b32 vcc_lo, exec_lo, s4
	s_cbranch_vccz .LBB101_86
	s_branch .LBB101_89
.LBB101_84:
	s_mov_b32 s4, -1
                                        ; implicit-def: $vgpr9
                                        ; implicit-def: $vgpr10
                                        ; implicit-def: $vgpr0
.LBB101_85:
	s_delay_alu instid0(SALU_CYCLE_1)
	s_and_not1_b32 vcc_lo, exec_lo, s4
	s_cbranch_vccnz .LBB101_89
.LBB101_86:
	s_clause 0x2
	s_load_b96 s[0:2], s[12:13], 0x4
	s_load_b32 s3, s[12:13], 0xc4
	s_load_b64 s[4:5], s[12:13], 0xcc
	s_cmp_lt_u32 s11, 2
	s_wait_kmcnt 0x0
	v_mul_hi_u32 v0, s1, v11
	s_delay_alu instid0(VALU_DEP_1) | instskip(NEXT) | instid1(VALU_DEP_1)
	v_add_nc_u32_e32 v0, v11, v0
	v_lshrrev_b32_e32 v12, s2, v0
	s_delay_alu instid0(VALU_DEP_1) | instskip(NEXT) | instid1(VALU_DEP_1)
	v_mul_lo_u32 v0, v12, s0
	v_sub_nc_u32_e32 v10, v11, v0
	s_delay_alu instid0(VALU_DEP_1)
	v_mul_lo_u32 v0, v10, s3
	v_mul_lo_u32 v9, v10, s5
	;; [unrolled: 1-line block ×3, first 2 shown]
	s_cbranch_scc1 .LBB101_89
; %bb.87:
	s_clause 0x2
	s_load_b96 s[0:2], s[12:13], 0x10
	s_load_b32 s3, s[12:13], 0xd4
	s_load_b64 s[4:5], s[12:13], 0xdc
	s_wait_kmcnt 0x0
	v_mul_hi_u32 v11, s1, v12
	s_delay_alu instid0(VALU_DEP_1) | instskip(NEXT) | instid1(VALU_DEP_1)
	v_add_nc_u32_e32 v11, v12, v11
	v_lshrrev_b32_e32 v11, s2, v11
	s_delay_alu instid0(VALU_DEP_1) | instskip(NEXT) | instid1(VALU_DEP_1)
	v_mul_lo_u32 v11, v11, s0
	v_sub_nc_u32_e32 v11, v12, v11
	s_delay_alu instid0(VALU_DEP_1)
	v_mad_u32 v0, v11, s3, v0
	v_mad_u32 v10, v11, s4, v10
	;; [unrolled: 1-line block ×3, first 2 shown]
	s_branch .LBB101_89
.LBB101_88:
	v_dual_mov_b32 v9, 0 :: v_dual_mov_b32 v10, 0
	v_mov_b32_e32 v0, 0
	s_and_not1_b32 vcc_lo, exec_lo, s4
	s_cbranch_vccz .LBB101_86
.LBB101_89:
	v_cmp_ne_u32_e32 vcc_lo, 1, v6
	s_cbranch_vccnz .LBB101_95
; %bb.90:
	s_cmp_lg_u32 s11, 0
	s_mov_b32 s4, 0
	s_cbranch_scc0 .LBB101_99
; %bb.91:
	s_min_u32 s5, s30, 15
	v_dual_mov_b32 v6, 0 :: v_dual_mov_b32 v13, v3
	v_dual_mov_b32 v12, 0 :: v_dual_mov_b32 v11, 0
	s_add_co_i32 s2, s5, 1
	s_mov_b64 s[0:1], 0xffffffffffffffe0
	s_and_b32 s6, s2, 30
	s_add_nc_u64 s[0:1], s[12:13], s[0:1]
	s_mov_b64 s[2:3], s[12:13]
.LBB101_92:                             ; =>This Inner Loop Header: Depth=1
	s_clause 0x1
	s_load_b128 s[16:19], s[2:3], 0x4
	s_load_b64 s[14:15], s[2:3], 0x14
	s_clause 0x1
	s_load_b32 s7, s[0:1], 0xe4
	s_load_b96 s[8:10], s[0:1], 0xec
	s_add_co_i32 s6, s6, -2
	s_wait_xcnt 0x0
	s_add_nc_u64 s[2:3], s[2:3], 24
	s_cmp_lg_u32 s6, 0
	s_wait_kmcnt 0x0
	v_mul_hi_u32 v14, s17, v13
	s_delay_alu instid0(VALU_DEP_1) | instskip(NEXT) | instid1(VALU_DEP_1)
	v_add_nc_u32_e32 v14, v13, v14
	v_lshrrev_b32_e32 v14, s18, v14
	s_delay_alu instid0(VALU_DEP_1) | instskip(SKIP_1) | instid1(VALU_DEP_1)
	v_mul_hi_u32 v15, s14, v14
	v_mul_lo_u32 v16, v14, s16
	v_dual_add_nc_u32 v15, v14, v15 :: v_dual_sub_nc_u32 v16, v13, v16
	s_delay_alu instid0(VALU_DEP_1) | instskip(SKIP_1) | instid1(VALU_DEP_2)
	v_lshrrev_b32_e32 v13, s15, v15
	s_load_b64 s[14:15], s[0:1], 0xfc
	v_mad_u32 v6, v16, s7, v6
	v_mad_u32 v11, v16, s9, v11
	;; [unrolled: 1-line block ×3, first 2 shown]
	v_mul_lo_u32 v15, v13, s19
	s_wait_xcnt 0x0
	s_add_nc_u64 s[0:1], s[0:1], 32
	s_delay_alu instid0(VALU_DEP_1) | instskip(NEXT) | instid1(VALU_DEP_1)
	v_sub_nc_u32_e32 v14, v14, v15
	v_mad_u32 v6, v14, s10, v6
	s_wait_kmcnt 0x0
	v_mad_u32 v11, v14, s15, v11
	v_mad_u32 v12, v14, s14, v12
	s_cbranch_scc1 .LBB101_92
; %bb.93:
	s_bitcmp1_b32 s5, 0
	s_cselect_b32 s5, -1, 0
	s_delay_alu instid0(SALU_CYCLE_1)
	s_and_b32 vcc_lo, exec_lo, s5
	s_cbranch_vccnz .LBB101_96
; %bb.94:
	s_load_b96 s[8:10], s[2:3], 0x4
	s_load_b32 s5, s[0:1], 0xe4
	s_wait_xcnt 0x0
	s_load_b64 s[2:3], s[0:1], 0xec
	s_wait_kmcnt 0x0
	v_mul_hi_u32 v14, s9, v13
	s_delay_alu instid0(VALU_DEP_1) | instskip(NEXT) | instid1(VALU_DEP_1)
	v_add_nc_u32_e32 v14, v13, v14
	v_lshrrev_b32_e32 v14, s10, v14
	s_delay_alu instid0(VALU_DEP_1) | instskip(NEXT) | instid1(VALU_DEP_1)
	v_mul_lo_u32 v14, v14, s8
	v_sub_nc_u32_e32 v13, v13, v14
	s_delay_alu instid0(VALU_DEP_1)
	v_mad_u32 v6, v13, s5, v6
	v_mad_u32 v12, v13, s2, v12
	;; [unrolled: 1-line block ×3, first 2 shown]
	s_and_not1_b32 vcc_lo, exec_lo, s4
	s_cbranch_vccz .LBB101_97
	s_branch .LBB101_100
.LBB101_95:
	s_mov_b32 s4, -1
                                        ; implicit-def: $vgpr11
                                        ; implicit-def: $vgpr12
                                        ; implicit-def: $vgpr6
.LBB101_96:
	s_delay_alu instid0(SALU_CYCLE_1)
	s_and_not1_b32 vcc_lo, exec_lo, s4
	s_cbranch_vccnz .LBB101_100
.LBB101_97:
	s_clause 0x2
	s_load_b96 s[0:2], s[12:13], 0x4
	s_load_b32 s3, s[12:13], 0xc4
	s_load_b64 s[4:5], s[12:13], 0xcc
	s_cmp_lt_u32 s11, 2
	s_wait_kmcnt 0x0
	v_mul_hi_u32 v6, s1, v3
	s_delay_alu instid0(VALU_DEP_1) | instskip(NEXT) | instid1(VALU_DEP_1)
	v_add_nc_u32_e32 v6, v3, v6
	v_lshrrev_b32_e32 v13, s2, v6
	s_delay_alu instid0(VALU_DEP_1) | instskip(NEXT) | instid1(VALU_DEP_1)
	v_mul_lo_u32 v6, v13, s0
	v_sub_nc_u32_e32 v3, v3, v6
	s_delay_alu instid0(VALU_DEP_1)
	v_mul_lo_u32 v6, v3, s3
	v_mul_lo_u32 v11, v3, s5
	;; [unrolled: 1-line block ×3, first 2 shown]
	s_cbranch_scc1 .LBB101_100
; %bb.98:
	s_clause 0x2
	s_load_b96 s[0:2], s[12:13], 0x10
	s_load_b32 s3, s[12:13], 0xd4
	s_load_b64 s[4:5], s[12:13], 0xdc
	s_wait_kmcnt 0x0
	v_mul_hi_u32 v3, s1, v13
	s_delay_alu instid0(VALU_DEP_1) | instskip(NEXT) | instid1(VALU_DEP_1)
	v_add_nc_u32_e32 v3, v13, v3
	v_lshrrev_b32_e32 v3, s2, v3
	s_delay_alu instid0(VALU_DEP_1) | instskip(NEXT) | instid1(VALU_DEP_1)
	v_mul_lo_u32 v3, v3, s0
	v_sub_nc_u32_e32 v3, v13, v3
	s_delay_alu instid0(VALU_DEP_1)
	v_mad_u32 v6, v3, s3, v6
	v_mad_u32 v12, v3, s4, v12
	;; [unrolled: 1-line block ×3, first 2 shown]
	s_branch .LBB101_100
.LBB101_99:
	v_dual_mov_b32 v11, 0 :: v_dual_mov_b32 v12, 0
	v_mov_b32_e32 v6, 0
	s_and_not1_b32 vcc_lo, exec_lo, s4
	s_cbranch_vccz .LBB101_97
.LBB101_100:
	s_load_b128 s[0:3], s[12:13], 0x1d8
	s_wait_kmcnt 0x0
	s_clause 0x3
	global_load_b64 v[14:15], v4, s[0:1]
	global_load_b64 v[16:17], v7, s[0:1]
	;; [unrolled: 1-line block ×4, first 2 shown]
	s_clause 0x3
	global_load_b64 v[22:23], v2, s[2:3]
	global_load_b64 v[24:25], v8, s[2:3]
	;; [unrolled: 1-line block ×4, first 2 shown]
	s_wait_xcnt 0x4
	s_load_b64 s[0:1], s[12:13], 0x1e8
	s_wait_loadcnt 0x7
	s_wait_kmcnt 0x0
	v_mul_f64_e32 v[2:3], s[0:1], v[14:15]
	s_wait_loadcnt 0x6
	v_mul_f64_e32 v[8:9], s[0:1], v[16:17]
	s_wait_loadcnt 0x5
	;; [unrolled: 2-line block ×3, first 2 shown]
	v_mul_f64_e32 v[12:13], s[0:1], v[20:21]
	s_load_b64 s[0:1], s[12:13], 0x1c8
	s_wait_loadcnt 0x3
	s_delay_alu instid0(VALU_DEP_4) | instskip(SKIP_1) | instid1(VALU_DEP_4)
	v_mul_f64_e32 v[2:3], v[2:3], v[22:23]
	s_wait_loadcnt 0x2
	v_mul_f64_e32 v[8:9], v[8:9], v[24:25]
	s_wait_loadcnt 0x1
	s_delay_alu instid0(VALU_DEP_4) | instskip(SKIP_1) | instid1(VALU_DEP_4)
	v_mul_f64_e32 v[10:11], v[10:11], v[26:27]
	s_wait_loadcnt 0x0
	v_mul_f64_e32 v[12:13], v[12:13], v[28:29]
	s_wait_kmcnt 0x0
	s_clause 0x3
	global_store_b64 v1, v[2:3], s[0:1]
	global_store_b64 v5, v[8:9], s[0:1]
	;; [unrolled: 1-line block ×4, first 2 shown]
	s_endpgm
	.section	.rodata,"a",@progbits
	.p2align	6, 0x0
	.amdhsa_kernel _ZN2at6native32elementwise_kernel_manual_unrollILi128ELi4EZNS0_22gpu_kernel_impl_nocastIZZZNS0_12_GLOBAL__N_116addr_kernel_cudaERNS_14TensorIteratorERKN3c106ScalarES9_ENKUlvE_clEvENKUlvE4_clEvEUldddE_EEvRNS_18TensorIteratorBaseERKT_EUlibE_EEviT1_
		.amdhsa_group_segment_fixed_size 0
		.amdhsa_private_segment_fixed_size 0
		.amdhsa_kernarg_size 504
		.amdhsa_user_sgpr_count 2
		.amdhsa_user_sgpr_dispatch_ptr 0
		.amdhsa_user_sgpr_queue_ptr 0
		.amdhsa_user_sgpr_kernarg_segment_ptr 1
		.amdhsa_user_sgpr_dispatch_id 0
		.amdhsa_user_sgpr_kernarg_preload_length 0
		.amdhsa_user_sgpr_kernarg_preload_offset 0
		.amdhsa_user_sgpr_private_segment_size 0
		.amdhsa_wavefront_size32 1
		.amdhsa_uses_dynamic_stack 0
		.amdhsa_enable_private_segment 0
		.amdhsa_system_sgpr_workgroup_id_x 1
		.amdhsa_system_sgpr_workgroup_id_y 0
		.amdhsa_system_sgpr_workgroup_id_z 0
		.amdhsa_system_sgpr_workgroup_info 0
		.amdhsa_system_vgpr_workitem_id 0
		.amdhsa_next_free_vgpr 30
		.amdhsa_next_free_sgpr 46
		.amdhsa_named_barrier_count 0
		.amdhsa_reserve_vcc 1
		.amdhsa_float_round_mode_32 0
		.amdhsa_float_round_mode_16_64 0
		.amdhsa_float_denorm_mode_32 3
		.amdhsa_float_denorm_mode_16_64 3
		.amdhsa_fp16_overflow 0
		.amdhsa_memory_ordered 1
		.amdhsa_forward_progress 1
		.amdhsa_inst_pref_size 45
		.amdhsa_round_robin_scheduling 0
		.amdhsa_exception_fp_ieee_invalid_op 0
		.amdhsa_exception_fp_denorm_src 0
		.amdhsa_exception_fp_ieee_div_zero 0
		.amdhsa_exception_fp_ieee_overflow 0
		.amdhsa_exception_fp_ieee_underflow 0
		.amdhsa_exception_fp_ieee_inexact 0
		.amdhsa_exception_int_div_zero 0
	.end_amdhsa_kernel
	.section	.text._ZN2at6native32elementwise_kernel_manual_unrollILi128ELi4EZNS0_22gpu_kernel_impl_nocastIZZZNS0_12_GLOBAL__N_116addr_kernel_cudaERNS_14TensorIteratorERKN3c106ScalarES9_ENKUlvE_clEvENKUlvE4_clEvEUldddE_EEvRNS_18TensorIteratorBaseERKT_EUlibE_EEviT1_,"axG",@progbits,_ZN2at6native32elementwise_kernel_manual_unrollILi128ELi4EZNS0_22gpu_kernel_impl_nocastIZZZNS0_12_GLOBAL__N_116addr_kernel_cudaERNS_14TensorIteratorERKN3c106ScalarES9_ENKUlvE_clEvENKUlvE4_clEvEUldddE_EEvRNS_18TensorIteratorBaseERKT_EUlibE_EEviT1_,comdat
.Lfunc_end101:
	.size	_ZN2at6native32elementwise_kernel_manual_unrollILi128ELi4EZNS0_22gpu_kernel_impl_nocastIZZZNS0_12_GLOBAL__N_116addr_kernel_cudaERNS_14TensorIteratorERKN3c106ScalarES9_ENKUlvE_clEvENKUlvE4_clEvEUldddE_EEvRNS_18TensorIteratorBaseERKT_EUlibE_EEviT1_, .Lfunc_end101-_ZN2at6native32elementwise_kernel_manual_unrollILi128ELi4EZNS0_22gpu_kernel_impl_nocastIZZZNS0_12_GLOBAL__N_116addr_kernel_cudaERNS_14TensorIteratorERKN3c106ScalarES9_ENKUlvE_clEvENKUlvE4_clEvEUldddE_EEvRNS_18TensorIteratorBaseERKT_EUlibE_EEviT1_
                                        ; -- End function
	.set _ZN2at6native32elementwise_kernel_manual_unrollILi128ELi4EZNS0_22gpu_kernel_impl_nocastIZZZNS0_12_GLOBAL__N_116addr_kernel_cudaERNS_14TensorIteratorERKN3c106ScalarES9_ENKUlvE_clEvENKUlvE4_clEvEUldddE_EEvRNS_18TensorIteratorBaseERKT_EUlibE_EEviT1_.num_vgpr, 30
	.set _ZN2at6native32elementwise_kernel_manual_unrollILi128ELi4EZNS0_22gpu_kernel_impl_nocastIZZZNS0_12_GLOBAL__N_116addr_kernel_cudaERNS_14TensorIteratorERKN3c106ScalarES9_ENKUlvE_clEvENKUlvE4_clEvEUldddE_EEvRNS_18TensorIteratorBaseERKT_EUlibE_EEviT1_.num_agpr, 0
	.set _ZN2at6native32elementwise_kernel_manual_unrollILi128ELi4EZNS0_22gpu_kernel_impl_nocastIZZZNS0_12_GLOBAL__N_116addr_kernel_cudaERNS_14TensorIteratorERKN3c106ScalarES9_ENKUlvE_clEvENKUlvE4_clEvEUldddE_EEvRNS_18TensorIteratorBaseERKT_EUlibE_EEviT1_.numbered_sgpr, 46
	.set _ZN2at6native32elementwise_kernel_manual_unrollILi128ELi4EZNS0_22gpu_kernel_impl_nocastIZZZNS0_12_GLOBAL__N_116addr_kernel_cudaERNS_14TensorIteratorERKN3c106ScalarES9_ENKUlvE_clEvENKUlvE4_clEvEUldddE_EEvRNS_18TensorIteratorBaseERKT_EUlibE_EEviT1_.num_named_barrier, 0
	.set _ZN2at6native32elementwise_kernel_manual_unrollILi128ELi4EZNS0_22gpu_kernel_impl_nocastIZZZNS0_12_GLOBAL__N_116addr_kernel_cudaERNS_14TensorIteratorERKN3c106ScalarES9_ENKUlvE_clEvENKUlvE4_clEvEUldddE_EEvRNS_18TensorIteratorBaseERKT_EUlibE_EEviT1_.private_seg_size, 0
	.set _ZN2at6native32elementwise_kernel_manual_unrollILi128ELi4EZNS0_22gpu_kernel_impl_nocastIZZZNS0_12_GLOBAL__N_116addr_kernel_cudaERNS_14TensorIteratorERKN3c106ScalarES9_ENKUlvE_clEvENKUlvE4_clEvEUldddE_EEvRNS_18TensorIteratorBaseERKT_EUlibE_EEviT1_.uses_vcc, 1
	.set _ZN2at6native32elementwise_kernel_manual_unrollILi128ELi4EZNS0_22gpu_kernel_impl_nocastIZZZNS0_12_GLOBAL__N_116addr_kernel_cudaERNS_14TensorIteratorERKN3c106ScalarES9_ENKUlvE_clEvENKUlvE4_clEvEUldddE_EEvRNS_18TensorIteratorBaseERKT_EUlibE_EEviT1_.uses_flat_scratch, 0
	.set _ZN2at6native32elementwise_kernel_manual_unrollILi128ELi4EZNS0_22gpu_kernel_impl_nocastIZZZNS0_12_GLOBAL__N_116addr_kernel_cudaERNS_14TensorIteratorERKN3c106ScalarES9_ENKUlvE_clEvENKUlvE4_clEvEUldddE_EEvRNS_18TensorIteratorBaseERKT_EUlibE_EEviT1_.has_dyn_sized_stack, 0
	.set _ZN2at6native32elementwise_kernel_manual_unrollILi128ELi4EZNS0_22gpu_kernel_impl_nocastIZZZNS0_12_GLOBAL__N_116addr_kernel_cudaERNS_14TensorIteratorERKN3c106ScalarES9_ENKUlvE_clEvENKUlvE4_clEvEUldddE_EEvRNS_18TensorIteratorBaseERKT_EUlibE_EEviT1_.has_recursion, 0
	.set _ZN2at6native32elementwise_kernel_manual_unrollILi128ELi4EZNS0_22gpu_kernel_impl_nocastIZZZNS0_12_GLOBAL__N_116addr_kernel_cudaERNS_14TensorIteratorERKN3c106ScalarES9_ENKUlvE_clEvENKUlvE4_clEvEUldddE_EEvRNS_18TensorIteratorBaseERKT_EUlibE_EEviT1_.has_indirect_call, 0
	.section	.AMDGPU.csdata,"",@progbits
; Kernel info:
; codeLenInByte = 5696
; TotalNumSgprs: 48
; NumVgprs: 30
; ScratchSize: 0
; MemoryBound: 0
; FloatMode: 240
; IeeeMode: 1
; LDSByteSize: 0 bytes/workgroup (compile time only)
; SGPRBlocks: 0
; VGPRBlocks: 1
; NumSGPRsForWavesPerEU: 48
; NumVGPRsForWavesPerEU: 30
; NamedBarCnt: 0
; Occupancy: 16
; WaveLimiterHint : 1
; COMPUTE_PGM_RSRC2:SCRATCH_EN: 0
; COMPUTE_PGM_RSRC2:USER_SGPR: 2
; COMPUTE_PGM_RSRC2:TRAP_HANDLER: 0
; COMPUTE_PGM_RSRC2:TGID_X_EN: 1
; COMPUTE_PGM_RSRC2:TGID_Y_EN: 0
; COMPUTE_PGM_RSRC2:TGID_Z_EN: 0
; COMPUTE_PGM_RSRC2:TIDIG_COMP_CNT: 0
	.section	.text._ZN2at6native32elementwise_kernel_manual_unrollILi128ELi4EZNS0_15gpu_kernel_implIZZZNS0_12_GLOBAL__N_116addr_kernel_cudaERNS_14TensorIteratorERKN3c106ScalarES9_ENKUlvE_clEvENKUlvE4_clEvEUldddE_EEvRNS_18TensorIteratorBaseERKT_EUlibE_EEviT1_,"axG",@progbits,_ZN2at6native32elementwise_kernel_manual_unrollILi128ELi4EZNS0_15gpu_kernel_implIZZZNS0_12_GLOBAL__N_116addr_kernel_cudaERNS_14TensorIteratorERKN3c106ScalarES9_ENKUlvE_clEvENKUlvE4_clEvEUldddE_EEvRNS_18TensorIteratorBaseERKT_EUlibE_EEviT1_,comdat
	.globl	_ZN2at6native32elementwise_kernel_manual_unrollILi128ELi4EZNS0_15gpu_kernel_implIZZZNS0_12_GLOBAL__N_116addr_kernel_cudaERNS_14TensorIteratorERKN3c106ScalarES9_ENKUlvE_clEvENKUlvE4_clEvEUldddE_EEvRNS_18TensorIteratorBaseERKT_EUlibE_EEviT1_ ; -- Begin function _ZN2at6native32elementwise_kernel_manual_unrollILi128ELi4EZNS0_15gpu_kernel_implIZZZNS0_12_GLOBAL__N_116addr_kernel_cudaERNS_14TensorIteratorERKN3c106ScalarES9_ENKUlvE_clEvENKUlvE4_clEvEUldddE_EEvRNS_18TensorIteratorBaseERKT_EUlibE_EEviT1_
	.p2align	8
	.type	_ZN2at6native32elementwise_kernel_manual_unrollILi128ELi4EZNS0_15gpu_kernel_implIZZZNS0_12_GLOBAL__N_116addr_kernel_cudaERNS_14TensorIteratorERKN3c106ScalarES9_ENKUlvE_clEvENKUlvE4_clEvEUldddE_EEvRNS_18TensorIteratorBaseERKT_EUlibE_EEviT1_,@function
_ZN2at6native32elementwise_kernel_manual_unrollILi128ELi4EZNS0_15gpu_kernel_implIZZZNS0_12_GLOBAL__N_116addr_kernel_cudaERNS_14TensorIteratorERKN3c106ScalarES9_ENKUlvE_clEvENKUlvE4_clEvEUldddE_EEvRNS_18TensorIteratorBaseERKT_EUlibE_EEviT1_: ; @_ZN2at6native32elementwise_kernel_manual_unrollILi128ELi4EZNS0_15gpu_kernel_implIZZZNS0_12_GLOBAL__N_116addr_kernel_cudaERNS_14TensorIteratorERKN3c106ScalarES9_ENKUlvE_clEvENKUlvE4_clEvEUldddE_EEvRNS_18TensorIteratorBaseERKT_EUlibE_EEviT1_
; %bb.0:
	s_clause 0x1
	s_load_b32 s13, s[0:1], 0x40
	s_load_b128 s[4:7], s[0:1], 0x30
	s_bfe_u32 s8, ttmp6, 0x4000c
	s_clause 0x1
	s_load_b32 s19, s[0:1], 0x0
	s_load_b64 s[2:3], s[0:1], 0x8
	s_add_co_i32 s14, s8, 1
	s_clause 0x1
	s_load_b128 s[8:11], s[0:1], 0x18
	s_load_b32 s12, s[0:1], 0x28
	s_and_b32 s15, ttmp6, 15
	s_wait_xcnt 0x0
	s_mul_i32 s0, ttmp9, s14
	s_getreg_b32 s17, hwreg(HW_REG_IB_STS2, 6, 4)
	s_add_co_i32 s15, s15, s0
	s_mov_b32 s18, 0
	s_wait_kmcnt 0x0
	s_lshr_b32 s14, s13, 16
	s_lshr_b32 s16, s13, 8
	;; [unrolled: 1-line block ×3, first 2 shown]
	s_cmp_eq_u32 s17, 0
	s_cselect_b32 s0, ttmp9, s15
	s_mov_b32 s15, 0
	v_lshl_or_b32 v18, s0, 9, v0
	s_mov_b32 s0, exec_lo
	s_delay_alu instid0(VALU_DEP_1) | instskip(NEXT) | instid1(VALU_DEP_1)
	v_or_b32_e32 v0, 0x180, v18
	v_cmpx_le_i32_e64 s19, v0
	s_xor_b32 s17, exec_lo, s0
	s_cbranch_execz .LBB102_1624
; %bb.1:
	s_mov_b32 s0, -1
	s_mov_b32 s24, 0
	s_mov_b32 s22, 0
	;; [unrolled: 1-line block ×4, first 2 shown]
	s_mov_b32 s23, exec_lo
	v_cmpx_gt_i32_e64 s19, v18
	s_cbranch_execz .LBB102_402
; %bb.2:
	s_and_b32 s18, s16, 0xff
	s_delay_alu instid0(SALU_CYCLE_1)
	s_cmp_lt_i32 s18, 23
	s_cbranch_scc1 .LBB102_6
; %bb.3:
	s_and_b32 s20, 0xffff, s18
	s_delay_alu instid0(SALU_CYCLE_1)
	s_cmp_gt_i32 s20, 43
	s_cbranch_scc0 .LBB102_7
; %bb.4:
	s_cmp_gt_i32 s20, 45
	s_cbranch_scc0 .LBB102_8
; %bb.5:
	s_cmp_eq_u32 s20, 46
	s_mov_b32 s22, -1
	s_cselect_b32 s0, -1, 0
	s_branch .LBB102_9
.LBB102_6:
	s_mov_b32 s0, 0
	s_cbranch_execnz .LBB102_14
	s_branch .LBB102_18
.LBB102_7:
	s_mov_b32 s0, 0
	s_cbranch_execnz .LBB102_12
	s_branch .LBB102_13
.LBB102_8:
	s_mov_b32 s21, -1
	s_mov_b32 s0, 0
.LBB102_9:
	s_and_not1_b32 vcc_lo, exec_lo, s21
	s_cbranch_vccnz .LBB102_11
; %bb.10:
	s_cmp_eq_u32 s20, 44
	s_cselect_b32 s0, -1, 0
	s_cmp_lg_u32 s20, 44
	s_cselect_b32 s22, -1, 0
.LBB102_11:
	s_branch .LBB102_13
.LBB102_12:
	s_cmp_lt_i32 s20, 30
	s_cselect_b32 s0, -1, 0
	s_cmp_gt_i32 s20, 29
	s_cselect_b32 s22, -1, 0
.LBB102_13:
	s_branch .LBB102_18
.LBB102_14:
	s_and_b32 s18, 0xffff, s18
	s_mov_b32 s20, -1
	s_cmp_gt_i32 s18, 14
	s_cbranch_scc0 .LBB102_16
; %bb.15:
	s_cmp_eq_u32 s18, 15
	s_mov_b32 s20, 0
	s_cselect_b32 s0, -1, 0
	s_cmp_lg_u32 s18, 15
	s_cselect_b32 s22, -1, 0
.LBB102_16:
	s_and_not1_b32 vcc_lo, exec_lo, s20
	s_cbranch_vccnz .LBB102_18
; %bb.17:
	s_cmp_lt_i32 s18, 12
	s_cselect_b32 s0, -1, 0
	s_cmp_gt_i32 s18, 11
	s_cselect_b32 s22, -1, 0
.LBB102_18:
	s_and_b32 vcc_lo, exec_lo, s0
	s_cbranch_vccz .LBB102_26
; %bb.19:
	v_mul_lo_u32 v0, v18, s4
	s_and_b32 s0, s14, 0xff
	s_delay_alu instid0(SALU_CYCLE_1) | instskip(NEXT) | instid1(VALU_DEP_1)
	s_cmp_lt_i32 s0, 11
	v_ashrrev_i32_e32 v1, 31, v0
	s_delay_alu instid0(VALU_DEP_1)
	v_add_nc_u64_e32 v[2:3], s[8:9], v[0:1]
	s_cbranch_scc1 .LBB102_28
; %bb.20:
	s_and_b32 s18, 0xffff, s0
	s_delay_alu instid0(SALU_CYCLE_1)
	s_cmp_gt_i32 s18, 25
	s_cbranch_scc0 .LBB102_29
; %bb.21:
	s_cmp_gt_i32 s18, 28
	s_cbranch_scc0 .LBB102_30
; %bb.22:
	;; [unrolled: 3-line block ×4, first 2 shown]
	s_cmp_eq_u32 s18, 46
	s_mov_b32 s22, 0
	s_cbranch_scc0 .LBB102_33
; %bb.25:
	global_load_b32 v0, v[2:3], off
	s_mov_b32 s20, -1
	s_mov_b32 s21, 0
	s_wait_loadcnt 0x0
	v_lshlrev_b32_e32 v0, 16, v0
	s_delay_alu instid0(VALU_DEP_1)
	v_cvt_f64_f32_e32 v[0:1], v0
	s_branch .LBB102_35
.LBB102_26:
	s_mov_b32 s0, 0
	s_mov_b32 s20, 0
	;; [unrolled: 1-line block ×3, first 2 shown]
.LBB102_27:
	s_mov_b32 s25, 0
                                        ; implicit-def: $vgpr18
	s_branch .LBB102_401
.LBB102_28:
	s_mov_b32 s21, 0
	s_mov_b32 s20, 0
                                        ; implicit-def: $vgpr0_vgpr1
	s_cbranch_execnz .LBB102_100
	s_branch .LBB102_148
.LBB102_29:
	s_mov_b32 s22, -1
	s_mov_b32 s21, 0
	s_mov_b32 s20, 0
                                        ; implicit-def: $vgpr0_vgpr1
	s_branch .LBB102_64
.LBB102_30:
	s_mov_b32 s22, -1
	s_mov_b32 s21, 0
	s_mov_b32 s20, 0
                                        ; implicit-def: $vgpr0_vgpr1
	s_branch .LBB102_45
.LBB102_31:
	s_mov_b32 s22, -1
	s_mov_b32 s21, 0
	s_mov_b32 s20, 0
                                        ; implicit-def: $vgpr0_vgpr1
	s_branch .LBB102_40
.LBB102_32:
	s_mov_b32 s22, -1
	s_mov_b32 s21, 0
	s_branch .LBB102_34
.LBB102_33:
	s_mov_b32 s21, -1
.LBB102_34:
	s_mov_b32 s20, 0
                                        ; implicit-def: $vgpr0_vgpr1
.LBB102_35:
	s_and_b32 vcc_lo, exec_lo, s22
	s_cbranch_vccz .LBB102_39
; %bb.36:
	s_cmp_eq_u32 s18, 44
	s_cbranch_scc0 .LBB102_38
; %bb.37:
	global_load_u8 v4, v[2:3], off
	s_mov_b32 s21, 0
	s_mov_b32 s20, -1
	s_wait_loadcnt 0x0
	v_cmp_ne_u32_e32 vcc_lo, 0xff, v4
	v_lshlrev_b32_e32 v0, 23, v4
	s_delay_alu instid0(VALU_DEP_1) | instskip(NEXT) | instid1(VALU_DEP_1)
	v_cvt_f64_f32_e32 v[0:1], v0
	v_cndmask_b32_e32 v0, 0x20000000, v0, vcc_lo
	s_delay_alu instid0(VALU_DEP_2) | instskip(SKIP_1) | instid1(VALU_DEP_2)
	v_cndmask_b32_e32 v1, 0x7ff80000, v1, vcc_lo
	v_cmp_ne_u32_e32 vcc_lo, 0, v4
	v_cndmask_b32_e32 v1, 0x38000000, v1, vcc_lo
	s_delay_alu instid0(VALU_DEP_4)
	v_cndmask_b32_e32 v0, 0, v0, vcc_lo
	s_branch .LBB102_39
.LBB102_38:
	s_mov_b32 s21, -1
                                        ; implicit-def: $vgpr0_vgpr1
.LBB102_39:
	s_mov_b32 s22, 0
.LBB102_40:
	s_delay_alu instid0(SALU_CYCLE_1)
	s_and_b32 vcc_lo, exec_lo, s22
	s_cbranch_vccz .LBB102_44
; %bb.41:
	s_cmp_eq_u32 s18, 29
	s_cbranch_scc0 .LBB102_43
; %bb.42:
	global_load_b64 v[0:1], v[2:3], off
	s_mov_b32 s20, -1
	s_mov_b32 s21, 0
	s_mov_b32 s22, 0
	s_wait_loadcnt 0x0
	v_cvt_f64_u32_e32 v[4:5], v1
	v_cvt_f64_u32_e32 v[0:1], v0
	s_delay_alu instid0(VALU_DEP_2) | instskip(NEXT) | instid1(VALU_DEP_1)
	v_ldexp_f64 v[4:5], v[4:5], 32
	v_add_f64_e32 v[0:1], v[4:5], v[0:1]
	s_branch .LBB102_45
.LBB102_43:
	s_mov_b32 s21, -1
                                        ; implicit-def: $vgpr0_vgpr1
.LBB102_44:
	s_mov_b32 s22, 0
.LBB102_45:
	s_delay_alu instid0(SALU_CYCLE_1)
	s_and_b32 vcc_lo, exec_lo, s22
	s_cbranch_vccz .LBB102_63
; %bb.46:
	s_cmp_lt_i32 s18, 27
	s_cbranch_scc1 .LBB102_49
; %bb.47:
	s_cmp_gt_i32 s18, 27
	s_cbranch_scc0 .LBB102_50
; %bb.48:
	global_load_b32 v0, v[2:3], off
	s_mov_b32 s20, 0
	s_wait_loadcnt 0x0
	v_cvt_f64_u32_e32 v[0:1], v0
	s_branch .LBB102_51
.LBB102_49:
	s_mov_b32 s20, -1
                                        ; implicit-def: $vgpr0_vgpr1
	s_branch .LBB102_54
.LBB102_50:
	s_mov_b32 s20, -1
                                        ; implicit-def: $vgpr0_vgpr1
.LBB102_51:
	s_delay_alu instid0(SALU_CYCLE_1)
	s_and_not1_b32 vcc_lo, exec_lo, s20
	s_cbranch_vccnz .LBB102_53
; %bb.52:
	global_load_u16 v0, v[2:3], off
	s_wait_loadcnt 0x0
	v_cvt_f64_u32_e32 v[0:1], v0
.LBB102_53:
	s_mov_b32 s20, 0
.LBB102_54:
	s_delay_alu instid0(SALU_CYCLE_1)
	s_and_not1_b32 vcc_lo, exec_lo, s20
	s_cbranch_vccnz .LBB102_62
; %bb.55:
	global_load_u8 v4, v[2:3], off
	s_mov_b32 s20, 0
	s_mov_b32 s22, exec_lo
	s_wait_loadcnt 0x0
	v_cmpx_lt_i16_e32 0x7f, v4
	s_xor_b32 s22, exec_lo, s22
	s_cbranch_execz .LBB102_76
; %bb.56:
	s_mov_b32 s20, -1
	s_mov_b32 s25, exec_lo
	v_cmpx_eq_u16_e32 0x80, v4
; %bb.57:
	s_xor_b32 s20, exec_lo, -1
; %bb.58:
	s_or_b32 exec_lo, exec_lo, s25
	s_delay_alu instid0(SALU_CYCLE_1)
	s_and_b32 s20, s20, exec_lo
	s_or_saveexec_b32 s22, s22
	v_mov_b64_e32 v[0:1], 0x7ff8000020000000
	s_xor_b32 exec_lo, exec_lo, s22
	s_cbranch_execnz .LBB102_77
.LBB102_59:
	s_or_b32 exec_lo, exec_lo, s22
	s_and_saveexec_b32 s22, s20
	s_cbranch_execz .LBB102_61
.LBB102_60:
	v_and_b32_e32 v0, 0xffff, v4
	s_delay_alu instid0(VALU_DEP_1) | instskip(SKIP_1) | instid1(VALU_DEP_2)
	v_and_b32_e32 v1, 7, v0
	v_bfe_u32 v7, v0, 3, 4
	v_clz_i32_u32_e32 v5, v1
	s_delay_alu instid0(VALU_DEP_2) | instskip(NEXT) | instid1(VALU_DEP_2)
	v_cmp_eq_u32_e32 vcc_lo, 0, v7
	v_min_u32_e32 v5, 32, v5
	s_delay_alu instid0(VALU_DEP_1) | instskip(NEXT) | instid1(VALU_DEP_1)
	v_subrev_nc_u32_e32 v6, 28, v5
	v_dual_lshlrev_b32 v0, v6, v0 :: v_dual_sub_nc_u32 v5, 29, v5
	s_delay_alu instid0(VALU_DEP_1) | instskip(NEXT) | instid1(VALU_DEP_2)
	v_and_b32_e32 v0, 7, v0
	v_dual_cndmask_b32 v5, v7, v5 :: v_dual_lshlrev_b32 v4, 24, v4
	s_delay_alu instid0(VALU_DEP_2) | instskip(NEXT) | instid1(VALU_DEP_2)
	v_cndmask_b32_e32 v0, v1, v0, vcc_lo
	v_and_b32_e32 v1, 0x80000000, v4
	s_delay_alu instid0(VALU_DEP_3) | instskip(NEXT) | instid1(VALU_DEP_3)
	v_lshl_add_u32 v4, v5, 23, 0x3b800000
	v_lshlrev_b32_e32 v0, 20, v0
	s_delay_alu instid0(VALU_DEP_1) | instskip(NEXT) | instid1(VALU_DEP_1)
	v_or3_b32 v0, v1, v4, v0
	v_cvt_f64_f32_e32 v[0:1], v0
.LBB102_61:
	s_or_b32 exec_lo, exec_lo, s22
.LBB102_62:
	s_mov_b32 s20, -1
.LBB102_63:
	s_mov_b32 s22, 0
.LBB102_64:
	s_delay_alu instid0(SALU_CYCLE_1)
	s_and_b32 vcc_lo, exec_lo, s22
	s_cbranch_vccz .LBB102_99
; %bb.65:
	s_cmp_gt_i32 s18, 22
	s_cbranch_scc0 .LBB102_75
; %bb.66:
	s_cmp_lt_i32 s18, 24
	s_cbranch_scc1 .LBB102_78
; %bb.67:
	s_cmp_gt_i32 s18, 24
	s_cbranch_scc0 .LBB102_79
; %bb.68:
	global_load_u8 v4, v[2:3], off
	s_mov_b32 s20, 0
	s_mov_b32 s22, exec_lo
	s_wait_loadcnt 0x0
	v_cmpx_lt_i16_e32 0x7f, v4
	s_xor_b32 s22, exec_lo, s22
	s_cbranch_execz .LBB102_91
; %bb.69:
	s_mov_b32 s20, -1
	s_mov_b32 s25, exec_lo
	v_cmpx_eq_u16_e32 0x80, v4
; %bb.70:
	s_xor_b32 s20, exec_lo, -1
; %bb.71:
	s_or_b32 exec_lo, exec_lo, s25
	s_delay_alu instid0(SALU_CYCLE_1)
	s_and_b32 s20, s20, exec_lo
	s_or_saveexec_b32 s22, s22
	v_mov_b64_e32 v[0:1], 0x7ff8000020000000
	s_xor_b32 exec_lo, exec_lo, s22
	s_cbranch_execnz .LBB102_92
.LBB102_72:
	s_or_b32 exec_lo, exec_lo, s22
	s_and_saveexec_b32 s22, s20
	s_cbranch_execz .LBB102_74
.LBB102_73:
	v_and_b32_e32 v0, 0xffff, v4
	s_delay_alu instid0(VALU_DEP_1) | instskip(SKIP_1) | instid1(VALU_DEP_2)
	v_and_b32_e32 v1, 3, v0
	v_bfe_u32 v7, v0, 2, 5
	v_clz_i32_u32_e32 v5, v1
	s_delay_alu instid0(VALU_DEP_2) | instskip(NEXT) | instid1(VALU_DEP_2)
	v_cmp_eq_u32_e32 vcc_lo, 0, v7
	v_min_u32_e32 v5, 32, v5
	s_delay_alu instid0(VALU_DEP_1) | instskip(NEXT) | instid1(VALU_DEP_1)
	v_subrev_nc_u32_e32 v6, 29, v5
	v_dual_lshlrev_b32 v0, v6, v0 :: v_dual_sub_nc_u32 v5, 30, v5
	s_delay_alu instid0(VALU_DEP_1) | instskip(NEXT) | instid1(VALU_DEP_2)
	v_and_b32_e32 v0, 3, v0
	v_dual_cndmask_b32 v5, v7, v5 :: v_dual_lshlrev_b32 v4, 24, v4
	s_delay_alu instid0(VALU_DEP_2) | instskip(NEXT) | instid1(VALU_DEP_2)
	v_cndmask_b32_e32 v0, v1, v0, vcc_lo
	v_and_b32_e32 v1, 0x80000000, v4
	s_delay_alu instid0(VALU_DEP_3) | instskip(NEXT) | instid1(VALU_DEP_3)
	v_lshl_add_u32 v4, v5, 23, 0x37800000
	v_lshlrev_b32_e32 v0, 21, v0
	s_delay_alu instid0(VALU_DEP_1) | instskip(NEXT) | instid1(VALU_DEP_1)
	v_or3_b32 v0, v1, v4, v0
	v_cvt_f64_f32_e32 v[0:1], v0
.LBB102_74:
	s_or_b32 exec_lo, exec_lo, s22
	s_mov_b32 s20, 0
	s_branch .LBB102_80
.LBB102_75:
	s_mov_b32 s22, -1
                                        ; implicit-def: $vgpr0_vgpr1
	s_branch .LBB102_86
.LBB102_76:
	s_or_saveexec_b32 s22, s22
	v_mov_b64_e32 v[0:1], 0x7ff8000020000000
	s_xor_b32 exec_lo, exec_lo, s22
	s_cbranch_execz .LBB102_59
.LBB102_77:
	v_cmp_ne_u16_e32 vcc_lo, 0, v4
	v_mov_b64_e32 v[0:1], 0
	s_and_not1_b32 s20, s20, exec_lo
	s_and_b32 s25, vcc_lo, exec_lo
	s_delay_alu instid0(SALU_CYCLE_1)
	s_or_b32 s20, s20, s25
	s_or_b32 exec_lo, exec_lo, s22
	s_and_saveexec_b32 s22, s20
	s_cbranch_execnz .LBB102_60
	s_branch .LBB102_61
.LBB102_78:
	s_mov_b32 s20, -1
                                        ; implicit-def: $vgpr0_vgpr1
	s_branch .LBB102_83
.LBB102_79:
	s_mov_b32 s20, -1
                                        ; implicit-def: $vgpr0_vgpr1
.LBB102_80:
	s_delay_alu instid0(SALU_CYCLE_1)
	s_and_b32 vcc_lo, exec_lo, s20
	s_cbranch_vccz .LBB102_82
; %bb.81:
	global_load_u8 v0, v[2:3], off
	s_wait_loadcnt 0x0
	v_lshlrev_b32_e32 v0, 24, v0
	s_delay_alu instid0(VALU_DEP_1) | instskip(NEXT) | instid1(VALU_DEP_1)
	v_and_b32_e32 v1, 0x7f000000, v0
	v_clz_i32_u32_e32 v4, v1
	v_cmp_ne_u32_e32 vcc_lo, 0, v1
	v_add_nc_u32_e32 v6, 0x1000000, v1
	s_delay_alu instid0(VALU_DEP_3) | instskip(NEXT) | instid1(VALU_DEP_1)
	v_min_u32_e32 v4, 32, v4
	v_sub_nc_u32_e64 v4, v4, 4 clamp
	s_delay_alu instid0(VALU_DEP_1) | instskip(NEXT) | instid1(VALU_DEP_1)
	v_dual_lshlrev_b32 v5, v4, v1 :: v_dual_lshlrev_b32 v4, 23, v4
	v_lshrrev_b32_e32 v5, 4, v5
	s_delay_alu instid0(VALU_DEP_1) | instskip(NEXT) | instid1(VALU_DEP_1)
	v_dual_sub_nc_u32 v4, v5, v4 :: v_dual_ashrrev_i32 v5, 8, v6
	v_add_nc_u32_e32 v4, 0x3c000000, v4
	s_delay_alu instid0(VALU_DEP_1) | instskip(NEXT) | instid1(VALU_DEP_1)
	v_and_or_b32 v4, 0x7f800000, v5, v4
	v_cndmask_b32_e32 v1, 0, v4, vcc_lo
	s_delay_alu instid0(VALU_DEP_1) | instskip(NEXT) | instid1(VALU_DEP_1)
	v_and_or_b32 v0, 0x80000000, v0, v1
	v_cvt_f64_f32_e32 v[0:1], v0
.LBB102_82:
	s_mov_b32 s20, 0
.LBB102_83:
	s_delay_alu instid0(SALU_CYCLE_1)
	s_and_not1_b32 vcc_lo, exec_lo, s20
	s_cbranch_vccnz .LBB102_85
; %bb.84:
	global_load_u8 v0, v[2:3], off
	s_wait_loadcnt 0x0
	v_lshlrev_b32_e32 v1, 25, v0
	v_lshlrev_b16 v0, 8, v0
	s_delay_alu instid0(VALU_DEP_1) | instskip(SKIP_1) | instid1(VALU_DEP_2)
	v_and_or_b32 v5, 0x7f00, v0, 0.5
	v_bfe_i32 v0, v0, 0, 16
	v_add_f32_e32 v5, -0.5, v5
	v_lshrrev_b32_e32 v4, 4, v1
	v_cmp_gt_u32_e32 vcc_lo, 0x8000000, v1
	s_delay_alu instid0(VALU_DEP_2) | instskip(NEXT) | instid1(VALU_DEP_1)
	v_or_b32_e32 v4, 0x70000000, v4
	v_mul_f32_e32 v4, 0x7800000, v4
	s_delay_alu instid0(VALU_DEP_1) | instskip(NEXT) | instid1(VALU_DEP_1)
	v_cndmask_b32_e32 v1, v4, v5, vcc_lo
	v_and_or_b32 v0, 0x80000000, v0, v1
	s_delay_alu instid0(VALU_DEP_1)
	v_cvt_f64_f32_e32 v[0:1], v0
.LBB102_85:
	s_mov_b32 s22, 0
	s_mov_b32 s20, -1
.LBB102_86:
	s_and_not1_b32 vcc_lo, exec_lo, s22
	s_cbranch_vccnz .LBB102_99
; %bb.87:
	s_cmp_gt_i32 s18, 14
	s_cbranch_scc0 .LBB102_90
; %bb.88:
	s_cmp_eq_u32 s18, 15
	s_cbranch_scc0 .LBB102_93
; %bb.89:
	global_load_u16 v0, v[2:3], off
	s_mov_b32 s20, -1
	s_mov_b32 s21, 0
	s_wait_loadcnt 0x0
	v_lshlrev_b32_e32 v0, 16, v0
	s_delay_alu instid0(VALU_DEP_1)
	v_cvt_f64_f32_e32 v[0:1], v0
	s_branch .LBB102_94
.LBB102_90:
	s_mov_b32 s22, -1
                                        ; implicit-def: $vgpr0_vgpr1
	s_branch .LBB102_95
.LBB102_91:
	s_or_saveexec_b32 s22, s22
	v_mov_b64_e32 v[0:1], 0x7ff8000020000000
	s_xor_b32 exec_lo, exec_lo, s22
	s_cbranch_execz .LBB102_72
.LBB102_92:
	v_cmp_ne_u16_e32 vcc_lo, 0, v4
	v_mov_b64_e32 v[0:1], 0
	s_and_not1_b32 s20, s20, exec_lo
	s_and_b32 s25, vcc_lo, exec_lo
	s_delay_alu instid0(SALU_CYCLE_1)
	s_or_b32 s20, s20, s25
	s_or_b32 exec_lo, exec_lo, s22
	s_and_saveexec_b32 s22, s20
	s_cbranch_execnz .LBB102_73
	s_branch .LBB102_74
.LBB102_93:
	s_mov_b32 s21, -1
                                        ; implicit-def: $vgpr0_vgpr1
.LBB102_94:
	s_mov_b32 s22, 0
.LBB102_95:
	s_delay_alu instid0(SALU_CYCLE_1)
	s_and_b32 vcc_lo, exec_lo, s22
	s_cbranch_vccz .LBB102_99
; %bb.96:
	s_cmp_eq_u32 s18, 11
	s_cbranch_scc0 .LBB102_98
; %bb.97:
	global_load_u8 v0, v[2:3], off
	s_mov_b32 s21, 0
	s_mov_b32 s20, -1
	s_wait_loadcnt 0x0
	v_cmp_ne_u16_e32 vcc_lo, 0, v0
	v_mov_b32_e32 v0, 0
	v_cndmask_b32_e64 v1, 0, 0x3ff00000, vcc_lo
	s_branch .LBB102_99
.LBB102_98:
	s_mov_b32 s21, -1
                                        ; implicit-def: $vgpr0_vgpr1
.LBB102_99:
	s_branch .LBB102_148
.LBB102_100:
	s_and_b32 s0, 0xffff, s0
	s_delay_alu instid0(SALU_CYCLE_1)
	s_cmp_lt_i32 s0, 5
	s_cbranch_scc1 .LBB102_105
; %bb.101:
	s_cmp_lt_i32 s0, 8
	s_cbranch_scc1 .LBB102_106
; %bb.102:
	;; [unrolled: 3-line block ×3, first 2 shown]
	s_cmp_gt_i32 s0, 9
	s_cbranch_scc0 .LBB102_108
; %bb.104:
	global_load_b64 v[0:1], v[2:3], off
	s_mov_b32 s18, 0
	s_branch .LBB102_109
.LBB102_105:
	s_mov_b32 s18, -1
                                        ; implicit-def: $vgpr0_vgpr1
	s_branch .LBB102_127
.LBB102_106:
	s_mov_b32 s18, -1
                                        ; implicit-def: $vgpr0_vgpr1
	s_branch .LBB102_115
.LBB102_107:
	s_mov_b32 s18, -1
                                        ; implicit-def: $vgpr0_vgpr1
	s_branch .LBB102_112
.LBB102_108:
	s_mov_b32 s18, -1
                                        ; implicit-def: $vgpr0_vgpr1
.LBB102_109:
	s_delay_alu instid0(SALU_CYCLE_1)
	s_and_not1_b32 vcc_lo, exec_lo, s18
	s_cbranch_vccnz .LBB102_111
; %bb.110:
	s_wait_loadcnt 0x0
	global_load_b32 v0, v[2:3], off
	s_wait_loadcnt 0x0
	v_cvt_f64_f32_e32 v[0:1], v0
.LBB102_111:
	s_mov_b32 s18, 0
.LBB102_112:
	s_delay_alu instid0(SALU_CYCLE_1)
	s_and_not1_b32 vcc_lo, exec_lo, s18
	s_cbranch_vccnz .LBB102_114
; %bb.113:
	s_wait_loadcnt 0x0
	global_load_b32 v0, v[2:3], off
	s_wait_loadcnt 0x0
	v_cvt_f32_f16_e32 v0, v0
	s_delay_alu instid0(VALU_DEP_1)
	v_cvt_f64_f32_e32 v[0:1], v0
.LBB102_114:
	s_mov_b32 s18, 0
.LBB102_115:
	s_delay_alu instid0(SALU_CYCLE_1)
	s_and_not1_b32 vcc_lo, exec_lo, s18
	s_cbranch_vccnz .LBB102_126
; %bb.116:
	s_cmp_lt_i32 s0, 6
	s_cbranch_scc1 .LBB102_119
; %bb.117:
	s_cmp_gt_i32 s0, 6
	s_cbranch_scc0 .LBB102_120
; %bb.118:
	s_wait_loadcnt 0x0
	global_load_b64 v[0:1], v[2:3], off
	s_mov_b32 s18, 0
	s_branch .LBB102_121
.LBB102_119:
	s_mov_b32 s18, -1
                                        ; implicit-def: $vgpr0_vgpr1
	s_branch .LBB102_124
.LBB102_120:
	s_mov_b32 s18, -1
                                        ; implicit-def: $vgpr0_vgpr1
.LBB102_121:
	s_delay_alu instid0(SALU_CYCLE_1)
	s_and_not1_b32 vcc_lo, exec_lo, s18
	s_cbranch_vccnz .LBB102_123
; %bb.122:
	s_wait_loadcnt 0x0
	global_load_b32 v0, v[2:3], off
	s_wait_loadcnt 0x0
	v_cvt_f64_f32_e32 v[0:1], v0
.LBB102_123:
	s_mov_b32 s18, 0
.LBB102_124:
	s_delay_alu instid0(SALU_CYCLE_1)
	s_and_not1_b32 vcc_lo, exec_lo, s18
	s_cbranch_vccnz .LBB102_126
; %bb.125:
	s_wait_loadcnt 0x0
	global_load_u16 v0, v[2:3], off
	s_wait_loadcnt 0x0
	v_cvt_f32_f16_e32 v0, v0
	s_delay_alu instid0(VALU_DEP_1)
	v_cvt_f64_f32_e32 v[0:1], v0
.LBB102_126:
	s_mov_b32 s18, 0
.LBB102_127:
	s_delay_alu instid0(SALU_CYCLE_1)
	s_and_not1_b32 vcc_lo, exec_lo, s18
	s_cbranch_vccnz .LBB102_147
; %bb.128:
	s_cmp_lt_i32 s0, 2
	s_cbranch_scc1 .LBB102_132
; %bb.129:
	s_cmp_lt_i32 s0, 3
	s_cbranch_scc1 .LBB102_133
; %bb.130:
	s_cmp_gt_i32 s0, 3
	s_cbranch_scc0 .LBB102_134
; %bb.131:
	s_wait_loadcnt 0x0
	global_load_b64 v[0:1], v[2:3], off
	s_mov_b32 s18, 0
	s_wait_loadcnt 0x0
	v_cvt_f64_i32_e32 v[4:5], v1
	v_cvt_f64_u32_e32 v[0:1], v0
	s_delay_alu instid0(VALU_DEP_2) | instskip(NEXT) | instid1(VALU_DEP_1)
	v_ldexp_f64 v[4:5], v[4:5], 32
	v_add_f64_e32 v[0:1], v[4:5], v[0:1]
	s_branch .LBB102_135
.LBB102_132:
	s_mov_b32 s18, -1
                                        ; implicit-def: $vgpr0_vgpr1
	s_branch .LBB102_141
.LBB102_133:
	s_mov_b32 s18, -1
                                        ; implicit-def: $vgpr0_vgpr1
	s_branch .LBB102_138
.LBB102_134:
	s_mov_b32 s18, -1
                                        ; implicit-def: $vgpr0_vgpr1
.LBB102_135:
	s_delay_alu instid0(SALU_CYCLE_1)
	s_and_not1_b32 vcc_lo, exec_lo, s18
	s_cbranch_vccnz .LBB102_137
; %bb.136:
	s_wait_loadcnt 0x0
	global_load_b32 v0, v[2:3], off
	s_wait_loadcnt 0x0
	v_cvt_f64_i32_e32 v[0:1], v0
.LBB102_137:
	s_mov_b32 s18, 0
.LBB102_138:
	s_delay_alu instid0(SALU_CYCLE_1)
	s_and_not1_b32 vcc_lo, exec_lo, s18
	s_cbranch_vccnz .LBB102_140
; %bb.139:
	s_wait_loadcnt 0x0
	global_load_i16 v0, v[2:3], off
	s_wait_loadcnt 0x0
	v_cvt_f64_i32_e32 v[0:1], v0
.LBB102_140:
	s_mov_b32 s18, 0
.LBB102_141:
	s_delay_alu instid0(SALU_CYCLE_1)
	s_and_not1_b32 vcc_lo, exec_lo, s18
	s_cbranch_vccnz .LBB102_147
; %bb.142:
	s_cmp_gt_i32 s0, 0
	s_mov_b32 s0, 0
	s_cbranch_scc0 .LBB102_144
; %bb.143:
	s_wait_loadcnt 0x0
	global_load_i8 v0, v[2:3], off
	s_wait_loadcnt 0x0
	v_cvt_f64_i32_e32 v[0:1], v0
	s_branch .LBB102_145
.LBB102_144:
	s_mov_b32 s0, -1
                                        ; implicit-def: $vgpr0_vgpr1
.LBB102_145:
	s_delay_alu instid0(SALU_CYCLE_1)
	s_and_not1_b32 vcc_lo, exec_lo, s0
	s_cbranch_vccnz .LBB102_147
; %bb.146:
	s_wait_loadcnt 0x0
	global_load_u8 v0, v[2:3], off
	s_wait_loadcnt 0x0
	v_cvt_f64_u32_e32 v[0:1], v0
.LBB102_147:
	s_mov_b32 s20, -1
.LBB102_148:
	s_mov_b32 s22, 0
	s_mov_b32 s0, 0
	s_and_not1_b32 vcc_lo, exec_lo, s20
	s_mov_b32 s20, 0
	s_mov_b32 s25, 0
	s_cbranch_vccnz .LBB102_401
; %bb.149:
	s_wait_xcnt 0x0
	v_mul_lo_u32 v2, v18, s5
	s_and_b32 s0, 0xffff, s1
	s_delay_alu instid0(SALU_CYCLE_1) | instskip(NEXT) | instid1(VALU_DEP_1)
	s_cmp_lt_i32 s0, 11
	v_ashrrev_i32_e32 v3, 31, v2
	s_delay_alu instid0(VALU_DEP_1)
	v_add_nc_u64_e32 v[2:3], s[10:11], v[2:3]
	s_cbranch_scc1 .LBB102_156
; %bb.150:
	s_cmp_gt_i32 s0, 25
	s_cbranch_scc0 .LBB102_157
; %bb.151:
	s_cmp_gt_i32 s0, 28
	s_cbranch_scc0 .LBB102_158
	;; [unrolled: 3-line block ×4, first 2 shown]
; %bb.154:
	s_cmp_eq_u32 s0, 46
	s_cbranch_scc0 .LBB102_161
; %bb.155:
	global_load_b32 v4, v[2:3], off
	s_mov_b32 s18, -1
	s_wait_loadcnt 0x0
	v_lshlrev_b32_e32 v4, 16, v4
	s_delay_alu instid0(VALU_DEP_1)
	v_cvt_f64_f32_e32 v[4:5], v4
	s_branch .LBB102_163
.LBB102_156:
	s_mov_b32 s25, -1
	s_mov_b32 s18, 0
                                        ; implicit-def: $vgpr4_vgpr5
	s_branch .LBB102_228
.LBB102_157:
	s_mov_b32 s25, -1
	s_mov_b32 s18, 0
                                        ; implicit-def: $vgpr4_vgpr5
	s_branch .LBB102_192
.LBB102_158:
	s_mov_b32 s25, -1
	s_mov_b32 s18, 0
                                        ; implicit-def: $vgpr4_vgpr5
	s_branch .LBB102_173
.LBB102_159:
	s_mov_b32 s25, -1
	s_mov_b32 s18, 0
                                        ; implicit-def: $vgpr4_vgpr5
	s_branch .LBB102_168
.LBB102_160:
	s_mov_b32 s25, -1
	s_branch .LBB102_162
.LBB102_161:
	s_mov_b32 s20, -1
.LBB102_162:
	s_mov_b32 s18, 0
                                        ; implicit-def: $vgpr4_vgpr5
.LBB102_163:
	s_and_b32 vcc_lo, exec_lo, s25
	s_cbranch_vccz .LBB102_167
; %bb.164:
	s_cmp_eq_u32 s0, 44
	s_cbranch_scc0 .LBB102_166
; %bb.165:
	global_load_u8 v6, v[2:3], off
	s_mov_b32 s20, 0
	s_mov_b32 s18, -1
	s_wait_loadcnt 0x0
	v_cmp_ne_u32_e32 vcc_lo, 0xff, v6
	v_lshlrev_b32_e32 v4, 23, v6
	s_delay_alu instid0(VALU_DEP_1) | instskip(NEXT) | instid1(VALU_DEP_1)
	v_cvt_f64_f32_e32 v[4:5], v4
	v_cndmask_b32_e32 v4, 0x20000000, v4, vcc_lo
	s_delay_alu instid0(VALU_DEP_2) | instskip(SKIP_1) | instid1(VALU_DEP_2)
	v_cndmask_b32_e32 v5, 0x7ff80000, v5, vcc_lo
	v_cmp_ne_u32_e32 vcc_lo, 0, v6
	v_cndmask_b32_e32 v5, 0x38000000, v5, vcc_lo
	s_delay_alu instid0(VALU_DEP_4)
	v_cndmask_b32_e32 v4, 0, v4, vcc_lo
	s_branch .LBB102_167
.LBB102_166:
	s_mov_b32 s20, -1
                                        ; implicit-def: $vgpr4_vgpr5
.LBB102_167:
	s_mov_b32 s25, 0
.LBB102_168:
	s_delay_alu instid0(SALU_CYCLE_1)
	s_and_b32 vcc_lo, exec_lo, s25
	s_cbranch_vccz .LBB102_172
; %bb.169:
	s_cmp_eq_u32 s0, 29
	s_cbranch_scc0 .LBB102_171
; %bb.170:
	global_load_b64 v[4:5], v[2:3], off
	s_mov_b32 s18, -1
	s_mov_b32 s20, 0
	s_mov_b32 s25, 0
	s_wait_loadcnt 0x0
	v_cvt_f64_u32_e32 v[6:7], v5
	v_cvt_f64_u32_e32 v[4:5], v4
	s_delay_alu instid0(VALU_DEP_2) | instskip(NEXT) | instid1(VALU_DEP_1)
	v_ldexp_f64 v[6:7], v[6:7], 32
	v_add_f64_e32 v[4:5], v[6:7], v[4:5]
	s_branch .LBB102_173
.LBB102_171:
	s_mov_b32 s20, -1
                                        ; implicit-def: $vgpr4_vgpr5
.LBB102_172:
	s_mov_b32 s25, 0
.LBB102_173:
	s_delay_alu instid0(SALU_CYCLE_1)
	s_and_b32 vcc_lo, exec_lo, s25
	s_cbranch_vccz .LBB102_191
; %bb.174:
	s_cmp_lt_i32 s0, 27
	s_cbranch_scc1 .LBB102_177
; %bb.175:
	s_cmp_gt_i32 s0, 27
	s_cbranch_scc0 .LBB102_178
; %bb.176:
	global_load_b32 v4, v[2:3], off
	s_mov_b32 s18, 0
	s_wait_loadcnt 0x0
	v_cvt_f64_u32_e32 v[4:5], v4
	s_branch .LBB102_179
.LBB102_177:
	s_mov_b32 s18, -1
                                        ; implicit-def: $vgpr4_vgpr5
	s_branch .LBB102_182
.LBB102_178:
	s_mov_b32 s18, -1
                                        ; implicit-def: $vgpr4_vgpr5
.LBB102_179:
	s_delay_alu instid0(SALU_CYCLE_1)
	s_and_not1_b32 vcc_lo, exec_lo, s18
	s_cbranch_vccnz .LBB102_181
; %bb.180:
	global_load_u16 v4, v[2:3], off
	s_wait_loadcnt 0x0
	v_cvt_f64_u32_e32 v[4:5], v4
.LBB102_181:
	s_mov_b32 s18, 0
.LBB102_182:
	s_delay_alu instid0(SALU_CYCLE_1)
	s_and_not1_b32 vcc_lo, exec_lo, s18
	s_cbranch_vccnz .LBB102_190
; %bb.183:
	global_load_u8 v6, v[2:3], off
	s_mov_b32 s18, 0
	s_mov_b32 s25, exec_lo
	s_wait_loadcnt 0x0
	v_cmpx_lt_i16_e32 0x7f, v6
	s_xor_b32 s25, exec_lo, s25
	s_cbranch_execz .LBB102_204
; %bb.184:
	s_mov_b32 s18, -1
	s_mov_b32 s26, exec_lo
	v_cmpx_eq_u16_e32 0x80, v6
; %bb.185:
	s_xor_b32 s18, exec_lo, -1
; %bb.186:
	s_or_b32 exec_lo, exec_lo, s26
	s_delay_alu instid0(SALU_CYCLE_1)
	s_and_b32 s18, s18, exec_lo
	s_or_saveexec_b32 s25, s25
	v_mov_b64_e32 v[4:5], 0x7ff8000020000000
	s_xor_b32 exec_lo, exec_lo, s25
	s_cbranch_execnz .LBB102_205
.LBB102_187:
	s_or_b32 exec_lo, exec_lo, s25
	s_and_saveexec_b32 s25, s18
	s_cbranch_execz .LBB102_189
.LBB102_188:
	v_and_b32_e32 v4, 0xffff, v6
	s_delay_alu instid0(VALU_DEP_1) | instskip(SKIP_1) | instid1(VALU_DEP_2)
	v_and_b32_e32 v5, 7, v4
	v_bfe_u32 v9, v4, 3, 4
	v_clz_i32_u32_e32 v7, v5
	s_delay_alu instid0(VALU_DEP_2) | instskip(NEXT) | instid1(VALU_DEP_2)
	v_cmp_eq_u32_e32 vcc_lo, 0, v9
	v_min_u32_e32 v7, 32, v7
	s_delay_alu instid0(VALU_DEP_1) | instskip(NEXT) | instid1(VALU_DEP_1)
	v_subrev_nc_u32_e32 v8, 28, v7
	v_dual_lshlrev_b32 v4, v8, v4 :: v_dual_sub_nc_u32 v7, 29, v7
	s_delay_alu instid0(VALU_DEP_1) | instskip(NEXT) | instid1(VALU_DEP_2)
	v_dual_lshlrev_b32 v6, 24, v6 :: v_dual_bitop2_b32 v4, 7, v4 bitop3:0x40
	v_cndmask_b32_e32 v7, v9, v7, vcc_lo
	s_delay_alu instid0(VALU_DEP_2) | instskip(NEXT) | instid1(VALU_DEP_3)
	v_cndmask_b32_e32 v4, v5, v4, vcc_lo
	v_and_b32_e32 v5, 0x80000000, v6
	s_delay_alu instid0(VALU_DEP_3) | instskip(NEXT) | instid1(VALU_DEP_3)
	v_lshl_add_u32 v6, v7, 23, 0x3b800000
	v_lshlrev_b32_e32 v4, 20, v4
	s_delay_alu instid0(VALU_DEP_1) | instskip(NEXT) | instid1(VALU_DEP_1)
	v_or3_b32 v4, v5, v6, v4
	v_cvt_f64_f32_e32 v[4:5], v4
.LBB102_189:
	s_or_b32 exec_lo, exec_lo, s25
.LBB102_190:
	s_mov_b32 s18, -1
.LBB102_191:
	s_mov_b32 s25, 0
.LBB102_192:
	s_delay_alu instid0(SALU_CYCLE_1)
	s_and_b32 vcc_lo, exec_lo, s25
	s_cbranch_vccz .LBB102_227
; %bb.193:
	s_cmp_gt_i32 s0, 22
	s_cbranch_scc0 .LBB102_203
; %bb.194:
	s_cmp_lt_i32 s0, 24
	s_cbranch_scc1 .LBB102_206
; %bb.195:
	s_cmp_gt_i32 s0, 24
	s_cbranch_scc0 .LBB102_207
; %bb.196:
	global_load_u8 v6, v[2:3], off
	s_mov_b32 s18, 0
	s_mov_b32 s25, exec_lo
	s_wait_loadcnt 0x0
	v_cmpx_lt_i16_e32 0x7f, v6
	s_xor_b32 s25, exec_lo, s25
	s_cbranch_execz .LBB102_219
; %bb.197:
	s_mov_b32 s18, -1
	s_mov_b32 s26, exec_lo
	v_cmpx_eq_u16_e32 0x80, v6
; %bb.198:
	s_xor_b32 s18, exec_lo, -1
; %bb.199:
	s_or_b32 exec_lo, exec_lo, s26
	s_delay_alu instid0(SALU_CYCLE_1)
	s_and_b32 s18, s18, exec_lo
	s_or_saveexec_b32 s25, s25
	v_mov_b64_e32 v[4:5], 0x7ff8000020000000
	s_xor_b32 exec_lo, exec_lo, s25
	s_cbranch_execnz .LBB102_220
.LBB102_200:
	s_or_b32 exec_lo, exec_lo, s25
	s_and_saveexec_b32 s25, s18
	s_cbranch_execz .LBB102_202
.LBB102_201:
	v_and_b32_e32 v4, 0xffff, v6
	s_delay_alu instid0(VALU_DEP_1) | instskip(SKIP_1) | instid1(VALU_DEP_2)
	v_and_b32_e32 v5, 3, v4
	v_bfe_u32 v9, v4, 2, 5
	v_clz_i32_u32_e32 v7, v5
	s_delay_alu instid0(VALU_DEP_2) | instskip(NEXT) | instid1(VALU_DEP_2)
	v_cmp_eq_u32_e32 vcc_lo, 0, v9
	v_min_u32_e32 v7, 32, v7
	s_delay_alu instid0(VALU_DEP_1) | instskip(NEXT) | instid1(VALU_DEP_1)
	v_subrev_nc_u32_e32 v8, 29, v7
	v_dual_lshlrev_b32 v4, v8, v4 :: v_dual_sub_nc_u32 v7, 30, v7
	s_delay_alu instid0(VALU_DEP_1) | instskip(NEXT) | instid1(VALU_DEP_2)
	v_dual_lshlrev_b32 v6, 24, v6 :: v_dual_bitop2_b32 v4, 3, v4 bitop3:0x40
	v_cndmask_b32_e32 v7, v9, v7, vcc_lo
	s_delay_alu instid0(VALU_DEP_2) | instskip(NEXT) | instid1(VALU_DEP_3)
	v_cndmask_b32_e32 v4, v5, v4, vcc_lo
	v_and_b32_e32 v5, 0x80000000, v6
	s_delay_alu instid0(VALU_DEP_3) | instskip(NEXT) | instid1(VALU_DEP_3)
	v_lshl_add_u32 v6, v7, 23, 0x37800000
	v_lshlrev_b32_e32 v4, 21, v4
	s_delay_alu instid0(VALU_DEP_1) | instskip(NEXT) | instid1(VALU_DEP_1)
	v_or3_b32 v4, v5, v6, v4
	v_cvt_f64_f32_e32 v[4:5], v4
.LBB102_202:
	s_or_b32 exec_lo, exec_lo, s25
	s_mov_b32 s18, 0
	s_branch .LBB102_208
.LBB102_203:
	s_mov_b32 s25, -1
                                        ; implicit-def: $vgpr4_vgpr5
	s_branch .LBB102_214
.LBB102_204:
	s_or_saveexec_b32 s25, s25
	v_mov_b64_e32 v[4:5], 0x7ff8000020000000
	s_xor_b32 exec_lo, exec_lo, s25
	s_cbranch_execz .LBB102_187
.LBB102_205:
	v_cmp_ne_u16_e32 vcc_lo, 0, v6
	v_mov_b64_e32 v[4:5], 0
	s_and_not1_b32 s18, s18, exec_lo
	s_and_b32 s26, vcc_lo, exec_lo
	s_delay_alu instid0(SALU_CYCLE_1)
	s_or_b32 s18, s18, s26
	s_or_b32 exec_lo, exec_lo, s25
	s_and_saveexec_b32 s25, s18
	s_cbranch_execnz .LBB102_188
	s_branch .LBB102_189
.LBB102_206:
	s_mov_b32 s18, -1
                                        ; implicit-def: $vgpr4_vgpr5
	s_branch .LBB102_211
.LBB102_207:
	s_mov_b32 s18, -1
                                        ; implicit-def: $vgpr4_vgpr5
.LBB102_208:
	s_delay_alu instid0(SALU_CYCLE_1)
	s_and_b32 vcc_lo, exec_lo, s18
	s_cbranch_vccz .LBB102_210
; %bb.209:
	global_load_u8 v4, v[2:3], off
	s_wait_loadcnt 0x0
	v_lshlrev_b32_e32 v4, 24, v4
	s_delay_alu instid0(VALU_DEP_1) | instskip(NEXT) | instid1(VALU_DEP_1)
	v_and_b32_e32 v5, 0x7f000000, v4
	v_clz_i32_u32_e32 v6, v5
	v_cmp_ne_u32_e32 vcc_lo, 0, v5
	v_add_nc_u32_e32 v8, 0x1000000, v5
	s_delay_alu instid0(VALU_DEP_3) | instskip(NEXT) | instid1(VALU_DEP_1)
	v_min_u32_e32 v6, 32, v6
	v_sub_nc_u32_e64 v6, v6, 4 clamp
	s_delay_alu instid0(VALU_DEP_1) | instskip(NEXT) | instid1(VALU_DEP_1)
	v_dual_lshlrev_b32 v7, v6, v5 :: v_dual_lshlrev_b32 v6, 23, v6
	v_lshrrev_b32_e32 v7, 4, v7
	s_delay_alu instid0(VALU_DEP_1) | instskip(NEXT) | instid1(VALU_DEP_1)
	v_dual_sub_nc_u32 v6, v7, v6 :: v_dual_ashrrev_i32 v7, 8, v8
	v_add_nc_u32_e32 v6, 0x3c000000, v6
	s_delay_alu instid0(VALU_DEP_1) | instskip(NEXT) | instid1(VALU_DEP_1)
	v_and_or_b32 v6, 0x7f800000, v7, v6
	v_cndmask_b32_e32 v5, 0, v6, vcc_lo
	s_delay_alu instid0(VALU_DEP_1) | instskip(NEXT) | instid1(VALU_DEP_1)
	v_and_or_b32 v4, 0x80000000, v4, v5
	v_cvt_f64_f32_e32 v[4:5], v4
.LBB102_210:
	s_mov_b32 s18, 0
.LBB102_211:
	s_delay_alu instid0(SALU_CYCLE_1)
	s_and_not1_b32 vcc_lo, exec_lo, s18
	s_cbranch_vccnz .LBB102_213
; %bb.212:
	global_load_u8 v4, v[2:3], off
	s_wait_loadcnt 0x0
	v_lshlrev_b32_e32 v5, 25, v4
	v_lshlrev_b16 v4, 8, v4
	s_delay_alu instid0(VALU_DEP_1) | instskip(SKIP_1) | instid1(VALU_DEP_2)
	v_and_or_b32 v7, 0x7f00, v4, 0.5
	v_bfe_i32 v4, v4, 0, 16
	v_dual_add_f32 v7, -0.5, v7 :: v_dual_lshrrev_b32 v6, 4, v5
	v_cmp_gt_u32_e32 vcc_lo, 0x8000000, v5
	s_delay_alu instid0(VALU_DEP_2) | instskip(NEXT) | instid1(VALU_DEP_1)
	v_or_b32_e32 v6, 0x70000000, v6
	v_mul_f32_e32 v6, 0x7800000, v6
	s_delay_alu instid0(VALU_DEP_1) | instskip(NEXT) | instid1(VALU_DEP_1)
	v_cndmask_b32_e32 v5, v6, v7, vcc_lo
	v_and_or_b32 v4, 0x80000000, v4, v5
	s_delay_alu instid0(VALU_DEP_1)
	v_cvt_f64_f32_e32 v[4:5], v4
.LBB102_213:
	s_mov_b32 s25, 0
	s_mov_b32 s18, -1
.LBB102_214:
	s_and_not1_b32 vcc_lo, exec_lo, s25
	s_cbranch_vccnz .LBB102_227
; %bb.215:
	s_cmp_gt_i32 s0, 14
	s_cbranch_scc0 .LBB102_218
; %bb.216:
	s_cmp_eq_u32 s0, 15
	s_cbranch_scc0 .LBB102_221
; %bb.217:
	global_load_u16 v4, v[2:3], off
	s_mov_b32 s18, -1
	s_mov_b32 s20, 0
	s_wait_loadcnt 0x0
	v_lshlrev_b32_e32 v4, 16, v4
	s_delay_alu instid0(VALU_DEP_1)
	v_cvt_f64_f32_e32 v[4:5], v4
	s_branch .LBB102_222
.LBB102_218:
	s_mov_b32 s25, -1
                                        ; implicit-def: $vgpr4_vgpr5
	s_branch .LBB102_223
.LBB102_219:
	s_or_saveexec_b32 s25, s25
	v_mov_b64_e32 v[4:5], 0x7ff8000020000000
	s_xor_b32 exec_lo, exec_lo, s25
	s_cbranch_execz .LBB102_200
.LBB102_220:
	v_cmp_ne_u16_e32 vcc_lo, 0, v6
	v_mov_b64_e32 v[4:5], 0
	s_and_not1_b32 s18, s18, exec_lo
	s_and_b32 s26, vcc_lo, exec_lo
	s_delay_alu instid0(SALU_CYCLE_1)
	s_or_b32 s18, s18, s26
	s_or_b32 exec_lo, exec_lo, s25
	s_and_saveexec_b32 s25, s18
	s_cbranch_execnz .LBB102_201
	s_branch .LBB102_202
.LBB102_221:
	s_mov_b32 s20, -1
                                        ; implicit-def: $vgpr4_vgpr5
.LBB102_222:
	s_mov_b32 s25, 0
.LBB102_223:
	s_delay_alu instid0(SALU_CYCLE_1)
	s_and_b32 vcc_lo, exec_lo, s25
	s_cbranch_vccz .LBB102_227
; %bb.224:
	s_cmp_eq_u32 s0, 11
	s_cbranch_scc0 .LBB102_226
; %bb.225:
	global_load_u8 v4, v[2:3], off
	s_mov_b32 s20, 0
	s_mov_b32 s18, -1
	s_wait_loadcnt 0x0
	v_cmp_ne_u16_e32 vcc_lo, 0, v4
	v_mov_b32_e32 v4, 0
	v_cndmask_b32_e64 v5, 0, 0x3ff00000, vcc_lo
	s_branch .LBB102_227
.LBB102_226:
	s_mov_b32 s20, -1
                                        ; implicit-def: $vgpr4_vgpr5
.LBB102_227:
	s_mov_b32 s25, 0
.LBB102_228:
	s_delay_alu instid0(SALU_CYCLE_1)
	s_and_b32 vcc_lo, exec_lo, s25
	s_cbranch_vccz .LBB102_277
; %bb.229:
	s_cmp_lt_i32 s0, 5
	s_cbranch_scc1 .LBB102_234
; %bb.230:
	s_cmp_lt_i32 s0, 8
	s_cbranch_scc1 .LBB102_235
	;; [unrolled: 3-line block ×3, first 2 shown]
; %bb.232:
	s_cmp_gt_i32 s0, 9
	s_cbranch_scc0 .LBB102_237
; %bb.233:
	global_load_b64 v[4:5], v[2:3], off
	s_mov_b32 s18, 0
	s_branch .LBB102_238
.LBB102_234:
	s_mov_b32 s18, -1
                                        ; implicit-def: $vgpr4_vgpr5
	s_branch .LBB102_256
.LBB102_235:
	s_mov_b32 s18, -1
                                        ; implicit-def: $vgpr4_vgpr5
	s_branch .LBB102_244
.LBB102_236:
	s_mov_b32 s18, -1
                                        ; implicit-def: $vgpr4_vgpr5
	s_branch .LBB102_241
.LBB102_237:
	s_mov_b32 s18, -1
                                        ; implicit-def: $vgpr4_vgpr5
.LBB102_238:
	s_delay_alu instid0(SALU_CYCLE_1)
	s_and_not1_b32 vcc_lo, exec_lo, s18
	s_cbranch_vccnz .LBB102_240
; %bb.239:
	s_wait_loadcnt 0x0
	global_load_b32 v4, v[2:3], off
	s_wait_loadcnt 0x0
	v_cvt_f64_f32_e32 v[4:5], v4
.LBB102_240:
	s_mov_b32 s18, 0
.LBB102_241:
	s_delay_alu instid0(SALU_CYCLE_1)
	s_and_not1_b32 vcc_lo, exec_lo, s18
	s_cbranch_vccnz .LBB102_243
; %bb.242:
	s_wait_loadcnt 0x0
	global_load_b32 v4, v[2:3], off
	s_wait_loadcnt 0x0
	v_cvt_f32_f16_e32 v4, v4
	s_delay_alu instid0(VALU_DEP_1)
	v_cvt_f64_f32_e32 v[4:5], v4
.LBB102_243:
	s_mov_b32 s18, 0
.LBB102_244:
	s_delay_alu instid0(SALU_CYCLE_1)
	s_and_not1_b32 vcc_lo, exec_lo, s18
	s_cbranch_vccnz .LBB102_255
; %bb.245:
	s_cmp_lt_i32 s0, 6
	s_cbranch_scc1 .LBB102_248
; %bb.246:
	s_cmp_gt_i32 s0, 6
	s_cbranch_scc0 .LBB102_249
; %bb.247:
	s_wait_loadcnt 0x0
	global_load_b64 v[4:5], v[2:3], off
	s_mov_b32 s18, 0
	s_branch .LBB102_250
.LBB102_248:
	s_mov_b32 s18, -1
                                        ; implicit-def: $vgpr4_vgpr5
	s_branch .LBB102_253
.LBB102_249:
	s_mov_b32 s18, -1
                                        ; implicit-def: $vgpr4_vgpr5
.LBB102_250:
	s_delay_alu instid0(SALU_CYCLE_1)
	s_and_not1_b32 vcc_lo, exec_lo, s18
	s_cbranch_vccnz .LBB102_252
; %bb.251:
	s_wait_loadcnt 0x0
	global_load_b32 v4, v[2:3], off
	s_wait_loadcnt 0x0
	v_cvt_f64_f32_e32 v[4:5], v4
.LBB102_252:
	s_mov_b32 s18, 0
.LBB102_253:
	s_delay_alu instid0(SALU_CYCLE_1)
	s_and_not1_b32 vcc_lo, exec_lo, s18
	s_cbranch_vccnz .LBB102_255
; %bb.254:
	s_wait_loadcnt 0x0
	global_load_u16 v4, v[2:3], off
	s_wait_loadcnt 0x0
	v_cvt_f32_f16_e32 v4, v4
	s_delay_alu instid0(VALU_DEP_1)
	v_cvt_f64_f32_e32 v[4:5], v4
.LBB102_255:
	s_mov_b32 s18, 0
.LBB102_256:
	s_delay_alu instid0(SALU_CYCLE_1)
	s_and_not1_b32 vcc_lo, exec_lo, s18
	s_cbranch_vccnz .LBB102_276
; %bb.257:
	s_cmp_lt_i32 s0, 2
	s_cbranch_scc1 .LBB102_261
; %bb.258:
	s_cmp_lt_i32 s0, 3
	s_cbranch_scc1 .LBB102_262
; %bb.259:
	s_cmp_gt_i32 s0, 3
	s_cbranch_scc0 .LBB102_263
; %bb.260:
	s_wait_loadcnt 0x0
	global_load_b64 v[4:5], v[2:3], off
	s_mov_b32 s18, 0
	s_wait_loadcnt 0x0
	v_cvt_f64_i32_e32 v[6:7], v5
	v_cvt_f64_u32_e32 v[4:5], v4
	s_delay_alu instid0(VALU_DEP_2) | instskip(NEXT) | instid1(VALU_DEP_1)
	v_ldexp_f64 v[6:7], v[6:7], 32
	v_add_f64_e32 v[4:5], v[6:7], v[4:5]
	s_branch .LBB102_264
.LBB102_261:
	s_mov_b32 s18, -1
                                        ; implicit-def: $vgpr4_vgpr5
	s_branch .LBB102_270
.LBB102_262:
	s_mov_b32 s18, -1
                                        ; implicit-def: $vgpr4_vgpr5
	s_branch .LBB102_267
.LBB102_263:
	s_mov_b32 s18, -1
                                        ; implicit-def: $vgpr4_vgpr5
.LBB102_264:
	s_delay_alu instid0(SALU_CYCLE_1)
	s_and_not1_b32 vcc_lo, exec_lo, s18
	s_cbranch_vccnz .LBB102_266
; %bb.265:
	s_wait_loadcnt 0x0
	global_load_b32 v4, v[2:3], off
	s_wait_loadcnt 0x0
	v_cvt_f64_i32_e32 v[4:5], v4
.LBB102_266:
	s_mov_b32 s18, 0
.LBB102_267:
	s_delay_alu instid0(SALU_CYCLE_1)
	s_and_not1_b32 vcc_lo, exec_lo, s18
	s_cbranch_vccnz .LBB102_269
; %bb.268:
	s_wait_loadcnt 0x0
	global_load_i16 v4, v[2:3], off
	s_wait_loadcnt 0x0
	v_cvt_f64_i32_e32 v[4:5], v4
.LBB102_269:
	s_mov_b32 s18, 0
.LBB102_270:
	s_delay_alu instid0(SALU_CYCLE_1)
	s_and_not1_b32 vcc_lo, exec_lo, s18
	s_cbranch_vccnz .LBB102_276
; %bb.271:
	s_cmp_gt_i32 s0, 0
	s_mov_b32 s0, 0
	s_cbranch_scc0 .LBB102_273
; %bb.272:
	s_wait_loadcnt 0x0
	global_load_i8 v4, v[2:3], off
	s_wait_loadcnt 0x0
	v_cvt_f64_i32_e32 v[4:5], v4
	s_branch .LBB102_274
.LBB102_273:
	s_mov_b32 s0, -1
                                        ; implicit-def: $vgpr4_vgpr5
.LBB102_274:
	s_delay_alu instid0(SALU_CYCLE_1)
	s_and_not1_b32 vcc_lo, exec_lo, s0
	s_cbranch_vccnz .LBB102_276
; %bb.275:
	global_load_u8 v2, v[2:3], off
	s_wait_loadcnt 0x0
	v_cvt_f64_u32_e32 v[4:5], v2
.LBB102_276:
	s_mov_b32 s18, -1
.LBB102_277:
	s_delay_alu instid0(SALU_CYCLE_1)
	s_and_not1_b32 vcc_lo, exec_lo, s18
	s_cbranch_vccnz .LBB102_285
; %bb.278:
	s_wait_xcnt 0x0
	v_mul_lo_u32 v2, v18, s12
	s_wait_loadcnt 0x0
	v_mul_f64_e32 v[0:1], s[6:7], v[0:1]
	s_and_b32 s18, s13, 0xff
	s_delay_alu instid0(SALU_CYCLE_1) | instskip(NEXT) | instid1(VALU_DEP_1)
	s_cmp_lt_i32 s18, 11
	v_dual_mul_f64 v[0:1], v[0:1], v[4:5] :: v_dual_ashrrev_i32 v3, 31, v2
	s_delay_alu instid0(VALU_DEP_1)
	v_add_nc_u64_e32 v[4:5], s[2:3], v[2:3]
	s_cbranch_scc1 .LBB102_286
; %bb.279:
	s_and_b32 s25, 0xffff, s18
	s_delay_alu instid0(SALU_CYCLE_1)
	s_cmp_gt_i32 s25, 25
	s_cbranch_scc0 .LBB102_287
; %bb.280:
	s_cmp_gt_i32 s25, 28
	s_cbranch_scc0 .LBB102_288
; %bb.281:
	s_cmp_gt_i32 s25, 43
	s_cbranch_scc0 .LBB102_289
; %bb.282:
	s_cmp_gt_i32 s25, 45
	s_cbranch_scc0 .LBB102_290
; %bb.283:
	s_mov_b32 s27, 0
	s_mov_b32 s0, -1
	s_cmp_eq_u32 s25, 46
	s_mov_b32 s26, 0
	s_cbranch_scc0 .LBB102_291
; %bb.284:
	s_delay_alu instid0(VALU_DEP_2) | instskip(SKIP_2) | instid1(VALU_DEP_1)
	v_cvt_f32_f64_e32 v2, v[0:1]
	s_mov_b32 s26, -1
	s_mov_b32 s0, 0
	v_bfe_u32 v3, v2, 16, 1
	v_cmp_o_f32_e32 vcc_lo, v2, v2
	s_delay_alu instid0(VALU_DEP_2) | instskip(NEXT) | instid1(VALU_DEP_1)
	v_add3_u32 v3, v2, v3, 0x7fff
	v_lshrrev_b32_e32 v3, 16, v3
	s_delay_alu instid0(VALU_DEP_1)
	v_cndmask_b32_e32 v2, 0x7fc0, v3, vcc_lo
	global_store_b32 v[4:5], v2, off
	s_branch .LBB102_291
.LBB102_285:
	s_mov_b32 s0, 0
	s_mov_b32 s25, 0
                                        ; implicit-def: $vgpr18
	s_branch .LBB102_401
.LBB102_286:
	s_mov_b32 s25, -1
	s_mov_b32 s0, 0
	s_mov_b32 s26, 0
	s_branch .LBB102_360
.LBB102_287:
	s_mov_b32 s27, -1
	s_mov_b32 s0, 0
	s_mov_b32 s26, 0
	s_branch .LBB102_318
.LBB102_288:
	s_mov_b32 s27, -1
	s_mov_b32 s0, 0
	s_mov_b32 s26, 0
	s_branch .LBB102_301
.LBB102_289:
	s_mov_b32 s27, -1
	s_mov_b32 s0, 0
	s_mov_b32 s26, 0
	s_branch .LBB102_297
.LBB102_290:
	s_mov_b32 s27, -1
	s_mov_b32 s0, 0
	s_mov_b32 s26, 0
.LBB102_291:
	s_and_b32 vcc_lo, exec_lo, s27
	s_cbranch_vccz .LBB102_296
; %bb.292:
	s_cmp_eq_u32 s25, 44
	s_mov_b32 s0, -1
	s_cbranch_scc0 .LBB102_296
; %bb.293:
	s_wait_xcnt 0x0
	s_delay_alu instid0(VALU_DEP_2) | instskip(SKIP_2) | instid1(VALU_DEP_2)
	v_cvt_f32_f64_e32 v2, v[0:1]
	v_mov_b32_e32 v3, 0xff
	s_mov_b32 s26, exec_lo
	v_bfe_u32 v6, v2, 23, 8
	s_delay_alu instid0(VALU_DEP_1)
	v_cmpx_ne_u32_e32 0xff, v6
	s_cbranch_execz .LBB102_295
; %bb.294:
	v_and_b32_e32 v3, 0x400000, v2
	v_and_or_b32 v6, 0x3fffff, v2, v6
	v_lshrrev_b32_e32 v2, 23, v2
	s_delay_alu instid0(VALU_DEP_3) | instskip(NEXT) | instid1(VALU_DEP_3)
	v_cmp_ne_u32_e32 vcc_lo, 0, v3
	v_cmp_ne_u32_e64 s0, 0, v6
	s_and_b32 s0, vcc_lo, s0
	s_delay_alu instid0(SALU_CYCLE_1) | instskip(NEXT) | instid1(VALU_DEP_1)
	v_cndmask_b32_e64 v3, 0, 1, s0
	v_add_nc_u32_e32 v3, v2, v3
.LBB102_295:
	s_or_b32 exec_lo, exec_lo, s26
	s_mov_b32 s26, -1
	s_mov_b32 s0, 0
	global_store_b8 v[4:5], v3, off
.LBB102_296:
	s_mov_b32 s27, 0
.LBB102_297:
	s_delay_alu instid0(SALU_CYCLE_1)
	s_and_b32 vcc_lo, exec_lo, s27
	s_cbranch_vccz .LBB102_300
; %bb.298:
	s_cmp_eq_u32 s25, 29
	s_mov_b32 s0, -1
	s_cbranch_scc0 .LBB102_300
; %bb.299:
	s_wait_xcnt 0x0
	s_delay_alu instid0(VALU_DEP_2) | instskip(SKIP_3) | instid1(VALU_DEP_1)
	v_trunc_f64_e32 v[2:3], v[0:1]
	s_mov_b32 s26, -1
	s_mov_b32 s0, 0
	s_mov_b32 s27, 0
	v_ldexp_f64 v[6:7], v[2:3], 0xffffffe0
	s_delay_alu instid0(VALU_DEP_1) | instskip(NEXT) | instid1(VALU_DEP_1)
	v_floor_f64_e32 v[6:7], v[6:7]
	v_fmamk_f64 v[2:3], v[6:7], 0xc1f00000, v[2:3]
	v_cvt_u32_f64_e32 v7, v[6:7]
	s_delay_alu instid0(VALU_DEP_2)
	v_cvt_u32_f64_e32 v6, v[2:3]
	global_store_b64 v[4:5], v[6:7], off
	s_branch .LBB102_301
.LBB102_300:
	s_mov_b32 s27, 0
.LBB102_301:
	s_delay_alu instid0(SALU_CYCLE_1)
	s_and_b32 vcc_lo, exec_lo, s27
	s_cbranch_vccz .LBB102_317
; %bb.302:
	s_cmp_lt_i32 s25, 27
	s_mov_b32 s26, -1
	s_cbranch_scc1 .LBB102_308
; %bb.303:
	s_wait_xcnt 0x0
	s_delay_alu instid0(VALU_DEP_2)
	v_cvt_u32_f64_e32 v2, v[0:1]
	s_cmp_gt_i32 s25, 27
	s_cbranch_scc0 .LBB102_305
; %bb.304:
	s_mov_b32 s26, 0
	global_store_b32 v[4:5], v2, off
.LBB102_305:
	s_and_not1_b32 vcc_lo, exec_lo, s26
	s_cbranch_vccnz .LBB102_307
; %bb.306:
	global_store_b16 v[4:5], v2, off
.LBB102_307:
	s_mov_b32 s26, 0
.LBB102_308:
	s_delay_alu instid0(SALU_CYCLE_1)
	s_and_not1_b32 vcc_lo, exec_lo, s26
	s_cbranch_vccnz .LBB102_316
; %bb.309:
	s_wait_xcnt 0x0
	s_delay_alu instid0(VALU_DEP_2) | instskip(SKIP_2) | instid1(VALU_DEP_2)
	v_cvt_f32_f64_e32 v2, v[0:1]
	v_mov_b32_e32 v6, 0x80
	s_mov_b32 s26, exec_lo
	v_and_b32_e32 v3, 0x7fffffff, v2
	s_delay_alu instid0(VALU_DEP_1)
	v_cmpx_gt_u32_e32 0x43800000, v3
	s_cbranch_execz .LBB102_315
; %bb.310:
	v_cmp_lt_u32_e32 vcc_lo, 0x3bffffff, v3
	s_mov_b32 s27, 0
                                        ; implicit-def: $vgpr3
	s_and_saveexec_b32 s28, vcc_lo
	s_delay_alu instid0(SALU_CYCLE_1)
	s_xor_b32 s28, exec_lo, s28
	s_cbranch_execz .LBB102_436
; %bb.311:
	v_bfe_u32 v3, v2, 20, 1
	s_mov_b32 s27, exec_lo
	s_delay_alu instid0(VALU_DEP_1) | instskip(NEXT) | instid1(VALU_DEP_1)
	v_add3_u32 v3, v2, v3, 0x487ffff
	v_lshrrev_b32_e32 v3, 20, v3
	s_and_not1_saveexec_b32 s28, s28
	s_cbranch_execnz .LBB102_437
.LBB102_312:
	s_or_b32 exec_lo, exec_lo, s28
	v_mov_b32_e32 v6, 0
	s_and_saveexec_b32 s28, s27
.LBB102_313:
	v_lshrrev_b32_e32 v2, 24, v2
	s_delay_alu instid0(VALU_DEP_1)
	v_and_or_b32 v6, 0x80, v2, v3
.LBB102_314:
	s_or_b32 exec_lo, exec_lo, s28
.LBB102_315:
	s_delay_alu instid0(SALU_CYCLE_1)
	s_or_b32 exec_lo, exec_lo, s26
	global_store_b8 v[4:5], v6, off
.LBB102_316:
	s_mov_b32 s26, -1
.LBB102_317:
	s_mov_b32 s27, 0
.LBB102_318:
	s_delay_alu instid0(SALU_CYCLE_1)
	s_and_b32 vcc_lo, exec_lo, s27
	s_cbranch_vccz .LBB102_359
; %bb.319:
	s_cmp_gt_i32 s25, 22
	s_mov_b32 s27, -1
	s_cbranch_scc0 .LBB102_351
; %bb.320:
	s_cmp_lt_i32 s25, 24
	s_mov_b32 s26, -1
	s_cbranch_scc1 .LBB102_340
; %bb.321:
	s_cmp_gt_i32 s25, 24
	s_cbranch_scc0 .LBB102_329
; %bb.322:
	s_wait_xcnt 0x0
	s_delay_alu instid0(VALU_DEP_2) | instskip(SKIP_2) | instid1(VALU_DEP_2)
	v_cvt_f32_f64_e32 v2, v[0:1]
	v_mov_b32_e32 v6, 0x80
	s_mov_b32 s26, exec_lo
	v_and_b32_e32 v3, 0x7fffffff, v2
	s_delay_alu instid0(VALU_DEP_1)
	v_cmpx_gt_u32_e32 0x47800000, v3
	s_cbranch_execz .LBB102_328
; %bb.323:
	v_cmp_lt_u32_e32 vcc_lo, 0x37ffffff, v3
	s_mov_b32 s27, 0
                                        ; implicit-def: $vgpr3
	s_and_saveexec_b32 s28, vcc_lo
	s_delay_alu instid0(SALU_CYCLE_1)
	s_xor_b32 s28, exec_lo, s28
	s_cbranch_execz .LBB102_567
; %bb.324:
	v_bfe_u32 v3, v2, 21, 1
	s_mov_b32 s27, exec_lo
	s_delay_alu instid0(VALU_DEP_1) | instskip(NEXT) | instid1(VALU_DEP_1)
	v_add3_u32 v3, v2, v3, 0x88fffff
	v_lshrrev_b32_e32 v3, 21, v3
	s_and_not1_saveexec_b32 s28, s28
	s_cbranch_execnz .LBB102_568
.LBB102_325:
	s_or_b32 exec_lo, exec_lo, s28
	v_mov_b32_e32 v6, 0
	s_and_saveexec_b32 s28, s27
.LBB102_326:
	v_lshrrev_b32_e32 v2, 24, v2
	s_delay_alu instid0(VALU_DEP_1)
	v_and_or_b32 v6, 0x80, v2, v3
.LBB102_327:
	s_or_b32 exec_lo, exec_lo, s28
.LBB102_328:
	s_delay_alu instid0(SALU_CYCLE_1)
	s_or_b32 exec_lo, exec_lo, s26
	s_mov_b32 s26, 0
	global_store_b8 v[4:5], v6, off
.LBB102_329:
	s_and_b32 vcc_lo, exec_lo, s26
	s_cbranch_vccz .LBB102_339
; %bb.330:
	s_wait_xcnt 0x0
	s_delay_alu instid0(VALU_DEP_2) | instskip(SKIP_1) | instid1(VALU_DEP_1)
	v_cvt_f32_f64_e32 v2, v[0:1]
	s_mov_b32 s26, exec_lo
                                        ; implicit-def: $vgpr3
	v_and_b32_e32 v6, 0x7fffffff, v2
	s_delay_alu instid0(VALU_DEP_1)
	v_cmpx_gt_u32_e32 0x43f00000, v6
	s_xor_b32 s26, exec_lo, s26
	s_cbranch_execz .LBB102_336
; %bb.331:
	s_mov_b32 s27, exec_lo
                                        ; implicit-def: $vgpr3
	v_cmpx_lt_u32_e32 0x3c7fffff, v6
	s_xor_b32 s27, exec_lo, s27
; %bb.332:
	v_bfe_u32 v3, v2, 20, 1
	s_delay_alu instid0(VALU_DEP_1) | instskip(NEXT) | instid1(VALU_DEP_1)
	v_add3_u32 v3, v2, v3, 0x407ffff
	v_and_b32_e32 v6, 0xff00000, v3
	v_lshrrev_b32_e32 v3, 20, v3
	s_delay_alu instid0(VALU_DEP_2) | instskip(NEXT) | instid1(VALU_DEP_2)
	v_cmp_ne_u32_e32 vcc_lo, 0x7f00000, v6
	v_cndmask_b32_e32 v3, 0x7e, v3, vcc_lo
; %bb.333:
	s_and_not1_saveexec_b32 s27, s27
; %bb.334:
	v_add_f32_e64 v3, 0x46800000, |v2|
; %bb.335:
	s_or_b32 exec_lo, exec_lo, s27
                                        ; implicit-def: $vgpr6
.LBB102_336:
	s_and_not1_saveexec_b32 s26, s26
; %bb.337:
	v_mov_b32_e32 v3, 0x7f
	v_cmp_lt_u32_e32 vcc_lo, 0x7f800000, v6
	s_delay_alu instid0(VALU_DEP_2)
	v_cndmask_b32_e32 v3, 0x7e, v3, vcc_lo
; %bb.338:
	s_or_b32 exec_lo, exec_lo, s26
	v_lshrrev_b32_e32 v2, 24, v2
	s_delay_alu instid0(VALU_DEP_1)
	v_and_or_b32 v2, 0x80, v2, v3
	global_store_b8 v[4:5], v2, off
.LBB102_339:
	s_mov_b32 s26, 0
.LBB102_340:
	s_delay_alu instid0(SALU_CYCLE_1)
	s_and_not1_b32 vcc_lo, exec_lo, s26
	s_cbranch_vccnz .LBB102_350
; %bb.341:
	s_wait_xcnt 0x0
	s_delay_alu instid0(VALU_DEP_2) | instskip(SKIP_1) | instid1(VALU_DEP_1)
	v_cvt_f32_f64_e32 v2, v[0:1]
	s_mov_b32 s26, exec_lo
                                        ; implicit-def: $vgpr3
	v_and_b32_e32 v6, 0x7fffffff, v2
	s_delay_alu instid0(VALU_DEP_1)
	v_cmpx_gt_u32_e32 0x47800000, v6
	s_xor_b32 s26, exec_lo, s26
	s_cbranch_execz .LBB102_347
; %bb.342:
	s_mov_b32 s27, exec_lo
                                        ; implicit-def: $vgpr3
	v_cmpx_lt_u32_e32 0x387fffff, v6
	s_xor_b32 s27, exec_lo, s27
; %bb.343:
	v_bfe_u32 v3, v2, 21, 1
	s_delay_alu instid0(VALU_DEP_1) | instskip(NEXT) | instid1(VALU_DEP_1)
	v_add3_u32 v3, v2, v3, 0x80fffff
	v_lshrrev_b32_e32 v3, 21, v3
; %bb.344:
	s_and_not1_saveexec_b32 s27, s27
; %bb.345:
	v_add_f32_e64 v3, 0x43000000, |v2|
; %bb.346:
	s_or_b32 exec_lo, exec_lo, s27
                                        ; implicit-def: $vgpr6
.LBB102_347:
	s_and_not1_saveexec_b32 s26, s26
; %bb.348:
	v_mov_b32_e32 v3, 0x7f
	v_cmp_lt_u32_e32 vcc_lo, 0x7f800000, v6
	s_delay_alu instid0(VALU_DEP_2)
	v_cndmask_b32_e32 v3, 0x7c, v3, vcc_lo
; %bb.349:
	s_or_b32 exec_lo, exec_lo, s26
	v_lshrrev_b32_e32 v2, 24, v2
	s_delay_alu instid0(VALU_DEP_1)
	v_and_or_b32 v2, 0x80, v2, v3
	global_store_b8 v[4:5], v2, off
.LBB102_350:
	s_mov_b32 s27, 0
	s_mov_b32 s26, -1
.LBB102_351:
	s_and_not1_b32 vcc_lo, exec_lo, s27
	s_cbranch_vccnz .LBB102_359
; %bb.352:
	s_cmp_gt_i32 s25, 14
	s_mov_b32 s27, -1
	s_cbranch_scc0 .LBB102_356
; %bb.353:
	s_cmp_eq_u32 s25, 15
	s_mov_b32 s0, -1
	s_cbranch_scc0 .LBB102_355
; %bb.354:
	s_wait_xcnt 0x0
	s_delay_alu instid0(VALU_DEP_2) | instskip(SKIP_2) | instid1(VALU_DEP_1)
	v_cvt_f32_f64_e32 v2, v[0:1]
	s_mov_b32 s26, -1
	s_mov_b32 s0, 0
	v_bfe_u32 v3, v2, 16, 1
	v_cmp_o_f32_e32 vcc_lo, v2, v2
	s_delay_alu instid0(VALU_DEP_2) | instskip(NEXT) | instid1(VALU_DEP_1)
	v_add3_u32 v3, v2, v3, 0x7fff
	v_lshrrev_b32_e32 v3, 16, v3
	s_delay_alu instid0(VALU_DEP_1)
	v_cndmask_b32_e32 v2, 0x7fc0, v3, vcc_lo
	global_store_b16 v[4:5], v2, off
.LBB102_355:
	s_mov_b32 s27, 0
.LBB102_356:
	s_delay_alu instid0(SALU_CYCLE_1)
	s_and_b32 vcc_lo, exec_lo, s27
	s_cbranch_vccz .LBB102_359
; %bb.357:
	s_cmp_eq_u32 s25, 11
	s_mov_b32 s0, -1
	s_cbranch_scc0 .LBB102_359
; %bb.358:
	s_delay_alu instid0(VALU_DEP_2)
	v_cmp_neq_f64_e32 vcc_lo, 0, v[0:1]
	s_mov_b32 s26, -1
	s_mov_b32 s0, 0
	s_wait_xcnt 0x0
	v_cndmask_b32_e64 v2, 0, 1, vcc_lo
	global_store_b8 v[4:5], v2, off
.LBB102_359:
	s_mov_b32 s25, 0
.LBB102_360:
	s_delay_alu instid0(SALU_CYCLE_1)
	s_and_b32 vcc_lo, exec_lo, s25
	s_cbranch_vccz .LBB102_399
; %bb.361:
	s_and_b32 s18, 0xffff, s18
	s_mov_b32 s25, -1
	s_cmp_lt_i32 s18, 5
	s_cbranch_scc1 .LBB102_382
; %bb.362:
	s_cmp_lt_i32 s18, 8
	s_cbranch_scc1 .LBB102_372
; %bb.363:
	;; [unrolled: 3-line block ×3, first 2 shown]
	s_cmp_gt_i32 s18, 9
	s_cbranch_scc0 .LBB102_366
; %bb.365:
	s_wait_xcnt 0x0
	v_mov_b32_e32 v2, 0
	s_mov_b32 s25, 0
	s_delay_alu instid0(VALU_DEP_1)
	v_mov_b32_e32 v3, v2
	global_store_b128 v[4:5], v[0:3], off
.LBB102_366:
	s_and_not1_b32 vcc_lo, exec_lo, s25
	s_cbranch_vccnz .LBB102_368
; %bb.367:
	s_wait_xcnt 0x0
	s_delay_alu instid0(VALU_DEP_2)
	v_cvt_f32_f64_e32 v2, v[0:1]
	v_mov_b32_e32 v3, 0
	global_store_b64 v[4:5], v[2:3], off
.LBB102_368:
	s_mov_b32 s25, 0
.LBB102_369:
	s_delay_alu instid0(SALU_CYCLE_1)
	s_and_not1_b32 vcc_lo, exec_lo, s25
	s_cbranch_vccnz .LBB102_371
; %bb.370:
	s_wait_xcnt 0x0
	s_delay_alu instid0(VALU_DEP_2) | instskip(SKIP_2) | instid1(VALU_DEP_3)
	v_and_or_b32 v2, 0x1ff, v1, v0
	v_lshrrev_b32_e32 v3, 8, v1
	v_bfe_u32 v6, v1, 20, 11
	v_cmp_ne_u32_e32 vcc_lo, 0, v2
	s_delay_alu instid0(VALU_DEP_2) | instskip(SKIP_1) | instid1(VALU_DEP_1)
	v_sub_nc_u32_e32 v7, 0x3f1, v6
	v_cndmask_b32_e64 v2, 0, 1, vcc_lo
	v_and_or_b32 v2, 0xffe, v3, v2
	s_delay_alu instid0(VALU_DEP_3) | instskip(NEXT) | instid1(VALU_DEP_2)
	v_med3_i32 v3, v7, 0, 13
	v_or_b32_e32 v7, 0x1000, v2
	s_delay_alu instid0(VALU_DEP_1) | instskip(NEXT) | instid1(VALU_DEP_1)
	v_lshrrev_b32_e32 v8, v3, v7
	v_lshlrev_b32_e32 v3, v3, v8
	s_delay_alu instid0(VALU_DEP_1) | instskip(SKIP_1) | instid1(VALU_DEP_1)
	v_cmp_ne_u32_e32 vcc_lo, v3, v7
	v_cndmask_b32_e64 v3, 0, 1, vcc_lo
	v_or_b32_e32 v3, v8, v3
	v_add_nc_u32_e32 v6, 0xfffffc10, v6
	s_delay_alu instid0(VALU_DEP_1) | instskip(SKIP_1) | instid1(VALU_DEP_2)
	v_lshl_or_b32 v7, v6, 12, v2
	v_cmp_gt_i32_e32 vcc_lo, 1, v6
	v_cndmask_b32_e32 v3, v7, v3, vcc_lo
	s_delay_alu instid0(VALU_DEP_1) | instskip(NEXT) | instid1(VALU_DEP_1)
	v_dual_lshrrev_b32 v3, 2, v3 :: v_dual_bitop2_b32 v7, 7, v3 bitop3:0x40
	v_cmp_lt_i32_e32 vcc_lo, 5, v7
	v_cndmask_b32_e64 v8, 0, 1, vcc_lo
	v_cmp_eq_u32_e32 vcc_lo, 3, v7
	v_cndmask_b32_e64 v7, 0, 1, vcc_lo
	v_cmp_ne_u32_e32 vcc_lo, 0, v2
	s_delay_alu instid0(VALU_DEP_2) | instskip(NEXT) | instid1(VALU_DEP_1)
	v_or_b32_e32 v7, v7, v8
	v_dual_mov_b32 v8, 0x7e00 :: v_dual_add_nc_u32 v3, v3, v7
	s_delay_alu instid0(VALU_DEP_1) | instskip(SKIP_2) | instid1(VALU_DEP_4)
	v_cndmask_b32_e32 v2, 0x7c00, v8, vcc_lo
	v_cmp_gt_i32_e32 vcc_lo, 31, v6
	v_lshrrev_b32_e32 v7, 16, v1
	v_cndmask_b32_e32 v3, 0x7c00, v3, vcc_lo
	v_cmp_eq_u32_e32 vcc_lo, 0x40f, v6
	s_delay_alu instid0(VALU_DEP_2) | instskip(NEXT) | instid1(VALU_DEP_4)
	v_cndmask_b32_e32 v2, v3, v2, vcc_lo
	v_and_b32_e32 v3, 0x8000, v7
	s_delay_alu instid0(VALU_DEP_1)
	v_bitop3_b32 v2, v3, 0xffff, v2 bitop3:0xc8
	global_store_b32 v[4:5], v2, off
.LBB102_371:
	s_mov_b32 s25, 0
.LBB102_372:
	s_delay_alu instid0(SALU_CYCLE_1)
	s_and_not1_b32 vcc_lo, exec_lo, s25
	s_cbranch_vccnz .LBB102_381
; %bb.373:
	s_cmp_lt_i32 s18, 6
	s_mov_b32 s25, -1
	s_cbranch_scc1 .LBB102_379
; %bb.374:
	s_cmp_gt_i32 s18, 6
	s_cbranch_scc0 .LBB102_376
; %bb.375:
	s_mov_b32 s25, 0
	global_store_b64 v[4:5], v[0:1], off
.LBB102_376:
	s_and_not1_b32 vcc_lo, exec_lo, s25
	s_cbranch_vccnz .LBB102_378
; %bb.377:
	s_wait_xcnt 0x0
	s_delay_alu instid0(VALU_DEP_2)
	v_cvt_f32_f64_e32 v2, v[0:1]
	global_store_b32 v[4:5], v2, off
.LBB102_378:
	s_mov_b32 s25, 0
.LBB102_379:
	s_delay_alu instid0(SALU_CYCLE_1)
	s_and_not1_b32 vcc_lo, exec_lo, s25
	s_cbranch_vccnz .LBB102_381
; %bb.380:
	s_wait_xcnt 0x0
	s_delay_alu instid0(VALU_DEP_2) | instskip(SKIP_2) | instid1(VALU_DEP_3)
	v_and_or_b32 v2, 0x1ff, v1, v0
	v_lshrrev_b32_e32 v3, 8, v1
	v_bfe_u32 v6, v1, 20, 11
	v_cmp_ne_u32_e32 vcc_lo, 0, v2
	s_delay_alu instid0(VALU_DEP_2) | instskip(SKIP_1) | instid1(VALU_DEP_1)
	v_sub_nc_u32_e32 v7, 0x3f1, v6
	v_cndmask_b32_e64 v2, 0, 1, vcc_lo
	v_and_or_b32 v2, 0xffe, v3, v2
	s_delay_alu instid0(VALU_DEP_3) | instskip(NEXT) | instid1(VALU_DEP_2)
	v_med3_i32 v3, v7, 0, 13
	v_or_b32_e32 v7, 0x1000, v2
	s_delay_alu instid0(VALU_DEP_1) | instskip(NEXT) | instid1(VALU_DEP_1)
	v_lshrrev_b32_e32 v8, v3, v7
	v_lshlrev_b32_e32 v3, v3, v8
	s_delay_alu instid0(VALU_DEP_1) | instskip(SKIP_1) | instid1(VALU_DEP_1)
	v_cmp_ne_u32_e32 vcc_lo, v3, v7
	v_cndmask_b32_e64 v3, 0, 1, vcc_lo
	v_or_b32_e32 v3, v8, v3
	v_add_nc_u32_e32 v6, 0xfffffc10, v6
	s_delay_alu instid0(VALU_DEP_1) | instskip(SKIP_1) | instid1(VALU_DEP_2)
	v_lshl_or_b32 v7, v6, 12, v2
	v_cmp_gt_i32_e32 vcc_lo, 1, v6
	v_cndmask_b32_e32 v3, v7, v3, vcc_lo
	s_delay_alu instid0(VALU_DEP_1) | instskip(NEXT) | instid1(VALU_DEP_1)
	v_dual_lshrrev_b32 v3, 2, v3 :: v_dual_bitop2_b32 v7, 7, v3 bitop3:0x40
	v_cmp_lt_i32_e32 vcc_lo, 5, v7
	v_cndmask_b32_e64 v8, 0, 1, vcc_lo
	v_cmp_eq_u32_e32 vcc_lo, 3, v7
	v_cndmask_b32_e64 v7, 0, 1, vcc_lo
	v_cmp_ne_u32_e32 vcc_lo, 0, v2
	s_delay_alu instid0(VALU_DEP_2) | instskip(NEXT) | instid1(VALU_DEP_1)
	v_or_b32_e32 v7, v7, v8
	v_dual_mov_b32 v8, 0x7e00 :: v_dual_add_nc_u32 v3, v3, v7
	s_delay_alu instid0(VALU_DEP_1) | instskip(SKIP_1) | instid1(VALU_DEP_3)
	v_cndmask_b32_e32 v2, 0x7c00, v8, vcc_lo
	v_cmp_gt_i32_e32 vcc_lo, 31, v6
	v_cndmask_b32_e32 v3, 0x7c00, v3, vcc_lo
	v_cmp_eq_u32_e32 vcc_lo, 0x40f, v6
	s_delay_alu instid0(VALU_DEP_2) | instskip(NEXT) | instid1(VALU_DEP_1)
	v_dual_cndmask_b32 v2, v3, v2 :: v_dual_lshrrev_b32 v3, 16, v1
	v_and_or_b32 v2, 0x8000, v3, v2
	global_store_b16 v[4:5], v2, off
.LBB102_381:
	s_mov_b32 s25, 0
.LBB102_382:
	s_delay_alu instid0(SALU_CYCLE_1)
	s_and_not1_b32 vcc_lo, exec_lo, s25
	s_cbranch_vccnz .LBB102_398
; %bb.383:
	s_cmp_lt_i32 s18, 2
	s_mov_b32 s25, -1
	s_cbranch_scc1 .LBB102_393
; %bb.384:
	s_cmp_lt_i32 s18, 3
	s_cbranch_scc1 .LBB102_390
; %bb.385:
	s_cmp_gt_i32 s18, 3
	s_cbranch_scc0 .LBB102_387
; %bb.386:
	s_wait_xcnt 0x0
	s_delay_alu instid0(VALU_DEP_2) | instskip(SKIP_1) | instid1(VALU_DEP_1)
	v_trunc_f64_e32 v[2:3], v[0:1]
	s_mov_b32 s25, 0
	v_ldexp_f64 v[6:7], v[2:3], 0xffffffe0
	s_delay_alu instid0(VALU_DEP_1) | instskip(NEXT) | instid1(VALU_DEP_1)
	v_floor_f64_e32 v[6:7], v[6:7]
	v_fmamk_f64 v[2:3], v[6:7], 0xc1f00000, v[2:3]
	v_cvt_i32_f64_e32 v7, v[6:7]
	s_delay_alu instid0(VALU_DEP_2)
	v_cvt_u32_f64_e32 v6, v[2:3]
	global_store_b64 v[4:5], v[6:7], off
.LBB102_387:
	s_and_not1_b32 vcc_lo, exec_lo, s25
	s_cbranch_vccnz .LBB102_389
; %bb.388:
	s_wait_xcnt 0x0
	s_delay_alu instid0(VALU_DEP_2)
	v_cvt_i32_f64_e32 v2, v[0:1]
	global_store_b32 v[4:5], v2, off
.LBB102_389:
	s_mov_b32 s25, 0
.LBB102_390:
	s_delay_alu instid0(SALU_CYCLE_1)
	s_and_not1_b32 vcc_lo, exec_lo, s25
	s_cbranch_vccnz .LBB102_392
; %bb.391:
	s_wait_xcnt 0x0
	s_delay_alu instid0(VALU_DEP_2)
	v_cvt_i32_f64_e32 v2, v[0:1]
	global_store_b16 v[4:5], v2, off
.LBB102_392:
	s_mov_b32 s25, 0
.LBB102_393:
	s_delay_alu instid0(SALU_CYCLE_1)
	s_and_not1_b32 vcc_lo, exec_lo, s25
	s_cbranch_vccnz .LBB102_398
; %bb.394:
	s_cmp_gt_i32 s18, 0
	s_mov_b32 s18, -1
	s_cbranch_scc0 .LBB102_396
; %bb.395:
	s_wait_xcnt 0x0
	s_delay_alu instid0(VALU_DEP_2)
	v_cvt_i32_f64_e32 v2, v[0:1]
	s_mov_b32 s18, 0
	global_store_b8 v[4:5], v2, off
.LBB102_396:
	s_and_not1_b32 vcc_lo, exec_lo, s18
	s_cbranch_vccnz .LBB102_398
; %bb.397:
	s_wait_xcnt 0x0
	s_delay_alu instid0(VALU_DEP_2) | instskip(NEXT) | instid1(VALU_DEP_1)
	v_trunc_f64_e32 v[0:1], v[0:1]
	v_ldexp_f64 v[2:3], v[0:1], 0xffffffe0
	s_delay_alu instid0(VALU_DEP_1) | instskip(NEXT) | instid1(VALU_DEP_1)
	v_floor_f64_e32 v[2:3], v[2:3]
	v_fmamk_f64 v[0:1], v[2:3], 0xc1f00000, v[0:1]
	s_delay_alu instid0(VALU_DEP_1)
	v_cvt_u32_f64_e32 v0, v[0:1]
	global_store_b8 v[4:5], v0, off
.LBB102_398:
	s_mov_b32 s26, -1
.LBB102_399:
	s_delay_alu instid0(SALU_CYCLE_1)
	s_and_not1_b32 vcc_lo, exec_lo, s26
	s_cbranch_vccnz .LBB102_27
; %bb.400:
	v_add_nc_u32_e32 v18, 0x80, v18
	s_mov_b32 s25, -1
.LBB102_401:
	s_and_b32 s18, s0, exec_lo
	s_and_b32 s20, s20, exec_lo
	;; [unrolled: 1-line block ×4, first 2 shown]
	s_or_not1_b32 s0, s25, exec_lo
.LBB102_402:
	s_wait_xcnt 0x0
	s_or_b32 exec_lo, exec_lo, s23
	s_and_saveexec_b32 s23, s0
	s_cbranch_execz .LBB102_1245
; %bb.403:
	s_mov_b32 s29, -1
	s_mov_b32 s24, s22
	s_mov_b32 s27, s21
	;; [unrolled: 1-line block ×4, first 2 shown]
	s_mov_b32 s28, exec_lo
	v_cmpx_gt_i32_e64 s19, v18
	s_cbranch_execz .LBB102_810
; %bb.404:
	s_and_b32 s24, s16, 0xff
	s_delay_alu instid0(SALU_CYCLE_1)
	s_cmp_lt_i32 s24, 23
	s_cbranch_scc1 .LBB102_408
; %bb.405:
	s_and_b32 s25, 0xffff, s24
	s_delay_alu instid0(SALU_CYCLE_1)
	s_cmp_gt_i32 s25, 43
	s_cbranch_scc0 .LBB102_409
; %bb.406:
	s_cmp_gt_i32 s25, 45
	s_cbranch_scc0 .LBB102_410
; %bb.407:
	s_cmp_eq_u32 s25, 46
	s_mov_b32 s26, 0
	s_cselect_b32 s0, -1, 0
	s_or_b32 s27, s22, exec_lo
	s_branch .LBB102_411
.LBB102_408:
	s_mov_b32 s0, 0
	s_mov_b32 s27, s22
	s_cbranch_execnz .LBB102_417
	s_branch .LBB102_421
.LBB102_409:
	s_mov_b32 s26, -1
	s_mov_b32 s0, 0
	s_mov_b32 s27, s22
	s_branch .LBB102_414
.LBB102_410:
	s_mov_b32 s26, -1
	s_mov_b32 s0, 0
	s_mov_b32 s27, s22
.LBB102_411:
	s_and_not1_b32 vcc_lo, exec_lo, s26
	s_cbranch_vccnz .LBB102_413
; %bb.412:
	s_cmp_eq_u32 s25, 44
	s_cselect_b32 s0, -1, 0
	s_cmp_lg_u32 s25, 44
	s_cselect_b32 s26, -1, 0
	s_and_not1_b32 s27, s27, exec_lo
	s_and_b32 s26, s26, exec_lo
	s_delay_alu instid0(SALU_CYCLE_1)
	s_or_b32 s27, s27, s26
.LBB102_413:
	s_mov_b32 s26, 0
.LBB102_414:
	s_delay_alu instid0(SALU_CYCLE_1)
	s_and_b32 vcc_lo, exec_lo, s26
	s_cbranch_vccz .LBB102_416
; %bb.415:
	s_cmp_lt_i32 s25, 30
	s_cselect_b32 s0, -1, 0
	s_cmp_gt_i32 s25, 29
	s_cselect_b32 s25, -1, 0
	s_and_not1_b32 s26, s27, exec_lo
	s_and_b32 s25, s25, exec_lo
	s_delay_alu instid0(SALU_CYCLE_1)
	s_or_b32 s27, s26, s25
.LBB102_416:
	s_branch .LBB102_421
.LBB102_417:
	s_and_b32 s24, 0xffff, s24
	s_mov_b32 s25, -1
	s_cmp_gt_i32 s24, 14
	s_cbranch_scc0 .LBB102_419
; %bb.418:
	s_cmp_eq_u32 s24, 15
	s_cselect_b32 s0, -1, 0
	s_cmp_lg_u32 s24, 15
	s_cselect_b32 s25, -1, 0
	s_and_not1_b32 s26, s27, exec_lo
	s_and_b32 s27, s25, exec_lo
	s_mov_b32 s25, 0
	s_or_b32 s27, s26, s27
.LBB102_419:
	s_and_not1_b32 vcc_lo, exec_lo, s25
	s_cbranch_vccnz .LBB102_421
; %bb.420:
	s_cmp_lt_i32 s24, 12
	s_cselect_b32 s0, -1, 0
	s_cmp_gt_i32 s24, 11
	s_cselect_b32 s24, -1, 0
	s_and_not1_b32 s25, s27, exec_lo
	s_and_b32 s24, s24, exec_lo
	s_delay_alu instid0(SALU_CYCLE_1)
	s_or_b32 s27, s25, s24
.LBB102_421:
	s_and_b32 vcc_lo, exec_lo, s0
	s_cbranch_vccz .LBB102_429
; %bb.422:
	s_wait_loadcnt 0x0
	v_mul_lo_u32 v0, v18, s4
	s_and_b32 s0, s14, 0xff
	s_delay_alu instid0(SALU_CYCLE_1) | instskip(NEXT) | instid1(VALU_DEP_1)
	s_cmp_lt_i32 s0, 11
	v_ashrrev_i32_e32 v1, 31, v0
	s_delay_alu instid0(VALU_DEP_1)
	v_add_nc_u64_e32 v[2:3], s[8:9], v[0:1]
	s_cbranch_scc1 .LBB102_431
; %bb.423:
	s_and_b32 s25, 0xffff, s0
	s_delay_alu instid0(SALU_CYCLE_1)
	s_cmp_gt_i32 s25, 25
	s_cbranch_scc0 .LBB102_432
; %bb.424:
	s_cmp_gt_i32 s25, 28
	s_cbranch_scc0 .LBB102_433
; %bb.425:
	s_cmp_gt_i32 s25, 43
	s_cbranch_scc0 .LBB102_434
; %bb.426:
	s_cmp_gt_i32 s25, 45
	s_cbranch_scc0 .LBB102_435
; %bb.427:
	s_cmp_eq_u32 s25, 46
	s_mov_b32 s27, 0
	s_cbranch_scc0 .LBB102_438
; %bb.428:
	global_load_b32 v0, v[2:3], off
	s_mov_b32 s26, -1
	s_mov_b32 s24, 0
	s_wait_loadcnt 0x0
	v_lshlrev_b32_e32 v0, 16, v0
	s_delay_alu instid0(VALU_DEP_1)
	v_cvt_f64_f32_e32 v[0:1], v0
	s_branch .LBB102_440
.LBB102_429:
	s_mov_b32 s29, 0
	s_mov_b32 s0, s18
	;; [unrolled: 1-line block ×4, first 2 shown]
.LBB102_430:
                                        ; implicit-def: $vgpr18
	s_branch .LBB102_809
.LBB102_431:
	s_mov_b32 s25, -1
	s_mov_b32 s26, 0
	s_mov_b32 s24, s21
                                        ; implicit-def: $vgpr0_vgpr1
	s_branch .LBB102_505
.LBB102_432:
	s_mov_b32 s27, -1
	s_mov_b32 s26, 0
	s_mov_b32 s24, s21
                                        ; implicit-def: $vgpr0_vgpr1
	s_branch .LBB102_469
.LBB102_433:
	s_mov_b32 s27, -1
	s_mov_b32 s26, 0
	s_mov_b32 s24, s21
                                        ; implicit-def: $vgpr0_vgpr1
	s_branch .LBB102_450
.LBB102_434:
	s_mov_b32 s27, -1
	s_mov_b32 s26, 0
	s_mov_b32 s24, s21
                                        ; implicit-def: $vgpr0_vgpr1
	s_branch .LBB102_445
.LBB102_435:
	s_mov_b32 s27, -1
	s_mov_b32 s26, 0
	s_mov_b32 s24, s21
	s_branch .LBB102_439
.LBB102_436:
	s_and_not1_saveexec_b32 s28, s28
	s_cbranch_execz .LBB102_312
.LBB102_437:
	v_add_f32_e64 v3, 0x46000000, |v2|
	s_and_not1_b32 s27, s27, exec_lo
	s_delay_alu instid0(VALU_DEP_1) | instskip(NEXT) | instid1(VALU_DEP_1)
	v_and_b32_e32 v3, 0xff, v3
	v_cmp_ne_u32_e32 vcc_lo, 0, v3
	s_and_b32 s29, vcc_lo, exec_lo
	s_delay_alu instid0(SALU_CYCLE_1)
	s_or_b32 s27, s27, s29
	s_or_b32 exec_lo, exec_lo, s28
	v_mov_b32_e32 v6, 0
	s_and_saveexec_b32 s28, s27
	s_cbranch_execnz .LBB102_313
	s_branch .LBB102_314
.LBB102_438:
	s_mov_b32 s24, -1
	s_mov_b32 s26, 0
.LBB102_439:
                                        ; implicit-def: $vgpr0_vgpr1
.LBB102_440:
	s_and_b32 vcc_lo, exec_lo, s27
	s_cbranch_vccz .LBB102_444
; %bb.441:
	s_cmp_eq_u32 s25, 44
	s_cbranch_scc0 .LBB102_443
; %bb.442:
	global_load_u8 v4, v[2:3], off
	s_mov_b32 s24, 0
	s_mov_b32 s26, -1
	s_wait_loadcnt 0x0
	v_cmp_ne_u32_e32 vcc_lo, 0xff, v4
	v_lshlrev_b32_e32 v0, 23, v4
	s_delay_alu instid0(VALU_DEP_1) | instskip(NEXT) | instid1(VALU_DEP_1)
	v_cvt_f64_f32_e32 v[0:1], v0
	v_cndmask_b32_e32 v0, 0x20000000, v0, vcc_lo
	s_delay_alu instid0(VALU_DEP_2) | instskip(SKIP_1) | instid1(VALU_DEP_2)
	v_cndmask_b32_e32 v1, 0x7ff80000, v1, vcc_lo
	v_cmp_ne_u32_e32 vcc_lo, 0, v4
	v_cndmask_b32_e32 v1, 0x38000000, v1, vcc_lo
	s_delay_alu instid0(VALU_DEP_4)
	v_cndmask_b32_e32 v0, 0, v0, vcc_lo
	s_branch .LBB102_444
.LBB102_443:
	s_mov_b32 s24, -1
                                        ; implicit-def: $vgpr0_vgpr1
.LBB102_444:
	s_mov_b32 s27, 0
.LBB102_445:
	s_delay_alu instid0(SALU_CYCLE_1)
	s_and_b32 vcc_lo, exec_lo, s27
	s_cbranch_vccz .LBB102_449
; %bb.446:
	s_cmp_eq_u32 s25, 29
	s_cbranch_scc0 .LBB102_448
; %bb.447:
	global_load_b64 v[0:1], v[2:3], off
	s_mov_b32 s26, -1
	s_mov_b32 s24, 0
	s_mov_b32 s27, 0
	s_wait_loadcnt 0x0
	v_cvt_f64_u32_e32 v[4:5], v1
	v_cvt_f64_u32_e32 v[0:1], v0
	s_delay_alu instid0(VALU_DEP_2) | instskip(NEXT) | instid1(VALU_DEP_1)
	v_ldexp_f64 v[4:5], v[4:5], 32
	v_add_f64_e32 v[0:1], v[4:5], v[0:1]
	s_branch .LBB102_450
.LBB102_448:
	s_mov_b32 s24, -1
                                        ; implicit-def: $vgpr0_vgpr1
.LBB102_449:
	s_mov_b32 s27, 0
.LBB102_450:
	s_delay_alu instid0(SALU_CYCLE_1)
	s_and_b32 vcc_lo, exec_lo, s27
	s_cbranch_vccz .LBB102_468
; %bb.451:
	s_cmp_lt_i32 s25, 27
	s_cbranch_scc1 .LBB102_454
; %bb.452:
	s_cmp_gt_i32 s25, 27
	s_cbranch_scc0 .LBB102_455
; %bb.453:
	global_load_b32 v0, v[2:3], off
	s_mov_b32 s26, 0
	s_wait_loadcnt 0x0
	v_cvt_f64_u32_e32 v[0:1], v0
	s_branch .LBB102_456
.LBB102_454:
	s_mov_b32 s26, -1
                                        ; implicit-def: $vgpr0_vgpr1
	s_branch .LBB102_459
.LBB102_455:
	s_mov_b32 s26, -1
                                        ; implicit-def: $vgpr0_vgpr1
.LBB102_456:
	s_delay_alu instid0(SALU_CYCLE_1)
	s_and_not1_b32 vcc_lo, exec_lo, s26
	s_cbranch_vccnz .LBB102_458
; %bb.457:
	global_load_u16 v0, v[2:3], off
	s_wait_loadcnt 0x0
	v_cvt_f64_u32_e32 v[0:1], v0
.LBB102_458:
	s_mov_b32 s26, 0
.LBB102_459:
	s_delay_alu instid0(SALU_CYCLE_1)
	s_and_not1_b32 vcc_lo, exec_lo, s26
	s_cbranch_vccnz .LBB102_467
; %bb.460:
	global_load_u8 v4, v[2:3], off
	s_mov_b32 s26, 0
	s_mov_b32 s27, exec_lo
	s_wait_loadcnt 0x0
	v_cmpx_lt_i16_e32 0x7f, v4
	s_xor_b32 s27, exec_lo, s27
	s_cbranch_execz .LBB102_481
; %bb.461:
	s_mov_b32 s26, -1
	s_mov_b32 s29, exec_lo
	v_cmpx_eq_u16_e32 0x80, v4
; %bb.462:
	s_xor_b32 s26, exec_lo, -1
; %bb.463:
	s_or_b32 exec_lo, exec_lo, s29
	s_delay_alu instid0(SALU_CYCLE_1)
	s_and_b32 s26, s26, exec_lo
	s_or_saveexec_b32 s27, s27
	v_mov_b64_e32 v[0:1], 0x7ff8000020000000
	s_xor_b32 exec_lo, exec_lo, s27
	s_cbranch_execnz .LBB102_482
.LBB102_464:
	s_or_b32 exec_lo, exec_lo, s27
	s_and_saveexec_b32 s27, s26
	s_cbranch_execz .LBB102_466
.LBB102_465:
	v_and_b32_e32 v0, 0xffff, v4
	s_delay_alu instid0(VALU_DEP_1) | instskip(SKIP_1) | instid1(VALU_DEP_2)
	v_and_b32_e32 v1, 7, v0
	v_bfe_u32 v7, v0, 3, 4
	v_clz_i32_u32_e32 v5, v1
	s_delay_alu instid0(VALU_DEP_2) | instskip(NEXT) | instid1(VALU_DEP_2)
	v_cmp_eq_u32_e32 vcc_lo, 0, v7
	v_min_u32_e32 v5, 32, v5
	s_delay_alu instid0(VALU_DEP_1) | instskip(NEXT) | instid1(VALU_DEP_1)
	v_subrev_nc_u32_e32 v6, 28, v5
	v_dual_lshlrev_b32 v0, v6, v0 :: v_dual_sub_nc_u32 v5, 29, v5
	s_delay_alu instid0(VALU_DEP_1) | instskip(NEXT) | instid1(VALU_DEP_2)
	v_and_b32_e32 v0, 7, v0
	v_dual_cndmask_b32 v5, v7, v5 :: v_dual_lshlrev_b32 v4, 24, v4
	s_delay_alu instid0(VALU_DEP_2) | instskip(NEXT) | instid1(VALU_DEP_2)
	v_cndmask_b32_e32 v0, v1, v0, vcc_lo
	v_and_b32_e32 v1, 0x80000000, v4
	s_delay_alu instid0(VALU_DEP_3) | instskip(NEXT) | instid1(VALU_DEP_3)
	v_lshl_add_u32 v4, v5, 23, 0x3b800000
	v_lshlrev_b32_e32 v0, 20, v0
	s_delay_alu instid0(VALU_DEP_1) | instskip(NEXT) | instid1(VALU_DEP_1)
	v_or3_b32 v0, v1, v4, v0
	v_cvt_f64_f32_e32 v[0:1], v0
.LBB102_466:
	s_or_b32 exec_lo, exec_lo, s27
.LBB102_467:
	s_mov_b32 s26, -1
.LBB102_468:
	s_mov_b32 s27, 0
.LBB102_469:
	s_delay_alu instid0(SALU_CYCLE_1)
	s_and_b32 vcc_lo, exec_lo, s27
	s_cbranch_vccz .LBB102_504
; %bb.470:
	s_cmp_gt_i32 s25, 22
	s_cbranch_scc0 .LBB102_480
; %bb.471:
	s_cmp_lt_i32 s25, 24
	s_cbranch_scc1 .LBB102_483
; %bb.472:
	s_cmp_gt_i32 s25, 24
	s_cbranch_scc0 .LBB102_484
; %bb.473:
	global_load_u8 v4, v[2:3], off
	s_mov_b32 s26, 0
	s_mov_b32 s27, exec_lo
	s_wait_loadcnt 0x0
	v_cmpx_lt_i16_e32 0x7f, v4
	s_xor_b32 s27, exec_lo, s27
	s_cbranch_execz .LBB102_496
; %bb.474:
	s_mov_b32 s26, -1
	s_mov_b32 s29, exec_lo
	v_cmpx_eq_u16_e32 0x80, v4
; %bb.475:
	s_xor_b32 s26, exec_lo, -1
; %bb.476:
	s_or_b32 exec_lo, exec_lo, s29
	s_delay_alu instid0(SALU_CYCLE_1)
	s_and_b32 s26, s26, exec_lo
	s_or_saveexec_b32 s27, s27
	v_mov_b64_e32 v[0:1], 0x7ff8000020000000
	s_xor_b32 exec_lo, exec_lo, s27
	s_cbranch_execnz .LBB102_497
.LBB102_477:
	s_or_b32 exec_lo, exec_lo, s27
	s_and_saveexec_b32 s27, s26
	s_cbranch_execz .LBB102_479
.LBB102_478:
	v_and_b32_e32 v0, 0xffff, v4
	s_delay_alu instid0(VALU_DEP_1) | instskip(SKIP_1) | instid1(VALU_DEP_2)
	v_and_b32_e32 v1, 3, v0
	v_bfe_u32 v7, v0, 2, 5
	v_clz_i32_u32_e32 v5, v1
	s_delay_alu instid0(VALU_DEP_2) | instskip(NEXT) | instid1(VALU_DEP_2)
	v_cmp_eq_u32_e32 vcc_lo, 0, v7
	v_min_u32_e32 v5, 32, v5
	s_delay_alu instid0(VALU_DEP_1) | instskip(NEXT) | instid1(VALU_DEP_1)
	v_subrev_nc_u32_e32 v6, 29, v5
	v_dual_lshlrev_b32 v0, v6, v0 :: v_dual_sub_nc_u32 v5, 30, v5
	s_delay_alu instid0(VALU_DEP_1) | instskip(NEXT) | instid1(VALU_DEP_2)
	v_and_b32_e32 v0, 3, v0
	v_dual_cndmask_b32 v5, v7, v5 :: v_dual_lshlrev_b32 v4, 24, v4
	s_delay_alu instid0(VALU_DEP_2) | instskip(NEXT) | instid1(VALU_DEP_2)
	v_cndmask_b32_e32 v0, v1, v0, vcc_lo
	v_and_b32_e32 v1, 0x80000000, v4
	s_delay_alu instid0(VALU_DEP_3) | instskip(NEXT) | instid1(VALU_DEP_3)
	v_lshl_add_u32 v4, v5, 23, 0x37800000
	v_lshlrev_b32_e32 v0, 21, v0
	s_delay_alu instid0(VALU_DEP_1) | instskip(NEXT) | instid1(VALU_DEP_1)
	v_or3_b32 v0, v1, v4, v0
	v_cvt_f64_f32_e32 v[0:1], v0
.LBB102_479:
	s_or_b32 exec_lo, exec_lo, s27
	s_mov_b32 s26, 0
	s_branch .LBB102_485
.LBB102_480:
	s_mov_b32 s27, -1
                                        ; implicit-def: $vgpr0_vgpr1
	s_branch .LBB102_491
.LBB102_481:
	s_or_saveexec_b32 s27, s27
	v_mov_b64_e32 v[0:1], 0x7ff8000020000000
	s_xor_b32 exec_lo, exec_lo, s27
	s_cbranch_execz .LBB102_464
.LBB102_482:
	v_cmp_ne_u16_e32 vcc_lo, 0, v4
	v_mov_b64_e32 v[0:1], 0
	s_and_not1_b32 s26, s26, exec_lo
	s_and_b32 s29, vcc_lo, exec_lo
	s_delay_alu instid0(SALU_CYCLE_1)
	s_or_b32 s26, s26, s29
	s_or_b32 exec_lo, exec_lo, s27
	s_and_saveexec_b32 s27, s26
	s_cbranch_execnz .LBB102_465
	s_branch .LBB102_466
.LBB102_483:
	s_mov_b32 s26, -1
                                        ; implicit-def: $vgpr0_vgpr1
	s_branch .LBB102_488
.LBB102_484:
	s_mov_b32 s26, -1
                                        ; implicit-def: $vgpr0_vgpr1
.LBB102_485:
	s_delay_alu instid0(SALU_CYCLE_1)
	s_and_b32 vcc_lo, exec_lo, s26
	s_cbranch_vccz .LBB102_487
; %bb.486:
	global_load_u8 v0, v[2:3], off
	s_wait_loadcnt 0x0
	v_lshlrev_b32_e32 v0, 24, v0
	s_delay_alu instid0(VALU_DEP_1) | instskip(NEXT) | instid1(VALU_DEP_1)
	v_and_b32_e32 v1, 0x7f000000, v0
	v_clz_i32_u32_e32 v4, v1
	v_cmp_ne_u32_e32 vcc_lo, 0, v1
	v_add_nc_u32_e32 v6, 0x1000000, v1
	s_delay_alu instid0(VALU_DEP_3) | instskip(NEXT) | instid1(VALU_DEP_1)
	v_min_u32_e32 v4, 32, v4
	v_sub_nc_u32_e64 v4, v4, 4 clamp
	s_delay_alu instid0(VALU_DEP_1) | instskip(NEXT) | instid1(VALU_DEP_1)
	v_dual_lshlrev_b32 v5, v4, v1 :: v_dual_lshlrev_b32 v4, 23, v4
	v_lshrrev_b32_e32 v5, 4, v5
	s_delay_alu instid0(VALU_DEP_1) | instskip(NEXT) | instid1(VALU_DEP_1)
	v_dual_sub_nc_u32 v4, v5, v4 :: v_dual_ashrrev_i32 v5, 8, v6
	v_add_nc_u32_e32 v4, 0x3c000000, v4
	s_delay_alu instid0(VALU_DEP_1) | instskip(NEXT) | instid1(VALU_DEP_1)
	v_and_or_b32 v4, 0x7f800000, v5, v4
	v_cndmask_b32_e32 v1, 0, v4, vcc_lo
	s_delay_alu instid0(VALU_DEP_1) | instskip(NEXT) | instid1(VALU_DEP_1)
	v_and_or_b32 v0, 0x80000000, v0, v1
	v_cvt_f64_f32_e32 v[0:1], v0
.LBB102_487:
	s_mov_b32 s26, 0
.LBB102_488:
	s_delay_alu instid0(SALU_CYCLE_1)
	s_and_not1_b32 vcc_lo, exec_lo, s26
	s_cbranch_vccnz .LBB102_490
; %bb.489:
	global_load_u8 v0, v[2:3], off
	s_wait_loadcnt 0x0
	v_lshlrev_b32_e32 v1, 25, v0
	v_lshlrev_b16 v0, 8, v0
	s_delay_alu instid0(VALU_DEP_1) | instskip(SKIP_1) | instid1(VALU_DEP_2)
	v_and_or_b32 v5, 0x7f00, v0, 0.5
	v_bfe_i32 v0, v0, 0, 16
	v_add_f32_e32 v5, -0.5, v5
	v_lshrrev_b32_e32 v4, 4, v1
	v_cmp_gt_u32_e32 vcc_lo, 0x8000000, v1
	s_delay_alu instid0(VALU_DEP_2) | instskip(NEXT) | instid1(VALU_DEP_1)
	v_or_b32_e32 v4, 0x70000000, v4
	v_mul_f32_e32 v4, 0x7800000, v4
	s_delay_alu instid0(VALU_DEP_1) | instskip(NEXT) | instid1(VALU_DEP_1)
	v_cndmask_b32_e32 v1, v4, v5, vcc_lo
	v_and_or_b32 v0, 0x80000000, v0, v1
	s_delay_alu instid0(VALU_DEP_1)
	v_cvt_f64_f32_e32 v[0:1], v0
.LBB102_490:
	s_mov_b32 s27, 0
	s_mov_b32 s26, -1
.LBB102_491:
	s_and_not1_b32 vcc_lo, exec_lo, s27
	s_cbranch_vccnz .LBB102_504
; %bb.492:
	s_cmp_gt_i32 s25, 14
	s_cbranch_scc0 .LBB102_495
; %bb.493:
	s_cmp_eq_u32 s25, 15
	s_cbranch_scc0 .LBB102_498
; %bb.494:
	global_load_u16 v0, v[2:3], off
	s_mov_b32 s26, -1
	s_mov_b32 s24, 0
	s_wait_loadcnt 0x0
	v_lshlrev_b32_e32 v0, 16, v0
	s_delay_alu instid0(VALU_DEP_1)
	v_cvt_f64_f32_e32 v[0:1], v0
	s_branch .LBB102_499
.LBB102_495:
	s_mov_b32 s27, -1
                                        ; implicit-def: $vgpr0_vgpr1
	s_branch .LBB102_500
.LBB102_496:
	s_or_saveexec_b32 s27, s27
	v_mov_b64_e32 v[0:1], 0x7ff8000020000000
	s_xor_b32 exec_lo, exec_lo, s27
	s_cbranch_execz .LBB102_477
.LBB102_497:
	v_cmp_ne_u16_e32 vcc_lo, 0, v4
	v_mov_b64_e32 v[0:1], 0
	s_and_not1_b32 s26, s26, exec_lo
	s_and_b32 s29, vcc_lo, exec_lo
	s_delay_alu instid0(SALU_CYCLE_1)
	s_or_b32 s26, s26, s29
	s_or_b32 exec_lo, exec_lo, s27
	s_and_saveexec_b32 s27, s26
	s_cbranch_execnz .LBB102_478
	s_branch .LBB102_479
.LBB102_498:
	s_mov_b32 s24, -1
                                        ; implicit-def: $vgpr0_vgpr1
.LBB102_499:
	s_mov_b32 s27, 0
.LBB102_500:
	s_delay_alu instid0(SALU_CYCLE_1)
	s_and_b32 vcc_lo, exec_lo, s27
	s_cbranch_vccz .LBB102_504
; %bb.501:
	s_cmp_eq_u32 s25, 11
	s_cbranch_scc0 .LBB102_503
; %bb.502:
	global_load_u8 v0, v[2:3], off
	s_mov_b32 s24, 0
	s_mov_b32 s26, -1
	s_wait_loadcnt 0x0
	v_cmp_ne_u16_e32 vcc_lo, 0, v0
	v_mov_b32_e32 v0, 0
	v_cndmask_b32_e64 v1, 0, 0x3ff00000, vcc_lo
	s_branch .LBB102_504
.LBB102_503:
	s_mov_b32 s24, -1
                                        ; implicit-def: $vgpr0_vgpr1
.LBB102_504:
	s_mov_b32 s25, 0
.LBB102_505:
	s_delay_alu instid0(SALU_CYCLE_1)
	s_and_b32 vcc_lo, exec_lo, s25
	s_cbranch_vccz .LBB102_554
; %bb.506:
	s_and_b32 s0, 0xffff, s0
	s_delay_alu instid0(SALU_CYCLE_1)
	s_cmp_lt_i32 s0, 5
	s_cbranch_scc1 .LBB102_511
; %bb.507:
	s_cmp_lt_i32 s0, 8
	s_cbranch_scc1 .LBB102_512
; %bb.508:
	;; [unrolled: 3-line block ×3, first 2 shown]
	s_cmp_gt_i32 s0, 9
	s_cbranch_scc0 .LBB102_514
; %bb.510:
	global_load_b64 v[0:1], v[2:3], off
	s_mov_b32 s25, 0
	s_branch .LBB102_515
.LBB102_511:
	s_mov_b32 s25, -1
                                        ; implicit-def: $vgpr0_vgpr1
	s_branch .LBB102_533
.LBB102_512:
	s_mov_b32 s25, -1
                                        ; implicit-def: $vgpr0_vgpr1
	s_branch .LBB102_521
.LBB102_513:
	s_mov_b32 s25, -1
                                        ; implicit-def: $vgpr0_vgpr1
	s_branch .LBB102_518
.LBB102_514:
	s_mov_b32 s25, -1
                                        ; implicit-def: $vgpr0_vgpr1
.LBB102_515:
	s_delay_alu instid0(SALU_CYCLE_1)
	s_and_not1_b32 vcc_lo, exec_lo, s25
	s_cbranch_vccnz .LBB102_517
; %bb.516:
	s_wait_loadcnt 0x0
	global_load_b32 v0, v[2:3], off
	s_wait_loadcnt 0x0
	v_cvt_f64_f32_e32 v[0:1], v0
.LBB102_517:
	s_mov_b32 s25, 0
.LBB102_518:
	s_delay_alu instid0(SALU_CYCLE_1)
	s_and_not1_b32 vcc_lo, exec_lo, s25
	s_cbranch_vccnz .LBB102_520
; %bb.519:
	s_wait_loadcnt 0x0
	global_load_b32 v0, v[2:3], off
	s_wait_loadcnt 0x0
	v_cvt_f32_f16_e32 v0, v0
	s_delay_alu instid0(VALU_DEP_1)
	v_cvt_f64_f32_e32 v[0:1], v0
.LBB102_520:
	s_mov_b32 s25, 0
.LBB102_521:
	s_delay_alu instid0(SALU_CYCLE_1)
	s_and_not1_b32 vcc_lo, exec_lo, s25
	s_cbranch_vccnz .LBB102_532
; %bb.522:
	s_cmp_lt_i32 s0, 6
	s_cbranch_scc1 .LBB102_525
; %bb.523:
	s_cmp_gt_i32 s0, 6
	s_cbranch_scc0 .LBB102_526
; %bb.524:
	s_wait_loadcnt 0x0
	global_load_b64 v[0:1], v[2:3], off
	s_mov_b32 s25, 0
	s_branch .LBB102_527
.LBB102_525:
	s_mov_b32 s25, -1
                                        ; implicit-def: $vgpr0_vgpr1
	s_branch .LBB102_530
.LBB102_526:
	s_mov_b32 s25, -1
                                        ; implicit-def: $vgpr0_vgpr1
.LBB102_527:
	s_delay_alu instid0(SALU_CYCLE_1)
	s_and_not1_b32 vcc_lo, exec_lo, s25
	s_cbranch_vccnz .LBB102_529
; %bb.528:
	s_wait_loadcnt 0x0
	global_load_b32 v0, v[2:3], off
	s_wait_loadcnt 0x0
	v_cvt_f64_f32_e32 v[0:1], v0
.LBB102_529:
	s_mov_b32 s25, 0
.LBB102_530:
	s_delay_alu instid0(SALU_CYCLE_1)
	s_and_not1_b32 vcc_lo, exec_lo, s25
	s_cbranch_vccnz .LBB102_532
; %bb.531:
	s_wait_loadcnt 0x0
	global_load_u16 v0, v[2:3], off
	s_wait_loadcnt 0x0
	v_cvt_f32_f16_e32 v0, v0
	s_delay_alu instid0(VALU_DEP_1)
	v_cvt_f64_f32_e32 v[0:1], v0
.LBB102_532:
	s_mov_b32 s25, 0
.LBB102_533:
	s_delay_alu instid0(SALU_CYCLE_1)
	s_and_not1_b32 vcc_lo, exec_lo, s25
	s_cbranch_vccnz .LBB102_553
; %bb.534:
	s_cmp_lt_i32 s0, 2
	s_cbranch_scc1 .LBB102_538
; %bb.535:
	s_cmp_lt_i32 s0, 3
	s_cbranch_scc1 .LBB102_539
; %bb.536:
	s_cmp_gt_i32 s0, 3
	s_cbranch_scc0 .LBB102_540
; %bb.537:
	s_wait_loadcnt 0x0
	global_load_b64 v[0:1], v[2:3], off
	s_mov_b32 s25, 0
	s_wait_loadcnt 0x0
	v_cvt_f64_i32_e32 v[4:5], v1
	v_cvt_f64_u32_e32 v[0:1], v0
	s_delay_alu instid0(VALU_DEP_2) | instskip(NEXT) | instid1(VALU_DEP_1)
	v_ldexp_f64 v[4:5], v[4:5], 32
	v_add_f64_e32 v[0:1], v[4:5], v[0:1]
	s_branch .LBB102_541
.LBB102_538:
	s_mov_b32 s25, -1
                                        ; implicit-def: $vgpr0_vgpr1
	s_branch .LBB102_547
.LBB102_539:
	s_mov_b32 s25, -1
                                        ; implicit-def: $vgpr0_vgpr1
	s_branch .LBB102_544
.LBB102_540:
	s_mov_b32 s25, -1
                                        ; implicit-def: $vgpr0_vgpr1
.LBB102_541:
	s_delay_alu instid0(SALU_CYCLE_1)
	s_and_not1_b32 vcc_lo, exec_lo, s25
	s_cbranch_vccnz .LBB102_543
; %bb.542:
	s_wait_loadcnt 0x0
	global_load_b32 v0, v[2:3], off
	s_wait_loadcnt 0x0
	v_cvt_f64_i32_e32 v[0:1], v0
.LBB102_543:
	s_mov_b32 s25, 0
.LBB102_544:
	s_delay_alu instid0(SALU_CYCLE_1)
	s_and_not1_b32 vcc_lo, exec_lo, s25
	s_cbranch_vccnz .LBB102_546
; %bb.545:
	s_wait_loadcnt 0x0
	global_load_i16 v0, v[2:3], off
	s_wait_loadcnt 0x0
	v_cvt_f64_i32_e32 v[0:1], v0
.LBB102_546:
	s_mov_b32 s25, 0
.LBB102_547:
	s_delay_alu instid0(SALU_CYCLE_1)
	s_and_not1_b32 vcc_lo, exec_lo, s25
	s_cbranch_vccnz .LBB102_553
; %bb.548:
	s_cmp_gt_i32 s0, 0
	s_mov_b32 s0, 0
	s_cbranch_scc0 .LBB102_550
; %bb.549:
	s_wait_loadcnt 0x0
	global_load_i8 v0, v[2:3], off
	s_wait_loadcnt 0x0
	v_cvt_f64_i32_e32 v[0:1], v0
	s_branch .LBB102_551
.LBB102_550:
	s_mov_b32 s0, -1
                                        ; implicit-def: $vgpr0_vgpr1
.LBB102_551:
	s_delay_alu instid0(SALU_CYCLE_1)
	s_and_not1_b32 vcc_lo, exec_lo, s0
	s_cbranch_vccnz .LBB102_553
; %bb.552:
	s_wait_loadcnt 0x0
	global_load_u8 v0, v[2:3], off
	s_wait_loadcnt 0x0
	v_cvt_f64_u32_e32 v[0:1], v0
.LBB102_553:
	s_mov_b32 s26, -1
.LBB102_554:
	s_mov_b32 s27, 0
	s_mov_b32 s0, s18
	s_and_not1_b32 vcc_lo, exec_lo, s26
	s_mov_b32 s25, s20
	s_mov_b32 s29, 0
	s_cbranch_vccnz .LBB102_809
; %bb.555:
	s_wait_xcnt 0x0
	v_mul_lo_u32 v2, v18, s5
	s_and_b32 s0, 0xffff, s1
	s_delay_alu instid0(SALU_CYCLE_1) | instskip(NEXT) | instid1(VALU_DEP_1)
	s_cmp_lt_i32 s0, 11
	v_ashrrev_i32_e32 v3, 31, v2
	s_delay_alu instid0(VALU_DEP_1)
	v_add_nc_u64_e32 v[2:3], s[10:11], v[2:3]
	s_cbranch_scc1 .LBB102_562
; %bb.556:
	s_cmp_gt_i32 s0, 25
	s_cbranch_scc0 .LBB102_563
; %bb.557:
	s_cmp_gt_i32 s0, 28
	s_cbranch_scc0 .LBB102_564
	;; [unrolled: 3-line block ×4, first 2 shown]
; %bb.560:
	s_cmp_eq_u32 s0, 46
	s_cbranch_scc0 .LBB102_569
; %bb.561:
	global_load_b32 v4, v[2:3], off
	s_mov_b32 s26, -1
	s_mov_b32 s25, 0
	s_wait_loadcnt 0x0
	v_lshlrev_b32_e32 v4, 16, v4
	s_delay_alu instid0(VALU_DEP_1)
	v_cvt_f64_f32_e32 v[4:5], v4
	s_branch .LBB102_571
.LBB102_562:
	s_mov_b32 s29, -1
	s_mov_b32 s26, 0
	s_mov_b32 s25, s20
                                        ; implicit-def: $vgpr4_vgpr5
	s_branch .LBB102_636
.LBB102_563:
	s_mov_b32 s29, -1
	s_mov_b32 s26, 0
	s_mov_b32 s25, s20
                                        ; implicit-def: $vgpr4_vgpr5
	s_branch .LBB102_600
.LBB102_564:
	s_mov_b32 s29, -1
	s_mov_b32 s26, 0
	s_mov_b32 s25, s20
                                        ; implicit-def: $vgpr4_vgpr5
	s_branch .LBB102_581
.LBB102_565:
	s_mov_b32 s29, -1
	s_mov_b32 s26, 0
	s_mov_b32 s25, s20
                                        ; implicit-def: $vgpr4_vgpr5
	s_branch .LBB102_576
.LBB102_566:
	s_mov_b32 s29, -1
	s_mov_b32 s26, 0
	s_mov_b32 s25, s20
	s_branch .LBB102_570
.LBB102_567:
	s_and_not1_saveexec_b32 s28, s28
	s_cbranch_execz .LBB102_325
.LBB102_568:
	v_add_f32_e64 v3, 0x42800000, |v2|
	s_and_not1_b32 s27, s27, exec_lo
	s_delay_alu instid0(VALU_DEP_1) | instskip(NEXT) | instid1(VALU_DEP_1)
	v_and_b32_e32 v3, 0xff, v3
	v_cmp_ne_u32_e32 vcc_lo, 0, v3
	s_and_b32 s29, vcc_lo, exec_lo
	s_delay_alu instid0(SALU_CYCLE_1)
	s_or_b32 s27, s27, s29
	s_or_b32 exec_lo, exec_lo, s28
	v_mov_b32_e32 v6, 0
	s_and_saveexec_b32 s28, s27
	s_cbranch_execnz .LBB102_326
	s_branch .LBB102_327
.LBB102_569:
	s_mov_b32 s25, -1
	s_mov_b32 s26, 0
.LBB102_570:
                                        ; implicit-def: $vgpr4_vgpr5
.LBB102_571:
	s_and_b32 vcc_lo, exec_lo, s29
	s_cbranch_vccz .LBB102_575
; %bb.572:
	s_cmp_eq_u32 s0, 44
	s_cbranch_scc0 .LBB102_574
; %bb.573:
	global_load_u8 v6, v[2:3], off
	s_mov_b32 s25, 0
	s_mov_b32 s26, -1
	s_wait_loadcnt 0x0
	v_cmp_ne_u32_e32 vcc_lo, 0xff, v6
	v_lshlrev_b32_e32 v4, 23, v6
	s_delay_alu instid0(VALU_DEP_1) | instskip(NEXT) | instid1(VALU_DEP_1)
	v_cvt_f64_f32_e32 v[4:5], v4
	v_cndmask_b32_e32 v4, 0x20000000, v4, vcc_lo
	s_delay_alu instid0(VALU_DEP_2) | instskip(SKIP_1) | instid1(VALU_DEP_2)
	v_cndmask_b32_e32 v5, 0x7ff80000, v5, vcc_lo
	v_cmp_ne_u32_e32 vcc_lo, 0, v6
	v_cndmask_b32_e32 v5, 0x38000000, v5, vcc_lo
	s_delay_alu instid0(VALU_DEP_4)
	v_cndmask_b32_e32 v4, 0, v4, vcc_lo
	s_branch .LBB102_575
.LBB102_574:
	s_mov_b32 s25, -1
                                        ; implicit-def: $vgpr4_vgpr5
.LBB102_575:
	s_mov_b32 s29, 0
.LBB102_576:
	s_delay_alu instid0(SALU_CYCLE_1)
	s_and_b32 vcc_lo, exec_lo, s29
	s_cbranch_vccz .LBB102_580
; %bb.577:
	s_cmp_eq_u32 s0, 29
	s_cbranch_scc0 .LBB102_579
; %bb.578:
	global_load_b64 v[4:5], v[2:3], off
	s_mov_b32 s26, -1
	s_mov_b32 s25, 0
	s_mov_b32 s29, 0
	s_wait_loadcnt 0x0
	v_cvt_f64_u32_e32 v[6:7], v5
	v_cvt_f64_u32_e32 v[4:5], v4
	s_delay_alu instid0(VALU_DEP_2) | instskip(NEXT) | instid1(VALU_DEP_1)
	v_ldexp_f64 v[6:7], v[6:7], 32
	v_add_f64_e32 v[4:5], v[6:7], v[4:5]
	s_branch .LBB102_581
.LBB102_579:
	s_mov_b32 s25, -1
                                        ; implicit-def: $vgpr4_vgpr5
.LBB102_580:
	s_mov_b32 s29, 0
.LBB102_581:
	s_delay_alu instid0(SALU_CYCLE_1)
	s_and_b32 vcc_lo, exec_lo, s29
	s_cbranch_vccz .LBB102_599
; %bb.582:
	s_cmp_lt_i32 s0, 27
	s_cbranch_scc1 .LBB102_585
; %bb.583:
	s_cmp_gt_i32 s0, 27
	s_cbranch_scc0 .LBB102_586
; %bb.584:
	global_load_b32 v4, v[2:3], off
	s_mov_b32 s26, 0
	s_wait_loadcnt 0x0
	v_cvt_f64_u32_e32 v[4:5], v4
	s_branch .LBB102_587
.LBB102_585:
	s_mov_b32 s26, -1
                                        ; implicit-def: $vgpr4_vgpr5
	s_branch .LBB102_590
.LBB102_586:
	s_mov_b32 s26, -1
                                        ; implicit-def: $vgpr4_vgpr5
.LBB102_587:
	s_delay_alu instid0(SALU_CYCLE_1)
	s_and_not1_b32 vcc_lo, exec_lo, s26
	s_cbranch_vccnz .LBB102_589
; %bb.588:
	global_load_u16 v4, v[2:3], off
	s_wait_loadcnt 0x0
	v_cvt_f64_u32_e32 v[4:5], v4
.LBB102_589:
	s_mov_b32 s26, 0
.LBB102_590:
	s_delay_alu instid0(SALU_CYCLE_1)
	s_and_not1_b32 vcc_lo, exec_lo, s26
	s_cbranch_vccnz .LBB102_598
; %bb.591:
	global_load_u8 v6, v[2:3], off
	s_mov_b32 s26, 0
	s_mov_b32 s29, exec_lo
	s_wait_loadcnt 0x0
	v_cmpx_lt_i16_e32 0x7f, v6
	s_xor_b32 s29, exec_lo, s29
	s_cbranch_execz .LBB102_612
; %bb.592:
	s_mov_b32 s26, -1
	s_mov_b32 s30, exec_lo
	v_cmpx_eq_u16_e32 0x80, v6
; %bb.593:
	s_xor_b32 s26, exec_lo, -1
; %bb.594:
	s_or_b32 exec_lo, exec_lo, s30
	s_delay_alu instid0(SALU_CYCLE_1)
	s_and_b32 s26, s26, exec_lo
	s_or_saveexec_b32 s29, s29
	v_mov_b64_e32 v[4:5], 0x7ff8000020000000
	s_xor_b32 exec_lo, exec_lo, s29
	s_cbranch_execnz .LBB102_613
.LBB102_595:
	s_or_b32 exec_lo, exec_lo, s29
	s_and_saveexec_b32 s29, s26
	s_cbranch_execz .LBB102_597
.LBB102_596:
	v_and_b32_e32 v4, 0xffff, v6
	s_delay_alu instid0(VALU_DEP_1) | instskip(SKIP_1) | instid1(VALU_DEP_2)
	v_and_b32_e32 v5, 7, v4
	v_bfe_u32 v9, v4, 3, 4
	v_clz_i32_u32_e32 v7, v5
	s_delay_alu instid0(VALU_DEP_2) | instskip(NEXT) | instid1(VALU_DEP_2)
	v_cmp_eq_u32_e32 vcc_lo, 0, v9
	v_min_u32_e32 v7, 32, v7
	s_delay_alu instid0(VALU_DEP_1) | instskip(NEXT) | instid1(VALU_DEP_1)
	v_subrev_nc_u32_e32 v8, 28, v7
	v_dual_lshlrev_b32 v4, v8, v4 :: v_dual_sub_nc_u32 v7, 29, v7
	s_delay_alu instid0(VALU_DEP_1) | instskip(NEXT) | instid1(VALU_DEP_2)
	v_dual_lshlrev_b32 v6, 24, v6 :: v_dual_bitop2_b32 v4, 7, v4 bitop3:0x40
	v_cndmask_b32_e32 v7, v9, v7, vcc_lo
	s_delay_alu instid0(VALU_DEP_2) | instskip(NEXT) | instid1(VALU_DEP_3)
	v_cndmask_b32_e32 v4, v5, v4, vcc_lo
	v_and_b32_e32 v5, 0x80000000, v6
	s_delay_alu instid0(VALU_DEP_3) | instskip(NEXT) | instid1(VALU_DEP_3)
	v_lshl_add_u32 v6, v7, 23, 0x3b800000
	v_lshlrev_b32_e32 v4, 20, v4
	s_delay_alu instid0(VALU_DEP_1) | instskip(NEXT) | instid1(VALU_DEP_1)
	v_or3_b32 v4, v5, v6, v4
	v_cvt_f64_f32_e32 v[4:5], v4
.LBB102_597:
	s_or_b32 exec_lo, exec_lo, s29
.LBB102_598:
	s_mov_b32 s26, -1
.LBB102_599:
	s_mov_b32 s29, 0
.LBB102_600:
	s_delay_alu instid0(SALU_CYCLE_1)
	s_and_b32 vcc_lo, exec_lo, s29
	s_cbranch_vccz .LBB102_635
; %bb.601:
	s_cmp_gt_i32 s0, 22
	s_cbranch_scc0 .LBB102_611
; %bb.602:
	s_cmp_lt_i32 s0, 24
	s_cbranch_scc1 .LBB102_614
; %bb.603:
	s_cmp_gt_i32 s0, 24
	s_cbranch_scc0 .LBB102_615
; %bb.604:
	global_load_u8 v6, v[2:3], off
	s_mov_b32 s26, 0
	s_mov_b32 s29, exec_lo
	s_wait_loadcnt 0x0
	v_cmpx_lt_i16_e32 0x7f, v6
	s_xor_b32 s29, exec_lo, s29
	s_cbranch_execz .LBB102_627
; %bb.605:
	s_mov_b32 s26, -1
	s_mov_b32 s30, exec_lo
	v_cmpx_eq_u16_e32 0x80, v6
; %bb.606:
	s_xor_b32 s26, exec_lo, -1
; %bb.607:
	s_or_b32 exec_lo, exec_lo, s30
	s_delay_alu instid0(SALU_CYCLE_1)
	s_and_b32 s26, s26, exec_lo
	s_or_saveexec_b32 s29, s29
	v_mov_b64_e32 v[4:5], 0x7ff8000020000000
	s_xor_b32 exec_lo, exec_lo, s29
	s_cbranch_execnz .LBB102_628
.LBB102_608:
	s_or_b32 exec_lo, exec_lo, s29
	s_and_saveexec_b32 s29, s26
	s_cbranch_execz .LBB102_610
.LBB102_609:
	v_and_b32_e32 v4, 0xffff, v6
	s_delay_alu instid0(VALU_DEP_1) | instskip(SKIP_1) | instid1(VALU_DEP_2)
	v_and_b32_e32 v5, 3, v4
	v_bfe_u32 v9, v4, 2, 5
	v_clz_i32_u32_e32 v7, v5
	s_delay_alu instid0(VALU_DEP_2) | instskip(NEXT) | instid1(VALU_DEP_2)
	v_cmp_eq_u32_e32 vcc_lo, 0, v9
	v_min_u32_e32 v7, 32, v7
	s_delay_alu instid0(VALU_DEP_1) | instskip(NEXT) | instid1(VALU_DEP_1)
	v_subrev_nc_u32_e32 v8, 29, v7
	v_dual_lshlrev_b32 v4, v8, v4 :: v_dual_sub_nc_u32 v7, 30, v7
	s_delay_alu instid0(VALU_DEP_1) | instskip(NEXT) | instid1(VALU_DEP_2)
	v_dual_lshlrev_b32 v6, 24, v6 :: v_dual_bitop2_b32 v4, 3, v4 bitop3:0x40
	v_cndmask_b32_e32 v7, v9, v7, vcc_lo
	s_delay_alu instid0(VALU_DEP_2) | instskip(NEXT) | instid1(VALU_DEP_3)
	v_cndmask_b32_e32 v4, v5, v4, vcc_lo
	v_and_b32_e32 v5, 0x80000000, v6
	s_delay_alu instid0(VALU_DEP_3) | instskip(NEXT) | instid1(VALU_DEP_3)
	v_lshl_add_u32 v6, v7, 23, 0x37800000
	v_lshlrev_b32_e32 v4, 21, v4
	s_delay_alu instid0(VALU_DEP_1) | instskip(NEXT) | instid1(VALU_DEP_1)
	v_or3_b32 v4, v5, v6, v4
	v_cvt_f64_f32_e32 v[4:5], v4
.LBB102_610:
	s_or_b32 exec_lo, exec_lo, s29
	s_mov_b32 s26, 0
	s_branch .LBB102_616
.LBB102_611:
	s_mov_b32 s29, -1
                                        ; implicit-def: $vgpr4_vgpr5
	s_branch .LBB102_622
.LBB102_612:
	s_or_saveexec_b32 s29, s29
	v_mov_b64_e32 v[4:5], 0x7ff8000020000000
	s_xor_b32 exec_lo, exec_lo, s29
	s_cbranch_execz .LBB102_595
.LBB102_613:
	v_cmp_ne_u16_e32 vcc_lo, 0, v6
	v_mov_b64_e32 v[4:5], 0
	s_and_not1_b32 s26, s26, exec_lo
	s_and_b32 s30, vcc_lo, exec_lo
	s_delay_alu instid0(SALU_CYCLE_1)
	s_or_b32 s26, s26, s30
	s_or_b32 exec_lo, exec_lo, s29
	s_and_saveexec_b32 s29, s26
	s_cbranch_execnz .LBB102_596
	s_branch .LBB102_597
.LBB102_614:
	s_mov_b32 s26, -1
                                        ; implicit-def: $vgpr4_vgpr5
	s_branch .LBB102_619
.LBB102_615:
	s_mov_b32 s26, -1
                                        ; implicit-def: $vgpr4_vgpr5
.LBB102_616:
	s_delay_alu instid0(SALU_CYCLE_1)
	s_and_b32 vcc_lo, exec_lo, s26
	s_cbranch_vccz .LBB102_618
; %bb.617:
	global_load_u8 v4, v[2:3], off
	s_wait_loadcnt 0x0
	v_lshlrev_b32_e32 v4, 24, v4
	s_delay_alu instid0(VALU_DEP_1) | instskip(NEXT) | instid1(VALU_DEP_1)
	v_and_b32_e32 v5, 0x7f000000, v4
	v_clz_i32_u32_e32 v6, v5
	v_cmp_ne_u32_e32 vcc_lo, 0, v5
	v_add_nc_u32_e32 v8, 0x1000000, v5
	s_delay_alu instid0(VALU_DEP_3) | instskip(NEXT) | instid1(VALU_DEP_1)
	v_min_u32_e32 v6, 32, v6
	v_sub_nc_u32_e64 v6, v6, 4 clamp
	s_delay_alu instid0(VALU_DEP_1) | instskip(NEXT) | instid1(VALU_DEP_1)
	v_dual_lshlrev_b32 v7, v6, v5 :: v_dual_lshlrev_b32 v6, 23, v6
	v_lshrrev_b32_e32 v7, 4, v7
	s_delay_alu instid0(VALU_DEP_1) | instskip(NEXT) | instid1(VALU_DEP_1)
	v_dual_sub_nc_u32 v6, v7, v6 :: v_dual_ashrrev_i32 v7, 8, v8
	v_add_nc_u32_e32 v6, 0x3c000000, v6
	s_delay_alu instid0(VALU_DEP_1) | instskip(NEXT) | instid1(VALU_DEP_1)
	v_and_or_b32 v6, 0x7f800000, v7, v6
	v_cndmask_b32_e32 v5, 0, v6, vcc_lo
	s_delay_alu instid0(VALU_DEP_1) | instskip(NEXT) | instid1(VALU_DEP_1)
	v_and_or_b32 v4, 0x80000000, v4, v5
	v_cvt_f64_f32_e32 v[4:5], v4
.LBB102_618:
	s_mov_b32 s26, 0
.LBB102_619:
	s_delay_alu instid0(SALU_CYCLE_1)
	s_and_not1_b32 vcc_lo, exec_lo, s26
	s_cbranch_vccnz .LBB102_621
; %bb.620:
	global_load_u8 v4, v[2:3], off
	s_wait_loadcnt 0x0
	v_lshlrev_b32_e32 v5, 25, v4
	v_lshlrev_b16 v4, 8, v4
	s_delay_alu instid0(VALU_DEP_1) | instskip(SKIP_1) | instid1(VALU_DEP_2)
	v_and_or_b32 v7, 0x7f00, v4, 0.5
	v_bfe_i32 v4, v4, 0, 16
	v_dual_add_f32 v7, -0.5, v7 :: v_dual_lshrrev_b32 v6, 4, v5
	v_cmp_gt_u32_e32 vcc_lo, 0x8000000, v5
	s_delay_alu instid0(VALU_DEP_2) | instskip(NEXT) | instid1(VALU_DEP_1)
	v_or_b32_e32 v6, 0x70000000, v6
	v_mul_f32_e32 v6, 0x7800000, v6
	s_delay_alu instid0(VALU_DEP_1) | instskip(NEXT) | instid1(VALU_DEP_1)
	v_cndmask_b32_e32 v5, v6, v7, vcc_lo
	v_and_or_b32 v4, 0x80000000, v4, v5
	s_delay_alu instid0(VALU_DEP_1)
	v_cvt_f64_f32_e32 v[4:5], v4
.LBB102_621:
	s_mov_b32 s29, 0
	s_mov_b32 s26, -1
.LBB102_622:
	s_and_not1_b32 vcc_lo, exec_lo, s29
	s_cbranch_vccnz .LBB102_635
; %bb.623:
	s_cmp_gt_i32 s0, 14
	s_cbranch_scc0 .LBB102_626
; %bb.624:
	s_cmp_eq_u32 s0, 15
	s_cbranch_scc0 .LBB102_629
; %bb.625:
	global_load_u16 v4, v[2:3], off
	s_mov_b32 s26, -1
	s_mov_b32 s25, 0
	s_wait_loadcnt 0x0
	v_lshlrev_b32_e32 v4, 16, v4
	s_delay_alu instid0(VALU_DEP_1)
	v_cvt_f64_f32_e32 v[4:5], v4
	s_branch .LBB102_630
.LBB102_626:
	s_mov_b32 s29, -1
                                        ; implicit-def: $vgpr4_vgpr5
	s_branch .LBB102_631
.LBB102_627:
	s_or_saveexec_b32 s29, s29
	v_mov_b64_e32 v[4:5], 0x7ff8000020000000
	s_xor_b32 exec_lo, exec_lo, s29
	s_cbranch_execz .LBB102_608
.LBB102_628:
	v_cmp_ne_u16_e32 vcc_lo, 0, v6
	v_mov_b64_e32 v[4:5], 0
	s_and_not1_b32 s26, s26, exec_lo
	s_and_b32 s30, vcc_lo, exec_lo
	s_delay_alu instid0(SALU_CYCLE_1)
	s_or_b32 s26, s26, s30
	s_or_b32 exec_lo, exec_lo, s29
	s_and_saveexec_b32 s29, s26
	s_cbranch_execnz .LBB102_609
	s_branch .LBB102_610
.LBB102_629:
	s_mov_b32 s25, -1
                                        ; implicit-def: $vgpr4_vgpr5
.LBB102_630:
	s_mov_b32 s29, 0
.LBB102_631:
	s_delay_alu instid0(SALU_CYCLE_1)
	s_and_b32 vcc_lo, exec_lo, s29
	s_cbranch_vccz .LBB102_635
; %bb.632:
	s_cmp_eq_u32 s0, 11
	s_cbranch_scc0 .LBB102_634
; %bb.633:
	global_load_u8 v4, v[2:3], off
	s_mov_b32 s25, 0
	s_mov_b32 s26, -1
	s_wait_loadcnt 0x0
	v_cmp_ne_u16_e32 vcc_lo, 0, v4
	v_mov_b32_e32 v4, 0
	v_cndmask_b32_e64 v5, 0, 0x3ff00000, vcc_lo
	s_branch .LBB102_635
.LBB102_634:
	s_mov_b32 s25, -1
                                        ; implicit-def: $vgpr4_vgpr5
.LBB102_635:
	s_mov_b32 s29, 0
.LBB102_636:
	s_delay_alu instid0(SALU_CYCLE_1)
	s_and_b32 vcc_lo, exec_lo, s29
	s_cbranch_vccz .LBB102_685
; %bb.637:
	s_cmp_lt_i32 s0, 5
	s_cbranch_scc1 .LBB102_642
; %bb.638:
	s_cmp_lt_i32 s0, 8
	s_cbranch_scc1 .LBB102_643
	;; [unrolled: 3-line block ×3, first 2 shown]
; %bb.640:
	s_cmp_gt_i32 s0, 9
	s_cbranch_scc0 .LBB102_645
; %bb.641:
	global_load_b64 v[4:5], v[2:3], off
	s_mov_b32 s26, 0
	s_branch .LBB102_646
.LBB102_642:
	s_mov_b32 s26, -1
                                        ; implicit-def: $vgpr4_vgpr5
	s_branch .LBB102_664
.LBB102_643:
	s_mov_b32 s26, -1
                                        ; implicit-def: $vgpr4_vgpr5
	s_branch .LBB102_652
.LBB102_644:
	s_mov_b32 s26, -1
                                        ; implicit-def: $vgpr4_vgpr5
	s_branch .LBB102_649
.LBB102_645:
	s_mov_b32 s26, -1
                                        ; implicit-def: $vgpr4_vgpr5
.LBB102_646:
	s_delay_alu instid0(SALU_CYCLE_1)
	s_and_not1_b32 vcc_lo, exec_lo, s26
	s_cbranch_vccnz .LBB102_648
; %bb.647:
	s_wait_loadcnt 0x0
	global_load_b32 v4, v[2:3], off
	s_wait_loadcnt 0x0
	v_cvt_f64_f32_e32 v[4:5], v4
.LBB102_648:
	s_mov_b32 s26, 0
.LBB102_649:
	s_delay_alu instid0(SALU_CYCLE_1)
	s_and_not1_b32 vcc_lo, exec_lo, s26
	s_cbranch_vccnz .LBB102_651
; %bb.650:
	s_wait_loadcnt 0x0
	global_load_b32 v4, v[2:3], off
	s_wait_loadcnt 0x0
	v_cvt_f32_f16_e32 v4, v4
	s_delay_alu instid0(VALU_DEP_1)
	v_cvt_f64_f32_e32 v[4:5], v4
.LBB102_651:
	s_mov_b32 s26, 0
.LBB102_652:
	s_delay_alu instid0(SALU_CYCLE_1)
	s_and_not1_b32 vcc_lo, exec_lo, s26
	s_cbranch_vccnz .LBB102_663
; %bb.653:
	s_cmp_lt_i32 s0, 6
	s_cbranch_scc1 .LBB102_656
; %bb.654:
	s_cmp_gt_i32 s0, 6
	s_cbranch_scc0 .LBB102_657
; %bb.655:
	s_wait_loadcnt 0x0
	global_load_b64 v[4:5], v[2:3], off
	s_mov_b32 s26, 0
	s_branch .LBB102_658
.LBB102_656:
	s_mov_b32 s26, -1
                                        ; implicit-def: $vgpr4_vgpr5
	s_branch .LBB102_661
.LBB102_657:
	s_mov_b32 s26, -1
                                        ; implicit-def: $vgpr4_vgpr5
.LBB102_658:
	s_delay_alu instid0(SALU_CYCLE_1)
	s_and_not1_b32 vcc_lo, exec_lo, s26
	s_cbranch_vccnz .LBB102_660
; %bb.659:
	s_wait_loadcnt 0x0
	global_load_b32 v4, v[2:3], off
	s_wait_loadcnt 0x0
	v_cvt_f64_f32_e32 v[4:5], v4
.LBB102_660:
	s_mov_b32 s26, 0
.LBB102_661:
	s_delay_alu instid0(SALU_CYCLE_1)
	s_and_not1_b32 vcc_lo, exec_lo, s26
	s_cbranch_vccnz .LBB102_663
; %bb.662:
	s_wait_loadcnt 0x0
	global_load_u16 v4, v[2:3], off
	s_wait_loadcnt 0x0
	v_cvt_f32_f16_e32 v4, v4
	s_delay_alu instid0(VALU_DEP_1)
	v_cvt_f64_f32_e32 v[4:5], v4
.LBB102_663:
	s_mov_b32 s26, 0
.LBB102_664:
	s_delay_alu instid0(SALU_CYCLE_1)
	s_and_not1_b32 vcc_lo, exec_lo, s26
	s_cbranch_vccnz .LBB102_684
; %bb.665:
	s_cmp_lt_i32 s0, 2
	s_cbranch_scc1 .LBB102_669
; %bb.666:
	s_cmp_lt_i32 s0, 3
	s_cbranch_scc1 .LBB102_670
; %bb.667:
	s_cmp_gt_i32 s0, 3
	s_cbranch_scc0 .LBB102_671
; %bb.668:
	s_wait_loadcnt 0x0
	global_load_b64 v[4:5], v[2:3], off
	s_mov_b32 s26, 0
	s_wait_loadcnt 0x0
	v_cvt_f64_i32_e32 v[6:7], v5
	v_cvt_f64_u32_e32 v[4:5], v4
	s_delay_alu instid0(VALU_DEP_2) | instskip(NEXT) | instid1(VALU_DEP_1)
	v_ldexp_f64 v[6:7], v[6:7], 32
	v_add_f64_e32 v[4:5], v[6:7], v[4:5]
	s_branch .LBB102_672
.LBB102_669:
	s_mov_b32 s26, -1
                                        ; implicit-def: $vgpr4_vgpr5
	s_branch .LBB102_678
.LBB102_670:
	s_mov_b32 s26, -1
                                        ; implicit-def: $vgpr4_vgpr5
	s_branch .LBB102_675
.LBB102_671:
	s_mov_b32 s26, -1
                                        ; implicit-def: $vgpr4_vgpr5
.LBB102_672:
	s_delay_alu instid0(SALU_CYCLE_1)
	s_and_not1_b32 vcc_lo, exec_lo, s26
	s_cbranch_vccnz .LBB102_674
; %bb.673:
	s_wait_loadcnt 0x0
	global_load_b32 v4, v[2:3], off
	s_wait_loadcnt 0x0
	v_cvt_f64_i32_e32 v[4:5], v4
.LBB102_674:
	s_mov_b32 s26, 0
.LBB102_675:
	s_delay_alu instid0(SALU_CYCLE_1)
	s_and_not1_b32 vcc_lo, exec_lo, s26
	s_cbranch_vccnz .LBB102_677
; %bb.676:
	s_wait_loadcnt 0x0
	global_load_i16 v4, v[2:3], off
	s_wait_loadcnt 0x0
	v_cvt_f64_i32_e32 v[4:5], v4
.LBB102_677:
	s_mov_b32 s26, 0
.LBB102_678:
	s_delay_alu instid0(SALU_CYCLE_1)
	s_and_not1_b32 vcc_lo, exec_lo, s26
	s_cbranch_vccnz .LBB102_684
; %bb.679:
	s_cmp_gt_i32 s0, 0
	s_mov_b32 s0, 0
	s_cbranch_scc0 .LBB102_681
; %bb.680:
	s_wait_loadcnt 0x0
	global_load_i8 v4, v[2:3], off
	s_wait_loadcnt 0x0
	v_cvt_f64_i32_e32 v[4:5], v4
	s_branch .LBB102_682
.LBB102_681:
	s_mov_b32 s0, -1
                                        ; implicit-def: $vgpr4_vgpr5
.LBB102_682:
	s_delay_alu instid0(SALU_CYCLE_1)
	s_and_not1_b32 vcc_lo, exec_lo, s0
	s_cbranch_vccnz .LBB102_684
; %bb.683:
	global_load_u8 v2, v[2:3], off
	s_wait_loadcnt 0x0
	v_cvt_f64_u32_e32 v[4:5], v2
.LBB102_684:
	s_mov_b32 s26, -1
.LBB102_685:
	s_delay_alu instid0(SALU_CYCLE_1)
	s_and_not1_b32 vcc_lo, exec_lo, s26
	s_cbranch_vccnz .LBB102_693
; %bb.686:
	s_wait_xcnt 0x0
	v_mul_lo_u32 v2, v18, s12
	s_wait_loadcnt 0x0
	v_mul_f64_e32 v[0:1], s[6:7], v[0:1]
	s_and_b32 s26, s13, 0xff
	s_delay_alu instid0(SALU_CYCLE_1) | instskip(NEXT) | instid1(VALU_DEP_1)
	s_cmp_lt_i32 s26, 11
	v_dual_mul_f64 v[0:1], v[0:1], v[4:5] :: v_dual_ashrrev_i32 v3, 31, v2
	s_delay_alu instid0(VALU_DEP_1)
	v_add_nc_u64_e32 v[4:5], s[2:3], v[2:3]
	s_cbranch_scc1 .LBB102_694
; %bb.687:
	s_and_b32 s29, 0xffff, s26
	s_delay_alu instid0(SALU_CYCLE_1)
	s_cmp_gt_i32 s29, 25
	s_cbranch_scc0 .LBB102_695
; %bb.688:
	s_cmp_gt_i32 s29, 28
	s_cbranch_scc0 .LBB102_696
; %bb.689:
	;; [unrolled: 3-line block ×4, first 2 shown]
	s_mov_b32 s31, 0
	s_mov_b32 s0, -1
	s_cmp_eq_u32 s29, 46
	s_mov_b32 s30, 0
	s_cbranch_scc0 .LBB102_699
; %bb.692:
	s_delay_alu instid0(VALU_DEP_2) | instskip(SKIP_2) | instid1(VALU_DEP_1)
	v_cvt_f32_f64_e32 v2, v[0:1]
	s_mov_b32 s30, -1
	s_mov_b32 s0, 0
	v_bfe_u32 v3, v2, 16, 1
	v_cmp_o_f32_e32 vcc_lo, v2, v2
	s_delay_alu instid0(VALU_DEP_2) | instskip(NEXT) | instid1(VALU_DEP_1)
	v_add3_u32 v3, v2, v3, 0x7fff
	v_lshrrev_b32_e32 v3, 16, v3
	s_delay_alu instid0(VALU_DEP_1)
	v_cndmask_b32_e32 v2, 0x7fc0, v3, vcc_lo
	global_store_b32 v[4:5], v2, off
	s_branch .LBB102_699
.LBB102_693:
	s_mov_b32 s29, 0
	s_mov_b32 s0, s18
	s_branch .LBB102_430
.LBB102_694:
	s_mov_b32 s29, -1
	s_mov_b32 s30, 0
	s_mov_b32 s0, s18
	s_branch .LBB102_768
.LBB102_695:
	s_mov_b32 s31, -1
	s_mov_b32 s30, 0
	s_mov_b32 s0, s18
	s_branch .LBB102_726
.LBB102_696:
	s_mov_b32 s31, -1
	s_mov_b32 s30, 0
	s_mov_b32 s0, s18
	s_branch .LBB102_709
.LBB102_697:
	s_mov_b32 s31, -1
	s_mov_b32 s30, 0
	s_mov_b32 s0, s18
	s_branch .LBB102_705
.LBB102_698:
	s_mov_b32 s31, -1
	s_mov_b32 s30, 0
	s_mov_b32 s0, s18
.LBB102_699:
	s_and_b32 vcc_lo, exec_lo, s31
	s_cbranch_vccz .LBB102_704
; %bb.700:
	s_cmp_eq_u32 s29, 44
	s_mov_b32 s0, -1
	s_cbranch_scc0 .LBB102_704
; %bb.701:
	s_wait_xcnt 0x0
	s_delay_alu instid0(VALU_DEP_2) | instskip(SKIP_2) | instid1(VALU_DEP_2)
	v_cvt_f32_f64_e32 v2, v[0:1]
	v_mov_b32_e32 v3, 0xff
	s_mov_b32 s30, exec_lo
	v_bfe_u32 v6, v2, 23, 8
	s_delay_alu instid0(VALU_DEP_1)
	v_cmpx_ne_u32_e32 0xff, v6
	s_cbranch_execz .LBB102_703
; %bb.702:
	v_and_b32_e32 v3, 0x400000, v2
	v_and_or_b32 v6, 0x3fffff, v2, v6
	v_lshrrev_b32_e32 v2, 23, v2
	s_delay_alu instid0(VALU_DEP_3) | instskip(NEXT) | instid1(VALU_DEP_3)
	v_cmp_ne_u32_e32 vcc_lo, 0, v3
	v_cmp_ne_u32_e64 s0, 0, v6
	s_and_b32 s0, vcc_lo, s0
	s_delay_alu instid0(SALU_CYCLE_1) | instskip(NEXT) | instid1(VALU_DEP_1)
	v_cndmask_b32_e64 v3, 0, 1, s0
	v_add_nc_u32_e32 v3, v2, v3
.LBB102_703:
	s_or_b32 exec_lo, exec_lo, s30
	s_mov_b32 s30, -1
	s_mov_b32 s0, 0
	global_store_b8 v[4:5], v3, off
.LBB102_704:
	s_mov_b32 s31, 0
.LBB102_705:
	s_delay_alu instid0(SALU_CYCLE_1)
	s_and_b32 vcc_lo, exec_lo, s31
	s_cbranch_vccz .LBB102_708
; %bb.706:
	s_cmp_eq_u32 s29, 29
	s_mov_b32 s0, -1
	s_cbranch_scc0 .LBB102_708
; %bb.707:
	s_wait_xcnt 0x0
	s_delay_alu instid0(VALU_DEP_2) | instskip(SKIP_3) | instid1(VALU_DEP_1)
	v_trunc_f64_e32 v[2:3], v[0:1]
	s_mov_b32 s30, -1
	s_mov_b32 s0, 0
	s_mov_b32 s31, 0
	v_ldexp_f64 v[6:7], v[2:3], 0xffffffe0
	s_delay_alu instid0(VALU_DEP_1) | instskip(NEXT) | instid1(VALU_DEP_1)
	v_floor_f64_e32 v[6:7], v[6:7]
	v_fmamk_f64 v[2:3], v[6:7], 0xc1f00000, v[2:3]
	v_cvt_u32_f64_e32 v7, v[6:7]
	s_delay_alu instid0(VALU_DEP_2)
	v_cvt_u32_f64_e32 v6, v[2:3]
	global_store_b64 v[4:5], v[6:7], off
	s_branch .LBB102_709
.LBB102_708:
	s_mov_b32 s31, 0
.LBB102_709:
	s_delay_alu instid0(SALU_CYCLE_1)
	s_and_b32 vcc_lo, exec_lo, s31
	s_cbranch_vccz .LBB102_725
; %bb.710:
	s_cmp_lt_i32 s29, 27
	s_mov_b32 s30, -1
	s_cbranch_scc1 .LBB102_716
; %bb.711:
	s_wait_xcnt 0x0
	s_delay_alu instid0(VALU_DEP_2)
	v_cvt_u32_f64_e32 v2, v[0:1]
	s_cmp_gt_i32 s29, 27
	s_cbranch_scc0 .LBB102_713
; %bb.712:
	s_mov_b32 s30, 0
	global_store_b32 v[4:5], v2, off
.LBB102_713:
	s_and_not1_b32 vcc_lo, exec_lo, s30
	s_cbranch_vccnz .LBB102_715
; %bb.714:
	global_store_b16 v[4:5], v2, off
.LBB102_715:
	s_mov_b32 s30, 0
.LBB102_716:
	s_delay_alu instid0(SALU_CYCLE_1)
	s_and_not1_b32 vcc_lo, exec_lo, s30
	s_cbranch_vccnz .LBB102_724
; %bb.717:
	s_wait_xcnt 0x0
	s_delay_alu instid0(VALU_DEP_2) | instskip(SKIP_2) | instid1(VALU_DEP_2)
	v_cvt_f32_f64_e32 v2, v[0:1]
	v_mov_b32_e32 v6, 0x80
	s_mov_b32 s30, exec_lo
	v_and_b32_e32 v3, 0x7fffffff, v2
	s_delay_alu instid0(VALU_DEP_1)
	v_cmpx_gt_u32_e32 0x43800000, v3
	s_cbranch_execz .LBB102_723
; %bb.718:
	v_cmp_lt_u32_e32 vcc_lo, 0x3bffffff, v3
	s_mov_b32 s31, 0
                                        ; implicit-def: $vgpr3
	s_and_saveexec_b32 s33, vcc_lo
	s_delay_alu instid0(SALU_CYCLE_1)
	s_xor_b32 s33, exec_lo, s33
	s_cbranch_execz .LBB102_846
; %bb.719:
	v_bfe_u32 v3, v2, 20, 1
	s_mov_b32 s31, exec_lo
	s_delay_alu instid0(VALU_DEP_1) | instskip(NEXT) | instid1(VALU_DEP_1)
	v_add3_u32 v3, v2, v3, 0x487ffff
	v_lshrrev_b32_e32 v3, 20, v3
	s_and_not1_saveexec_b32 s33, s33
	s_cbranch_execnz .LBB102_847
.LBB102_720:
	s_or_b32 exec_lo, exec_lo, s33
	v_mov_b32_e32 v6, 0
	s_and_saveexec_b32 s33, s31
.LBB102_721:
	v_lshrrev_b32_e32 v2, 24, v2
	s_delay_alu instid0(VALU_DEP_1)
	v_and_or_b32 v6, 0x80, v2, v3
.LBB102_722:
	s_or_b32 exec_lo, exec_lo, s33
.LBB102_723:
	s_delay_alu instid0(SALU_CYCLE_1)
	s_or_b32 exec_lo, exec_lo, s30
	global_store_b8 v[4:5], v6, off
.LBB102_724:
	s_mov_b32 s30, -1
.LBB102_725:
	s_mov_b32 s31, 0
.LBB102_726:
	s_delay_alu instid0(SALU_CYCLE_1)
	s_and_b32 vcc_lo, exec_lo, s31
	s_cbranch_vccz .LBB102_767
; %bb.727:
	s_cmp_gt_i32 s29, 22
	s_mov_b32 s31, -1
	s_cbranch_scc0 .LBB102_759
; %bb.728:
	s_cmp_lt_i32 s29, 24
	s_mov_b32 s30, -1
	s_cbranch_scc1 .LBB102_748
; %bb.729:
	s_cmp_gt_i32 s29, 24
	s_cbranch_scc0 .LBB102_737
; %bb.730:
	s_wait_xcnt 0x0
	s_delay_alu instid0(VALU_DEP_2) | instskip(SKIP_2) | instid1(VALU_DEP_2)
	v_cvt_f32_f64_e32 v2, v[0:1]
	v_mov_b32_e32 v6, 0x80
	s_mov_b32 s30, exec_lo
	v_and_b32_e32 v3, 0x7fffffff, v2
	s_delay_alu instid0(VALU_DEP_1)
	v_cmpx_gt_u32_e32 0x47800000, v3
	s_cbranch_execz .LBB102_736
; %bb.731:
	v_cmp_lt_u32_e32 vcc_lo, 0x37ffffff, v3
	s_mov_b32 s31, 0
                                        ; implicit-def: $vgpr3
	s_and_saveexec_b32 s33, vcc_lo
	s_delay_alu instid0(SALU_CYCLE_1)
	s_xor_b32 s33, exec_lo, s33
	s_cbranch_execz .LBB102_977
; %bb.732:
	v_bfe_u32 v3, v2, 21, 1
	s_mov_b32 s31, exec_lo
	s_delay_alu instid0(VALU_DEP_1) | instskip(NEXT) | instid1(VALU_DEP_1)
	v_add3_u32 v3, v2, v3, 0x88fffff
	v_lshrrev_b32_e32 v3, 21, v3
	s_and_not1_saveexec_b32 s33, s33
	s_cbranch_execnz .LBB102_978
.LBB102_733:
	s_or_b32 exec_lo, exec_lo, s33
	v_mov_b32_e32 v6, 0
	s_and_saveexec_b32 s33, s31
.LBB102_734:
	v_lshrrev_b32_e32 v2, 24, v2
	s_delay_alu instid0(VALU_DEP_1)
	v_and_or_b32 v6, 0x80, v2, v3
.LBB102_735:
	s_or_b32 exec_lo, exec_lo, s33
.LBB102_736:
	s_delay_alu instid0(SALU_CYCLE_1)
	s_or_b32 exec_lo, exec_lo, s30
	s_mov_b32 s30, 0
	global_store_b8 v[4:5], v6, off
.LBB102_737:
	s_and_b32 vcc_lo, exec_lo, s30
	s_cbranch_vccz .LBB102_747
; %bb.738:
	s_wait_xcnt 0x0
	s_delay_alu instid0(VALU_DEP_2) | instskip(SKIP_1) | instid1(VALU_DEP_1)
	v_cvt_f32_f64_e32 v2, v[0:1]
	s_mov_b32 s30, exec_lo
                                        ; implicit-def: $vgpr3
	v_and_b32_e32 v6, 0x7fffffff, v2
	s_delay_alu instid0(VALU_DEP_1)
	v_cmpx_gt_u32_e32 0x43f00000, v6
	s_xor_b32 s30, exec_lo, s30
	s_cbranch_execz .LBB102_744
; %bb.739:
	s_mov_b32 s31, exec_lo
                                        ; implicit-def: $vgpr3
	v_cmpx_lt_u32_e32 0x3c7fffff, v6
	s_xor_b32 s31, exec_lo, s31
; %bb.740:
	v_bfe_u32 v3, v2, 20, 1
	s_delay_alu instid0(VALU_DEP_1) | instskip(NEXT) | instid1(VALU_DEP_1)
	v_add3_u32 v3, v2, v3, 0x407ffff
	v_and_b32_e32 v6, 0xff00000, v3
	v_lshrrev_b32_e32 v3, 20, v3
	s_delay_alu instid0(VALU_DEP_2) | instskip(NEXT) | instid1(VALU_DEP_2)
	v_cmp_ne_u32_e32 vcc_lo, 0x7f00000, v6
	v_cndmask_b32_e32 v3, 0x7e, v3, vcc_lo
; %bb.741:
	s_and_not1_saveexec_b32 s31, s31
; %bb.742:
	v_add_f32_e64 v3, 0x46800000, |v2|
; %bb.743:
	s_or_b32 exec_lo, exec_lo, s31
                                        ; implicit-def: $vgpr6
.LBB102_744:
	s_and_not1_saveexec_b32 s30, s30
; %bb.745:
	v_mov_b32_e32 v3, 0x7f
	v_cmp_lt_u32_e32 vcc_lo, 0x7f800000, v6
	s_delay_alu instid0(VALU_DEP_2)
	v_cndmask_b32_e32 v3, 0x7e, v3, vcc_lo
; %bb.746:
	s_or_b32 exec_lo, exec_lo, s30
	v_lshrrev_b32_e32 v2, 24, v2
	s_delay_alu instid0(VALU_DEP_1)
	v_and_or_b32 v2, 0x80, v2, v3
	global_store_b8 v[4:5], v2, off
.LBB102_747:
	s_mov_b32 s30, 0
.LBB102_748:
	s_delay_alu instid0(SALU_CYCLE_1)
	s_and_not1_b32 vcc_lo, exec_lo, s30
	s_cbranch_vccnz .LBB102_758
; %bb.749:
	s_wait_xcnt 0x0
	s_delay_alu instid0(VALU_DEP_2) | instskip(SKIP_1) | instid1(VALU_DEP_1)
	v_cvt_f32_f64_e32 v2, v[0:1]
	s_mov_b32 s30, exec_lo
                                        ; implicit-def: $vgpr3
	v_and_b32_e32 v6, 0x7fffffff, v2
	s_delay_alu instid0(VALU_DEP_1)
	v_cmpx_gt_u32_e32 0x47800000, v6
	s_xor_b32 s30, exec_lo, s30
	s_cbranch_execz .LBB102_755
; %bb.750:
	s_mov_b32 s31, exec_lo
                                        ; implicit-def: $vgpr3
	v_cmpx_lt_u32_e32 0x387fffff, v6
	s_xor_b32 s31, exec_lo, s31
; %bb.751:
	v_bfe_u32 v3, v2, 21, 1
	s_delay_alu instid0(VALU_DEP_1) | instskip(NEXT) | instid1(VALU_DEP_1)
	v_add3_u32 v3, v2, v3, 0x80fffff
	v_lshrrev_b32_e32 v3, 21, v3
; %bb.752:
	s_and_not1_saveexec_b32 s31, s31
; %bb.753:
	v_add_f32_e64 v3, 0x43000000, |v2|
; %bb.754:
	s_or_b32 exec_lo, exec_lo, s31
                                        ; implicit-def: $vgpr6
.LBB102_755:
	s_and_not1_saveexec_b32 s30, s30
; %bb.756:
	v_mov_b32_e32 v3, 0x7f
	v_cmp_lt_u32_e32 vcc_lo, 0x7f800000, v6
	s_delay_alu instid0(VALU_DEP_2)
	v_cndmask_b32_e32 v3, 0x7c, v3, vcc_lo
; %bb.757:
	s_or_b32 exec_lo, exec_lo, s30
	v_lshrrev_b32_e32 v2, 24, v2
	s_delay_alu instid0(VALU_DEP_1)
	v_and_or_b32 v2, 0x80, v2, v3
	global_store_b8 v[4:5], v2, off
.LBB102_758:
	s_mov_b32 s31, 0
	s_mov_b32 s30, -1
.LBB102_759:
	s_and_not1_b32 vcc_lo, exec_lo, s31
	s_cbranch_vccnz .LBB102_767
; %bb.760:
	s_cmp_gt_i32 s29, 14
	s_mov_b32 s31, -1
	s_cbranch_scc0 .LBB102_764
; %bb.761:
	s_cmp_eq_u32 s29, 15
	s_mov_b32 s0, -1
	s_cbranch_scc0 .LBB102_763
; %bb.762:
	s_wait_xcnt 0x0
	s_delay_alu instid0(VALU_DEP_2) | instskip(SKIP_2) | instid1(VALU_DEP_1)
	v_cvt_f32_f64_e32 v2, v[0:1]
	s_mov_b32 s30, -1
	s_mov_b32 s0, 0
	v_bfe_u32 v3, v2, 16, 1
	v_cmp_o_f32_e32 vcc_lo, v2, v2
	s_delay_alu instid0(VALU_DEP_2) | instskip(NEXT) | instid1(VALU_DEP_1)
	v_add3_u32 v3, v2, v3, 0x7fff
	v_lshrrev_b32_e32 v3, 16, v3
	s_delay_alu instid0(VALU_DEP_1)
	v_cndmask_b32_e32 v2, 0x7fc0, v3, vcc_lo
	global_store_b16 v[4:5], v2, off
.LBB102_763:
	s_mov_b32 s31, 0
.LBB102_764:
	s_delay_alu instid0(SALU_CYCLE_1)
	s_and_b32 vcc_lo, exec_lo, s31
	s_cbranch_vccz .LBB102_767
; %bb.765:
	s_cmp_eq_u32 s29, 11
	s_mov_b32 s0, -1
	s_cbranch_scc0 .LBB102_767
; %bb.766:
	s_delay_alu instid0(VALU_DEP_2)
	v_cmp_neq_f64_e32 vcc_lo, 0, v[0:1]
	s_mov_b32 s30, -1
	s_mov_b32 s0, 0
	s_wait_xcnt 0x0
	v_cndmask_b32_e64 v2, 0, 1, vcc_lo
	global_store_b8 v[4:5], v2, off
.LBB102_767:
	s_mov_b32 s29, 0
.LBB102_768:
	s_delay_alu instid0(SALU_CYCLE_1)
	s_and_b32 vcc_lo, exec_lo, s29
	s_cbranch_vccz .LBB102_807
; %bb.769:
	s_and_b32 s26, 0xffff, s26
	s_mov_b32 s29, -1
	s_cmp_lt_i32 s26, 5
	s_cbranch_scc1 .LBB102_790
; %bb.770:
	s_cmp_lt_i32 s26, 8
	s_cbranch_scc1 .LBB102_780
; %bb.771:
	;; [unrolled: 3-line block ×3, first 2 shown]
	s_cmp_gt_i32 s26, 9
	s_cbranch_scc0 .LBB102_774
; %bb.773:
	s_wait_xcnt 0x0
	v_mov_b32_e32 v2, 0
	s_mov_b32 s29, 0
	s_delay_alu instid0(VALU_DEP_1)
	v_mov_b32_e32 v3, v2
	global_store_b128 v[4:5], v[0:3], off
.LBB102_774:
	s_and_not1_b32 vcc_lo, exec_lo, s29
	s_cbranch_vccnz .LBB102_776
; %bb.775:
	s_wait_xcnt 0x0
	s_delay_alu instid0(VALU_DEP_2)
	v_cvt_f32_f64_e32 v2, v[0:1]
	v_mov_b32_e32 v3, 0
	global_store_b64 v[4:5], v[2:3], off
.LBB102_776:
	s_mov_b32 s29, 0
.LBB102_777:
	s_delay_alu instid0(SALU_CYCLE_1)
	s_and_not1_b32 vcc_lo, exec_lo, s29
	s_cbranch_vccnz .LBB102_779
; %bb.778:
	s_wait_xcnt 0x0
	s_delay_alu instid0(VALU_DEP_2) | instskip(SKIP_2) | instid1(VALU_DEP_3)
	v_and_or_b32 v2, 0x1ff, v1, v0
	v_lshrrev_b32_e32 v3, 8, v1
	v_bfe_u32 v6, v1, 20, 11
	v_cmp_ne_u32_e32 vcc_lo, 0, v2
	s_delay_alu instid0(VALU_DEP_2) | instskip(SKIP_1) | instid1(VALU_DEP_1)
	v_sub_nc_u32_e32 v7, 0x3f1, v6
	v_cndmask_b32_e64 v2, 0, 1, vcc_lo
	v_and_or_b32 v2, 0xffe, v3, v2
	s_delay_alu instid0(VALU_DEP_3) | instskip(NEXT) | instid1(VALU_DEP_2)
	v_med3_i32 v3, v7, 0, 13
	v_or_b32_e32 v7, 0x1000, v2
	s_delay_alu instid0(VALU_DEP_1) | instskip(NEXT) | instid1(VALU_DEP_1)
	v_lshrrev_b32_e32 v8, v3, v7
	v_lshlrev_b32_e32 v3, v3, v8
	s_delay_alu instid0(VALU_DEP_1) | instskip(SKIP_1) | instid1(VALU_DEP_1)
	v_cmp_ne_u32_e32 vcc_lo, v3, v7
	v_cndmask_b32_e64 v3, 0, 1, vcc_lo
	v_or_b32_e32 v3, v8, v3
	v_add_nc_u32_e32 v6, 0xfffffc10, v6
	s_delay_alu instid0(VALU_DEP_1) | instskip(SKIP_1) | instid1(VALU_DEP_2)
	v_lshl_or_b32 v7, v6, 12, v2
	v_cmp_gt_i32_e32 vcc_lo, 1, v6
	v_cndmask_b32_e32 v3, v7, v3, vcc_lo
	s_delay_alu instid0(VALU_DEP_1) | instskip(NEXT) | instid1(VALU_DEP_1)
	v_dual_lshrrev_b32 v3, 2, v3 :: v_dual_bitop2_b32 v7, 7, v3 bitop3:0x40
	v_cmp_lt_i32_e32 vcc_lo, 5, v7
	v_cndmask_b32_e64 v8, 0, 1, vcc_lo
	v_cmp_eq_u32_e32 vcc_lo, 3, v7
	v_cndmask_b32_e64 v7, 0, 1, vcc_lo
	v_cmp_ne_u32_e32 vcc_lo, 0, v2
	s_delay_alu instid0(VALU_DEP_2) | instskip(NEXT) | instid1(VALU_DEP_1)
	v_or_b32_e32 v7, v7, v8
	v_dual_mov_b32 v8, 0x7e00 :: v_dual_add_nc_u32 v3, v3, v7
	s_delay_alu instid0(VALU_DEP_1) | instskip(SKIP_2) | instid1(VALU_DEP_4)
	v_cndmask_b32_e32 v2, 0x7c00, v8, vcc_lo
	v_cmp_gt_i32_e32 vcc_lo, 31, v6
	v_lshrrev_b32_e32 v7, 16, v1
	v_cndmask_b32_e32 v3, 0x7c00, v3, vcc_lo
	v_cmp_eq_u32_e32 vcc_lo, 0x40f, v6
	s_delay_alu instid0(VALU_DEP_2) | instskip(NEXT) | instid1(VALU_DEP_4)
	v_cndmask_b32_e32 v2, v3, v2, vcc_lo
	v_and_b32_e32 v3, 0x8000, v7
	s_delay_alu instid0(VALU_DEP_1)
	v_bitop3_b32 v2, v3, 0xffff, v2 bitop3:0xc8
	global_store_b32 v[4:5], v2, off
.LBB102_779:
	s_mov_b32 s29, 0
.LBB102_780:
	s_delay_alu instid0(SALU_CYCLE_1)
	s_and_not1_b32 vcc_lo, exec_lo, s29
	s_cbranch_vccnz .LBB102_789
; %bb.781:
	s_cmp_lt_i32 s26, 6
	s_mov_b32 s29, -1
	s_cbranch_scc1 .LBB102_787
; %bb.782:
	s_cmp_gt_i32 s26, 6
	s_cbranch_scc0 .LBB102_784
; %bb.783:
	s_mov_b32 s29, 0
	global_store_b64 v[4:5], v[0:1], off
.LBB102_784:
	s_and_not1_b32 vcc_lo, exec_lo, s29
	s_cbranch_vccnz .LBB102_786
; %bb.785:
	s_wait_xcnt 0x0
	s_delay_alu instid0(VALU_DEP_2)
	v_cvt_f32_f64_e32 v2, v[0:1]
	global_store_b32 v[4:5], v2, off
.LBB102_786:
	s_mov_b32 s29, 0
.LBB102_787:
	s_delay_alu instid0(SALU_CYCLE_1)
	s_and_not1_b32 vcc_lo, exec_lo, s29
	s_cbranch_vccnz .LBB102_789
; %bb.788:
	s_wait_xcnt 0x0
	s_delay_alu instid0(VALU_DEP_2) | instskip(SKIP_2) | instid1(VALU_DEP_3)
	v_and_or_b32 v2, 0x1ff, v1, v0
	v_lshrrev_b32_e32 v3, 8, v1
	v_bfe_u32 v6, v1, 20, 11
	v_cmp_ne_u32_e32 vcc_lo, 0, v2
	s_delay_alu instid0(VALU_DEP_2) | instskip(SKIP_1) | instid1(VALU_DEP_1)
	v_sub_nc_u32_e32 v7, 0x3f1, v6
	v_cndmask_b32_e64 v2, 0, 1, vcc_lo
	v_and_or_b32 v2, 0xffe, v3, v2
	s_delay_alu instid0(VALU_DEP_3) | instskip(NEXT) | instid1(VALU_DEP_2)
	v_med3_i32 v3, v7, 0, 13
	v_or_b32_e32 v7, 0x1000, v2
	s_delay_alu instid0(VALU_DEP_1) | instskip(NEXT) | instid1(VALU_DEP_1)
	v_lshrrev_b32_e32 v8, v3, v7
	v_lshlrev_b32_e32 v3, v3, v8
	s_delay_alu instid0(VALU_DEP_1) | instskip(SKIP_1) | instid1(VALU_DEP_1)
	v_cmp_ne_u32_e32 vcc_lo, v3, v7
	v_cndmask_b32_e64 v3, 0, 1, vcc_lo
	v_or_b32_e32 v3, v8, v3
	v_add_nc_u32_e32 v6, 0xfffffc10, v6
	s_delay_alu instid0(VALU_DEP_1) | instskip(SKIP_1) | instid1(VALU_DEP_2)
	v_lshl_or_b32 v7, v6, 12, v2
	v_cmp_gt_i32_e32 vcc_lo, 1, v6
	v_cndmask_b32_e32 v3, v7, v3, vcc_lo
	s_delay_alu instid0(VALU_DEP_1) | instskip(NEXT) | instid1(VALU_DEP_1)
	v_dual_lshrrev_b32 v3, 2, v3 :: v_dual_bitop2_b32 v7, 7, v3 bitop3:0x40
	v_cmp_lt_i32_e32 vcc_lo, 5, v7
	v_cndmask_b32_e64 v8, 0, 1, vcc_lo
	v_cmp_eq_u32_e32 vcc_lo, 3, v7
	v_cndmask_b32_e64 v7, 0, 1, vcc_lo
	v_cmp_ne_u32_e32 vcc_lo, 0, v2
	s_delay_alu instid0(VALU_DEP_2) | instskip(NEXT) | instid1(VALU_DEP_1)
	v_or_b32_e32 v7, v7, v8
	v_dual_mov_b32 v8, 0x7e00 :: v_dual_add_nc_u32 v3, v3, v7
	s_delay_alu instid0(VALU_DEP_1) | instskip(SKIP_1) | instid1(VALU_DEP_3)
	v_cndmask_b32_e32 v2, 0x7c00, v8, vcc_lo
	v_cmp_gt_i32_e32 vcc_lo, 31, v6
	v_cndmask_b32_e32 v3, 0x7c00, v3, vcc_lo
	v_cmp_eq_u32_e32 vcc_lo, 0x40f, v6
	s_delay_alu instid0(VALU_DEP_2) | instskip(NEXT) | instid1(VALU_DEP_1)
	v_dual_cndmask_b32 v2, v3, v2 :: v_dual_lshrrev_b32 v3, 16, v1
	v_and_or_b32 v2, 0x8000, v3, v2
	global_store_b16 v[4:5], v2, off
.LBB102_789:
	s_mov_b32 s29, 0
.LBB102_790:
	s_delay_alu instid0(SALU_CYCLE_1)
	s_and_not1_b32 vcc_lo, exec_lo, s29
	s_cbranch_vccnz .LBB102_806
; %bb.791:
	s_cmp_lt_i32 s26, 2
	s_mov_b32 s29, -1
	s_cbranch_scc1 .LBB102_801
; %bb.792:
	s_cmp_lt_i32 s26, 3
	s_cbranch_scc1 .LBB102_798
; %bb.793:
	s_cmp_gt_i32 s26, 3
	s_cbranch_scc0 .LBB102_795
; %bb.794:
	s_wait_xcnt 0x0
	s_delay_alu instid0(VALU_DEP_2) | instskip(SKIP_1) | instid1(VALU_DEP_1)
	v_trunc_f64_e32 v[2:3], v[0:1]
	s_mov_b32 s29, 0
	v_ldexp_f64 v[6:7], v[2:3], 0xffffffe0
	s_delay_alu instid0(VALU_DEP_1) | instskip(NEXT) | instid1(VALU_DEP_1)
	v_floor_f64_e32 v[6:7], v[6:7]
	v_fmamk_f64 v[2:3], v[6:7], 0xc1f00000, v[2:3]
	v_cvt_i32_f64_e32 v7, v[6:7]
	s_delay_alu instid0(VALU_DEP_2)
	v_cvt_u32_f64_e32 v6, v[2:3]
	global_store_b64 v[4:5], v[6:7], off
.LBB102_795:
	s_and_not1_b32 vcc_lo, exec_lo, s29
	s_cbranch_vccnz .LBB102_797
; %bb.796:
	s_wait_xcnt 0x0
	s_delay_alu instid0(VALU_DEP_2)
	v_cvt_i32_f64_e32 v2, v[0:1]
	global_store_b32 v[4:5], v2, off
.LBB102_797:
	s_mov_b32 s29, 0
.LBB102_798:
	s_delay_alu instid0(SALU_CYCLE_1)
	s_and_not1_b32 vcc_lo, exec_lo, s29
	s_cbranch_vccnz .LBB102_800
; %bb.799:
	s_wait_xcnt 0x0
	s_delay_alu instid0(VALU_DEP_2)
	v_cvt_i32_f64_e32 v2, v[0:1]
	global_store_b16 v[4:5], v2, off
.LBB102_800:
	s_mov_b32 s29, 0
.LBB102_801:
	s_delay_alu instid0(SALU_CYCLE_1)
	s_and_not1_b32 vcc_lo, exec_lo, s29
	s_cbranch_vccnz .LBB102_806
; %bb.802:
	s_cmp_gt_i32 s26, 0
	s_mov_b32 s26, -1
	s_cbranch_scc0 .LBB102_804
; %bb.803:
	s_wait_xcnt 0x0
	s_delay_alu instid0(VALU_DEP_2)
	v_cvt_i32_f64_e32 v2, v[0:1]
	s_mov_b32 s26, 0
	global_store_b8 v[4:5], v2, off
.LBB102_804:
	s_and_not1_b32 vcc_lo, exec_lo, s26
	s_cbranch_vccnz .LBB102_806
; %bb.805:
	s_wait_xcnt 0x0
	s_delay_alu instid0(VALU_DEP_2) | instskip(NEXT) | instid1(VALU_DEP_1)
	v_trunc_f64_e32 v[0:1], v[0:1]
	v_ldexp_f64 v[2:3], v[0:1], 0xffffffe0
	s_delay_alu instid0(VALU_DEP_1) | instskip(NEXT) | instid1(VALU_DEP_1)
	v_floor_f64_e32 v[2:3], v[2:3]
	v_fmamk_f64 v[0:1], v[2:3], 0xc1f00000, v[0:1]
	s_delay_alu instid0(VALU_DEP_1)
	v_cvt_u32_f64_e32 v0, v[0:1]
	global_store_b8 v[4:5], v0, off
.LBB102_806:
	s_mov_b32 s30, -1
.LBB102_807:
	s_delay_alu instid0(SALU_CYCLE_1)
	s_and_not1_b32 vcc_lo, exec_lo, s30
	s_cbranch_vccnz .LBB102_818
; %bb.808:
	v_add_nc_u32_e32 v18, 0x80, v18
	s_mov_b32 s29, -1
.LBB102_809:
	s_and_not1_b32 s26, s18, exec_lo
	s_and_b32 s0, s0, exec_lo
	s_and_not1_b32 s30, s20, exec_lo
	s_and_b32 s31, s25, exec_lo
	s_or_b32 s25, s26, s0
	s_or_b32 s26, s30, s31
	s_and_not1_b32 s0, s21, exec_lo
	s_and_b32 s24, s24, exec_lo
	s_and_not1_b32 s30, s22, exec_lo
	s_and_b32 s31, s27, exec_lo
	s_or_b32 s27, s0, s24
	s_or_b32 s24, s30, s31
	s_or_not1_b32 s29, s29, exec_lo
.LBB102_810:
	s_wait_xcnt 0x0
	s_or_b32 exec_lo, exec_lo, s28
	s_mov_b32 s0, 0
	s_and_saveexec_b32 s28, s29
	s_cbranch_execz .LBB102_1244
; %bb.811:
	s_mov_b32 s31, -1
	s_mov_b32 s0, s24
	s_mov_b32 s30, s27
	;; [unrolled: 1-line block ×4, first 2 shown]
	s_mov_b32 s29, exec_lo
	v_cmpx_gt_i32_e64 s19, v18
	s_cbranch_execz .LBB102_1220
; %bb.812:
	s_and_b32 s30, s16, 0xff
	s_delay_alu instid0(SALU_CYCLE_1)
	s_cmp_lt_i32 s30, 23
	s_cbranch_scc1 .LBB102_816
; %bb.813:
	s_and_b32 s33, 0xffff, s30
	s_delay_alu instid0(SALU_CYCLE_1)
	s_cmp_gt_i32 s33, 43
	s_cbranch_scc0 .LBB102_817
; %bb.814:
	s_cmp_gt_i32 s33, 45
	s_cbranch_scc0 .LBB102_819
; %bb.815:
	s_cmp_eq_u32 s33, 46
	s_mov_b32 s34, 0
	s_cselect_b32 s0, -1, 0
	s_or_b32 s31, s24, exec_lo
	s_branch .LBB102_820
.LBB102_816:
	s_mov_b32 s33, -1
	s_mov_b32 s0, 0
	s_mov_b32 s31, s24
	s_branch .LBB102_826
.LBB102_817:
	s_mov_b32 s34, -1
	s_mov_b32 s0, 0
	s_mov_b32 s31, s24
	s_branch .LBB102_823
.LBB102_818:
	s_mov_b32 s29, 0
	s_branch .LBB102_430
.LBB102_819:
	s_mov_b32 s34, -1
	s_mov_b32 s0, 0
	s_mov_b32 s31, s24
.LBB102_820:
	s_and_not1_b32 vcc_lo, exec_lo, s34
	s_cbranch_vccnz .LBB102_822
; %bb.821:
	s_cmp_eq_u32 s33, 44
	s_cselect_b32 s0, -1, 0
	s_cmp_lg_u32 s33, 44
	s_cselect_b32 s34, -1, 0
	s_and_not1_b32 s31, s31, exec_lo
	s_and_b32 s34, s34, exec_lo
	s_delay_alu instid0(SALU_CYCLE_1)
	s_or_b32 s31, s31, s34
.LBB102_822:
	s_mov_b32 s34, 0
.LBB102_823:
	s_delay_alu instid0(SALU_CYCLE_1)
	s_and_b32 vcc_lo, exec_lo, s34
	s_cbranch_vccz .LBB102_825
; %bb.824:
	s_cmp_lt_i32 s33, 30
	s_cselect_b32 s0, -1, 0
	s_cmp_gt_i32 s33, 29
	s_cselect_b32 s33, -1, 0
	s_and_not1_b32 s31, s31, exec_lo
	s_and_b32 s33, s33, exec_lo
	s_delay_alu instid0(SALU_CYCLE_1)
	s_or_b32 s31, s31, s33
.LBB102_825:
	s_mov_b32 s33, 0
.LBB102_826:
	s_delay_alu instid0(SALU_CYCLE_1)
	s_and_b32 vcc_lo, exec_lo, s33
	s_cbranch_vccz .LBB102_831
; %bb.827:
	s_and_b32 s30, 0xffff, s30
	s_mov_b32 s33, -1
	s_cmp_gt_i32 s30, 14
	s_cbranch_scc0 .LBB102_829
; %bb.828:
	s_cmp_eq_u32 s30, 15
	s_cselect_b32 s0, -1, 0
	s_cmp_lg_u32 s30, 15
	s_cselect_b32 s33, -1, 0
	s_and_not1_b32 s31, s31, exec_lo
	s_and_b32 s34, s33, exec_lo
	s_mov_b32 s33, 0
	s_or_b32 s31, s31, s34
.LBB102_829:
	s_and_not1_b32 vcc_lo, exec_lo, s33
	s_cbranch_vccnz .LBB102_831
; %bb.830:
	s_cmp_lt_i32 s30, 12
	s_cselect_b32 s0, -1, 0
	s_cmp_gt_i32 s30, 11
	s_cselect_b32 s30, -1, 0
	s_and_not1_b32 s31, s31, exec_lo
	s_and_b32 s30, s30, exec_lo
	s_delay_alu instid0(SALU_CYCLE_1)
	s_or_b32 s31, s31, s30
.LBB102_831:
	s_and_b32 vcc_lo, exec_lo, s0
	s_cbranch_vccz .LBB102_839
; %bb.832:
	s_wait_loadcnt 0x0
	v_mul_lo_u32 v0, v18, s4
	s_and_b32 s0, s14, 0xff
	s_delay_alu instid0(SALU_CYCLE_1) | instskip(NEXT) | instid1(VALU_DEP_1)
	s_cmp_lt_i32 s0, 11
	v_ashrrev_i32_e32 v1, 31, v0
	s_delay_alu instid0(VALU_DEP_1)
	v_add_nc_u64_e32 v[2:3], s[8:9], v[0:1]
	s_cbranch_scc1 .LBB102_841
; %bb.833:
	s_and_b32 s31, 0xffff, s0
	s_delay_alu instid0(SALU_CYCLE_1)
	s_cmp_gt_i32 s31, 25
	s_cbranch_scc0 .LBB102_842
; %bb.834:
	s_cmp_gt_i32 s31, 28
	s_cbranch_scc0 .LBB102_843
; %bb.835:
	;; [unrolled: 3-line block ×4, first 2 shown]
	s_cmp_eq_u32 s31, 46
	s_mov_b32 s34, 0
	s_cbranch_scc0 .LBB102_848
; %bb.838:
	global_load_b32 v0, v[2:3], off
	s_mov_b32 s33, -1
	s_mov_b32 s30, 0
	s_wait_loadcnt 0x0
	v_lshlrev_b32_e32 v0, 16, v0
	s_delay_alu instid0(VALU_DEP_1)
	v_cvt_f64_f32_e32 v[0:1], v0
	s_branch .LBB102_850
.LBB102_839:
	s_mov_b32 s35, 0
	s_mov_b32 s0, s25
	s_mov_b32 s33, s26
	s_mov_b32 s30, s27
.LBB102_840:
                                        ; implicit-def: $vgpr18
	s_branch .LBB102_1219
.LBB102_841:
	s_mov_b32 s31, -1
	s_mov_b32 s33, 0
	s_mov_b32 s30, s27
                                        ; implicit-def: $vgpr0_vgpr1
	s_branch .LBB102_915
.LBB102_842:
	s_mov_b32 s34, -1
	s_mov_b32 s33, 0
	s_mov_b32 s30, s27
                                        ; implicit-def: $vgpr0_vgpr1
	s_branch .LBB102_879
.LBB102_843:
	s_mov_b32 s34, -1
	s_mov_b32 s33, 0
	s_mov_b32 s30, s27
                                        ; implicit-def: $vgpr0_vgpr1
	s_branch .LBB102_860
.LBB102_844:
	s_mov_b32 s34, -1
	s_mov_b32 s33, 0
	s_mov_b32 s30, s27
                                        ; implicit-def: $vgpr0_vgpr1
	s_branch .LBB102_855
.LBB102_845:
	s_mov_b32 s34, -1
	s_mov_b32 s33, 0
	s_mov_b32 s30, s27
	s_branch .LBB102_849
.LBB102_846:
	s_and_not1_saveexec_b32 s33, s33
	s_cbranch_execz .LBB102_720
.LBB102_847:
	v_add_f32_e64 v3, 0x46000000, |v2|
	s_and_not1_b32 s31, s31, exec_lo
	s_delay_alu instid0(VALU_DEP_1) | instskip(NEXT) | instid1(VALU_DEP_1)
	v_and_b32_e32 v3, 0xff, v3
	v_cmp_ne_u32_e32 vcc_lo, 0, v3
	s_and_b32 s34, vcc_lo, exec_lo
	s_delay_alu instid0(SALU_CYCLE_1)
	s_or_b32 s31, s31, s34
	s_or_b32 exec_lo, exec_lo, s33
	v_mov_b32_e32 v6, 0
	s_and_saveexec_b32 s33, s31
	s_cbranch_execnz .LBB102_721
	s_branch .LBB102_722
.LBB102_848:
	s_mov_b32 s30, -1
	s_mov_b32 s33, 0
.LBB102_849:
                                        ; implicit-def: $vgpr0_vgpr1
.LBB102_850:
	s_and_b32 vcc_lo, exec_lo, s34
	s_cbranch_vccz .LBB102_854
; %bb.851:
	s_cmp_eq_u32 s31, 44
	s_cbranch_scc0 .LBB102_853
; %bb.852:
	global_load_u8 v4, v[2:3], off
	s_mov_b32 s30, 0
	s_mov_b32 s33, -1
	s_wait_loadcnt 0x0
	v_cmp_ne_u32_e32 vcc_lo, 0xff, v4
	v_lshlrev_b32_e32 v0, 23, v4
	s_delay_alu instid0(VALU_DEP_1) | instskip(NEXT) | instid1(VALU_DEP_1)
	v_cvt_f64_f32_e32 v[0:1], v0
	v_cndmask_b32_e32 v0, 0x20000000, v0, vcc_lo
	s_delay_alu instid0(VALU_DEP_2) | instskip(SKIP_1) | instid1(VALU_DEP_2)
	v_cndmask_b32_e32 v1, 0x7ff80000, v1, vcc_lo
	v_cmp_ne_u32_e32 vcc_lo, 0, v4
	v_cndmask_b32_e32 v1, 0x38000000, v1, vcc_lo
	s_delay_alu instid0(VALU_DEP_4)
	v_cndmask_b32_e32 v0, 0, v0, vcc_lo
	s_branch .LBB102_854
.LBB102_853:
	s_mov_b32 s30, -1
                                        ; implicit-def: $vgpr0_vgpr1
.LBB102_854:
	s_mov_b32 s34, 0
.LBB102_855:
	s_delay_alu instid0(SALU_CYCLE_1)
	s_and_b32 vcc_lo, exec_lo, s34
	s_cbranch_vccz .LBB102_859
; %bb.856:
	s_cmp_eq_u32 s31, 29
	s_cbranch_scc0 .LBB102_858
; %bb.857:
	global_load_b64 v[0:1], v[2:3], off
	s_mov_b32 s33, -1
	s_mov_b32 s30, 0
	s_mov_b32 s34, 0
	s_wait_loadcnt 0x0
	v_cvt_f64_u32_e32 v[4:5], v1
	v_cvt_f64_u32_e32 v[0:1], v0
	s_delay_alu instid0(VALU_DEP_2) | instskip(NEXT) | instid1(VALU_DEP_1)
	v_ldexp_f64 v[4:5], v[4:5], 32
	v_add_f64_e32 v[0:1], v[4:5], v[0:1]
	s_branch .LBB102_860
.LBB102_858:
	s_mov_b32 s30, -1
                                        ; implicit-def: $vgpr0_vgpr1
.LBB102_859:
	s_mov_b32 s34, 0
.LBB102_860:
	s_delay_alu instid0(SALU_CYCLE_1)
	s_and_b32 vcc_lo, exec_lo, s34
	s_cbranch_vccz .LBB102_878
; %bb.861:
	s_cmp_lt_i32 s31, 27
	s_cbranch_scc1 .LBB102_864
; %bb.862:
	s_cmp_gt_i32 s31, 27
	s_cbranch_scc0 .LBB102_865
; %bb.863:
	global_load_b32 v0, v[2:3], off
	s_mov_b32 s33, 0
	s_wait_loadcnt 0x0
	v_cvt_f64_u32_e32 v[0:1], v0
	s_branch .LBB102_866
.LBB102_864:
	s_mov_b32 s33, -1
                                        ; implicit-def: $vgpr0_vgpr1
	s_branch .LBB102_869
.LBB102_865:
	s_mov_b32 s33, -1
                                        ; implicit-def: $vgpr0_vgpr1
.LBB102_866:
	s_delay_alu instid0(SALU_CYCLE_1)
	s_and_not1_b32 vcc_lo, exec_lo, s33
	s_cbranch_vccnz .LBB102_868
; %bb.867:
	global_load_u16 v0, v[2:3], off
	s_wait_loadcnt 0x0
	v_cvt_f64_u32_e32 v[0:1], v0
.LBB102_868:
	s_mov_b32 s33, 0
.LBB102_869:
	s_delay_alu instid0(SALU_CYCLE_1)
	s_and_not1_b32 vcc_lo, exec_lo, s33
	s_cbranch_vccnz .LBB102_877
; %bb.870:
	global_load_u8 v4, v[2:3], off
	s_mov_b32 s33, 0
	s_mov_b32 s34, exec_lo
	s_wait_loadcnt 0x0
	v_cmpx_lt_i16_e32 0x7f, v4
	s_xor_b32 s34, exec_lo, s34
	s_cbranch_execz .LBB102_891
; %bb.871:
	s_mov_b32 s33, -1
	s_mov_b32 s35, exec_lo
	v_cmpx_eq_u16_e32 0x80, v4
; %bb.872:
	s_xor_b32 s33, exec_lo, -1
; %bb.873:
	s_or_b32 exec_lo, exec_lo, s35
	s_delay_alu instid0(SALU_CYCLE_1)
	s_and_b32 s33, s33, exec_lo
	s_or_saveexec_b32 s34, s34
	v_mov_b64_e32 v[0:1], 0x7ff8000020000000
	s_xor_b32 exec_lo, exec_lo, s34
	s_cbranch_execnz .LBB102_892
.LBB102_874:
	s_or_b32 exec_lo, exec_lo, s34
	s_and_saveexec_b32 s34, s33
	s_cbranch_execz .LBB102_876
.LBB102_875:
	v_and_b32_e32 v0, 0xffff, v4
	s_delay_alu instid0(VALU_DEP_1) | instskip(SKIP_1) | instid1(VALU_DEP_2)
	v_and_b32_e32 v1, 7, v0
	v_bfe_u32 v7, v0, 3, 4
	v_clz_i32_u32_e32 v5, v1
	s_delay_alu instid0(VALU_DEP_2) | instskip(NEXT) | instid1(VALU_DEP_2)
	v_cmp_eq_u32_e32 vcc_lo, 0, v7
	v_min_u32_e32 v5, 32, v5
	s_delay_alu instid0(VALU_DEP_1) | instskip(NEXT) | instid1(VALU_DEP_1)
	v_subrev_nc_u32_e32 v6, 28, v5
	v_dual_lshlrev_b32 v0, v6, v0 :: v_dual_sub_nc_u32 v5, 29, v5
	s_delay_alu instid0(VALU_DEP_1) | instskip(NEXT) | instid1(VALU_DEP_2)
	v_and_b32_e32 v0, 7, v0
	v_dual_cndmask_b32 v5, v7, v5 :: v_dual_lshlrev_b32 v4, 24, v4
	s_delay_alu instid0(VALU_DEP_2) | instskip(NEXT) | instid1(VALU_DEP_2)
	v_cndmask_b32_e32 v0, v1, v0, vcc_lo
	v_and_b32_e32 v1, 0x80000000, v4
	s_delay_alu instid0(VALU_DEP_3) | instskip(NEXT) | instid1(VALU_DEP_3)
	v_lshl_add_u32 v4, v5, 23, 0x3b800000
	v_lshlrev_b32_e32 v0, 20, v0
	s_delay_alu instid0(VALU_DEP_1) | instskip(NEXT) | instid1(VALU_DEP_1)
	v_or3_b32 v0, v1, v4, v0
	v_cvt_f64_f32_e32 v[0:1], v0
.LBB102_876:
	s_or_b32 exec_lo, exec_lo, s34
.LBB102_877:
	s_mov_b32 s33, -1
.LBB102_878:
	s_mov_b32 s34, 0
.LBB102_879:
	s_delay_alu instid0(SALU_CYCLE_1)
	s_and_b32 vcc_lo, exec_lo, s34
	s_cbranch_vccz .LBB102_914
; %bb.880:
	s_cmp_gt_i32 s31, 22
	s_cbranch_scc0 .LBB102_890
; %bb.881:
	s_cmp_lt_i32 s31, 24
	s_cbranch_scc1 .LBB102_893
; %bb.882:
	s_cmp_gt_i32 s31, 24
	s_cbranch_scc0 .LBB102_894
; %bb.883:
	global_load_u8 v4, v[2:3], off
	s_mov_b32 s33, 0
	s_mov_b32 s34, exec_lo
	s_wait_loadcnt 0x0
	v_cmpx_lt_i16_e32 0x7f, v4
	s_xor_b32 s34, exec_lo, s34
	s_cbranch_execz .LBB102_906
; %bb.884:
	s_mov_b32 s33, -1
	s_mov_b32 s35, exec_lo
	v_cmpx_eq_u16_e32 0x80, v4
; %bb.885:
	s_xor_b32 s33, exec_lo, -1
; %bb.886:
	s_or_b32 exec_lo, exec_lo, s35
	s_delay_alu instid0(SALU_CYCLE_1)
	s_and_b32 s33, s33, exec_lo
	s_or_saveexec_b32 s34, s34
	v_mov_b64_e32 v[0:1], 0x7ff8000020000000
	s_xor_b32 exec_lo, exec_lo, s34
	s_cbranch_execnz .LBB102_907
.LBB102_887:
	s_or_b32 exec_lo, exec_lo, s34
	s_and_saveexec_b32 s34, s33
	s_cbranch_execz .LBB102_889
.LBB102_888:
	v_and_b32_e32 v0, 0xffff, v4
	s_delay_alu instid0(VALU_DEP_1) | instskip(SKIP_1) | instid1(VALU_DEP_2)
	v_and_b32_e32 v1, 3, v0
	v_bfe_u32 v7, v0, 2, 5
	v_clz_i32_u32_e32 v5, v1
	s_delay_alu instid0(VALU_DEP_2) | instskip(NEXT) | instid1(VALU_DEP_2)
	v_cmp_eq_u32_e32 vcc_lo, 0, v7
	v_min_u32_e32 v5, 32, v5
	s_delay_alu instid0(VALU_DEP_1) | instskip(NEXT) | instid1(VALU_DEP_1)
	v_subrev_nc_u32_e32 v6, 29, v5
	v_dual_lshlrev_b32 v0, v6, v0 :: v_dual_sub_nc_u32 v5, 30, v5
	s_delay_alu instid0(VALU_DEP_1) | instskip(NEXT) | instid1(VALU_DEP_2)
	v_and_b32_e32 v0, 3, v0
	v_dual_cndmask_b32 v5, v7, v5 :: v_dual_lshlrev_b32 v4, 24, v4
	s_delay_alu instid0(VALU_DEP_2) | instskip(NEXT) | instid1(VALU_DEP_2)
	v_cndmask_b32_e32 v0, v1, v0, vcc_lo
	v_and_b32_e32 v1, 0x80000000, v4
	s_delay_alu instid0(VALU_DEP_3) | instskip(NEXT) | instid1(VALU_DEP_3)
	v_lshl_add_u32 v4, v5, 23, 0x37800000
	v_lshlrev_b32_e32 v0, 21, v0
	s_delay_alu instid0(VALU_DEP_1) | instskip(NEXT) | instid1(VALU_DEP_1)
	v_or3_b32 v0, v1, v4, v0
	v_cvt_f64_f32_e32 v[0:1], v0
.LBB102_889:
	s_or_b32 exec_lo, exec_lo, s34
	s_mov_b32 s33, 0
	s_branch .LBB102_895
.LBB102_890:
	s_mov_b32 s34, -1
                                        ; implicit-def: $vgpr0_vgpr1
	s_branch .LBB102_901
.LBB102_891:
	s_or_saveexec_b32 s34, s34
	v_mov_b64_e32 v[0:1], 0x7ff8000020000000
	s_xor_b32 exec_lo, exec_lo, s34
	s_cbranch_execz .LBB102_874
.LBB102_892:
	v_cmp_ne_u16_e32 vcc_lo, 0, v4
	v_mov_b64_e32 v[0:1], 0
	s_and_not1_b32 s33, s33, exec_lo
	s_and_b32 s35, vcc_lo, exec_lo
	s_delay_alu instid0(SALU_CYCLE_1)
	s_or_b32 s33, s33, s35
	s_or_b32 exec_lo, exec_lo, s34
	s_and_saveexec_b32 s34, s33
	s_cbranch_execnz .LBB102_875
	s_branch .LBB102_876
.LBB102_893:
	s_mov_b32 s33, -1
                                        ; implicit-def: $vgpr0_vgpr1
	s_branch .LBB102_898
.LBB102_894:
	s_mov_b32 s33, -1
                                        ; implicit-def: $vgpr0_vgpr1
.LBB102_895:
	s_delay_alu instid0(SALU_CYCLE_1)
	s_and_b32 vcc_lo, exec_lo, s33
	s_cbranch_vccz .LBB102_897
; %bb.896:
	global_load_u8 v0, v[2:3], off
	s_wait_loadcnt 0x0
	v_lshlrev_b32_e32 v0, 24, v0
	s_delay_alu instid0(VALU_DEP_1) | instskip(NEXT) | instid1(VALU_DEP_1)
	v_and_b32_e32 v1, 0x7f000000, v0
	v_clz_i32_u32_e32 v4, v1
	v_cmp_ne_u32_e32 vcc_lo, 0, v1
	v_add_nc_u32_e32 v6, 0x1000000, v1
	s_delay_alu instid0(VALU_DEP_3) | instskip(NEXT) | instid1(VALU_DEP_1)
	v_min_u32_e32 v4, 32, v4
	v_sub_nc_u32_e64 v4, v4, 4 clamp
	s_delay_alu instid0(VALU_DEP_1) | instskip(NEXT) | instid1(VALU_DEP_1)
	v_dual_lshlrev_b32 v5, v4, v1 :: v_dual_lshlrev_b32 v4, 23, v4
	v_lshrrev_b32_e32 v5, 4, v5
	s_delay_alu instid0(VALU_DEP_1) | instskip(NEXT) | instid1(VALU_DEP_1)
	v_dual_sub_nc_u32 v4, v5, v4 :: v_dual_ashrrev_i32 v5, 8, v6
	v_add_nc_u32_e32 v4, 0x3c000000, v4
	s_delay_alu instid0(VALU_DEP_1) | instskip(NEXT) | instid1(VALU_DEP_1)
	v_and_or_b32 v4, 0x7f800000, v5, v4
	v_cndmask_b32_e32 v1, 0, v4, vcc_lo
	s_delay_alu instid0(VALU_DEP_1) | instskip(NEXT) | instid1(VALU_DEP_1)
	v_and_or_b32 v0, 0x80000000, v0, v1
	v_cvt_f64_f32_e32 v[0:1], v0
.LBB102_897:
	s_mov_b32 s33, 0
.LBB102_898:
	s_delay_alu instid0(SALU_CYCLE_1)
	s_and_not1_b32 vcc_lo, exec_lo, s33
	s_cbranch_vccnz .LBB102_900
; %bb.899:
	global_load_u8 v0, v[2:3], off
	s_wait_loadcnt 0x0
	v_lshlrev_b32_e32 v1, 25, v0
	v_lshlrev_b16 v0, 8, v0
	s_delay_alu instid0(VALU_DEP_1) | instskip(SKIP_1) | instid1(VALU_DEP_2)
	v_and_or_b32 v5, 0x7f00, v0, 0.5
	v_bfe_i32 v0, v0, 0, 16
	v_add_f32_e32 v5, -0.5, v5
	v_lshrrev_b32_e32 v4, 4, v1
	v_cmp_gt_u32_e32 vcc_lo, 0x8000000, v1
	s_delay_alu instid0(VALU_DEP_2) | instskip(NEXT) | instid1(VALU_DEP_1)
	v_or_b32_e32 v4, 0x70000000, v4
	v_mul_f32_e32 v4, 0x7800000, v4
	s_delay_alu instid0(VALU_DEP_1) | instskip(NEXT) | instid1(VALU_DEP_1)
	v_cndmask_b32_e32 v1, v4, v5, vcc_lo
	v_and_or_b32 v0, 0x80000000, v0, v1
	s_delay_alu instid0(VALU_DEP_1)
	v_cvt_f64_f32_e32 v[0:1], v0
.LBB102_900:
	s_mov_b32 s34, 0
	s_mov_b32 s33, -1
.LBB102_901:
	s_and_not1_b32 vcc_lo, exec_lo, s34
	s_cbranch_vccnz .LBB102_914
; %bb.902:
	s_cmp_gt_i32 s31, 14
	s_cbranch_scc0 .LBB102_905
; %bb.903:
	s_cmp_eq_u32 s31, 15
	s_cbranch_scc0 .LBB102_908
; %bb.904:
	global_load_u16 v0, v[2:3], off
	s_mov_b32 s33, -1
	s_mov_b32 s30, 0
	s_wait_loadcnt 0x0
	v_lshlrev_b32_e32 v0, 16, v0
	s_delay_alu instid0(VALU_DEP_1)
	v_cvt_f64_f32_e32 v[0:1], v0
	s_branch .LBB102_909
.LBB102_905:
	s_mov_b32 s34, -1
                                        ; implicit-def: $vgpr0_vgpr1
	s_branch .LBB102_910
.LBB102_906:
	s_or_saveexec_b32 s34, s34
	v_mov_b64_e32 v[0:1], 0x7ff8000020000000
	s_xor_b32 exec_lo, exec_lo, s34
	s_cbranch_execz .LBB102_887
.LBB102_907:
	v_cmp_ne_u16_e32 vcc_lo, 0, v4
	v_mov_b64_e32 v[0:1], 0
	s_and_not1_b32 s33, s33, exec_lo
	s_and_b32 s35, vcc_lo, exec_lo
	s_delay_alu instid0(SALU_CYCLE_1)
	s_or_b32 s33, s33, s35
	s_or_b32 exec_lo, exec_lo, s34
	s_and_saveexec_b32 s34, s33
	s_cbranch_execnz .LBB102_888
	s_branch .LBB102_889
.LBB102_908:
	s_mov_b32 s30, -1
                                        ; implicit-def: $vgpr0_vgpr1
.LBB102_909:
	s_mov_b32 s34, 0
.LBB102_910:
	s_delay_alu instid0(SALU_CYCLE_1)
	s_and_b32 vcc_lo, exec_lo, s34
	s_cbranch_vccz .LBB102_914
; %bb.911:
	s_cmp_eq_u32 s31, 11
	s_cbranch_scc0 .LBB102_913
; %bb.912:
	global_load_u8 v0, v[2:3], off
	s_mov_b32 s30, 0
	s_mov_b32 s33, -1
	s_wait_loadcnt 0x0
	v_cmp_ne_u16_e32 vcc_lo, 0, v0
	v_mov_b32_e32 v0, 0
	v_cndmask_b32_e64 v1, 0, 0x3ff00000, vcc_lo
	s_branch .LBB102_914
.LBB102_913:
	s_mov_b32 s30, -1
                                        ; implicit-def: $vgpr0_vgpr1
.LBB102_914:
	s_mov_b32 s31, 0
.LBB102_915:
	s_delay_alu instid0(SALU_CYCLE_1)
	s_and_b32 vcc_lo, exec_lo, s31
	s_cbranch_vccz .LBB102_964
; %bb.916:
	s_and_b32 s0, 0xffff, s0
	s_delay_alu instid0(SALU_CYCLE_1)
	s_cmp_lt_i32 s0, 5
	s_cbranch_scc1 .LBB102_921
; %bb.917:
	s_cmp_lt_i32 s0, 8
	s_cbranch_scc1 .LBB102_922
; %bb.918:
	;; [unrolled: 3-line block ×3, first 2 shown]
	s_cmp_gt_i32 s0, 9
	s_cbranch_scc0 .LBB102_924
; %bb.920:
	global_load_b64 v[0:1], v[2:3], off
	s_mov_b32 s31, 0
	s_branch .LBB102_925
.LBB102_921:
	s_mov_b32 s31, -1
                                        ; implicit-def: $vgpr0_vgpr1
	s_branch .LBB102_943
.LBB102_922:
	s_mov_b32 s31, -1
                                        ; implicit-def: $vgpr0_vgpr1
	s_branch .LBB102_931
.LBB102_923:
	s_mov_b32 s31, -1
                                        ; implicit-def: $vgpr0_vgpr1
	s_branch .LBB102_928
.LBB102_924:
	s_mov_b32 s31, -1
                                        ; implicit-def: $vgpr0_vgpr1
.LBB102_925:
	s_delay_alu instid0(SALU_CYCLE_1)
	s_and_not1_b32 vcc_lo, exec_lo, s31
	s_cbranch_vccnz .LBB102_927
; %bb.926:
	s_wait_loadcnt 0x0
	global_load_b32 v0, v[2:3], off
	s_wait_loadcnt 0x0
	v_cvt_f64_f32_e32 v[0:1], v0
.LBB102_927:
	s_mov_b32 s31, 0
.LBB102_928:
	s_delay_alu instid0(SALU_CYCLE_1)
	s_and_not1_b32 vcc_lo, exec_lo, s31
	s_cbranch_vccnz .LBB102_930
; %bb.929:
	s_wait_loadcnt 0x0
	global_load_b32 v0, v[2:3], off
	s_wait_loadcnt 0x0
	v_cvt_f32_f16_e32 v0, v0
	s_delay_alu instid0(VALU_DEP_1)
	v_cvt_f64_f32_e32 v[0:1], v0
.LBB102_930:
	s_mov_b32 s31, 0
.LBB102_931:
	s_delay_alu instid0(SALU_CYCLE_1)
	s_and_not1_b32 vcc_lo, exec_lo, s31
	s_cbranch_vccnz .LBB102_942
; %bb.932:
	s_cmp_lt_i32 s0, 6
	s_cbranch_scc1 .LBB102_935
; %bb.933:
	s_cmp_gt_i32 s0, 6
	s_cbranch_scc0 .LBB102_936
; %bb.934:
	s_wait_loadcnt 0x0
	global_load_b64 v[0:1], v[2:3], off
	s_mov_b32 s31, 0
	s_branch .LBB102_937
.LBB102_935:
	s_mov_b32 s31, -1
                                        ; implicit-def: $vgpr0_vgpr1
	s_branch .LBB102_940
.LBB102_936:
	s_mov_b32 s31, -1
                                        ; implicit-def: $vgpr0_vgpr1
.LBB102_937:
	s_delay_alu instid0(SALU_CYCLE_1)
	s_and_not1_b32 vcc_lo, exec_lo, s31
	s_cbranch_vccnz .LBB102_939
; %bb.938:
	s_wait_loadcnt 0x0
	global_load_b32 v0, v[2:3], off
	s_wait_loadcnt 0x0
	v_cvt_f64_f32_e32 v[0:1], v0
.LBB102_939:
	s_mov_b32 s31, 0
.LBB102_940:
	s_delay_alu instid0(SALU_CYCLE_1)
	s_and_not1_b32 vcc_lo, exec_lo, s31
	s_cbranch_vccnz .LBB102_942
; %bb.941:
	s_wait_loadcnt 0x0
	global_load_u16 v0, v[2:3], off
	s_wait_loadcnt 0x0
	v_cvt_f32_f16_e32 v0, v0
	s_delay_alu instid0(VALU_DEP_1)
	v_cvt_f64_f32_e32 v[0:1], v0
.LBB102_942:
	s_mov_b32 s31, 0
.LBB102_943:
	s_delay_alu instid0(SALU_CYCLE_1)
	s_and_not1_b32 vcc_lo, exec_lo, s31
	s_cbranch_vccnz .LBB102_963
; %bb.944:
	s_cmp_lt_i32 s0, 2
	s_cbranch_scc1 .LBB102_948
; %bb.945:
	s_cmp_lt_i32 s0, 3
	s_cbranch_scc1 .LBB102_949
; %bb.946:
	s_cmp_gt_i32 s0, 3
	s_cbranch_scc0 .LBB102_950
; %bb.947:
	s_wait_loadcnt 0x0
	global_load_b64 v[0:1], v[2:3], off
	s_mov_b32 s31, 0
	s_wait_loadcnt 0x0
	v_cvt_f64_i32_e32 v[4:5], v1
	v_cvt_f64_u32_e32 v[0:1], v0
	s_delay_alu instid0(VALU_DEP_2) | instskip(NEXT) | instid1(VALU_DEP_1)
	v_ldexp_f64 v[4:5], v[4:5], 32
	v_add_f64_e32 v[0:1], v[4:5], v[0:1]
	s_branch .LBB102_951
.LBB102_948:
	s_mov_b32 s31, -1
                                        ; implicit-def: $vgpr0_vgpr1
	s_branch .LBB102_957
.LBB102_949:
	s_mov_b32 s31, -1
                                        ; implicit-def: $vgpr0_vgpr1
	s_branch .LBB102_954
.LBB102_950:
	s_mov_b32 s31, -1
                                        ; implicit-def: $vgpr0_vgpr1
.LBB102_951:
	s_delay_alu instid0(SALU_CYCLE_1)
	s_and_not1_b32 vcc_lo, exec_lo, s31
	s_cbranch_vccnz .LBB102_953
; %bb.952:
	s_wait_loadcnt 0x0
	global_load_b32 v0, v[2:3], off
	s_wait_loadcnt 0x0
	v_cvt_f64_i32_e32 v[0:1], v0
.LBB102_953:
	s_mov_b32 s31, 0
.LBB102_954:
	s_delay_alu instid0(SALU_CYCLE_1)
	s_and_not1_b32 vcc_lo, exec_lo, s31
	s_cbranch_vccnz .LBB102_956
; %bb.955:
	s_wait_loadcnt 0x0
	global_load_i16 v0, v[2:3], off
	s_wait_loadcnt 0x0
	v_cvt_f64_i32_e32 v[0:1], v0
.LBB102_956:
	s_mov_b32 s31, 0
.LBB102_957:
	s_delay_alu instid0(SALU_CYCLE_1)
	s_and_not1_b32 vcc_lo, exec_lo, s31
	s_cbranch_vccnz .LBB102_963
; %bb.958:
	s_cmp_gt_i32 s0, 0
	s_mov_b32 s0, 0
	s_cbranch_scc0 .LBB102_960
; %bb.959:
	s_wait_loadcnt 0x0
	global_load_i8 v0, v[2:3], off
	s_wait_loadcnt 0x0
	v_cvt_f64_i32_e32 v[0:1], v0
	s_branch .LBB102_961
.LBB102_960:
	s_mov_b32 s0, -1
                                        ; implicit-def: $vgpr0_vgpr1
.LBB102_961:
	s_delay_alu instid0(SALU_CYCLE_1)
	s_and_not1_b32 vcc_lo, exec_lo, s0
	s_cbranch_vccnz .LBB102_963
; %bb.962:
	s_wait_loadcnt 0x0
	global_load_u8 v0, v[2:3], off
	s_wait_loadcnt 0x0
	v_cvt_f64_u32_e32 v[0:1], v0
.LBB102_963:
	s_mov_b32 s33, -1
.LBB102_964:
	s_mov_b32 s31, 0
	s_mov_b32 s0, s25
	s_and_not1_b32 vcc_lo, exec_lo, s33
	s_mov_b32 s33, s26
	s_mov_b32 s35, 0
	s_cbranch_vccnz .LBB102_1219
; %bb.965:
	s_wait_xcnt 0x0
	v_mul_lo_u32 v2, v18, s5
	s_and_b32 s0, 0xffff, s1
	s_delay_alu instid0(SALU_CYCLE_1) | instskip(NEXT) | instid1(VALU_DEP_1)
	s_cmp_lt_i32 s0, 11
	v_ashrrev_i32_e32 v3, 31, v2
	s_delay_alu instid0(VALU_DEP_1)
	v_add_nc_u64_e32 v[2:3], s[10:11], v[2:3]
	s_cbranch_scc1 .LBB102_972
; %bb.966:
	s_cmp_gt_i32 s0, 25
	s_cbranch_scc0 .LBB102_973
; %bb.967:
	s_cmp_gt_i32 s0, 28
	s_cbranch_scc0 .LBB102_974
	;; [unrolled: 3-line block ×4, first 2 shown]
; %bb.970:
	s_cmp_eq_u32 s0, 46
	s_cbranch_scc0 .LBB102_979
; %bb.971:
	global_load_b32 v4, v[2:3], off
	s_mov_b32 s34, -1
	s_mov_b32 s33, 0
	s_wait_loadcnt 0x0
	v_lshlrev_b32_e32 v4, 16, v4
	s_delay_alu instid0(VALU_DEP_1)
	v_cvt_f64_f32_e32 v[4:5], v4
	s_branch .LBB102_981
.LBB102_972:
	s_mov_b32 s35, -1
	s_mov_b32 s34, 0
	s_mov_b32 s33, s26
                                        ; implicit-def: $vgpr4_vgpr5
	s_branch .LBB102_1046
.LBB102_973:
	s_mov_b32 s35, -1
	s_mov_b32 s34, 0
	s_mov_b32 s33, s26
                                        ; implicit-def: $vgpr4_vgpr5
	s_branch .LBB102_1010
.LBB102_974:
	s_mov_b32 s35, -1
	s_mov_b32 s34, 0
	s_mov_b32 s33, s26
                                        ; implicit-def: $vgpr4_vgpr5
	s_branch .LBB102_991
.LBB102_975:
	s_mov_b32 s35, -1
	s_mov_b32 s34, 0
	s_mov_b32 s33, s26
                                        ; implicit-def: $vgpr4_vgpr5
	s_branch .LBB102_986
.LBB102_976:
	s_mov_b32 s35, -1
	s_mov_b32 s34, 0
	s_mov_b32 s33, s26
	s_branch .LBB102_980
.LBB102_977:
	s_and_not1_saveexec_b32 s33, s33
	s_cbranch_execz .LBB102_733
.LBB102_978:
	v_add_f32_e64 v3, 0x42800000, |v2|
	s_and_not1_b32 s31, s31, exec_lo
	s_delay_alu instid0(VALU_DEP_1) | instskip(NEXT) | instid1(VALU_DEP_1)
	v_and_b32_e32 v3, 0xff, v3
	v_cmp_ne_u32_e32 vcc_lo, 0, v3
	s_and_b32 s34, vcc_lo, exec_lo
	s_delay_alu instid0(SALU_CYCLE_1)
	s_or_b32 s31, s31, s34
	s_or_b32 exec_lo, exec_lo, s33
	v_mov_b32_e32 v6, 0
	s_and_saveexec_b32 s33, s31
	s_cbranch_execnz .LBB102_734
	s_branch .LBB102_735
.LBB102_979:
	s_mov_b32 s33, -1
	s_mov_b32 s34, 0
.LBB102_980:
                                        ; implicit-def: $vgpr4_vgpr5
.LBB102_981:
	s_and_b32 vcc_lo, exec_lo, s35
	s_cbranch_vccz .LBB102_985
; %bb.982:
	s_cmp_eq_u32 s0, 44
	s_cbranch_scc0 .LBB102_984
; %bb.983:
	global_load_u8 v6, v[2:3], off
	s_mov_b32 s33, 0
	s_mov_b32 s34, -1
	s_wait_loadcnt 0x0
	v_cmp_ne_u32_e32 vcc_lo, 0xff, v6
	v_lshlrev_b32_e32 v4, 23, v6
	s_delay_alu instid0(VALU_DEP_1) | instskip(NEXT) | instid1(VALU_DEP_1)
	v_cvt_f64_f32_e32 v[4:5], v4
	v_cndmask_b32_e32 v4, 0x20000000, v4, vcc_lo
	s_delay_alu instid0(VALU_DEP_2) | instskip(SKIP_1) | instid1(VALU_DEP_2)
	v_cndmask_b32_e32 v5, 0x7ff80000, v5, vcc_lo
	v_cmp_ne_u32_e32 vcc_lo, 0, v6
	v_cndmask_b32_e32 v5, 0x38000000, v5, vcc_lo
	s_delay_alu instid0(VALU_DEP_4)
	v_cndmask_b32_e32 v4, 0, v4, vcc_lo
	s_branch .LBB102_985
.LBB102_984:
	s_mov_b32 s33, -1
                                        ; implicit-def: $vgpr4_vgpr5
.LBB102_985:
	s_mov_b32 s35, 0
.LBB102_986:
	s_delay_alu instid0(SALU_CYCLE_1)
	s_and_b32 vcc_lo, exec_lo, s35
	s_cbranch_vccz .LBB102_990
; %bb.987:
	s_cmp_eq_u32 s0, 29
	s_cbranch_scc0 .LBB102_989
; %bb.988:
	global_load_b64 v[4:5], v[2:3], off
	s_mov_b32 s34, -1
	s_mov_b32 s33, 0
	s_mov_b32 s35, 0
	s_wait_loadcnt 0x0
	v_cvt_f64_u32_e32 v[6:7], v5
	v_cvt_f64_u32_e32 v[4:5], v4
	s_delay_alu instid0(VALU_DEP_2) | instskip(NEXT) | instid1(VALU_DEP_1)
	v_ldexp_f64 v[6:7], v[6:7], 32
	v_add_f64_e32 v[4:5], v[6:7], v[4:5]
	s_branch .LBB102_991
.LBB102_989:
	s_mov_b32 s33, -1
                                        ; implicit-def: $vgpr4_vgpr5
.LBB102_990:
	s_mov_b32 s35, 0
.LBB102_991:
	s_delay_alu instid0(SALU_CYCLE_1)
	s_and_b32 vcc_lo, exec_lo, s35
	s_cbranch_vccz .LBB102_1009
; %bb.992:
	s_cmp_lt_i32 s0, 27
	s_cbranch_scc1 .LBB102_995
; %bb.993:
	s_cmp_gt_i32 s0, 27
	s_cbranch_scc0 .LBB102_996
; %bb.994:
	global_load_b32 v4, v[2:3], off
	s_mov_b32 s34, 0
	s_wait_loadcnt 0x0
	v_cvt_f64_u32_e32 v[4:5], v4
	s_branch .LBB102_997
.LBB102_995:
	s_mov_b32 s34, -1
                                        ; implicit-def: $vgpr4_vgpr5
	s_branch .LBB102_1000
.LBB102_996:
	s_mov_b32 s34, -1
                                        ; implicit-def: $vgpr4_vgpr5
.LBB102_997:
	s_delay_alu instid0(SALU_CYCLE_1)
	s_and_not1_b32 vcc_lo, exec_lo, s34
	s_cbranch_vccnz .LBB102_999
; %bb.998:
	global_load_u16 v4, v[2:3], off
	s_wait_loadcnt 0x0
	v_cvt_f64_u32_e32 v[4:5], v4
.LBB102_999:
	s_mov_b32 s34, 0
.LBB102_1000:
	s_delay_alu instid0(SALU_CYCLE_1)
	s_and_not1_b32 vcc_lo, exec_lo, s34
	s_cbranch_vccnz .LBB102_1008
; %bb.1001:
	global_load_u8 v6, v[2:3], off
	s_mov_b32 s34, 0
	s_mov_b32 s35, exec_lo
	s_wait_loadcnt 0x0
	v_cmpx_lt_i16_e32 0x7f, v6
	s_xor_b32 s35, exec_lo, s35
	s_cbranch_execz .LBB102_1022
; %bb.1002:
	s_mov_b32 s34, -1
	s_mov_b32 s36, exec_lo
	v_cmpx_eq_u16_e32 0x80, v6
; %bb.1003:
	s_xor_b32 s34, exec_lo, -1
; %bb.1004:
	s_or_b32 exec_lo, exec_lo, s36
	s_delay_alu instid0(SALU_CYCLE_1)
	s_and_b32 s34, s34, exec_lo
	s_or_saveexec_b32 s35, s35
	v_mov_b64_e32 v[4:5], 0x7ff8000020000000
	s_xor_b32 exec_lo, exec_lo, s35
	s_cbranch_execnz .LBB102_1023
.LBB102_1005:
	s_or_b32 exec_lo, exec_lo, s35
	s_and_saveexec_b32 s35, s34
	s_cbranch_execz .LBB102_1007
.LBB102_1006:
	v_and_b32_e32 v4, 0xffff, v6
	s_delay_alu instid0(VALU_DEP_1) | instskip(SKIP_1) | instid1(VALU_DEP_2)
	v_and_b32_e32 v5, 7, v4
	v_bfe_u32 v9, v4, 3, 4
	v_clz_i32_u32_e32 v7, v5
	s_delay_alu instid0(VALU_DEP_2) | instskip(NEXT) | instid1(VALU_DEP_2)
	v_cmp_eq_u32_e32 vcc_lo, 0, v9
	v_min_u32_e32 v7, 32, v7
	s_delay_alu instid0(VALU_DEP_1) | instskip(NEXT) | instid1(VALU_DEP_1)
	v_subrev_nc_u32_e32 v8, 28, v7
	v_dual_lshlrev_b32 v4, v8, v4 :: v_dual_sub_nc_u32 v7, 29, v7
	s_delay_alu instid0(VALU_DEP_1) | instskip(NEXT) | instid1(VALU_DEP_2)
	v_dual_lshlrev_b32 v6, 24, v6 :: v_dual_bitop2_b32 v4, 7, v4 bitop3:0x40
	v_cndmask_b32_e32 v7, v9, v7, vcc_lo
	s_delay_alu instid0(VALU_DEP_2) | instskip(NEXT) | instid1(VALU_DEP_3)
	v_cndmask_b32_e32 v4, v5, v4, vcc_lo
	v_and_b32_e32 v5, 0x80000000, v6
	s_delay_alu instid0(VALU_DEP_3) | instskip(NEXT) | instid1(VALU_DEP_3)
	v_lshl_add_u32 v6, v7, 23, 0x3b800000
	v_lshlrev_b32_e32 v4, 20, v4
	s_delay_alu instid0(VALU_DEP_1) | instskip(NEXT) | instid1(VALU_DEP_1)
	v_or3_b32 v4, v5, v6, v4
	v_cvt_f64_f32_e32 v[4:5], v4
.LBB102_1007:
	s_or_b32 exec_lo, exec_lo, s35
.LBB102_1008:
	s_mov_b32 s34, -1
.LBB102_1009:
	s_mov_b32 s35, 0
.LBB102_1010:
	s_delay_alu instid0(SALU_CYCLE_1)
	s_and_b32 vcc_lo, exec_lo, s35
	s_cbranch_vccz .LBB102_1045
; %bb.1011:
	s_cmp_gt_i32 s0, 22
	s_cbranch_scc0 .LBB102_1021
; %bb.1012:
	s_cmp_lt_i32 s0, 24
	s_cbranch_scc1 .LBB102_1024
; %bb.1013:
	s_cmp_gt_i32 s0, 24
	s_cbranch_scc0 .LBB102_1025
; %bb.1014:
	global_load_u8 v6, v[2:3], off
	s_mov_b32 s34, 0
	s_mov_b32 s35, exec_lo
	s_wait_loadcnt 0x0
	v_cmpx_lt_i16_e32 0x7f, v6
	s_xor_b32 s35, exec_lo, s35
	s_cbranch_execz .LBB102_1037
; %bb.1015:
	s_mov_b32 s34, -1
	s_mov_b32 s36, exec_lo
	v_cmpx_eq_u16_e32 0x80, v6
; %bb.1016:
	s_xor_b32 s34, exec_lo, -1
; %bb.1017:
	s_or_b32 exec_lo, exec_lo, s36
	s_delay_alu instid0(SALU_CYCLE_1)
	s_and_b32 s34, s34, exec_lo
	s_or_saveexec_b32 s35, s35
	v_mov_b64_e32 v[4:5], 0x7ff8000020000000
	s_xor_b32 exec_lo, exec_lo, s35
	s_cbranch_execnz .LBB102_1038
.LBB102_1018:
	s_or_b32 exec_lo, exec_lo, s35
	s_and_saveexec_b32 s35, s34
	s_cbranch_execz .LBB102_1020
.LBB102_1019:
	v_and_b32_e32 v4, 0xffff, v6
	s_delay_alu instid0(VALU_DEP_1) | instskip(SKIP_1) | instid1(VALU_DEP_2)
	v_and_b32_e32 v5, 3, v4
	v_bfe_u32 v9, v4, 2, 5
	v_clz_i32_u32_e32 v7, v5
	s_delay_alu instid0(VALU_DEP_2) | instskip(NEXT) | instid1(VALU_DEP_2)
	v_cmp_eq_u32_e32 vcc_lo, 0, v9
	v_min_u32_e32 v7, 32, v7
	s_delay_alu instid0(VALU_DEP_1) | instskip(NEXT) | instid1(VALU_DEP_1)
	v_subrev_nc_u32_e32 v8, 29, v7
	v_dual_lshlrev_b32 v4, v8, v4 :: v_dual_sub_nc_u32 v7, 30, v7
	s_delay_alu instid0(VALU_DEP_1) | instskip(NEXT) | instid1(VALU_DEP_2)
	v_dual_lshlrev_b32 v6, 24, v6 :: v_dual_bitop2_b32 v4, 3, v4 bitop3:0x40
	v_cndmask_b32_e32 v7, v9, v7, vcc_lo
	s_delay_alu instid0(VALU_DEP_2) | instskip(NEXT) | instid1(VALU_DEP_3)
	v_cndmask_b32_e32 v4, v5, v4, vcc_lo
	v_and_b32_e32 v5, 0x80000000, v6
	s_delay_alu instid0(VALU_DEP_3) | instskip(NEXT) | instid1(VALU_DEP_3)
	v_lshl_add_u32 v6, v7, 23, 0x37800000
	v_lshlrev_b32_e32 v4, 21, v4
	s_delay_alu instid0(VALU_DEP_1) | instskip(NEXT) | instid1(VALU_DEP_1)
	v_or3_b32 v4, v5, v6, v4
	v_cvt_f64_f32_e32 v[4:5], v4
.LBB102_1020:
	s_or_b32 exec_lo, exec_lo, s35
	s_mov_b32 s34, 0
	s_branch .LBB102_1026
.LBB102_1021:
	s_mov_b32 s35, -1
                                        ; implicit-def: $vgpr4_vgpr5
	s_branch .LBB102_1032
.LBB102_1022:
	s_or_saveexec_b32 s35, s35
	v_mov_b64_e32 v[4:5], 0x7ff8000020000000
	s_xor_b32 exec_lo, exec_lo, s35
	s_cbranch_execz .LBB102_1005
.LBB102_1023:
	v_cmp_ne_u16_e32 vcc_lo, 0, v6
	v_mov_b64_e32 v[4:5], 0
	s_and_not1_b32 s34, s34, exec_lo
	s_and_b32 s36, vcc_lo, exec_lo
	s_delay_alu instid0(SALU_CYCLE_1)
	s_or_b32 s34, s34, s36
	s_or_b32 exec_lo, exec_lo, s35
	s_and_saveexec_b32 s35, s34
	s_cbranch_execnz .LBB102_1006
	s_branch .LBB102_1007
.LBB102_1024:
	s_mov_b32 s34, -1
                                        ; implicit-def: $vgpr4_vgpr5
	s_branch .LBB102_1029
.LBB102_1025:
	s_mov_b32 s34, -1
                                        ; implicit-def: $vgpr4_vgpr5
.LBB102_1026:
	s_delay_alu instid0(SALU_CYCLE_1)
	s_and_b32 vcc_lo, exec_lo, s34
	s_cbranch_vccz .LBB102_1028
; %bb.1027:
	global_load_u8 v4, v[2:3], off
	s_wait_loadcnt 0x0
	v_lshlrev_b32_e32 v4, 24, v4
	s_delay_alu instid0(VALU_DEP_1) | instskip(NEXT) | instid1(VALU_DEP_1)
	v_and_b32_e32 v5, 0x7f000000, v4
	v_clz_i32_u32_e32 v6, v5
	v_cmp_ne_u32_e32 vcc_lo, 0, v5
	v_add_nc_u32_e32 v8, 0x1000000, v5
	s_delay_alu instid0(VALU_DEP_3) | instskip(NEXT) | instid1(VALU_DEP_1)
	v_min_u32_e32 v6, 32, v6
	v_sub_nc_u32_e64 v6, v6, 4 clamp
	s_delay_alu instid0(VALU_DEP_1) | instskip(NEXT) | instid1(VALU_DEP_1)
	v_dual_lshlrev_b32 v7, v6, v5 :: v_dual_lshlrev_b32 v6, 23, v6
	v_lshrrev_b32_e32 v7, 4, v7
	s_delay_alu instid0(VALU_DEP_1) | instskip(NEXT) | instid1(VALU_DEP_1)
	v_dual_sub_nc_u32 v6, v7, v6 :: v_dual_ashrrev_i32 v7, 8, v8
	v_add_nc_u32_e32 v6, 0x3c000000, v6
	s_delay_alu instid0(VALU_DEP_1) | instskip(NEXT) | instid1(VALU_DEP_1)
	v_and_or_b32 v6, 0x7f800000, v7, v6
	v_cndmask_b32_e32 v5, 0, v6, vcc_lo
	s_delay_alu instid0(VALU_DEP_1) | instskip(NEXT) | instid1(VALU_DEP_1)
	v_and_or_b32 v4, 0x80000000, v4, v5
	v_cvt_f64_f32_e32 v[4:5], v4
.LBB102_1028:
	s_mov_b32 s34, 0
.LBB102_1029:
	s_delay_alu instid0(SALU_CYCLE_1)
	s_and_not1_b32 vcc_lo, exec_lo, s34
	s_cbranch_vccnz .LBB102_1031
; %bb.1030:
	global_load_u8 v4, v[2:3], off
	s_wait_loadcnt 0x0
	v_lshlrev_b32_e32 v5, 25, v4
	v_lshlrev_b16 v4, 8, v4
	s_delay_alu instid0(VALU_DEP_1) | instskip(SKIP_1) | instid1(VALU_DEP_2)
	v_and_or_b32 v7, 0x7f00, v4, 0.5
	v_bfe_i32 v4, v4, 0, 16
	v_dual_add_f32 v7, -0.5, v7 :: v_dual_lshrrev_b32 v6, 4, v5
	v_cmp_gt_u32_e32 vcc_lo, 0x8000000, v5
	s_delay_alu instid0(VALU_DEP_2) | instskip(NEXT) | instid1(VALU_DEP_1)
	v_or_b32_e32 v6, 0x70000000, v6
	v_mul_f32_e32 v6, 0x7800000, v6
	s_delay_alu instid0(VALU_DEP_1) | instskip(NEXT) | instid1(VALU_DEP_1)
	v_cndmask_b32_e32 v5, v6, v7, vcc_lo
	v_and_or_b32 v4, 0x80000000, v4, v5
	s_delay_alu instid0(VALU_DEP_1)
	v_cvt_f64_f32_e32 v[4:5], v4
.LBB102_1031:
	s_mov_b32 s35, 0
	s_mov_b32 s34, -1
.LBB102_1032:
	s_and_not1_b32 vcc_lo, exec_lo, s35
	s_cbranch_vccnz .LBB102_1045
; %bb.1033:
	s_cmp_gt_i32 s0, 14
	s_cbranch_scc0 .LBB102_1036
; %bb.1034:
	s_cmp_eq_u32 s0, 15
	s_cbranch_scc0 .LBB102_1039
; %bb.1035:
	global_load_u16 v4, v[2:3], off
	s_mov_b32 s34, -1
	s_mov_b32 s33, 0
	s_wait_loadcnt 0x0
	v_lshlrev_b32_e32 v4, 16, v4
	s_delay_alu instid0(VALU_DEP_1)
	v_cvt_f64_f32_e32 v[4:5], v4
	s_branch .LBB102_1040
.LBB102_1036:
	s_mov_b32 s35, -1
                                        ; implicit-def: $vgpr4_vgpr5
	s_branch .LBB102_1041
.LBB102_1037:
	s_or_saveexec_b32 s35, s35
	v_mov_b64_e32 v[4:5], 0x7ff8000020000000
	s_xor_b32 exec_lo, exec_lo, s35
	s_cbranch_execz .LBB102_1018
.LBB102_1038:
	v_cmp_ne_u16_e32 vcc_lo, 0, v6
	v_mov_b64_e32 v[4:5], 0
	s_and_not1_b32 s34, s34, exec_lo
	s_and_b32 s36, vcc_lo, exec_lo
	s_delay_alu instid0(SALU_CYCLE_1)
	s_or_b32 s34, s34, s36
	s_or_b32 exec_lo, exec_lo, s35
	s_and_saveexec_b32 s35, s34
	s_cbranch_execnz .LBB102_1019
	s_branch .LBB102_1020
.LBB102_1039:
	s_mov_b32 s33, -1
                                        ; implicit-def: $vgpr4_vgpr5
.LBB102_1040:
	s_mov_b32 s35, 0
.LBB102_1041:
	s_delay_alu instid0(SALU_CYCLE_1)
	s_and_b32 vcc_lo, exec_lo, s35
	s_cbranch_vccz .LBB102_1045
; %bb.1042:
	s_cmp_eq_u32 s0, 11
	s_cbranch_scc0 .LBB102_1044
; %bb.1043:
	global_load_u8 v4, v[2:3], off
	s_mov_b32 s33, 0
	s_mov_b32 s34, -1
	s_wait_loadcnt 0x0
	v_cmp_ne_u16_e32 vcc_lo, 0, v4
	v_mov_b32_e32 v4, 0
	v_cndmask_b32_e64 v5, 0, 0x3ff00000, vcc_lo
	s_branch .LBB102_1045
.LBB102_1044:
	s_mov_b32 s33, -1
                                        ; implicit-def: $vgpr4_vgpr5
.LBB102_1045:
	s_mov_b32 s35, 0
.LBB102_1046:
	s_delay_alu instid0(SALU_CYCLE_1)
	s_and_b32 vcc_lo, exec_lo, s35
	s_cbranch_vccz .LBB102_1095
; %bb.1047:
	s_cmp_lt_i32 s0, 5
	s_cbranch_scc1 .LBB102_1052
; %bb.1048:
	s_cmp_lt_i32 s0, 8
	s_cbranch_scc1 .LBB102_1053
	;; [unrolled: 3-line block ×3, first 2 shown]
; %bb.1050:
	s_cmp_gt_i32 s0, 9
	s_cbranch_scc0 .LBB102_1055
; %bb.1051:
	global_load_b64 v[4:5], v[2:3], off
	s_mov_b32 s34, 0
	s_branch .LBB102_1056
.LBB102_1052:
	s_mov_b32 s34, -1
                                        ; implicit-def: $vgpr4_vgpr5
	s_branch .LBB102_1074
.LBB102_1053:
	s_mov_b32 s34, -1
                                        ; implicit-def: $vgpr4_vgpr5
	s_branch .LBB102_1062
.LBB102_1054:
	s_mov_b32 s34, -1
                                        ; implicit-def: $vgpr4_vgpr5
	s_branch .LBB102_1059
.LBB102_1055:
	s_mov_b32 s34, -1
                                        ; implicit-def: $vgpr4_vgpr5
.LBB102_1056:
	s_delay_alu instid0(SALU_CYCLE_1)
	s_and_not1_b32 vcc_lo, exec_lo, s34
	s_cbranch_vccnz .LBB102_1058
; %bb.1057:
	s_wait_loadcnt 0x0
	global_load_b32 v4, v[2:3], off
	s_wait_loadcnt 0x0
	v_cvt_f64_f32_e32 v[4:5], v4
.LBB102_1058:
	s_mov_b32 s34, 0
.LBB102_1059:
	s_delay_alu instid0(SALU_CYCLE_1)
	s_and_not1_b32 vcc_lo, exec_lo, s34
	s_cbranch_vccnz .LBB102_1061
; %bb.1060:
	s_wait_loadcnt 0x0
	global_load_b32 v4, v[2:3], off
	s_wait_loadcnt 0x0
	v_cvt_f32_f16_e32 v4, v4
	s_delay_alu instid0(VALU_DEP_1)
	v_cvt_f64_f32_e32 v[4:5], v4
.LBB102_1061:
	s_mov_b32 s34, 0
.LBB102_1062:
	s_delay_alu instid0(SALU_CYCLE_1)
	s_and_not1_b32 vcc_lo, exec_lo, s34
	s_cbranch_vccnz .LBB102_1073
; %bb.1063:
	s_cmp_lt_i32 s0, 6
	s_cbranch_scc1 .LBB102_1066
; %bb.1064:
	s_cmp_gt_i32 s0, 6
	s_cbranch_scc0 .LBB102_1067
; %bb.1065:
	s_wait_loadcnt 0x0
	global_load_b64 v[4:5], v[2:3], off
	s_mov_b32 s34, 0
	s_branch .LBB102_1068
.LBB102_1066:
	s_mov_b32 s34, -1
                                        ; implicit-def: $vgpr4_vgpr5
	s_branch .LBB102_1071
.LBB102_1067:
	s_mov_b32 s34, -1
                                        ; implicit-def: $vgpr4_vgpr5
.LBB102_1068:
	s_delay_alu instid0(SALU_CYCLE_1)
	s_and_not1_b32 vcc_lo, exec_lo, s34
	s_cbranch_vccnz .LBB102_1070
; %bb.1069:
	s_wait_loadcnt 0x0
	global_load_b32 v4, v[2:3], off
	s_wait_loadcnt 0x0
	v_cvt_f64_f32_e32 v[4:5], v4
.LBB102_1070:
	s_mov_b32 s34, 0
.LBB102_1071:
	s_delay_alu instid0(SALU_CYCLE_1)
	s_and_not1_b32 vcc_lo, exec_lo, s34
	s_cbranch_vccnz .LBB102_1073
; %bb.1072:
	s_wait_loadcnt 0x0
	global_load_u16 v4, v[2:3], off
	s_wait_loadcnt 0x0
	v_cvt_f32_f16_e32 v4, v4
	s_delay_alu instid0(VALU_DEP_1)
	v_cvt_f64_f32_e32 v[4:5], v4
.LBB102_1073:
	s_mov_b32 s34, 0
.LBB102_1074:
	s_delay_alu instid0(SALU_CYCLE_1)
	s_and_not1_b32 vcc_lo, exec_lo, s34
	s_cbranch_vccnz .LBB102_1094
; %bb.1075:
	s_cmp_lt_i32 s0, 2
	s_cbranch_scc1 .LBB102_1079
; %bb.1076:
	s_cmp_lt_i32 s0, 3
	s_cbranch_scc1 .LBB102_1080
; %bb.1077:
	s_cmp_gt_i32 s0, 3
	s_cbranch_scc0 .LBB102_1081
; %bb.1078:
	s_wait_loadcnt 0x0
	global_load_b64 v[4:5], v[2:3], off
	s_mov_b32 s34, 0
	s_wait_loadcnt 0x0
	v_cvt_f64_i32_e32 v[6:7], v5
	v_cvt_f64_u32_e32 v[4:5], v4
	s_delay_alu instid0(VALU_DEP_2) | instskip(NEXT) | instid1(VALU_DEP_1)
	v_ldexp_f64 v[6:7], v[6:7], 32
	v_add_f64_e32 v[4:5], v[6:7], v[4:5]
	s_branch .LBB102_1082
.LBB102_1079:
	s_mov_b32 s34, -1
                                        ; implicit-def: $vgpr4_vgpr5
	s_branch .LBB102_1088
.LBB102_1080:
	s_mov_b32 s34, -1
                                        ; implicit-def: $vgpr4_vgpr5
	s_branch .LBB102_1085
.LBB102_1081:
	s_mov_b32 s34, -1
                                        ; implicit-def: $vgpr4_vgpr5
.LBB102_1082:
	s_delay_alu instid0(SALU_CYCLE_1)
	s_and_not1_b32 vcc_lo, exec_lo, s34
	s_cbranch_vccnz .LBB102_1084
; %bb.1083:
	s_wait_loadcnt 0x0
	global_load_b32 v4, v[2:3], off
	s_wait_loadcnt 0x0
	v_cvt_f64_i32_e32 v[4:5], v4
.LBB102_1084:
	s_mov_b32 s34, 0
.LBB102_1085:
	s_delay_alu instid0(SALU_CYCLE_1)
	s_and_not1_b32 vcc_lo, exec_lo, s34
	s_cbranch_vccnz .LBB102_1087
; %bb.1086:
	s_wait_loadcnt 0x0
	global_load_i16 v4, v[2:3], off
	s_wait_loadcnt 0x0
	v_cvt_f64_i32_e32 v[4:5], v4
.LBB102_1087:
	s_mov_b32 s34, 0
.LBB102_1088:
	s_delay_alu instid0(SALU_CYCLE_1)
	s_and_not1_b32 vcc_lo, exec_lo, s34
	s_cbranch_vccnz .LBB102_1094
; %bb.1089:
	s_cmp_gt_i32 s0, 0
	s_mov_b32 s0, 0
	s_cbranch_scc0 .LBB102_1091
; %bb.1090:
	s_wait_loadcnt 0x0
	global_load_i8 v4, v[2:3], off
	s_wait_loadcnt 0x0
	v_cvt_f64_i32_e32 v[4:5], v4
	s_branch .LBB102_1092
.LBB102_1091:
	s_mov_b32 s0, -1
                                        ; implicit-def: $vgpr4_vgpr5
.LBB102_1092:
	s_delay_alu instid0(SALU_CYCLE_1)
	s_and_not1_b32 vcc_lo, exec_lo, s0
	s_cbranch_vccnz .LBB102_1094
; %bb.1093:
	global_load_u8 v2, v[2:3], off
	s_wait_loadcnt 0x0
	v_cvt_f64_u32_e32 v[4:5], v2
.LBB102_1094:
	s_mov_b32 s34, -1
.LBB102_1095:
	s_delay_alu instid0(SALU_CYCLE_1)
	s_and_not1_b32 vcc_lo, exec_lo, s34
	s_cbranch_vccnz .LBB102_1103
; %bb.1096:
	s_wait_xcnt 0x0
	v_mul_lo_u32 v2, v18, s12
	s_wait_loadcnt 0x0
	v_mul_f64_e32 v[0:1], s[6:7], v[0:1]
	s_and_b32 s34, s13, 0xff
	s_delay_alu instid0(SALU_CYCLE_1) | instskip(NEXT) | instid1(VALU_DEP_1)
	s_cmp_lt_i32 s34, 11
	v_dual_mul_f64 v[0:1], v[0:1], v[4:5] :: v_dual_ashrrev_i32 v3, 31, v2
	s_delay_alu instid0(VALU_DEP_1)
	v_add_nc_u64_e32 v[4:5], s[2:3], v[2:3]
	s_cbranch_scc1 .LBB102_1104
; %bb.1097:
	s_and_b32 s35, 0xffff, s34
	s_delay_alu instid0(SALU_CYCLE_1)
	s_cmp_gt_i32 s35, 25
	s_cbranch_scc0 .LBB102_1105
; %bb.1098:
	s_cmp_gt_i32 s35, 28
	s_cbranch_scc0 .LBB102_1106
; %bb.1099:
	;; [unrolled: 3-line block ×4, first 2 shown]
	s_mov_b32 s37, 0
	s_mov_b32 s0, -1
	s_cmp_eq_u32 s35, 46
	s_mov_b32 s36, 0
	s_cbranch_scc0 .LBB102_1109
; %bb.1102:
	s_delay_alu instid0(VALU_DEP_2) | instskip(SKIP_2) | instid1(VALU_DEP_1)
	v_cvt_f32_f64_e32 v2, v[0:1]
	s_mov_b32 s36, -1
	s_mov_b32 s0, 0
	v_bfe_u32 v3, v2, 16, 1
	v_cmp_o_f32_e32 vcc_lo, v2, v2
	s_delay_alu instid0(VALU_DEP_2) | instskip(NEXT) | instid1(VALU_DEP_1)
	v_add3_u32 v3, v2, v3, 0x7fff
	v_lshrrev_b32_e32 v3, 16, v3
	s_delay_alu instid0(VALU_DEP_1)
	v_cndmask_b32_e32 v2, 0x7fc0, v3, vcc_lo
	global_store_b32 v[4:5], v2, off
	s_branch .LBB102_1109
.LBB102_1103:
	s_mov_b32 s35, 0
	s_mov_b32 s0, s25
	s_branch .LBB102_840
.LBB102_1104:
	s_mov_b32 s35, -1
	s_mov_b32 s36, 0
	s_mov_b32 s0, s25
	s_branch .LBB102_1178
.LBB102_1105:
	s_mov_b32 s37, -1
	s_mov_b32 s36, 0
	s_mov_b32 s0, s25
	s_branch .LBB102_1136
.LBB102_1106:
	s_mov_b32 s37, -1
	s_mov_b32 s36, 0
	s_mov_b32 s0, s25
	s_branch .LBB102_1119
.LBB102_1107:
	s_mov_b32 s37, -1
	s_mov_b32 s36, 0
	s_mov_b32 s0, s25
	s_branch .LBB102_1115
.LBB102_1108:
	s_mov_b32 s37, -1
	s_mov_b32 s36, 0
	s_mov_b32 s0, s25
.LBB102_1109:
	s_and_b32 vcc_lo, exec_lo, s37
	s_cbranch_vccz .LBB102_1114
; %bb.1110:
	s_cmp_eq_u32 s35, 44
	s_mov_b32 s0, -1
	s_cbranch_scc0 .LBB102_1114
; %bb.1111:
	s_wait_xcnt 0x0
	s_delay_alu instid0(VALU_DEP_2) | instskip(SKIP_2) | instid1(VALU_DEP_2)
	v_cvt_f32_f64_e32 v2, v[0:1]
	v_mov_b32_e32 v3, 0xff
	s_mov_b32 s36, exec_lo
	v_bfe_u32 v6, v2, 23, 8
	s_delay_alu instid0(VALU_DEP_1)
	v_cmpx_ne_u32_e32 0xff, v6
	s_cbranch_execz .LBB102_1113
; %bb.1112:
	v_and_b32_e32 v3, 0x400000, v2
	v_and_or_b32 v6, 0x3fffff, v2, v6
	v_lshrrev_b32_e32 v2, 23, v2
	s_delay_alu instid0(VALU_DEP_3) | instskip(NEXT) | instid1(VALU_DEP_3)
	v_cmp_ne_u32_e32 vcc_lo, 0, v3
	v_cmp_ne_u32_e64 s0, 0, v6
	s_and_b32 s0, vcc_lo, s0
	s_delay_alu instid0(SALU_CYCLE_1) | instskip(NEXT) | instid1(VALU_DEP_1)
	v_cndmask_b32_e64 v3, 0, 1, s0
	v_add_nc_u32_e32 v3, v2, v3
.LBB102_1113:
	s_or_b32 exec_lo, exec_lo, s36
	s_mov_b32 s36, -1
	s_mov_b32 s0, 0
	global_store_b8 v[4:5], v3, off
.LBB102_1114:
	s_mov_b32 s37, 0
.LBB102_1115:
	s_delay_alu instid0(SALU_CYCLE_1)
	s_and_b32 vcc_lo, exec_lo, s37
	s_cbranch_vccz .LBB102_1118
; %bb.1116:
	s_cmp_eq_u32 s35, 29
	s_mov_b32 s0, -1
	s_cbranch_scc0 .LBB102_1118
; %bb.1117:
	s_wait_xcnt 0x0
	s_delay_alu instid0(VALU_DEP_2) | instskip(SKIP_3) | instid1(VALU_DEP_1)
	v_trunc_f64_e32 v[2:3], v[0:1]
	s_mov_b32 s36, -1
	s_mov_b32 s0, 0
	s_mov_b32 s37, 0
	v_ldexp_f64 v[6:7], v[2:3], 0xffffffe0
	s_delay_alu instid0(VALU_DEP_1) | instskip(NEXT) | instid1(VALU_DEP_1)
	v_floor_f64_e32 v[6:7], v[6:7]
	v_fmamk_f64 v[2:3], v[6:7], 0xc1f00000, v[2:3]
	v_cvt_u32_f64_e32 v7, v[6:7]
	s_delay_alu instid0(VALU_DEP_2)
	v_cvt_u32_f64_e32 v6, v[2:3]
	global_store_b64 v[4:5], v[6:7], off
	s_branch .LBB102_1119
.LBB102_1118:
	s_mov_b32 s37, 0
.LBB102_1119:
	s_delay_alu instid0(SALU_CYCLE_1)
	s_and_b32 vcc_lo, exec_lo, s37
	s_cbranch_vccz .LBB102_1135
; %bb.1120:
	s_cmp_lt_i32 s35, 27
	s_mov_b32 s36, -1
	s_cbranch_scc1 .LBB102_1126
; %bb.1121:
	s_wait_xcnt 0x0
	s_delay_alu instid0(VALU_DEP_2)
	v_cvt_u32_f64_e32 v2, v[0:1]
	s_cmp_gt_i32 s35, 27
	s_cbranch_scc0 .LBB102_1123
; %bb.1122:
	s_mov_b32 s36, 0
	global_store_b32 v[4:5], v2, off
.LBB102_1123:
	s_and_not1_b32 vcc_lo, exec_lo, s36
	s_cbranch_vccnz .LBB102_1125
; %bb.1124:
	global_store_b16 v[4:5], v2, off
.LBB102_1125:
	s_mov_b32 s36, 0
.LBB102_1126:
	s_delay_alu instid0(SALU_CYCLE_1)
	s_and_not1_b32 vcc_lo, exec_lo, s36
	s_cbranch_vccnz .LBB102_1134
; %bb.1127:
	s_wait_xcnt 0x0
	s_delay_alu instid0(VALU_DEP_2) | instskip(SKIP_2) | instid1(VALU_DEP_2)
	v_cvt_f32_f64_e32 v2, v[0:1]
	v_mov_b32_e32 v6, 0x80
	s_mov_b32 s36, exec_lo
	v_and_b32_e32 v3, 0x7fffffff, v2
	s_delay_alu instid0(VALU_DEP_1)
	v_cmpx_gt_u32_e32 0x43800000, v3
	s_cbranch_execz .LBB102_1133
; %bb.1128:
	v_cmp_lt_u32_e32 vcc_lo, 0x3bffffff, v3
	s_mov_b32 s37, 0
                                        ; implicit-def: $vgpr3
	s_and_saveexec_b32 s38, vcc_lo
	s_delay_alu instid0(SALU_CYCLE_1)
	s_xor_b32 s38, exec_lo, s38
	s_cbranch_execz .LBB102_2069
; %bb.1129:
	v_bfe_u32 v3, v2, 20, 1
	s_mov_b32 s37, exec_lo
	s_delay_alu instid0(VALU_DEP_1) | instskip(NEXT) | instid1(VALU_DEP_1)
	v_add3_u32 v3, v2, v3, 0x487ffff
	v_lshrrev_b32_e32 v3, 20, v3
	s_and_not1_saveexec_b32 s38, s38
	s_cbranch_execnz .LBB102_2070
.LBB102_1130:
	s_or_b32 exec_lo, exec_lo, s38
	v_mov_b32_e32 v6, 0
	s_and_saveexec_b32 s38, s37
.LBB102_1131:
	v_lshrrev_b32_e32 v2, 24, v2
	s_delay_alu instid0(VALU_DEP_1)
	v_and_or_b32 v6, 0x80, v2, v3
.LBB102_1132:
	s_or_b32 exec_lo, exec_lo, s38
.LBB102_1133:
	s_delay_alu instid0(SALU_CYCLE_1)
	s_or_b32 exec_lo, exec_lo, s36
	global_store_b8 v[4:5], v6, off
.LBB102_1134:
	s_mov_b32 s36, -1
.LBB102_1135:
	s_mov_b32 s37, 0
.LBB102_1136:
	s_delay_alu instid0(SALU_CYCLE_1)
	s_and_b32 vcc_lo, exec_lo, s37
	s_cbranch_vccz .LBB102_1177
; %bb.1137:
	s_cmp_gt_i32 s35, 22
	s_mov_b32 s37, -1
	s_cbranch_scc0 .LBB102_1169
; %bb.1138:
	s_cmp_lt_i32 s35, 24
	s_mov_b32 s36, -1
	s_cbranch_scc1 .LBB102_1158
; %bb.1139:
	s_cmp_gt_i32 s35, 24
	s_cbranch_scc0 .LBB102_1147
; %bb.1140:
	s_wait_xcnt 0x0
	s_delay_alu instid0(VALU_DEP_2) | instskip(SKIP_2) | instid1(VALU_DEP_2)
	v_cvt_f32_f64_e32 v2, v[0:1]
	v_mov_b32_e32 v6, 0x80
	s_mov_b32 s36, exec_lo
	v_and_b32_e32 v3, 0x7fffffff, v2
	s_delay_alu instid0(VALU_DEP_1)
	v_cmpx_gt_u32_e32 0x47800000, v3
	s_cbranch_execz .LBB102_1146
; %bb.1141:
	v_cmp_lt_u32_e32 vcc_lo, 0x37ffffff, v3
	s_mov_b32 s37, 0
                                        ; implicit-def: $vgpr3
	s_and_saveexec_b32 s38, vcc_lo
	s_delay_alu instid0(SALU_CYCLE_1)
	s_xor_b32 s38, exec_lo, s38
	s_cbranch_execz .LBB102_2222
; %bb.1142:
	v_bfe_u32 v3, v2, 21, 1
	s_mov_b32 s37, exec_lo
	s_delay_alu instid0(VALU_DEP_1) | instskip(NEXT) | instid1(VALU_DEP_1)
	v_add3_u32 v3, v2, v3, 0x88fffff
	v_lshrrev_b32_e32 v3, 21, v3
	s_and_not1_saveexec_b32 s38, s38
	s_cbranch_execnz .LBB102_2223
.LBB102_1143:
	s_or_b32 exec_lo, exec_lo, s38
	v_mov_b32_e32 v6, 0
	s_and_saveexec_b32 s38, s37
.LBB102_1144:
	v_lshrrev_b32_e32 v2, 24, v2
	s_delay_alu instid0(VALU_DEP_1)
	v_and_or_b32 v6, 0x80, v2, v3
.LBB102_1145:
	s_or_b32 exec_lo, exec_lo, s38
.LBB102_1146:
	s_delay_alu instid0(SALU_CYCLE_1)
	s_or_b32 exec_lo, exec_lo, s36
	s_mov_b32 s36, 0
	global_store_b8 v[4:5], v6, off
.LBB102_1147:
	s_and_b32 vcc_lo, exec_lo, s36
	s_cbranch_vccz .LBB102_1157
; %bb.1148:
	s_wait_xcnt 0x0
	s_delay_alu instid0(VALU_DEP_2) | instskip(SKIP_1) | instid1(VALU_DEP_1)
	v_cvt_f32_f64_e32 v2, v[0:1]
	s_mov_b32 s36, exec_lo
                                        ; implicit-def: $vgpr3
	v_and_b32_e32 v6, 0x7fffffff, v2
	s_delay_alu instid0(VALU_DEP_1)
	v_cmpx_gt_u32_e32 0x43f00000, v6
	s_xor_b32 s36, exec_lo, s36
	s_cbranch_execz .LBB102_1154
; %bb.1149:
	s_mov_b32 s37, exec_lo
                                        ; implicit-def: $vgpr3
	v_cmpx_lt_u32_e32 0x3c7fffff, v6
	s_xor_b32 s37, exec_lo, s37
; %bb.1150:
	v_bfe_u32 v3, v2, 20, 1
	s_delay_alu instid0(VALU_DEP_1) | instskip(NEXT) | instid1(VALU_DEP_1)
	v_add3_u32 v3, v2, v3, 0x407ffff
	v_and_b32_e32 v6, 0xff00000, v3
	v_lshrrev_b32_e32 v3, 20, v3
	s_delay_alu instid0(VALU_DEP_2) | instskip(NEXT) | instid1(VALU_DEP_2)
	v_cmp_ne_u32_e32 vcc_lo, 0x7f00000, v6
	v_cndmask_b32_e32 v3, 0x7e, v3, vcc_lo
; %bb.1151:
	s_and_not1_saveexec_b32 s37, s37
; %bb.1152:
	v_add_f32_e64 v3, 0x46800000, |v2|
; %bb.1153:
	s_or_b32 exec_lo, exec_lo, s37
                                        ; implicit-def: $vgpr6
.LBB102_1154:
	s_and_not1_saveexec_b32 s36, s36
; %bb.1155:
	v_mov_b32_e32 v3, 0x7f
	v_cmp_lt_u32_e32 vcc_lo, 0x7f800000, v6
	s_delay_alu instid0(VALU_DEP_2)
	v_cndmask_b32_e32 v3, 0x7e, v3, vcc_lo
; %bb.1156:
	s_or_b32 exec_lo, exec_lo, s36
	v_lshrrev_b32_e32 v2, 24, v2
	s_delay_alu instid0(VALU_DEP_1)
	v_and_or_b32 v2, 0x80, v2, v3
	global_store_b8 v[4:5], v2, off
.LBB102_1157:
	s_mov_b32 s36, 0
.LBB102_1158:
	s_delay_alu instid0(SALU_CYCLE_1)
	s_and_not1_b32 vcc_lo, exec_lo, s36
	s_cbranch_vccnz .LBB102_1168
; %bb.1159:
	s_wait_xcnt 0x0
	s_delay_alu instid0(VALU_DEP_2) | instskip(SKIP_1) | instid1(VALU_DEP_1)
	v_cvt_f32_f64_e32 v2, v[0:1]
	s_mov_b32 s36, exec_lo
                                        ; implicit-def: $vgpr3
	v_and_b32_e32 v6, 0x7fffffff, v2
	s_delay_alu instid0(VALU_DEP_1)
	v_cmpx_gt_u32_e32 0x47800000, v6
	s_xor_b32 s36, exec_lo, s36
	s_cbranch_execz .LBB102_1165
; %bb.1160:
	s_mov_b32 s37, exec_lo
                                        ; implicit-def: $vgpr3
	v_cmpx_lt_u32_e32 0x387fffff, v6
	s_xor_b32 s37, exec_lo, s37
; %bb.1161:
	v_bfe_u32 v3, v2, 21, 1
	s_delay_alu instid0(VALU_DEP_1) | instskip(NEXT) | instid1(VALU_DEP_1)
	v_add3_u32 v3, v2, v3, 0x80fffff
	v_lshrrev_b32_e32 v3, 21, v3
; %bb.1162:
	s_and_not1_saveexec_b32 s37, s37
; %bb.1163:
	v_add_f32_e64 v3, 0x43000000, |v2|
; %bb.1164:
	s_or_b32 exec_lo, exec_lo, s37
                                        ; implicit-def: $vgpr6
.LBB102_1165:
	s_and_not1_saveexec_b32 s36, s36
; %bb.1166:
	v_mov_b32_e32 v3, 0x7f
	v_cmp_lt_u32_e32 vcc_lo, 0x7f800000, v6
	s_delay_alu instid0(VALU_DEP_2)
	v_cndmask_b32_e32 v3, 0x7c, v3, vcc_lo
; %bb.1167:
	s_or_b32 exec_lo, exec_lo, s36
	v_lshrrev_b32_e32 v2, 24, v2
	s_delay_alu instid0(VALU_DEP_1)
	v_and_or_b32 v2, 0x80, v2, v3
	global_store_b8 v[4:5], v2, off
.LBB102_1168:
	s_mov_b32 s37, 0
	s_mov_b32 s36, -1
.LBB102_1169:
	s_and_not1_b32 vcc_lo, exec_lo, s37
	s_cbranch_vccnz .LBB102_1177
; %bb.1170:
	s_cmp_gt_i32 s35, 14
	s_mov_b32 s37, -1
	s_cbranch_scc0 .LBB102_1174
; %bb.1171:
	s_cmp_eq_u32 s35, 15
	s_mov_b32 s0, -1
	s_cbranch_scc0 .LBB102_1173
; %bb.1172:
	s_wait_xcnt 0x0
	s_delay_alu instid0(VALU_DEP_2) | instskip(SKIP_2) | instid1(VALU_DEP_1)
	v_cvt_f32_f64_e32 v2, v[0:1]
	s_mov_b32 s36, -1
	s_mov_b32 s0, 0
	v_bfe_u32 v3, v2, 16, 1
	v_cmp_o_f32_e32 vcc_lo, v2, v2
	s_delay_alu instid0(VALU_DEP_2) | instskip(NEXT) | instid1(VALU_DEP_1)
	v_add3_u32 v3, v2, v3, 0x7fff
	v_lshrrev_b32_e32 v3, 16, v3
	s_delay_alu instid0(VALU_DEP_1)
	v_cndmask_b32_e32 v2, 0x7fc0, v3, vcc_lo
	global_store_b16 v[4:5], v2, off
.LBB102_1173:
	s_mov_b32 s37, 0
.LBB102_1174:
	s_delay_alu instid0(SALU_CYCLE_1)
	s_and_b32 vcc_lo, exec_lo, s37
	s_cbranch_vccz .LBB102_1177
; %bb.1175:
	s_cmp_eq_u32 s35, 11
	s_mov_b32 s0, -1
	s_cbranch_scc0 .LBB102_1177
; %bb.1176:
	s_delay_alu instid0(VALU_DEP_2)
	v_cmp_neq_f64_e32 vcc_lo, 0, v[0:1]
	s_mov_b32 s36, -1
	s_mov_b32 s0, 0
	s_wait_xcnt 0x0
	v_cndmask_b32_e64 v2, 0, 1, vcc_lo
	global_store_b8 v[4:5], v2, off
.LBB102_1177:
	s_mov_b32 s35, 0
.LBB102_1178:
	s_delay_alu instid0(SALU_CYCLE_1)
	s_and_b32 vcc_lo, exec_lo, s35
	s_cbranch_vccz .LBB102_1217
; %bb.1179:
	s_and_b32 s34, 0xffff, s34
	s_mov_b32 s35, -1
	s_cmp_lt_i32 s34, 5
	s_cbranch_scc1 .LBB102_1200
; %bb.1180:
	s_cmp_lt_i32 s34, 8
	s_cbranch_scc1 .LBB102_1190
; %bb.1181:
	;; [unrolled: 3-line block ×3, first 2 shown]
	s_cmp_gt_i32 s34, 9
	s_cbranch_scc0 .LBB102_1184
; %bb.1183:
	s_wait_xcnt 0x0
	v_mov_b32_e32 v2, 0
	s_mov_b32 s35, 0
	s_delay_alu instid0(VALU_DEP_1)
	v_mov_b32_e32 v3, v2
	global_store_b128 v[4:5], v[0:3], off
.LBB102_1184:
	s_and_not1_b32 vcc_lo, exec_lo, s35
	s_cbranch_vccnz .LBB102_1186
; %bb.1185:
	s_wait_xcnt 0x0
	s_delay_alu instid0(VALU_DEP_2)
	v_cvt_f32_f64_e32 v2, v[0:1]
	v_mov_b32_e32 v3, 0
	global_store_b64 v[4:5], v[2:3], off
.LBB102_1186:
	s_mov_b32 s35, 0
.LBB102_1187:
	s_delay_alu instid0(SALU_CYCLE_1)
	s_and_not1_b32 vcc_lo, exec_lo, s35
	s_cbranch_vccnz .LBB102_1189
; %bb.1188:
	s_wait_xcnt 0x0
	s_delay_alu instid0(VALU_DEP_2) | instskip(SKIP_2) | instid1(VALU_DEP_3)
	v_and_or_b32 v2, 0x1ff, v1, v0
	v_lshrrev_b32_e32 v3, 8, v1
	v_bfe_u32 v6, v1, 20, 11
	v_cmp_ne_u32_e32 vcc_lo, 0, v2
	s_delay_alu instid0(VALU_DEP_2) | instskip(SKIP_1) | instid1(VALU_DEP_1)
	v_sub_nc_u32_e32 v7, 0x3f1, v6
	v_cndmask_b32_e64 v2, 0, 1, vcc_lo
	v_and_or_b32 v2, 0xffe, v3, v2
	s_delay_alu instid0(VALU_DEP_3) | instskip(NEXT) | instid1(VALU_DEP_2)
	v_med3_i32 v3, v7, 0, 13
	v_or_b32_e32 v7, 0x1000, v2
	s_delay_alu instid0(VALU_DEP_1) | instskip(NEXT) | instid1(VALU_DEP_1)
	v_lshrrev_b32_e32 v8, v3, v7
	v_lshlrev_b32_e32 v3, v3, v8
	s_delay_alu instid0(VALU_DEP_1) | instskip(SKIP_1) | instid1(VALU_DEP_1)
	v_cmp_ne_u32_e32 vcc_lo, v3, v7
	v_cndmask_b32_e64 v3, 0, 1, vcc_lo
	v_or_b32_e32 v3, v8, v3
	v_add_nc_u32_e32 v6, 0xfffffc10, v6
	s_delay_alu instid0(VALU_DEP_1) | instskip(SKIP_1) | instid1(VALU_DEP_2)
	v_lshl_or_b32 v7, v6, 12, v2
	v_cmp_gt_i32_e32 vcc_lo, 1, v6
	v_cndmask_b32_e32 v3, v7, v3, vcc_lo
	s_delay_alu instid0(VALU_DEP_1) | instskip(NEXT) | instid1(VALU_DEP_1)
	v_dual_lshrrev_b32 v3, 2, v3 :: v_dual_bitop2_b32 v7, 7, v3 bitop3:0x40
	v_cmp_lt_i32_e32 vcc_lo, 5, v7
	v_cndmask_b32_e64 v8, 0, 1, vcc_lo
	v_cmp_eq_u32_e32 vcc_lo, 3, v7
	v_cndmask_b32_e64 v7, 0, 1, vcc_lo
	v_cmp_ne_u32_e32 vcc_lo, 0, v2
	s_delay_alu instid0(VALU_DEP_2) | instskip(NEXT) | instid1(VALU_DEP_1)
	v_or_b32_e32 v7, v7, v8
	v_dual_mov_b32 v8, 0x7e00 :: v_dual_add_nc_u32 v3, v3, v7
	s_delay_alu instid0(VALU_DEP_1) | instskip(SKIP_2) | instid1(VALU_DEP_4)
	v_cndmask_b32_e32 v2, 0x7c00, v8, vcc_lo
	v_cmp_gt_i32_e32 vcc_lo, 31, v6
	v_lshrrev_b32_e32 v7, 16, v1
	v_cndmask_b32_e32 v3, 0x7c00, v3, vcc_lo
	v_cmp_eq_u32_e32 vcc_lo, 0x40f, v6
	s_delay_alu instid0(VALU_DEP_2) | instskip(NEXT) | instid1(VALU_DEP_4)
	v_cndmask_b32_e32 v2, v3, v2, vcc_lo
	v_and_b32_e32 v3, 0x8000, v7
	s_delay_alu instid0(VALU_DEP_1)
	v_bitop3_b32 v2, v3, 0xffff, v2 bitop3:0xc8
	global_store_b32 v[4:5], v2, off
.LBB102_1189:
	s_mov_b32 s35, 0
.LBB102_1190:
	s_delay_alu instid0(SALU_CYCLE_1)
	s_and_not1_b32 vcc_lo, exec_lo, s35
	s_cbranch_vccnz .LBB102_1199
; %bb.1191:
	s_cmp_lt_i32 s34, 6
	s_mov_b32 s35, -1
	s_cbranch_scc1 .LBB102_1197
; %bb.1192:
	s_cmp_gt_i32 s34, 6
	s_cbranch_scc0 .LBB102_1194
; %bb.1193:
	s_mov_b32 s35, 0
	global_store_b64 v[4:5], v[0:1], off
.LBB102_1194:
	s_and_not1_b32 vcc_lo, exec_lo, s35
	s_cbranch_vccnz .LBB102_1196
; %bb.1195:
	s_wait_xcnt 0x0
	s_delay_alu instid0(VALU_DEP_2)
	v_cvt_f32_f64_e32 v2, v[0:1]
	global_store_b32 v[4:5], v2, off
.LBB102_1196:
	s_mov_b32 s35, 0
.LBB102_1197:
	s_delay_alu instid0(SALU_CYCLE_1)
	s_and_not1_b32 vcc_lo, exec_lo, s35
	s_cbranch_vccnz .LBB102_1199
; %bb.1198:
	s_wait_xcnt 0x0
	s_delay_alu instid0(VALU_DEP_2) | instskip(SKIP_2) | instid1(VALU_DEP_3)
	v_and_or_b32 v2, 0x1ff, v1, v0
	v_lshrrev_b32_e32 v3, 8, v1
	v_bfe_u32 v6, v1, 20, 11
	v_cmp_ne_u32_e32 vcc_lo, 0, v2
	s_delay_alu instid0(VALU_DEP_2) | instskip(SKIP_1) | instid1(VALU_DEP_1)
	v_sub_nc_u32_e32 v7, 0x3f1, v6
	v_cndmask_b32_e64 v2, 0, 1, vcc_lo
	v_and_or_b32 v2, 0xffe, v3, v2
	s_delay_alu instid0(VALU_DEP_3) | instskip(NEXT) | instid1(VALU_DEP_2)
	v_med3_i32 v3, v7, 0, 13
	v_or_b32_e32 v7, 0x1000, v2
	s_delay_alu instid0(VALU_DEP_1) | instskip(NEXT) | instid1(VALU_DEP_1)
	v_lshrrev_b32_e32 v8, v3, v7
	v_lshlrev_b32_e32 v3, v3, v8
	s_delay_alu instid0(VALU_DEP_1) | instskip(SKIP_1) | instid1(VALU_DEP_1)
	v_cmp_ne_u32_e32 vcc_lo, v3, v7
	v_cndmask_b32_e64 v3, 0, 1, vcc_lo
	v_or_b32_e32 v3, v8, v3
	v_add_nc_u32_e32 v6, 0xfffffc10, v6
	s_delay_alu instid0(VALU_DEP_1) | instskip(SKIP_1) | instid1(VALU_DEP_2)
	v_lshl_or_b32 v7, v6, 12, v2
	v_cmp_gt_i32_e32 vcc_lo, 1, v6
	v_cndmask_b32_e32 v3, v7, v3, vcc_lo
	s_delay_alu instid0(VALU_DEP_1) | instskip(NEXT) | instid1(VALU_DEP_1)
	v_dual_lshrrev_b32 v3, 2, v3 :: v_dual_bitop2_b32 v7, 7, v3 bitop3:0x40
	v_cmp_lt_i32_e32 vcc_lo, 5, v7
	v_cndmask_b32_e64 v8, 0, 1, vcc_lo
	v_cmp_eq_u32_e32 vcc_lo, 3, v7
	v_cndmask_b32_e64 v7, 0, 1, vcc_lo
	v_cmp_ne_u32_e32 vcc_lo, 0, v2
	s_delay_alu instid0(VALU_DEP_2) | instskip(NEXT) | instid1(VALU_DEP_1)
	v_or_b32_e32 v7, v7, v8
	v_dual_mov_b32 v8, 0x7e00 :: v_dual_add_nc_u32 v3, v3, v7
	s_delay_alu instid0(VALU_DEP_1) | instskip(SKIP_1) | instid1(VALU_DEP_3)
	v_cndmask_b32_e32 v2, 0x7c00, v8, vcc_lo
	v_cmp_gt_i32_e32 vcc_lo, 31, v6
	v_cndmask_b32_e32 v3, 0x7c00, v3, vcc_lo
	v_cmp_eq_u32_e32 vcc_lo, 0x40f, v6
	s_delay_alu instid0(VALU_DEP_2) | instskip(NEXT) | instid1(VALU_DEP_1)
	v_dual_cndmask_b32 v2, v3, v2 :: v_dual_lshrrev_b32 v3, 16, v1
	v_and_or_b32 v2, 0x8000, v3, v2
	global_store_b16 v[4:5], v2, off
.LBB102_1199:
	s_mov_b32 s35, 0
.LBB102_1200:
	s_delay_alu instid0(SALU_CYCLE_1)
	s_and_not1_b32 vcc_lo, exec_lo, s35
	s_cbranch_vccnz .LBB102_1216
; %bb.1201:
	s_cmp_lt_i32 s34, 2
	s_mov_b32 s35, -1
	s_cbranch_scc1 .LBB102_1211
; %bb.1202:
	s_cmp_lt_i32 s34, 3
	s_cbranch_scc1 .LBB102_1208
; %bb.1203:
	s_cmp_gt_i32 s34, 3
	s_cbranch_scc0 .LBB102_1205
; %bb.1204:
	s_wait_xcnt 0x0
	s_delay_alu instid0(VALU_DEP_2) | instskip(SKIP_1) | instid1(VALU_DEP_1)
	v_trunc_f64_e32 v[2:3], v[0:1]
	s_mov_b32 s35, 0
	v_ldexp_f64 v[6:7], v[2:3], 0xffffffe0
	s_delay_alu instid0(VALU_DEP_1) | instskip(NEXT) | instid1(VALU_DEP_1)
	v_floor_f64_e32 v[6:7], v[6:7]
	v_fmamk_f64 v[2:3], v[6:7], 0xc1f00000, v[2:3]
	v_cvt_i32_f64_e32 v7, v[6:7]
	s_delay_alu instid0(VALU_DEP_2)
	v_cvt_u32_f64_e32 v6, v[2:3]
	global_store_b64 v[4:5], v[6:7], off
.LBB102_1205:
	s_and_not1_b32 vcc_lo, exec_lo, s35
	s_cbranch_vccnz .LBB102_1207
; %bb.1206:
	s_wait_xcnt 0x0
	s_delay_alu instid0(VALU_DEP_2)
	v_cvt_i32_f64_e32 v2, v[0:1]
	global_store_b32 v[4:5], v2, off
.LBB102_1207:
	s_mov_b32 s35, 0
.LBB102_1208:
	s_delay_alu instid0(SALU_CYCLE_1)
	s_and_not1_b32 vcc_lo, exec_lo, s35
	s_cbranch_vccnz .LBB102_1210
; %bb.1209:
	s_wait_xcnt 0x0
	s_delay_alu instid0(VALU_DEP_2)
	v_cvt_i32_f64_e32 v2, v[0:1]
	global_store_b16 v[4:5], v2, off
.LBB102_1210:
	s_mov_b32 s35, 0
.LBB102_1211:
	s_delay_alu instid0(SALU_CYCLE_1)
	s_and_not1_b32 vcc_lo, exec_lo, s35
	s_cbranch_vccnz .LBB102_1216
; %bb.1212:
	s_cmp_gt_i32 s34, 0
	s_mov_b32 s34, -1
	s_cbranch_scc0 .LBB102_1214
; %bb.1213:
	s_wait_xcnt 0x0
	s_delay_alu instid0(VALU_DEP_2)
	v_cvt_i32_f64_e32 v2, v[0:1]
	s_mov_b32 s34, 0
	global_store_b8 v[4:5], v2, off
.LBB102_1214:
	s_and_not1_b32 vcc_lo, exec_lo, s34
	s_cbranch_vccnz .LBB102_1216
; %bb.1215:
	s_wait_xcnt 0x0
	s_delay_alu instid0(VALU_DEP_2) | instskip(NEXT) | instid1(VALU_DEP_1)
	v_trunc_f64_e32 v[0:1], v[0:1]
	v_ldexp_f64 v[2:3], v[0:1], 0xffffffe0
	s_delay_alu instid0(VALU_DEP_1) | instskip(NEXT) | instid1(VALU_DEP_1)
	v_floor_f64_e32 v[2:3], v[2:3]
	v_fmamk_f64 v[0:1], v[2:3], 0xc1f00000, v[0:1]
	s_delay_alu instid0(VALU_DEP_1)
	v_cvt_u32_f64_e32 v0, v[0:1]
	global_store_b8 v[4:5], v0, off
.LBB102_1216:
	s_mov_b32 s36, -1
.LBB102_1217:
	s_delay_alu instid0(SALU_CYCLE_1)
	s_and_not1_b32 vcc_lo, exec_lo, s36
	s_cbranch_vccnz .LBB102_1228
; %bb.1218:
	v_add_nc_u32_e32 v18, 0x80, v18
	s_mov_b32 s35, -1
.LBB102_1219:
	s_and_not1_b32 s34, s25, exec_lo
	s_and_b32 s0, s0, exec_lo
	s_and_not1_b32 s36, s26, exec_lo
	s_and_b32 s33, s33, exec_lo
	s_or_b32 s34, s34, s0
	s_or_b32 s33, s36, s33
	s_and_not1_b32 s0, s27, exec_lo
	s_and_b32 s30, s30, exec_lo
	s_and_not1_b32 s36, s24, exec_lo
	s_and_b32 s31, s31, exec_lo
	s_or_b32 s30, s0, s30
	s_or_b32 s0, s36, s31
	s_or_not1_b32 s31, s35, exec_lo
.LBB102_1220:
	s_wait_xcnt 0x0
	s_or_b32 exec_lo, exec_lo, s29
	s_mov_b32 s35, 0
	s_and_saveexec_b32 s29, s31
	s_cbranch_execz .LBB102_1243
; %bb.1221:
	v_cmp_gt_i32_e32 vcc_lo, s19, v18
	s_mov_b32 s31, 0
	s_mov_b32 s35, s0
	s_and_saveexec_b32 s19, vcc_lo
	s_cbranch_execz .LBB102_1242
; %bb.1222:
	s_and_b32 s36, s16, 0xff
	s_delay_alu instid0(SALU_CYCLE_1)
	s_cmp_lt_i32 s36, 23
	s_cbranch_scc1 .LBB102_1226
; %bb.1223:
	s_and_b32 s37, 0xffff, s36
	s_delay_alu instid0(SALU_CYCLE_1)
	s_cmp_gt_i32 s37, 43
	s_cbranch_scc0 .LBB102_1227
; %bb.1224:
	s_cmp_gt_i32 s37, 45
	s_cbranch_scc0 .LBB102_1229
; %bb.1225:
	s_cmp_lg_u32 s37, 46
	s_mov_b32 s38, 0
	s_cselect_b32 s31, -1, 0
	s_and_not1_b32 s35, s0, exec_lo
	s_and_b32 s39, s31, exec_lo
	s_mov_b32 s31, -1
	s_or_b32 s35, s35, s39
	s_branch .LBB102_1230
.LBB102_1226:
	s_mov_b32 s37, -1
	s_mov_b32 s35, s0
	s_branch .LBB102_1236
.LBB102_1227:
	s_mov_b32 s38, -1
	s_mov_b32 s35, s0
	s_branch .LBB102_1233
.LBB102_1228:
	s_mov_b32 s35, 0
	s_branch .LBB102_840
.LBB102_1229:
	s_mov_b32 s38, -1
	s_mov_b32 s35, s0
.LBB102_1230:
	s_and_not1_b32 vcc_lo, exec_lo, s38
	s_cbranch_vccnz .LBB102_1232
; %bb.1231:
	s_cmp_eq_u32 s37, 44
	s_cselect_b32 s31, -1, 0
	s_cmp_lg_u32 s37, 44
	s_cselect_b32 s38, -1, 0
	s_and_not1_b32 s35, s35, exec_lo
	s_and_b32 s38, s38, exec_lo
	s_delay_alu instid0(SALU_CYCLE_1)
	s_or_b32 s35, s35, s38
.LBB102_1232:
	s_mov_b32 s38, 0
.LBB102_1233:
	s_delay_alu instid0(SALU_CYCLE_1)
	s_and_b32 vcc_lo, exec_lo, s38
	s_cbranch_vccz .LBB102_1235
; %bb.1234:
	s_cmp_lt_i32 s37, 30
	s_cselect_b32 s31, -1, 0
	s_cmp_gt_i32 s37, 29
	s_cselect_b32 s37, -1, 0
	s_and_not1_b32 s35, s35, exec_lo
	s_and_b32 s37, s37, exec_lo
	s_delay_alu instid0(SALU_CYCLE_1)
	s_or_b32 s35, s35, s37
.LBB102_1235:
	s_mov_b32 s37, 0
.LBB102_1236:
	s_delay_alu instid0(SALU_CYCLE_1)
	s_and_b32 vcc_lo, exec_lo, s37
	s_cbranch_vccz .LBB102_1241
; %bb.1237:
	s_and_b32 s36, 0xffff, s36
	s_mov_b32 s37, -1
	s_cmp_gt_i32 s36, 14
	s_cbranch_scc0 .LBB102_1239
; %bb.1238:
	s_cmp_eq_u32 s36, 15
	s_cselect_b32 s31, -1, 0
	s_cmp_lg_u32 s36, 15
	s_cselect_b32 s37, -1, 0
	s_and_not1_b32 s35, s35, exec_lo
	s_and_b32 s38, s37, exec_lo
	s_mov_b32 s37, 0
	s_or_b32 s35, s35, s38
.LBB102_1239:
	s_and_not1_b32 vcc_lo, exec_lo, s37
	s_cbranch_vccnz .LBB102_1241
; %bb.1240:
	s_cmp_lt_i32 s36, 12
	s_cselect_b32 s31, -1, 0
	s_cmp_gt_i32 s36, 11
	s_cselect_b32 s36, -1, 0
	s_and_not1_b32 s35, s35, exec_lo
	s_and_b32 s36, s36, exec_lo
	s_delay_alu instid0(SALU_CYCLE_1)
	s_or_b32 s35, s35, s36
.LBB102_1241:
	s_and_not1_b32 s36, s0, exec_lo
	s_and_b32 s35, s35, exec_lo
	s_and_b32 s31, s31, exec_lo
	s_or_b32 s35, s36, s35
.LBB102_1242:
	s_or_b32 exec_lo, exec_lo, s19
	s_delay_alu instid0(SALU_CYCLE_1)
	s_and_not1_b32 s0, s0, exec_lo
	s_and_b32 s19, s35, exec_lo
	s_and_b32 s35, s31, exec_lo
	s_or_b32 s0, s0, s19
.LBB102_1243:
	s_or_b32 exec_lo, exec_lo, s29
	s_delay_alu instid0(SALU_CYCLE_1)
	s_and_not1_b32 s19, s25, exec_lo
	s_and_b32 s25, s34, exec_lo
	s_and_not1_b32 s27, s27, exec_lo
	s_or_b32 s25, s19, s25
	s_and_not1_b32 s19, s26, exec_lo
	s_and_b32 s26, s33, exec_lo
	s_and_b32 s29, s30, exec_lo
	s_or_b32 s26, s19, s26
	s_and_not1_b32 s19, s24, exec_lo
	s_and_b32 s24, s0, exec_lo
	s_or_b32 s27, s27, s29
	s_and_b32 s0, s35, exec_lo
	s_or_b32 s24, s19, s24
.LBB102_1244:
	s_or_b32 exec_lo, exec_lo, s28
	s_delay_alu instid0(SALU_CYCLE_1)
	s_and_not1_b32 s18, s18, exec_lo
	s_and_b32 s19, s25, exec_lo
	s_and_not1_b32 s21, s21, exec_lo
	s_or_b32 s18, s18, s19
	s_and_not1_b32 s19, s20, exec_lo
	s_and_b32 s20, s26, exec_lo
	s_and_b32 s25, s27, exec_lo
	s_or_b32 s20, s19, s20
	s_and_not1_b32 s19, s22, exec_lo
	s_and_b32 s22, s24, exec_lo
	s_or_b32 s21, s21, s25
	s_and_b32 s24, s0, exec_lo
	s_or_b32 s22, s19, s22
.LBB102_1245:
	s_or_b32 exec_lo, exec_lo, s23
	s_mov_b32 s25, 0
	s_mov_b32 s19, 0
	s_and_saveexec_b32 s0, s22
	s_cbranch_execnz .LBB102_1260
.LBB102_1246:
	s_or_b32 exec_lo, exec_lo, s0
	s_mov_b32 s26, 0
	s_mov_b32 s23, 0
                                        ; implicit-def: $sgpr0
                                        ; implicit-def: $vgpr0_vgpr1
                                        ; implicit-def: $vgpr2_vgpr3
	s_and_saveexec_b32 s22, s24
	s_cbranch_execz .LBB102_1254
; %bb.1247:
	s_wait_loadcnt 0x0
	v_mul_lo_u32 v0, v18, s4
	s_and_b32 s0, s14, 0xff
	s_delay_alu instid0(SALU_CYCLE_1) | instskip(NEXT) | instid1(VALU_DEP_1)
	s_cmp_lt_i32 s0, 11
	v_ashrrev_i32_e32 v1, 31, v0
	s_delay_alu instid0(VALU_DEP_1)
	v_add_nc_u64_e32 v[0:1], s[8:9], v[0:1]
	s_cbranch_scc1 .LBB102_1257
; %bb.1248:
	s_and_b32 s23, 0xffff, s0
	s_delay_alu instid0(SALU_CYCLE_1)
	s_cmp_gt_i32 s23, 25
	s_cbranch_scc0 .LBB102_1258
; %bb.1249:
	s_cmp_gt_i32 s23, 28
	s_cbranch_scc0 .LBB102_1259
; %bb.1250:
	;; [unrolled: 3-line block ×4, first 2 shown]
	s_cmp_eq_u32 s23, 46
	s_mov_b32 s27, 0
	s_cbranch_scc0 .LBB102_1263
; %bb.1253:
	global_load_b32 v2, v[0:1], off
	s_mov_b32 s24, 0
	s_mov_b32 s26, -1
	s_wait_loadcnt 0x0
	v_lshlrev_b32_e32 v2, 16, v2
	s_delay_alu instid0(VALU_DEP_1)
	v_cvt_f64_f32_e32 v[2:3], v2
	s_branch .LBB102_1265
.LBB102_1254:
	s_or_b32 exec_lo, exec_lo, s22
	s_and_saveexec_b32 s22, s21
	s_cbranch_execnz .LBB102_1328
.LBB102_1255:
	s_or_b32 exec_lo, exec_lo, s22
	s_and_saveexec_b32 s21, s25
	s_delay_alu instid0(SALU_CYCLE_1)
	s_xor_b32 s21, exec_lo, s21
	s_cbranch_execz .LBB102_1329
.LBB102_1256:
	s_wait_loadcnt 0x0
	global_load_u8 v2, v[0:1], off
	s_or_b32 s23, s23, exec_lo
	s_wait_loadcnt 0x0
	v_cmp_ne_u16_e32 vcc_lo, 0, v2
	v_mov_b32_e32 v2, 0
	v_cndmask_b32_e64 v3, 0, 0x3ff00000, vcc_lo
	s_wait_xcnt 0x0
	s_or_b32 exec_lo, exec_lo, s21
	s_and_saveexec_b32 s21, s26
	s_cbranch_execz .LBB102_1375
	s_branch .LBB102_1330
.LBB102_1257:
	s_mov_b32 s27, -1
	s_mov_b32 s24, s21
                                        ; implicit-def: $vgpr2_vgpr3
	s_branch .LBB102_1327
.LBB102_1258:
	s_mov_b32 s24, s21
                                        ; implicit-def: $vgpr2_vgpr3
	s_cbranch_execnz .LBB102_1294
	s_branch .LBB102_1326
.LBB102_1259:
	s_mov_b32 s27, -1
	s_mov_b32 s24, s21
                                        ; implicit-def: $vgpr2_vgpr3
	s_branch .LBB102_1275
.LBB102_1260:
	s_mov_b32 s19, exec_lo
	s_and_not1_b32 s24, s24, exec_lo
	s_trap 2
	s_branch .LBB102_1246
.LBB102_1261:
	s_mov_b32 s27, -1
	s_mov_b32 s24, s21
                                        ; implicit-def: $vgpr2_vgpr3
	s_branch .LBB102_1270
.LBB102_1262:
	s_mov_b32 s27, -1
	s_mov_b32 s24, s21
	s_branch .LBB102_1264
.LBB102_1263:
	s_mov_b32 s24, -1
.LBB102_1264:
                                        ; implicit-def: $vgpr2_vgpr3
.LBB102_1265:
	s_and_b32 vcc_lo, exec_lo, s27
	s_cbranch_vccz .LBB102_1269
; %bb.1266:
	s_cmp_eq_u32 s23, 44
	s_cbranch_scc0 .LBB102_1268
; %bb.1267:
	global_load_u8 v4, v[0:1], off
	s_mov_b32 s24, 0
	s_mov_b32 s26, -1
	s_wait_loadcnt 0x0
	v_cmp_ne_u32_e32 vcc_lo, 0xff, v4
	v_lshlrev_b32_e32 v2, 23, v4
	s_delay_alu instid0(VALU_DEP_1) | instskip(NEXT) | instid1(VALU_DEP_1)
	v_cvt_f64_f32_e32 v[2:3], v2
	v_cndmask_b32_e32 v2, 0x20000000, v2, vcc_lo
	s_delay_alu instid0(VALU_DEP_2) | instskip(SKIP_1) | instid1(VALU_DEP_2)
	v_cndmask_b32_e32 v3, 0x7ff80000, v3, vcc_lo
	v_cmp_ne_u32_e32 vcc_lo, 0, v4
	v_cndmask_b32_e32 v3, 0x38000000, v3, vcc_lo
	s_delay_alu instid0(VALU_DEP_4)
	v_cndmask_b32_e32 v2, 0, v2, vcc_lo
	s_branch .LBB102_1269
.LBB102_1268:
	s_mov_b32 s24, -1
                                        ; implicit-def: $vgpr2_vgpr3
.LBB102_1269:
	s_mov_b32 s27, 0
.LBB102_1270:
	s_delay_alu instid0(SALU_CYCLE_1)
	s_and_b32 vcc_lo, exec_lo, s27
	s_cbranch_vccz .LBB102_1274
; %bb.1271:
	s_cmp_eq_u32 s23, 29
	s_cbranch_scc0 .LBB102_1273
; %bb.1272:
	global_load_b64 v[2:3], v[0:1], off
	s_mov_b32 s24, 0
	s_mov_b32 s26, -1
	s_mov_b32 s27, 0
	s_wait_loadcnt 0x0
	v_cvt_f64_u32_e32 v[4:5], v3
	v_cvt_f64_u32_e32 v[2:3], v2
	s_delay_alu instid0(VALU_DEP_2) | instskip(NEXT) | instid1(VALU_DEP_1)
	v_ldexp_f64 v[4:5], v[4:5], 32
	v_add_f64_e32 v[2:3], v[4:5], v[2:3]
	s_branch .LBB102_1275
.LBB102_1273:
	s_mov_b32 s24, -1
                                        ; implicit-def: $vgpr2_vgpr3
.LBB102_1274:
	s_mov_b32 s27, 0
.LBB102_1275:
	s_delay_alu instid0(SALU_CYCLE_1)
	s_and_b32 vcc_lo, exec_lo, s27
	s_cbranch_vccz .LBB102_1293
; %bb.1276:
	s_cmp_lt_i32 s23, 27
	s_cbranch_scc1 .LBB102_1279
; %bb.1277:
	s_cmp_gt_i32 s23, 27
	s_cbranch_scc0 .LBB102_1280
; %bb.1278:
	global_load_b32 v2, v[0:1], off
	s_mov_b32 s26, 0
	s_wait_loadcnt 0x0
	v_cvt_f64_u32_e32 v[2:3], v2
	s_branch .LBB102_1281
.LBB102_1279:
	s_mov_b32 s26, -1
                                        ; implicit-def: $vgpr2_vgpr3
	s_branch .LBB102_1284
.LBB102_1280:
	s_mov_b32 s26, -1
                                        ; implicit-def: $vgpr2_vgpr3
.LBB102_1281:
	s_delay_alu instid0(SALU_CYCLE_1)
	s_and_not1_b32 vcc_lo, exec_lo, s26
	s_cbranch_vccnz .LBB102_1283
; %bb.1282:
	global_load_u16 v2, v[0:1], off
	s_wait_loadcnt 0x0
	v_cvt_f64_u32_e32 v[2:3], v2
.LBB102_1283:
	s_mov_b32 s26, 0
.LBB102_1284:
	s_delay_alu instid0(SALU_CYCLE_1)
	s_and_not1_b32 vcc_lo, exec_lo, s26
	s_cbranch_vccnz .LBB102_1292
; %bb.1285:
	global_load_u8 v4, v[0:1], off
	s_mov_b32 s26, 0
	s_mov_b32 s27, exec_lo
	s_wait_loadcnt 0x0
	v_cmpx_lt_i16_e32 0x7f, v4
	s_xor_b32 s27, exec_lo, s27
	s_cbranch_execz .LBB102_1305
; %bb.1286:
	s_mov_b32 s26, -1
	s_mov_b32 s28, exec_lo
	v_cmpx_eq_u16_e32 0x80, v4
; %bb.1287:
	s_xor_b32 s26, exec_lo, -1
; %bb.1288:
	s_or_b32 exec_lo, exec_lo, s28
	s_delay_alu instid0(SALU_CYCLE_1)
	s_and_b32 s26, s26, exec_lo
	s_or_saveexec_b32 s27, s27
	v_mov_b64_e32 v[2:3], 0x7ff8000020000000
	s_xor_b32 exec_lo, exec_lo, s27
	s_cbranch_execnz .LBB102_1306
.LBB102_1289:
	s_or_b32 exec_lo, exec_lo, s27
	s_and_saveexec_b32 s27, s26
	s_cbranch_execz .LBB102_1291
.LBB102_1290:
	v_and_b32_e32 v2, 0xffff, v4
	s_delay_alu instid0(VALU_DEP_1) | instskip(SKIP_1) | instid1(VALU_DEP_2)
	v_and_b32_e32 v3, 7, v2
	v_bfe_u32 v7, v2, 3, 4
	v_clz_i32_u32_e32 v5, v3
	s_delay_alu instid0(VALU_DEP_2) | instskip(NEXT) | instid1(VALU_DEP_2)
	v_cmp_eq_u32_e32 vcc_lo, 0, v7
	v_min_u32_e32 v5, 32, v5
	s_delay_alu instid0(VALU_DEP_1) | instskip(NEXT) | instid1(VALU_DEP_1)
	v_subrev_nc_u32_e32 v6, 28, v5
	v_dual_lshlrev_b32 v2, v6, v2 :: v_dual_sub_nc_u32 v5, 29, v5
	s_delay_alu instid0(VALU_DEP_1) | instskip(NEXT) | instid1(VALU_DEP_2)
	v_dual_lshlrev_b32 v4, 24, v4 :: v_dual_bitop2_b32 v2, 7, v2 bitop3:0x40
	v_cndmask_b32_e32 v5, v7, v5, vcc_lo
	s_delay_alu instid0(VALU_DEP_2) | instskip(NEXT) | instid1(VALU_DEP_3)
	v_cndmask_b32_e32 v2, v3, v2, vcc_lo
	v_and_b32_e32 v3, 0x80000000, v4
	s_delay_alu instid0(VALU_DEP_3) | instskip(NEXT) | instid1(VALU_DEP_3)
	v_lshl_add_u32 v4, v5, 23, 0x3b800000
	v_lshlrev_b32_e32 v2, 20, v2
	s_delay_alu instid0(VALU_DEP_1) | instskip(NEXT) | instid1(VALU_DEP_1)
	v_or3_b32 v2, v3, v4, v2
	v_cvt_f64_f32_e32 v[2:3], v2
.LBB102_1291:
	s_or_b32 exec_lo, exec_lo, s27
.LBB102_1292:
	s_mov_b32 s26, -1
.LBB102_1293:
	s_branch .LBB102_1326
.LBB102_1294:
	s_cmp_gt_i32 s23, 22
	s_cbranch_scc0 .LBB102_1304
; %bb.1295:
	s_cmp_lt_i32 s23, 24
	s_cbranch_scc1 .LBB102_1307
; %bb.1296:
	s_cmp_gt_i32 s23, 24
	s_cbranch_scc0 .LBB102_1308
; %bb.1297:
	global_load_u8 v4, v[0:1], off
	s_mov_b32 s26, exec_lo
	s_wait_loadcnt 0x0
	v_cmpx_lt_i16_e32 0x7f, v4
	s_xor_b32 s26, exec_lo, s26
	s_cbranch_execz .LBB102_1320
; %bb.1298:
	s_mov_b32 s25, -1
	s_mov_b32 s27, exec_lo
	v_cmpx_eq_u16_e32 0x80, v4
; %bb.1299:
	s_xor_b32 s25, exec_lo, -1
; %bb.1300:
	s_or_b32 exec_lo, exec_lo, s27
	s_delay_alu instid0(SALU_CYCLE_1)
	s_and_b32 s25, s25, exec_lo
	s_or_saveexec_b32 s26, s26
	v_mov_b64_e32 v[2:3], 0x7ff8000020000000
	s_xor_b32 exec_lo, exec_lo, s26
	s_cbranch_execnz .LBB102_1321
.LBB102_1301:
	s_or_b32 exec_lo, exec_lo, s26
	s_and_saveexec_b32 s26, s25
	s_cbranch_execz .LBB102_1303
.LBB102_1302:
	v_and_b32_e32 v2, 0xffff, v4
	s_delay_alu instid0(VALU_DEP_1) | instskip(SKIP_1) | instid1(VALU_DEP_2)
	v_and_b32_e32 v3, 3, v2
	v_bfe_u32 v7, v2, 2, 5
	v_clz_i32_u32_e32 v5, v3
	s_delay_alu instid0(VALU_DEP_2) | instskip(NEXT) | instid1(VALU_DEP_2)
	v_cmp_eq_u32_e32 vcc_lo, 0, v7
	v_min_u32_e32 v5, 32, v5
	s_delay_alu instid0(VALU_DEP_1) | instskip(NEXT) | instid1(VALU_DEP_1)
	v_subrev_nc_u32_e32 v6, 29, v5
	v_dual_lshlrev_b32 v2, v6, v2 :: v_dual_sub_nc_u32 v5, 30, v5
	s_delay_alu instid0(VALU_DEP_1) | instskip(NEXT) | instid1(VALU_DEP_2)
	v_dual_lshlrev_b32 v4, 24, v4 :: v_dual_bitop2_b32 v2, 3, v2 bitop3:0x40
	v_cndmask_b32_e32 v5, v7, v5, vcc_lo
	s_delay_alu instid0(VALU_DEP_2) | instskip(NEXT) | instid1(VALU_DEP_3)
	v_cndmask_b32_e32 v2, v3, v2, vcc_lo
	v_and_b32_e32 v3, 0x80000000, v4
	s_delay_alu instid0(VALU_DEP_3) | instskip(NEXT) | instid1(VALU_DEP_3)
	v_lshl_add_u32 v4, v5, 23, 0x37800000
	v_lshlrev_b32_e32 v2, 21, v2
	s_delay_alu instid0(VALU_DEP_1) | instskip(NEXT) | instid1(VALU_DEP_1)
	v_or3_b32 v2, v3, v4, v2
	v_cvt_f64_f32_e32 v[2:3], v2
.LBB102_1303:
	s_or_b32 exec_lo, exec_lo, s26
	s_mov_b32 s25, 0
	s_branch .LBB102_1309
.LBB102_1304:
	s_mov_b32 s25, -1
                                        ; implicit-def: $vgpr2_vgpr3
	s_branch .LBB102_1315
.LBB102_1305:
	s_or_saveexec_b32 s27, s27
	v_mov_b64_e32 v[2:3], 0x7ff8000020000000
	s_xor_b32 exec_lo, exec_lo, s27
	s_cbranch_execz .LBB102_1289
.LBB102_1306:
	v_cmp_ne_u16_e32 vcc_lo, 0, v4
	v_mov_b64_e32 v[2:3], 0
	s_and_not1_b32 s26, s26, exec_lo
	s_and_b32 s28, vcc_lo, exec_lo
	s_delay_alu instid0(SALU_CYCLE_1)
	s_or_b32 s26, s26, s28
	s_or_b32 exec_lo, exec_lo, s27
	s_and_saveexec_b32 s27, s26
	s_cbranch_execnz .LBB102_1290
	s_branch .LBB102_1291
.LBB102_1307:
	s_mov_b32 s25, -1
                                        ; implicit-def: $vgpr2_vgpr3
	s_branch .LBB102_1312
.LBB102_1308:
	s_mov_b32 s25, -1
                                        ; implicit-def: $vgpr2_vgpr3
.LBB102_1309:
	s_delay_alu instid0(SALU_CYCLE_1)
	s_and_b32 vcc_lo, exec_lo, s25
	s_cbranch_vccz .LBB102_1311
; %bb.1310:
	global_load_u8 v2, v[0:1], off
	s_wait_loadcnt 0x0
	v_lshlrev_b32_e32 v2, 24, v2
	s_delay_alu instid0(VALU_DEP_1) | instskip(NEXT) | instid1(VALU_DEP_1)
	v_and_b32_e32 v3, 0x7f000000, v2
	v_clz_i32_u32_e32 v4, v3
	v_cmp_ne_u32_e32 vcc_lo, 0, v3
	v_add_nc_u32_e32 v6, 0x1000000, v3
	s_delay_alu instid0(VALU_DEP_3) | instskip(NEXT) | instid1(VALU_DEP_1)
	v_min_u32_e32 v4, 32, v4
	v_sub_nc_u32_e64 v4, v4, 4 clamp
	s_delay_alu instid0(VALU_DEP_1) | instskip(NEXT) | instid1(VALU_DEP_1)
	v_dual_lshlrev_b32 v5, v4, v3 :: v_dual_lshlrev_b32 v4, 23, v4
	v_lshrrev_b32_e32 v5, 4, v5
	s_delay_alu instid0(VALU_DEP_1) | instskip(NEXT) | instid1(VALU_DEP_1)
	v_dual_sub_nc_u32 v4, v5, v4 :: v_dual_ashrrev_i32 v5, 8, v6
	v_add_nc_u32_e32 v4, 0x3c000000, v4
	s_delay_alu instid0(VALU_DEP_1) | instskip(NEXT) | instid1(VALU_DEP_1)
	v_and_or_b32 v4, 0x7f800000, v5, v4
	v_cndmask_b32_e32 v3, 0, v4, vcc_lo
	s_delay_alu instid0(VALU_DEP_1) | instskip(NEXT) | instid1(VALU_DEP_1)
	v_and_or_b32 v2, 0x80000000, v2, v3
	v_cvt_f64_f32_e32 v[2:3], v2
.LBB102_1311:
	s_mov_b32 s25, 0
.LBB102_1312:
	s_delay_alu instid0(SALU_CYCLE_1)
	s_and_not1_b32 vcc_lo, exec_lo, s25
	s_cbranch_vccnz .LBB102_1314
; %bb.1313:
	global_load_u8 v2, v[0:1], off
	s_wait_loadcnt 0x0
	v_lshlrev_b32_e32 v3, 25, v2
	v_lshlrev_b16 v2, 8, v2
	s_delay_alu instid0(VALU_DEP_1) | instskip(SKIP_1) | instid1(VALU_DEP_2)
	v_and_or_b32 v5, 0x7f00, v2, 0.5
	v_bfe_i32 v2, v2, 0, 16
	v_dual_add_f32 v5, -0.5, v5 :: v_dual_lshrrev_b32 v4, 4, v3
	v_cmp_gt_u32_e32 vcc_lo, 0x8000000, v3
	s_delay_alu instid0(VALU_DEP_2) | instskip(NEXT) | instid1(VALU_DEP_1)
	v_or_b32_e32 v4, 0x70000000, v4
	v_mul_f32_e32 v4, 0x7800000, v4
	s_delay_alu instid0(VALU_DEP_1) | instskip(NEXT) | instid1(VALU_DEP_1)
	v_cndmask_b32_e32 v3, v4, v5, vcc_lo
	v_and_or_b32 v2, 0x80000000, v2, v3
	s_delay_alu instid0(VALU_DEP_1)
	v_cvt_f64_f32_e32 v[2:3], v2
.LBB102_1314:
	s_mov_b32 s25, 0
	s_mov_b32 s26, -1
.LBB102_1315:
	s_and_not1_b32 vcc_lo, exec_lo, s25
	s_mov_b32 s25, 0
	s_cbranch_vccnz .LBB102_1326
; %bb.1316:
	s_cmp_gt_i32 s23, 14
	s_cbranch_scc0 .LBB102_1319
; %bb.1317:
	s_cmp_eq_u32 s23, 15
	s_cbranch_scc0 .LBB102_1322
; %bb.1318:
	global_load_u16 v2, v[0:1], off
	s_mov_b32 s24, 0
	s_mov_b32 s26, -1
	s_wait_loadcnt 0x0
	v_lshlrev_b32_e32 v2, 16, v2
	s_delay_alu instid0(VALU_DEP_1)
	v_cvt_f64_f32_e32 v[2:3], v2
	s_branch .LBB102_1324
.LBB102_1319:
	s_mov_b32 s25, -1
	s_branch .LBB102_1323
.LBB102_1320:
	s_or_saveexec_b32 s26, s26
	v_mov_b64_e32 v[2:3], 0x7ff8000020000000
	s_xor_b32 exec_lo, exec_lo, s26
	s_cbranch_execz .LBB102_1301
.LBB102_1321:
	v_cmp_ne_u16_e32 vcc_lo, 0, v4
	v_mov_b64_e32 v[2:3], 0
	s_and_not1_b32 s25, s25, exec_lo
	s_and_b32 s27, vcc_lo, exec_lo
	s_delay_alu instid0(SALU_CYCLE_1)
	s_or_b32 s25, s25, s27
	s_or_b32 exec_lo, exec_lo, s26
	s_and_saveexec_b32 s26, s25
	s_cbranch_execnz .LBB102_1302
	s_branch .LBB102_1303
.LBB102_1322:
	s_mov_b32 s24, -1
.LBB102_1323:
                                        ; implicit-def: $vgpr2_vgpr3
.LBB102_1324:
	s_and_b32 vcc_lo, exec_lo, s25
	s_mov_b32 s25, 0
	s_cbranch_vccz .LBB102_1326
; %bb.1325:
	s_cmp_lg_u32 s23, 11
	s_mov_b32 s25, -1
	s_cselect_b32 s23, -1, 0
	s_and_not1_b32 s24, s24, exec_lo
	s_and_b32 s23, s23, exec_lo
	s_delay_alu instid0(SALU_CYCLE_1)
	s_or_b32 s24, s24, s23
.LBB102_1326:
	s_mov_b32 s27, 0
.LBB102_1327:
	s_and_not1_b32 s21, s21, exec_lo
	s_and_b32 s24, s24, exec_lo
	s_and_b32 s23, s26, exec_lo
	;; [unrolled: 1-line block ×4, first 2 shown]
	s_or_b32 s21, s21, s24
	s_wait_xcnt 0x0
	s_or_b32 exec_lo, exec_lo, s22
	s_and_saveexec_b32 s22, s21
	s_cbranch_execz .LBB102_1255
.LBB102_1328:
	s_or_b32 s19, s19, exec_lo
	s_and_not1_b32 s25, s25, exec_lo
	s_trap 2
	s_or_b32 exec_lo, exec_lo, s22
	s_and_saveexec_b32 s21, s25
	s_delay_alu instid0(SALU_CYCLE_1)
	s_xor_b32 s21, exec_lo, s21
	s_cbranch_execnz .LBB102_1256
.LBB102_1329:
	s_or_b32 exec_lo, exec_lo, s21
	s_and_saveexec_b32 s21, s26
	s_cbranch_execz .LBB102_1375
.LBB102_1330:
	s_sext_i32_i16 s22, s0
	s_delay_alu instid0(SALU_CYCLE_1)
	s_cmp_lt_i32 s22, 5
	s_cbranch_scc1 .LBB102_1335
; %bb.1331:
	s_cmp_lt_i32 s22, 8
	s_cbranch_scc1 .LBB102_1336
; %bb.1332:
	;; [unrolled: 3-line block ×3, first 2 shown]
	s_cmp_gt_i32 s22, 9
	s_cbranch_scc0 .LBB102_1338
; %bb.1334:
	s_wait_loadcnt 0x0
	global_load_b64 v[2:3], v[0:1], off
	s_mov_b32 s22, 0
	s_branch .LBB102_1339
.LBB102_1335:
                                        ; implicit-def: $vgpr2_vgpr3
	s_branch .LBB102_1356
.LBB102_1336:
                                        ; implicit-def: $vgpr2_vgpr3
	s_branch .LBB102_1345
.LBB102_1337:
	s_mov_b32 s22, -1
                                        ; implicit-def: $vgpr2_vgpr3
	s_branch .LBB102_1342
.LBB102_1338:
	s_mov_b32 s22, -1
                                        ; implicit-def: $vgpr2_vgpr3
.LBB102_1339:
	s_delay_alu instid0(SALU_CYCLE_1)
	s_and_not1_b32 vcc_lo, exec_lo, s22
	s_cbranch_vccnz .LBB102_1341
; %bb.1340:
	s_wait_loadcnt 0x0
	global_load_b32 v2, v[0:1], off
	s_wait_loadcnt 0x0
	v_cvt_f64_f32_e32 v[2:3], v2
.LBB102_1341:
	s_mov_b32 s22, 0
.LBB102_1342:
	s_delay_alu instid0(SALU_CYCLE_1)
	s_and_not1_b32 vcc_lo, exec_lo, s22
	s_cbranch_vccnz .LBB102_1344
; %bb.1343:
	s_wait_loadcnt 0x0
	global_load_b32 v2, v[0:1], off
	s_wait_loadcnt 0x0
	v_cvt_f32_f16_e32 v2, v2
	s_delay_alu instid0(VALU_DEP_1)
	v_cvt_f64_f32_e32 v[2:3], v2
.LBB102_1344:
	s_cbranch_execnz .LBB102_1355
.LBB102_1345:
	s_sext_i32_i16 s22, s0
	s_delay_alu instid0(SALU_CYCLE_1)
	s_cmp_lt_i32 s22, 6
	s_cbranch_scc1 .LBB102_1348
; %bb.1346:
	s_cmp_gt_i32 s22, 6
	s_cbranch_scc0 .LBB102_1349
; %bb.1347:
	s_wait_loadcnt 0x0
	global_load_b64 v[2:3], v[0:1], off
	s_mov_b32 s22, 0
	s_branch .LBB102_1350
.LBB102_1348:
	s_mov_b32 s22, -1
                                        ; implicit-def: $vgpr2_vgpr3
	s_branch .LBB102_1353
.LBB102_1349:
	s_mov_b32 s22, -1
                                        ; implicit-def: $vgpr2_vgpr3
.LBB102_1350:
	s_delay_alu instid0(SALU_CYCLE_1)
	s_and_not1_b32 vcc_lo, exec_lo, s22
	s_cbranch_vccnz .LBB102_1352
; %bb.1351:
	s_wait_loadcnt 0x0
	global_load_b32 v2, v[0:1], off
	s_wait_loadcnt 0x0
	v_cvt_f64_f32_e32 v[2:3], v2
.LBB102_1352:
	s_mov_b32 s22, 0
.LBB102_1353:
	s_delay_alu instid0(SALU_CYCLE_1)
	s_and_not1_b32 vcc_lo, exec_lo, s22
	s_cbranch_vccnz .LBB102_1355
; %bb.1354:
	s_wait_loadcnt 0x0
	global_load_u16 v2, v[0:1], off
	s_wait_loadcnt 0x0
	v_cvt_f32_f16_e32 v2, v2
	s_delay_alu instid0(VALU_DEP_1)
	v_cvt_f64_f32_e32 v[2:3], v2
.LBB102_1355:
	s_cbranch_execnz .LBB102_1374
.LBB102_1356:
	s_sext_i32_i16 s22, s0
	s_delay_alu instid0(SALU_CYCLE_1)
	s_cmp_lt_i32 s22, 2
	s_cbranch_scc1 .LBB102_1360
; %bb.1357:
	s_cmp_lt_i32 s22, 3
	s_cbranch_scc1 .LBB102_1361
; %bb.1358:
	s_cmp_gt_i32 s22, 3
	s_cbranch_scc0 .LBB102_1362
; %bb.1359:
	s_wait_loadcnt 0x0
	global_load_b64 v[2:3], v[0:1], off
	s_mov_b32 s22, 0
	s_wait_loadcnt 0x0
	v_cvt_f64_i32_e32 v[4:5], v3
	v_cvt_f64_u32_e32 v[2:3], v2
	s_delay_alu instid0(VALU_DEP_2) | instskip(NEXT) | instid1(VALU_DEP_1)
	v_ldexp_f64 v[4:5], v[4:5], 32
	v_add_f64_e32 v[2:3], v[4:5], v[2:3]
	s_branch .LBB102_1363
.LBB102_1360:
                                        ; implicit-def: $vgpr2_vgpr3
	s_branch .LBB102_1369
.LBB102_1361:
	s_mov_b32 s22, -1
                                        ; implicit-def: $vgpr2_vgpr3
	s_branch .LBB102_1366
.LBB102_1362:
	s_mov_b32 s22, -1
                                        ; implicit-def: $vgpr2_vgpr3
.LBB102_1363:
	s_delay_alu instid0(SALU_CYCLE_1)
	s_and_not1_b32 vcc_lo, exec_lo, s22
	s_cbranch_vccnz .LBB102_1365
; %bb.1364:
	s_wait_loadcnt 0x0
	global_load_b32 v2, v[0:1], off
	s_wait_loadcnt 0x0
	v_cvt_f64_i32_e32 v[2:3], v2
.LBB102_1365:
	s_mov_b32 s22, 0
.LBB102_1366:
	s_delay_alu instid0(SALU_CYCLE_1)
	s_and_not1_b32 vcc_lo, exec_lo, s22
	s_cbranch_vccnz .LBB102_1368
; %bb.1367:
	s_wait_loadcnt 0x0
	global_load_i16 v2, v[0:1], off
	s_wait_loadcnt 0x0
	v_cvt_f64_i32_e32 v[2:3], v2
.LBB102_1368:
	s_cbranch_execnz .LBB102_1374
.LBB102_1369:
	s_sext_i32_i16 s0, s0
	s_delay_alu instid0(SALU_CYCLE_1)
	s_cmp_gt_i32 s0, 0
	s_mov_b32 s0, 0
	s_cbranch_scc0 .LBB102_1371
; %bb.1370:
	s_wait_loadcnt 0x0
	global_load_i8 v2, v[0:1], off
	s_wait_loadcnt 0x0
	v_cvt_f64_i32_e32 v[2:3], v2
	s_branch .LBB102_1372
.LBB102_1371:
	s_mov_b32 s0, -1
                                        ; implicit-def: $vgpr2_vgpr3
.LBB102_1372:
	s_delay_alu instid0(SALU_CYCLE_1)
	s_and_not1_b32 vcc_lo, exec_lo, s0
	s_cbranch_vccnz .LBB102_1374
; %bb.1373:
	s_wait_loadcnt 0x0
	global_load_u8 v0, v[0:1], off
	s_wait_loadcnt 0x0
	v_cvt_f64_u32_e32 v[2:3], v0
.LBB102_1374:
	s_or_b32 s23, s23, exec_lo
.LBB102_1375:
	s_wait_xcnt 0x0
	s_or_b32 exec_lo, exec_lo, s21
	s_mov_b32 s22, 0
	s_mov_b32 s21, 0
	;; [unrolled: 1-line block ×3, first 2 shown]
                                        ; implicit-def: $vgpr0_vgpr1
                                        ; implicit-def: $vgpr6_vgpr7
	s_and_saveexec_b32 s0, s23
	s_cbranch_execz .LBB102_1383
; %bb.1376:
	s_wait_loadcnt 0x0
	v_mul_lo_u32 v0, v18, s5
	s_and_b32 s21, 0xffff, s1
	s_delay_alu instid0(SALU_CYCLE_1) | instskip(NEXT) | instid1(VALU_DEP_1)
	s_cmp_lt_i32 s21, 11
	v_ashrrev_i32_e32 v1, 31, v0
	s_delay_alu instid0(VALU_DEP_1)
	v_add_nc_u64_e32 v[0:1], s[10:11], v[0:1]
	s_cbranch_scc1 .LBB102_1386
; %bb.1377:
	s_cmp_gt_i32 s21, 25
	s_mov_b32 s23, 0
	s_cbranch_scc0 .LBB102_1387
; %bb.1378:
	s_cmp_gt_i32 s21, 28
	s_cbranch_scc0 .LBB102_1388
; %bb.1379:
	s_cmp_gt_i32 s21, 43
	;; [unrolled: 3-line block ×3, first 2 shown]
	s_cbranch_scc0 .LBB102_1390
; %bb.1381:
	s_cmp_eq_u32 s21, 46
	s_mov_b32 s25, 0
	s_cbranch_scc0 .LBB102_1391
; %bb.1382:
	global_load_b32 v4, v[0:1], off
	s_mov_b32 s24, -1
	s_wait_loadcnt 0x0
	v_lshlrev_b32_e32 v4, 16, v4
	s_delay_alu instid0(VALU_DEP_1)
	v_cvt_f64_f32_e32 v[6:7], v4
	s_branch .LBB102_1393
.LBB102_1383:
	s_or_b32 exec_lo, exec_lo, s0
	s_and_saveexec_b32 s0, s20
	s_cbranch_execnz .LBB102_1456
.LBB102_1384:
	s_or_b32 exec_lo, exec_lo, s0
	s_and_saveexec_b32 s0, s22
	s_delay_alu instid0(SALU_CYCLE_1)
	s_xor_b32 s0, exec_lo, s0
	s_cbranch_execz .LBB102_1457
.LBB102_1385:
	s_wait_loadcnt 0x0
	global_load_u8 v4, v[0:1], off
	v_mov_b32_e32 v6, 0
	s_or_b32 s24, s24, exec_lo
	s_wait_loadcnt 0x0
	v_cmp_ne_u16_e32 vcc_lo, 0, v4
	v_cndmask_b32_e64 v7, 0, 0x3ff00000, vcc_lo
	s_wait_xcnt 0x0
	s_or_b32 exec_lo, exec_lo, s0
	s_and_saveexec_b32 s0, s21
	s_cbranch_execz .LBB102_1503
	s_branch .LBB102_1458
.LBB102_1386:
	s_mov_b32 s21, -1
	s_mov_b32 s23, 0
	s_mov_b32 s22, s20
                                        ; implicit-def: $vgpr6_vgpr7
	s_branch .LBB102_1455
.LBB102_1387:
	s_mov_b32 s22, s20
                                        ; implicit-def: $vgpr6_vgpr7
	s_cbranch_execnz .LBB102_1422
	s_branch .LBB102_1454
.LBB102_1388:
	s_mov_b32 s25, -1
	s_mov_b32 s22, s20
                                        ; implicit-def: $vgpr6_vgpr7
	s_branch .LBB102_1403
.LBB102_1389:
	s_mov_b32 s25, -1
	s_mov_b32 s22, s20
                                        ; implicit-def: $vgpr6_vgpr7
	s_branch .LBB102_1398
.LBB102_1390:
	s_mov_b32 s25, -1
	s_mov_b32 s22, s20
	s_branch .LBB102_1392
.LBB102_1391:
	s_mov_b32 s22, -1
.LBB102_1392:
                                        ; implicit-def: $vgpr6_vgpr7
.LBB102_1393:
	s_and_b32 vcc_lo, exec_lo, s25
	s_cbranch_vccz .LBB102_1397
; %bb.1394:
	s_cmp_eq_u32 s21, 44
	s_cbranch_scc0 .LBB102_1396
; %bb.1395:
	global_load_u8 v6, v[0:1], off
	s_mov_b32 s22, 0
	s_mov_b32 s24, -1
	s_wait_loadcnt 0x0
	v_cmp_ne_u32_e32 vcc_lo, 0xff, v6
	v_lshlrev_b32_e32 v4, 23, v6
	s_delay_alu instid0(VALU_DEP_1) | instskip(NEXT) | instid1(VALU_DEP_1)
	v_cvt_f64_f32_e32 v[4:5], v4
	v_cndmask_b32_e32 v4, 0x20000000, v4, vcc_lo
	s_delay_alu instid0(VALU_DEP_2) | instskip(SKIP_1) | instid1(VALU_DEP_2)
	v_cndmask_b32_e32 v5, 0x7ff80000, v5, vcc_lo
	v_cmp_ne_u32_e32 vcc_lo, 0, v6
	v_cndmask_b32_e32 v7, 0x38000000, v5, vcc_lo
	s_delay_alu instid0(VALU_DEP_4)
	v_cndmask_b32_e32 v6, 0, v4, vcc_lo
	s_branch .LBB102_1397
.LBB102_1396:
	s_mov_b32 s22, -1
                                        ; implicit-def: $vgpr6_vgpr7
.LBB102_1397:
	s_mov_b32 s25, 0
.LBB102_1398:
	s_delay_alu instid0(SALU_CYCLE_1)
	s_and_b32 vcc_lo, exec_lo, s25
	s_cbranch_vccz .LBB102_1402
; %bb.1399:
	s_cmp_eq_u32 s21, 29
	s_cbranch_scc0 .LBB102_1401
; %bb.1400:
	global_load_b64 v[4:5], v[0:1], off
	s_mov_b32 s22, 0
	s_mov_b32 s24, -1
	s_mov_b32 s25, 0
	s_wait_loadcnt 0x0
	v_cvt_f64_u32_e32 v[6:7], v5
	v_cvt_f64_u32_e32 v[4:5], v4
	s_delay_alu instid0(VALU_DEP_2) | instskip(NEXT) | instid1(VALU_DEP_1)
	v_ldexp_f64 v[6:7], v[6:7], 32
	v_add_f64_e32 v[6:7], v[6:7], v[4:5]
	s_branch .LBB102_1403
.LBB102_1401:
	s_mov_b32 s22, -1
                                        ; implicit-def: $vgpr6_vgpr7
.LBB102_1402:
	s_mov_b32 s25, 0
.LBB102_1403:
	s_delay_alu instid0(SALU_CYCLE_1)
	s_and_b32 vcc_lo, exec_lo, s25
	s_cbranch_vccz .LBB102_1421
; %bb.1404:
	s_cmp_lt_i32 s21, 27
	s_cbranch_scc1 .LBB102_1407
; %bb.1405:
	s_cmp_gt_i32 s21, 27
	s_cbranch_scc0 .LBB102_1408
; %bb.1406:
	global_load_b32 v4, v[0:1], off
	s_mov_b32 s24, 0
	s_wait_loadcnt 0x0
	v_cvt_f64_u32_e32 v[6:7], v4
	s_branch .LBB102_1409
.LBB102_1407:
	s_mov_b32 s24, -1
                                        ; implicit-def: $vgpr6_vgpr7
	s_branch .LBB102_1412
.LBB102_1408:
	s_mov_b32 s24, -1
                                        ; implicit-def: $vgpr6_vgpr7
.LBB102_1409:
	s_delay_alu instid0(SALU_CYCLE_1)
	s_and_not1_b32 vcc_lo, exec_lo, s24
	s_cbranch_vccnz .LBB102_1411
; %bb.1410:
	global_load_u16 v4, v[0:1], off
	s_wait_loadcnt 0x0
	v_cvt_f64_u32_e32 v[6:7], v4
.LBB102_1411:
	s_mov_b32 s24, 0
.LBB102_1412:
	s_delay_alu instid0(SALU_CYCLE_1)
	s_and_not1_b32 vcc_lo, exec_lo, s24
	s_cbranch_vccnz .LBB102_1420
; %bb.1413:
	global_load_u8 v4, v[0:1], off
	s_mov_b32 s24, 0
	s_mov_b32 s25, exec_lo
	s_wait_loadcnt 0x0
	v_cmpx_lt_i16_e32 0x7f, v4
	s_xor_b32 s25, exec_lo, s25
	s_cbranch_execz .LBB102_1433
; %bb.1414:
	s_mov_b32 s24, -1
	s_mov_b32 s26, exec_lo
	v_cmpx_eq_u16_e32 0x80, v4
; %bb.1415:
	s_xor_b32 s24, exec_lo, -1
; %bb.1416:
	s_or_b32 exec_lo, exec_lo, s26
	s_delay_alu instid0(SALU_CYCLE_1)
	s_and_b32 s24, s24, exec_lo
	s_or_saveexec_b32 s25, s25
	v_mov_b64_e32 v[6:7], 0x7ff8000020000000
	s_xor_b32 exec_lo, exec_lo, s25
	s_cbranch_execnz .LBB102_1434
.LBB102_1417:
	s_or_b32 exec_lo, exec_lo, s25
	s_and_saveexec_b32 s25, s24
	s_cbranch_execz .LBB102_1419
.LBB102_1418:
	v_and_b32_e32 v5, 0xffff, v4
	s_delay_alu instid0(VALU_DEP_1) | instskip(SKIP_1) | instid1(VALU_DEP_2)
	v_and_b32_e32 v6, 7, v5
	v_bfe_u32 v9, v5, 3, 4
	v_clz_i32_u32_e32 v7, v6
	s_delay_alu instid0(VALU_DEP_2) | instskip(NEXT) | instid1(VALU_DEP_2)
	v_cmp_eq_u32_e32 vcc_lo, 0, v9
	v_min_u32_e32 v7, 32, v7
	s_delay_alu instid0(VALU_DEP_1) | instskip(NEXT) | instid1(VALU_DEP_1)
	v_subrev_nc_u32_e32 v8, 28, v7
	v_dual_lshlrev_b32 v5, v8, v5 :: v_dual_sub_nc_u32 v7, 29, v7
	s_delay_alu instid0(VALU_DEP_1) | instskip(NEXT) | instid1(VALU_DEP_1)
	v_dual_lshlrev_b32 v4, 24, v4 :: v_dual_bitop2_b32 v5, 7, v5 bitop3:0x40
	v_dual_cndmask_b32 v7, v9, v7, vcc_lo :: v_dual_cndmask_b32 v5, v6, v5, vcc_lo
	s_delay_alu instid0(VALU_DEP_2) | instskip(NEXT) | instid1(VALU_DEP_2)
	v_and_b32_e32 v4, 0x80000000, v4
	v_lshl_add_u32 v6, v7, 23, 0x3b800000
	s_delay_alu instid0(VALU_DEP_3) | instskip(NEXT) | instid1(VALU_DEP_1)
	v_lshlrev_b32_e32 v5, 20, v5
	v_or3_b32 v4, v4, v6, v5
	s_delay_alu instid0(VALU_DEP_1)
	v_cvt_f64_f32_e32 v[6:7], v4
.LBB102_1419:
	s_or_b32 exec_lo, exec_lo, s25
.LBB102_1420:
	s_mov_b32 s24, -1
.LBB102_1421:
	s_branch .LBB102_1454
.LBB102_1422:
	s_cmp_gt_i32 s21, 22
	s_cbranch_scc0 .LBB102_1432
; %bb.1423:
	s_cmp_lt_i32 s21, 24
	s_cbranch_scc1 .LBB102_1435
; %bb.1424:
	s_cmp_gt_i32 s21, 24
	s_cbranch_scc0 .LBB102_1436
; %bb.1425:
	global_load_u8 v4, v[0:1], off
	s_mov_b32 s24, exec_lo
	s_wait_loadcnt 0x0
	v_cmpx_lt_i16_e32 0x7f, v4
	s_xor_b32 s24, exec_lo, s24
	s_cbranch_execz .LBB102_1448
; %bb.1426:
	s_mov_b32 s23, -1
	s_mov_b32 s25, exec_lo
	v_cmpx_eq_u16_e32 0x80, v4
; %bb.1427:
	s_xor_b32 s23, exec_lo, -1
; %bb.1428:
	s_or_b32 exec_lo, exec_lo, s25
	s_delay_alu instid0(SALU_CYCLE_1)
	s_and_b32 s23, s23, exec_lo
	s_or_saveexec_b32 s24, s24
	v_mov_b64_e32 v[6:7], 0x7ff8000020000000
	s_xor_b32 exec_lo, exec_lo, s24
	s_cbranch_execnz .LBB102_1449
.LBB102_1429:
	s_or_b32 exec_lo, exec_lo, s24
	s_and_saveexec_b32 s24, s23
	s_cbranch_execz .LBB102_1431
.LBB102_1430:
	v_and_b32_e32 v5, 0xffff, v4
	s_delay_alu instid0(VALU_DEP_1) | instskip(SKIP_1) | instid1(VALU_DEP_2)
	v_and_b32_e32 v6, 3, v5
	v_bfe_u32 v9, v5, 2, 5
	v_clz_i32_u32_e32 v7, v6
	s_delay_alu instid0(VALU_DEP_2) | instskip(NEXT) | instid1(VALU_DEP_2)
	v_cmp_eq_u32_e32 vcc_lo, 0, v9
	v_min_u32_e32 v7, 32, v7
	s_delay_alu instid0(VALU_DEP_1) | instskip(NEXT) | instid1(VALU_DEP_1)
	v_subrev_nc_u32_e32 v8, 29, v7
	v_dual_lshlrev_b32 v5, v8, v5 :: v_dual_sub_nc_u32 v7, 30, v7
	s_delay_alu instid0(VALU_DEP_1) | instskip(NEXT) | instid1(VALU_DEP_1)
	v_dual_lshlrev_b32 v4, 24, v4 :: v_dual_bitop2_b32 v5, 3, v5 bitop3:0x40
	v_dual_cndmask_b32 v7, v9, v7, vcc_lo :: v_dual_cndmask_b32 v5, v6, v5, vcc_lo
	s_delay_alu instid0(VALU_DEP_2) | instskip(NEXT) | instid1(VALU_DEP_2)
	v_and_b32_e32 v4, 0x80000000, v4
	v_lshl_add_u32 v6, v7, 23, 0x37800000
	s_delay_alu instid0(VALU_DEP_3) | instskip(NEXT) | instid1(VALU_DEP_1)
	v_lshlrev_b32_e32 v5, 21, v5
	v_or3_b32 v4, v4, v6, v5
	s_delay_alu instid0(VALU_DEP_1)
	v_cvt_f64_f32_e32 v[6:7], v4
.LBB102_1431:
	s_or_b32 exec_lo, exec_lo, s24
	s_mov_b32 s23, 0
	s_branch .LBB102_1437
.LBB102_1432:
	s_mov_b32 s23, -1
                                        ; implicit-def: $vgpr6_vgpr7
	s_branch .LBB102_1443
.LBB102_1433:
	s_or_saveexec_b32 s25, s25
	v_mov_b64_e32 v[6:7], 0x7ff8000020000000
	s_xor_b32 exec_lo, exec_lo, s25
	s_cbranch_execz .LBB102_1417
.LBB102_1434:
	v_cmp_ne_u16_e32 vcc_lo, 0, v4
	v_mov_b64_e32 v[6:7], 0
	s_and_not1_b32 s24, s24, exec_lo
	s_and_b32 s26, vcc_lo, exec_lo
	s_delay_alu instid0(SALU_CYCLE_1)
	s_or_b32 s24, s24, s26
	s_or_b32 exec_lo, exec_lo, s25
	s_and_saveexec_b32 s25, s24
	s_cbranch_execnz .LBB102_1418
	s_branch .LBB102_1419
.LBB102_1435:
	s_mov_b32 s23, -1
                                        ; implicit-def: $vgpr6_vgpr7
	s_branch .LBB102_1440
.LBB102_1436:
	s_mov_b32 s23, -1
                                        ; implicit-def: $vgpr6_vgpr7
.LBB102_1437:
	s_delay_alu instid0(SALU_CYCLE_1)
	s_and_b32 vcc_lo, exec_lo, s23
	s_cbranch_vccz .LBB102_1439
; %bb.1438:
	global_load_u8 v4, v[0:1], off
	s_wait_loadcnt 0x0
	v_lshlrev_b32_e32 v4, 24, v4
	s_delay_alu instid0(VALU_DEP_1) | instskip(NEXT) | instid1(VALU_DEP_1)
	v_and_b32_e32 v5, 0x7f000000, v4
	v_clz_i32_u32_e32 v6, v5
	v_cmp_ne_u32_e32 vcc_lo, 0, v5
	v_add_nc_u32_e32 v8, 0x1000000, v5
	s_delay_alu instid0(VALU_DEP_3) | instskip(NEXT) | instid1(VALU_DEP_1)
	v_min_u32_e32 v6, 32, v6
	v_sub_nc_u32_e64 v6, v6, 4 clamp
	s_delay_alu instid0(VALU_DEP_1) | instskip(NEXT) | instid1(VALU_DEP_1)
	v_dual_lshlrev_b32 v7, v6, v5 :: v_dual_lshlrev_b32 v6, 23, v6
	v_lshrrev_b32_e32 v7, 4, v7
	s_delay_alu instid0(VALU_DEP_1) | instskip(NEXT) | instid1(VALU_DEP_1)
	v_dual_sub_nc_u32 v6, v7, v6 :: v_dual_ashrrev_i32 v7, 8, v8
	v_add_nc_u32_e32 v6, 0x3c000000, v6
	s_delay_alu instid0(VALU_DEP_1) | instskip(NEXT) | instid1(VALU_DEP_1)
	v_and_or_b32 v6, 0x7f800000, v7, v6
	v_cndmask_b32_e32 v5, 0, v6, vcc_lo
	s_delay_alu instid0(VALU_DEP_1) | instskip(NEXT) | instid1(VALU_DEP_1)
	v_and_or_b32 v4, 0x80000000, v4, v5
	v_cvt_f64_f32_e32 v[6:7], v4
.LBB102_1439:
	s_mov_b32 s23, 0
.LBB102_1440:
	s_delay_alu instid0(SALU_CYCLE_1)
	s_and_not1_b32 vcc_lo, exec_lo, s23
	s_cbranch_vccnz .LBB102_1442
; %bb.1441:
	global_load_u8 v4, v[0:1], off
	s_wait_loadcnt 0x0
	v_lshlrev_b32_e32 v5, 25, v4
	v_lshlrev_b16 v4, 8, v4
	s_delay_alu instid0(VALU_DEP_1) | instskip(SKIP_1) | instid1(VALU_DEP_2)
	v_and_or_b32 v7, 0x7f00, v4, 0.5
	v_bfe_i32 v4, v4, 0, 16
	v_dual_add_f32 v7, -0.5, v7 :: v_dual_lshrrev_b32 v6, 4, v5
	v_cmp_gt_u32_e32 vcc_lo, 0x8000000, v5
	s_delay_alu instid0(VALU_DEP_2) | instskip(NEXT) | instid1(VALU_DEP_1)
	v_or_b32_e32 v6, 0x70000000, v6
	v_mul_f32_e32 v6, 0x7800000, v6
	s_delay_alu instid0(VALU_DEP_1) | instskip(NEXT) | instid1(VALU_DEP_1)
	v_cndmask_b32_e32 v5, v6, v7, vcc_lo
	v_and_or_b32 v4, 0x80000000, v4, v5
	s_delay_alu instid0(VALU_DEP_1)
	v_cvt_f64_f32_e32 v[6:7], v4
.LBB102_1442:
	s_mov_b32 s23, 0
	s_mov_b32 s24, -1
.LBB102_1443:
	s_and_not1_b32 vcc_lo, exec_lo, s23
	s_mov_b32 s23, 0
	s_cbranch_vccnz .LBB102_1454
; %bb.1444:
	s_cmp_gt_i32 s21, 14
	s_cbranch_scc0 .LBB102_1447
; %bb.1445:
	s_cmp_eq_u32 s21, 15
	s_cbranch_scc0 .LBB102_1450
; %bb.1446:
	global_load_u16 v4, v[0:1], off
	s_mov_b32 s22, 0
	s_mov_b32 s24, -1
	s_wait_loadcnt 0x0
	v_lshlrev_b32_e32 v4, 16, v4
	s_delay_alu instid0(VALU_DEP_1)
	v_cvt_f64_f32_e32 v[6:7], v4
	s_branch .LBB102_1452
.LBB102_1447:
	s_mov_b32 s23, -1
	s_branch .LBB102_1451
.LBB102_1448:
	s_or_saveexec_b32 s24, s24
	v_mov_b64_e32 v[6:7], 0x7ff8000020000000
	s_xor_b32 exec_lo, exec_lo, s24
	s_cbranch_execz .LBB102_1429
.LBB102_1449:
	v_cmp_ne_u16_e32 vcc_lo, 0, v4
	v_mov_b64_e32 v[6:7], 0
	s_and_not1_b32 s23, s23, exec_lo
	s_and_b32 s25, vcc_lo, exec_lo
	s_delay_alu instid0(SALU_CYCLE_1)
	s_or_b32 s23, s23, s25
	s_or_b32 exec_lo, exec_lo, s24
	s_and_saveexec_b32 s24, s23
	s_cbranch_execnz .LBB102_1430
	s_branch .LBB102_1431
.LBB102_1450:
	s_mov_b32 s22, -1
.LBB102_1451:
                                        ; implicit-def: $vgpr6_vgpr7
.LBB102_1452:
	s_and_b32 vcc_lo, exec_lo, s23
	s_mov_b32 s23, 0
	s_cbranch_vccz .LBB102_1454
; %bb.1453:
	s_cmp_lg_u32 s21, 11
	s_mov_b32 s23, -1
	s_cselect_b32 s21, -1, 0
	s_and_not1_b32 s22, s22, exec_lo
	s_and_b32 s21, s21, exec_lo
	s_delay_alu instid0(SALU_CYCLE_1)
	s_or_b32 s22, s22, s21
.LBB102_1454:
	s_mov_b32 s21, 0
.LBB102_1455:
	s_and_not1_b32 s20, s20, exec_lo
	s_and_b32 s25, s22, exec_lo
	s_and_b32 s24, s24, exec_lo
	;; [unrolled: 1-line block ×4, first 2 shown]
	s_or_b32 s20, s20, s25
	s_wait_xcnt 0x0
	s_or_b32 exec_lo, exec_lo, s0
	s_and_saveexec_b32 s0, s20
	s_cbranch_execz .LBB102_1384
.LBB102_1456:
	s_or_b32 s19, s19, exec_lo
	s_and_not1_b32 s22, s22, exec_lo
	s_trap 2
	s_or_b32 exec_lo, exec_lo, s0
	s_and_saveexec_b32 s0, s22
	s_delay_alu instid0(SALU_CYCLE_1)
	s_xor_b32 s0, exec_lo, s0
	s_cbranch_execnz .LBB102_1385
.LBB102_1457:
	s_or_b32 exec_lo, exec_lo, s0
	s_and_saveexec_b32 s0, s21
	s_cbranch_execz .LBB102_1503
.LBB102_1458:
	s_sext_i32_i16 s20, s1
	s_delay_alu instid0(SALU_CYCLE_1)
	s_cmp_lt_i32 s20, 5
	s_cbranch_scc1 .LBB102_1463
; %bb.1459:
	s_cmp_lt_i32 s20, 8
	s_cbranch_scc1 .LBB102_1464
; %bb.1460:
	;; [unrolled: 3-line block ×3, first 2 shown]
	s_cmp_gt_i32 s20, 9
	s_cbranch_scc0 .LBB102_1466
; %bb.1462:
	s_wait_loadcnt 0x0
	global_load_b64 v[6:7], v[0:1], off
	s_mov_b32 s20, 0
	s_branch .LBB102_1467
.LBB102_1463:
                                        ; implicit-def: $vgpr6_vgpr7
	s_branch .LBB102_1484
.LBB102_1464:
                                        ; implicit-def: $vgpr6_vgpr7
	s_branch .LBB102_1473
.LBB102_1465:
	s_mov_b32 s20, -1
                                        ; implicit-def: $vgpr6_vgpr7
	s_branch .LBB102_1470
.LBB102_1466:
	s_mov_b32 s20, -1
                                        ; implicit-def: $vgpr6_vgpr7
.LBB102_1467:
	s_delay_alu instid0(SALU_CYCLE_1)
	s_and_not1_b32 vcc_lo, exec_lo, s20
	s_cbranch_vccnz .LBB102_1469
; %bb.1468:
	s_wait_loadcnt 0x0
	global_load_b32 v4, v[0:1], off
	s_wait_loadcnt 0x0
	v_cvt_f64_f32_e32 v[6:7], v4
.LBB102_1469:
	s_mov_b32 s20, 0
.LBB102_1470:
	s_delay_alu instid0(SALU_CYCLE_1)
	s_and_not1_b32 vcc_lo, exec_lo, s20
	s_cbranch_vccnz .LBB102_1472
; %bb.1471:
	s_wait_loadcnt 0x0
	global_load_b32 v4, v[0:1], off
	s_wait_loadcnt 0x0
	v_cvt_f32_f16_e32 v4, v4
	s_delay_alu instid0(VALU_DEP_1)
	v_cvt_f64_f32_e32 v[6:7], v4
.LBB102_1472:
	s_cbranch_execnz .LBB102_1483
.LBB102_1473:
	s_sext_i32_i16 s20, s1
	s_delay_alu instid0(SALU_CYCLE_1)
	s_cmp_lt_i32 s20, 6
	s_cbranch_scc1 .LBB102_1476
; %bb.1474:
	s_cmp_gt_i32 s20, 6
	s_cbranch_scc0 .LBB102_1477
; %bb.1475:
	s_wait_loadcnt 0x0
	global_load_b64 v[6:7], v[0:1], off
	s_mov_b32 s20, 0
	s_branch .LBB102_1478
.LBB102_1476:
	s_mov_b32 s20, -1
                                        ; implicit-def: $vgpr6_vgpr7
	s_branch .LBB102_1481
.LBB102_1477:
	s_mov_b32 s20, -1
                                        ; implicit-def: $vgpr6_vgpr7
.LBB102_1478:
	s_delay_alu instid0(SALU_CYCLE_1)
	s_and_not1_b32 vcc_lo, exec_lo, s20
	s_cbranch_vccnz .LBB102_1480
; %bb.1479:
	s_wait_loadcnt 0x0
	global_load_b32 v4, v[0:1], off
	s_wait_loadcnt 0x0
	v_cvt_f64_f32_e32 v[6:7], v4
.LBB102_1480:
	s_mov_b32 s20, 0
.LBB102_1481:
	s_delay_alu instid0(SALU_CYCLE_1)
	s_and_not1_b32 vcc_lo, exec_lo, s20
	s_cbranch_vccnz .LBB102_1483
; %bb.1482:
	s_wait_loadcnt 0x0
	global_load_u16 v4, v[0:1], off
	s_wait_loadcnt 0x0
	v_cvt_f32_f16_e32 v4, v4
	s_delay_alu instid0(VALU_DEP_1)
	v_cvt_f64_f32_e32 v[6:7], v4
.LBB102_1483:
	s_cbranch_execnz .LBB102_1502
.LBB102_1484:
	s_sext_i32_i16 s20, s1
	s_delay_alu instid0(SALU_CYCLE_1)
	s_cmp_lt_i32 s20, 2
	s_cbranch_scc1 .LBB102_1488
; %bb.1485:
	s_cmp_lt_i32 s20, 3
	s_cbranch_scc1 .LBB102_1489
; %bb.1486:
	s_cmp_gt_i32 s20, 3
	s_cbranch_scc0 .LBB102_1490
; %bb.1487:
	s_wait_loadcnt 0x0
	global_load_b64 v[4:5], v[0:1], off
	s_mov_b32 s20, 0
	s_wait_loadcnt 0x0
	v_cvt_f64_i32_e32 v[6:7], v5
	v_cvt_f64_u32_e32 v[4:5], v4
	s_delay_alu instid0(VALU_DEP_2) | instskip(NEXT) | instid1(VALU_DEP_1)
	v_ldexp_f64 v[6:7], v[6:7], 32
	v_add_f64_e32 v[6:7], v[6:7], v[4:5]
	s_branch .LBB102_1491
.LBB102_1488:
                                        ; implicit-def: $vgpr6_vgpr7
	s_branch .LBB102_1497
.LBB102_1489:
	s_mov_b32 s20, -1
                                        ; implicit-def: $vgpr6_vgpr7
	s_branch .LBB102_1494
.LBB102_1490:
	s_mov_b32 s20, -1
                                        ; implicit-def: $vgpr6_vgpr7
.LBB102_1491:
	s_delay_alu instid0(SALU_CYCLE_1)
	s_and_not1_b32 vcc_lo, exec_lo, s20
	s_cbranch_vccnz .LBB102_1493
; %bb.1492:
	s_wait_loadcnt 0x0
	global_load_b32 v4, v[0:1], off
	s_wait_loadcnt 0x0
	v_cvt_f64_i32_e32 v[6:7], v4
.LBB102_1493:
	s_mov_b32 s20, 0
.LBB102_1494:
	s_delay_alu instid0(SALU_CYCLE_1)
	s_and_not1_b32 vcc_lo, exec_lo, s20
	s_cbranch_vccnz .LBB102_1496
; %bb.1495:
	s_wait_loadcnt 0x0
	global_load_i16 v4, v[0:1], off
	s_wait_loadcnt 0x0
	v_cvt_f64_i32_e32 v[6:7], v4
.LBB102_1496:
	s_cbranch_execnz .LBB102_1502
.LBB102_1497:
	s_sext_i32_i16 s20, s1
	s_delay_alu instid0(SALU_CYCLE_1)
	s_cmp_gt_i32 s20, 0
	s_mov_b32 s20, 0
	s_cbranch_scc0 .LBB102_1499
; %bb.1498:
	s_wait_loadcnt 0x0
	global_load_i8 v4, v[0:1], off
	s_wait_loadcnt 0x0
	v_cvt_f64_i32_e32 v[6:7], v4
	s_branch .LBB102_1500
.LBB102_1499:
	s_mov_b32 s20, -1
                                        ; implicit-def: $vgpr6_vgpr7
.LBB102_1500:
	s_delay_alu instid0(SALU_CYCLE_1)
	s_and_not1_b32 vcc_lo, exec_lo, s20
	s_cbranch_vccnz .LBB102_1502
; %bb.1501:
	s_wait_loadcnt 0x0
	global_load_u8 v0, v[0:1], off
	s_wait_loadcnt 0x0
	v_cvt_f64_u32_e32 v[6:7], v0
.LBB102_1502:
	s_or_b32 s24, s24, exec_lo
.LBB102_1503:
	s_wait_xcnt 0x0
	s_or_b32 exec_lo, exec_lo, s0
	s_mov_b32 s0, 0
	s_mov_b32 s22, 0
                                        ; implicit-def: $sgpr20
                                        ; implicit-def: $vgpr4_vgpr5
                                        ; implicit-def: $vgpr0_vgpr1
	s_and_saveexec_b32 s21, s24
	s_cbranch_execz .LBB102_1511
; %bb.1504:
	s_wait_loadcnt 0x0
	s_delay_alu instid0(VALU_DEP_1) | instskip(SKIP_2) | instid1(SALU_CYCLE_1)
	v_mul_f64_e32 v[0:1], s[6:7], v[2:3]
	v_mul_lo_u32 v2, v18, s12
	s_and_b32 s20, s13, 0xff
	s_cmp_lt_i32 s20, 11
	s_delay_alu instid0(VALU_DEP_1) | instskip(NEXT) | instid1(VALU_DEP_1)
	v_ashrrev_i32_e32 v3, 31, v2
	v_add_nc_u64_e32 v[4:5], s[2:3], v[2:3]
	s_delay_alu instid0(VALU_DEP_4)
	v_mul_f64_e32 v[0:1], v[0:1], v[6:7]
	s_cbranch_scc1 .LBB102_1514
; %bb.1505:
	s_and_b32 s22, 0xffff, s20
	s_mov_b32 s23, -1
	s_cmp_gt_i32 s22, 25
	s_mov_b32 s0, s18
	s_cbranch_scc0 .LBB102_1542
; %bb.1506:
	s_cmp_gt_i32 s22, 28
	s_mov_b32 s0, s18
	s_cbranch_scc0 .LBB102_1526
; %bb.1507:
	s_cmp_gt_i32 s22, 43
	s_mov_b32 s0, s18
	s_cbranch_scc0 .LBB102_1522
; %bb.1508:
	s_cmp_gt_i32 s22, 45
	s_mov_b32 s0, s18
	s_cbranch_scc0 .LBB102_1516
; %bb.1509:
	s_cmp_eq_u32 s22, 46
	s_mov_b32 s0, -1
	s_cbranch_scc0 .LBB102_1515
; %bb.1510:
	s_delay_alu instid0(VALU_DEP_1) | instskip(SKIP_2) | instid1(VALU_DEP_1)
	v_cvt_f32_f64_e32 v2, v[0:1]
	s_mov_b32 s0, 0
	s_mov_b32 s23, 0
	v_bfe_u32 v3, v2, 16, 1
	v_cmp_o_f32_e32 vcc_lo, v2, v2
	s_delay_alu instid0(VALU_DEP_2) | instskip(NEXT) | instid1(VALU_DEP_1)
	v_add3_u32 v3, v2, v3, 0x7fff
	v_lshrrev_b32_e32 v3, 16, v3
	s_delay_alu instid0(VALU_DEP_1)
	v_cndmask_b32_e32 v2, 0x7fc0, v3, vcc_lo
	global_store_b32 v[4:5], v2, off
	s_branch .LBB102_1516
.LBB102_1511:
	s_or_b32 exec_lo, exec_lo, s21
	s_and_saveexec_b32 s21, s18
	s_cbranch_execnz .LBB102_1584
.LBB102_1512:
	s_or_b32 exec_lo, exec_lo, s21
	s_and_saveexec_b32 s18, s0
	s_delay_alu instid0(SALU_CYCLE_1)
	s_xor_b32 s0, exec_lo, s18
	s_cbranch_execz .LBB102_1585
.LBB102_1513:
	s_wait_loadcnt 0x0
	s_delay_alu instid0(VALU_DEP_1)
	v_cmp_neq_f64_e32 vcc_lo, 0, v[0:1]
	v_cndmask_b32_e64 v2, 0, 1, vcc_lo
	global_store_b8 v[4:5], v2, off
	s_wait_xcnt 0x0
	s_or_b32 exec_lo, exec_lo, s0
	s_and_saveexec_b32 s0, s22
	s_delay_alu instid0(SALU_CYCLE_1)
	s_xor_b32 s0, exec_lo, s0
	s_cbranch_execz .LBB102_1623
	s_branch .LBB102_1586
.LBB102_1514:
	s_mov_b32 s24, 0
	s_mov_b32 s23, -1
	s_mov_b32 s0, s18
	s_branch .LBB102_1583
.LBB102_1515:
	s_mov_b32 s23, 0
.LBB102_1516:
	s_delay_alu instid0(SALU_CYCLE_1)
	s_and_b32 vcc_lo, exec_lo, s23
	s_cbranch_vccz .LBB102_1521
; %bb.1517:
	s_cmp_eq_u32 s22, 44
	s_mov_b32 s0, -1
	s_cbranch_scc0 .LBB102_1521
; %bb.1518:
	s_wait_xcnt 0x0
	s_delay_alu instid0(VALU_DEP_1) | instskip(SKIP_2) | instid1(VALU_DEP_2)
	v_cvt_f32_f64_e32 v2, v[0:1]
	v_mov_b32_e32 v3, 0xff
	s_mov_b32 s23, exec_lo
	v_bfe_u32 v6, v2, 23, 8
	s_delay_alu instid0(VALU_DEP_1)
	v_cmpx_ne_u32_e32 0xff, v6
	s_cbranch_execz .LBB102_1520
; %bb.1519:
	v_and_b32_e32 v3, 0x400000, v2
	v_and_or_b32 v6, 0x3fffff, v2, v6
	v_lshrrev_b32_e32 v2, 23, v2
	s_delay_alu instid0(VALU_DEP_3) | instskip(NEXT) | instid1(VALU_DEP_3)
	v_cmp_ne_u32_e32 vcc_lo, 0, v3
	v_cmp_ne_u32_e64 s0, 0, v6
	s_and_b32 s0, vcc_lo, s0
	s_delay_alu instid0(SALU_CYCLE_1) | instskip(NEXT) | instid1(VALU_DEP_1)
	v_cndmask_b32_e64 v3, 0, 1, s0
	v_add_nc_u32_e32 v3, v2, v3
.LBB102_1520:
	s_or_b32 exec_lo, exec_lo, s23
	s_mov_b32 s0, 0
	global_store_b8 v[4:5], v3, off
.LBB102_1521:
	s_mov_b32 s23, 0
.LBB102_1522:
	s_delay_alu instid0(SALU_CYCLE_1)
	s_and_b32 vcc_lo, exec_lo, s23
	s_cbranch_vccz .LBB102_1525
; %bb.1523:
	s_cmp_eq_u32 s22, 29
	s_mov_b32 s0, -1
	s_cbranch_scc0 .LBB102_1525
; %bb.1524:
	s_wait_xcnt 0x0
	s_delay_alu instid0(VALU_DEP_1) | instskip(SKIP_2) | instid1(VALU_DEP_1)
	v_trunc_f64_e32 v[2:3], v[0:1]
	s_mov_b32 s0, 0
	s_mov_b32 s23, 0
	v_ldexp_f64 v[6:7], v[2:3], 0xffffffe0
	s_delay_alu instid0(VALU_DEP_1) | instskip(NEXT) | instid1(VALU_DEP_1)
	v_floor_f64_e32 v[6:7], v[6:7]
	v_fmamk_f64 v[2:3], v[6:7], 0xc1f00000, v[2:3]
	v_cvt_u32_f64_e32 v7, v[6:7]
	s_delay_alu instid0(VALU_DEP_2)
	v_cvt_u32_f64_e32 v6, v[2:3]
	global_store_b64 v[4:5], v[6:7], off
	s_branch .LBB102_1526
.LBB102_1525:
	s_mov_b32 s23, 0
.LBB102_1526:
	s_delay_alu instid0(SALU_CYCLE_1)
	s_and_b32 vcc_lo, exec_lo, s23
	s_cbranch_vccz .LBB102_1541
; %bb.1527:
	s_cmp_lt_i32 s22, 27
	s_mov_b32 s23, -1
	s_cbranch_scc1 .LBB102_1533
; %bb.1528:
	s_wait_xcnt 0x0
	s_delay_alu instid0(VALU_DEP_1)
	v_cvt_u32_f64_e32 v2, v[0:1]
	s_cmp_gt_i32 s22, 27
	s_cbranch_scc0 .LBB102_1530
; %bb.1529:
	s_mov_b32 s23, 0
	global_store_b32 v[4:5], v2, off
.LBB102_1530:
	s_and_not1_b32 vcc_lo, exec_lo, s23
	s_cbranch_vccnz .LBB102_1532
; %bb.1531:
	global_store_b16 v[4:5], v2, off
.LBB102_1532:
	s_mov_b32 s23, 0
.LBB102_1533:
	s_delay_alu instid0(SALU_CYCLE_1)
	s_and_not1_b32 vcc_lo, exec_lo, s23
	s_cbranch_vccnz .LBB102_1541
; %bb.1534:
	s_wait_xcnt 0x0
	s_delay_alu instid0(VALU_DEP_1) | instskip(SKIP_2) | instid1(VALU_DEP_2)
	v_cvt_f32_f64_e32 v2, v[0:1]
	v_mov_b32_e32 v6, 0x80
	s_mov_b32 s23, exec_lo
	v_and_b32_e32 v3, 0x7fffffff, v2
	s_delay_alu instid0(VALU_DEP_1)
	v_cmpx_gt_u32_e32 0x43800000, v3
	s_cbranch_execz .LBB102_1540
; %bb.1535:
	v_cmp_lt_u32_e32 vcc_lo, 0x3bffffff, v3
	s_mov_b32 s24, 0
                                        ; implicit-def: $vgpr3
	s_and_saveexec_b32 s25, vcc_lo
	s_delay_alu instid0(SALU_CYCLE_1)
	s_xor_b32 s25, exec_lo, s25
	s_cbranch_execz .LBB102_1655
; %bb.1536:
	v_bfe_u32 v3, v2, 20, 1
	s_mov_b32 s24, exec_lo
	s_delay_alu instid0(VALU_DEP_1) | instskip(NEXT) | instid1(VALU_DEP_1)
	v_add3_u32 v3, v2, v3, 0x487ffff
	v_lshrrev_b32_e32 v3, 20, v3
	s_and_not1_saveexec_b32 s25, s25
	s_cbranch_execnz .LBB102_1656
.LBB102_1537:
	s_or_b32 exec_lo, exec_lo, s25
	v_mov_b32_e32 v6, 0
	s_and_saveexec_b32 s25, s24
.LBB102_1538:
	v_lshrrev_b32_e32 v2, 24, v2
	s_delay_alu instid0(VALU_DEP_1)
	v_and_or_b32 v6, 0x80, v2, v3
.LBB102_1539:
	s_or_b32 exec_lo, exec_lo, s25
.LBB102_1540:
	s_delay_alu instid0(SALU_CYCLE_1)
	s_or_b32 exec_lo, exec_lo, s23
	global_store_b8 v[4:5], v6, off
.LBB102_1541:
	s_mov_b32 s23, 0
.LBB102_1542:
	s_delay_alu instid0(SALU_CYCLE_1)
	s_and_b32 vcc_lo, exec_lo, s23
	s_mov_b32 s23, 0
	s_cbranch_vccz .LBB102_1582
; %bb.1543:
	s_cmp_gt_i32 s22, 22
	s_mov_b32 s24, -1
	s_cbranch_scc0 .LBB102_1575
; %bb.1544:
	s_cmp_lt_i32 s22, 24
	s_cbranch_scc1 .LBB102_1564
; %bb.1545:
	s_cmp_gt_i32 s22, 24
	s_cbranch_scc0 .LBB102_1553
; %bb.1546:
	s_wait_xcnt 0x0
	s_delay_alu instid0(VALU_DEP_1) | instskip(SKIP_2) | instid1(VALU_DEP_2)
	v_cvt_f32_f64_e32 v2, v[0:1]
	v_mov_b32_e32 v6, 0x80
	s_mov_b32 s24, exec_lo
	v_and_b32_e32 v3, 0x7fffffff, v2
	s_delay_alu instid0(VALU_DEP_1)
	v_cmpx_gt_u32_e32 0x47800000, v3
	s_cbranch_execz .LBB102_1552
; %bb.1547:
	v_cmp_lt_u32_e32 vcc_lo, 0x37ffffff, v3
	s_mov_b32 s25, 0
                                        ; implicit-def: $vgpr3
	s_and_saveexec_b32 s26, vcc_lo
	s_delay_alu instid0(SALU_CYCLE_1)
	s_xor_b32 s26, exec_lo, s26
	s_cbranch_execz .LBB102_1658
; %bb.1548:
	v_bfe_u32 v3, v2, 21, 1
	s_mov_b32 s25, exec_lo
	s_delay_alu instid0(VALU_DEP_1) | instskip(NEXT) | instid1(VALU_DEP_1)
	v_add3_u32 v3, v2, v3, 0x88fffff
	v_lshrrev_b32_e32 v3, 21, v3
	s_and_not1_saveexec_b32 s26, s26
	s_cbranch_execnz .LBB102_1659
.LBB102_1549:
	s_or_b32 exec_lo, exec_lo, s26
	v_mov_b32_e32 v6, 0
	s_and_saveexec_b32 s26, s25
.LBB102_1550:
	v_lshrrev_b32_e32 v2, 24, v2
	s_delay_alu instid0(VALU_DEP_1)
	v_and_or_b32 v6, 0x80, v2, v3
.LBB102_1551:
	s_or_b32 exec_lo, exec_lo, s26
.LBB102_1552:
	s_delay_alu instid0(SALU_CYCLE_1)
	s_or_b32 exec_lo, exec_lo, s24
	s_mov_b32 s24, 0
	global_store_b8 v[4:5], v6, off
.LBB102_1553:
	s_and_b32 vcc_lo, exec_lo, s24
	s_cbranch_vccz .LBB102_1563
; %bb.1554:
	s_wait_xcnt 0x0
	s_delay_alu instid0(VALU_DEP_1) | instskip(SKIP_1) | instid1(VALU_DEP_1)
	v_cvt_f32_f64_e32 v2, v[0:1]
	s_mov_b32 s24, exec_lo
                                        ; implicit-def: $vgpr3
	v_and_b32_e32 v6, 0x7fffffff, v2
	s_delay_alu instid0(VALU_DEP_1)
	v_cmpx_gt_u32_e32 0x43f00000, v6
	s_xor_b32 s24, exec_lo, s24
	s_cbranch_execz .LBB102_1560
; %bb.1555:
	s_mov_b32 s25, exec_lo
                                        ; implicit-def: $vgpr3
	v_cmpx_lt_u32_e32 0x3c7fffff, v6
	s_xor_b32 s25, exec_lo, s25
; %bb.1556:
	v_bfe_u32 v3, v2, 20, 1
	s_delay_alu instid0(VALU_DEP_1) | instskip(NEXT) | instid1(VALU_DEP_1)
	v_add3_u32 v3, v2, v3, 0x407ffff
	v_and_b32_e32 v6, 0xff00000, v3
	v_lshrrev_b32_e32 v3, 20, v3
	s_delay_alu instid0(VALU_DEP_2) | instskip(NEXT) | instid1(VALU_DEP_2)
	v_cmp_ne_u32_e32 vcc_lo, 0x7f00000, v6
	v_cndmask_b32_e32 v3, 0x7e, v3, vcc_lo
; %bb.1557:
	s_and_not1_saveexec_b32 s25, s25
; %bb.1558:
	v_add_f32_e64 v3, 0x46800000, |v2|
; %bb.1559:
	s_or_b32 exec_lo, exec_lo, s25
                                        ; implicit-def: $vgpr6
.LBB102_1560:
	s_and_not1_saveexec_b32 s24, s24
; %bb.1561:
	v_mov_b32_e32 v3, 0x7f
	v_cmp_lt_u32_e32 vcc_lo, 0x7f800000, v6
	s_delay_alu instid0(VALU_DEP_2)
	v_cndmask_b32_e32 v3, 0x7e, v3, vcc_lo
; %bb.1562:
	s_or_b32 exec_lo, exec_lo, s24
	v_lshrrev_b32_e32 v2, 24, v2
	s_delay_alu instid0(VALU_DEP_1)
	v_and_or_b32 v2, 0x80, v2, v3
	global_store_b8 v[4:5], v2, off
.LBB102_1563:
	s_mov_b32 s24, 0
.LBB102_1564:
	s_delay_alu instid0(SALU_CYCLE_1)
	s_and_not1_b32 vcc_lo, exec_lo, s24
	s_cbranch_vccnz .LBB102_1574
; %bb.1565:
	s_wait_xcnt 0x0
	s_delay_alu instid0(VALU_DEP_1) | instskip(SKIP_1) | instid1(VALU_DEP_1)
	v_cvt_f32_f64_e32 v2, v[0:1]
	s_mov_b32 s24, exec_lo
                                        ; implicit-def: $vgpr3
	v_and_b32_e32 v6, 0x7fffffff, v2
	s_delay_alu instid0(VALU_DEP_1)
	v_cmpx_gt_u32_e32 0x47800000, v6
	s_xor_b32 s24, exec_lo, s24
	s_cbranch_execz .LBB102_1571
; %bb.1566:
	s_mov_b32 s25, exec_lo
                                        ; implicit-def: $vgpr3
	v_cmpx_lt_u32_e32 0x387fffff, v6
	s_xor_b32 s25, exec_lo, s25
; %bb.1567:
	v_bfe_u32 v3, v2, 21, 1
	s_delay_alu instid0(VALU_DEP_1) | instskip(NEXT) | instid1(VALU_DEP_1)
	v_add3_u32 v3, v2, v3, 0x80fffff
	v_lshrrev_b32_e32 v3, 21, v3
; %bb.1568:
	s_and_not1_saveexec_b32 s25, s25
; %bb.1569:
	v_add_f32_e64 v3, 0x43000000, |v2|
; %bb.1570:
	s_or_b32 exec_lo, exec_lo, s25
                                        ; implicit-def: $vgpr6
.LBB102_1571:
	s_and_not1_saveexec_b32 s24, s24
; %bb.1572:
	v_mov_b32_e32 v3, 0x7f
	v_cmp_lt_u32_e32 vcc_lo, 0x7f800000, v6
	s_delay_alu instid0(VALU_DEP_2)
	v_cndmask_b32_e32 v3, 0x7c, v3, vcc_lo
; %bb.1573:
	s_or_b32 exec_lo, exec_lo, s24
	v_lshrrev_b32_e32 v2, 24, v2
	s_delay_alu instid0(VALU_DEP_1)
	v_and_or_b32 v2, 0x80, v2, v3
	global_store_b8 v[4:5], v2, off
.LBB102_1574:
	s_mov_b32 s24, 0
.LBB102_1575:
	s_delay_alu instid0(SALU_CYCLE_1)
	s_and_not1_b32 vcc_lo, exec_lo, s24
	s_mov_b32 s24, 0
	s_cbranch_vccnz .LBB102_1583
; %bb.1576:
	s_cmp_gt_i32 s22, 14
	s_mov_b32 s24, -1
	s_cbranch_scc0 .LBB102_1580
; %bb.1577:
	s_cmp_eq_u32 s22, 15
	s_mov_b32 s0, -1
	s_cbranch_scc0 .LBB102_1579
; %bb.1578:
	s_wait_xcnt 0x0
	s_delay_alu instid0(VALU_DEP_1) | instskip(SKIP_1) | instid1(VALU_DEP_1)
	v_cvt_f32_f64_e32 v2, v[0:1]
	s_mov_b32 s0, 0
	v_bfe_u32 v3, v2, 16, 1
	v_cmp_o_f32_e32 vcc_lo, v2, v2
	s_delay_alu instid0(VALU_DEP_2) | instskip(NEXT) | instid1(VALU_DEP_1)
	v_add3_u32 v3, v2, v3, 0x7fff
	v_lshrrev_b32_e32 v3, 16, v3
	s_delay_alu instid0(VALU_DEP_1)
	v_cndmask_b32_e32 v2, 0x7fc0, v3, vcc_lo
	global_store_b16 v[4:5], v2, off
.LBB102_1579:
	s_mov_b32 s24, 0
.LBB102_1580:
	s_delay_alu instid0(SALU_CYCLE_1)
	s_and_b32 vcc_lo, exec_lo, s24
	s_mov_b32 s24, 0
	s_cbranch_vccz .LBB102_1583
; %bb.1581:
	s_cmp_lg_u32 s22, 11
	s_mov_b32 s24, -1
	s_cselect_b32 s22, -1, 0
	s_and_not1_b32 s0, s0, exec_lo
	s_and_b32 s22, s22, exec_lo
	s_delay_alu instid0(SALU_CYCLE_1)
	s_or_b32 s0, s0, s22
	s_branch .LBB102_1583
.LBB102_1582:
	s_mov_b32 s24, 0
.LBB102_1583:
	s_and_b32 s22, s23, exec_lo
	s_and_not1_b32 s18, s18, exec_lo
	s_and_b32 s23, s0, exec_lo
	s_and_b32 s0, s24, exec_lo
	s_or_b32 s18, s18, s23
	s_wait_xcnt 0x0
	s_or_b32 exec_lo, exec_lo, s21
	s_and_saveexec_b32 s21, s18
	s_cbranch_execz .LBB102_1512
.LBB102_1584:
	s_or_b32 s19, s19, exec_lo
	s_and_not1_b32 s0, s0, exec_lo
	s_trap 2
	s_or_b32 exec_lo, exec_lo, s21
	s_and_saveexec_b32 s18, s0
	s_delay_alu instid0(SALU_CYCLE_1)
	s_xor_b32 s0, exec_lo, s18
	s_cbranch_execnz .LBB102_1513
.LBB102_1585:
	s_or_b32 exec_lo, exec_lo, s0
	s_and_saveexec_b32 s0, s22
	s_delay_alu instid0(SALU_CYCLE_1)
	s_xor_b32 s0, exec_lo, s0
	s_cbranch_execz .LBB102_1623
.LBB102_1586:
	s_sext_i32_i16 s21, s20
	s_mov_b32 s18, -1
	s_cmp_lt_i32 s21, 5
	s_cbranch_scc1 .LBB102_1607
; %bb.1587:
	s_cmp_lt_i32 s21, 8
	s_cbranch_scc1 .LBB102_1597
; %bb.1588:
	;; [unrolled: 3-line block ×3, first 2 shown]
	s_cmp_gt_i32 s21, 9
	s_cbranch_scc0 .LBB102_1591
; %bb.1590:
	s_wait_loadcnt 0x0
	v_mov_b32_e32 v2, 0
	s_mov_b32 s18, 0
	s_delay_alu instid0(VALU_DEP_1)
	v_mov_b32_e32 v3, v2
	global_store_b128 v[4:5], v[0:3], off
.LBB102_1591:
	s_and_not1_b32 vcc_lo, exec_lo, s18
	s_cbranch_vccnz .LBB102_1593
; %bb.1592:
	s_wait_loadcnt 0x0
	v_cvt_f32_f64_e32 v2, v[0:1]
	v_mov_b32_e32 v3, 0
	global_store_b64 v[4:5], v[2:3], off
.LBB102_1593:
	s_mov_b32 s18, 0
.LBB102_1594:
	s_delay_alu instid0(SALU_CYCLE_1)
	s_and_not1_b32 vcc_lo, exec_lo, s18
	s_cbranch_vccnz .LBB102_1596
; %bb.1595:
	s_wait_loadcnt 0x0
	v_and_or_b32 v2, 0x1ff, v1, v0
	v_lshrrev_b32_e32 v3, 8, v1
	v_bfe_u32 v6, v1, 20, 11
	s_delay_alu instid0(VALU_DEP_3) | instskip(NEXT) | instid1(VALU_DEP_2)
	v_cmp_ne_u32_e32 vcc_lo, 0, v2
	v_sub_nc_u32_e32 v7, 0x3f1, v6
	v_cndmask_b32_e64 v2, 0, 1, vcc_lo
	s_delay_alu instid0(VALU_DEP_1) | instskip(NEXT) | instid1(VALU_DEP_3)
	v_and_or_b32 v2, 0xffe, v3, v2
	v_med3_i32 v3, v7, 0, 13
	s_delay_alu instid0(VALU_DEP_2) | instskip(NEXT) | instid1(VALU_DEP_1)
	v_or_b32_e32 v7, 0x1000, v2
	v_lshrrev_b32_e32 v8, v3, v7
	s_delay_alu instid0(VALU_DEP_1) | instskip(NEXT) | instid1(VALU_DEP_1)
	v_lshlrev_b32_e32 v3, v3, v8
	v_cmp_ne_u32_e32 vcc_lo, v3, v7
	v_cndmask_b32_e64 v3, 0, 1, vcc_lo
	s_delay_alu instid0(VALU_DEP_1) | instskip(SKIP_1) | instid1(VALU_DEP_1)
	v_or_b32_e32 v3, v8, v3
	v_add_nc_u32_e32 v6, 0xfffffc10, v6
	v_lshl_or_b32 v7, v6, 12, v2
	v_cmp_gt_i32_e32 vcc_lo, 1, v6
	s_delay_alu instid0(VALU_DEP_2) | instskip(NEXT) | instid1(VALU_DEP_1)
	v_cndmask_b32_e32 v3, v7, v3, vcc_lo
	v_dual_lshrrev_b32 v3, 2, v3 :: v_dual_bitop2_b32 v7, 7, v3 bitop3:0x40
	s_delay_alu instid0(VALU_DEP_1) | instskip(SKIP_4) | instid1(VALU_DEP_2)
	v_cmp_lt_i32_e32 vcc_lo, 5, v7
	v_cndmask_b32_e64 v8, 0, 1, vcc_lo
	v_cmp_eq_u32_e32 vcc_lo, 3, v7
	v_cndmask_b32_e64 v7, 0, 1, vcc_lo
	v_cmp_ne_u32_e32 vcc_lo, 0, v2
	v_or_b32_e32 v7, v7, v8
	s_delay_alu instid0(VALU_DEP_1) | instskip(NEXT) | instid1(VALU_DEP_1)
	v_dual_mov_b32 v8, 0x7e00 :: v_dual_add_nc_u32 v3, v3, v7
	v_cndmask_b32_e32 v2, 0x7c00, v8, vcc_lo
	v_cmp_gt_i32_e32 vcc_lo, 31, v6
	v_lshrrev_b32_e32 v7, 16, v1
	s_delay_alu instid0(VALU_DEP_4) | instskip(SKIP_1) | instid1(VALU_DEP_2)
	v_cndmask_b32_e32 v3, 0x7c00, v3, vcc_lo
	v_cmp_eq_u32_e32 vcc_lo, 0x40f, v6
	v_cndmask_b32_e32 v2, v3, v2, vcc_lo
	s_delay_alu instid0(VALU_DEP_4) | instskip(NEXT) | instid1(VALU_DEP_1)
	v_and_b32_e32 v3, 0x8000, v7
	v_bitop3_b32 v2, v3, 0xffff, v2 bitop3:0xc8
	global_store_b32 v[4:5], v2, off
.LBB102_1596:
	s_mov_b32 s18, 0
.LBB102_1597:
	s_delay_alu instid0(SALU_CYCLE_1)
	s_and_not1_b32 vcc_lo, exec_lo, s18
	s_cbranch_vccnz .LBB102_1606
; %bb.1598:
	s_sext_i32_i16 s21, s20
	s_mov_b32 s18, -1
	s_cmp_lt_i32 s21, 6
	s_cbranch_scc1 .LBB102_1604
; %bb.1599:
	s_cmp_gt_i32 s21, 6
	s_cbranch_scc0 .LBB102_1601
; %bb.1600:
	s_mov_b32 s18, 0
	s_wait_loadcnt 0x0
	global_store_b64 v[4:5], v[0:1], off
.LBB102_1601:
	s_and_not1_b32 vcc_lo, exec_lo, s18
	s_cbranch_vccnz .LBB102_1603
; %bb.1602:
	s_wait_loadcnt 0x0
	v_cvt_f32_f64_e32 v2, v[0:1]
	global_store_b32 v[4:5], v2, off
.LBB102_1603:
	s_mov_b32 s18, 0
.LBB102_1604:
	s_delay_alu instid0(SALU_CYCLE_1)
	s_and_not1_b32 vcc_lo, exec_lo, s18
	s_cbranch_vccnz .LBB102_1606
; %bb.1605:
	s_wait_loadcnt 0x0
	v_and_or_b32 v2, 0x1ff, v1, v0
	v_lshrrev_b32_e32 v3, 8, v1
	v_bfe_u32 v6, v1, 20, 11
	s_delay_alu instid0(VALU_DEP_3) | instskip(NEXT) | instid1(VALU_DEP_2)
	v_cmp_ne_u32_e32 vcc_lo, 0, v2
	v_sub_nc_u32_e32 v7, 0x3f1, v6
	v_cndmask_b32_e64 v2, 0, 1, vcc_lo
	s_delay_alu instid0(VALU_DEP_1) | instskip(NEXT) | instid1(VALU_DEP_3)
	v_and_or_b32 v2, 0xffe, v3, v2
	v_med3_i32 v3, v7, 0, 13
	s_delay_alu instid0(VALU_DEP_2) | instskip(NEXT) | instid1(VALU_DEP_1)
	v_or_b32_e32 v7, 0x1000, v2
	v_lshrrev_b32_e32 v8, v3, v7
	s_delay_alu instid0(VALU_DEP_1) | instskip(NEXT) | instid1(VALU_DEP_1)
	v_lshlrev_b32_e32 v3, v3, v8
	v_cmp_ne_u32_e32 vcc_lo, v3, v7
	v_cndmask_b32_e64 v3, 0, 1, vcc_lo
	s_delay_alu instid0(VALU_DEP_1) | instskip(SKIP_1) | instid1(VALU_DEP_1)
	v_or_b32_e32 v3, v8, v3
	v_add_nc_u32_e32 v6, 0xfffffc10, v6
	v_lshl_or_b32 v7, v6, 12, v2
	v_cmp_gt_i32_e32 vcc_lo, 1, v6
	s_delay_alu instid0(VALU_DEP_2) | instskip(NEXT) | instid1(VALU_DEP_1)
	v_cndmask_b32_e32 v3, v7, v3, vcc_lo
	v_dual_lshrrev_b32 v3, 2, v3 :: v_dual_bitop2_b32 v7, 7, v3 bitop3:0x40
	s_delay_alu instid0(VALU_DEP_1) | instskip(SKIP_4) | instid1(VALU_DEP_2)
	v_cmp_lt_i32_e32 vcc_lo, 5, v7
	v_cndmask_b32_e64 v8, 0, 1, vcc_lo
	v_cmp_eq_u32_e32 vcc_lo, 3, v7
	v_cndmask_b32_e64 v7, 0, 1, vcc_lo
	v_cmp_ne_u32_e32 vcc_lo, 0, v2
	v_or_b32_e32 v7, v7, v8
	s_delay_alu instid0(VALU_DEP_1) | instskip(NEXT) | instid1(VALU_DEP_1)
	v_dual_mov_b32 v8, 0x7e00 :: v_dual_add_nc_u32 v3, v3, v7
	v_cndmask_b32_e32 v2, 0x7c00, v8, vcc_lo
	v_cmp_gt_i32_e32 vcc_lo, 31, v6
	s_delay_alu instid0(VALU_DEP_3) | instskip(SKIP_1) | instid1(VALU_DEP_2)
	v_cndmask_b32_e32 v3, 0x7c00, v3, vcc_lo
	v_cmp_eq_u32_e32 vcc_lo, 0x40f, v6
	v_dual_cndmask_b32 v2, v3, v2 :: v_dual_lshrrev_b32 v3, 16, v1
	s_delay_alu instid0(VALU_DEP_1)
	v_and_or_b32 v2, 0x8000, v3, v2
	global_store_b16 v[4:5], v2, off
.LBB102_1606:
	s_mov_b32 s18, 0
.LBB102_1607:
	s_delay_alu instid0(SALU_CYCLE_1)
	s_and_not1_b32 vcc_lo, exec_lo, s18
	s_cbranch_vccnz .LBB102_1623
; %bb.1608:
	s_sext_i32_i16 s21, s20
	s_mov_b32 s18, -1
	s_cmp_lt_i32 s21, 2
	s_cbranch_scc1 .LBB102_1618
; %bb.1609:
	s_cmp_lt_i32 s21, 3
	s_cbranch_scc1 .LBB102_1615
; %bb.1610:
	s_cmp_gt_i32 s21, 3
	s_cbranch_scc0 .LBB102_1612
; %bb.1611:
	s_wait_loadcnt 0x0
	v_trunc_f64_e32 v[2:3], v[0:1]
	s_mov_b32 s18, 0
	s_delay_alu instid0(VALU_DEP_1) | instskip(NEXT) | instid1(VALU_DEP_1)
	v_ldexp_f64 v[6:7], v[2:3], 0xffffffe0
	v_floor_f64_e32 v[6:7], v[6:7]
	s_delay_alu instid0(VALU_DEP_1) | instskip(SKIP_1) | instid1(VALU_DEP_2)
	v_fmamk_f64 v[2:3], v[6:7], 0xc1f00000, v[2:3]
	v_cvt_i32_f64_e32 v7, v[6:7]
	v_cvt_u32_f64_e32 v6, v[2:3]
	global_store_b64 v[4:5], v[6:7], off
.LBB102_1612:
	s_and_not1_b32 vcc_lo, exec_lo, s18
	s_cbranch_vccnz .LBB102_1614
; %bb.1613:
	s_wait_loadcnt 0x0
	v_cvt_i32_f64_e32 v2, v[0:1]
	global_store_b32 v[4:5], v2, off
.LBB102_1614:
	s_mov_b32 s18, 0
.LBB102_1615:
	s_delay_alu instid0(SALU_CYCLE_1)
	s_and_not1_b32 vcc_lo, exec_lo, s18
	s_cbranch_vccnz .LBB102_1617
; %bb.1616:
	s_wait_loadcnt 0x0
	v_cvt_i32_f64_e32 v2, v[0:1]
	global_store_b16 v[4:5], v2, off
.LBB102_1617:
	s_mov_b32 s18, 0
.LBB102_1618:
	s_delay_alu instid0(SALU_CYCLE_1)
	s_and_not1_b32 vcc_lo, exec_lo, s18
	s_cbranch_vccnz .LBB102_1623
; %bb.1619:
	s_sext_i32_i16 s18, s20
	s_delay_alu instid0(SALU_CYCLE_1)
	s_cmp_gt_i32 s18, 0
	s_mov_b32 s18, -1
	s_cbranch_scc0 .LBB102_1621
; %bb.1620:
	s_wait_loadcnt 0x0
	v_cvt_i32_f64_e32 v2, v[0:1]
	s_mov_b32 s18, 0
	global_store_b8 v[4:5], v2, off
.LBB102_1621:
	s_and_not1_b32 vcc_lo, exec_lo, s18
	s_cbranch_vccnz .LBB102_1623
; %bb.1622:
	s_wait_loadcnt 0x0
	v_trunc_f64_e32 v[0:1], v[0:1]
	s_delay_alu instid0(VALU_DEP_1) | instskip(NEXT) | instid1(VALU_DEP_1)
	v_ldexp_f64 v[2:3], v[0:1], 0xffffffe0
	v_floor_f64_e32 v[2:3], v[2:3]
	s_delay_alu instid0(VALU_DEP_1) | instskip(NEXT) | instid1(VALU_DEP_1)
	v_fmamk_f64 v[0:1], v[2:3], 0xc1f00000, v[0:1]
	v_cvt_u32_f64_e32 v0, v[0:1]
	global_store_b8 v[4:5], v0, off
.LBB102_1623:
	s_wait_xcnt 0x0
	s_or_b32 exec_lo, exec_lo, s0
	s_delay_alu instid0(SALU_CYCLE_1)
	s_and_b32 s18, s19, exec_lo
                                        ; implicit-def: $vgpr18
.LBB102_1624:
	s_or_saveexec_b32 s17, s17
	s_mov_b32 s0, 0
                                        ; implicit-def: $sgpr19
                                        ; implicit-def: $vgpr4_vgpr5
                                        ; implicit-def: $vgpr0_vgpr1
	s_xor_b32 exec_lo, exec_lo, s17
	s_cbranch_execz .LBB102_3192
; %bb.1625:
	s_and_b32 s16, s16, 0xff
	s_delay_alu instid0(SALU_CYCLE_1)
	s_cmp_lt_i32 s16, 23
	s_cbranch_scc1 .LBB102_1629
; %bb.1626:
	s_and_b32 s19, 0xffff, s16
	s_delay_alu instid0(SALU_CYCLE_1)
	s_cmp_gt_i32 s19, 43
	s_cbranch_scc0 .LBB102_1630
; %bb.1627:
	s_cmp_gt_i32 s19, 45
	s_cbranch_scc0 .LBB102_1631
; %bb.1628:
	s_cmp_lg_u32 s19, 46
	s_mov_b32 s0, -1
	s_cselect_b32 s15, -1, 0
	s_cbranch_execz .LBB102_1632
	s_branch .LBB102_1633
.LBB102_1629:
	s_cbranch_execnz .LBB102_1636
	s_branch .LBB102_1640
.LBB102_1630:
	s_cbranch_execnz .LBB102_1634
	s_branch .LBB102_1635
.LBB102_1631:
.LBB102_1632:
	s_cmp_eq_u32 s19, 44
	s_cselect_b32 s0, -1, 0
	s_cmp_lg_u32 s19, 44
	s_cselect_b32 s15, -1, 0
.LBB102_1633:
	s_branch .LBB102_1635
.LBB102_1634:
	s_cmp_lt_i32 s19, 30
	s_cselect_b32 s0, -1, 0
	s_cmp_gt_i32 s19, 29
	s_cselect_b32 s15, -1, 0
.LBB102_1635:
	s_branch .LBB102_1640
.LBB102_1636:
	s_and_b32 s19, 0xffff, s16
	s_mov_b32 s20, -1
	s_cmp_gt_i32 s19, 14
	s_cbranch_scc0 .LBB102_1638
; %bb.1637:
	s_cmp_eq_u32 s19, 15
	s_mov_b32 s20, 0
	s_cselect_b32 s0, -1, 0
	s_cmp_lg_u32 s19, 15
	s_cselect_b32 s15, -1, 0
.LBB102_1638:
	s_and_not1_b32 vcc_lo, exec_lo, s20
	s_cbranch_vccnz .LBB102_1640
; %bb.1639:
	s_cmp_lt_i32 s19, 12
	s_cselect_b32 s0, -1, 0
	s_cmp_gt_i32 s19, 11
	s_cselect_b32 s15, -1, 0
.LBB102_1640:
	s_delay_alu instid0(SALU_CYCLE_1)
	s_and_b32 vcc_lo, exec_lo, s15
	s_mov_b32 s15, s18
	s_cbranch_vccnz .LBB102_1653
; %bb.1641:
	s_and_not1_b32 vcc_lo, exec_lo, s0
                                        ; implicit-def: $vgpr2_vgpr3
	s_cbranch_vccnz .LBB102_3190
.LBB102_1642:
	s_wait_loadcnt 0x0
	v_mul_lo_u32 v4, s4, v18
	s_and_b32 s14, s14, 0xff
	s_delay_alu instid0(SALU_CYCLE_1) | instskip(NEXT) | instid1(VALU_DEP_1)
	s_cmp_lt_i32 s14, 11
	v_ashrrev_i32_e32 v5, 31, v4
	s_delay_alu instid0(VALU_DEP_1)
	v_add_nc_u64_e32 v[2:3], s[8:9], v[4:5]
	s_cbranch_scc1 .LBB102_1649
; %bb.1643:
	s_and_b32 s0, 0xffff, s14
	s_mov_b32 s20, 0
	s_cmp_gt_i32 s0, 25
	s_cbranch_scc0 .LBB102_1651
; %bb.1644:
	s_cmp_gt_i32 s0, 28
	s_cbranch_scc0 .LBB102_1652
; %bb.1645:
	;; [unrolled: 3-line block ×4, first 2 shown]
	s_cmp_eq_u32 s0, 46
	s_mov_b32 s22, 0
	s_cbranch_scc0 .LBB102_1660
; %bb.1648:
	global_load_b32 v0, v[2:3], off
	s_mov_b32 s19, 0
	s_mov_b32 s21, -1
	s_wait_loadcnt 0x0
	v_lshlrev_b32_e32 v0, 16, v0
	s_delay_alu instid0(VALU_DEP_1)
	v_cvt_f64_f32_e32 v[0:1], v0
	s_branch .LBB102_1662
.LBB102_1649:
	s_mov_b32 s21, 0
                                        ; implicit-def: $vgpr0_vgpr1
	s_cbranch_execnz .LBB102_1727
.LBB102_1650:
	s_and_not1_b32 vcc_lo, exec_lo, s21
	s_cbranch_vccz .LBB102_1774
	s_branch .LBB102_3190
.LBB102_1651:
	s_mov_b32 s21, 0
	s_mov_b32 s19, 0
                                        ; implicit-def: $vgpr0_vgpr1
	s_cbranch_execnz .LBB102_1691
	s_branch .LBB102_1723
.LBB102_1652:
	s_mov_b32 s22, -1
	s_mov_b32 s21, 0
	s_mov_b32 s19, 0
                                        ; implicit-def: $vgpr0_vgpr1
	s_branch .LBB102_1672
.LBB102_1653:
	s_or_b32 s15, s18, exec_lo
	s_trap 2
                                        ; implicit-def: $vgpr2_vgpr3
	s_cbranch_execz .LBB102_1642
	s_branch .LBB102_3190
.LBB102_1654:
	s_mov_b32 s22, -1
	s_mov_b32 s21, 0
	s_mov_b32 s19, 0
                                        ; implicit-def: $vgpr0_vgpr1
	s_branch .LBB102_1667
.LBB102_1655:
	s_and_not1_saveexec_b32 s25, s25
	s_cbranch_execz .LBB102_1537
.LBB102_1656:
	v_add_f32_e64 v3, 0x46000000, |v2|
	s_and_not1_b32 s24, s24, exec_lo
	s_delay_alu instid0(VALU_DEP_1) | instskip(NEXT) | instid1(VALU_DEP_1)
	v_and_b32_e32 v3, 0xff, v3
	v_cmp_ne_u32_e32 vcc_lo, 0, v3
	s_and_b32 s26, vcc_lo, exec_lo
	s_delay_alu instid0(SALU_CYCLE_1)
	s_or_b32 s24, s24, s26
	s_or_b32 exec_lo, exec_lo, s25
	v_mov_b32_e32 v6, 0
	s_and_saveexec_b32 s25, s24
	s_cbranch_execnz .LBB102_1538
	s_branch .LBB102_1539
.LBB102_1657:
	s_mov_b32 s22, -1
	s_mov_b32 s21, 0
	s_mov_b32 s19, 0
	s_branch .LBB102_1661
.LBB102_1658:
	s_and_not1_saveexec_b32 s26, s26
	s_cbranch_execz .LBB102_1549
.LBB102_1659:
	v_add_f32_e64 v3, 0x42800000, |v2|
	s_and_not1_b32 s25, s25, exec_lo
	s_delay_alu instid0(VALU_DEP_1) | instskip(NEXT) | instid1(VALU_DEP_1)
	v_and_b32_e32 v3, 0xff, v3
	v_cmp_ne_u32_e32 vcc_lo, 0, v3
	s_and_b32 s27, vcc_lo, exec_lo
	s_delay_alu instid0(SALU_CYCLE_1)
	s_or_b32 s25, s25, s27
	s_or_b32 exec_lo, exec_lo, s26
	v_mov_b32_e32 v6, 0
	s_and_saveexec_b32 s26, s25
	s_cbranch_execnz .LBB102_1550
	s_branch .LBB102_1551
.LBB102_1660:
	s_mov_b32 s19, -1
	s_mov_b32 s21, 0
.LBB102_1661:
                                        ; implicit-def: $vgpr0_vgpr1
.LBB102_1662:
	s_and_b32 vcc_lo, exec_lo, s22
	s_cbranch_vccz .LBB102_1666
; %bb.1663:
	s_cmp_eq_u32 s0, 44
	s_cbranch_scc0 .LBB102_1665
; %bb.1664:
	global_load_u8 v5, v[2:3], off
	s_mov_b32 s19, 0
	s_mov_b32 s21, -1
	s_wait_loadcnt 0x0
	v_lshlrev_b32_e32 v0, 23, v5
	v_cmp_ne_u32_e32 vcc_lo, 0xff, v5
	s_delay_alu instid0(VALU_DEP_2) | instskip(NEXT) | instid1(VALU_DEP_1)
	v_cvt_f64_f32_e32 v[0:1], v0
	v_cndmask_b32_e32 v0, 0x20000000, v0, vcc_lo
	s_delay_alu instid0(VALU_DEP_2) | instskip(SKIP_1) | instid1(VALU_DEP_2)
	v_cndmask_b32_e32 v1, 0x7ff80000, v1, vcc_lo
	v_cmp_ne_u32_e32 vcc_lo, 0, v5
	v_cndmask_b32_e32 v1, 0x38000000, v1, vcc_lo
	s_delay_alu instid0(VALU_DEP_4)
	v_cndmask_b32_e32 v0, 0, v0, vcc_lo
	s_branch .LBB102_1666
.LBB102_1665:
	s_mov_b32 s19, -1
                                        ; implicit-def: $vgpr0_vgpr1
.LBB102_1666:
	s_mov_b32 s22, 0
.LBB102_1667:
	s_delay_alu instid0(SALU_CYCLE_1)
	s_and_b32 vcc_lo, exec_lo, s22
	s_cbranch_vccz .LBB102_1671
; %bb.1668:
	s_cmp_eq_u32 s0, 29
	s_cbranch_scc0 .LBB102_1670
; %bb.1669:
	global_load_b64 v[0:1], v[2:3], off
	s_mov_b32 s19, 0
	s_mov_b32 s21, -1
	s_mov_b32 s22, 0
	s_wait_loadcnt 0x0
	v_cvt_f64_u32_e32 v[6:7], v1
	v_cvt_f64_u32_e32 v[0:1], v0
	s_delay_alu instid0(VALU_DEP_2) | instskip(NEXT) | instid1(VALU_DEP_1)
	v_ldexp_f64 v[6:7], v[6:7], 32
	v_add_f64_e32 v[0:1], v[6:7], v[0:1]
	s_branch .LBB102_1672
.LBB102_1670:
	s_mov_b32 s19, -1
                                        ; implicit-def: $vgpr0_vgpr1
.LBB102_1671:
	s_mov_b32 s22, 0
.LBB102_1672:
	s_delay_alu instid0(SALU_CYCLE_1)
	s_and_b32 vcc_lo, exec_lo, s22
	s_cbranch_vccz .LBB102_1690
; %bb.1673:
	s_cmp_lt_i32 s0, 27
	s_cbranch_scc1 .LBB102_1676
; %bb.1674:
	s_cmp_gt_i32 s0, 27
	s_cbranch_scc0 .LBB102_1677
; %bb.1675:
	global_load_b32 v0, v[2:3], off
	s_mov_b32 s21, 0
	s_wait_loadcnt 0x0
	v_cvt_f64_u32_e32 v[0:1], v0
	s_branch .LBB102_1678
.LBB102_1676:
	s_mov_b32 s21, -1
                                        ; implicit-def: $vgpr0_vgpr1
	s_branch .LBB102_1681
.LBB102_1677:
	s_mov_b32 s21, -1
                                        ; implicit-def: $vgpr0_vgpr1
.LBB102_1678:
	s_delay_alu instid0(SALU_CYCLE_1)
	s_and_not1_b32 vcc_lo, exec_lo, s21
	s_cbranch_vccnz .LBB102_1680
; %bb.1679:
	global_load_u16 v0, v[2:3], off
	s_wait_loadcnt 0x0
	v_cvt_f64_u32_e32 v[0:1], v0
.LBB102_1680:
	s_mov_b32 s21, 0
.LBB102_1681:
	s_delay_alu instid0(SALU_CYCLE_1)
	s_and_not1_b32 vcc_lo, exec_lo, s21
	s_cbranch_vccnz .LBB102_1689
; %bb.1682:
	global_load_u8 v5, v[2:3], off
	s_mov_b32 s21, 0
	s_mov_b32 s22, exec_lo
	s_wait_loadcnt 0x0
	v_cmpx_lt_i16_e32 0x7f, v5
	s_xor_b32 s22, exec_lo, s22
	s_cbranch_execz .LBB102_1702
; %bb.1683:
	s_mov_b32 s21, -1
	s_mov_b32 s23, exec_lo
	v_cmpx_eq_u16_e32 0x80, v5
; %bb.1684:
	s_xor_b32 s21, exec_lo, -1
; %bb.1685:
	s_or_b32 exec_lo, exec_lo, s23
	s_delay_alu instid0(SALU_CYCLE_1)
	s_and_b32 s21, s21, exec_lo
	s_or_saveexec_b32 s22, s22
	v_mov_b64_e32 v[0:1], 0x7ff8000020000000
	s_xor_b32 exec_lo, exec_lo, s22
	s_cbranch_execnz .LBB102_1703
.LBB102_1686:
	s_or_b32 exec_lo, exec_lo, s22
	s_and_saveexec_b32 s22, s21
	s_cbranch_execz .LBB102_1688
.LBB102_1687:
	v_and_b32_e32 v0, 0xffff, v5
	s_delay_alu instid0(VALU_DEP_1) | instskip(SKIP_1) | instid1(VALU_DEP_2)
	v_and_b32_e32 v1, 7, v0
	v_bfe_u32 v8, v0, 3, 4
	v_clz_i32_u32_e32 v6, v1
	s_delay_alu instid0(VALU_DEP_2) | instskip(NEXT) | instid1(VALU_DEP_2)
	v_cmp_eq_u32_e32 vcc_lo, 0, v8
	v_min_u32_e32 v6, 32, v6
	s_delay_alu instid0(VALU_DEP_1) | instskip(NEXT) | instid1(VALU_DEP_1)
	v_subrev_nc_u32_e32 v7, 28, v6
	v_dual_lshlrev_b32 v0, v7, v0 :: v_dual_sub_nc_u32 v6, 29, v6
	s_delay_alu instid0(VALU_DEP_1) | instskip(NEXT) | instid1(VALU_DEP_1)
	v_dual_lshlrev_b32 v5, 24, v5 :: v_dual_bitop2_b32 v0, 7, v0 bitop3:0x40
	v_dual_cndmask_b32 v6, v8, v6, vcc_lo :: v_dual_cndmask_b32 v0, v1, v0, vcc_lo
	s_delay_alu instid0(VALU_DEP_2) | instskip(NEXT) | instid1(VALU_DEP_2)
	v_and_b32_e32 v1, 0x80000000, v5
	v_lshl_add_u32 v5, v6, 23, 0x3b800000
	s_delay_alu instid0(VALU_DEP_3) | instskip(NEXT) | instid1(VALU_DEP_1)
	v_lshlrev_b32_e32 v0, 20, v0
	v_or3_b32 v0, v1, v5, v0
	s_delay_alu instid0(VALU_DEP_1)
	v_cvt_f64_f32_e32 v[0:1], v0
.LBB102_1688:
	s_or_b32 exec_lo, exec_lo, s22
.LBB102_1689:
	s_mov_b32 s21, -1
.LBB102_1690:
	s_branch .LBB102_1723
.LBB102_1691:
	s_cmp_gt_i32 s0, 22
	s_cbranch_scc0 .LBB102_1701
; %bb.1692:
	s_cmp_lt_i32 s0, 24
	s_cbranch_scc1 .LBB102_1704
; %bb.1693:
	s_cmp_gt_i32 s0, 24
	s_cbranch_scc0 .LBB102_1705
; %bb.1694:
	global_load_u8 v5, v[2:3], off
	s_mov_b32 s21, exec_lo
	s_wait_loadcnt 0x0
	v_cmpx_lt_i16_e32 0x7f, v5
	s_xor_b32 s21, exec_lo, s21
	s_cbranch_execz .LBB102_1717
; %bb.1695:
	s_mov_b32 s20, -1
	s_mov_b32 s22, exec_lo
	v_cmpx_eq_u16_e32 0x80, v5
; %bb.1696:
	s_xor_b32 s20, exec_lo, -1
; %bb.1697:
	s_or_b32 exec_lo, exec_lo, s22
	s_delay_alu instid0(SALU_CYCLE_1)
	s_and_b32 s20, s20, exec_lo
	s_or_saveexec_b32 s21, s21
	v_mov_b64_e32 v[0:1], 0x7ff8000020000000
	s_xor_b32 exec_lo, exec_lo, s21
	s_cbranch_execnz .LBB102_1718
.LBB102_1698:
	s_or_b32 exec_lo, exec_lo, s21
	s_and_saveexec_b32 s21, s20
	s_cbranch_execz .LBB102_1700
.LBB102_1699:
	v_and_b32_e32 v0, 0xffff, v5
	s_delay_alu instid0(VALU_DEP_1) | instskip(SKIP_1) | instid1(VALU_DEP_2)
	v_and_b32_e32 v1, 3, v0
	v_bfe_u32 v8, v0, 2, 5
	v_clz_i32_u32_e32 v6, v1
	s_delay_alu instid0(VALU_DEP_2) | instskip(NEXT) | instid1(VALU_DEP_2)
	v_cmp_eq_u32_e32 vcc_lo, 0, v8
	v_min_u32_e32 v6, 32, v6
	s_delay_alu instid0(VALU_DEP_1) | instskip(NEXT) | instid1(VALU_DEP_1)
	v_subrev_nc_u32_e32 v7, 29, v6
	v_dual_lshlrev_b32 v0, v7, v0 :: v_dual_sub_nc_u32 v6, 30, v6
	s_delay_alu instid0(VALU_DEP_1) | instskip(NEXT) | instid1(VALU_DEP_1)
	v_dual_lshlrev_b32 v5, 24, v5 :: v_dual_bitop2_b32 v0, 3, v0 bitop3:0x40
	v_dual_cndmask_b32 v6, v8, v6, vcc_lo :: v_dual_cndmask_b32 v0, v1, v0, vcc_lo
	s_delay_alu instid0(VALU_DEP_2) | instskip(NEXT) | instid1(VALU_DEP_2)
	v_and_b32_e32 v1, 0x80000000, v5
	v_lshl_add_u32 v5, v6, 23, 0x37800000
	s_delay_alu instid0(VALU_DEP_3) | instskip(NEXT) | instid1(VALU_DEP_1)
	v_lshlrev_b32_e32 v0, 21, v0
	v_or3_b32 v0, v1, v5, v0
	s_delay_alu instid0(VALU_DEP_1)
	v_cvt_f64_f32_e32 v[0:1], v0
.LBB102_1700:
	s_or_b32 exec_lo, exec_lo, s21
	s_mov_b32 s20, 0
	s_branch .LBB102_1706
.LBB102_1701:
	s_mov_b32 s20, -1
                                        ; implicit-def: $vgpr0_vgpr1
	s_branch .LBB102_1712
.LBB102_1702:
	s_or_saveexec_b32 s22, s22
	v_mov_b64_e32 v[0:1], 0x7ff8000020000000
	s_xor_b32 exec_lo, exec_lo, s22
	s_cbranch_execz .LBB102_1686
.LBB102_1703:
	v_cmp_ne_u16_e32 vcc_lo, 0, v5
	v_mov_b64_e32 v[0:1], 0
	s_and_not1_b32 s21, s21, exec_lo
	s_and_b32 s23, vcc_lo, exec_lo
	s_delay_alu instid0(SALU_CYCLE_1)
	s_or_b32 s21, s21, s23
	s_or_b32 exec_lo, exec_lo, s22
	s_and_saveexec_b32 s22, s21
	s_cbranch_execnz .LBB102_1687
	s_branch .LBB102_1688
.LBB102_1704:
	s_mov_b32 s20, -1
                                        ; implicit-def: $vgpr0_vgpr1
	s_branch .LBB102_1709
.LBB102_1705:
	s_mov_b32 s20, -1
                                        ; implicit-def: $vgpr0_vgpr1
.LBB102_1706:
	s_delay_alu instid0(SALU_CYCLE_1)
	s_and_b32 vcc_lo, exec_lo, s20
	s_cbranch_vccz .LBB102_1708
; %bb.1707:
	global_load_u8 v0, v[2:3], off
	s_wait_loadcnt 0x0
	v_lshlrev_b32_e32 v0, 24, v0
	s_delay_alu instid0(VALU_DEP_1) | instskip(NEXT) | instid1(VALU_DEP_1)
	v_and_b32_e32 v1, 0x7f000000, v0
	v_clz_i32_u32_e32 v5, v1
	v_add_nc_u32_e32 v7, 0x1000000, v1
	v_cmp_ne_u32_e32 vcc_lo, 0, v1
	s_delay_alu instid0(VALU_DEP_3) | instskip(NEXT) | instid1(VALU_DEP_1)
	v_min_u32_e32 v5, 32, v5
	v_sub_nc_u32_e64 v5, v5, 4 clamp
	s_delay_alu instid0(VALU_DEP_1) | instskip(NEXT) | instid1(VALU_DEP_1)
	v_lshlrev_b32_e32 v6, v5, v1
	v_dual_lshlrev_b32 v5, 23, v5 :: v_dual_lshrrev_b32 v6, 4, v6
	s_delay_alu instid0(VALU_DEP_1) | instskip(NEXT) | instid1(VALU_DEP_1)
	v_dual_sub_nc_u32 v5, v6, v5 :: v_dual_ashrrev_i32 v6, 8, v7
	v_add_nc_u32_e32 v5, 0x3c000000, v5
	s_delay_alu instid0(VALU_DEP_1) | instskip(NEXT) | instid1(VALU_DEP_1)
	v_and_or_b32 v5, 0x7f800000, v6, v5
	v_cndmask_b32_e32 v1, 0, v5, vcc_lo
	s_delay_alu instid0(VALU_DEP_1) | instskip(NEXT) | instid1(VALU_DEP_1)
	v_and_or_b32 v0, 0x80000000, v0, v1
	v_cvt_f64_f32_e32 v[0:1], v0
.LBB102_1708:
	s_mov_b32 s20, 0
.LBB102_1709:
	s_delay_alu instid0(SALU_CYCLE_1)
	s_and_not1_b32 vcc_lo, exec_lo, s20
	s_cbranch_vccnz .LBB102_1711
; %bb.1710:
	global_load_u8 v0, v[2:3], off
	s_wait_loadcnt 0x0
	v_lshlrev_b32_e32 v1, 25, v0
	v_lshlrev_b16 v0, 8, v0
	s_delay_alu instid0(VALU_DEP_1) | instskip(SKIP_1) | instid1(VALU_DEP_2)
	v_and_or_b32 v6, 0x7f00, v0, 0.5
	v_bfe_i32 v0, v0, 0, 16
	v_dual_add_f32 v6, -0.5, v6 :: v_dual_lshrrev_b32 v5, 4, v1
	v_cmp_gt_u32_e32 vcc_lo, 0x8000000, v1
	s_delay_alu instid0(VALU_DEP_2) | instskip(NEXT) | instid1(VALU_DEP_1)
	v_or_b32_e32 v5, 0x70000000, v5
	v_mul_f32_e32 v5, 0x7800000, v5
	s_delay_alu instid0(VALU_DEP_1) | instskip(NEXT) | instid1(VALU_DEP_1)
	v_cndmask_b32_e32 v1, v5, v6, vcc_lo
	v_and_or_b32 v0, 0x80000000, v0, v1
	s_delay_alu instid0(VALU_DEP_1)
	v_cvt_f64_f32_e32 v[0:1], v0
.LBB102_1711:
	s_mov_b32 s20, 0
	s_mov_b32 s21, -1
.LBB102_1712:
	s_and_not1_b32 vcc_lo, exec_lo, s20
	s_mov_b32 s20, 0
	s_cbranch_vccnz .LBB102_1723
; %bb.1713:
	s_cmp_gt_i32 s0, 14
	s_cbranch_scc0 .LBB102_1716
; %bb.1714:
	s_cmp_eq_u32 s0, 15
	s_cbranch_scc0 .LBB102_1719
; %bb.1715:
	global_load_u16 v0, v[2:3], off
	s_mov_b32 s19, 0
	s_mov_b32 s21, -1
	s_wait_loadcnt 0x0
	v_lshlrev_b32_e32 v0, 16, v0
	s_delay_alu instid0(VALU_DEP_1)
	v_cvt_f64_f32_e32 v[0:1], v0
	s_branch .LBB102_1721
.LBB102_1716:
	s_mov_b32 s20, -1
	s_branch .LBB102_1720
.LBB102_1717:
	s_or_saveexec_b32 s21, s21
	v_mov_b64_e32 v[0:1], 0x7ff8000020000000
	s_xor_b32 exec_lo, exec_lo, s21
	s_cbranch_execz .LBB102_1698
.LBB102_1718:
	v_cmp_ne_u16_e32 vcc_lo, 0, v5
	v_mov_b64_e32 v[0:1], 0
	s_and_not1_b32 s20, s20, exec_lo
	s_and_b32 s22, vcc_lo, exec_lo
	s_delay_alu instid0(SALU_CYCLE_1)
	s_or_b32 s20, s20, s22
	s_or_b32 exec_lo, exec_lo, s21
	s_and_saveexec_b32 s21, s20
	s_cbranch_execnz .LBB102_1699
	s_branch .LBB102_1700
.LBB102_1719:
	s_mov_b32 s19, -1
.LBB102_1720:
                                        ; implicit-def: $vgpr0_vgpr1
.LBB102_1721:
	s_and_b32 vcc_lo, exec_lo, s20
	s_mov_b32 s20, 0
	s_cbranch_vccz .LBB102_1723
; %bb.1722:
	s_cmp_lg_u32 s0, 11
	s_mov_b32 s20, -1
	s_cselect_b32 s19, -1, 0
.LBB102_1723:
	s_delay_alu instid0(SALU_CYCLE_1)
	s_and_b32 vcc_lo, exec_lo, s19
	s_cbranch_vccnz .LBB102_1786
; %bb.1724:
	s_and_not1_b32 vcc_lo, exec_lo, s20
	s_cbranch_vccnz .LBB102_1726
.LBB102_1725:
	global_load_u8 v0, v[2:3], off
	s_mov_b32 s21, -1
	s_wait_loadcnt 0x0
	v_cmp_ne_u16_e32 vcc_lo, 0, v0
	v_mov_b32_e32 v0, 0
	v_cndmask_b32_e64 v1, 0, 0x3ff00000, vcc_lo
.LBB102_1726:
	s_branch .LBB102_1650
.LBB102_1727:
	s_and_b32 s0, 0xffff, s14
	s_delay_alu instid0(SALU_CYCLE_1)
	s_cmp_lt_i32 s0, 5
	s_cbranch_scc1 .LBB102_1732
; %bb.1728:
	s_cmp_lt_i32 s0, 8
	s_cbranch_scc1 .LBB102_1733
; %bb.1729:
	;; [unrolled: 3-line block ×3, first 2 shown]
	s_cmp_gt_i32 s0, 9
	s_cbranch_scc0 .LBB102_1735
; %bb.1731:
	global_load_b64 v[0:1], v[2:3], off
	s_mov_b32 s19, 0
	s_branch .LBB102_1736
.LBB102_1732:
                                        ; implicit-def: $vgpr0_vgpr1
	s_branch .LBB102_1754
.LBB102_1733:
	s_mov_b32 s19, -1
                                        ; implicit-def: $vgpr0_vgpr1
	s_branch .LBB102_1742
.LBB102_1734:
	s_mov_b32 s19, -1
                                        ; implicit-def: $vgpr0_vgpr1
	s_branch .LBB102_1739
.LBB102_1735:
	s_mov_b32 s19, -1
                                        ; implicit-def: $vgpr0_vgpr1
.LBB102_1736:
	s_delay_alu instid0(SALU_CYCLE_1)
	s_and_not1_b32 vcc_lo, exec_lo, s19
	s_cbranch_vccnz .LBB102_1738
; %bb.1737:
	s_wait_loadcnt 0x0
	global_load_b32 v0, v[2:3], off
	s_wait_loadcnt 0x0
	v_cvt_f64_f32_e32 v[0:1], v0
.LBB102_1738:
	s_mov_b32 s19, 0
.LBB102_1739:
	s_delay_alu instid0(SALU_CYCLE_1)
	s_and_not1_b32 vcc_lo, exec_lo, s19
	s_cbranch_vccnz .LBB102_1741
; %bb.1740:
	s_wait_loadcnt 0x0
	global_load_b32 v0, v[2:3], off
	s_wait_loadcnt 0x0
	v_cvt_f32_f16_e32 v0, v0
	s_delay_alu instid0(VALU_DEP_1)
	v_cvt_f64_f32_e32 v[0:1], v0
.LBB102_1741:
	s_mov_b32 s19, 0
.LBB102_1742:
	s_delay_alu instid0(SALU_CYCLE_1)
	s_and_not1_b32 vcc_lo, exec_lo, s19
	s_cbranch_vccnz .LBB102_1753
; %bb.1743:
	s_cmp_lt_i32 s0, 6
	s_cbranch_scc1 .LBB102_1746
; %bb.1744:
	s_cmp_gt_i32 s0, 6
	s_cbranch_scc0 .LBB102_1747
; %bb.1745:
	s_wait_loadcnt 0x0
	global_load_b64 v[0:1], v[2:3], off
	s_mov_b32 s19, 0
	s_branch .LBB102_1748
.LBB102_1746:
	s_mov_b32 s19, -1
                                        ; implicit-def: $vgpr0_vgpr1
	s_branch .LBB102_1751
.LBB102_1747:
	s_mov_b32 s19, -1
                                        ; implicit-def: $vgpr0_vgpr1
.LBB102_1748:
	s_delay_alu instid0(SALU_CYCLE_1)
	s_and_not1_b32 vcc_lo, exec_lo, s19
	s_cbranch_vccnz .LBB102_1750
; %bb.1749:
	s_wait_loadcnt 0x0
	global_load_b32 v0, v[2:3], off
	s_wait_loadcnt 0x0
	v_cvt_f64_f32_e32 v[0:1], v0
.LBB102_1750:
	s_mov_b32 s19, 0
.LBB102_1751:
	s_delay_alu instid0(SALU_CYCLE_1)
	s_and_not1_b32 vcc_lo, exec_lo, s19
	s_cbranch_vccnz .LBB102_1753
; %bb.1752:
	s_wait_loadcnt 0x0
	global_load_u16 v0, v[2:3], off
	s_wait_loadcnt 0x0
	v_cvt_f32_f16_e32 v0, v0
	s_delay_alu instid0(VALU_DEP_1)
	v_cvt_f64_f32_e32 v[0:1], v0
.LBB102_1753:
	s_cbranch_execnz .LBB102_1773
.LBB102_1754:
	s_cmp_lt_i32 s0, 2
	s_cbranch_scc1 .LBB102_1758
; %bb.1755:
	s_cmp_lt_i32 s0, 3
	s_cbranch_scc1 .LBB102_1759
; %bb.1756:
	s_cmp_gt_i32 s0, 3
	s_cbranch_scc0 .LBB102_1760
; %bb.1757:
	s_wait_loadcnt 0x0
	global_load_b64 v[0:1], v[2:3], off
	s_mov_b32 s19, 0
	s_wait_loadcnt 0x0
	v_cvt_f64_i32_e32 v[6:7], v1
	v_cvt_f64_u32_e32 v[0:1], v0
	s_delay_alu instid0(VALU_DEP_2) | instskip(NEXT) | instid1(VALU_DEP_1)
	v_ldexp_f64 v[6:7], v[6:7], 32
	v_add_f64_e32 v[0:1], v[6:7], v[0:1]
	s_branch .LBB102_1761
.LBB102_1758:
	s_mov_b32 s19, -1
                                        ; implicit-def: $vgpr0_vgpr1
	s_branch .LBB102_1767
.LBB102_1759:
	s_mov_b32 s19, -1
                                        ; implicit-def: $vgpr0_vgpr1
	s_branch .LBB102_1764
.LBB102_1760:
	s_mov_b32 s19, -1
                                        ; implicit-def: $vgpr0_vgpr1
.LBB102_1761:
	s_delay_alu instid0(SALU_CYCLE_1)
	s_and_not1_b32 vcc_lo, exec_lo, s19
	s_cbranch_vccnz .LBB102_1763
; %bb.1762:
	s_wait_loadcnt 0x0
	global_load_b32 v0, v[2:3], off
	s_wait_loadcnt 0x0
	v_cvt_f64_i32_e32 v[0:1], v0
.LBB102_1763:
	s_mov_b32 s19, 0
.LBB102_1764:
	s_delay_alu instid0(SALU_CYCLE_1)
	s_and_not1_b32 vcc_lo, exec_lo, s19
	s_cbranch_vccnz .LBB102_1766
; %bb.1765:
	s_wait_loadcnt 0x0
	global_load_i16 v0, v[2:3], off
	s_wait_loadcnt 0x0
	v_cvt_f64_i32_e32 v[0:1], v0
.LBB102_1766:
	s_mov_b32 s19, 0
.LBB102_1767:
	s_delay_alu instid0(SALU_CYCLE_1)
	s_and_not1_b32 vcc_lo, exec_lo, s19
	s_cbranch_vccnz .LBB102_1773
; %bb.1768:
	s_cmp_gt_i32 s0, 0
	s_mov_b32 s0, 0
	s_cbranch_scc0 .LBB102_1770
; %bb.1769:
	s_wait_loadcnt 0x0
	global_load_i8 v0, v[2:3], off
	s_wait_loadcnt 0x0
	v_cvt_f64_i32_e32 v[0:1], v0
	s_branch .LBB102_1771
.LBB102_1770:
	s_mov_b32 s0, -1
                                        ; implicit-def: $vgpr0_vgpr1
.LBB102_1771:
	s_delay_alu instid0(SALU_CYCLE_1)
	s_and_not1_b32 vcc_lo, exec_lo, s0
	s_cbranch_vccnz .LBB102_1773
; %bb.1772:
	s_wait_loadcnt 0x0
	global_load_u8 v0, v[2:3], off
	s_wait_loadcnt 0x0
	v_cvt_f64_u32_e32 v[0:1], v0
.LBB102_1773:
.LBB102_1774:
	v_mul_lo_u32 v6, s5, v18
	s_and_b32 s0, 0xffff, s1
	s_delay_alu instid0(SALU_CYCLE_1) | instskip(NEXT) | instid1(VALU_DEP_1)
	s_cmp_lt_i32 s0, 11
	v_ashrrev_i32_e32 v7, 31, v6
	s_delay_alu instid0(VALU_DEP_1)
	v_add_nc_u64_e32 v[8:9], s[10:11], v[6:7]
	s_cbranch_scc1 .LBB102_1781
; %bb.1775:
	s_cmp_gt_i32 s0, 25
	s_mov_b32 s19, 0
	s_cbranch_scc0 .LBB102_1783
; %bb.1776:
	s_cmp_gt_i32 s0, 28
	s_cbranch_scc0 .LBB102_1784
; %bb.1777:
	s_cmp_gt_i32 s0, 43
	;; [unrolled: 3-line block ×3, first 2 shown]
	s_cbranch_scc0 .LBB102_1787
; %bb.1779:
	s_cmp_eq_u32 s0, 46
	s_mov_b32 s21, 0
	s_cbranch_scc0 .LBB102_1788
; %bb.1780:
	global_load_b32 v2, v[8:9], off
	s_mov_b32 s1, 0
	s_mov_b32 s20, -1
	s_wait_loadcnt 0x0
	v_lshlrev_b32_e32 v2, 16, v2
	s_delay_alu instid0(VALU_DEP_1)
	v_cvt_f64_f32_e32 v[2:3], v2
	s_branch .LBB102_1790
.LBB102_1781:
	s_mov_b32 s20, 0
                                        ; implicit-def: $vgpr2_vgpr3
	s_cbranch_execnz .LBB102_1856
.LBB102_1782:
	s_and_not1_b32 vcc_lo, exec_lo, s20
	s_cbranch_vccz .LBB102_1904
	s_branch .LBB102_3190
.LBB102_1783:
	s_mov_b32 s21, -1
	s_mov_b32 s20, 0
	s_mov_b32 s1, 0
                                        ; implicit-def: $vgpr2_vgpr3
	s_branch .LBB102_1819
.LBB102_1784:
	s_mov_b32 s21, -1
	s_mov_b32 s20, 0
	s_mov_b32 s1, 0
                                        ; implicit-def: $vgpr2_vgpr3
	s_branch .LBB102_1800
.LBB102_1785:
	s_mov_b32 s21, -1
	s_mov_b32 s20, 0
	s_mov_b32 s1, 0
                                        ; implicit-def: $vgpr2_vgpr3
	s_branch .LBB102_1795
.LBB102_1786:
	s_or_b32 s15, s15, exec_lo
	s_trap 2
	s_cbranch_execz .LBB102_1725
	s_branch .LBB102_1726
.LBB102_1787:
	s_mov_b32 s21, -1
	s_mov_b32 s20, 0
	s_mov_b32 s1, 0
	s_branch .LBB102_1789
.LBB102_1788:
	s_mov_b32 s1, -1
	s_mov_b32 s20, 0
.LBB102_1789:
                                        ; implicit-def: $vgpr2_vgpr3
.LBB102_1790:
	s_and_b32 vcc_lo, exec_lo, s21
	s_cbranch_vccz .LBB102_1794
; %bb.1791:
	s_cmp_eq_u32 s0, 44
	s_cbranch_scc0 .LBB102_1793
; %bb.1792:
	global_load_u8 v5, v[8:9], off
	s_mov_b32 s1, 0
	s_mov_b32 s20, -1
	s_wait_loadcnt 0x0
	v_cmp_ne_u32_e32 vcc_lo, 0xff, v5
	s_wait_xcnt 0x1
	v_lshlrev_b32_e32 v2, 23, v5
	s_delay_alu instid0(VALU_DEP_1) | instskip(NEXT) | instid1(VALU_DEP_1)
	v_cvt_f64_f32_e32 v[2:3], v2
	v_cndmask_b32_e32 v2, 0x20000000, v2, vcc_lo
	s_delay_alu instid0(VALU_DEP_2) | instskip(SKIP_1) | instid1(VALU_DEP_2)
	v_cndmask_b32_e32 v3, 0x7ff80000, v3, vcc_lo
	v_cmp_ne_u32_e32 vcc_lo, 0, v5
	v_cndmask_b32_e32 v3, 0x38000000, v3, vcc_lo
	s_delay_alu instid0(VALU_DEP_4)
	v_cndmask_b32_e32 v2, 0, v2, vcc_lo
	s_branch .LBB102_1794
.LBB102_1793:
	s_mov_b32 s1, -1
                                        ; implicit-def: $vgpr2_vgpr3
.LBB102_1794:
	s_mov_b32 s21, 0
.LBB102_1795:
	s_delay_alu instid0(SALU_CYCLE_1)
	s_and_b32 vcc_lo, exec_lo, s21
	s_cbranch_vccz .LBB102_1799
; %bb.1796:
	s_cmp_eq_u32 s0, 29
	s_cbranch_scc0 .LBB102_1798
; %bb.1797:
	global_load_b64 v[2:3], v[8:9], off
	s_mov_b32 s1, 0
	s_mov_b32 s20, -1
	s_mov_b32 s21, 0
	s_wait_loadcnt 0x0
	v_cvt_f64_u32_e32 v[10:11], v3
	v_cvt_f64_u32_e32 v[2:3], v2
	s_delay_alu instid0(VALU_DEP_2) | instskip(NEXT) | instid1(VALU_DEP_1)
	v_ldexp_f64 v[10:11], v[10:11], 32
	v_add_f64_e32 v[2:3], v[10:11], v[2:3]
	s_branch .LBB102_1800
.LBB102_1798:
	s_mov_b32 s1, -1
                                        ; implicit-def: $vgpr2_vgpr3
.LBB102_1799:
	s_mov_b32 s21, 0
.LBB102_1800:
	s_delay_alu instid0(SALU_CYCLE_1)
	s_and_b32 vcc_lo, exec_lo, s21
	s_cbranch_vccz .LBB102_1818
; %bb.1801:
	s_cmp_lt_i32 s0, 27
	s_cbranch_scc1 .LBB102_1804
; %bb.1802:
	s_cmp_gt_i32 s0, 27
	s_cbranch_scc0 .LBB102_1805
; %bb.1803:
	global_load_b32 v2, v[8:9], off
	s_mov_b32 s20, 0
	s_wait_loadcnt 0x0
	v_cvt_f64_u32_e32 v[2:3], v2
	s_branch .LBB102_1806
.LBB102_1804:
	s_mov_b32 s20, -1
                                        ; implicit-def: $vgpr2_vgpr3
	s_branch .LBB102_1809
.LBB102_1805:
	s_mov_b32 s20, -1
                                        ; implicit-def: $vgpr2_vgpr3
.LBB102_1806:
	s_delay_alu instid0(SALU_CYCLE_1)
	s_and_not1_b32 vcc_lo, exec_lo, s20
	s_cbranch_vccnz .LBB102_1808
; %bb.1807:
	global_load_u16 v2, v[8:9], off
	s_wait_loadcnt 0x0
	v_cvt_f64_u32_e32 v[2:3], v2
.LBB102_1808:
	s_mov_b32 s20, 0
.LBB102_1809:
	s_delay_alu instid0(SALU_CYCLE_1)
	s_and_not1_b32 vcc_lo, exec_lo, s20
	s_cbranch_vccnz .LBB102_1817
; %bb.1810:
	global_load_u8 v5, v[8:9], off
	s_mov_b32 s20, 0
	s_mov_b32 s21, exec_lo
	s_wait_loadcnt 0x0
	v_cmpx_lt_i16_e32 0x7f, v5
	s_xor_b32 s21, exec_lo, s21
	s_cbranch_execz .LBB102_1831
; %bb.1811:
	s_mov_b32 s20, -1
	s_mov_b32 s22, exec_lo
	v_cmpx_eq_u16_e32 0x80, v5
; %bb.1812:
	s_xor_b32 s20, exec_lo, -1
; %bb.1813:
	s_or_b32 exec_lo, exec_lo, s22
	s_delay_alu instid0(SALU_CYCLE_1)
	s_and_b32 s20, s20, exec_lo
	s_or_saveexec_b32 s21, s21
	v_mov_b64_e32 v[2:3], 0x7ff8000020000000
	s_xor_b32 exec_lo, exec_lo, s21
	s_cbranch_execnz .LBB102_1832
.LBB102_1814:
	s_or_b32 exec_lo, exec_lo, s21
	s_and_saveexec_b32 s21, s20
	s_cbranch_execz .LBB102_1816
.LBB102_1815:
	v_and_b32_e32 v2, 0xffff, v5
	s_delay_alu instid0(VALU_DEP_1) | instskip(SKIP_1) | instid1(VALU_DEP_2)
	v_and_b32_e32 v3, 7, v2
	v_bfe_u32 v11, v2, 3, 4
	v_clz_i32_u32_e32 v7, v3
	s_delay_alu instid0(VALU_DEP_2) | instskip(NEXT) | instid1(VALU_DEP_2)
	v_cmp_eq_u32_e32 vcc_lo, 0, v11
	v_min_u32_e32 v7, 32, v7
	s_delay_alu instid0(VALU_DEP_1) | instskip(NEXT) | instid1(VALU_DEP_1)
	v_subrev_nc_u32_e32 v10, 28, v7
	v_dual_lshlrev_b32 v2, v10, v2 :: v_dual_sub_nc_u32 v7, 29, v7
	s_delay_alu instid0(VALU_DEP_1) | instskip(NEXT) | instid1(VALU_DEP_2)
	v_dual_lshlrev_b32 v5, 24, v5 :: v_dual_bitop2_b32 v2, 7, v2 bitop3:0x40
	v_cndmask_b32_e32 v7, v11, v7, vcc_lo
	s_delay_alu instid0(VALU_DEP_2) | instskip(NEXT) | instid1(VALU_DEP_3)
	v_cndmask_b32_e32 v2, v3, v2, vcc_lo
	v_and_b32_e32 v3, 0x80000000, v5
	s_delay_alu instid0(VALU_DEP_3) | instskip(NEXT) | instid1(VALU_DEP_3)
	v_lshl_add_u32 v5, v7, 23, 0x3b800000
	v_lshlrev_b32_e32 v2, 20, v2
	s_delay_alu instid0(VALU_DEP_1) | instskip(NEXT) | instid1(VALU_DEP_1)
	v_or3_b32 v2, v3, v5, v2
	v_cvt_f64_f32_e32 v[2:3], v2
.LBB102_1816:
	s_or_b32 exec_lo, exec_lo, s21
.LBB102_1817:
	s_mov_b32 s20, -1
.LBB102_1818:
	s_mov_b32 s21, 0
.LBB102_1819:
	s_delay_alu instid0(SALU_CYCLE_1)
	s_and_b32 vcc_lo, exec_lo, s21
	s_cbranch_vccz .LBB102_1852
; %bb.1820:
	s_cmp_gt_i32 s0, 22
	s_cbranch_scc0 .LBB102_1830
; %bb.1821:
	s_cmp_lt_i32 s0, 24
	s_cbranch_scc1 .LBB102_1833
; %bb.1822:
	s_cmp_gt_i32 s0, 24
	s_cbranch_scc0 .LBB102_1834
; %bb.1823:
	global_load_u8 v5, v[8:9], off
	s_mov_b32 s20, exec_lo
	s_wait_loadcnt 0x0
	v_cmpx_lt_i16_e32 0x7f, v5
	s_xor_b32 s20, exec_lo, s20
	s_cbranch_execz .LBB102_1846
; %bb.1824:
	s_mov_b32 s19, -1
	s_mov_b32 s21, exec_lo
	v_cmpx_eq_u16_e32 0x80, v5
; %bb.1825:
	s_xor_b32 s19, exec_lo, -1
; %bb.1826:
	s_or_b32 exec_lo, exec_lo, s21
	s_delay_alu instid0(SALU_CYCLE_1)
	s_and_b32 s19, s19, exec_lo
	s_or_saveexec_b32 s20, s20
	v_mov_b64_e32 v[2:3], 0x7ff8000020000000
	s_xor_b32 exec_lo, exec_lo, s20
	s_cbranch_execnz .LBB102_1847
.LBB102_1827:
	s_or_b32 exec_lo, exec_lo, s20
	s_and_saveexec_b32 s20, s19
	s_cbranch_execz .LBB102_1829
.LBB102_1828:
	v_and_b32_e32 v2, 0xffff, v5
	s_delay_alu instid0(VALU_DEP_1) | instskip(SKIP_1) | instid1(VALU_DEP_2)
	v_and_b32_e32 v3, 3, v2
	v_bfe_u32 v11, v2, 2, 5
	v_clz_i32_u32_e32 v7, v3
	s_delay_alu instid0(VALU_DEP_2) | instskip(NEXT) | instid1(VALU_DEP_2)
	v_cmp_eq_u32_e32 vcc_lo, 0, v11
	v_min_u32_e32 v7, 32, v7
	s_delay_alu instid0(VALU_DEP_1) | instskip(NEXT) | instid1(VALU_DEP_1)
	v_subrev_nc_u32_e32 v10, 29, v7
	v_dual_lshlrev_b32 v2, v10, v2 :: v_dual_sub_nc_u32 v7, 30, v7
	s_delay_alu instid0(VALU_DEP_1) | instskip(NEXT) | instid1(VALU_DEP_2)
	v_dual_lshlrev_b32 v5, 24, v5 :: v_dual_bitop2_b32 v2, 3, v2 bitop3:0x40
	v_cndmask_b32_e32 v7, v11, v7, vcc_lo
	s_delay_alu instid0(VALU_DEP_2) | instskip(NEXT) | instid1(VALU_DEP_3)
	v_cndmask_b32_e32 v2, v3, v2, vcc_lo
	v_and_b32_e32 v3, 0x80000000, v5
	s_delay_alu instid0(VALU_DEP_3) | instskip(NEXT) | instid1(VALU_DEP_3)
	v_lshl_add_u32 v5, v7, 23, 0x37800000
	v_lshlrev_b32_e32 v2, 21, v2
	s_delay_alu instid0(VALU_DEP_1) | instskip(NEXT) | instid1(VALU_DEP_1)
	v_or3_b32 v2, v3, v5, v2
	v_cvt_f64_f32_e32 v[2:3], v2
.LBB102_1829:
	s_or_b32 exec_lo, exec_lo, s20
	s_mov_b32 s19, 0
	s_branch .LBB102_1835
.LBB102_1830:
	s_mov_b32 s19, -1
                                        ; implicit-def: $vgpr2_vgpr3
	s_branch .LBB102_1841
.LBB102_1831:
	s_or_saveexec_b32 s21, s21
	v_mov_b64_e32 v[2:3], 0x7ff8000020000000
	s_xor_b32 exec_lo, exec_lo, s21
	s_cbranch_execz .LBB102_1814
.LBB102_1832:
	v_cmp_ne_u16_e32 vcc_lo, 0, v5
	v_mov_b64_e32 v[2:3], 0
	s_and_not1_b32 s20, s20, exec_lo
	s_and_b32 s22, vcc_lo, exec_lo
	s_delay_alu instid0(SALU_CYCLE_1)
	s_or_b32 s20, s20, s22
	s_or_b32 exec_lo, exec_lo, s21
	s_and_saveexec_b32 s21, s20
	s_cbranch_execnz .LBB102_1815
	s_branch .LBB102_1816
.LBB102_1833:
	s_mov_b32 s19, -1
                                        ; implicit-def: $vgpr2_vgpr3
	s_branch .LBB102_1838
.LBB102_1834:
	s_mov_b32 s19, -1
                                        ; implicit-def: $vgpr2_vgpr3
.LBB102_1835:
	s_delay_alu instid0(SALU_CYCLE_1)
	s_and_b32 vcc_lo, exec_lo, s19
	s_cbranch_vccz .LBB102_1837
; %bb.1836:
	global_load_u8 v2, v[8:9], off
	s_wait_loadcnt 0x0
	v_lshlrev_b32_e32 v2, 24, v2
	s_delay_alu instid0(VALU_DEP_1) | instskip(NEXT) | instid1(VALU_DEP_1)
	v_and_b32_e32 v3, 0x7f000000, v2
	v_clz_i32_u32_e32 v5, v3
	v_cmp_ne_u32_e32 vcc_lo, 0, v3
	v_add_nc_u32_e32 v10, 0x1000000, v3
	s_delay_alu instid0(VALU_DEP_3) | instskip(NEXT) | instid1(VALU_DEP_1)
	v_min_u32_e32 v5, 32, v5
	v_sub_nc_u32_e64 v5, v5, 4 clamp
	s_delay_alu instid0(VALU_DEP_1) | instskip(NEXT) | instid1(VALU_DEP_1)
	v_dual_lshlrev_b32 v7, v5, v3 :: v_dual_lshlrev_b32 v5, 23, v5
	v_lshrrev_b32_e32 v7, 4, v7
	s_delay_alu instid0(VALU_DEP_1) | instskip(NEXT) | instid1(VALU_DEP_1)
	v_dual_sub_nc_u32 v5, v7, v5 :: v_dual_ashrrev_i32 v7, 8, v10
	v_add_nc_u32_e32 v5, 0x3c000000, v5
	s_delay_alu instid0(VALU_DEP_1) | instskip(NEXT) | instid1(VALU_DEP_1)
	v_and_or_b32 v5, 0x7f800000, v7, v5
	v_cndmask_b32_e32 v3, 0, v5, vcc_lo
	s_delay_alu instid0(VALU_DEP_1) | instskip(NEXT) | instid1(VALU_DEP_1)
	v_and_or_b32 v2, 0x80000000, v2, v3
	v_cvt_f64_f32_e32 v[2:3], v2
.LBB102_1837:
	s_mov_b32 s19, 0
.LBB102_1838:
	s_delay_alu instid0(SALU_CYCLE_1)
	s_and_not1_b32 vcc_lo, exec_lo, s19
	s_cbranch_vccnz .LBB102_1840
; %bb.1839:
	global_load_u8 v2, v[8:9], off
	s_wait_loadcnt 0x0
	v_lshlrev_b32_e32 v3, 25, v2
	v_lshlrev_b16 v2, 8, v2
	s_delay_alu instid0(VALU_DEP_1) | instskip(SKIP_1) | instid1(VALU_DEP_2)
	v_and_or_b32 v7, 0x7f00, v2, 0.5
	v_bfe_i32 v2, v2, 0, 16
	v_add_f32_e32 v7, -0.5, v7
	v_lshrrev_b32_e32 v5, 4, v3
	v_cmp_gt_u32_e32 vcc_lo, 0x8000000, v3
	s_delay_alu instid0(VALU_DEP_2) | instskip(NEXT) | instid1(VALU_DEP_1)
	v_or_b32_e32 v5, 0x70000000, v5
	v_mul_f32_e32 v5, 0x7800000, v5
	s_delay_alu instid0(VALU_DEP_1) | instskip(NEXT) | instid1(VALU_DEP_1)
	v_cndmask_b32_e32 v3, v5, v7, vcc_lo
	v_and_or_b32 v2, 0x80000000, v2, v3
	s_delay_alu instid0(VALU_DEP_1)
	v_cvt_f64_f32_e32 v[2:3], v2
.LBB102_1840:
	s_mov_b32 s19, 0
	s_mov_b32 s20, -1
.LBB102_1841:
	s_and_not1_b32 vcc_lo, exec_lo, s19
	s_mov_b32 s19, 0
	s_cbranch_vccnz .LBB102_1852
; %bb.1842:
	s_cmp_gt_i32 s0, 14
	s_cbranch_scc0 .LBB102_1845
; %bb.1843:
	s_cmp_eq_u32 s0, 15
	s_cbranch_scc0 .LBB102_1848
; %bb.1844:
	global_load_u16 v2, v[8:9], off
	s_mov_b32 s1, 0
	s_mov_b32 s20, -1
	s_wait_loadcnt 0x0
	v_lshlrev_b32_e32 v2, 16, v2
	s_delay_alu instid0(VALU_DEP_1)
	v_cvt_f64_f32_e32 v[2:3], v2
	s_branch .LBB102_1850
.LBB102_1845:
	s_mov_b32 s19, -1
	s_branch .LBB102_1849
.LBB102_1846:
	s_or_saveexec_b32 s20, s20
	v_mov_b64_e32 v[2:3], 0x7ff8000020000000
	s_xor_b32 exec_lo, exec_lo, s20
	s_cbranch_execz .LBB102_1827
.LBB102_1847:
	v_cmp_ne_u16_e32 vcc_lo, 0, v5
	v_mov_b64_e32 v[2:3], 0
	s_and_not1_b32 s19, s19, exec_lo
	s_and_b32 s21, vcc_lo, exec_lo
	s_delay_alu instid0(SALU_CYCLE_1)
	s_or_b32 s19, s19, s21
	s_or_b32 exec_lo, exec_lo, s20
	s_and_saveexec_b32 s20, s19
	s_cbranch_execnz .LBB102_1828
	s_branch .LBB102_1829
.LBB102_1848:
	s_mov_b32 s1, -1
.LBB102_1849:
                                        ; implicit-def: $vgpr2_vgpr3
.LBB102_1850:
	s_and_b32 vcc_lo, exec_lo, s19
	s_mov_b32 s19, 0
	s_cbranch_vccz .LBB102_1852
; %bb.1851:
	s_cmp_lg_u32 s0, 11
	s_mov_b32 s19, -1
	s_cselect_b32 s1, -1, 0
.LBB102_1852:
	s_delay_alu instid0(SALU_CYCLE_1)
	s_and_b32 vcc_lo, exec_lo, s1
	s_cbranch_vccnz .LBB102_1934
; %bb.1853:
	s_and_not1_b32 vcc_lo, exec_lo, s19
	s_cbranch_vccnz .LBB102_1855
.LBB102_1854:
	global_load_u8 v2, v[8:9], off
	s_mov_b32 s20, -1
	s_wait_loadcnt 0x0
	v_cmp_ne_u16_e32 vcc_lo, 0, v2
	v_mov_b32_e32 v2, 0
	v_cndmask_b32_e64 v3, 0, 0x3ff00000, vcc_lo
.LBB102_1855:
	s_branch .LBB102_1782
.LBB102_1856:
	s_cmp_lt_i32 s0, 5
	s_cbranch_scc1 .LBB102_1861
; %bb.1857:
	s_cmp_lt_i32 s0, 8
	s_cbranch_scc1 .LBB102_1862
; %bb.1858:
	;; [unrolled: 3-line block ×3, first 2 shown]
	s_cmp_gt_i32 s0, 9
	s_cbranch_scc0 .LBB102_1864
; %bb.1860:
	global_load_b64 v[2:3], v[8:9], off
	s_mov_b32 s1, 0
	s_branch .LBB102_1865
.LBB102_1861:
	s_mov_b32 s1, -1
                                        ; implicit-def: $vgpr2_vgpr3
	s_branch .LBB102_1883
.LBB102_1862:
	s_mov_b32 s1, -1
                                        ; implicit-def: $vgpr2_vgpr3
	s_branch .LBB102_1871
.LBB102_1863:
	s_mov_b32 s1, -1
                                        ; implicit-def: $vgpr2_vgpr3
	s_branch .LBB102_1868
.LBB102_1864:
	s_mov_b32 s1, -1
                                        ; implicit-def: $vgpr2_vgpr3
.LBB102_1865:
	s_delay_alu instid0(SALU_CYCLE_1)
	s_and_not1_b32 vcc_lo, exec_lo, s1
	s_cbranch_vccnz .LBB102_1867
; %bb.1866:
	s_wait_loadcnt 0x0
	global_load_b32 v2, v[8:9], off
	s_wait_loadcnt 0x0
	v_cvt_f64_f32_e32 v[2:3], v2
.LBB102_1867:
	s_mov_b32 s1, 0
.LBB102_1868:
	s_delay_alu instid0(SALU_CYCLE_1)
	s_and_not1_b32 vcc_lo, exec_lo, s1
	s_cbranch_vccnz .LBB102_1870
; %bb.1869:
	s_wait_loadcnt 0x0
	global_load_b32 v2, v[8:9], off
	s_wait_loadcnt 0x0
	v_cvt_f32_f16_e32 v2, v2
	s_delay_alu instid0(VALU_DEP_1)
	v_cvt_f64_f32_e32 v[2:3], v2
.LBB102_1870:
	s_mov_b32 s1, 0
.LBB102_1871:
	s_delay_alu instid0(SALU_CYCLE_1)
	s_and_not1_b32 vcc_lo, exec_lo, s1
	s_cbranch_vccnz .LBB102_1882
; %bb.1872:
	s_cmp_lt_i32 s0, 6
	s_cbranch_scc1 .LBB102_1875
; %bb.1873:
	s_cmp_gt_i32 s0, 6
	s_cbranch_scc0 .LBB102_1876
; %bb.1874:
	s_wait_loadcnt 0x0
	global_load_b64 v[2:3], v[8:9], off
	s_mov_b32 s1, 0
	s_branch .LBB102_1877
.LBB102_1875:
	s_mov_b32 s1, -1
                                        ; implicit-def: $vgpr2_vgpr3
	s_branch .LBB102_1880
.LBB102_1876:
	s_mov_b32 s1, -1
                                        ; implicit-def: $vgpr2_vgpr3
.LBB102_1877:
	s_delay_alu instid0(SALU_CYCLE_1)
	s_and_not1_b32 vcc_lo, exec_lo, s1
	s_cbranch_vccnz .LBB102_1879
; %bb.1878:
	s_wait_loadcnt 0x0
	global_load_b32 v2, v[8:9], off
	s_wait_loadcnt 0x0
	v_cvt_f64_f32_e32 v[2:3], v2
.LBB102_1879:
	s_mov_b32 s1, 0
.LBB102_1880:
	s_delay_alu instid0(SALU_CYCLE_1)
	s_and_not1_b32 vcc_lo, exec_lo, s1
	s_cbranch_vccnz .LBB102_1882
; %bb.1881:
	s_wait_loadcnt 0x0
	global_load_u16 v2, v[8:9], off
	s_wait_loadcnt 0x0
	v_cvt_f32_f16_e32 v2, v2
	s_delay_alu instid0(VALU_DEP_1)
	v_cvt_f64_f32_e32 v[2:3], v2
.LBB102_1882:
	s_mov_b32 s1, 0
.LBB102_1883:
	s_delay_alu instid0(SALU_CYCLE_1)
	s_and_not1_b32 vcc_lo, exec_lo, s1
	s_cbranch_vccnz .LBB102_1903
; %bb.1884:
	s_cmp_lt_i32 s0, 2
	s_cbranch_scc1 .LBB102_1888
; %bb.1885:
	s_cmp_lt_i32 s0, 3
	s_cbranch_scc1 .LBB102_1889
; %bb.1886:
	s_cmp_gt_i32 s0, 3
	s_cbranch_scc0 .LBB102_1890
; %bb.1887:
	s_wait_loadcnt 0x0
	global_load_b64 v[2:3], v[8:9], off
	s_mov_b32 s1, 0
	s_wait_loadcnt 0x0
	v_cvt_f64_i32_e32 v[10:11], v3
	v_cvt_f64_u32_e32 v[2:3], v2
	s_delay_alu instid0(VALU_DEP_2) | instskip(NEXT) | instid1(VALU_DEP_1)
	v_ldexp_f64 v[10:11], v[10:11], 32
	v_add_f64_e32 v[2:3], v[10:11], v[2:3]
	s_branch .LBB102_1891
.LBB102_1888:
	s_mov_b32 s1, -1
                                        ; implicit-def: $vgpr2_vgpr3
	s_branch .LBB102_1897
.LBB102_1889:
	s_mov_b32 s1, -1
                                        ; implicit-def: $vgpr2_vgpr3
	s_branch .LBB102_1894
.LBB102_1890:
	s_mov_b32 s1, -1
                                        ; implicit-def: $vgpr2_vgpr3
.LBB102_1891:
	s_delay_alu instid0(SALU_CYCLE_1)
	s_and_not1_b32 vcc_lo, exec_lo, s1
	s_cbranch_vccnz .LBB102_1893
; %bb.1892:
	s_wait_loadcnt 0x0
	global_load_b32 v2, v[8:9], off
	s_wait_loadcnt 0x0
	v_cvt_f64_i32_e32 v[2:3], v2
.LBB102_1893:
	s_mov_b32 s1, 0
.LBB102_1894:
	s_delay_alu instid0(SALU_CYCLE_1)
	s_and_not1_b32 vcc_lo, exec_lo, s1
	s_cbranch_vccnz .LBB102_1896
; %bb.1895:
	s_wait_loadcnt 0x0
	global_load_i16 v2, v[8:9], off
	s_wait_loadcnt 0x0
	v_cvt_f64_i32_e32 v[2:3], v2
.LBB102_1896:
	s_mov_b32 s1, 0
.LBB102_1897:
	s_delay_alu instid0(SALU_CYCLE_1)
	s_and_not1_b32 vcc_lo, exec_lo, s1
	s_cbranch_vccnz .LBB102_1903
; %bb.1898:
	s_cmp_gt_i32 s0, 0
	s_mov_b32 s1, 0
	s_cbranch_scc0 .LBB102_1900
; %bb.1899:
	s_wait_loadcnt 0x0
	global_load_i8 v2, v[8:9], off
	s_wait_loadcnt 0x0
	v_cvt_f64_i32_e32 v[2:3], v2
	s_branch .LBB102_1901
.LBB102_1900:
	s_mov_b32 s1, -1
                                        ; implicit-def: $vgpr2_vgpr3
.LBB102_1901:
	s_delay_alu instid0(SALU_CYCLE_1)
	s_and_not1_b32 vcc_lo, exec_lo, s1
	s_cbranch_vccnz .LBB102_1903
; %bb.1902:
	s_wait_loadcnt 0x0
	global_load_u8 v2, v[8:9], off
	s_wait_loadcnt 0x0
	v_cvt_f64_u32_e32 v[2:3], v2
.LBB102_1903:
.LBB102_1904:
	s_cmp_lt_i32 s16, 23
	s_cbranch_scc1 .LBB102_1908
; %bb.1905:
	s_and_b32 s20, 0xffff, s16
	s_delay_alu instid0(SALU_CYCLE_1)
	s_cmp_gt_i32 s20, 43
	s_cbranch_scc0 .LBB102_1909
; %bb.1906:
	s_cmp_gt_i32 s20, 45
	s_cbranch_scc0 .LBB102_1910
; %bb.1907:
	s_cmp_lg_u32 s20, 46
	s_mov_b32 s21, 0
	s_mov_b32 s1, -1
	s_cselect_b32 s19, -1, 0
	s_branch .LBB102_1911
.LBB102_1908:
	s_mov_b32 s20, -1
	s_mov_b32 s1, 0
	s_mov_b32 s19, 0
	s_branch .LBB102_1917
.LBB102_1909:
	s_mov_b32 s21, -1
	s_mov_b32 s1, 0
	s_mov_b32 s19, 0
	s_branch .LBB102_1914
.LBB102_1910:
	s_mov_b32 s21, -1
	s_mov_b32 s1, 0
	s_mov_b32 s19, 0
.LBB102_1911:
	s_and_not1_b32 vcc_lo, exec_lo, s21
	s_cbranch_vccnz .LBB102_1913
; %bb.1912:
	s_cmp_eq_u32 s20, 44
	s_cselect_b32 s1, -1, 0
	s_cmp_lg_u32 s20, 44
	s_cselect_b32 s19, -1, 0
.LBB102_1913:
	s_mov_b32 s21, 0
.LBB102_1914:
	s_delay_alu instid0(SALU_CYCLE_1)
	s_and_b32 vcc_lo, exec_lo, s21
	s_cbranch_vccz .LBB102_1916
; %bb.1915:
	s_cmp_lt_i32 s20, 30
	s_cselect_b32 s1, -1, 0
	s_cmp_gt_i32 s20, 29
	s_cselect_b32 s19, -1, 0
.LBB102_1916:
	s_mov_b32 s20, 0
.LBB102_1917:
	s_delay_alu instid0(SALU_CYCLE_1)
	s_and_b32 vcc_lo, exec_lo, s20
	s_cbranch_vccz .LBB102_1922
; %bb.1918:
	s_and_b32 s20, 0xffff, s16
	s_mov_b32 s21, -1
	s_cmp_gt_i32 s20, 14
	s_cbranch_scc0 .LBB102_1920
; %bb.1919:
	s_cmp_eq_u32 s20, 15
	s_mov_b32 s21, 0
	s_cselect_b32 s1, -1, 0
	s_cmp_lg_u32 s20, 15
	s_cselect_b32 s19, -1, 0
.LBB102_1920:
	s_and_not1_b32 vcc_lo, exec_lo, s21
	s_cbranch_vccnz .LBB102_1922
; %bb.1921:
	s_cmp_lt_i32 s20, 12
	s_cselect_b32 s1, -1, 0
	s_cmp_gt_i32 s20, 11
	s_cselect_b32 s19, -1, 0
.LBB102_1922:
	s_delay_alu instid0(SALU_CYCLE_1)
	s_and_b32 vcc_lo, exec_lo, s19
	s_cbranch_vccnz .LBB102_1935
; %bb.1923:
	s_and_not1_b32 vcc_lo, exec_lo, s1
	s_cbranch_vccnz .LBB102_3190
.LBB102_1924:
	s_lshl_b32 s1, s4, 7
	s_cmp_lt_i32 s14, 11
	s_wait_xcnt 0x0
	v_add_nc_u32_e32 v8, s1, v4
	s_delay_alu instid0(VALU_DEP_1) | instskip(NEXT) | instid1(VALU_DEP_1)
	v_ashrrev_i32_e32 v9, 31, v8
	v_add_nc_u64_e32 v[10:11], s[8:9], v[8:9]
	s_cbranch_scc1 .LBB102_1931
; %bb.1925:
	s_and_b32 s4, 0xffff, s14
	s_mov_b32 s20, 0
	s_cmp_gt_i32 s4, 25
	s_cbranch_scc0 .LBB102_1932
; %bb.1926:
	s_cmp_gt_i32 s4, 28
	s_cbranch_scc0 .LBB102_1933
; %bb.1927:
	;; [unrolled: 3-line block ×4, first 2 shown]
	s_cmp_eq_u32 s4, 46
	s_mov_b32 s22, 0
	s_cbranch_scc0 .LBB102_1938
; %bb.1930:
	global_load_b32 v4, v[10:11], off
	s_mov_b32 s19, 0
	s_mov_b32 s21, -1
	s_wait_loadcnt 0x0
	v_lshlrev_b32_e32 v4, 16, v4
	s_delay_alu instid0(VALU_DEP_1)
	v_cvt_f64_f32_e32 v[4:5], v4
	s_branch .LBB102_1940
.LBB102_1931:
	s_mov_b32 s4, -1
	s_mov_b32 s21, 0
                                        ; implicit-def: $vgpr4_vgpr5
	s_branch .LBB102_2006
.LBB102_1932:
	s_mov_b32 s22, -1
	s_mov_b32 s21, 0
	s_mov_b32 s19, 0
                                        ; implicit-def: $vgpr4_vgpr5
	s_branch .LBB102_1969
.LBB102_1933:
	s_mov_b32 s22, -1
	s_mov_b32 s21, 0
	s_mov_b32 s19, 0
                                        ; implicit-def: $vgpr4_vgpr5
	s_branch .LBB102_1950
.LBB102_1934:
	s_or_b32 s15, s15, exec_lo
	s_trap 2
	s_cbranch_execz .LBB102_1854
	s_branch .LBB102_1855
.LBB102_1935:
	s_or_b32 s15, s15, exec_lo
	s_trap 2
	s_cbranch_execz .LBB102_1924
	s_branch .LBB102_3190
.LBB102_1936:
	s_mov_b32 s22, -1
	s_mov_b32 s21, 0
	s_mov_b32 s19, 0
                                        ; implicit-def: $vgpr4_vgpr5
	s_branch .LBB102_1945
.LBB102_1937:
	s_mov_b32 s22, -1
	s_mov_b32 s21, 0
	s_mov_b32 s19, 0
	s_branch .LBB102_1939
.LBB102_1938:
	s_mov_b32 s19, -1
	s_mov_b32 s21, 0
.LBB102_1939:
                                        ; implicit-def: $vgpr4_vgpr5
.LBB102_1940:
	s_and_b32 vcc_lo, exec_lo, s22
	s_cbranch_vccz .LBB102_1944
; %bb.1941:
	s_cmp_eq_u32 s4, 44
	s_cbranch_scc0 .LBB102_1943
; %bb.1942:
	global_load_u8 v7, v[10:11], off
	s_mov_b32 s19, 0
	s_mov_b32 s21, -1
	s_wait_loadcnt 0x0
	v_cmp_ne_u32_e32 vcc_lo, 0xff, v7
	v_lshlrev_b32_e32 v4, 23, v7
	s_delay_alu instid0(VALU_DEP_1) | instskip(NEXT) | instid1(VALU_DEP_1)
	v_cvt_f64_f32_e32 v[4:5], v4
	v_cndmask_b32_e32 v4, 0x20000000, v4, vcc_lo
	s_delay_alu instid0(VALU_DEP_2) | instskip(SKIP_1) | instid1(VALU_DEP_2)
	v_cndmask_b32_e32 v5, 0x7ff80000, v5, vcc_lo
	v_cmp_ne_u32_e32 vcc_lo, 0, v7
	v_cndmask_b32_e32 v5, 0x38000000, v5, vcc_lo
	s_delay_alu instid0(VALU_DEP_4)
	v_cndmask_b32_e32 v4, 0, v4, vcc_lo
	s_branch .LBB102_1944
.LBB102_1943:
	s_mov_b32 s19, -1
                                        ; implicit-def: $vgpr4_vgpr5
.LBB102_1944:
	s_mov_b32 s22, 0
.LBB102_1945:
	s_delay_alu instid0(SALU_CYCLE_1)
	s_and_b32 vcc_lo, exec_lo, s22
	s_cbranch_vccz .LBB102_1949
; %bb.1946:
	s_cmp_eq_u32 s4, 29
	s_cbranch_scc0 .LBB102_1948
; %bb.1947:
	global_load_b64 v[4:5], v[10:11], off
	s_mov_b32 s19, 0
	s_mov_b32 s21, -1
	s_mov_b32 s22, 0
	s_wait_loadcnt 0x0
	v_cvt_f64_u32_e32 v[12:13], v5
	v_cvt_f64_u32_e32 v[4:5], v4
	s_delay_alu instid0(VALU_DEP_2) | instskip(NEXT) | instid1(VALU_DEP_1)
	v_ldexp_f64 v[12:13], v[12:13], 32
	v_add_f64_e32 v[4:5], v[12:13], v[4:5]
	s_branch .LBB102_1950
.LBB102_1948:
	s_mov_b32 s19, -1
                                        ; implicit-def: $vgpr4_vgpr5
.LBB102_1949:
	s_mov_b32 s22, 0
.LBB102_1950:
	s_delay_alu instid0(SALU_CYCLE_1)
	s_and_b32 vcc_lo, exec_lo, s22
	s_cbranch_vccz .LBB102_1968
; %bb.1951:
	s_cmp_lt_i32 s4, 27
	s_cbranch_scc1 .LBB102_1954
; %bb.1952:
	s_cmp_gt_i32 s4, 27
	s_cbranch_scc0 .LBB102_1955
; %bb.1953:
	global_load_b32 v4, v[10:11], off
	s_mov_b32 s21, 0
	s_wait_loadcnt 0x0
	v_cvt_f64_u32_e32 v[4:5], v4
	s_branch .LBB102_1956
.LBB102_1954:
	s_mov_b32 s21, -1
                                        ; implicit-def: $vgpr4_vgpr5
	s_branch .LBB102_1959
.LBB102_1955:
	s_mov_b32 s21, -1
                                        ; implicit-def: $vgpr4_vgpr5
.LBB102_1956:
	s_delay_alu instid0(SALU_CYCLE_1)
	s_and_not1_b32 vcc_lo, exec_lo, s21
	s_cbranch_vccnz .LBB102_1958
; %bb.1957:
	global_load_u16 v4, v[10:11], off
	s_wait_loadcnt 0x0
	v_cvt_f64_u32_e32 v[4:5], v4
.LBB102_1958:
	s_mov_b32 s21, 0
.LBB102_1959:
	s_delay_alu instid0(SALU_CYCLE_1)
	s_and_not1_b32 vcc_lo, exec_lo, s21
	s_cbranch_vccnz .LBB102_1967
; %bb.1960:
	global_load_u8 v7, v[10:11], off
	s_mov_b32 s21, 0
	s_mov_b32 s22, exec_lo
	s_wait_loadcnt 0x0
	v_cmpx_lt_i16_e32 0x7f, v7
	s_xor_b32 s22, exec_lo, s22
	s_cbranch_execz .LBB102_1981
; %bb.1961:
	s_mov_b32 s21, -1
	s_mov_b32 s23, exec_lo
	v_cmpx_eq_u16_e32 0x80, v7
; %bb.1962:
	s_xor_b32 s21, exec_lo, -1
; %bb.1963:
	s_or_b32 exec_lo, exec_lo, s23
	s_delay_alu instid0(SALU_CYCLE_1)
	s_and_b32 s21, s21, exec_lo
	s_or_saveexec_b32 s22, s22
	v_mov_b64_e32 v[4:5], 0x7ff8000020000000
	s_xor_b32 exec_lo, exec_lo, s22
	s_cbranch_execnz .LBB102_1982
.LBB102_1964:
	s_or_b32 exec_lo, exec_lo, s22
	s_and_saveexec_b32 s22, s21
	s_cbranch_execz .LBB102_1966
.LBB102_1965:
	v_and_b32_e32 v4, 0xffff, v7
	s_delay_alu instid0(VALU_DEP_1) | instskip(SKIP_1) | instid1(VALU_DEP_2)
	v_and_b32_e32 v5, 7, v4
	v_bfe_u32 v13, v4, 3, 4
	v_clz_i32_u32_e32 v9, v5
	s_delay_alu instid0(VALU_DEP_2) | instskip(NEXT) | instid1(VALU_DEP_2)
	v_cmp_eq_u32_e32 vcc_lo, 0, v13
	v_min_u32_e32 v9, 32, v9
	s_delay_alu instid0(VALU_DEP_1) | instskip(NEXT) | instid1(VALU_DEP_1)
	v_subrev_nc_u32_e32 v12, 28, v9
	v_dual_lshlrev_b32 v4, v12, v4 :: v_dual_sub_nc_u32 v9, 29, v9
	s_delay_alu instid0(VALU_DEP_1) | instskip(NEXT) | instid1(VALU_DEP_2)
	v_dual_lshlrev_b32 v7, 24, v7 :: v_dual_bitop2_b32 v4, 7, v4 bitop3:0x40
	v_cndmask_b32_e32 v9, v13, v9, vcc_lo
	s_delay_alu instid0(VALU_DEP_2) | instskip(NEXT) | instid1(VALU_DEP_3)
	v_cndmask_b32_e32 v4, v5, v4, vcc_lo
	v_and_b32_e32 v5, 0x80000000, v7
	s_delay_alu instid0(VALU_DEP_3) | instskip(NEXT) | instid1(VALU_DEP_3)
	v_lshl_add_u32 v7, v9, 23, 0x3b800000
	v_lshlrev_b32_e32 v4, 20, v4
	s_delay_alu instid0(VALU_DEP_1) | instskip(NEXT) | instid1(VALU_DEP_1)
	v_or3_b32 v4, v5, v7, v4
	v_cvt_f64_f32_e32 v[4:5], v4
.LBB102_1966:
	s_or_b32 exec_lo, exec_lo, s22
.LBB102_1967:
	s_mov_b32 s21, -1
.LBB102_1968:
	s_mov_b32 s22, 0
.LBB102_1969:
	s_delay_alu instid0(SALU_CYCLE_1)
	s_and_b32 vcc_lo, exec_lo, s22
	s_cbranch_vccz .LBB102_2002
; %bb.1970:
	s_cmp_gt_i32 s4, 22
	s_cbranch_scc0 .LBB102_1980
; %bb.1971:
	s_cmp_lt_i32 s4, 24
	s_cbranch_scc1 .LBB102_1983
; %bb.1972:
	s_cmp_gt_i32 s4, 24
	s_cbranch_scc0 .LBB102_1984
; %bb.1973:
	global_load_u8 v7, v[10:11], off
	s_mov_b32 s21, exec_lo
	s_wait_loadcnt 0x0
	v_cmpx_lt_i16_e32 0x7f, v7
	s_xor_b32 s21, exec_lo, s21
	s_cbranch_execz .LBB102_1996
; %bb.1974:
	s_mov_b32 s20, -1
	s_mov_b32 s22, exec_lo
	v_cmpx_eq_u16_e32 0x80, v7
; %bb.1975:
	s_xor_b32 s20, exec_lo, -1
; %bb.1976:
	s_or_b32 exec_lo, exec_lo, s22
	s_delay_alu instid0(SALU_CYCLE_1)
	s_and_b32 s20, s20, exec_lo
	s_or_saveexec_b32 s21, s21
	v_mov_b64_e32 v[4:5], 0x7ff8000020000000
	s_xor_b32 exec_lo, exec_lo, s21
	s_cbranch_execnz .LBB102_1997
.LBB102_1977:
	s_or_b32 exec_lo, exec_lo, s21
	s_and_saveexec_b32 s21, s20
	s_cbranch_execz .LBB102_1979
.LBB102_1978:
	v_and_b32_e32 v4, 0xffff, v7
	s_delay_alu instid0(VALU_DEP_1) | instskip(SKIP_1) | instid1(VALU_DEP_2)
	v_and_b32_e32 v5, 3, v4
	v_bfe_u32 v13, v4, 2, 5
	v_clz_i32_u32_e32 v9, v5
	s_delay_alu instid0(VALU_DEP_2) | instskip(NEXT) | instid1(VALU_DEP_2)
	v_cmp_eq_u32_e32 vcc_lo, 0, v13
	v_min_u32_e32 v9, 32, v9
	s_delay_alu instid0(VALU_DEP_1) | instskip(NEXT) | instid1(VALU_DEP_1)
	v_subrev_nc_u32_e32 v12, 29, v9
	v_dual_lshlrev_b32 v4, v12, v4 :: v_dual_sub_nc_u32 v9, 30, v9
	s_delay_alu instid0(VALU_DEP_1) | instskip(NEXT) | instid1(VALU_DEP_2)
	v_dual_lshlrev_b32 v7, 24, v7 :: v_dual_bitop2_b32 v4, 3, v4 bitop3:0x40
	v_cndmask_b32_e32 v9, v13, v9, vcc_lo
	s_delay_alu instid0(VALU_DEP_2) | instskip(NEXT) | instid1(VALU_DEP_3)
	v_cndmask_b32_e32 v4, v5, v4, vcc_lo
	v_and_b32_e32 v5, 0x80000000, v7
	s_delay_alu instid0(VALU_DEP_3) | instskip(NEXT) | instid1(VALU_DEP_3)
	v_lshl_add_u32 v7, v9, 23, 0x37800000
	v_lshlrev_b32_e32 v4, 21, v4
	s_delay_alu instid0(VALU_DEP_1) | instskip(NEXT) | instid1(VALU_DEP_1)
	v_or3_b32 v4, v5, v7, v4
	v_cvt_f64_f32_e32 v[4:5], v4
.LBB102_1979:
	s_or_b32 exec_lo, exec_lo, s21
	s_mov_b32 s20, 0
	s_branch .LBB102_1985
.LBB102_1980:
	s_mov_b32 s20, -1
                                        ; implicit-def: $vgpr4_vgpr5
	s_branch .LBB102_1991
.LBB102_1981:
	s_or_saveexec_b32 s22, s22
	v_mov_b64_e32 v[4:5], 0x7ff8000020000000
	s_xor_b32 exec_lo, exec_lo, s22
	s_cbranch_execz .LBB102_1964
.LBB102_1982:
	v_cmp_ne_u16_e32 vcc_lo, 0, v7
	v_mov_b64_e32 v[4:5], 0
	s_and_not1_b32 s21, s21, exec_lo
	s_and_b32 s23, vcc_lo, exec_lo
	s_delay_alu instid0(SALU_CYCLE_1)
	s_or_b32 s21, s21, s23
	s_or_b32 exec_lo, exec_lo, s22
	s_and_saveexec_b32 s22, s21
	s_cbranch_execnz .LBB102_1965
	s_branch .LBB102_1966
.LBB102_1983:
	s_mov_b32 s20, -1
                                        ; implicit-def: $vgpr4_vgpr5
	s_branch .LBB102_1988
.LBB102_1984:
	s_mov_b32 s20, -1
                                        ; implicit-def: $vgpr4_vgpr5
.LBB102_1985:
	s_delay_alu instid0(SALU_CYCLE_1)
	s_and_b32 vcc_lo, exec_lo, s20
	s_cbranch_vccz .LBB102_1987
; %bb.1986:
	global_load_u8 v4, v[10:11], off
	s_wait_loadcnt 0x0
	v_lshlrev_b32_e32 v4, 24, v4
	s_delay_alu instid0(VALU_DEP_1) | instskip(NEXT) | instid1(VALU_DEP_1)
	v_and_b32_e32 v5, 0x7f000000, v4
	v_clz_i32_u32_e32 v7, v5
	v_cmp_ne_u32_e32 vcc_lo, 0, v5
	v_add_nc_u32_e32 v12, 0x1000000, v5
	s_delay_alu instid0(VALU_DEP_3) | instskip(NEXT) | instid1(VALU_DEP_1)
	v_min_u32_e32 v7, 32, v7
	v_sub_nc_u32_e64 v7, v7, 4 clamp
	s_delay_alu instid0(VALU_DEP_1) | instskip(NEXT) | instid1(VALU_DEP_1)
	v_dual_lshlrev_b32 v9, v7, v5 :: v_dual_lshlrev_b32 v7, 23, v7
	v_lshrrev_b32_e32 v9, 4, v9
	s_delay_alu instid0(VALU_DEP_1) | instskip(NEXT) | instid1(VALU_DEP_1)
	v_dual_sub_nc_u32 v7, v9, v7 :: v_dual_ashrrev_i32 v9, 8, v12
	v_add_nc_u32_e32 v7, 0x3c000000, v7
	s_delay_alu instid0(VALU_DEP_1) | instskip(NEXT) | instid1(VALU_DEP_1)
	v_and_or_b32 v7, 0x7f800000, v9, v7
	v_cndmask_b32_e32 v5, 0, v7, vcc_lo
	s_delay_alu instid0(VALU_DEP_1) | instskip(NEXT) | instid1(VALU_DEP_1)
	v_and_or_b32 v4, 0x80000000, v4, v5
	v_cvt_f64_f32_e32 v[4:5], v4
.LBB102_1987:
	s_mov_b32 s20, 0
.LBB102_1988:
	s_delay_alu instid0(SALU_CYCLE_1)
	s_and_not1_b32 vcc_lo, exec_lo, s20
	s_cbranch_vccnz .LBB102_1990
; %bb.1989:
	global_load_u8 v4, v[10:11], off
	s_wait_loadcnt 0x0
	v_lshlrev_b32_e32 v5, 25, v4
	v_lshlrev_b16 v4, 8, v4
	s_delay_alu instid0(VALU_DEP_1) | instskip(SKIP_1) | instid1(VALU_DEP_2)
	v_and_or_b32 v9, 0x7f00, v4, 0.5
	v_bfe_i32 v4, v4, 0, 16
	v_add_f32_e32 v9, -0.5, v9
	v_lshrrev_b32_e32 v7, 4, v5
	v_cmp_gt_u32_e32 vcc_lo, 0x8000000, v5
	s_delay_alu instid0(VALU_DEP_2) | instskip(NEXT) | instid1(VALU_DEP_1)
	v_or_b32_e32 v7, 0x70000000, v7
	v_mul_f32_e32 v7, 0x7800000, v7
	s_delay_alu instid0(VALU_DEP_1) | instskip(NEXT) | instid1(VALU_DEP_1)
	v_cndmask_b32_e32 v5, v7, v9, vcc_lo
	v_and_or_b32 v4, 0x80000000, v4, v5
	s_delay_alu instid0(VALU_DEP_1)
	v_cvt_f64_f32_e32 v[4:5], v4
.LBB102_1990:
	s_mov_b32 s20, 0
	s_mov_b32 s21, -1
.LBB102_1991:
	s_and_not1_b32 vcc_lo, exec_lo, s20
	s_mov_b32 s20, 0
	s_cbranch_vccnz .LBB102_2002
; %bb.1992:
	s_cmp_gt_i32 s4, 14
	s_cbranch_scc0 .LBB102_1995
; %bb.1993:
	s_cmp_eq_u32 s4, 15
	s_cbranch_scc0 .LBB102_1998
; %bb.1994:
	global_load_u16 v4, v[10:11], off
	s_mov_b32 s19, 0
	s_mov_b32 s21, -1
	s_wait_loadcnt 0x0
	v_lshlrev_b32_e32 v4, 16, v4
	s_delay_alu instid0(VALU_DEP_1)
	v_cvt_f64_f32_e32 v[4:5], v4
	s_branch .LBB102_2000
.LBB102_1995:
	s_mov_b32 s20, -1
	s_branch .LBB102_1999
.LBB102_1996:
	s_or_saveexec_b32 s21, s21
	v_mov_b64_e32 v[4:5], 0x7ff8000020000000
	s_xor_b32 exec_lo, exec_lo, s21
	s_cbranch_execz .LBB102_1977
.LBB102_1997:
	v_cmp_ne_u16_e32 vcc_lo, 0, v7
	v_mov_b64_e32 v[4:5], 0
	s_and_not1_b32 s20, s20, exec_lo
	s_and_b32 s22, vcc_lo, exec_lo
	s_delay_alu instid0(SALU_CYCLE_1)
	s_or_b32 s20, s20, s22
	s_or_b32 exec_lo, exec_lo, s21
	s_and_saveexec_b32 s21, s20
	s_cbranch_execnz .LBB102_1978
	s_branch .LBB102_1979
.LBB102_1998:
	s_mov_b32 s19, -1
.LBB102_1999:
                                        ; implicit-def: $vgpr4_vgpr5
.LBB102_2000:
	s_and_b32 vcc_lo, exec_lo, s20
	s_mov_b32 s20, 0
	s_cbranch_vccz .LBB102_2002
; %bb.2001:
	s_cmp_lg_u32 s4, 11
	s_mov_b32 s20, -1
	s_cselect_b32 s19, -1, 0
.LBB102_2002:
	s_delay_alu instid0(SALU_CYCLE_1)
	s_and_b32 vcc_lo, exec_lo, s19
	s_cbranch_vccnz .LBB102_2067
; %bb.2003:
	s_and_not1_b32 vcc_lo, exec_lo, s20
	s_cbranch_vccnz .LBB102_2005
.LBB102_2004:
	global_load_u8 v4, v[10:11], off
	s_mov_b32 s21, -1
	s_wait_loadcnt 0x0
	v_cmp_ne_u16_e32 vcc_lo, 0, v4
	v_mov_b32_e32 v4, 0
	v_cndmask_b32_e64 v5, 0, 0x3ff00000, vcc_lo
.LBB102_2005:
	s_mov_b32 s4, 0
.LBB102_2006:
	s_delay_alu instid0(SALU_CYCLE_1)
	s_and_b32 vcc_lo, exec_lo, s4
	s_cbranch_vccz .LBB102_2055
; %bb.2007:
	s_and_b32 s4, 0xffff, s14
	s_delay_alu instid0(SALU_CYCLE_1)
	s_cmp_lt_i32 s4, 5
	s_cbranch_scc1 .LBB102_2012
; %bb.2008:
	s_cmp_lt_i32 s4, 8
	s_cbranch_scc1 .LBB102_2013
; %bb.2009:
	;; [unrolled: 3-line block ×3, first 2 shown]
	s_cmp_gt_i32 s4, 9
	s_cbranch_scc0 .LBB102_2015
; %bb.2011:
	global_load_b64 v[4:5], v[10:11], off
	s_mov_b32 s19, 0
	s_branch .LBB102_2016
.LBB102_2012:
	s_mov_b32 s19, -1
                                        ; implicit-def: $vgpr4_vgpr5
	s_branch .LBB102_2034
.LBB102_2013:
	s_mov_b32 s19, -1
                                        ; implicit-def: $vgpr4_vgpr5
	s_branch .LBB102_2022
.LBB102_2014:
	s_mov_b32 s19, -1
                                        ; implicit-def: $vgpr4_vgpr5
	s_branch .LBB102_2019
.LBB102_2015:
	s_mov_b32 s19, -1
                                        ; implicit-def: $vgpr4_vgpr5
.LBB102_2016:
	s_delay_alu instid0(SALU_CYCLE_1)
	s_and_not1_b32 vcc_lo, exec_lo, s19
	s_cbranch_vccnz .LBB102_2018
; %bb.2017:
	s_wait_loadcnt 0x0
	global_load_b32 v4, v[10:11], off
	s_wait_loadcnt 0x0
	v_cvt_f64_f32_e32 v[4:5], v4
.LBB102_2018:
	s_mov_b32 s19, 0
.LBB102_2019:
	s_delay_alu instid0(SALU_CYCLE_1)
	s_and_not1_b32 vcc_lo, exec_lo, s19
	s_cbranch_vccnz .LBB102_2021
; %bb.2020:
	s_wait_loadcnt 0x0
	global_load_b32 v4, v[10:11], off
	s_wait_loadcnt 0x0
	v_cvt_f32_f16_e32 v4, v4
	s_delay_alu instid0(VALU_DEP_1)
	v_cvt_f64_f32_e32 v[4:5], v4
.LBB102_2021:
	s_mov_b32 s19, 0
.LBB102_2022:
	s_delay_alu instid0(SALU_CYCLE_1)
	s_and_not1_b32 vcc_lo, exec_lo, s19
	s_cbranch_vccnz .LBB102_2033
; %bb.2023:
	s_cmp_lt_i32 s4, 6
	s_cbranch_scc1 .LBB102_2026
; %bb.2024:
	s_cmp_gt_i32 s4, 6
	s_cbranch_scc0 .LBB102_2027
; %bb.2025:
	s_wait_loadcnt 0x0
	global_load_b64 v[4:5], v[10:11], off
	s_mov_b32 s19, 0
	s_branch .LBB102_2028
.LBB102_2026:
	s_mov_b32 s19, -1
                                        ; implicit-def: $vgpr4_vgpr5
	s_branch .LBB102_2031
.LBB102_2027:
	s_mov_b32 s19, -1
                                        ; implicit-def: $vgpr4_vgpr5
.LBB102_2028:
	s_delay_alu instid0(SALU_CYCLE_1)
	s_and_not1_b32 vcc_lo, exec_lo, s19
	s_cbranch_vccnz .LBB102_2030
; %bb.2029:
	s_wait_loadcnt 0x0
	global_load_b32 v4, v[10:11], off
	s_wait_loadcnt 0x0
	v_cvt_f64_f32_e32 v[4:5], v4
.LBB102_2030:
	s_mov_b32 s19, 0
.LBB102_2031:
	s_delay_alu instid0(SALU_CYCLE_1)
	s_and_not1_b32 vcc_lo, exec_lo, s19
	s_cbranch_vccnz .LBB102_2033
; %bb.2032:
	s_wait_loadcnt 0x0
	global_load_u16 v4, v[10:11], off
	s_wait_loadcnt 0x0
	v_cvt_f32_f16_e32 v4, v4
	s_delay_alu instid0(VALU_DEP_1)
	v_cvt_f64_f32_e32 v[4:5], v4
.LBB102_2033:
	s_mov_b32 s19, 0
.LBB102_2034:
	s_delay_alu instid0(SALU_CYCLE_1)
	s_and_not1_b32 vcc_lo, exec_lo, s19
	s_cbranch_vccnz .LBB102_2054
; %bb.2035:
	s_cmp_lt_i32 s4, 2
	s_cbranch_scc1 .LBB102_2039
; %bb.2036:
	s_cmp_lt_i32 s4, 3
	s_cbranch_scc1 .LBB102_2040
; %bb.2037:
	s_cmp_gt_i32 s4, 3
	s_cbranch_scc0 .LBB102_2041
; %bb.2038:
	s_wait_loadcnt 0x0
	global_load_b64 v[4:5], v[10:11], off
	s_mov_b32 s19, 0
	s_wait_loadcnt 0x0
	v_cvt_f64_i32_e32 v[12:13], v5
	v_cvt_f64_u32_e32 v[4:5], v4
	s_delay_alu instid0(VALU_DEP_2) | instskip(NEXT) | instid1(VALU_DEP_1)
	v_ldexp_f64 v[12:13], v[12:13], 32
	v_add_f64_e32 v[4:5], v[12:13], v[4:5]
	s_branch .LBB102_2042
.LBB102_2039:
	s_mov_b32 s19, -1
                                        ; implicit-def: $vgpr4_vgpr5
	s_branch .LBB102_2048
.LBB102_2040:
	s_mov_b32 s19, -1
                                        ; implicit-def: $vgpr4_vgpr5
	s_branch .LBB102_2045
.LBB102_2041:
	s_mov_b32 s19, -1
                                        ; implicit-def: $vgpr4_vgpr5
.LBB102_2042:
	s_delay_alu instid0(SALU_CYCLE_1)
	s_and_not1_b32 vcc_lo, exec_lo, s19
	s_cbranch_vccnz .LBB102_2044
; %bb.2043:
	s_wait_loadcnt 0x0
	global_load_b32 v4, v[10:11], off
	s_wait_loadcnt 0x0
	v_cvt_f64_i32_e32 v[4:5], v4
.LBB102_2044:
	s_mov_b32 s19, 0
.LBB102_2045:
	s_delay_alu instid0(SALU_CYCLE_1)
	s_and_not1_b32 vcc_lo, exec_lo, s19
	s_cbranch_vccnz .LBB102_2047
; %bb.2046:
	s_wait_loadcnt 0x0
	global_load_i16 v4, v[10:11], off
	s_wait_loadcnt 0x0
	v_cvt_f64_i32_e32 v[4:5], v4
.LBB102_2047:
	s_mov_b32 s19, 0
.LBB102_2048:
	s_delay_alu instid0(SALU_CYCLE_1)
	s_and_not1_b32 vcc_lo, exec_lo, s19
	s_cbranch_vccnz .LBB102_2054
; %bb.2049:
	s_cmp_gt_i32 s4, 0
	s_mov_b32 s4, 0
	s_cbranch_scc0 .LBB102_2051
; %bb.2050:
	s_wait_loadcnt 0x0
	global_load_i8 v4, v[10:11], off
	s_wait_loadcnt 0x0
	v_cvt_f64_i32_e32 v[4:5], v4
	s_branch .LBB102_2052
.LBB102_2051:
	s_mov_b32 s4, -1
                                        ; implicit-def: $vgpr4_vgpr5
.LBB102_2052:
	s_delay_alu instid0(SALU_CYCLE_1)
	s_and_not1_b32 vcc_lo, exec_lo, s4
	s_cbranch_vccnz .LBB102_2054
; %bb.2053:
	s_wait_loadcnt 0x0
	global_load_u8 v4, v[10:11], off
	s_wait_loadcnt 0x0
	v_cvt_f64_u32_e32 v[4:5], v4
.LBB102_2054:
	s_mov_b32 s21, -1
.LBB102_2055:
	s_delay_alu instid0(SALU_CYCLE_1)
	s_and_not1_b32 vcc_lo, exec_lo, s21
	s_cbranch_vccnz .LBB102_3190
; %bb.2056:
	s_lshl_b32 s4, s5, 7
	s_cmp_lt_i32 s0, 11
	s_wait_xcnt 0x0
	v_add_nc_u32_e32 v10, s4, v6
	s_delay_alu instid0(VALU_DEP_1) | instskip(NEXT) | instid1(VALU_DEP_1)
	v_ashrrev_i32_e32 v11, 31, v10
	v_add_nc_u64_e32 v[12:13], s[10:11], v[10:11]
	s_cbranch_scc1 .LBB102_2063
; %bb.2057:
	s_cmp_gt_i32 s0, 25
	s_mov_b32 s19, 0
	s_cbranch_scc0 .LBB102_2064
; %bb.2058:
	s_cmp_gt_i32 s0, 28
	s_cbranch_scc0 .LBB102_2065
; %bb.2059:
	s_cmp_gt_i32 s0, 43
	;; [unrolled: 3-line block ×3, first 2 shown]
	s_cbranch_scc0 .LBB102_2068
; %bb.2061:
	s_cmp_eq_u32 s0, 46
	s_mov_b32 s21, 0
	s_cbranch_scc0 .LBB102_2071
; %bb.2062:
	global_load_b32 v6, v[12:13], off
	s_mov_b32 s5, 0
	s_mov_b32 s20, -1
	s_wait_loadcnt 0x0
	v_lshlrev_b32_e32 v6, 16, v6
	s_delay_alu instid0(VALU_DEP_1)
	v_cvt_f64_f32_e32 v[6:7], v6
	s_branch .LBB102_2073
.LBB102_2063:
	s_mov_b32 s5, -1
	s_mov_b32 s20, 0
                                        ; implicit-def: $vgpr6_vgpr7
	s_branch .LBB102_2139
.LBB102_2064:
	s_mov_b32 s21, -1
	s_mov_b32 s20, 0
	s_mov_b32 s5, 0
                                        ; implicit-def: $vgpr6_vgpr7
	s_branch .LBB102_2102
.LBB102_2065:
	s_mov_b32 s21, -1
	s_mov_b32 s20, 0
	s_mov_b32 s5, 0
                                        ; implicit-def: $vgpr6_vgpr7
	s_branch .LBB102_2083
.LBB102_2066:
	s_mov_b32 s21, -1
	s_mov_b32 s20, 0
	s_mov_b32 s5, 0
                                        ; implicit-def: $vgpr6_vgpr7
	s_branch .LBB102_2078
.LBB102_2067:
	s_or_b32 s15, s15, exec_lo
	s_trap 2
	s_cbranch_execz .LBB102_2004
	s_branch .LBB102_2005
.LBB102_2068:
	s_mov_b32 s21, -1
	s_mov_b32 s20, 0
	s_mov_b32 s5, 0
	s_branch .LBB102_2072
.LBB102_2069:
	s_and_not1_saveexec_b32 s38, s38
	s_cbranch_execz .LBB102_1130
.LBB102_2070:
	v_add_f32_e64 v3, 0x46000000, |v2|
	s_and_not1_b32 s37, s37, exec_lo
	s_delay_alu instid0(VALU_DEP_1) | instskip(NEXT) | instid1(VALU_DEP_1)
	v_and_b32_e32 v3, 0xff, v3
	v_cmp_ne_u32_e32 vcc_lo, 0, v3
	s_and_b32 s39, vcc_lo, exec_lo
	s_delay_alu instid0(SALU_CYCLE_1)
	s_or_b32 s37, s37, s39
	s_or_b32 exec_lo, exec_lo, s38
	v_mov_b32_e32 v6, 0
	s_and_saveexec_b32 s38, s37
	s_cbranch_execnz .LBB102_1131
	s_branch .LBB102_1132
.LBB102_2071:
	s_mov_b32 s5, -1
	s_mov_b32 s20, 0
.LBB102_2072:
                                        ; implicit-def: $vgpr6_vgpr7
.LBB102_2073:
	s_and_b32 vcc_lo, exec_lo, s21
	s_cbranch_vccz .LBB102_2077
; %bb.2074:
	s_cmp_eq_u32 s0, 44
	s_cbranch_scc0 .LBB102_2076
; %bb.2075:
	global_load_u8 v9, v[12:13], off
	s_mov_b32 s5, 0
	s_mov_b32 s20, -1
	s_wait_loadcnt 0x0
	v_cmp_ne_u32_e32 vcc_lo, 0xff, v9
	v_lshlrev_b32_e32 v6, 23, v9
	s_delay_alu instid0(VALU_DEP_1) | instskip(NEXT) | instid1(VALU_DEP_1)
	v_cvt_f64_f32_e32 v[6:7], v6
	v_cndmask_b32_e32 v6, 0x20000000, v6, vcc_lo
	s_delay_alu instid0(VALU_DEP_2) | instskip(SKIP_1) | instid1(VALU_DEP_2)
	v_cndmask_b32_e32 v7, 0x7ff80000, v7, vcc_lo
	v_cmp_ne_u32_e32 vcc_lo, 0, v9
	v_cndmask_b32_e32 v7, 0x38000000, v7, vcc_lo
	s_delay_alu instid0(VALU_DEP_4)
	v_cndmask_b32_e32 v6, 0, v6, vcc_lo
	s_branch .LBB102_2077
.LBB102_2076:
	s_mov_b32 s5, -1
                                        ; implicit-def: $vgpr6_vgpr7
.LBB102_2077:
	s_mov_b32 s21, 0
.LBB102_2078:
	s_delay_alu instid0(SALU_CYCLE_1)
	s_and_b32 vcc_lo, exec_lo, s21
	s_cbranch_vccz .LBB102_2082
; %bb.2079:
	s_cmp_eq_u32 s0, 29
	s_cbranch_scc0 .LBB102_2081
; %bb.2080:
	global_load_b64 v[6:7], v[12:13], off
	s_mov_b32 s5, 0
	s_mov_b32 s20, -1
	s_mov_b32 s21, 0
	s_wait_loadcnt 0x0
	v_cvt_f64_u32_e32 v[14:15], v7
	v_cvt_f64_u32_e32 v[6:7], v6
	s_delay_alu instid0(VALU_DEP_2) | instskip(NEXT) | instid1(VALU_DEP_1)
	v_ldexp_f64 v[14:15], v[14:15], 32
	v_add_f64_e32 v[6:7], v[14:15], v[6:7]
	s_branch .LBB102_2083
.LBB102_2081:
	s_mov_b32 s5, -1
                                        ; implicit-def: $vgpr6_vgpr7
.LBB102_2082:
	s_mov_b32 s21, 0
.LBB102_2083:
	s_delay_alu instid0(SALU_CYCLE_1)
	s_and_b32 vcc_lo, exec_lo, s21
	s_cbranch_vccz .LBB102_2101
; %bb.2084:
	s_cmp_lt_i32 s0, 27
	s_cbranch_scc1 .LBB102_2087
; %bb.2085:
	s_cmp_gt_i32 s0, 27
	s_cbranch_scc0 .LBB102_2088
; %bb.2086:
	global_load_b32 v6, v[12:13], off
	s_mov_b32 s20, 0
	s_wait_loadcnt 0x0
	v_cvt_f64_u32_e32 v[6:7], v6
	s_branch .LBB102_2089
.LBB102_2087:
	s_mov_b32 s20, -1
                                        ; implicit-def: $vgpr6_vgpr7
	s_branch .LBB102_2092
.LBB102_2088:
	s_mov_b32 s20, -1
                                        ; implicit-def: $vgpr6_vgpr7
.LBB102_2089:
	s_delay_alu instid0(SALU_CYCLE_1)
	s_and_not1_b32 vcc_lo, exec_lo, s20
	s_cbranch_vccnz .LBB102_2091
; %bb.2090:
	global_load_u16 v6, v[12:13], off
	s_wait_loadcnt 0x0
	v_cvt_f64_u32_e32 v[6:7], v6
.LBB102_2091:
	s_mov_b32 s20, 0
.LBB102_2092:
	s_delay_alu instid0(SALU_CYCLE_1)
	s_and_not1_b32 vcc_lo, exec_lo, s20
	s_cbranch_vccnz .LBB102_2100
; %bb.2093:
	global_load_u8 v9, v[12:13], off
	s_mov_b32 s20, 0
	s_mov_b32 s21, exec_lo
	s_wait_loadcnt 0x0
	v_cmpx_lt_i16_e32 0x7f, v9
	s_xor_b32 s21, exec_lo, s21
	s_cbranch_execz .LBB102_2114
; %bb.2094:
	s_mov_b32 s20, -1
	s_mov_b32 s22, exec_lo
	v_cmpx_eq_u16_e32 0x80, v9
; %bb.2095:
	s_xor_b32 s20, exec_lo, -1
; %bb.2096:
	s_or_b32 exec_lo, exec_lo, s22
	s_delay_alu instid0(SALU_CYCLE_1)
	s_and_b32 s20, s20, exec_lo
	s_or_saveexec_b32 s21, s21
	v_mov_b64_e32 v[6:7], 0x7ff8000020000000
	s_xor_b32 exec_lo, exec_lo, s21
	s_cbranch_execnz .LBB102_2115
.LBB102_2097:
	s_or_b32 exec_lo, exec_lo, s21
	s_and_saveexec_b32 s21, s20
	s_cbranch_execz .LBB102_2099
.LBB102_2098:
	v_and_b32_e32 v6, 0xffff, v9
	s_delay_alu instid0(VALU_DEP_1) | instskip(SKIP_1) | instid1(VALU_DEP_2)
	v_and_b32_e32 v7, 7, v6
	v_bfe_u32 v15, v6, 3, 4
	v_clz_i32_u32_e32 v11, v7
	s_delay_alu instid0(VALU_DEP_2) | instskip(NEXT) | instid1(VALU_DEP_2)
	v_cmp_eq_u32_e32 vcc_lo, 0, v15
	v_min_u32_e32 v11, 32, v11
	s_delay_alu instid0(VALU_DEP_1) | instskip(NEXT) | instid1(VALU_DEP_1)
	v_subrev_nc_u32_e32 v14, 28, v11
	v_dual_lshlrev_b32 v6, v14, v6 :: v_dual_sub_nc_u32 v11, 29, v11
	s_delay_alu instid0(VALU_DEP_1) | instskip(NEXT) | instid1(VALU_DEP_2)
	v_dual_lshlrev_b32 v9, 24, v9 :: v_dual_bitop2_b32 v6, 7, v6 bitop3:0x40
	v_cndmask_b32_e32 v11, v15, v11, vcc_lo
	s_delay_alu instid0(VALU_DEP_2) | instskip(NEXT) | instid1(VALU_DEP_3)
	v_cndmask_b32_e32 v6, v7, v6, vcc_lo
	v_and_b32_e32 v7, 0x80000000, v9
	s_delay_alu instid0(VALU_DEP_3) | instskip(NEXT) | instid1(VALU_DEP_3)
	v_lshl_add_u32 v9, v11, 23, 0x3b800000
	v_lshlrev_b32_e32 v6, 20, v6
	s_delay_alu instid0(VALU_DEP_1) | instskip(NEXT) | instid1(VALU_DEP_1)
	v_or3_b32 v6, v7, v9, v6
	v_cvt_f64_f32_e32 v[6:7], v6
.LBB102_2099:
	s_or_b32 exec_lo, exec_lo, s21
.LBB102_2100:
	s_mov_b32 s20, -1
.LBB102_2101:
	s_mov_b32 s21, 0
.LBB102_2102:
	s_delay_alu instid0(SALU_CYCLE_1)
	s_and_b32 vcc_lo, exec_lo, s21
	s_cbranch_vccz .LBB102_2135
; %bb.2103:
	s_cmp_gt_i32 s0, 22
	s_cbranch_scc0 .LBB102_2113
; %bb.2104:
	s_cmp_lt_i32 s0, 24
	s_cbranch_scc1 .LBB102_2116
; %bb.2105:
	s_cmp_gt_i32 s0, 24
	s_cbranch_scc0 .LBB102_2117
; %bb.2106:
	global_load_u8 v9, v[12:13], off
	s_mov_b32 s20, exec_lo
	s_wait_loadcnt 0x0
	v_cmpx_lt_i16_e32 0x7f, v9
	s_xor_b32 s20, exec_lo, s20
	s_cbranch_execz .LBB102_2129
; %bb.2107:
	s_mov_b32 s19, -1
	s_mov_b32 s21, exec_lo
	v_cmpx_eq_u16_e32 0x80, v9
; %bb.2108:
	s_xor_b32 s19, exec_lo, -1
; %bb.2109:
	s_or_b32 exec_lo, exec_lo, s21
	s_delay_alu instid0(SALU_CYCLE_1)
	s_and_b32 s19, s19, exec_lo
	s_or_saveexec_b32 s20, s20
	v_mov_b64_e32 v[6:7], 0x7ff8000020000000
	s_xor_b32 exec_lo, exec_lo, s20
	s_cbranch_execnz .LBB102_2130
.LBB102_2110:
	s_or_b32 exec_lo, exec_lo, s20
	s_and_saveexec_b32 s20, s19
	s_cbranch_execz .LBB102_2112
.LBB102_2111:
	v_and_b32_e32 v6, 0xffff, v9
	s_delay_alu instid0(VALU_DEP_1) | instskip(SKIP_1) | instid1(VALU_DEP_2)
	v_and_b32_e32 v7, 3, v6
	v_bfe_u32 v15, v6, 2, 5
	v_clz_i32_u32_e32 v11, v7
	s_delay_alu instid0(VALU_DEP_2) | instskip(NEXT) | instid1(VALU_DEP_2)
	v_cmp_eq_u32_e32 vcc_lo, 0, v15
	v_min_u32_e32 v11, 32, v11
	s_delay_alu instid0(VALU_DEP_1) | instskip(NEXT) | instid1(VALU_DEP_1)
	v_subrev_nc_u32_e32 v14, 29, v11
	v_dual_lshlrev_b32 v6, v14, v6 :: v_dual_sub_nc_u32 v11, 30, v11
	s_delay_alu instid0(VALU_DEP_1) | instskip(NEXT) | instid1(VALU_DEP_2)
	v_dual_lshlrev_b32 v9, 24, v9 :: v_dual_bitop2_b32 v6, 3, v6 bitop3:0x40
	v_cndmask_b32_e32 v11, v15, v11, vcc_lo
	s_delay_alu instid0(VALU_DEP_2) | instskip(NEXT) | instid1(VALU_DEP_3)
	v_cndmask_b32_e32 v6, v7, v6, vcc_lo
	v_and_b32_e32 v7, 0x80000000, v9
	s_delay_alu instid0(VALU_DEP_3) | instskip(NEXT) | instid1(VALU_DEP_3)
	v_lshl_add_u32 v9, v11, 23, 0x37800000
	v_lshlrev_b32_e32 v6, 21, v6
	s_delay_alu instid0(VALU_DEP_1) | instskip(NEXT) | instid1(VALU_DEP_1)
	v_or3_b32 v6, v7, v9, v6
	v_cvt_f64_f32_e32 v[6:7], v6
.LBB102_2112:
	s_or_b32 exec_lo, exec_lo, s20
	s_mov_b32 s19, 0
	s_branch .LBB102_2118
.LBB102_2113:
	s_mov_b32 s19, -1
                                        ; implicit-def: $vgpr6_vgpr7
	s_branch .LBB102_2124
.LBB102_2114:
	s_or_saveexec_b32 s21, s21
	v_mov_b64_e32 v[6:7], 0x7ff8000020000000
	s_xor_b32 exec_lo, exec_lo, s21
	s_cbranch_execz .LBB102_2097
.LBB102_2115:
	v_cmp_ne_u16_e32 vcc_lo, 0, v9
	v_mov_b64_e32 v[6:7], 0
	s_and_not1_b32 s20, s20, exec_lo
	s_and_b32 s22, vcc_lo, exec_lo
	s_delay_alu instid0(SALU_CYCLE_1)
	s_or_b32 s20, s20, s22
	s_or_b32 exec_lo, exec_lo, s21
	s_and_saveexec_b32 s21, s20
	s_cbranch_execnz .LBB102_2098
	s_branch .LBB102_2099
.LBB102_2116:
	s_mov_b32 s19, -1
                                        ; implicit-def: $vgpr6_vgpr7
	s_branch .LBB102_2121
.LBB102_2117:
	s_mov_b32 s19, -1
                                        ; implicit-def: $vgpr6_vgpr7
.LBB102_2118:
	s_delay_alu instid0(SALU_CYCLE_1)
	s_and_b32 vcc_lo, exec_lo, s19
	s_cbranch_vccz .LBB102_2120
; %bb.2119:
	global_load_u8 v6, v[12:13], off
	s_wait_loadcnt 0x0
	v_lshlrev_b32_e32 v6, 24, v6
	s_delay_alu instid0(VALU_DEP_1) | instskip(NEXT) | instid1(VALU_DEP_1)
	v_and_b32_e32 v7, 0x7f000000, v6
	v_clz_i32_u32_e32 v9, v7
	v_cmp_ne_u32_e32 vcc_lo, 0, v7
	v_add_nc_u32_e32 v14, 0x1000000, v7
	s_delay_alu instid0(VALU_DEP_3) | instskip(NEXT) | instid1(VALU_DEP_1)
	v_min_u32_e32 v9, 32, v9
	v_sub_nc_u32_e64 v9, v9, 4 clamp
	s_delay_alu instid0(VALU_DEP_1) | instskip(NEXT) | instid1(VALU_DEP_1)
	v_dual_lshlrev_b32 v11, v9, v7 :: v_dual_lshlrev_b32 v9, 23, v9
	v_lshrrev_b32_e32 v11, 4, v11
	s_delay_alu instid0(VALU_DEP_1) | instskip(NEXT) | instid1(VALU_DEP_1)
	v_dual_sub_nc_u32 v9, v11, v9 :: v_dual_ashrrev_i32 v11, 8, v14
	v_add_nc_u32_e32 v9, 0x3c000000, v9
	s_delay_alu instid0(VALU_DEP_1) | instskip(NEXT) | instid1(VALU_DEP_1)
	v_and_or_b32 v9, 0x7f800000, v11, v9
	v_cndmask_b32_e32 v7, 0, v9, vcc_lo
	s_delay_alu instid0(VALU_DEP_1) | instskip(NEXT) | instid1(VALU_DEP_1)
	v_and_or_b32 v6, 0x80000000, v6, v7
	v_cvt_f64_f32_e32 v[6:7], v6
.LBB102_2120:
	s_mov_b32 s19, 0
.LBB102_2121:
	s_delay_alu instid0(SALU_CYCLE_1)
	s_and_not1_b32 vcc_lo, exec_lo, s19
	s_cbranch_vccnz .LBB102_2123
; %bb.2122:
	global_load_u8 v6, v[12:13], off
	s_wait_loadcnt 0x0
	v_lshlrev_b32_e32 v7, 25, v6
	v_lshlrev_b16 v6, 8, v6
	s_delay_alu instid0(VALU_DEP_1) | instskip(SKIP_1) | instid1(VALU_DEP_2)
	v_and_or_b32 v11, 0x7f00, v6, 0.5
	v_bfe_i32 v6, v6, 0, 16
	v_add_f32_e32 v11, -0.5, v11
	v_lshrrev_b32_e32 v9, 4, v7
	v_cmp_gt_u32_e32 vcc_lo, 0x8000000, v7
	s_delay_alu instid0(VALU_DEP_2) | instskip(NEXT) | instid1(VALU_DEP_1)
	v_or_b32_e32 v9, 0x70000000, v9
	v_mul_f32_e32 v9, 0x7800000, v9
	s_delay_alu instid0(VALU_DEP_1) | instskip(NEXT) | instid1(VALU_DEP_1)
	v_cndmask_b32_e32 v7, v9, v11, vcc_lo
	v_and_or_b32 v6, 0x80000000, v6, v7
	s_delay_alu instid0(VALU_DEP_1)
	v_cvt_f64_f32_e32 v[6:7], v6
.LBB102_2123:
	s_mov_b32 s19, 0
	s_mov_b32 s20, -1
.LBB102_2124:
	s_and_not1_b32 vcc_lo, exec_lo, s19
	s_mov_b32 s19, 0
	s_cbranch_vccnz .LBB102_2135
; %bb.2125:
	s_cmp_gt_i32 s0, 14
	s_cbranch_scc0 .LBB102_2128
; %bb.2126:
	s_cmp_eq_u32 s0, 15
	s_cbranch_scc0 .LBB102_2131
; %bb.2127:
	global_load_u16 v6, v[12:13], off
	s_mov_b32 s5, 0
	s_mov_b32 s20, -1
	s_wait_loadcnt 0x0
	v_lshlrev_b32_e32 v6, 16, v6
	s_delay_alu instid0(VALU_DEP_1)
	v_cvt_f64_f32_e32 v[6:7], v6
	s_branch .LBB102_2133
.LBB102_2128:
	s_mov_b32 s19, -1
	s_branch .LBB102_2132
.LBB102_2129:
	s_or_saveexec_b32 s20, s20
	v_mov_b64_e32 v[6:7], 0x7ff8000020000000
	s_xor_b32 exec_lo, exec_lo, s20
	s_cbranch_execz .LBB102_2110
.LBB102_2130:
	v_cmp_ne_u16_e32 vcc_lo, 0, v9
	v_mov_b64_e32 v[6:7], 0
	s_and_not1_b32 s19, s19, exec_lo
	s_and_b32 s21, vcc_lo, exec_lo
	s_delay_alu instid0(SALU_CYCLE_1)
	s_or_b32 s19, s19, s21
	s_or_b32 exec_lo, exec_lo, s20
	s_and_saveexec_b32 s20, s19
	s_cbranch_execnz .LBB102_2111
	s_branch .LBB102_2112
.LBB102_2131:
	s_mov_b32 s5, -1
.LBB102_2132:
                                        ; implicit-def: $vgpr6_vgpr7
.LBB102_2133:
	s_and_b32 vcc_lo, exec_lo, s19
	s_mov_b32 s19, 0
	s_cbranch_vccz .LBB102_2135
; %bb.2134:
	s_cmp_lg_u32 s0, 11
	s_mov_b32 s19, -1
	s_cselect_b32 s5, -1, 0
.LBB102_2135:
	s_delay_alu instid0(SALU_CYCLE_1)
	s_and_b32 vcc_lo, exec_lo, s5
	s_cbranch_vccnz .LBB102_2219
; %bb.2136:
	s_and_not1_b32 vcc_lo, exec_lo, s19
	s_cbranch_vccnz .LBB102_2138
.LBB102_2137:
	global_load_u8 v6, v[12:13], off
	s_mov_b32 s20, -1
	s_wait_loadcnt 0x0
	v_cmp_ne_u16_e32 vcc_lo, 0, v6
	v_mov_b32_e32 v6, 0
	v_cndmask_b32_e64 v7, 0, 0x3ff00000, vcc_lo
.LBB102_2138:
	s_mov_b32 s5, 0
.LBB102_2139:
	s_delay_alu instid0(SALU_CYCLE_1)
	s_and_b32 vcc_lo, exec_lo, s5
	s_cbranch_vccz .LBB102_2188
; %bb.2140:
	s_cmp_lt_i32 s0, 5
	s_cbranch_scc1 .LBB102_2145
; %bb.2141:
	s_cmp_lt_i32 s0, 8
	s_cbranch_scc1 .LBB102_2146
	;; [unrolled: 3-line block ×3, first 2 shown]
; %bb.2143:
	s_cmp_gt_i32 s0, 9
	s_cbranch_scc0 .LBB102_2148
; %bb.2144:
	global_load_b64 v[6:7], v[12:13], off
	s_mov_b32 s5, 0
	s_branch .LBB102_2149
.LBB102_2145:
	s_mov_b32 s5, -1
                                        ; implicit-def: $vgpr6_vgpr7
	s_branch .LBB102_2167
.LBB102_2146:
	s_mov_b32 s5, -1
                                        ; implicit-def: $vgpr6_vgpr7
	s_branch .LBB102_2155
.LBB102_2147:
	s_mov_b32 s5, -1
                                        ; implicit-def: $vgpr6_vgpr7
	s_branch .LBB102_2152
.LBB102_2148:
	s_mov_b32 s5, -1
                                        ; implicit-def: $vgpr6_vgpr7
.LBB102_2149:
	s_delay_alu instid0(SALU_CYCLE_1)
	s_and_not1_b32 vcc_lo, exec_lo, s5
	s_cbranch_vccnz .LBB102_2151
; %bb.2150:
	s_wait_loadcnt 0x0
	global_load_b32 v6, v[12:13], off
	s_wait_loadcnt 0x0
	v_cvt_f64_f32_e32 v[6:7], v6
.LBB102_2151:
	s_mov_b32 s5, 0
.LBB102_2152:
	s_delay_alu instid0(SALU_CYCLE_1)
	s_and_not1_b32 vcc_lo, exec_lo, s5
	s_cbranch_vccnz .LBB102_2154
; %bb.2153:
	s_wait_loadcnt 0x0
	global_load_b32 v6, v[12:13], off
	s_wait_loadcnt 0x0
	v_cvt_f32_f16_e32 v6, v6
	s_delay_alu instid0(VALU_DEP_1)
	v_cvt_f64_f32_e32 v[6:7], v6
.LBB102_2154:
	s_mov_b32 s5, 0
.LBB102_2155:
	s_delay_alu instid0(SALU_CYCLE_1)
	s_and_not1_b32 vcc_lo, exec_lo, s5
	s_cbranch_vccnz .LBB102_2166
; %bb.2156:
	s_cmp_lt_i32 s0, 6
	s_cbranch_scc1 .LBB102_2159
; %bb.2157:
	s_cmp_gt_i32 s0, 6
	s_cbranch_scc0 .LBB102_2160
; %bb.2158:
	s_wait_loadcnt 0x0
	global_load_b64 v[6:7], v[12:13], off
	s_mov_b32 s5, 0
	s_branch .LBB102_2161
.LBB102_2159:
	s_mov_b32 s5, -1
                                        ; implicit-def: $vgpr6_vgpr7
	s_branch .LBB102_2164
.LBB102_2160:
	s_mov_b32 s5, -1
                                        ; implicit-def: $vgpr6_vgpr7
.LBB102_2161:
	s_delay_alu instid0(SALU_CYCLE_1)
	s_and_not1_b32 vcc_lo, exec_lo, s5
	s_cbranch_vccnz .LBB102_2163
; %bb.2162:
	s_wait_loadcnt 0x0
	global_load_b32 v6, v[12:13], off
	s_wait_loadcnt 0x0
	v_cvt_f64_f32_e32 v[6:7], v6
.LBB102_2163:
	s_mov_b32 s5, 0
.LBB102_2164:
	s_delay_alu instid0(SALU_CYCLE_1)
	s_and_not1_b32 vcc_lo, exec_lo, s5
	s_cbranch_vccnz .LBB102_2166
; %bb.2165:
	s_wait_loadcnt 0x0
	global_load_u16 v6, v[12:13], off
	s_wait_loadcnt 0x0
	v_cvt_f32_f16_e32 v6, v6
	s_delay_alu instid0(VALU_DEP_1)
	v_cvt_f64_f32_e32 v[6:7], v6
.LBB102_2166:
	s_mov_b32 s5, 0
.LBB102_2167:
	s_delay_alu instid0(SALU_CYCLE_1)
	s_and_not1_b32 vcc_lo, exec_lo, s5
	s_cbranch_vccnz .LBB102_2187
; %bb.2168:
	s_cmp_lt_i32 s0, 2
	s_cbranch_scc1 .LBB102_2172
; %bb.2169:
	s_cmp_lt_i32 s0, 3
	s_cbranch_scc1 .LBB102_2173
; %bb.2170:
	s_cmp_gt_i32 s0, 3
	s_cbranch_scc0 .LBB102_2174
; %bb.2171:
	s_wait_loadcnt 0x0
	global_load_b64 v[6:7], v[12:13], off
	s_mov_b32 s5, 0
	s_wait_loadcnt 0x0
	v_cvt_f64_i32_e32 v[14:15], v7
	v_cvt_f64_u32_e32 v[6:7], v6
	s_delay_alu instid0(VALU_DEP_2) | instskip(NEXT) | instid1(VALU_DEP_1)
	v_ldexp_f64 v[14:15], v[14:15], 32
	v_add_f64_e32 v[6:7], v[14:15], v[6:7]
	s_branch .LBB102_2175
.LBB102_2172:
	s_mov_b32 s5, -1
                                        ; implicit-def: $vgpr6_vgpr7
	s_branch .LBB102_2181
.LBB102_2173:
	s_mov_b32 s5, -1
                                        ; implicit-def: $vgpr6_vgpr7
	s_branch .LBB102_2178
.LBB102_2174:
	s_mov_b32 s5, -1
                                        ; implicit-def: $vgpr6_vgpr7
.LBB102_2175:
	s_delay_alu instid0(SALU_CYCLE_1)
	s_and_not1_b32 vcc_lo, exec_lo, s5
	s_cbranch_vccnz .LBB102_2177
; %bb.2176:
	s_wait_loadcnt 0x0
	global_load_b32 v6, v[12:13], off
	s_wait_loadcnt 0x0
	v_cvt_f64_i32_e32 v[6:7], v6
.LBB102_2177:
	s_mov_b32 s5, 0
.LBB102_2178:
	s_delay_alu instid0(SALU_CYCLE_1)
	s_and_not1_b32 vcc_lo, exec_lo, s5
	s_cbranch_vccnz .LBB102_2180
; %bb.2179:
	s_wait_loadcnt 0x0
	global_load_i16 v6, v[12:13], off
	s_wait_loadcnt 0x0
	v_cvt_f64_i32_e32 v[6:7], v6
.LBB102_2180:
	s_mov_b32 s5, 0
.LBB102_2181:
	s_delay_alu instid0(SALU_CYCLE_1)
	s_and_not1_b32 vcc_lo, exec_lo, s5
	s_cbranch_vccnz .LBB102_2187
; %bb.2182:
	s_cmp_gt_i32 s0, 0
	s_mov_b32 s5, 0
	s_cbranch_scc0 .LBB102_2184
; %bb.2183:
	s_wait_loadcnt 0x0
	global_load_i8 v6, v[12:13], off
	s_wait_loadcnt 0x0
	v_cvt_f64_i32_e32 v[6:7], v6
	s_branch .LBB102_2185
.LBB102_2184:
	s_mov_b32 s5, -1
                                        ; implicit-def: $vgpr6_vgpr7
.LBB102_2185:
	s_delay_alu instid0(SALU_CYCLE_1)
	s_and_not1_b32 vcc_lo, exec_lo, s5
	s_cbranch_vccnz .LBB102_2187
; %bb.2186:
	s_wait_loadcnt 0x0
	global_load_u8 v6, v[12:13], off
	s_wait_loadcnt 0x0
	v_cvt_f64_u32_e32 v[6:7], v6
.LBB102_2187:
	s_mov_b32 s20, -1
.LBB102_2188:
	s_delay_alu instid0(SALU_CYCLE_1)
	s_and_not1_b32 vcc_lo, exec_lo, s20
	s_cbranch_vccnz .LBB102_3190
; %bb.2189:
	s_cmp_lt_i32 s16, 23
	s_cbranch_scc1 .LBB102_2193
; %bb.2190:
	s_and_b32 s20, 0xffff, s16
	s_delay_alu instid0(SALU_CYCLE_1)
	s_cmp_gt_i32 s20, 43
	s_cbranch_scc0 .LBB102_2194
; %bb.2191:
	s_cmp_gt_i32 s20, 45
	s_cbranch_scc0 .LBB102_2195
; %bb.2192:
	s_cmp_lg_u32 s20, 46
	s_mov_b32 s21, 0
	s_mov_b32 s5, -1
	s_cselect_b32 s19, -1, 0
	s_branch .LBB102_2196
.LBB102_2193:
	s_mov_b32 s20, -1
	s_mov_b32 s5, 0
	s_mov_b32 s19, 0
	s_branch .LBB102_2202
.LBB102_2194:
	s_mov_b32 s21, -1
	s_mov_b32 s5, 0
	s_mov_b32 s19, 0
	s_branch .LBB102_2199
.LBB102_2195:
	s_mov_b32 s21, -1
	s_mov_b32 s5, 0
	s_mov_b32 s19, 0
.LBB102_2196:
	s_and_not1_b32 vcc_lo, exec_lo, s21
	s_cbranch_vccnz .LBB102_2198
; %bb.2197:
	s_cmp_eq_u32 s20, 44
	s_cselect_b32 s5, -1, 0
	s_cmp_lg_u32 s20, 44
	s_cselect_b32 s19, -1, 0
.LBB102_2198:
	s_mov_b32 s21, 0
.LBB102_2199:
	s_delay_alu instid0(SALU_CYCLE_1)
	s_and_b32 vcc_lo, exec_lo, s21
	s_cbranch_vccz .LBB102_2201
; %bb.2200:
	s_cmp_lt_i32 s20, 30
	s_cselect_b32 s5, -1, 0
	s_cmp_gt_i32 s20, 29
	s_cselect_b32 s19, -1, 0
.LBB102_2201:
	s_mov_b32 s20, 0
.LBB102_2202:
	s_delay_alu instid0(SALU_CYCLE_1)
	s_and_b32 vcc_lo, exec_lo, s20
	s_cbranch_vccz .LBB102_2207
; %bb.2203:
	s_and_b32 s20, 0xffff, s16
	s_mov_b32 s21, -1
	s_cmp_gt_i32 s20, 14
	s_cbranch_scc0 .LBB102_2205
; %bb.2204:
	s_cmp_eq_u32 s20, 15
	s_mov_b32 s21, 0
	s_cselect_b32 s5, -1, 0
	s_cmp_lg_u32 s20, 15
	s_cselect_b32 s19, -1, 0
.LBB102_2205:
	s_and_not1_b32 vcc_lo, exec_lo, s21
	s_cbranch_vccnz .LBB102_2207
; %bb.2206:
	s_cmp_lt_i32 s20, 12
	s_cselect_b32 s5, -1, 0
	s_cmp_gt_i32 s20, 11
	s_cselect_b32 s19, -1, 0
.LBB102_2207:
	s_delay_alu instid0(SALU_CYCLE_1)
	s_and_b32 vcc_lo, exec_lo, s19
	s_cbranch_vccnz .LBB102_2220
; %bb.2208:
	s_and_not1_b32 vcc_lo, exec_lo, s5
	s_cbranch_vccnz .LBB102_3190
.LBB102_2209:
	s_wait_xcnt 0x0
	v_add_nc_u32_e32 v12, s1, v8
	s_cmp_lt_i32 s14, 11
	s_delay_alu instid0(VALU_DEP_1) | instskip(NEXT) | instid1(VALU_DEP_1)
	v_ashrrev_i32_e32 v13, 31, v12
	v_add_nc_u64_e32 v[14:15], s[8:9], v[12:13]
	s_cbranch_scc1 .LBB102_2216
; %bb.2210:
	s_and_b32 s5, 0xffff, s14
	s_mov_b32 s20, 0
	s_cmp_gt_i32 s5, 25
	s_cbranch_scc0 .LBB102_2217
; %bb.2211:
	s_cmp_gt_i32 s5, 28
	s_cbranch_scc0 .LBB102_2218
; %bb.2212:
	;; [unrolled: 3-line block ×4, first 2 shown]
	s_cmp_eq_u32 s5, 46
	s_mov_b32 s22, 0
	s_cbranch_scc0 .LBB102_2225
; %bb.2215:
	global_load_b32 v8, v[14:15], off
	s_mov_b32 s19, 0
	s_mov_b32 s21, -1
	s_wait_loadcnt 0x0
	v_lshlrev_b32_e32 v8, 16, v8
	s_delay_alu instid0(VALU_DEP_1)
	v_cvt_f64_f32_e32 v[8:9], v8
	s_branch .LBB102_2227
.LBB102_2216:
	s_mov_b32 s5, -1
	s_mov_b32 s21, 0
                                        ; implicit-def: $vgpr8_vgpr9
	s_branch .LBB102_2293
.LBB102_2217:
	s_mov_b32 s22, -1
	s_mov_b32 s21, 0
	s_mov_b32 s19, 0
                                        ; implicit-def: $vgpr8_vgpr9
	s_branch .LBB102_2256
.LBB102_2218:
	s_mov_b32 s22, -1
	s_mov_b32 s21, 0
	s_mov_b32 s19, 0
                                        ; implicit-def: $vgpr8_vgpr9
	s_branch .LBB102_2237
.LBB102_2219:
	s_or_b32 s15, s15, exec_lo
	s_trap 2
	s_cbranch_execz .LBB102_2137
	s_branch .LBB102_2138
.LBB102_2220:
	s_or_b32 s15, s15, exec_lo
	s_trap 2
	s_cbranch_execz .LBB102_2209
	s_branch .LBB102_3190
.LBB102_2221:
	s_mov_b32 s22, -1
	s_mov_b32 s21, 0
	s_mov_b32 s19, 0
                                        ; implicit-def: $vgpr8_vgpr9
	s_branch .LBB102_2232
.LBB102_2222:
	s_and_not1_saveexec_b32 s38, s38
	s_cbranch_execz .LBB102_1143
.LBB102_2223:
	v_add_f32_e64 v3, 0x42800000, |v2|
	s_and_not1_b32 s37, s37, exec_lo
	s_delay_alu instid0(VALU_DEP_1) | instskip(NEXT) | instid1(VALU_DEP_1)
	v_and_b32_e32 v3, 0xff, v3
	v_cmp_ne_u32_e32 vcc_lo, 0, v3
	s_and_b32 s39, vcc_lo, exec_lo
	s_delay_alu instid0(SALU_CYCLE_1)
	s_or_b32 s37, s37, s39
	s_or_b32 exec_lo, exec_lo, s38
	v_mov_b32_e32 v6, 0
	s_and_saveexec_b32 s38, s37
	s_cbranch_execnz .LBB102_1144
	s_branch .LBB102_1145
.LBB102_2224:
	s_mov_b32 s22, -1
	s_mov_b32 s21, 0
	s_mov_b32 s19, 0
	s_branch .LBB102_2226
.LBB102_2225:
	s_mov_b32 s19, -1
	s_mov_b32 s21, 0
.LBB102_2226:
                                        ; implicit-def: $vgpr8_vgpr9
.LBB102_2227:
	s_and_b32 vcc_lo, exec_lo, s22
	s_cbranch_vccz .LBB102_2231
; %bb.2228:
	s_cmp_eq_u32 s5, 44
	s_cbranch_scc0 .LBB102_2230
; %bb.2229:
	global_load_u8 v11, v[14:15], off
	s_mov_b32 s19, 0
	s_mov_b32 s21, -1
	s_wait_loadcnt 0x0
	v_cmp_ne_u32_e32 vcc_lo, 0xff, v11
	v_lshlrev_b32_e32 v8, 23, v11
	s_delay_alu instid0(VALU_DEP_1) | instskip(NEXT) | instid1(VALU_DEP_1)
	v_cvt_f64_f32_e32 v[8:9], v8
	v_cndmask_b32_e32 v8, 0x20000000, v8, vcc_lo
	s_delay_alu instid0(VALU_DEP_2) | instskip(SKIP_1) | instid1(VALU_DEP_2)
	v_cndmask_b32_e32 v9, 0x7ff80000, v9, vcc_lo
	v_cmp_ne_u32_e32 vcc_lo, 0, v11
	v_cndmask_b32_e32 v9, 0x38000000, v9, vcc_lo
	s_delay_alu instid0(VALU_DEP_4)
	v_cndmask_b32_e32 v8, 0, v8, vcc_lo
	s_branch .LBB102_2231
.LBB102_2230:
	s_mov_b32 s19, -1
                                        ; implicit-def: $vgpr8_vgpr9
.LBB102_2231:
	s_mov_b32 s22, 0
.LBB102_2232:
	s_delay_alu instid0(SALU_CYCLE_1)
	s_and_b32 vcc_lo, exec_lo, s22
	s_cbranch_vccz .LBB102_2236
; %bb.2233:
	s_cmp_eq_u32 s5, 29
	s_cbranch_scc0 .LBB102_2235
; %bb.2234:
	global_load_b64 v[8:9], v[14:15], off
	s_mov_b32 s19, 0
	s_mov_b32 s21, -1
	s_mov_b32 s22, 0
	s_wait_loadcnt 0x0
	v_cvt_f64_u32_e32 v[16:17], v9
	v_cvt_f64_u32_e32 v[8:9], v8
	s_delay_alu instid0(VALU_DEP_2) | instskip(NEXT) | instid1(VALU_DEP_1)
	v_ldexp_f64 v[16:17], v[16:17], 32
	v_add_f64_e32 v[8:9], v[16:17], v[8:9]
	s_branch .LBB102_2237
.LBB102_2235:
	s_mov_b32 s19, -1
                                        ; implicit-def: $vgpr8_vgpr9
.LBB102_2236:
	s_mov_b32 s22, 0
.LBB102_2237:
	s_delay_alu instid0(SALU_CYCLE_1)
	s_and_b32 vcc_lo, exec_lo, s22
	s_cbranch_vccz .LBB102_2255
; %bb.2238:
	s_cmp_lt_i32 s5, 27
	s_cbranch_scc1 .LBB102_2241
; %bb.2239:
	s_cmp_gt_i32 s5, 27
	s_cbranch_scc0 .LBB102_2242
; %bb.2240:
	global_load_b32 v8, v[14:15], off
	s_mov_b32 s21, 0
	s_wait_loadcnt 0x0
	v_cvt_f64_u32_e32 v[8:9], v8
	s_branch .LBB102_2243
.LBB102_2241:
	s_mov_b32 s21, -1
                                        ; implicit-def: $vgpr8_vgpr9
	s_branch .LBB102_2246
.LBB102_2242:
	s_mov_b32 s21, -1
                                        ; implicit-def: $vgpr8_vgpr9
.LBB102_2243:
	s_delay_alu instid0(SALU_CYCLE_1)
	s_and_not1_b32 vcc_lo, exec_lo, s21
	s_cbranch_vccnz .LBB102_2245
; %bb.2244:
	global_load_u16 v8, v[14:15], off
	s_wait_loadcnt 0x0
	v_cvt_f64_u32_e32 v[8:9], v8
.LBB102_2245:
	s_mov_b32 s21, 0
.LBB102_2246:
	s_delay_alu instid0(SALU_CYCLE_1)
	s_and_not1_b32 vcc_lo, exec_lo, s21
	s_cbranch_vccnz .LBB102_2254
; %bb.2247:
	global_load_u8 v11, v[14:15], off
	s_mov_b32 s21, 0
	s_mov_b32 s22, exec_lo
	s_wait_loadcnt 0x0
	v_cmpx_lt_i16_e32 0x7f, v11
	s_xor_b32 s22, exec_lo, s22
	s_cbranch_execz .LBB102_2268
; %bb.2248:
	s_mov_b32 s21, -1
	s_mov_b32 s23, exec_lo
	v_cmpx_eq_u16_e32 0x80, v11
; %bb.2249:
	s_xor_b32 s21, exec_lo, -1
; %bb.2250:
	s_or_b32 exec_lo, exec_lo, s23
	s_delay_alu instid0(SALU_CYCLE_1)
	s_and_b32 s21, s21, exec_lo
	s_or_saveexec_b32 s22, s22
	v_mov_b64_e32 v[8:9], 0x7ff8000020000000
	s_xor_b32 exec_lo, exec_lo, s22
	s_cbranch_execnz .LBB102_2269
.LBB102_2251:
	s_or_b32 exec_lo, exec_lo, s22
	s_and_saveexec_b32 s22, s21
	s_cbranch_execz .LBB102_2253
.LBB102_2252:
	v_and_b32_e32 v8, 0xffff, v11
	s_delay_alu instid0(VALU_DEP_1) | instskip(SKIP_1) | instid1(VALU_DEP_2)
	v_and_b32_e32 v9, 7, v8
	v_bfe_u32 v17, v8, 3, 4
	v_clz_i32_u32_e32 v13, v9
	s_delay_alu instid0(VALU_DEP_2) | instskip(NEXT) | instid1(VALU_DEP_2)
	v_cmp_eq_u32_e32 vcc_lo, 0, v17
	v_min_u32_e32 v13, 32, v13
	s_delay_alu instid0(VALU_DEP_1) | instskip(NEXT) | instid1(VALU_DEP_1)
	v_subrev_nc_u32_e32 v16, 28, v13
	v_dual_lshlrev_b32 v8, v16, v8 :: v_dual_sub_nc_u32 v13, 29, v13
	s_delay_alu instid0(VALU_DEP_1) | instskip(NEXT) | instid1(VALU_DEP_2)
	v_dual_lshlrev_b32 v11, 24, v11 :: v_dual_bitop2_b32 v8, 7, v8 bitop3:0x40
	v_cndmask_b32_e32 v13, v17, v13, vcc_lo
	s_delay_alu instid0(VALU_DEP_2) | instskip(NEXT) | instid1(VALU_DEP_3)
	v_cndmask_b32_e32 v8, v9, v8, vcc_lo
	v_and_b32_e32 v9, 0x80000000, v11
	s_delay_alu instid0(VALU_DEP_3) | instskip(NEXT) | instid1(VALU_DEP_3)
	v_lshl_add_u32 v11, v13, 23, 0x3b800000
	v_lshlrev_b32_e32 v8, 20, v8
	s_delay_alu instid0(VALU_DEP_1) | instskip(NEXT) | instid1(VALU_DEP_1)
	v_or3_b32 v8, v9, v11, v8
	v_cvt_f64_f32_e32 v[8:9], v8
.LBB102_2253:
	s_or_b32 exec_lo, exec_lo, s22
.LBB102_2254:
	s_mov_b32 s21, -1
.LBB102_2255:
	s_mov_b32 s22, 0
.LBB102_2256:
	s_delay_alu instid0(SALU_CYCLE_1)
	s_and_b32 vcc_lo, exec_lo, s22
	s_cbranch_vccz .LBB102_2289
; %bb.2257:
	s_cmp_gt_i32 s5, 22
	s_cbranch_scc0 .LBB102_2267
; %bb.2258:
	s_cmp_lt_i32 s5, 24
	s_cbranch_scc1 .LBB102_2270
; %bb.2259:
	s_cmp_gt_i32 s5, 24
	s_cbranch_scc0 .LBB102_2271
; %bb.2260:
	global_load_u8 v11, v[14:15], off
	s_mov_b32 s21, exec_lo
	s_wait_loadcnt 0x0
	v_cmpx_lt_i16_e32 0x7f, v11
	s_xor_b32 s21, exec_lo, s21
	s_cbranch_execz .LBB102_2283
; %bb.2261:
	s_mov_b32 s20, -1
	s_mov_b32 s22, exec_lo
	v_cmpx_eq_u16_e32 0x80, v11
; %bb.2262:
	s_xor_b32 s20, exec_lo, -1
; %bb.2263:
	s_or_b32 exec_lo, exec_lo, s22
	s_delay_alu instid0(SALU_CYCLE_1)
	s_and_b32 s20, s20, exec_lo
	s_or_saveexec_b32 s21, s21
	v_mov_b64_e32 v[8:9], 0x7ff8000020000000
	s_xor_b32 exec_lo, exec_lo, s21
	s_cbranch_execnz .LBB102_2284
.LBB102_2264:
	s_or_b32 exec_lo, exec_lo, s21
	s_and_saveexec_b32 s21, s20
	s_cbranch_execz .LBB102_2266
.LBB102_2265:
	v_and_b32_e32 v8, 0xffff, v11
	s_delay_alu instid0(VALU_DEP_1) | instskip(SKIP_1) | instid1(VALU_DEP_2)
	v_and_b32_e32 v9, 3, v8
	v_bfe_u32 v17, v8, 2, 5
	v_clz_i32_u32_e32 v13, v9
	s_delay_alu instid0(VALU_DEP_2) | instskip(NEXT) | instid1(VALU_DEP_2)
	v_cmp_eq_u32_e32 vcc_lo, 0, v17
	v_min_u32_e32 v13, 32, v13
	s_delay_alu instid0(VALU_DEP_1) | instskip(NEXT) | instid1(VALU_DEP_1)
	v_subrev_nc_u32_e32 v16, 29, v13
	v_dual_lshlrev_b32 v8, v16, v8 :: v_dual_sub_nc_u32 v13, 30, v13
	s_delay_alu instid0(VALU_DEP_1) | instskip(NEXT) | instid1(VALU_DEP_2)
	v_dual_lshlrev_b32 v11, 24, v11 :: v_dual_bitop2_b32 v8, 3, v8 bitop3:0x40
	v_cndmask_b32_e32 v13, v17, v13, vcc_lo
	s_delay_alu instid0(VALU_DEP_2) | instskip(NEXT) | instid1(VALU_DEP_3)
	v_cndmask_b32_e32 v8, v9, v8, vcc_lo
	v_and_b32_e32 v9, 0x80000000, v11
	s_delay_alu instid0(VALU_DEP_3) | instskip(NEXT) | instid1(VALU_DEP_3)
	v_lshl_add_u32 v11, v13, 23, 0x37800000
	v_lshlrev_b32_e32 v8, 21, v8
	s_delay_alu instid0(VALU_DEP_1) | instskip(NEXT) | instid1(VALU_DEP_1)
	v_or3_b32 v8, v9, v11, v8
	v_cvt_f64_f32_e32 v[8:9], v8
.LBB102_2266:
	s_or_b32 exec_lo, exec_lo, s21
	s_mov_b32 s20, 0
	s_branch .LBB102_2272
.LBB102_2267:
	s_mov_b32 s20, -1
                                        ; implicit-def: $vgpr8_vgpr9
	s_branch .LBB102_2278
.LBB102_2268:
	s_or_saveexec_b32 s22, s22
	v_mov_b64_e32 v[8:9], 0x7ff8000020000000
	s_xor_b32 exec_lo, exec_lo, s22
	s_cbranch_execz .LBB102_2251
.LBB102_2269:
	v_cmp_ne_u16_e32 vcc_lo, 0, v11
	v_mov_b64_e32 v[8:9], 0
	s_and_not1_b32 s21, s21, exec_lo
	s_and_b32 s23, vcc_lo, exec_lo
	s_delay_alu instid0(SALU_CYCLE_1)
	s_or_b32 s21, s21, s23
	s_or_b32 exec_lo, exec_lo, s22
	s_and_saveexec_b32 s22, s21
	s_cbranch_execnz .LBB102_2252
	s_branch .LBB102_2253
.LBB102_2270:
	s_mov_b32 s20, -1
                                        ; implicit-def: $vgpr8_vgpr9
	s_branch .LBB102_2275
.LBB102_2271:
	s_mov_b32 s20, -1
                                        ; implicit-def: $vgpr8_vgpr9
.LBB102_2272:
	s_delay_alu instid0(SALU_CYCLE_1)
	s_and_b32 vcc_lo, exec_lo, s20
	s_cbranch_vccz .LBB102_2274
; %bb.2273:
	global_load_u8 v8, v[14:15], off
	s_wait_loadcnt 0x0
	v_lshlrev_b32_e32 v8, 24, v8
	s_delay_alu instid0(VALU_DEP_1) | instskip(NEXT) | instid1(VALU_DEP_1)
	v_and_b32_e32 v9, 0x7f000000, v8
	v_clz_i32_u32_e32 v11, v9
	v_cmp_ne_u32_e32 vcc_lo, 0, v9
	v_add_nc_u32_e32 v16, 0x1000000, v9
	s_delay_alu instid0(VALU_DEP_3) | instskip(NEXT) | instid1(VALU_DEP_1)
	v_min_u32_e32 v11, 32, v11
	v_sub_nc_u32_e64 v11, v11, 4 clamp
	s_delay_alu instid0(VALU_DEP_1) | instskip(NEXT) | instid1(VALU_DEP_1)
	v_dual_lshlrev_b32 v13, v11, v9 :: v_dual_lshlrev_b32 v11, 23, v11
	v_lshrrev_b32_e32 v13, 4, v13
	s_delay_alu instid0(VALU_DEP_1) | instskip(NEXT) | instid1(VALU_DEP_1)
	v_dual_sub_nc_u32 v11, v13, v11 :: v_dual_ashrrev_i32 v13, 8, v16
	v_add_nc_u32_e32 v11, 0x3c000000, v11
	s_delay_alu instid0(VALU_DEP_1) | instskip(NEXT) | instid1(VALU_DEP_1)
	v_and_or_b32 v11, 0x7f800000, v13, v11
	v_cndmask_b32_e32 v9, 0, v11, vcc_lo
	s_delay_alu instid0(VALU_DEP_1) | instskip(NEXT) | instid1(VALU_DEP_1)
	v_and_or_b32 v8, 0x80000000, v8, v9
	v_cvt_f64_f32_e32 v[8:9], v8
.LBB102_2274:
	s_mov_b32 s20, 0
.LBB102_2275:
	s_delay_alu instid0(SALU_CYCLE_1)
	s_and_not1_b32 vcc_lo, exec_lo, s20
	s_cbranch_vccnz .LBB102_2277
; %bb.2276:
	global_load_u8 v8, v[14:15], off
	s_wait_loadcnt 0x0
	v_lshlrev_b32_e32 v9, 25, v8
	v_lshlrev_b16 v8, 8, v8
	s_delay_alu instid0(VALU_DEP_1) | instskip(SKIP_1) | instid1(VALU_DEP_2)
	v_and_or_b32 v13, 0x7f00, v8, 0.5
	v_bfe_i32 v8, v8, 0, 16
	v_add_f32_e32 v13, -0.5, v13
	v_lshrrev_b32_e32 v11, 4, v9
	v_cmp_gt_u32_e32 vcc_lo, 0x8000000, v9
	s_delay_alu instid0(VALU_DEP_2) | instskip(NEXT) | instid1(VALU_DEP_1)
	v_or_b32_e32 v11, 0x70000000, v11
	v_mul_f32_e32 v11, 0x7800000, v11
	s_delay_alu instid0(VALU_DEP_1) | instskip(NEXT) | instid1(VALU_DEP_1)
	v_cndmask_b32_e32 v9, v11, v13, vcc_lo
	v_and_or_b32 v8, 0x80000000, v8, v9
	s_delay_alu instid0(VALU_DEP_1)
	v_cvt_f64_f32_e32 v[8:9], v8
.LBB102_2277:
	s_mov_b32 s20, 0
	s_mov_b32 s21, -1
.LBB102_2278:
	s_and_not1_b32 vcc_lo, exec_lo, s20
	s_mov_b32 s20, 0
	s_cbranch_vccnz .LBB102_2289
; %bb.2279:
	s_cmp_gt_i32 s5, 14
	s_cbranch_scc0 .LBB102_2282
; %bb.2280:
	s_cmp_eq_u32 s5, 15
	s_cbranch_scc0 .LBB102_2285
; %bb.2281:
	global_load_u16 v8, v[14:15], off
	s_mov_b32 s19, 0
	s_mov_b32 s21, -1
	s_wait_loadcnt 0x0
	v_lshlrev_b32_e32 v8, 16, v8
	s_delay_alu instid0(VALU_DEP_1)
	v_cvt_f64_f32_e32 v[8:9], v8
	s_branch .LBB102_2287
.LBB102_2282:
	s_mov_b32 s20, -1
	s_branch .LBB102_2286
.LBB102_2283:
	s_or_saveexec_b32 s21, s21
	v_mov_b64_e32 v[8:9], 0x7ff8000020000000
	s_xor_b32 exec_lo, exec_lo, s21
	s_cbranch_execz .LBB102_2264
.LBB102_2284:
	v_cmp_ne_u16_e32 vcc_lo, 0, v11
	v_mov_b64_e32 v[8:9], 0
	s_and_not1_b32 s20, s20, exec_lo
	s_and_b32 s22, vcc_lo, exec_lo
	s_delay_alu instid0(SALU_CYCLE_1)
	s_or_b32 s20, s20, s22
	s_or_b32 exec_lo, exec_lo, s21
	s_and_saveexec_b32 s21, s20
	s_cbranch_execnz .LBB102_2265
	s_branch .LBB102_2266
.LBB102_2285:
	s_mov_b32 s19, -1
.LBB102_2286:
                                        ; implicit-def: $vgpr8_vgpr9
.LBB102_2287:
	s_and_b32 vcc_lo, exec_lo, s20
	s_mov_b32 s20, 0
	s_cbranch_vccz .LBB102_2289
; %bb.2288:
	s_cmp_lg_u32 s5, 11
	s_mov_b32 s20, -1
	s_cselect_b32 s19, -1, 0
.LBB102_2289:
	s_delay_alu instid0(SALU_CYCLE_1)
	s_and_b32 vcc_lo, exec_lo, s19
	s_cbranch_vccnz .LBB102_2354
; %bb.2290:
	s_and_not1_b32 vcc_lo, exec_lo, s20
	s_cbranch_vccnz .LBB102_2292
.LBB102_2291:
	global_load_u8 v8, v[14:15], off
	s_mov_b32 s21, -1
	s_wait_loadcnt 0x0
	v_cmp_ne_u16_e32 vcc_lo, 0, v8
	v_mov_b32_e32 v8, 0
	v_cndmask_b32_e64 v9, 0, 0x3ff00000, vcc_lo
.LBB102_2292:
	s_mov_b32 s5, 0
.LBB102_2293:
	s_delay_alu instid0(SALU_CYCLE_1)
	s_and_b32 vcc_lo, exec_lo, s5
	s_cbranch_vccz .LBB102_2342
; %bb.2294:
	s_and_b32 s5, 0xffff, s14
	s_delay_alu instid0(SALU_CYCLE_1)
	s_cmp_lt_i32 s5, 5
	s_cbranch_scc1 .LBB102_2299
; %bb.2295:
	s_cmp_lt_i32 s5, 8
	s_cbranch_scc1 .LBB102_2300
; %bb.2296:
	s_cmp_lt_i32 s5, 9
	s_cbranch_scc1 .LBB102_2301
; %bb.2297:
	s_cmp_gt_i32 s5, 9
	s_cbranch_scc0 .LBB102_2302
; %bb.2298:
	global_load_b64 v[8:9], v[14:15], off
	s_mov_b32 s19, 0
	s_branch .LBB102_2303
.LBB102_2299:
	s_mov_b32 s19, -1
                                        ; implicit-def: $vgpr8_vgpr9
	s_branch .LBB102_2321
.LBB102_2300:
	s_mov_b32 s19, -1
                                        ; implicit-def: $vgpr8_vgpr9
	s_branch .LBB102_2309
.LBB102_2301:
	s_mov_b32 s19, -1
                                        ; implicit-def: $vgpr8_vgpr9
	s_branch .LBB102_2306
.LBB102_2302:
	s_mov_b32 s19, -1
                                        ; implicit-def: $vgpr8_vgpr9
.LBB102_2303:
	s_delay_alu instid0(SALU_CYCLE_1)
	s_and_not1_b32 vcc_lo, exec_lo, s19
	s_cbranch_vccnz .LBB102_2305
; %bb.2304:
	s_wait_loadcnt 0x0
	global_load_b32 v8, v[14:15], off
	s_wait_loadcnt 0x0
	v_cvt_f64_f32_e32 v[8:9], v8
.LBB102_2305:
	s_mov_b32 s19, 0
.LBB102_2306:
	s_delay_alu instid0(SALU_CYCLE_1)
	s_and_not1_b32 vcc_lo, exec_lo, s19
	s_cbranch_vccnz .LBB102_2308
; %bb.2307:
	s_wait_loadcnt 0x0
	global_load_b32 v8, v[14:15], off
	s_wait_loadcnt 0x0
	v_cvt_f32_f16_e32 v8, v8
	s_delay_alu instid0(VALU_DEP_1)
	v_cvt_f64_f32_e32 v[8:9], v8
.LBB102_2308:
	s_mov_b32 s19, 0
.LBB102_2309:
	s_delay_alu instid0(SALU_CYCLE_1)
	s_and_not1_b32 vcc_lo, exec_lo, s19
	s_cbranch_vccnz .LBB102_2320
; %bb.2310:
	s_cmp_lt_i32 s5, 6
	s_cbranch_scc1 .LBB102_2313
; %bb.2311:
	s_cmp_gt_i32 s5, 6
	s_cbranch_scc0 .LBB102_2314
; %bb.2312:
	s_wait_loadcnt 0x0
	global_load_b64 v[8:9], v[14:15], off
	s_mov_b32 s19, 0
	s_branch .LBB102_2315
.LBB102_2313:
	s_mov_b32 s19, -1
                                        ; implicit-def: $vgpr8_vgpr9
	s_branch .LBB102_2318
.LBB102_2314:
	s_mov_b32 s19, -1
                                        ; implicit-def: $vgpr8_vgpr9
.LBB102_2315:
	s_delay_alu instid0(SALU_CYCLE_1)
	s_and_not1_b32 vcc_lo, exec_lo, s19
	s_cbranch_vccnz .LBB102_2317
; %bb.2316:
	s_wait_loadcnt 0x0
	global_load_b32 v8, v[14:15], off
	s_wait_loadcnt 0x0
	v_cvt_f64_f32_e32 v[8:9], v8
.LBB102_2317:
	s_mov_b32 s19, 0
.LBB102_2318:
	s_delay_alu instid0(SALU_CYCLE_1)
	s_and_not1_b32 vcc_lo, exec_lo, s19
	s_cbranch_vccnz .LBB102_2320
; %bb.2319:
	s_wait_loadcnt 0x0
	global_load_u16 v8, v[14:15], off
	s_wait_loadcnt 0x0
	v_cvt_f32_f16_e32 v8, v8
	s_delay_alu instid0(VALU_DEP_1)
	v_cvt_f64_f32_e32 v[8:9], v8
.LBB102_2320:
	s_mov_b32 s19, 0
.LBB102_2321:
	s_delay_alu instid0(SALU_CYCLE_1)
	s_and_not1_b32 vcc_lo, exec_lo, s19
	s_cbranch_vccnz .LBB102_2341
; %bb.2322:
	s_cmp_lt_i32 s5, 2
	s_cbranch_scc1 .LBB102_2326
; %bb.2323:
	s_cmp_lt_i32 s5, 3
	s_cbranch_scc1 .LBB102_2327
; %bb.2324:
	s_cmp_gt_i32 s5, 3
	s_cbranch_scc0 .LBB102_2328
; %bb.2325:
	s_wait_loadcnt 0x0
	global_load_b64 v[8:9], v[14:15], off
	s_mov_b32 s19, 0
	s_wait_loadcnt 0x0
	v_cvt_f64_i32_e32 v[16:17], v9
	v_cvt_f64_u32_e32 v[8:9], v8
	s_delay_alu instid0(VALU_DEP_2) | instskip(NEXT) | instid1(VALU_DEP_1)
	v_ldexp_f64 v[16:17], v[16:17], 32
	v_add_f64_e32 v[8:9], v[16:17], v[8:9]
	s_branch .LBB102_2329
.LBB102_2326:
	s_mov_b32 s19, -1
                                        ; implicit-def: $vgpr8_vgpr9
	s_branch .LBB102_2335
.LBB102_2327:
	s_mov_b32 s19, -1
                                        ; implicit-def: $vgpr8_vgpr9
	s_branch .LBB102_2332
.LBB102_2328:
	s_mov_b32 s19, -1
                                        ; implicit-def: $vgpr8_vgpr9
.LBB102_2329:
	s_delay_alu instid0(SALU_CYCLE_1)
	s_and_not1_b32 vcc_lo, exec_lo, s19
	s_cbranch_vccnz .LBB102_2331
; %bb.2330:
	s_wait_loadcnt 0x0
	global_load_b32 v8, v[14:15], off
	s_wait_loadcnt 0x0
	v_cvt_f64_i32_e32 v[8:9], v8
.LBB102_2331:
	s_mov_b32 s19, 0
.LBB102_2332:
	s_delay_alu instid0(SALU_CYCLE_1)
	s_and_not1_b32 vcc_lo, exec_lo, s19
	s_cbranch_vccnz .LBB102_2334
; %bb.2333:
	s_wait_loadcnt 0x0
	global_load_i16 v8, v[14:15], off
	s_wait_loadcnt 0x0
	v_cvt_f64_i32_e32 v[8:9], v8
.LBB102_2334:
	s_mov_b32 s19, 0
.LBB102_2335:
	s_delay_alu instid0(SALU_CYCLE_1)
	s_and_not1_b32 vcc_lo, exec_lo, s19
	s_cbranch_vccnz .LBB102_2341
; %bb.2336:
	s_cmp_gt_i32 s5, 0
	s_mov_b32 s5, 0
	s_cbranch_scc0 .LBB102_2338
; %bb.2337:
	s_wait_loadcnt 0x0
	global_load_i8 v8, v[14:15], off
	s_wait_loadcnt 0x0
	v_cvt_f64_i32_e32 v[8:9], v8
	s_branch .LBB102_2339
.LBB102_2338:
	s_mov_b32 s5, -1
                                        ; implicit-def: $vgpr8_vgpr9
.LBB102_2339:
	s_delay_alu instid0(SALU_CYCLE_1)
	s_and_not1_b32 vcc_lo, exec_lo, s5
	s_cbranch_vccnz .LBB102_2341
; %bb.2340:
	s_wait_loadcnt 0x0
	global_load_u8 v8, v[14:15], off
	s_wait_loadcnt 0x0
	v_cvt_f64_u32_e32 v[8:9], v8
.LBB102_2341:
	s_mov_b32 s21, -1
.LBB102_2342:
	s_delay_alu instid0(SALU_CYCLE_1)
	s_and_not1_b32 vcc_lo, exec_lo, s21
	s_cbranch_vccnz .LBB102_3190
; %bb.2343:
	s_wait_xcnt 0x0
	v_add_nc_u32_e32 v14, s4, v10
	s_cmp_lt_i32 s0, 11
	s_delay_alu instid0(VALU_DEP_1) | instskip(NEXT) | instid1(VALU_DEP_1)
	v_ashrrev_i32_e32 v15, 31, v14
	v_add_nc_u64_e32 v[16:17], s[10:11], v[14:15]
	s_cbranch_scc1 .LBB102_2350
; %bb.2344:
	s_cmp_gt_i32 s0, 25
	s_mov_b32 s19, 0
	s_cbranch_scc0 .LBB102_2351
; %bb.2345:
	s_cmp_gt_i32 s0, 28
	s_cbranch_scc0 .LBB102_2352
; %bb.2346:
	s_cmp_gt_i32 s0, 43
	s_cbranch_scc0 .LBB102_2353
; %bb.2347:
	s_cmp_gt_i32 s0, 45
	s_cbranch_scc0 .LBB102_2355
; %bb.2348:
	s_cmp_eq_u32 s0, 46
	s_mov_b32 s21, 0
	s_cbranch_scc0 .LBB102_2356
; %bb.2349:
	global_load_b32 v10, v[16:17], off
	s_mov_b32 s5, 0
	s_mov_b32 s20, -1
	s_wait_loadcnt 0x0
	v_lshlrev_b32_e32 v10, 16, v10
	s_delay_alu instid0(VALU_DEP_1)
	v_cvt_f64_f32_e32 v[10:11], v10
	s_branch .LBB102_2358
.LBB102_2350:
	s_mov_b32 s5, -1
	s_mov_b32 s20, 0
                                        ; implicit-def: $vgpr10_vgpr11
	s_branch .LBB102_2424
.LBB102_2351:
	s_mov_b32 s21, -1
	s_mov_b32 s20, 0
	s_mov_b32 s5, 0
                                        ; implicit-def: $vgpr10_vgpr11
	s_branch .LBB102_2387
.LBB102_2352:
	s_mov_b32 s21, -1
	s_mov_b32 s20, 0
	s_mov_b32 s5, 0
                                        ; implicit-def: $vgpr10_vgpr11
	s_branch .LBB102_2368
.LBB102_2353:
	s_mov_b32 s21, -1
	s_mov_b32 s20, 0
	s_mov_b32 s5, 0
                                        ; implicit-def: $vgpr10_vgpr11
	s_branch .LBB102_2363
.LBB102_2354:
	s_or_b32 s15, s15, exec_lo
	s_trap 2
	s_cbranch_execz .LBB102_2291
	s_branch .LBB102_2292
.LBB102_2355:
	s_mov_b32 s21, -1
	s_mov_b32 s20, 0
	s_mov_b32 s5, 0
	s_branch .LBB102_2357
.LBB102_2356:
	s_mov_b32 s5, -1
	s_mov_b32 s20, 0
.LBB102_2357:
                                        ; implicit-def: $vgpr10_vgpr11
.LBB102_2358:
	s_and_b32 vcc_lo, exec_lo, s21
	s_cbranch_vccz .LBB102_2362
; %bb.2359:
	s_cmp_eq_u32 s0, 44
	s_cbranch_scc0 .LBB102_2361
; %bb.2360:
	global_load_u8 v13, v[16:17], off
	s_mov_b32 s5, 0
	s_mov_b32 s20, -1
	s_wait_loadcnt 0x0
	v_cmp_ne_u32_e32 vcc_lo, 0xff, v13
	v_lshlrev_b32_e32 v10, 23, v13
	s_delay_alu instid0(VALU_DEP_1) | instskip(NEXT) | instid1(VALU_DEP_1)
	v_cvt_f64_f32_e32 v[10:11], v10
	v_cndmask_b32_e32 v10, 0x20000000, v10, vcc_lo
	s_delay_alu instid0(VALU_DEP_2) | instskip(SKIP_1) | instid1(VALU_DEP_2)
	v_cndmask_b32_e32 v11, 0x7ff80000, v11, vcc_lo
	v_cmp_ne_u32_e32 vcc_lo, 0, v13
	v_cndmask_b32_e32 v11, 0x38000000, v11, vcc_lo
	s_delay_alu instid0(VALU_DEP_4)
	v_cndmask_b32_e32 v10, 0, v10, vcc_lo
	s_branch .LBB102_2362
.LBB102_2361:
	s_mov_b32 s5, -1
                                        ; implicit-def: $vgpr10_vgpr11
.LBB102_2362:
	s_mov_b32 s21, 0
.LBB102_2363:
	s_delay_alu instid0(SALU_CYCLE_1)
	s_and_b32 vcc_lo, exec_lo, s21
	s_cbranch_vccz .LBB102_2367
; %bb.2364:
	s_cmp_eq_u32 s0, 29
	s_cbranch_scc0 .LBB102_2366
; %bb.2365:
	global_load_b64 v[10:11], v[16:17], off
	s_mov_b32 s5, 0
	s_mov_b32 s20, -1
	s_mov_b32 s21, 0
	s_wait_loadcnt 0x0
	v_cvt_f64_u32_e32 v[20:21], v11
	v_cvt_f64_u32_e32 v[10:11], v10
	s_delay_alu instid0(VALU_DEP_2) | instskip(NEXT) | instid1(VALU_DEP_1)
	v_ldexp_f64 v[20:21], v[20:21], 32
	v_add_f64_e32 v[10:11], v[20:21], v[10:11]
	s_branch .LBB102_2368
.LBB102_2366:
	s_mov_b32 s5, -1
                                        ; implicit-def: $vgpr10_vgpr11
.LBB102_2367:
	s_mov_b32 s21, 0
.LBB102_2368:
	s_delay_alu instid0(SALU_CYCLE_1)
	s_and_b32 vcc_lo, exec_lo, s21
	s_cbranch_vccz .LBB102_2386
; %bb.2369:
	s_cmp_lt_i32 s0, 27
	s_cbranch_scc1 .LBB102_2372
; %bb.2370:
	s_cmp_gt_i32 s0, 27
	s_cbranch_scc0 .LBB102_2373
; %bb.2371:
	global_load_b32 v10, v[16:17], off
	s_mov_b32 s20, 0
	s_wait_loadcnt 0x0
	v_cvt_f64_u32_e32 v[10:11], v10
	s_branch .LBB102_2374
.LBB102_2372:
	s_mov_b32 s20, -1
                                        ; implicit-def: $vgpr10_vgpr11
	s_branch .LBB102_2377
.LBB102_2373:
	s_mov_b32 s20, -1
                                        ; implicit-def: $vgpr10_vgpr11
.LBB102_2374:
	s_delay_alu instid0(SALU_CYCLE_1)
	s_and_not1_b32 vcc_lo, exec_lo, s20
	s_cbranch_vccnz .LBB102_2376
; %bb.2375:
	global_load_u16 v10, v[16:17], off
	s_wait_loadcnt 0x0
	v_cvt_f64_u32_e32 v[10:11], v10
.LBB102_2376:
	s_mov_b32 s20, 0
.LBB102_2377:
	s_delay_alu instid0(SALU_CYCLE_1)
	s_and_not1_b32 vcc_lo, exec_lo, s20
	s_cbranch_vccnz .LBB102_2385
; %bb.2378:
	global_load_u8 v13, v[16:17], off
	s_mov_b32 s20, 0
	s_mov_b32 s21, exec_lo
	s_wait_loadcnt 0x0
	v_cmpx_lt_i16_e32 0x7f, v13
	s_xor_b32 s21, exec_lo, s21
	s_cbranch_execz .LBB102_2399
; %bb.2379:
	s_mov_b32 s20, -1
	s_mov_b32 s22, exec_lo
	v_cmpx_eq_u16_e32 0x80, v13
; %bb.2380:
	s_xor_b32 s20, exec_lo, -1
; %bb.2381:
	s_or_b32 exec_lo, exec_lo, s22
	s_delay_alu instid0(SALU_CYCLE_1)
	s_and_b32 s20, s20, exec_lo
	s_or_saveexec_b32 s21, s21
	v_mov_b64_e32 v[10:11], 0x7ff8000020000000
	s_xor_b32 exec_lo, exec_lo, s21
	s_cbranch_execnz .LBB102_2400
.LBB102_2382:
	s_or_b32 exec_lo, exec_lo, s21
	s_and_saveexec_b32 s21, s20
	s_cbranch_execz .LBB102_2384
.LBB102_2383:
	v_and_b32_e32 v10, 0xffff, v13
	s_delay_alu instid0(VALU_DEP_1) | instskip(SKIP_1) | instid1(VALU_DEP_2)
	v_and_b32_e32 v11, 7, v10
	v_bfe_u32 v20, v10, 3, 4
	v_clz_i32_u32_e32 v15, v11
	s_delay_alu instid0(VALU_DEP_2) | instskip(NEXT) | instid1(VALU_DEP_2)
	v_cmp_eq_u32_e32 vcc_lo, 0, v20
	v_min_u32_e32 v15, 32, v15
	s_delay_alu instid0(VALU_DEP_1) | instskip(NEXT) | instid1(VALU_DEP_1)
	v_subrev_nc_u32_e32 v19, 28, v15
	v_dual_lshlrev_b32 v10, v19, v10 :: v_dual_sub_nc_u32 v15, 29, v15
	s_delay_alu instid0(VALU_DEP_1) | instskip(NEXT) | instid1(VALU_DEP_1)
	v_dual_lshlrev_b32 v13, 24, v13 :: v_dual_bitop2_b32 v10, 7, v10 bitop3:0x40
	v_dual_cndmask_b32 v15, v20, v15 :: v_dual_cndmask_b32 v10, v11, v10
	s_delay_alu instid0(VALU_DEP_2) | instskip(NEXT) | instid1(VALU_DEP_2)
	v_and_b32_e32 v11, 0x80000000, v13
	v_lshl_add_u32 v13, v15, 23, 0x3b800000
	s_delay_alu instid0(VALU_DEP_3) | instskip(NEXT) | instid1(VALU_DEP_1)
	v_lshlrev_b32_e32 v10, 20, v10
	v_or3_b32 v10, v11, v13, v10
	s_delay_alu instid0(VALU_DEP_1)
	v_cvt_f64_f32_e32 v[10:11], v10
.LBB102_2384:
	s_or_b32 exec_lo, exec_lo, s21
.LBB102_2385:
	s_mov_b32 s20, -1
.LBB102_2386:
	s_mov_b32 s21, 0
.LBB102_2387:
	s_delay_alu instid0(SALU_CYCLE_1)
	s_and_b32 vcc_lo, exec_lo, s21
	s_cbranch_vccz .LBB102_2420
; %bb.2388:
	s_cmp_gt_i32 s0, 22
	s_cbranch_scc0 .LBB102_2398
; %bb.2389:
	s_cmp_lt_i32 s0, 24
	s_cbranch_scc1 .LBB102_2401
; %bb.2390:
	s_cmp_gt_i32 s0, 24
	s_cbranch_scc0 .LBB102_2402
; %bb.2391:
	global_load_u8 v13, v[16:17], off
	s_mov_b32 s20, exec_lo
	s_wait_loadcnt 0x0
	v_cmpx_lt_i16_e32 0x7f, v13
	s_xor_b32 s20, exec_lo, s20
	s_cbranch_execz .LBB102_2414
; %bb.2392:
	s_mov_b32 s19, -1
	s_mov_b32 s21, exec_lo
	v_cmpx_eq_u16_e32 0x80, v13
; %bb.2393:
	s_xor_b32 s19, exec_lo, -1
; %bb.2394:
	s_or_b32 exec_lo, exec_lo, s21
	s_delay_alu instid0(SALU_CYCLE_1)
	s_and_b32 s19, s19, exec_lo
	s_or_saveexec_b32 s20, s20
	v_mov_b64_e32 v[10:11], 0x7ff8000020000000
	s_xor_b32 exec_lo, exec_lo, s20
	s_cbranch_execnz .LBB102_2415
.LBB102_2395:
	s_or_b32 exec_lo, exec_lo, s20
	s_and_saveexec_b32 s20, s19
	s_cbranch_execz .LBB102_2397
.LBB102_2396:
	v_and_b32_e32 v10, 0xffff, v13
	s_delay_alu instid0(VALU_DEP_1) | instskip(SKIP_1) | instid1(VALU_DEP_2)
	v_and_b32_e32 v11, 3, v10
	v_bfe_u32 v20, v10, 2, 5
	v_clz_i32_u32_e32 v15, v11
	s_delay_alu instid0(VALU_DEP_2) | instskip(NEXT) | instid1(VALU_DEP_2)
	v_cmp_eq_u32_e32 vcc_lo, 0, v20
	v_min_u32_e32 v15, 32, v15
	s_delay_alu instid0(VALU_DEP_1) | instskip(NEXT) | instid1(VALU_DEP_1)
	v_subrev_nc_u32_e32 v19, 29, v15
	v_dual_lshlrev_b32 v10, v19, v10 :: v_dual_sub_nc_u32 v15, 30, v15
	s_delay_alu instid0(VALU_DEP_1) | instskip(NEXT) | instid1(VALU_DEP_1)
	v_dual_lshlrev_b32 v13, 24, v13 :: v_dual_bitop2_b32 v10, 3, v10 bitop3:0x40
	v_dual_cndmask_b32 v15, v20, v15 :: v_dual_cndmask_b32 v10, v11, v10
	s_delay_alu instid0(VALU_DEP_2) | instskip(NEXT) | instid1(VALU_DEP_2)
	v_and_b32_e32 v11, 0x80000000, v13
	v_lshl_add_u32 v13, v15, 23, 0x37800000
	s_delay_alu instid0(VALU_DEP_3) | instskip(NEXT) | instid1(VALU_DEP_1)
	v_lshlrev_b32_e32 v10, 21, v10
	v_or3_b32 v10, v11, v13, v10
	s_delay_alu instid0(VALU_DEP_1)
	v_cvt_f64_f32_e32 v[10:11], v10
.LBB102_2397:
	s_or_b32 exec_lo, exec_lo, s20
	s_mov_b32 s19, 0
	s_branch .LBB102_2403
.LBB102_2398:
	s_mov_b32 s19, -1
                                        ; implicit-def: $vgpr10_vgpr11
	s_branch .LBB102_2409
.LBB102_2399:
	s_or_saveexec_b32 s21, s21
	v_mov_b64_e32 v[10:11], 0x7ff8000020000000
	s_xor_b32 exec_lo, exec_lo, s21
	s_cbranch_execz .LBB102_2382
.LBB102_2400:
	v_cmp_ne_u16_e32 vcc_lo, 0, v13
	v_mov_b64_e32 v[10:11], 0
	s_and_not1_b32 s20, s20, exec_lo
	s_and_b32 s22, vcc_lo, exec_lo
	s_delay_alu instid0(SALU_CYCLE_1)
	s_or_b32 s20, s20, s22
	s_or_b32 exec_lo, exec_lo, s21
	s_and_saveexec_b32 s21, s20
	s_cbranch_execnz .LBB102_2383
	s_branch .LBB102_2384
.LBB102_2401:
	s_mov_b32 s19, -1
                                        ; implicit-def: $vgpr10_vgpr11
	s_branch .LBB102_2406
.LBB102_2402:
	s_mov_b32 s19, -1
                                        ; implicit-def: $vgpr10_vgpr11
.LBB102_2403:
	s_delay_alu instid0(SALU_CYCLE_1)
	s_and_b32 vcc_lo, exec_lo, s19
	s_cbranch_vccz .LBB102_2405
; %bb.2404:
	global_load_u8 v10, v[16:17], off
	s_wait_loadcnt 0x0
	v_lshlrev_b32_e32 v10, 24, v10
	s_delay_alu instid0(VALU_DEP_1) | instskip(NEXT) | instid1(VALU_DEP_1)
	v_and_b32_e32 v11, 0x7f000000, v10
	v_clz_i32_u32_e32 v13, v11
	v_add_nc_u32_e32 v19, 0x1000000, v11
	v_cmp_ne_u32_e32 vcc_lo, 0, v11
	s_delay_alu instid0(VALU_DEP_3) | instskip(NEXT) | instid1(VALU_DEP_1)
	v_min_u32_e32 v13, 32, v13
	v_sub_nc_u32_e64 v13, v13, 4 clamp
	s_delay_alu instid0(VALU_DEP_1) | instskip(NEXT) | instid1(VALU_DEP_1)
	v_dual_lshlrev_b32 v15, v13, v11 :: v_dual_lshlrev_b32 v13, 23, v13
	v_lshrrev_b32_e32 v15, 4, v15
	s_delay_alu instid0(VALU_DEP_1) | instskip(NEXT) | instid1(VALU_DEP_1)
	v_dual_sub_nc_u32 v13, v15, v13 :: v_dual_ashrrev_i32 v15, 8, v19
	v_add_nc_u32_e32 v13, 0x3c000000, v13
	s_delay_alu instid0(VALU_DEP_1) | instskip(NEXT) | instid1(VALU_DEP_1)
	v_and_or_b32 v13, 0x7f800000, v15, v13
	v_cndmask_b32_e32 v11, 0, v13, vcc_lo
	s_delay_alu instid0(VALU_DEP_1) | instskip(NEXT) | instid1(VALU_DEP_1)
	v_and_or_b32 v10, 0x80000000, v10, v11
	v_cvt_f64_f32_e32 v[10:11], v10
.LBB102_2405:
	s_mov_b32 s19, 0
.LBB102_2406:
	s_delay_alu instid0(SALU_CYCLE_1)
	s_and_not1_b32 vcc_lo, exec_lo, s19
	s_cbranch_vccnz .LBB102_2408
; %bb.2407:
	global_load_u8 v10, v[16:17], off
	s_wait_loadcnt 0x0
	v_lshlrev_b32_e32 v11, 25, v10
	v_lshlrev_b16 v10, 8, v10
	s_delay_alu instid0(VALU_DEP_1) | instskip(SKIP_1) | instid1(VALU_DEP_2)
	v_and_or_b32 v15, 0x7f00, v10, 0.5
	v_bfe_i32 v10, v10, 0, 16
	v_add_f32_e32 v15, -0.5, v15
	v_lshrrev_b32_e32 v13, 4, v11
	v_cmp_gt_u32_e32 vcc_lo, 0x8000000, v11
	s_delay_alu instid0(VALU_DEP_2) | instskip(NEXT) | instid1(VALU_DEP_1)
	v_or_b32_e32 v13, 0x70000000, v13
	v_mul_f32_e32 v13, 0x7800000, v13
	s_delay_alu instid0(VALU_DEP_1) | instskip(NEXT) | instid1(VALU_DEP_1)
	v_cndmask_b32_e32 v11, v13, v15, vcc_lo
	v_and_or_b32 v10, 0x80000000, v10, v11
	s_delay_alu instid0(VALU_DEP_1)
	v_cvt_f64_f32_e32 v[10:11], v10
.LBB102_2408:
	s_mov_b32 s19, 0
	s_mov_b32 s20, -1
.LBB102_2409:
	s_and_not1_b32 vcc_lo, exec_lo, s19
	s_mov_b32 s19, 0
	s_cbranch_vccnz .LBB102_2420
; %bb.2410:
	s_cmp_gt_i32 s0, 14
	s_cbranch_scc0 .LBB102_2413
; %bb.2411:
	s_cmp_eq_u32 s0, 15
	s_cbranch_scc0 .LBB102_2416
; %bb.2412:
	global_load_u16 v10, v[16:17], off
	s_mov_b32 s5, 0
	s_mov_b32 s20, -1
	s_wait_loadcnt 0x0
	v_lshlrev_b32_e32 v10, 16, v10
	s_delay_alu instid0(VALU_DEP_1)
	v_cvt_f64_f32_e32 v[10:11], v10
	s_branch .LBB102_2418
.LBB102_2413:
	s_mov_b32 s19, -1
	s_branch .LBB102_2417
.LBB102_2414:
	s_or_saveexec_b32 s20, s20
	v_mov_b64_e32 v[10:11], 0x7ff8000020000000
	s_xor_b32 exec_lo, exec_lo, s20
	s_cbranch_execz .LBB102_2395
.LBB102_2415:
	v_cmp_ne_u16_e32 vcc_lo, 0, v13
	v_mov_b64_e32 v[10:11], 0
	s_and_not1_b32 s19, s19, exec_lo
	s_and_b32 s21, vcc_lo, exec_lo
	s_delay_alu instid0(SALU_CYCLE_1)
	s_or_b32 s19, s19, s21
	s_or_b32 exec_lo, exec_lo, s20
	s_and_saveexec_b32 s20, s19
	s_cbranch_execnz .LBB102_2396
	s_branch .LBB102_2397
.LBB102_2416:
	s_mov_b32 s5, -1
.LBB102_2417:
                                        ; implicit-def: $vgpr10_vgpr11
.LBB102_2418:
	s_and_b32 vcc_lo, exec_lo, s19
	s_mov_b32 s19, 0
	s_cbranch_vccz .LBB102_2420
; %bb.2419:
	s_cmp_lg_u32 s0, 11
	s_mov_b32 s19, -1
	s_cselect_b32 s5, -1, 0
.LBB102_2420:
	s_delay_alu instid0(SALU_CYCLE_1)
	s_and_b32 vcc_lo, exec_lo, s5
	s_cbranch_vccnz .LBB102_2504
; %bb.2421:
	s_and_not1_b32 vcc_lo, exec_lo, s19
	s_cbranch_vccnz .LBB102_2423
.LBB102_2422:
	global_load_u8 v10, v[16:17], off
	s_mov_b32 s20, -1
	s_wait_loadcnt 0x0
	v_cmp_ne_u16_e32 vcc_lo, 0, v10
	v_mov_b32_e32 v10, 0
	v_cndmask_b32_e64 v11, 0, 0x3ff00000, vcc_lo
.LBB102_2423:
	s_mov_b32 s5, 0
.LBB102_2424:
	s_delay_alu instid0(SALU_CYCLE_1)
	s_and_b32 vcc_lo, exec_lo, s5
	s_cbranch_vccz .LBB102_2473
; %bb.2425:
	s_cmp_lt_i32 s0, 5
	s_cbranch_scc1 .LBB102_2430
; %bb.2426:
	s_cmp_lt_i32 s0, 8
	s_cbranch_scc1 .LBB102_2431
	;; [unrolled: 3-line block ×3, first 2 shown]
; %bb.2428:
	s_cmp_gt_i32 s0, 9
	s_cbranch_scc0 .LBB102_2433
; %bb.2429:
	global_load_b64 v[10:11], v[16:17], off
	s_mov_b32 s5, 0
	s_branch .LBB102_2434
.LBB102_2430:
	s_mov_b32 s5, -1
                                        ; implicit-def: $vgpr10_vgpr11
	s_branch .LBB102_2452
.LBB102_2431:
	s_mov_b32 s5, -1
                                        ; implicit-def: $vgpr10_vgpr11
	s_branch .LBB102_2440
.LBB102_2432:
	s_mov_b32 s5, -1
                                        ; implicit-def: $vgpr10_vgpr11
	s_branch .LBB102_2437
.LBB102_2433:
	s_mov_b32 s5, -1
                                        ; implicit-def: $vgpr10_vgpr11
.LBB102_2434:
	s_delay_alu instid0(SALU_CYCLE_1)
	s_and_not1_b32 vcc_lo, exec_lo, s5
	s_cbranch_vccnz .LBB102_2436
; %bb.2435:
	s_wait_loadcnt 0x0
	global_load_b32 v10, v[16:17], off
	s_wait_loadcnt 0x0
	v_cvt_f64_f32_e32 v[10:11], v10
.LBB102_2436:
	s_mov_b32 s5, 0
.LBB102_2437:
	s_delay_alu instid0(SALU_CYCLE_1)
	s_and_not1_b32 vcc_lo, exec_lo, s5
	s_cbranch_vccnz .LBB102_2439
; %bb.2438:
	s_wait_loadcnt 0x0
	global_load_b32 v10, v[16:17], off
	s_wait_loadcnt 0x0
	v_cvt_f32_f16_e32 v10, v10
	s_delay_alu instid0(VALU_DEP_1)
	v_cvt_f64_f32_e32 v[10:11], v10
.LBB102_2439:
	s_mov_b32 s5, 0
.LBB102_2440:
	s_delay_alu instid0(SALU_CYCLE_1)
	s_and_not1_b32 vcc_lo, exec_lo, s5
	s_cbranch_vccnz .LBB102_2451
; %bb.2441:
	s_cmp_lt_i32 s0, 6
	s_cbranch_scc1 .LBB102_2444
; %bb.2442:
	s_cmp_gt_i32 s0, 6
	s_cbranch_scc0 .LBB102_2445
; %bb.2443:
	s_wait_loadcnt 0x0
	global_load_b64 v[10:11], v[16:17], off
	s_mov_b32 s5, 0
	s_branch .LBB102_2446
.LBB102_2444:
	s_mov_b32 s5, -1
                                        ; implicit-def: $vgpr10_vgpr11
	s_branch .LBB102_2449
.LBB102_2445:
	s_mov_b32 s5, -1
                                        ; implicit-def: $vgpr10_vgpr11
.LBB102_2446:
	s_delay_alu instid0(SALU_CYCLE_1)
	s_and_not1_b32 vcc_lo, exec_lo, s5
	s_cbranch_vccnz .LBB102_2448
; %bb.2447:
	s_wait_loadcnt 0x0
	global_load_b32 v10, v[16:17], off
	s_wait_loadcnt 0x0
	v_cvt_f64_f32_e32 v[10:11], v10
.LBB102_2448:
	s_mov_b32 s5, 0
.LBB102_2449:
	s_delay_alu instid0(SALU_CYCLE_1)
	s_and_not1_b32 vcc_lo, exec_lo, s5
	s_cbranch_vccnz .LBB102_2451
; %bb.2450:
	s_wait_loadcnt 0x0
	global_load_u16 v10, v[16:17], off
	s_wait_loadcnt 0x0
	v_cvt_f32_f16_e32 v10, v10
	s_delay_alu instid0(VALU_DEP_1)
	v_cvt_f64_f32_e32 v[10:11], v10
.LBB102_2451:
	s_mov_b32 s5, 0
.LBB102_2452:
	s_delay_alu instid0(SALU_CYCLE_1)
	s_and_not1_b32 vcc_lo, exec_lo, s5
	s_cbranch_vccnz .LBB102_2472
; %bb.2453:
	s_cmp_lt_i32 s0, 2
	s_cbranch_scc1 .LBB102_2457
; %bb.2454:
	s_cmp_lt_i32 s0, 3
	s_cbranch_scc1 .LBB102_2458
; %bb.2455:
	s_cmp_gt_i32 s0, 3
	s_cbranch_scc0 .LBB102_2459
; %bb.2456:
	s_wait_loadcnt 0x0
	global_load_b64 v[10:11], v[16:17], off
	s_mov_b32 s5, 0
	s_wait_loadcnt 0x0
	v_cvt_f64_i32_e32 v[20:21], v11
	v_cvt_f64_u32_e32 v[10:11], v10
	s_delay_alu instid0(VALU_DEP_2) | instskip(NEXT) | instid1(VALU_DEP_1)
	v_ldexp_f64 v[20:21], v[20:21], 32
	v_add_f64_e32 v[10:11], v[20:21], v[10:11]
	s_branch .LBB102_2460
.LBB102_2457:
	s_mov_b32 s5, -1
                                        ; implicit-def: $vgpr10_vgpr11
	s_branch .LBB102_2466
.LBB102_2458:
	s_mov_b32 s5, -1
                                        ; implicit-def: $vgpr10_vgpr11
	s_branch .LBB102_2463
.LBB102_2459:
	s_mov_b32 s5, -1
                                        ; implicit-def: $vgpr10_vgpr11
.LBB102_2460:
	s_delay_alu instid0(SALU_CYCLE_1)
	s_and_not1_b32 vcc_lo, exec_lo, s5
	s_cbranch_vccnz .LBB102_2462
; %bb.2461:
	s_wait_loadcnt 0x0
	global_load_b32 v10, v[16:17], off
	s_wait_loadcnt 0x0
	v_cvt_f64_i32_e32 v[10:11], v10
.LBB102_2462:
	s_mov_b32 s5, 0
.LBB102_2463:
	s_delay_alu instid0(SALU_CYCLE_1)
	s_and_not1_b32 vcc_lo, exec_lo, s5
	s_cbranch_vccnz .LBB102_2465
; %bb.2464:
	s_wait_loadcnt 0x0
	global_load_i16 v10, v[16:17], off
	s_wait_loadcnt 0x0
	v_cvt_f64_i32_e32 v[10:11], v10
.LBB102_2465:
	s_mov_b32 s5, 0
.LBB102_2466:
	s_delay_alu instid0(SALU_CYCLE_1)
	s_and_not1_b32 vcc_lo, exec_lo, s5
	s_cbranch_vccnz .LBB102_2472
; %bb.2467:
	s_cmp_gt_i32 s0, 0
	s_mov_b32 s5, 0
	s_cbranch_scc0 .LBB102_2469
; %bb.2468:
	s_wait_loadcnt 0x0
	global_load_i8 v10, v[16:17], off
	s_wait_loadcnt 0x0
	v_cvt_f64_i32_e32 v[10:11], v10
	s_branch .LBB102_2470
.LBB102_2469:
	s_mov_b32 s5, -1
                                        ; implicit-def: $vgpr10_vgpr11
.LBB102_2470:
	s_delay_alu instid0(SALU_CYCLE_1)
	s_and_not1_b32 vcc_lo, exec_lo, s5
	s_cbranch_vccnz .LBB102_2472
; %bb.2471:
	s_wait_loadcnt 0x0
	global_load_u8 v10, v[16:17], off
	s_wait_loadcnt 0x0
	v_cvt_f64_u32_e32 v[10:11], v10
.LBB102_2472:
	s_mov_b32 s20, -1
.LBB102_2473:
	s_delay_alu instid0(SALU_CYCLE_1)
	s_and_not1_b32 vcc_lo, exec_lo, s20
	s_cbranch_vccnz .LBB102_3190
; %bb.2474:
	s_cmp_lt_i32 s16, 23
	s_cbranch_scc1 .LBB102_2478
; %bb.2475:
	s_and_b32 s20, 0xffff, s16
	s_delay_alu instid0(SALU_CYCLE_1)
	s_cmp_gt_i32 s20, 43
	s_cbranch_scc0 .LBB102_2479
; %bb.2476:
	s_cmp_gt_i32 s20, 45
	s_cbranch_scc0 .LBB102_2480
; %bb.2477:
	s_cmp_lg_u32 s20, 46
	s_mov_b32 s21, 0
	s_mov_b32 s5, -1
	s_cselect_b32 s19, -1, 0
	s_branch .LBB102_2481
.LBB102_2478:
	s_mov_b32 s20, -1
	s_mov_b32 s5, 0
	s_mov_b32 s19, 0
	s_branch .LBB102_2487
.LBB102_2479:
	s_mov_b32 s21, -1
	s_mov_b32 s5, 0
	s_mov_b32 s19, 0
	s_branch .LBB102_2484
.LBB102_2480:
	s_mov_b32 s21, -1
	s_mov_b32 s5, 0
	s_mov_b32 s19, 0
.LBB102_2481:
	s_and_not1_b32 vcc_lo, exec_lo, s21
	s_cbranch_vccnz .LBB102_2483
; %bb.2482:
	s_cmp_eq_u32 s20, 44
	s_cselect_b32 s5, -1, 0
	s_cmp_lg_u32 s20, 44
	s_cselect_b32 s19, -1, 0
.LBB102_2483:
	s_mov_b32 s21, 0
.LBB102_2484:
	s_delay_alu instid0(SALU_CYCLE_1)
	s_and_b32 vcc_lo, exec_lo, s21
	s_cbranch_vccz .LBB102_2486
; %bb.2485:
	s_cmp_lt_i32 s20, 30
	s_cselect_b32 s5, -1, 0
	s_cmp_gt_i32 s20, 29
	s_cselect_b32 s19, -1, 0
.LBB102_2486:
	s_mov_b32 s20, 0
.LBB102_2487:
	s_delay_alu instid0(SALU_CYCLE_1)
	s_and_b32 vcc_lo, exec_lo, s20
	s_cbranch_vccz .LBB102_2492
; %bb.2488:
	s_and_b32 s16, 0xffff, s16
	s_mov_b32 s20, -1
	s_cmp_gt_i32 s16, 14
	s_cbranch_scc0 .LBB102_2490
; %bb.2489:
	s_cmp_eq_u32 s16, 15
	s_mov_b32 s20, 0
	s_cselect_b32 s5, -1, 0
	s_cmp_lg_u32 s16, 15
	s_cselect_b32 s19, -1, 0
.LBB102_2490:
	s_and_not1_b32 vcc_lo, exec_lo, s20
	s_cbranch_vccnz .LBB102_2492
; %bb.2491:
	s_cmp_lt_i32 s16, 12
	s_cselect_b32 s5, -1, 0
	s_cmp_gt_i32 s16, 11
	s_cselect_b32 s19, -1, 0
.LBB102_2492:
	s_delay_alu instid0(SALU_CYCLE_1)
	s_and_b32 vcc_lo, exec_lo, s19
	s_cbranch_vccnz .LBB102_2505
; %bb.2493:
	s_and_not1_b32 vcc_lo, exec_lo, s5
	s_cbranch_vccnz .LBB102_3190
.LBB102_2494:
	v_add_nc_u32_e32 v12, s1, v12
	s_cmp_lt_i32 s14, 11
	s_delay_alu instid0(VALU_DEP_1) | instskip(SKIP_1) | instid1(VALU_DEP_1)
	v_ashrrev_i32_e32 v13, 31, v12
	s_wait_xcnt 0x0
	v_add_nc_u64_e32 v[16:17], s[8:9], v[12:13]
	s_cbranch_scc1 .LBB102_2501
; %bb.2495:
	s_and_b32 s1, 0xffff, s14
	s_mov_b32 s8, 0
	s_cmp_gt_i32 s1, 25
	s_cbranch_scc0 .LBB102_2502
; %bb.2496:
	s_cmp_gt_i32 s1, 28
	s_cbranch_scc0 .LBB102_2503
; %bb.2497:
	;; [unrolled: 3-line block ×4, first 2 shown]
	s_cmp_eq_u32 s1, 46
	s_mov_b32 s16, 0
	s_cbranch_scc0 .LBB102_2508
; %bb.2500:
	global_load_b32 v12, v[16:17], off
	s_mov_b32 s5, 0
	s_mov_b32 s9, -1
	s_wait_loadcnt 0x0
	v_lshlrev_b32_e32 v12, 16, v12
	s_delay_alu instid0(VALU_DEP_1)
	v_cvt_f64_f32_e32 v[12:13], v12
	s_branch .LBB102_2510
.LBB102_2501:
	s_mov_b32 s1, -1
	s_mov_b32 s9, 0
                                        ; implicit-def: $vgpr12_vgpr13
	s_branch .LBB102_2576
.LBB102_2502:
	s_mov_b32 s16, -1
	s_mov_b32 s9, 0
	s_mov_b32 s5, 0
                                        ; implicit-def: $vgpr12_vgpr13
	s_branch .LBB102_2539
.LBB102_2503:
	s_mov_b32 s16, -1
	s_mov_b32 s9, 0
	s_mov_b32 s5, 0
                                        ; implicit-def: $vgpr12_vgpr13
	s_branch .LBB102_2520
.LBB102_2504:
	s_or_b32 s15, s15, exec_lo
	s_trap 2
	s_cbranch_execz .LBB102_2422
	s_branch .LBB102_2423
.LBB102_2505:
	s_or_b32 s15, s15, exec_lo
	s_trap 2
	s_cbranch_execz .LBB102_2494
	s_branch .LBB102_3190
.LBB102_2506:
	s_mov_b32 s16, -1
	s_mov_b32 s9, 0
	s_mov_b32 s5, 0
                                        ; implicit-def: $vgpr12_vgpr13
	s_branch .LBB102_2515
.LBB102_2507:
	s_mov_b32 s16, -1
	s_mov_b32 s9, 0
	s_mov_b32 s5, 0
	s_branch .LBB102_2509
.LBB102_2508:
	s_mov_b32 s5, -1
	s_mov_b32 s9, 0
.LBB102_2509:
                                        ; implicit-def: $vgpr12_vgpr13
.LBB102_2510:
	s_and_b32 vcc_lo, exec_lo, s16
	s_cbranch_vccz .LBB102_2514
; %bb.2511:
	s_cmp_eq_u32 s1, 44
	s_cbranch_scc0 .LBB102_2513
; %bb.2512:
	global_load_u8 v15, v[16:17], off
	s_mov_b32 s5, 0
	s_mov_b32 s9, -1
	s_wait_loadcnt 0x0
	v_cmp_ne_u32_e32 vcc_lo, 0xff, v15
	v_lshlrev_b32_e32 v12, 23, v15
	s_delay_alu instid0(VALU_DEP_1) | instskip(NEXT) | instid1(VALU_DEP_1)
	v_cvt_f64_f32_e32 v[12:13], v12
	v_cndmask_b32_e32 v12, 0x20000000, v12, vcc_lo
	s_delay_alu instid0(VALU_DEP_2) | instskip(SKIP_1) | instid1(VALU_DEP_2)
	v_cndmask_b32_e32 v13, 0x7ff80000, v13, vcc_lo
	v_cmp_ne_u32_e32 vcc_lo, 0, v15
	v_cndmask_b32_e32 v13, 0x38000000, v13, vcc_lo
	s_delay_alu instid0(VALU_DEP_4)
	v_cndmask_b32_e32 v12, 0, v12, vcc_lo
	s_branch .LBB102_2514
.LBB102_2513:
	s_mov_b32 s5, -1
                                        ; implicit-def: $vgpr12_vgpr13
.LBB102_2514:
	s_mov_b32 s16, 0
.LBB102_2515:
	s_delay_alu instid0(SALU_CYCLE_1)
	s_and_b32 vcc_lo, exec_lo, s16
	s_cbranch_vccz .LBB102_2519
; %bb.2516:
	s_cmp_eq_u32 s1, 29
	s_cbranch_scc0 .LBB102_2518
; %bb.2517:
	global_load_b64 v[12:13], v[16:17], off
	s_mov_b32 s5, 0
	s_mov_b32 s9, -1
	s_mov_b32 s16, 0
	s_wait_loadcnt 0x0
	v_cvt_f64_u32_e32 v[20:21], v13
	v_cvt_f64_u32_e32 v[12:13], v12
	s_delay_alu instid0(VALU_DEP_2) | instskip(NEXT) | instid1(VALU_DEP_1)
	v_ldexp_f64 v[20:21], v[20:21], 32
	v_add_f64_e32 v[12:13], v[20:21], v[12:13]
	s_branch .LBB102_2520
.LBB102_2518:
	s_mov_b32 s5, -1
                                        ; implicit-def: $vgpr12_vgpr13
.LBB102_2519:
	s_mov_b32 s16, 0
.LBB102_2520:
	s_delay_alu instid0(SALU_CYCLE_1)
	s_and_b32 vcc_lo, exec_lo, s16
	s_cbranch_vccz .LBB102_2538
; %bb.2521:
	s_cmp_lt_i32 s1, 27
	s_cbranch_scc1 .LBB102_2524
; %bb.2522:
	s_cmp_gt_i32 s1, 27
	s_cbranch_scc0 .LBB102_2525
; %bb.2523:
	global_load_b32 v12, v[16:17], off
	s_mov_b32 s9, 0
	s_wait_loadcnt 0x0
	v_cvt_f64_u32_e32 v[12:13], v12
	s_branch .LBB102_2526
.LBB102_2524:
	s_mov_b32 s9, -1
                                        ; implicit-def: $vgpr12_vgpr13
	s_branch .LBB102_2529
.LBB102_2525:
	s_mov_b32 s9, -1
                                        ; implicit-def: $vgpr12_vgpr13
.LBB102_2526:
	s_delay_alu instid0(SALU_CYCLE_1)
	s_and_not1_b32 vcc_lo, exec_lo, s9
	s_cbranch_vccnz .LBB102_2528
; %bb.2527:
	global_load_u16 v12, v[16:17], off
	s_wait_loadcnt 0x0
	v_cvt_f64_u32_e32 v[12:13], v12
.LBB102_2528:
	s_mov_b32 s9, 0
.LBB102_2529:
	s_delay_alu instid0(SALU_CYCLE_1)
	s_and_not1_b32 vcc_lo, exec_lo, s9
	s_cbranch_vccnz .LBB102_2537
; %bb.2530:
	global_load_u8 v15, v[16:17], off
	s_mov_b32 s9, 0
	s_mov_b32 s16, exec_lo
	s_wait_loadcnt 0x0
	v_cmpx_lt_i16_e32 0x7f, v15
	s_xor_b32 s16, exec_lo, s16
	s_cbranch_execz .LBB102_2551
; %bb.2531:
	s_mov_b32 s9, -1
	s_mov_b32 s19, exec_lo
	v_cmpx_eq_u16_e32 0x80, v15
; %bb.2532:
	s_xor_b32 s9, exec_lo, -1
; %bb.2533:
	s_or_b32 exec_lo, exec_lo, s19
	s_delay_alu instid0(SALU_CYCLE_1)
	s_and_b32 s9, s9, exec_lo
	s_or_saveexec_b32 s16, s16
	v_mov_b64_e32 v[12:13], 0x7ff8000020000000
	s_xor_b32 exec_lo, exec_lo, s16
	s_cbranch_execnz .LBB102_2552
.LBB102_2534:
	s_or_b32 exec_lo, exec_lo, s16
	s_and_saveexec_b32 s16, s9
	s_cbranch_execz .LBB102_2536
.LBB102_2535:
	v_and_b32_e32 v12, 0xffff, v15
	s_delay_alu instid0(VALU_DEP_1) | instskip(SKIP_1) | instid1(VALU_DEP_2)
	v_and_b32_e32 v13, 7, v12
	v_bfe_u32 v21, v12, 3, 4
	v_clz_i32_u32_e32 v19, v13
	s_delay_alu instid0(VALU_DEP_2) | instskip(NEXT) | instid1(VALU_DEP_2)
	v_cmp_eq_u32_e32 vcc_lo, 0, v21
	v_min_u32_e32 v19, 32, v19
	s_delay_alu instid0(VALU_DEP_1) | instskip(NEXT) | instid1(VALU_DEP_1)
	v_subrev_nc_u32_e32 v20, 28, v19
	v_dual_lshlrev_b32 v12, v20, v12 :: v_dual_sub_nc_u32 v19, 29, v19
	s_delay_alu instid0(VALU_DEP_1) | instskip(NEXT) | instid1(VALU_DEP_1)
	v_dual_lshlrev_b32 v15, 24, v15 :: v_dual_bitop2_b32 v12, 7, v12 bitop3:0x40
	v_cndmask_b32_e32 v12, v13, v12, vcc_lo
	s_delay_alu instid0(VALU_DEP_3) | instskip(NEXT) | instid1(VALU_DEP_3)
	v_cndmask_b32_e32 v19, v21, v19, vcc_lo
	v_and_b32_e32 v13, 0x80000000, v15
	s_delay_alu instid0(VALU_DEP_3) | instskip(NEXT) | instid1(VALU_DEP_3)
	v_lshlrev_b32_e32 v12, 20, v12
	v_lshl_add_u32 v15, v19, 23, 0x3b800000
	s_delay_alu instid0(VALU_DEP_1) | instskip(NEXT) | instid1(VALU_DEP_1)
	v_or3_b32 v12, v13, v15, v12
	v_cvt_f64_f32_e32 v[12:13], v12
.LBB102_2536:
	s_or_b32 exec_lo, exec_lo, s16
.LBB102_2537:
	s_mov_b32 s9, -1
.LBB102_2538:
	s_mov_b32 s16, 0
.LBB102_2539:
	s_delay_alu instid0(SALU_CYCLE_1)
	s_and_b32 vcc_lo, exec_lo, s16
	s_cbranch_vccz .LBB102_2572
; %bb.2540:
	s_cmp_gt_i32 s1, 22
	s_cbranch_scc0 .LBB102_2550
; %bb.2541:
	s_cmp_lt_i32 s1, 24
	s_cbranch_scc1 .LBB102_2553
; %bb.2542:
	s_cmp_gt_i32 s1, 24
	s_cbranch_scc0 .LBB102_2554
; %bb.2543:
	global_load_u8 v15, v[16:17], off
	s_mov_b32 s9, exec_lo
	s_wait_loadcnt 0x0
	v_cmpx_lt_i16_e32 0x7f, v15
	s_xor_b32 s9, exec_lo, s9
	s_cbranch_execz .LBB102_2566
; %bb.2544:
	s_mov_b32 s8, -1
	s_mov_b32 s16, exec_lo
	v_cmpx_eq_u16_e32 0x80, v15
; %bb.2545:
	s_xor_b32 s8, exec_lo, -1
; %bb.2546:
	s_or_b32 exec_lo, exec_lo, s16
	s_delay_alu instid0(SALU_CYCLE_1)
	s_and_b32 s8, s8, exec_lo
	s_or_saveexec_b32 s9, s9
	v_mov_b64_e32 v[12:13], 0x7ff8000020000000
	s_xor_b32 exec_lo, exec_lo, s9
	s_cbranch_execnz .LBB102_2567
.LBB102_2547:
	s_or_b32 exec_lo, exec_lo, s9
	s_and_saveexec_b32 s9, s8
	s_cbranch_execz .LBB102_2549
.LBB102_2548:
	v_and_b32_e32 v12, 0xffff, v15
	s_delay_alu instid0(VALU_DEP_1) | instskip(SKIP_1) | instid1(VALU_DEP_2)
	v_and_b32_e32 v13, 3, v12
	v_bfe_u32 v21, v12, 2, 5
	v_clz_i32_u32_e32 v19, v13
	s_delay_alu instid0(VALU_DEP_2) | instskip(NEXT) | instid1(VALU_DEP_2)
	v_cmp_eq_u32_e32 vcc_lo, 0, v21
	v_min_u32_e32 v19, 32, v19
	s_delay_alu instid0(VALU_DEP_1) | instskip(NEXT) | instid1(VALU_DEP_1)
	v_subrev_nc_u32_e32 v20, 29, v19
	v_dual_lshlrev_b32 v12, v20, v12 :: v_dual_sub_nc_u32 v19, 30, v19
	s_delay_alu instid0(VALU_DEP_1) | instskip(NEXT) | instid1(VALU_DEP_1)
	v_dual_lshlrev_b32 v15, 24, v15 :: v_dual_bitop2_b32 v12, 3, v12 bitop3:0x40
	v_cndmask_b32_e32 v12, v13, v12, vcc_lo
	s_delay_alu instid0(VALU_DEP_3) | instskip(NEXT) | instid1(VALU_DEP_3)
	v_cndmask_b32_e32 v19, v21, v19, vcc_lo
	v_and_b32_e32 v13, 0x80000000, v15
	s_delay_alu instid0(VALU_DEP_3) | instskip(NEXT) | instid1(VALU_DEP_3)
	v_lshlrev_b32_e32 v12, 21, v12
	v_lshl_add_u32 v15, v19, 23, 0x37800000
	s_delay_alu instid0(VALU_DEP_1) | instskip(NEXT) | instid1(VALU_DEP_1)
	v_or3_b32 v12, v13, v15, v12
	v_cvt_f64_f32_e32 v[12:13], v12
.LBB102_2549:
	s_or_b32 exec_lo, exec_lo, s9
	s_mov_b32 s8, 0
	s_branch .LBB102_2555
.LBB102_2550:
	s_mov_b32 s8, -1
                                        ; implicit-def: $vgpr12_vgpr13
	s_branch .LBB102_2561
.LBB102_2551:
	s_or_saveexec_b32 s16, s16
	v_mov_b64_e32 v[12:13], 0x7ff8000020000000
	s_xor_b32 exec_lo, exec_lo, s16
	s_cbranch_execz .LBB102_2534
.LBB102_2552:
	v_cmp_ne_u16_e32 vcc_lo, 0, v15
	v_mov_b64_e32 v[12:13], 0
	s_and_not1_b32 s9, s9, exec_lo
	s_and_b32 s19, vcc_lo, exec_lo
	s_delay_alu instid0(SALU_CYCLE_1)
	s_or_b32 s9, s9, s19
	s_or_b32 exec_lo, exec_lo, s16
	s_and_saveexec_b32 s16, s9
	s_cbranch_execnz .LBB102_2535
	s_branch .LBB102_2536
.LBB102_2553:
	s_mov_b32 s8, -1
                                        ; implicit-def: $vgpr12_vgpr13
	s_branch .LBB102_2558
.LBB102_2554:
	s_mov_b32 s8, -1
                                        ; implicit-def: $vgpr12_vgpr13
.LBB102_2555:
	s_delay_alu instid0(SALU_CYCLE_1)
	s_and_b32 vcc_lo, exec_lo, s8
	s_cbranch_vccz .LBB102_2557
; %bb.2556:
	global_load_u8 v12, v[16:17], off
	s_wait_loadcnt 0x0
	v_lshlrev_b32_e32 v12, 24, v12
	s_delay_alu instid0(VALU_DEP_1) | instskip(NEXT) | instid1(VALU_DEP_1)
	v_and_b32_e32 v13, 0x7f000000, v12
	v_clz_i32_u32_e32 v15, v13
	v_cmp_ne_u32_e32 vcc_lo, 0, v13
	v_add_nc_u32_e32 v20, 0x1000000, v13
	s_delay_alu instid0(VALU_DEP_3) | instskip(NEXT) | instid1(VALU_DEP_1)
	v_min_u32_e32 v15, 32, v15
	v_sub_nc_u32_e64 v15, v15, 4 clamp
	s_delay_alu instid0(VALU_DEP_1) | instskip(NEXT) | instid1(VALU_DEP_1)
	v_dual_lshlrev_b32 v19, v15, v13 :: v_dual_lshlrev_b32 v15, 23, v15
	v_lshrrev_b32_e32 v19, 4, v19
	s_delay_alu instid0(VALU_DEP_1) | instskip(NEXT) | instid1(VALU_DEP_1)
	v_dual_sub_nc_u32 v15, v19, v15 :: v_dual_ashrrev_i32 v19, 8, v20
	v_add_nc_u32_e32 v15, 0x3c000000, v15
	s_delay_alu instid0(VALU_DEP_1) | instskip(NEXT) | instid1(VALU_DEP_1)
	v_and_or_b32 v15, 0x7f800000, v19, v15
	v_cndmask_b32_e32 v13, 0, v15, vcc_lo
	s_delay_alu instid0(VALU_DEP_1) | instskip(NEXT) | instid1(VALU_DEP_1)
	v_and_or_b32 v12, 0x80000000, v12, v13
	v_cvt_f64_f32_e32 v[12:13], v12
.LBB102_2557:
	s_mov_b32 s8, 0
.LBB102_2558:
	s_delay_alu instid0(SALU_CYCLE_1)
	s_and_not1_b32 vcc_lo, exec_lo, s8
	s_cbranch_vccnz .LBB102_2560
; %bb.2559:
	global_load_u8 v12, v[16:17], off
	s_wait_loadcnt 0x0
	v_lshlrev_b32_e32 v13, 25, v12
	v_lshlrev_b16 v12, 8, v12
	s_delay_alu instid0(VALU_DEP_1) | instskip(SKIP_1) | instid1(VALU_DEP_2)
	v_and_or_b32 v19, 0x7f00, v12, 0.5
	v_bfe_i32 v12, v12, 0, 16
	v_dual_add_f32 v19, -0.5, v19 :: v_dual_lshrrev_b32 v15, 4, v13
	v_cmp_gt_u32_e32 vcc_lo, 0x8000000, v13
	s_delay_alu instid0(VALU_DEP_2) | instskip(NEXT) | instid1(VALU_DEP_1)
	v_or_b32_e32 v15, 0x70000000, v15
	v_mul_f32_e32 v15, 0x7800000, v15
	s_delay_alu instid0(VALU_DEP_1) | instskip(NEXT) | instid1(VALU_DEP_1)
	v_cndmask_b32_e32 v13, v15, v19, vcc_lo
	v_and_or_b32 v12, 0x80000000, v12, v13
	s_delay_alu instid0(VALU_DEP_1)
	v_cvt_f64_f32_e32 v[12:13], v12
.LBB102_2560:
	s_mov_b32 s8, 0
	s_mov_b32 s9, -1
.LBB102_2561:
	s_and_not1_b32 vcc_lo, exec_lo, s8
	s_mov_b32 s8, 0
	s_cbranch_vccnz .LBB102_2572
; %bb.2562:
	s_cmp_gt_i32 s1, 14
	s_cbranch_scc0 .LBB102_2565
; %bb.2563:
	s_cmp_eq_u32 s1, 15
	s_cbranch_scc0 .LBB102_2568
; %bb.2564:
	global_load_u16 v12, v[16:17], off
	s_mov_b32 s5, 0
	s_mov_b32 s9, -1
	s_wait_loadcnt 0x0
	v_lshlrev_b32_e32 v12, 16, v12
	s_delay_alu instid0(VALU_DEP_1)
	v_cvt_f64_f32_e32 v[12:13], v12
	s_branch .LBB102_2570
.LBB102_2565:
	s_mov_b32 s8, -1
	s_branch .LBB102_2569
.LBB102_2566:
	s_or_saveexec_b32 s9, s9
	v_mov_b64_e32 v[12:13], 0x7ff8000020000000
	s_xor_b32 exec_lo, exec_lo, s9
	s_cbranch_execz .LBB102_2547
.LBB102_2567:
	v_cmp_ne_u16_e32 vcc_lo, 0, v15
	v_mov_b64_e32 v[12:13], 0
	s_and_not1_b32 s8, s8, exec_lo
	s_and_b32 s16, vcc_lo, exec_lo
	s_delay_alu instid0(SALU_CYCLE_1)
	s_or_b32 s8, s8, s16
	s_or_b32 exec_lo, exec_lo, s9
	s_and_saveexec_b32 s9, s8
	s_cbranch_execnz .LBB102_2548
	s_branch .LBB102_2549
.LBB102_2568:
	s_mov_b32 s5, -1
.LBB102_2569:
                                        ; implicit-def: $vgpr12_vgpr13
.LBB102_2570:
	s_and_b32 vcc_lo, exec_lo, s8
	s_mov_b32 s8, 0
	s_cbranch_vccz .LBB102_2572
; %bb.2571:
	s_cmp_lg_u32 s1, 11
	s_mov_b32 s8, -1
	s_cselect_b32 s5, -1, 0
.LBB102_2572:
	s_delay_alu instid0(SALU_CYCLE_1)
	s_and_b32 vcc_lo, exec_lo, s5
	s_cbranch_vccnz .LBB102_2637
; %bb.2573:
	s_and_not1_b32 vcc_lo, exec_lo, s8
	s_cbranch_vccnz .LBB102_2575
.LBB102_2574:
	global_load_u8 v12, v[16:17], off
	s_mov_b32 s9, -1
	s_wait_loadcnt 0x0
	v_cmp_ne_u16_e32 vcc_lo, 0, v12
	v_mov_b32_e32 v12, 0
	v_cndmask_b32_e64 v13, 0, 0x3ff00000, vcc_lo
.LBB102_2575:
	s_mov_b32 s1, 0
.LBB102_2576:
	s_delay_alu instid0(SALU_CYCLE_1)
	s_and_b32 vcc_lo, exec_lo, s1
	s_cbranch_vccz .LBB102_2625
; %bb.2577:
	s_and_b32 s1, 0xffff, s14
	s_delay_alu instid0(SALU_CYCLE_1)
	s_cmp_lt_i32 s1, 5
	s_cbranch_scc1 .LBB102_2582
; %bb.2578:
	s_cmp_lt_i32 s1, 8
	s_cbranch_scc1 .LBB102_2583
; %bb.2579:
	;; [unrolled: 3-line block ×3, first 2 shown]
	s_cmp_gt_i32 s1, 9
	s_cbranch_scc0 .LBB102_2585
; %bb.2581:
	global_load_b64 v[12:13], v[16:17], off
	s_mov_b32 s5, 0
	s_branch .LBB102_2586
.LBB102_2582:
	s_mov_b32 s5, -1
                                        ; implicit-def: $vgpr12_vgpr13
	s_branch .LBB102_2604
.LBB102_2583:
	s_mov_b32 s5, -1
                                        ; implicit-def: $vgpr12_vgpr13
	s_branch .LBB102_2592
.LBB102_2584:
	s_mov_b32 s5, -1
                                        ; implicit-def: $vgpr12_vgpr13
	s_branch .LBB102_2589
.LBB102_2585:
	s_mov_b32 s5, -1
                                        ; implicit-def: $vgpr12_vgpr13
.LBB102_2586:
	s_delay_alu instid0(SALU_CYCLE_1)
	s_and_not1_b32 vcc_lo, exec_lo, s5
	s_cbranch_vccnz .LBB102_2588
; %bb.2587:
	s_wait_loadcnt 0x0
	global_load_b32 v12, v[16:17], off
	s_wait_loadcnt 0x0
	v_cvt_f64_f32_e32 v[12:13], v12
.LBB102_2588:
	s_mov_b32 s5, 0
.LBB102_2589:
	s_delay_alu instid0(SALU_CYCLE_1)
	s_and_not1_b32 vcc_lo, exec_lo, s5
	s_cbranch_vccnz .LBB102_2591
; %bb.2590:
	s_wait_loadcnt 0x0
	global_load_b32 v12, v[16:17], off
	s_wait_loadcnt 0x0
	v_cvt_f32_f16_e32 v12, v12
	s_delay_alu instid0(VALU_DEP_1)
	v_cvt_f64_f32_e32 v[12:13], v12
.LBB102_2591:
	s_mov_b32 s5, 0
.LBB102_2592:
	s_delay_alu instid0(SALU_CYCLE_1)
	s_and_not1_b32 vcc_lo, exec_lo, s5
	s_cbranch_vccnz .LBB102_2603
; %bb.2593:
	s_cmp_lt_i32 s1, 6
	s_cbranch_scc1 .LBB102_2596
; %bb.2594:
	s_cmp_gt_i32 s1, 6
	s_cbranch_scc0 .LBB102_2597
; %bb.2595:
	s_wait_loadcnt 0x0
	global_load_b64 v[12:13], v[16:17], off
	s_mov_b32 s5, 0
	s_branch .LBB102_2598
.LBB102_2596:
	s_mov_b32 s5, -1
                                        ; implicit-def: $vgpr12_vgpr13
	s_branch .LBB102_2601
.LBB102_2597:
	s_mov_b32 s5, -1
                                        ; implicit-def: $vgpr12_vgpr13
.LBB102_2598:
	s_delay_alu instid0(SALU_CYCLE_1)
	s_and_not1_b32 vcc_lo, exec_lo, s5
	s_cbranch_vccnz .LBB102_2600
; %bb.2599:
	s_wait_loadcnt 0x0
	global_load_b32 v12, v[16:17], off
	s_wait_loadcnt 0x0
	v_cvt_f64_f32_e32 v[12:13], v12
.LBB102_2600:
	s_mov_b32 s5, 0
.LBB102_2601:
	s_delay_alu instid0(SALU_CYCLE_1)
	s_and_not1_b32 vcc_lo, exec_lo, s5
	s_cbranch_vccnz .LBB102_2603
; %bb.2602:
	s_wait_loadcnt 0x0
	global_load_u16 v12, v[16:17], off
	s_wait_loadcnt 0x0
	v_cvt_f32_f16_e32 v12, v12
	s_delay_alu instid0(VALU_DEP_1)
	v_cvt_f64_f32_e32 v[12:13], v12
.LBB102_2603:
	s_mov_b32 s5, 0
.LBB102_2604:
	s_delay_alu instid0(SALU_CYCLE_1)
	s_and_not1_b32 vcc_lo, exec_lo, s5
	s_cbranch_vccnz .LBB102_2624
; %bb.2605:
	s_cmp_lt_i32 s1, 2
	s_cbranch_scc1 .LBB102_2609
; %bb.2606:
	s_cmp_lt_i32 s1, 3
	s_cbranch_scc1 .LBB102_2610
; %bb.2607:
	s_cmp_gt_i32 s1, 3
	s_cbranch_scc0 .LBB102_2611
; %bb.2608:
	s_wait_loadcnt 0x0
	global_load_b64 v[12:13], v[16:17], off
	s_mov_b32 s5, 0
	s_wait_loadcnt 0x0
	v_cvt_f64_i32_e32 v[20:21], v13
	v_cvt_f64_u32_e32 v[12:13], v12
	s_delay_alu instid0(VALU_DEP_2) | instskip(NEXT) | instid1(VALU_DEP_1)
	v_ldexp_f64 v[20:21], v[20:21], 32
	v_add_f64_e32 v[12:13], v[20:21], v[12:13]
	s_branch .LBB102_2612
.LBB102_2609:
	s_mov_b32 s5, -1
                                        ; implicit-def: $vgpr12_vgpr13
	s_branch .LBB102_2618
.LBB102_2610:
	s_mov_b32 s5, -1
                                        ; implicit-def: $vgpr12_vgpr13
	s_branch .LBB102_2615
.LBB102_2611:
	s_mov_b32 s5, -1
                                        ; implicit-def: $vgpr12_vgpr13
.LBB102_2612:
	s_delay_alu instid0(SALU_CYCLE_1)
	s_and_not1_b32 vcc_lo, exec_lo, s5
	s_cbranch_vccnz .LBB102_2614
; %bb.2613:
	s_wait_loadcnt 0x0
	global_load_b32 v12, v[16:17], off
	s_wait_loadcnt 0x0
	v_cvt_f64_i32_e32 v[12:13], v12
.LBB102_2614:
	s_mov_b32 s5, 0
.LBB102_2615:
	s_delay_alu instid0(SALU_CYCLE_1)
	s_and_not1_b32 vcc_lo, exec_lo, s5
	s_cbranch_vccnz .LBB102_2617
; %bb.2616:
	s_wait_loadcnt 0x0
	global_load_i16 v12, v[16:17], off
	s_wait_loadcnt 0x0
	v_cvt_f64_i32_e32 v[12:13], v12
.LBB102_2617:
	s_mov_b32 s5, 0
.LBB102_2618:
	s_delay_alu instid0(SALU_CYCLE_1)
	s_and_not1_b32 vcc_lo, exec_lo, s5
	s_cbranch_vccnz .LBB102_2624
; %bb.2619:
	s_cmp_gt_i32 s1, 0
	s_mov_b32 s1, 0
	s_cbranch_scc0 .LBB102_2621
; %bb.2620:
	s_wait_loadcnt 0x0
	global_load_i8 v12, v[16:17], off
	s_wait_loadcnt 0x0
	v_cvt_f64_i32_e32 v[12:13], v12
	s_branch .LBB102_2622
.LBB102_2621:
	s_mov_b32 s1, -1
                                        ; implicit-def: $vgpr12_vgpr13
.LBB102_2622:
	s_delay_alu instid0(SALU_CYCLE_1)
	s_and_not1_b32 vcc_lo, exec_lo, s1
	s_cbranch_vccnz .LBB102_2624
; %bb.2623:
	s_wait_loadcnt 0x0
	global_load_u8 v12, v[16:17], off
	s_wait_loadcnt 0x0
	v_cvt_f64_u32_e32 v[12:13], v12
.LBB102_2624:
	s_mov_b32 s9, -1
.LBB102_2625:
	s_delay_alu instid0(SALU_CYCLE_1)
	s_and_not1_b32 vcc_lo, exec_lo, s9
	s_cbranch_vccnz .LBB102_3190
; %bb.2626:
	v_add_nc_u32_e32 v14, s4, v14
	s_cmp_lt_i32 s0, 11
	s_delay_alu instid0(VALU_DEP_1) | instskip(SKIP_1) | instid1(VALU_DEP_1)
	v_ashrrev_i32_e32 v15, 31, v14
	s_wait_xcnt 0x0
	v_add_nc_u64_e32 v[16:17], s[10:11], v[14:15]
	s_cbranch_scc1 .LBB102_2633
; %bb.2627:
	s_cmp_gt_i32 s0, 25
	s_mov_b32 s4, 0
	s_cbranch_scc0 .LBB102_2634
; %bb.2628:
	s_cmp_gt_i32 s0, 28
	s_cbranch_scc0 .LBB102_2635
; %bb.2629:
	s_cmp_gt_i32 s0, 43
	;; [unrolled: 3-line block ×3, first 2 shown]
	s_cbranch_scc0 .LBB102_2638
; %bb.2631:
	s_cmp_eq_u32 s0, 46
	s_mov_b32 s8, 0
	s_cbranch_scc0 .LBB102_2639
; %bb.2632:
	global_load_b32 v14, v[16:17], off
	s_mov_b32 s1, 0
	s_mov_b32 s5, -1
	s_wait_loadcnt 0x0
	v_lshlrev_b32_e32 v14, 16, v14
	s_delay_alu instid0(VALU_DEP_1)
	v_cvt_f64_f32_e32 v[14:15], v14
	s_branch .LBB102_2641
.LBB102_2633:
	s_mov_b32 s1, -1
	s_mov_b32 s5, 0
                                        ; implicit-def: $vgpr14_vgpr15
	s_branch .LBB102_2707
.LBB102_2634:
	s_mov_b32 s8, -1
	s_mov_b32 s5, 0
	s_mov_b32 s1, 0
                                        ; implicit-def: $vgpr14_vgpr15
	s_branch .LBB102_2670
.LBB102_2635:
	s_mov_b32 s8, -1
	s_mov_b32 s5, 0
	s_mov_b32 s1, 0
                                        ; implicit-def: $vgpr14_vgpr15
	s_branch .LBB102_2651
.LBB102_2636:
	s_mov_b32 s8, -1
	s_mov_b32 s5, 0
	s_mov_b32 s1, 0
                                        ; implicit-def: $vgpr14_vgpr15
	s_branch .LBB102_2646
.LBB102_2637:
	s_or_b32 s15, s15, exec_lo
	s_trap 2
	s_cbranch_execz .LBB102_2574
	s_branch .LBB102_2575
.LBB102_2638:
	s_mov_b32 s8, -1
	s_mov_b32 s5, 0
	s_mov_b32 s1, 0
	s_branch .LBB102_2640
.LBB102_2639:
	s_mov_b32 s1, -1
	s_mov_b32 s5, 0
.LBB102_2640:
                                        ; implicit-def: $vgpr14_vgpr15
.LBB102_2641:
	s_and_b32 vcc_lo, exec_lo, s8
	s_cbranch_vccz .LBB102_2645
; %bb.2642:
	s_cmp_eq_u32 s0, 44
	s_cbranch_scc0 .LBB102_2644
; %bb.2643:
	global_load_u8 v19, v[16:17], off
	s_mov_b32 s1, 0
	s_mov_b32 s5, -1
	s_wait_loadcnt 0x0
	v_lshlrev_b32_e32 v14, 23, v19
	v_cmp_ne_u32_e32 vcc_lo, 0xff, v19
	s_delay_alu instid0(VALU_DEP_2) | instskip(NEXT) | instid1(VALU_DEP_1)
	v_cvt_f64_f32_e32 v[14:15], v14
	v_cndmask_b32_e32 v14, 0x20000000, v14, vcc_lo
	s_delay_alu instid0(VALU_DEP_2) | instskip(SKIP_1) | instid1(VALU_DEP_2)
	v_cndmask_b32_e32 v15, 0x7ff80000, v15, vcc_lo
	v_cmp_ne_u32_e32 vcc_lo, 0, v19
	v_cndmask_b32_e32 v15, 0x38000000, v15, vcc_lo
	s_delay_alu instid0(VALU_DEP_4)
	v_cndmask_b32_e32 v14, 0, v14, vcc_lo
	s_branch .LBB102_2645
.LBB102_2644:
	s_mov_b32 s1, -1
                                        ; implicit-def: $vgpr14_vgpr15
.LBB102_2645:
	s_mov_b32 s8, 0
.LBB102_2646:
	s_delay_alu instid0(SALU_CYCLE_1)
	s_and_b32 vcc_lo, exec_lo, s8
	s_cbranch_vccz .LBB102_2650
; %bb.2647:
	s_cmp_eq_u32 s0, 29
	s_cbranch_scc0 .LBB102_2649
; %bb.2648:
	global_load_b64 v[14:15], v[16:17], off
	s_mov_b32 s1, 0
	s_mov_b32 s5, -1
	s_mov_b32 s8, 0
	s_wait_loadcnt 0x0
	v_cvt_f64_u32_e32 v[20:21], v15
	v_cvt_f64_u32_e32 v[14:15], v14
	s_delay_alu instid0(VALU_DEP_2) | instskip(NEXT) | instid1(VALU_DEP_1)
	v_ldexp_f64 v[20:21], v[20:21], 32
	v_add_f64_e32 v[14:15], v[20:21], v[14:15]
	s_branch .LBB102_2651
.LBB102_2649:
	s_mov_b32 s1, -1
                                        ; implicit-def: $vgpr14_vgpr15
.LBB102_2650:
	s_mov_b32 s8, 0
.LBB102_2651:
	s_delay_alu instid0(SALU_CYCLE_1)
	s_and_b32 vcc_lo, exec_lo, s8
	s_cbranch_vccz .LBB102_2669
; %bb.2652:
	s_cmp_lt_i32 s0, 27
	s_cbranch_scc1 .LBB102_2655
; %bb.2653:
	s_cmp_gt_i32 s0, 27
	s_cbranch_scc0 .LBB102_2656
; %bb.2654:
	global_load_b32 v14, v[16:17], off
	s_mov_b32 s5, 0
	s_wait_loadcnt 0x0
	v_cvt_f64_u32_e32 v[14:15], v14
	s_branch .LBB102_2657
.LBB102_2655:
	s_mov_b32 s5, -1
                                        ; implicit-def: $vgpr14_vgpr15
	s_branch .LBB102_2660
.LBB102_2656:
	s_mov_b32 s5, -1
                                        ; implicit-def: $vgpr14_vgpr15
.LBB102_2657:
	s_delay_alu instid0(SALU_CYCLE_1)
	s_and_not1_b32 vcc_lo, exec_lo, s5
	s_cbranch_vccnz .LBB102_2659
; %bb.2658:
	global_load_u16 v14, v[16:17], off
	s_wait_loadcnt 0x0
	v_cvt_f64_u32_e32 v[14:15], v14
.LBB102_2659:
	s_mov_b32 s5, 0
.LBB102_2660:
	s_delay_alu instid0(SALU_CYCLE_1)
	s_and_not1_b32 vcc_lo, exec_lo, s5
	s_cbranch_vccnz .LBB102_2668
; %bb.2661:
	global_load_u8 v19, v[16:17], off
	s_mov_b32 s5, 0
	s_mov_b32 s8, exec_lo
	s_wait_loadcnt 0x0
	v_cmpx_lt_i16_e32 0x7f, v19
	s_xor_b32 s8, exec_lo, s8
	s_cbranch_execz .LBB102_2682
; %bb.2662:
	s_mov_b32 s5, -1
	s_mov_b32 s9, exec_lo
	v_cmpx_eq_u16_e32 0x80, v19
; %bb.2663:
	s_xor_b32 s5, exec_lo, -1
; %bb.2664:
	s_or_b32 exec_lo, exec_lo, s9
	s_delay_alu instid0(SALU_CYCLE_1)
	s_and_b32 s5, s5, exec_lo
	s_or_saveexec_b32 s8, s8
	v_mov_b64_e32 v[14:15], 0x7ff8000020000000
	s_xor_b32 exec_lo, exec_lo, s8
	s_cbranch_execnz .LBB102_2683
.LBB102_2665:
	s_or_b32 exec_lo, exec_lo, s8
	s_and_saveexec_b32 s8, s5
	s_cbranch_execz .LBB102_2667
.LBB102_2666:
	v_and_b32_e32 v14, 0xffff, v19
	s_delay_alu instid0(VALU_DEP_1) | instskip(SKIP_1) | instid1(VALU_DEP_2)
	v_and_b32_e32 v15, 7, v14
	v_bfe_u32 v22, v14, 3, 4
	v_clz_i32_u32_e32 v20, v15
	s_delay_alu instid0(VALU_DEP_2) | instskip(NEXT) | instid1(VALU_DEP_2)
	v_cmp_eq_u32_e32 vcc_lo, 0, v22
	v_min_u32_e32 v20, 32, v20
	s_delay_alu instid0(VALU_DEP_1) | instskip(NEXT) | instid1(VALU_DEP_1)
	v_subrev_nc_u32_e32 v21, 28, v20
	v_dual_lshlrev_b32 v14, v21, v14 :: v_dual_sub_nc_u32 v20, 29, v20
	s_delay_alu instid0(VALU_DEP_1) | instskip(NEXT) | instid1(VALU_DEP_1)
	v_dual_lshlrev_b32 v19, 24, v19 :: v_dual_bitop2_b32 v14, 7, v14 bitop3:0x40
	v_dual_cndmask_b32 v20, v22, v20, vcc_lo :: v_dual_cndmask_b32 v14, v15, v14, vcc_lo
	s_delay_alu instid0(VALU_DEP_2) | instskip(NEXT) | instid1(VALU_DEP_2)
	v_and_b32_e32 v15, 0x80000000, v19
	v_lshl_add_u32 v19, v20, 23, 0x3b800000
	s_delay_alu instid0(VALU_DEP_3) | instskip(NEXT) | instid1(VALU_DEP_1)
	v_lshlrev_b32_e32 v14, 20, v14
	v_or3_b32 v14, v15, v19, v14
	s_delay_alu instid0(VALU_DEP_1)
	v_cvt_f64_f32_e32 v[14:15], v14
.LBB102_2667:
	s_or_b32 exec_lo, exec_lo, s8
.LBB102_2668:
	s_mov_b32 s5, -1
.LBB102_2669:
	s_mov_b32 s8, 0
.LBB102_2670:
	s_delay_alu instid0(SALU_CYCLE_1)
	s_and_b32 vcc_lo, exec_lo, s8
	s_cbranch_vccz .LBB102_2703
; %bb.2671:
	s_cmp_gt_i32 s0, 22
	s_cbranch_scc0 .LBB102_2681
; %bb.2672:
	s_cmp_lt_i32 s0, 24
	s_cbranch_scc1 .LBB102_2684
; %bb.2673:
	s_cmp_gt_i32 s0, 24
	s_cbranch_scc0 .LBB102_2685
; %bb.2674:
	global_load_u8 v19, v[16:17], off
	s_mov_b32 s5, exec_lo
	s_wait_loadcnt 0x0
	v_cmpx_lt_i16_e32 0x7f, v19
	s_xor_b32 s5, exec_lo, s5
	s_cbranch_execz .LBB102_2697
; %bb.2675:
	s_mov_b32 s4, -1
	s_mov_b32 s8, exec_lo
	v_cmpx_eq_u16_e32 0x80, v19
; %bb.2676:
	s_xor_b32 s4, exec_lo, -1
; %bb.2677:
	s_or_b32 exec_lo, exec_lo, s8
	s_delay_alu instid0(SALU_CYCLE_1)
	s_and_b32 s4, s4, exec_lo
	s_or_saveexec_b32 s5, s5
	v_mov_b64_e32 v[14:15], 0x7ff8000020000000
	s_xor_b32 exec_lo, exec_lo, s5
	s_cbranch_execnz .LBB102_2698
.LBB102_2678:
	s_or_b32 exec_lo, exec_lo, s5
	s_and_saveexec_b32 s5, s4
	s_cbranch_execz .LBB102_2680
.LBB102_2679:
	v_and_b32_e32 v14, 0xffff, v19
	s_delay_alu instid0(VALU_DEP_1) | instskip(SKIP_1) | instid1(VALU_DEP_2)
	v_and_b32_e32 v15, 3, v14
	v_bfe_u32 v22, v14, 2, 5
	v_clz_i32_u32_e32 v20, v15
	s_delay_alu instid0(VALU_DEP_2) | instskip(NEXT) | instid1(VALU_DEP_2)
	v_cmp_eq_u32_e32 vcc_lo, 0, v22
	v_min_u32_e32 v20, 32, v20
	s_delay_alu instid0(VALU_DEP_1) | instskip(NEXT) | instid1(VALU_DEP_1)
	v_subrev_nc_u32_e32 v21, 29, v20
	v_dual_lshlrev_b32 v14, v21, v14 :: v_dual_sub_nc_u32 v20, 30, v20
	s_delay_alu instid0(VALU_DEP_1) | instskip(NEXT) | instid1(VALU_DEP_1)
	v_dual_lshlrev_b32 v19, 24, v19 :: v_dual_bitop2_b32 v14, 3, v14 bitop3:0x40
	v_dual_cndmask_b32 v20, v22, v20, vcc_lo :: v_dual_cndmask_b32 v14, v15, v14, vcc_lo
	s_delay_alu instid0(VALU_DEP_2) | instskip(NEXT) | instid1(VALU_DEP_2)
	v_and_b32_e32 v15, 0x80000000, v19
	v_lshl_add_u32 v19, v20, 23, 0x37800000
	s_delay_alu instid0(VALU_DEP_3) | instskip(NEXT) | instid1(VALU_DEP_1)
	v_lshlrev_b32_e32 v14, 21, v14
	v_or3_b32 v14, v15, v19, v14
	s_delay_alu instid0(VALU_DEP_1)
	v_cvt_f64_f32_e32 v[14:15], v14
.LBB102_2680:
	s_or_b32 exec_lo, exec_lo, s5
	s_mov_b32 s4, 0
	s_branch .LBB102_2686
.LBB102_2681:
	s_mov_b32 s4, -1
                                        ; implicit-def: $vgpr14_vgpr15
	s_branch .LBB102_2692
.LBB102_2682:
	s_or_saveexec_b32 s8, s8
	v_mov_b64_e32 v[14:15], 0x7ff8000020000000
	s_xor_b32 exec_lo, exec_lo, s8
	s_cbranch_execz .LBB102_2665
.LBB102_2683:
	v_cmp_ne_u16_e32 vcc_lo, 0, v19
	v_mov_b64_e32 v[14:15], 0
	s_and_not1_b32 s5, s5, exec_lo
	s_and_b32 s9, vcc_lo, exec_lo
	s_delay_alu instid0(SALU_CYCLE_1)
	s_or_b32 s5, s5, s9
	s_or_b32 exec_lo, exec_lo, s8
	s_and_saveexec_b32 s8, s5
	s_cbranch_execnz .LBB102_2666
	s_branch .LBB102_2667
.LBB102_2684:
	s_mov_b32 s4, -1
                                        ; implicit-def: $vgpr14_vgpr15
	s_branch .LBB102_2689
.LBB102_2685:
	s_mov_b32 s4, -1
                                        ; implicit-def: $vgpr14_vgpr15
.LBB102_2686:
	s_delay_alu instid0(SALU_CYCLE_1)
	s_and_b32 vcc_lo, exec_lo, s4
	s_cbranch_vccz .LBB102_2688
; %bb.2687:
	global_load_u8 v14, v[16:17], off
	s_wait_loadcnt 0x0
	v_lshlrev_b32_e32 v14, 24, v14
	s_delay_alu instid0(VALU_DEP_1) | instskip(NEXT) | instid1(VALU_DEP_1)
	v_and_b32_e32 v15, 0x7f000000, v14
	v_clz_i32_u32_e32 v19, v15
	v_add_nc_u32_e32 v21, 0x1000000, v15
	v_cmp_ne_u32_e32 vcc_lo, 0, v15
	s_delay_alu instid0(VALU_DEP_3) | instskip(NEXT) | instid1(VALU_DEP_1)
	v_min_u32_e32 v19, 32, v19
	v_sub_nc_u32_e64 v19, v19, 4 clamp
	s_delay_alu instid0(VALU_DEP_1) | instskip(NEXT) | instid1(VALU_DEP_1)
	v_lshlrev_b32_e32 v20, v19, v15
	v_dual_lshlrev_b32 v19, 23, v19 :: v_dual_lshrrev_b32 v20, 4, v20
	s_delay_alu instid0(VALU_DEP_1) | instskip(NEXT) | instid1(VALU_DEP_1)
	v_dual_sub_nc_u32 v19, v20, v19 :: v_dual_ashrrev_i32 v20, 8, v21
	v_add_nc_u32_e32 v19, 0x3c000000, v19
	s_delay_alu instid0(VALU_DEP_1) | instskip(NEXT) | instid1(VALU_DEP_1)
	v_and_or_b32 v19, 0x7f800000, v20, v19
	v_cndmask_b32_e32 v15, 0, v19, vcc_lo
	s_delay_alu instid0(VALU_DEP_1) | instskip(NEXT) | instid1(VALU_DEP_1)
	v_and_or_b32 v14, 0x80000000, v14, v15
	v_cvt_f64_f32_e32 v[14:15], v14
.LBB102_2688:
	s_mov_b32 s4, 0
.LBB102_2689:
	s_delay_alu instid0(SALU_CYCLE_1)
	s_and_not1_b32 vcc_lo, exec_lo, s4
	s_cbranch_vccnz .LBB102_2691
; %bb.2690:
	global_load_u8 v14, v[16:17], off
	s_wait_loadcnt 0x0
	v_lshlrev_b32_e32 v15, 25, v14
	v_lshlrev_b16 v14, 8, v14
	s_delay_alu instid0(VALU_DEP_1) | instskip(SKIP_1) | instid1(VALU_DEP_2)
	v_and_or_b32 v20, 0x7f00, v14, 0.5
	v_bfe_i32 v14, v14, 0, 16
	v_dual_add_f32 v20, -0.5, v20 :: v_dual_lshrrev_b32 v19, 4, v15
	v_cmp_gt_u32_e32 vcc_lo, 0x8000000, v15
	s_delay_alu instid0(VALU_DEP_2) | instskip(NEXT) | instid1(VALU_DEP_1)
	v_or_b32_e32 v19, 0x70000000, v19
	v_mul_f32_e32 v19, 0x7800000, v19
	s_delay_alu instid0(VALU_DEP_1) | instskip(NEXT) | instid1(VALU_DEP_1)
	v_cndmask_b32_e32 v15, v19, v20, vcc_lo
	v_and_or_b32 v14, 0x80000000, v14, v15
	s_delay_alu instid0(VALU_DEP_1)
	v_cvt_f64_f32_e32 v[14:15], v14
.LBB102_2691:
	s_mov_b32 s4, 0
	s_mov_b32 s5, -1
.LBB102_2692:
	s_and_not1_b32 vcc_lo, exec_lo, s4
	s_mov_b32 s4, 0
	s_cbranch_vccnz .LBB102_2703
; %bb.2693:
	s_cmp_gt_i32 s0, 14
	s_cbranch_scc0 .LBB102_2696
; %bb.2694:
	s_cmp_eq_u32 s0, 15
	s_cbranch_scc0 .LBB102_2699
; %bb.2695:
	global_load_u16 v14, v[16:17], off
	s_mov_b32 s1, 0
	s_mov_b32 s5, -1
	s_wait_loadcnt 0x0
	v_lshlrev_b32_e32 v14, 16, v14
	s_delay_alu instid0(VALU_DEP_1)
	v_cvt_f64_f32_e32 v[14:15], v14
	s_branch .LBB102_2701
.LBB102_2696:
	s_mov_b32 s4, -1
	s_branch .LBB102_2700
.LBB102_2697:
	s_or_saveexec_b32 s5, s5
	v_mov_b64_e32 v[14:15], 0x7ff8000020000000
	s_xor_b32 exec_lo, exec_lo, s5
	s_cbranch_execz .LBB102_2678
.LBB102_2698:
	v_cmp_ne_u16_e32 vcc_lo, 0, v19
	v_mov_b64_e32 v[14:15], 0
	s_and_not1_b32 s4, s4, exec_lo
	s_and_b32 s8, vcc_lo, exec_lo
	s_delay_alu instid0(SALU_CYCLE_1)
	s_or_b32 s4, s4, s8
	s_or_b32 exec_lo, exec_lo, s5
	s_and_saveexec_b32 s5, s4
	s_cbranch_execnz .LBB102_2679
	s_branch .LBB102_2680
.LBB102_2699:
	s_mov_b32 s1, -1
.LBB102_2700:
                                        ; implicit-def: $vgpr14_vgpr15
.LBB102_2701:
	s_and_b32 vcc_lo, exec_lo, s4
	s_mov_b32 s4, 0
	s_cbranch_vccz .LBB102_2703
; %bb.2702:
	s_cmp_lg_u32 s0, 11
	s_mov_b32 s4, -1
	s_cselect_b32 s1, -1, 0
.LBB102_2703:
	s_delay_alu instid0(SALU_CYCLE_1)
	s_and_b32 vcc_lo, exec_lo, s1
	s_cbranch_vccnz .LBB102_3236
; %bb.2704:
	s_and_not1_b32 vcc_lo, exec_lo, s4
	s_cbranch_vccnz .LBB102_2706
.LBB102_2705:
	global_load_u8 v14, v[16:17], off
	s_mov_b32 s5, -1
	s_wait_loadcnt 0x0
	v_cmp_ne_u16_e32 vcc_lo, 0, v14
	v_mov_b32_e32 v14, 0
	v_cndmask_b32_e64 v15, 0, 0x3ff00000, vcc_lo
.LBB102_2706:
	s_mov_b32 s1, 0
.LBB102_2707:
	s_delay_alu instid0(SALU_CYCLE_1)
	s_and_b32 vcc_lo, exec_lo, s1
	s_cbranch_vccz .LBB102_2756
; %bb.2708:
	s_cmp_lt_i32 s0, 5
	s_cbranch_scc1 .LBB102_2713
; %bb.2709:
	s_cmp_lt_i32 s0, 8
	s_cbranch_scc1 .LBB102_2714
	;; [unrolled: 3-line block ×3, first 2 shown]
; %bb.2711:
	s_cmp_gt_i32 s0, 9
	s_cbranch_scc0 .LBB102_2716
; %bb.2712:
	global_load_b64 v[14:15], v[16:17], off
	s_mov_b32 s1, 0
	s_branch .LBB102_2717
.LBB102_2713:
	s_mov_b32 s1, -1
                                        ; implicit-def: $vgpr14_vgpr15
	s_branch .LBB102_2735
.LBB102_2714:
	s_mov_b32 s1, -1
                                        ; implicit-def: $vgpr14_vgpr15
	s_branch .LBB102_2723
.LBB102_2715:
	s_mov_b32 s1, -1
                                        ; implicit-def: $vgpr14_vgpr15
	s_branch .LBB102_2720
.LBB102_2716:
	s_mov_b32 s1, -1
                                        ; implicit-def: $vgpr14_vgpr15
.LBB102_2717:
	s_delay_alu instid0(SALU_CYCLE_1)
	s_and_not1_b32 vcc_lo, exec_lo, s1
	s_cbranch_vccnz .LBB102_2719
; %bb.2718:
	s_wait_loadcnt 0x0
	global_load_b32 v14, v[16:17], off
	s_wait_loadcnt 0x0
	v_cvt_f64_f32_e32 v[14:15], v14
.LBB102_2719:
	s_mov_b32 s1, 0
.LBB102_2720:
	s_delay_alu instid0(SALU_CYCLE_1)
	s_and_not1_b32 vcc_lo, exec_lo, s1
	s_cbranch_vccnz .LBB102_2722
; %bb.2721:
	s_wait_loadcnt 0x0
	global_load_b32 v14, v[16:17], off
	s_wait_loadcnt 0x0
	v_cvt_f32_f16_e32 v14, v14
	s_delay_alu instid0(VALU_DEP_1)
	v_cvt_f64_f32_e32 v[14:15], v14
.LBB102_2722:
	s_mov_b32 s1, 0
.LBB102_2723:
	s_delay_alu instid0(SALU_CYCLE_1)
	s_and_not1_b32 vcc_lo, exec_lo, s1
	s_cbranch_vccnz .LBB102_2734
; %bb.2724:
	s_cmp_lt_i32 s0, 6
	s_cbranch_scc1 .LBB102_2727
; %bb.2725:
	s_cmp_gt_i32 s0, 6
	s_cbranch_scc0 .LBB102_2728
; %bb.2726:
	s_wait_loadcnt 0x0
	global_load_b64 v[14:15], v[16:17], off
	s_mov_b32 s1, 0
	s_branch .LBB102_2729
.LBB102_2727:
	s_mov_b32 s1, -1
                                        ; implicit-def: $vgpr14_vgpr15
	s_branch .LBB102_2732
.LBB102_2728:
	s_mov_b32 s1, -1
                                        ; implicit-def: $vgpr14_vgpr15
.LBB102_2729:
	s_delay_alu instid0(SALU_CYCLE_1)
	s_and_not1_b32 vcc_lo, exec_lo, s1
	s_cbranch_vccnz .LBB102_2731
; %bb.2730:
	s_wait_loadcnt 0x0
	global_load_b32 v14, v[16:17], off
	s_wait_loadcnt 0x0
	v_cvt_f64_f32_e32 v[14:15], v14
.LBB102_2731:
	s_mov_b32 s1, 0
.LBB102_2732:
	s_delay_alu instid0(SALU_CYCLE_1)
	s_and_not1_b32 vcc_lo, exec_lo, s1
	s_cbranch_vccnz .LBB102_2734
; %bb.2733:
	s_wait_loadcnt 0x0
	global_load_u16 v14, v[16:17], off
	s_wait_loadcnt 0x0
	v_cvt_f32_f16_e32 v14, v14
	s_delay_alu instid0(VALU_DEP_1)
	v_cvt_f64_f32_e32 v[14:15], v14
.LBB102_2734:
	s_mov_b32 s1, 0
.LBB102_2735:
	s_delay_alu instid0(SALU_CYCLE_1)
	s_and_not1_b32 vcc_lo, exec_lo, s1
	s_cbranch_vccnz .LBB102_2755
; %bb.2736:
	s_cmp_lt_i32 s0, 2
	s_cbranch_scc1 .LBB102_2740
; %bb.2737:
	s_cmp_lt_i32 s0, 3
	s_cbranch_scc1 .LBB102_2741
; %bb.2738:
	s_cmp_gt_i32 s0, 3
	s_cbranch_scc0 .LBB102_2742
; %bb.2739:
	s_wait_loadcnt 0x0
	global_load_b64 v[14:15], v[16:17], off
	s_mov_b32 s1, 0
	s_wait_loadcnt 0x0
	v_cvt_f64_i32_e32 v[20:21], v15
	v_cvt_f64_u32_e32 v[14:15], v14
	s_delay_alu instid0(VALU_DEP_2) | instskip(NEXT) | instid1(VALU_DEP_1)
	v_ldexp_f64 v[20:21], v[20:21], 32
	v_add_f64_e32 v[14:15], v[20:21], v[14:15]
	s_branch .LBB102_2743
.LBB102_2740:
	s_mov_b32 s1, -1
                                        ; implicit-def: $vgpr14_vgpr15
	s_branch .LBB102_2749
.LBB102_2741:
	s_mov_b32 s1, -1
                                        ; implicit-def: $vgpr14_vgpr15
	s_branch .LBB102_2746
.LBB102_2742:
	s_mov_b32 s1, -1
                                        ; implicit-def: $vgpr14_vgpr15
.LBB102_2743:
	s_delay_alu instid0(SALU_CYCLE_1)
	s_and_not1_b32 vcc_lo, exec_lo, s1
	s_cbranch_vccnz .LBB102_2745
; %bb.2744:
	s_wait_loadcnt 0x0
	global_load_b32 v14, v[16:17], off
	s_wait_loadcnt 0x0
	v_cvt_f64_i32_e32 v[14:15], v14
.LBB102_2745:
	s_mov_b32 s1, 0
.LBB102_2746:
	s_delay_alu instid0(SALU_CYCLE_1)
	s_and_not1_b32 vcc_lo, exec_lo, s1
	s_cbranch_vccnz .LBB102_2748
; %bb.2747:
	s_wait_loadcnt 0x0
	global_load_i16 v14, v[16:17], off
	s_wait_loadcnt 0x0
	v_cvt_f64_i32_e32 v[14:15], v14
.LBB102_2748:
	s_mov_b32 s1, 0
.LBB102_2749:
	s_delay_alu instid0(SALU_CYCLE_1)
	s_and_not1_b32 vcc_lo, exec_lo, s1
	s_cbranch_vccnz .LBB102_2755
; %bb.2750:
	s_cmp_gt_i32 s0, 0
	s_mov_b32 s0, 0
	s_cbranch_scc0 .LBB102_2752
; %bb.2751:
	s_wait_loadcnt 0x0
	global_load_i8 v14, v[16:17], off
	s_wait_loadcnt 0x0
	v_cvt_f64_i32_e32 v[14:15], v14
	s_branch .LBB102_2753
.LBB102_2752:
	s_mov_b32 s0, -1
                                        ; implicit-def: $vgpr14_vgpr15
.LBB102_2753:
	s_delay_alu instid0(SALU_CYCLE_1)
	s_and_not1_b32 vcc_lo, exec_lo, s0
	s_cbranch_vccnz .LBB102_2755
; %bb.2754:
	s_wait_loadcnt 0x0
	global_load_u8 v14, v[16:17], off
	s_wait_loadcnt 0x0
	v_cvt_f64_u32_e32 v[14:15], v14
.LBB102_2755:
	s_mov_b32 s5, -1
.LBB102_2756:
	s_delay_alu instid0(SALU_CYCLE_1)
	s_and_not1_b32 vcc_lo, exec_lo, s5
	s_cbranch_vccnz .LBB102_3190
; %bb.2757:
	s_wait_loadcnt 0x0
	v_mul_f64_e32 v[0:1], s[6:7], v[0:1]
	s_wait_xcnt 0x0
	v_mul_lo_u32 v16, s12, v18
	s_and_b32 s19, s13, 0xff
	s_delay_alu instid0(SALU_CYCLE_1) | instskip(NEXT) | instid1(VALU_DEP_1)
	s_cmp_lt_i32 s19, 11
	v_ashrrev_i32_e32 v17, 31, v16
	s_delay_alu instid0(VALU_DEP_1) | instskip(NEXT) | instid1(VALU_DEP_4)
	v_add_nc_u64_e32 v[18:19], s[2:3], v[16:17]
	v_mul_f64_e32 v[0:1], v[0:1], v[2:3]
	s_cbranch_scc1 .LBB102_2835
; %bb.2758:
	s_and_b32 s1, 0xffff, s19
	s_mov_b32 s8, -1
	s_mov_b32 s4, 0
	s_cmp_gt_i32 s1, 25
	s_mov_b32 s5, 0
	s_mov_b32 s0, 0
	s_cbranch_scc0 .LBB102_2791
; %bb.2759:
	s_cmp_gt_i32 s1, 28
	s_cbranch_scc0 .LBB102_2774
; %bb.2760:
	s_cmp_gt_i32 s1, 43
	;; [unrolled: 3-line block ×3, first 2 shown]
	s_cbranch_scc0 .LBB102_2764
; %bb.2762:
	s_mov_b32 s0, -1
	s_mov_b32 s8, 0
	s_cmp_eq_u32 s1, 46
	s_cbranch_scc0 .LBB102_2764
; %bb.2763:
	s_delay_alu instid0(VALU_DEP_1) | instskip(SKIP_2) | instid1(VALU_DEP_1)
	v_cvt_f32_f64_e32 v2, v[0:1]
	s_mov_b32 s0, 0
	s_mov_b32 s5, -1
	v_bfe_u32 v3, v2, 16, 1
	v_cmp_o_f32_e32 vcc_lo, v2, v2
	s_delay_alu instid0(VALU_DEP_2) | instskip(NEXT) | instid1(VALU_DEP_1)
	v_add3_u32 v3, v2, v3, 0x7fff
	v_lshrrev_b32_e32 v3, 16, v3
	s_delay_alu instid0(VALU_DEP_1)
	v_cndmask_b32_e32 v2, 0x7fc0, v3, vcc_lo
	global_store_b32 v[18:19], v2, off
.LBB102_2764:
	s_and_b32 vcc_lo, exec_lo, s8
	s_cbranch_vccz .LBB102_2769
; %bb.2765:
	s_cmp_eq_u32 s1, 44
	s_mov_b32 s0, -1
	s_cbranch_scc0 .LBB102_2769
; %bb.2766:
	s_wait_xcnt 0x0
	s_delay_alu instid0(VALU_DEP_1) | instskip(SKIP_2) | instid1(VALU_DEP_2)
	v_cvt_f32_f64_e32 v2, v[0:1]
	v_mov_b32_e32 v3, 0xff
	s_mov_b32 s5, exec_lo
	v_bfe_u32 v17, v2, 23, 8
	s_delay_alu instid0(VALU_DEP_1)
	v_cmpx_ne_u32_e32 0xff, v17
	s_cbranch_execz .LBB102_2768
; %bb.2767:
	v_and_b32_e32 v3, 0x400000, v2
	v_and_or_b32 v17, 0x3fffff, v2, v17
	v_lshrrev_b32_e32 v2, 23, v2
	s_delay_alu instid0(VALU_DEP_3) | instskip(NEXT) | instid1(VALU_DEP_3)
	v_cmp_ne_u32_e32 vcc_lo, 0, v3
	v_cmp_ne_u32_e64 s0, 0, v17
	s_and_b32 s0, vcc_lo, s0
	s_delay_alu instid0(SALU_CYCLE_1) | instskip(NEXT) | instid1(VALU_DEP_1)
	v_cndmask_b32_e64 v3, 0, 1, s0
	v_add_nc_u32_e32 v3, v2, v3
.LBB102_2768:
	s_or_b32 exec_lo, exec_lo, s5
	s_mov_b32 s0, 0
	s_mov_b32 s5, -1
	global_store_b8 v[18:19], v3, off
.LBB102_2769:
	s_mov_b32 s8, 0
.LBB102_2770:
	s_delay_alu instid0(SALU_CYCLE_1)
	s_and_b32 vcc_lo, exec_lo, s8
	s_cbranch_vccz .LBB102_2773
; %bb.2771:
	s_cmp_eq_u32 s1, 29
	s_mov_b32 s0, -1
	s_cbranch_scc0 .LBB102_2773
; %bb.2772:
	s_wait_xcnt 0x0
	s_delay_alu instid0(VALU_DEP_1) | instskip(SKIP_2) | instid1(VALU_DEP_1)
	v_trunc_f64_e32 v[2:3], v[0:1]
	s_mov_b32 s0, 0
	s_mov_b32 s5, -1
	v_ldexp_f64 v[20:21], v[2:3], 0xffffffe0
	s_delay_alu instid0(VALU_DEP_1) | instskip(NEXT) | instid1(VALU_DEP_1)
	v_floor_f64_e32 v[20:21], v[20:21]
	v_fmamk_f64 v[2:3], v[20:21], 0xc1f00000, v[2:3]
	v_cvt_u32_f64_e32 v21, v[20:21]
	s_delay_alu instid0(VALU_DEP_2)
	v_cvt_u32_f64_e32 v20, v[2:3]
	global_store_b64 v[18:19], v[20:21], off
.LBB102_2773:
	s_mov_b32 s8, 0
.LBB102_2774:
	s_delay_alu instid0(SALU_CYCLE_1)
	s_and_b32 vcc_lo, exec_lo, s8
	s_cbranch_vccz .LBB102_2790
; %bb.2775:
	s_cmp_lt_i32 s1, 27
	s_mov_b32 s5, -1
	s_cbranch_scc1 .LBB102_2781
; %bb.2776:
	s_wait_xcnt 0x0
	s_delay_alu instid0(VALU_DEP_1)
	v_cvt_u32_f64_e32 v2, v[0:1]
	s_cmp_gt_i32 s1, 27
	s_cbranch_scc0 .LBB102_2778
; %bb.2777:
	s_mov_b32 s5, 0
	global_store_b32 v[18:19], v2, off
.LBB102_2778:
	s_and_not1_b32 vcc_lo, exec_lo, s5
	s_cbranch_vccnz .LBB102_2780
; %bb.2779:
	global_store_b16 v[18:19], v2, off
.LBB102_2780:
	s_mov_b32 s5, 0
.LBB102_2781:
	s_delay_alu instid0(SALU_CYCLE_1)
	s_and_not1_b32 vcc_lo, exec_lo, s5
	s_cbranch_vccnz .LBB102_2789
; %bb.2782:
	s_wait_xcnt 0x0
	s_delay_alu instid0(VALU_DEP_1) | instskip(SKIP_2) | instid1(VALU_DEP_2)
	v_cvt_f32_f64_e32 v2, v[0:1]
	v_mov_b32_e32 v17, 0x80
	s_mov_b32 s5, exec_lo
	v_and_b32_e32 v3, 0x7fffffff, v2
	s_delay_alu instid0(VALU_DEP_1)
	v_cmpx_gt_u32_e32 0x43800000, v3
	s_cbranch_execz .LBB102_2788
; %bb.2783:
	v_cmp_lt_u32_e32 vcc_lo, 0x3bffffff, v3
	s_mov_b32 s8, 0
                                        ; implicit-def: $vgpr3
	s_and_saveexec_b32 s9, vcc_lo
	s_delay_alu instid0(SALU_CYCLE_1)
	s_xor_b32 s9, exec_lo, s9
	s_cbranch_execz .LBB102_3237
; %bb.2784:
	v_bfe_u32 v3, v2, 20, 1
	s_mov_b32 s8, exec_lo
	s_delay_alu instid0(VALU_DEP_1) | instskip(NEXT) | instid1(VALU_DEP_1)
	v_add3_u32 v3, v2, v3, 0x487ffff
	v_lshrrev_b32_e32 v3, 20, v3
	s_and_not1_saveexec_b32 s9, s9
	s_cbranch_execnz .LBB102_3238
.LBB102_2785:
	s_or_b32 exec_lo, exec_lo, s9
	v_mov_b32_e32 v17, 0
	s_and_saveexec_b32 s9, s8
.LBB102_2786:
	v_lshrrev_b32_e32 v2, 24, v2
	s_delay_alu instid0(VALU_DEP_1)
	v_and_or_b32 v17, 0x80, v2, v3
.LBB102_2787:
	s_or_b32 exec_lo, exec_lo, s9
.LBB102_2788:
	s_delay_alu instid0(SALU_CYCLE_1)
	s_or_b32 exec_lo, exec_lo, s5
	global_store_b8 v[18:19], v17, off
.LBB102_2789:
	s_mov_b32 s5, -1
.LBB102_2790:
	s_mov_b32 s8, 0
.LBB102_2791:
	s_delay_alu instid0(SALU_CYCLE_1)
	s_and_b32 vcc_lo, exec_lo, s8
	s_cbranch_vccz .LBB102_2831
; %bb.2792:
	s_cmp_gt_i32 s1, 22
	s_mov_b32 s4, -1
	s_cbranch_scc0 .LBB102_2824
; %bb.2793:
	s_cmp_lt_i32 s1, 24
	s_cbranch_scc1 .LBB102_2813
; %bb.2794:
	s_cmp_gt_i32 s1, 24
	s_cbranch_scc0 .LBB102_2802
; %bb.2795:
	s_wait_xcnt 0x0
	s_delay_alu instid0(VALU_DEP_1) | instskip(SKIP_2) | instid1(VALU_DEP_2)
	v_cvt_f32_f64_e32 v2, v[0:1]
	v_mov_b32_e32 v17, 0x80
	s_mov_b32 s4, exec_lo
	v_and_b32_e32 v3, 0x7fffffff, v2
	s_delay_alu instid0(VALU_DEP_1)
	v_cmpx_gt_u32_e32 0x47800000, v3
	s_cbranch_execz .LBB102_2801
; %bb.2796:
	v_cmp_lt_u32_e32 vcc_lo, 0x37ffffff, v3
	s_mov_b32 s5, 0
                                        ; implicit-def: $vgpr3
	s_and_saveexec_b32 s8, vcc_lo
	s_delay_alu instid0(SALU_CYCLE_1)
	s_xor_b32 s8, exec_lo, s8
	s_cbranch_execz .LBB102_3240
; %bb.2797:
	v_bfe_u32 v3, v2, 21, 1
	s_mov_b32 s5, exec_lo
	s_delay_alu instid0(VALU_DEP_1) | instskip(NEXT) | instid1(VALU_DEP_1)
	v_add3_u32 v3, v2, v3, 0x88fffff
	v_lshrrev_b32_e32 v3, 21, v3
	s_and_not1_saveexec_b32 s8, s8
	s_cbranch_execnz .LBB102_3241
.LBB102_2798:
	s_or_b32 exec_lo, exec_lo, s8
	v_mov_b32_e32 v17, 0
	s_and_saveexec_b32 s8, s5
.LBB102_2799:
	v_lshrrev_b32_e32 v2, 24, v2
	s_delay_alu instid0(VALU_DEP_1)
	v_and_or_b32 v17, 0x80, v2, v3
.LBB102_2800:
	s_or_b32 exec_lo, exec_lo, s8
.LBB102_2801:
	s_delay_alu instid0(SALU_CYCLE_1)
	s_or_b32 exec_lo, exec_lo, s4
	s_mov_b32 s4, 0
	global_store_b8 v[18:19], v17, off
.LBB102_2802:
	s_and_b32 vcc_lo, exec_lo, s4
	s_cbranch_vccz .LBB102_2812
; %bb.2803:
	s_wait_xcnt 0x0
	s_delay_alu instid0(VALU_DEP_1) | instskip(SKIP_1) | instid1(VALU_DEP_1)
	v_cvt_f32_f64_e32 v2, v[0:1]
	s_mov_b32 s4, exec_lo
                                        ; implicit-def: $vgpr3
	v_and_b32_e32 v17, 0x7fffffff, v2
	s_delay_alu instid0(VALU_DEP_1)
	v_cmpx_gt_u32_e32 0x43f00000, v17
	s_xor_b32 s4, exec_lo, s4
	s_cbranch_execz .LBB102_2809
; %bb.2804:
	s_mov_b32 s5, exec_lo
                                        ; implicit-def: $vgpr3
	v_cmpx_lt_u32_e32 0x3c7fffff, v17
	s_xor_b32 s5, exec_lo, s5
; %bb.2805:
	v_bfe_u32 v3, v2, 20, 1
	s_delay_alu instid0(VALU_DEP_1) | instskip(NEXT) | instid1(VALU_DEP_1)
	v_add3_u32 v3, v2, v3, 0x407ffff
	v_and_b32_e32 v17, 0xff00000, v3
	v_lshrrev_b32_e32 v3, 20, v3
	s_delay_alu instid0(VALU_DEP_2) | instskip(NEXT) | instid1(VALU_DEP_2)
	v_cmp_ne_u32_e32 vcc_lo, 0x7f00000, v17
	v_cndmask_b32_e32 v3, 0x7e, v3, vcc_lo
; %bb.2806:
	s_and_not1_saveexec_b32 s5, s5
; %bb.2807:
	v_add_f32_e64 v3, 0x46800000, |v2|
; %bb.2808:
	s_or_b32 exec_lo, exec_lo, s5
                                        ; implicit-def: $vgpr17
.LBB102_2809:
	s_and_not1_saveexec_b32 s4, s4
; %bb.2810:
	v_mov_b32_e32 v3, 0x7f
	v_cmp_lt_u32_e32 vcc_lo, 0x7f800000, v17
	s_delay_alu instid0(VALU_DEP_2)
	v_cndmask_b32_e32 v3, 0x7e, v3, vcc_lo
; %bb.2811:
	s_or_b32 exec_lo, exec_lo, s4
	v_lshrrev_b32_e32 v2, 24, v2
	s_delay_alu instid0(VALU_DEP_1)
	v_and_or_b32 v2, 0x80, v2, v3
	global_store_b8 v[18:19], v2, off
.LBB102_2812:
	s_mov_b32 s4, 0
.LBB102_2813:
	s_delay_alu instid0(SALU_CYCLE_1)
	s_and_not1_b32 vcc_lo, exec_lo, s4
	s_cbranch_vccnz .LBB102_2823
; %bb.2814:
	s_wait_xcnt 0x0
	s_delay_alu instid0(VALU_DEP_1) | instskip(SKIP_1) | instid1(VALU_DEP_1)
	v_cvt_f32_f64_e32 v2, v[0:1]
	s_mov_b32 s4, exec_lo
                                        ; implicit-def: $vgpr3
	v_and_b32_e32 v17, 0x7fffffff, v2
	s_delay_alu instid0(VALU_DEP_1)
	v_cmpx_gt_u32_e32 0x47800000, v17
	s_xor_b32 s4, exec_lo, s4
	s_cbranch_execz .LBB102_2820
; %bb.2815:
	s_mov_b32 s5, exec_lo
                                        ; implicit-def: $vgpr3
	v_cmpx_lt_u32_e32 0x387fffff, v17
	s_xor_b32 s5, exec_lo, s5
; %bb.2816:
	v_bfe_u32 v3, v2, 21, 1
	s_delay_alu instid0(VALU_DEP_1) | instskip(NEXT) | instid1(VALU_DEP_1)
	v_add3_u32 v3, v2, v3, 0x80fffff
	v_lshrrev_b32_e32 v3, 21, v3
; %bb.2817:
	s_and_not1_saveexec_b32 s5, s5
; %bb.2818:
	v_add_f32_e64 v3, 0x43000000, |v2|
; %bb.2819:
	s_or_b32 exec_lo, exec_lo, s5
                                        ; implicit-def: $vgpr17
.LBB102_2820:
	s_and_not1_saveexec_b32 s4, s4
; %bb.2821:
	v_mov_b32_e32 v3, 0x7f
	v_cmp_lt_u32_e32 vcc_lo, 0x7f800000, v17
	s_delay_alu instid0(VALU_DEP_2)
	v_cndmask_b32_e32 v3, 0x7c, v3, vcc_lo
; %bb.2822:
	s_or_b32 exec_lo, exec_lo, s4
	v_lshrrev_b32_e32 v2, 24, v2
	s_delay_alu instid0(VALU_DEP_1)
	v_and_or_b32 v2, 0x80, v2, v3
	global_store_b8 v[18:19], v2, off
.LBB102_2823:
	s_mov_b32 s4, 0
	s_mov_b32 s5, -1
.LBB102_2824:
	s_and_not1_b32 vcc_lo, exec_lo, s4
	s_mov_b32 s4, 0
	s_cbranch_vccnz .LBB102_2831
; %bb.2825:
	s_cmp_gt_i32 s1, 14
	s_mov_b32 s4, -1
	s_cbranch_scc0 .LBB102_2829
; %bb.2826:
	s_cmp_eq_u32 s1, 15
	s_mov_b32 s0, -1
	s_cbranch_scc0 .LBB102_2828
; %bb.2827:
	s_wait_xcnt 0x0
	s_delay_alu instid0(VALU_DEP_1) | instskip(SKIP_2) | instid1(VALU_DEP_1)
	v_cvt_f32_f64_e32 v2, v[0:1]
	s_mov_b32 s0, 0
	s_mov_b32 s5, -1
	v_bfe_u32 v3, v2, 16, 1
	v_cmp_o_f32_e32 vcc_lo, v2, v2
	s_delay_alu instid0(VALU_DEP_2) | instskip(NEXT) | instid1(VALU_DEP_1)
	v_add3_u32 v3, v2, v3, 0x7fff
	v_lshrrev_b32_e32 v3, 16, v3
	s_delay_alu instid0(VALU_DEP_1)
	v_cndmask_b32_e32 v2, 0x7fc0, v3, vcc_lo
	global_store_b16 v[18:19], v2, off
.LBB102_2828:
	s_mov_b32 s4, 0
.LBB102_2829:
	s_delay_alu instid0(SALU_CYCLE_1)
	s_and_b32 vcc_lo, exec_lo, s4
	s_mov_b32 s4, 0
	s_cbranch_vccz .LBB102_2831
; %bb.2830:
	s_cmp_lg_u32 s1, 11
	s_mov_b32 s4, -1
	s_cselect_b32 s0, -1, 0
.LBB102_2831:
	s_delay_alu instid0(SALU_CYCLE_1)
	s_and_b32 vcc_lo, exec_lo, s0
	s_cbranch_vccnz .LBB102_3239
; %bb.2832:
	s_and_not1_b32 vcc_lo, exec_lo, s4
	s_cbranch_vccnz .LBB102_2834
.LBB102_2833:
	s_delay_alu instid0(VALU_DEP_1)
	v_cmp_neq_f64_e32 vcc_lo, 0, v[0:1]
	s_mov_b32 s5, -1
	s_wait_xcnt 0x0
	v_cndmask_b32_e64 v2, 0, 1, vcc_lo
	global_store_b8 v[18:19], v2, off
.LBB102_2834:
	s_mov_b32 s0, 0
	s_branch .LBB102_2836
.LBB102_2835:
	s_mov_b32 s0, -1
	s_mov_b32 s5, 0
.LBB102_2836:
	s_and_b32 vcc_lo, exec_lo, s0
	s_cbranch_vccz .LBB102_2875
; %bb.2837:
	s_and_b32 s0, 0xffff, s19
	s_mov_b32 s1, -1
	s_cmp_lt_i32 s0, 5
	s_cbranch_scc1 .LBB102_2858
; %bb.2838:
	s_cmp_lt_i32 s0, 8
	s_cbranch_scc1 .LBB102_2848
; %bb.2839:
	;; [unrolled: 3-line block ×3, first 2 shown]
	s_cmp_gt_i32 s0, 9
	s_cbranch_scc0 .LBB102_2842
; %bb.2841:
	s_wait_xcnt 0x0
	v_mov_b32_e32 v2, 0
	s_mov_b32 s1, 0
	s_delay_alu instid0(VALU_DEP_1)
	v_mov_b32_e32 v3, v2
	global_store_b128 v[18:19], v[0:3], off
.LBB102_2842:
	s_and_not1_b32 vcc_lo, exec_lo, s1
	s_cbranch_vccnz .LBB102_2844
; %bb.2843:
	s_wait_xcnt 0x0
	s_delay_alu instid0(VALU_DEP_1)
	v_cvt_f32_f64_e32 v2, v[0:1]
	v_mov_b32_e32 v3, 0
	global_store_b64 v[18:19], v[2:3], off
.LBB102_2844:
	s_mov_b32 s1, 0
.LBB102_2845:
	s_delay_alu instid0(SALU_CYCLE_1)
	s_and_not1_b32 vcc_lo, exec_lo, s1
	s_cbranch_vccnz .LBB102_2847
; %bb.2846:
	s_wait_xcnt 0x0
	s_delay_alu instid0(VALU_DEP_1) | instskip(SKIP_2) | instid1(VALU_DEP_3)
	v_and_or_b32 v2, 0x1ff, v1, v0
	v_lshrrev_b32_e32 v3, 8, v1
	v_bfe_u32 v17, v1, 20, 11
	v_cmp_ne_u32_e32 vcc_lo, 0, v2
	s_delay_alu instid0(VALU_DEP_2) | instskip(SKIP_2) | instid1(VALU_DEP_1)
	v_sub_nc_u32_e32 v20, 0x3f1, v17
	v_add_nc_u32_e32 v17, 0xfffffc10, v17
	v_cndmask_b32_e64 v2, 0, 1, vcc_lo
	v_and_or_b32 v2, 0xffe, v3, v2
	s_delay_alu instid0(VALU_DEP_4) | instskip(NEXT) | instid1(VALU_DEP_2)
	v_med3_i32 v3, v20, 0, 13
	v_or_b32_e32 v20, 0x1000, v2
	s_delay_alu instid0(VALU_DEP_1) | instskip(NEXT) | instid1(VALU_DEP_1)
	v_lshrrev_b32_e32 v21, v3, v20
	v_lshlrev_b32_e32 v3, v3, v21
	s_delay_alu instid0(VALU_DEP_1) | instskip(SKIP_3) | instid1(VALU_DEP_2)
	v_cmp_ne_u32_e32 vcc_lo, v3, v20
	v_lshl_or_b32 v20, v17, 12, v2
	v_cndmask_b32_e64 v3, 0, 1, vcc_lo
	v_cmp_gt_i32_e32 vcc_lo, 1, v17
	v_or_b32_e32 v3, v21, v3
	s_delay_alu instid0(VALU_DEP_1) | instskip(NEXT) | instid1(VALU_DEP_1)
	v_cndmask_b32_e32 v3, v20, v3, vcc_lo
	v_dual_lshrrev_b32 v3, 2, v3 :: v_dual_bitop2_b32 v20, 7, v3 bitop3:0x40
	s_delay_alu instid0(VALU_DEP_1) | instskip(SKIP_4) | instid1(VALU_DEP_2)
	v_cmp_lt_i32_e32 vcc_lo, 5, v20
	v_cndmask_b32_e64 v21, 0, 1, vcc_lo
	v_cmp_eq_u32_e32 vcc_lo, 3, v20
	v_cndmask_b32_e64 v20, 0, 1, vcc_lo
	v_cmp_ne_u32_e32 vcc_lo, 0, v2
	v_or_b32_e32 v20, v20, v21
	v_mov_b32_e32 v21, 0x7e00
	s_delay_alu instid0(VALU_DEP_1) | instskip(SKIP_1) | instid1(VALU_DEP_2)
	v_dual_cndmask_b32 v2, 0x7c00, v21 :: v_dual_add_nc_u32 v3, v3, v20
	v_cmp_gt_i32_e32 vcc_lo, 31, v17
	v_dual_cndmask_b32 v3, 0x7c00, v3 :: v_dual_lshrrev_b32 v20, 16, v1
	v_cmp_eq_u32_e32 vcc_lo, 0x40f, v17
	s_delay_alu instid0(VALU_DEP_2) | instskip(NEXT) | instid1(VALU_DEP_3)
	v_cndmask_b32_e32 v2, v3, v2, vcc_lo
	v_and_b32_e32 v3, 0x8000, v20
	s_delay_alu instid0(VALU_DEP_1)
	v_bitop3_b32 v2, v3, 0xffff, v2 bitop3:0xc8
	global_store_b32 v[18:19], v2, off
.LBB102_2847:
	s_mov_b32 s1, 0
.LBB102_2848:
	s_delay_alu instid0(SALU_CYCLE_1)
	s_and_not1_b32 vcc_lo, exec_lo, s1
	s_cbranch_vccnz .LBB102_2857
; %bb.2849:
	s_cmp_lt_i32 s0, 6
	s_mov_b32 s1, -1
	s_cbranch_scc1 .LBB102_2855
; %bb.2850:
	s_cmp_gt_i32 s0, 6
	s_cbranch_scc0 .LBB102_2852
; %bb.2851:
	s_mov_b32 s1, 0
	global_store_b64 v[18:19], v[0:1], off
.LBB102_2852:
	s_and_not1_b32 vcc_lo, exec_lo, s1
	s_cbranch_vccnz .LBB102_2854
; %bb.2853:
	s_wait_xcnt 0x0
	s_delay_alu instid0(VALU_DEP_1)
	v_cvt_f32_f64_e32 v2, v[0:1]
	global_store_b32 v[18:19], v2, off
.LBB102_2854:
	s_mov_b32 s1, 0
.LBB102_2855:
	s_delay_alu instid0(SALU_CYCLE_1)
	s_and_not1_b32 vcc_lo, exec_lo, s1
	s_cbranch_vccnz .LBB102_2857
; %bb.2856:
	s_wait_xcnt 0x0
	s_delay_alu instid0(VALU_DEP_1) | instskip(SKIP_2) | instid1(VALU_DEP_3)
	v_and_or_b32 v2, 0x1ff, v1, v0
	v_lshrrev_b32_e32 v3, 8, v1
	v_bfe_u32 v17, v1, 20, 11
	v_cmp_ne_u32_e32 vcc_lo, 0, v2
	s_delay_alu instid0(VALU_DEP_2) | instskip(SKIP_2) | instid1(VALU_DEP_1)
	v_sub_nc_u32_e32 v20, 0x3f1, v17
	v_add_nc_u32_e32 v17, 0xfffffc10, v17
	v_cndmask_b32_e64 v2, 0, 1, vcc_lo
	v_and_or_b32 v2, 0xffe, v3, v2
	s_delay_alu instid0(VALU_DEP_4) | instskip(NEXT) | instid1(VALU_DEP_2)
	v_med3_i32 v3, v20, 0, 13
	v_or_b32_e32 v20, 0x1000, v2
	s_delay_alu instid0(VALU_DEP_1) | instskip(NEXT) | instid1(VALU_DEP_1)
	v_lshrrev_b32_e32 v21, v3, v20
	v_lshlrev_b32_e32 v3, v3, v21
	s_delay_alu instid0(VALU_DEP_1) | instskip(SKIP_3) | instid1(VALU_DEP_2)
	v_cmp_ne_u32_e32 vcc_lo, v3, v20
	v_lshl_or_b32 v20, v17, 12, v2
	v_cndmask_b32_e64 v3, 0, 1, vcc_lo
	v_cmp_gt_i32_e32 vcc_lo, 1, v17
	v_or_b32_e32 v3, v21, v3
	s_delay_alu instid0(VALU_DEP_1) | instskip(NEXT) | instid1(VALU_DEP_1)
	v_cndmask_b32_e32 v3, v20, v3, vcc_lo
	v_dual_lshrrev_b32 v3, 2, v3 :: v_dual_bitop2_b32 v20, 7, v3 bitop3:0x40
	s_delay_alu instid0(VALU_DEP_1) | instskip(SKIP_4) | instid1(VALU_DEP_2)
	v_cmp_lt_i32_e32 vcc_lo, 5, v20
	v_cndmask_b32_e64 v21, 0, 1, vcc_lo
	v_cmp_eq_u32_e32 vcc_lo, 3, v20
	v_cndmask_b32_e64 v20, 0, 1, vcc_lo
	v_cmp_ne_u32_e32 vcc_lo, 0, v2
	v_or_b32_e32 v20, v20, v21
	v_mov_b32_e32 v21, 0x7e00
	s_delay_alu instid0(VALU_DEP_1) | instskip(SKIP_1) | instid1(VALU_DEP_2)
	v_dual_cndmask_b32 v2, 0x7c00, v21 :: v_dual_add_nc_u32 v3, v3, v20
	v_cmp_gt_i32_e32 vcc_lo, 31, v17
	v_cndmask_b32_e32 v3, 0x7c00, v3, vcc_lo
	v_cmp_eq_u32_e32 vcc_lo, 0x40f, v17
	s_delay_alu instid0(VALU_DEP_2) | instskip(NEXT) | instid1(VALU_DEP_1)
	v_dual_cndmask_b32 v2, v3, v2 :: v_dual_lshrrev_b32 v3, 16, v1
	v_and_or_b32 v2, 0x8000, v3, v2
	global_store_b16 v[18:19], v2, off
.LBB102_2857:
	s_mov_b32 s1, 0
.LBB102_2858:
	s_delay_alu instid0(SALU_CYCLE_1)
	s_and_not1_b32 vcc_lo, exec_lo, s1
	s_cbranch_vccnz .LBB102_2874
; %bb.2859:
	s_cmp_lt_i32 s0, 2
	s_mov_b32 s1, -1
	s_cbranch_scc1 .LBB102_2869
; %bb.2860:
	s_cmp_lt_i32 s0, 3
	s_cbranch_scc1 .LBB102_2866
; %bb.2861:
	s_cmp_gt_i32 s0, 3
	s_cbranch_scc0 .LBB102_2863
; %bb.2862:
	s_wait_xcnt 0x0
	s_delay_alu instid0(VALU_DEP_1) | instskip(SKIP_1) | instid1(VALU_DEP_1)
	v_trunc_f64_e32 v[2:3], v[0:1]
	s_mov_b32 s1, 0
	v_ldexp_f64 v[20:21], v[2:3], 0xffffffe0
	s_delay_alu instid0(VALU_DEP_1) | instskip(NEXT) | instid1(VALU_DEP_1)
	v_floor_f64_e32 v[20:21], v[20:21]
	v_fmamk_f64 v[2:3], v[20:21], 0xc1f00000, v[2:3]
	v_cvt_i32_f64_e32 v21, v[20:21]
	s_delay_alu instid0(VALU_DEP_2)
	v_cvt_u32_f64_e32 v20, v[2:3]
	global_store_b64 v[18:19], v[20:21], off
.LBB102_2863:
	s_and_not1_b32 vcc_lo, exec_lo, s1
	s_cbranch_vccnz .LBB102_2865
; %bb.2864:
	s_wait_xcnt 0x0
	s_delay_alu instid0(VALU_DEP_1)
	v_cvt_i32_f64_e32 v2, v[0:1]
	global_store_b32 v[18:19], v2, off
.LBB102_2865:
	s_mov_b32 s1, 0
.LBB102_2866:
	s_delay_alu instid0(SALU_CYCLE_1)
	s_and_not1_b32 vcc_lo, exec_lo, s1
	s_cbranch_vccnz .LBB102_2868
; %bb.2867:
	s_wait_xcnt 0x0
	s_delay_alu instid0(VALU_DEP_1)
	v_cvt_i32_f64_e32 v2, v[0:1]
	global_store_b16 v[18:19], v2, off
.LBB102_2868:
	s_mov_b32 s1, 0
.LBB102_2869:
	s_delay_alu instid0(SALU_CYCLE_1)
	s_and_not1_b32 vcc_lo, exec_lo, s1
	s_cbranch_vccnz .LBB102_2874
; %bb.2870:
	s_cmp_gt_i32 s0, 0
	s_mov_b32 s0, -1
	s_cbranch_scc0 .LBB102_2872
; %bb.2871:
	s_wait_xcnt 0x0
	s_delay_alu instid0(VALU_DEP_1)
	v_cvt_i32_f64_e32 v2, v[0:1]
	s_mov_b32 s0, 0
	global_store_b8 v[18:19], v2, off
.LBB102_2872:
	s_and_not1_b32 vcc_lo, exec_lo, s0
	s_cbranch_vccnz .LBB102_2874
; %bb.2873:
	s_wait_xcnt 0x0
	s_delay_alu instid0(VALU_DEP_1) | instskip(NEXT) | instid1(VALU_DEP_1)
	v_trunc_f64_e32 v[0:1], v[0:1]
	v_ldexp_f64 v[2:3], v[0:1], 0xffffffe0
	s_delay_alu instid0(VALU_DEP_1) | instskip(NEXT) | instid1(VALU_DEP_1)
	v_floor_f64_e32 v[2:3], v[2:3]
	v_fmamk_f64 v[0:1], v[2:3], 0xc1f00000, v[0:1]
	s_delay_alu instid0(VALU_DEP_1)
	v_cvt_u32_f64_e32 v0, v[0:1]
	global_store_b8 v[18:19], v0, off
.LBB102_2874:
	s_mov_b32 s5, -1
.LBB102_2875:
	s_delay_alu instid0(SALU_CYCLE_1)
	s_and_not1_b32 vcc_lo, exec_lo, s5
	s_cbranch_vccnz .LBB102_3190
; %bb.2876:
	s_wait_xcnt 0x0
	v_mul_f64_e32 v[0:1], s[6:7], v[4:5]
	s_lshl_b32 s1, s12, 7
	s_cmp_lt_i32 s19, 11
	v_add_nc_u32_e32 v4, s1, v16
	s_delay_alu instid0(VALU_DEP_1) | instskip(NEXT) | instid1(VALU_DEP_1)
	v_dual_mul_f64 v[0:1], v[0:1], v[6:7] :: v_dual_ashrrev_i32 v5, 31, v4
	v_add_nc_u64_e32 v[6:7], s[2:3], v[4:5]
	s_cbranch_scc1 .LBB102_2954
; %bb.2877:
	s_and_b32 s4, 0xffff, s19
	s_mov_b32 s9, -1
	s_mov_b32 s5, 0
	s_cmp_gt_i32 s4, 25
	s_mov_b32 s8, 0
	s_mov_b32 s0, 0
	s_cbranch_scc0 .LBB102_2910
; %bb.2878:
	s_cmp_gt_i32 s4, 28
	s_cbranch_scc0 .LBB102_2893
; %bb.2879:
	s_cmp_gt_i32 s4, 43
	;; [unrolled: 3-line block ×3, first 2 shown]
	s_cbranch_scc0 .LBB102_2883
; %bb.2881:
	s_mov_b32 s0, -1
	s_mov_b32 s9, 0
	s_cmp_eq_u32 s4, 46
	s_cbranch_scc0 .LBB102_2883
; %bb.2882:
	s_delay_alu instid0(VALU_DEP_2) | instskip(SKIP_2) | instid1(VALU_DEP_1)
	v_cvt_f32_f64_e32 v2, v[0:1]
	s_mov_b32 s0, 0
	s_mov_b32 s8, -1
	v_bfe_u32 v3, v2, 16, 1
	v_cmp_o_f32_e32 vcc_lo, v2, v2
	s_delay_alu instid0(VALU_DEP_2) | instskip(NEXT) | instid1(VALU_DEP_1)
	v_add3_u32 v3, v2, v3, 0x7fff
	v_lshrrev_b32_e32 v3, 16, v3
	s_delay_alu instid0(VALU_DEP_1)
	v_cndmask_b32_e32 v2, 0x7fc0, v3, vcc_lo
	global_store_b32 v[6:7], v2, off
.LBB102_2883:
	s_and_b32 vcc_lo, exec_lo, s9
	s_cbranch_vccz .LBB102_2888
; %bb.2884:
	s_cmp_eq_u32 s4, 44
	s_mov_b32 s0, -1
	s_cbranch_scc0 .LBB102_2888
; %bb.2885:
	s_wait_xcnt 0x0
	s_delay_alu instid0(VALU_DEP_2) | instskip(SKIP_2) | instid1(VALU_DEP_2)
	v_cvt_f32_f64_e32 v2, v[0:1]
	v_mov_b32_e32 v3, 0xff
	s_mov_b32 s8, exec_lo
	v_bfe_u32 v5, v2, 23, 8
	s_delay_alu instid0(VALU_DEP_1)
	v_cmpx_ne_u32_e32 0xff, v5
	s_cbranch_execz .LBB102_2887
; %bb.2886:
	v_and_b32_e32 v3, 0x400000, v2
	v_and_or_b32 v5, 0x3fffff, v2, v5
	v_lshrrev_b32_e32 v2, 23, v2
	s_delay_alu instid0(VALU_DEP_3) | instskip(NEXT) | instid1(VALU_DEP_3)
	v_cmp_ne_u32_e32 vcc_lo, 0, v3
	v_cmp_ne_u32_e64 s0, 0, v5
	s_and_b32 s0, vcc_lo, s0
	s_delay_alu instid0(SALU_CYCLE_1) | instskip(NEXT) | instid1(VALU_DEP_1)
	v_cndmask_b32_e64 v3, 0, 1, s0
	v_add_nc_u32_e32 v3, v2, v3
.LBB102_2887:
	s_or_b32 exec_lo, exec_lo, s8
	s_mov_b32 s0, 0
	s_mov_b32 s8, -1
	global_store_b8 v[6:7], v3, off
.LBB102_2888:
	s_mov_b32 s9, 0
.LBB102_2889:
	s_delay_alu instid0(SALU_CYCLE_1)
	s_and_b32 vcc_lo, exec_lo, s9
	s_cbranch_vccz .LBB102_2892
; %bb.2890:
	s_cmp_eq_u32 s4, 29
	s_mov_b32 s0, -1
	s_cbranch_scc0 .LBB102_2892
; %bb.2891:
	s_wait_xcnt 0x0
	s_delay_alu instid0(VALU_DEP_2) | instskip(SKIP_2) | instid1(VALU_DEP_1)
	v_trunc_f64_e32 v[2:3], v[0:1]
	s_mov_b32 s0, 0
	s_mov_b32 s8, -1
	v_ldexp_f64 v[16:17], v[2:3], 0xffffffe0
	s_delay_alu instid0(VALU_DEP_1) | instskip(NEXT) | instid1(VALU_DEP_1)
	v_floor_f64_e32 v[16:17], v[16:17]
	v_fmamk_f64 v[2:3], v[16:17], 0xc1f00000, v[2:3]
	v_cvt_u32_f64_e32 v17, v[16:17]
	s_delay_alu instid0(VALU_DEP_2)
	v_cvt_u32_f64_e32 v16, v[2:3]
	global_store_b64 v[6:7], v[16:17], off
.LBB102_2892:
	s_mov_b32 s9, 0
.LBB102_2893:
	s_delay_alu instid0(SALU_CYCLE_1)
	s_and_b32 vcc_lo, exec_lo, s9
	s_cbranch_vccz .LBB102_2909
; %bb.2894:
	s_cmp_lt_i32 s4, 27
	s_mov_b32 s8, -1
	s_cbranch_scc1 .LBB102_2900
; %bb.2895:
	s_wait_xcnt 0x0
	s_delay_alu instid0(VALU_DEP_2)
	v_cvt_u32_f64_e32 v2, v[0:1]
	s_cmp_gt_i32 s4, 27
	s_cbranch_scc0 .LBB102_2897
; %bb.2896:
	s_mov_b32 s8, 0
	global_store_b32 v[6:7], v2, off
.LBB102_2897:
	s_and_not1_b32 vcc_lo, exec_lo, s8
	s_cbranch_vccnz .LBB102_2899
; %bb.2898:
	global_store_b16 v[6:7], v2, off
.LBB102_2899:
	s_mov_b32 s8, 0
.LBB102_2900:
	s_delay_alu instid0(SALU_CYCLE_1)
	s_and_not1_b32 vcc_lo, exec_lo, s8
	s_cbranch_vccnz .LBB102_2908
; %bb.2901:
	s_wait_xcnt 0x0
	s_delay_alu instid0(VALU_DEP_2) | instskip(SKIP_2) | instid1(VALU_DEP_2)
	v_cvt_f32_f64_e32 v2, v[0:1]
	v_mov_b32_e32 v5, 0x80
	s_mov_b32 s8, exec_lo
	v_and_b32_e32 v3, 0x7fffffff, v2
	s_delay_alu instid0(VALU_DEP_1)
	v_cmpx_gt_u32_e32 0x43800000, v3
	s_cbranch_execz .LBB102_2907
; %bb.2902:
	v_cmp_lt_u32_e32 vcc_lo, 0x3bffffff, v3
	s_mov_b32 s9, 0
                                        ; implicit-def: $vgpr3
	s_and_saveexec_b32 s10, vcc_lo
	s_delay_alu instid0(SALU_CYCLE_1)
	s_xor_b32 s10, exec_lo, s10
	s_cbranch_execz .LBB102_3242
; %bb.2903:
	v_bfe_u32 v3, v2, 20, 1
	s_mov_b32 s9, exec_lo
	s_delay_alu instid0(VALU_DEP_1) | instskip(NEXT) | instid1(VALU_DEP_1)
	v_add3_u32 v3, v2, v3, 0x487ffff
	v_lshrrev_b32_e32 v3, 20, v3
	s_and_not1_saveexec_b32 s10, s10
	s_cbranch_execnz .LBB102_3243
.LBB102_2904:
	s_or_b32 exec_lo, exec_lo, s10
	v_mov_b32_e32 v5, 0
	s_and_saveexec_b32 s10, s9
.LBB102_2905:
	v_lshrrev_b32_e32 v2, 24, v2
	s_delay_alu instid0(VALU_DEP_1)
	v_and_or_b32 v5, 0x80, v2, v3
.LBB102_2906:
	s_or_b32 exec_lo, exec_lo, s10
.LBB102_2907:
	s_delay_alu instid0(SALU_CYCLE_1)
	s_or_b32 exec_lo, exec_lo, s8
	global_store_b8 v[6:7], v5, off
.LBB102_2908:
	s_mov_b32 s8, -1
.LBB102_2909:
	s_mov_b32 s9, 0
.LBB102_2910:
	s_delay_alu instid0(SALU_CYCLE_1)
	s_and_b32 vcc_lo, exec_lo, s9
	s_cbranch_vccz .LBB102_2950
; %bb.2911:
	s_cmp_gt_i32 s4, 22
	s_mov_b32 s5, -1
	s_cbranch_scc0 .LBB102_2943
; %bb.2912:
	s_cmp_lt_i32 s4, 24
	s_cbranch_scc1 .LBB102_2932
; %bb.2913:
	s_cmp_gt_i32 s4, 24
	s_cbranch_scc0 .LBB102_2921
; %bb.2914:
	s_wait_xcnt 0x0
	s_delay_alu instid0(VALU_DEP_2) | instskip(SKIP_2) | instid1(VALU_DEP_2)
	v_cvt_f32_f64_e32 v2, v[0:1]
	v_mov_b32_e32 v5, 0x80
	s_mov_b32 s5, exec_lo
	v_and_b32_e32 v3, 0x7fffffff, v2
	s_delay_alu instid0(VALU_DEP_1)
	v_cmpx_gt_u32_e32 0x47800000, v3
	s_cbranch_execz .LBB102_2920
; %bb.2915:
	v_cmp_lt_u32_e32 vcc_lo, 0x37ffffff, v3
	s_mov_b32 s8, 0
                                        ; implicit-def: $vgpr3
	s_and_saveexec_b32 s9, vcc_lo
	s_delay_alu instid0(SALU_CYCLE_1)
	s_xor_b32 s9, exec_lo, s9
	s_cbranch_execz .LBB102_3245
; %bb.2916:
	v_bfe_u32 v3, v2, 21, 1
	s_mov_b32 s8, exec_lo
	s_delay_alu instid0(VALU_DEP_1) | instskip(NEXT) | instid1(VALU_DEP_1)
	v_add3_u32 v3, v2, v3, 0x88fffff
	v_lshrrev_b32_e32 v3, 21, v3
	s_and_not1_saveexec_b32 s9, s9
	s_cbranch_execnz .LBB102_3246
.LBB102_2917:
	s_or_b32 exec_lo, exec_lo, s9
	v_mov_b32_e32 v5, 0
	s_and_saveexec_b32 s9, s8
.LBB102_2918:
	v_lshrrev_b32_e32 v2, 24, v2
	s_delay_alu instid0(VALU_DEP_1)
	v_and_or_b32 v5, 0x80, v2, v3
.LBB102_2919:
	s_or_b32 exec_lo, exec_lo, s9
.LBB102_2920:
	s_delay_alu instid0(SALU_CYCLE_1)
	s_or_b32 exec_lo, exec_lo, s5
	s_mov_b32 s5, 0
	global_store_b8 v[6:7], v5, off
.LBB102_2921:
	s_and_b32 vcc_lo, exec_lo, s5
	s_cbranch_vccz .LBB102_2931
; %bb.2922:
	s_wait_xcnt 0x0
	s_delay_alu instid0(VALU_DEP_2) | instskip(SKIP_1) | instid1(VALU_DEP_1)
	v_cvt_f32_f64_e32 v2, v[0:1]
	s_mov_b32 s5, exec_lo
                                        ; implicit-def: $vgpr3
	v_and_b32_e32 v5, 0x7fffffff, v2
	s_delay_alu instid0(VALU_DEP_1)
	v_cmpx_gt_u32_e32 0x43f00000, v5
	s_xor_b32 s5, exec_lo, s5
	s_cbranch_execz .LBB102_2928
; %bb.2923:
	s_mov_b32 s8, exec_lo
                                        ; implicit-def: $vgpr3
	v_cmpx_lt_u32_e32 0x3c7fffff, v5
	s_xor_b32 s8, exec_lo, s8
; %bb.2924:
	v_bfe_u32 v3, v2, 20, 1
	s_delay_alu instid0(VALU_DEP_1) | instskip(NEXT) | instid1(VALU_DEP_1)
	v_add3_u32 v3, v2, v3, 0x407ffff
	v_and_b32_e32 v5, 0xff00000, v3
	v_lshrrev_b32_e32 v3, 20, v3
	s_delay_alu instid0(VALU_DEP_2) | instskip(NEXT) | instid1(VALU_DEP_2)
	v_cmp_ne_u32_e32 vcc_lo, 0x7f00000, v5
	v_cndmask_b32_e32 v3, 0x7e, v3, vcc_lo
; %bb.2925:
	s_and_not1_saveexec_b32 s8, s8
; %bb.2926:
	v_add_f32_e64 v3, 0x46800000, |v2|
; %bb.2927:
	s_or_b32 exec_lo, exec_lo, s8
                                        ; implicit-def: $vgpr5
.LBB102_2928:
	s_and_not1_saveexec_b32 s5, s5
; %bb.2929:
	v_mov_b32_e32 v3, 0x7f
	v_cmp_lt_u32_e32 vcc_lo, 0x7f800000, v5
	s_delay_alu instid0(VALU_DEP_2)
	v_cndmask_b32_e32 v3, 0x7e, v3, vcc_lo
; %bb.2930:
	s_or_b32 exec_lo, exec_lo, s5
	v_lshrrev_b32_e32 v2, 24, v2
	s_delay_alu instid0(VALU_DEP_1)
	v_and_or_b32 v2, 0x80, v2, v3
	global_store_b8 v[6:7], v2, off
.LBB102_2931:
	s_mov_b32 s5, 0
.LBB102_2932:
	s_delay_alu instid0(SALU_CYCLE_1)
	s_and_not1_b32 vcc_lo, exec_lo, s5
	s_cbranch_vccnz .LBB102_2942
; %bb.2933:
	s_wait_xcnt 0x0
	s_delay_alu instid0(VALU_DEP_2) | instskip(SKIP_1) | instid1(VALU_DEP_1)
	v_cvt_f32_f64_e32 v2, v[0:1]
	s_mov_b32 s5, exec_lo
                                        ; implicit-def: $vgpr3
	v_and_b32_e32 v5, 0x7fffffff, v2
	s_delay_alu instid0(VALU_DEP_1)
	v_cmpx_gt_u32_e32 0x47800000, v5
	s_xor_b32 s5, exec_lo, s5
	s_cbranch_execz .LBB102_2939
; %bb.2934:
	s_mov_b32 s8, exec_lo
                                        ; implicit-def: $vgpr3
	v_cmpx_lt_u32_e32 0x387fffff, v5
	s_xor_b32 s8, exec_lo, s8
; %bb.2935:
	v_bfe_u32 v3, v2, 21, 1
	s_delay_alu instid0(VALU_DEP_1) | instskip(NEXT) | instid1(VALU_DEP_1)
	v_add3_u32 v3, v2, v3, 0x80fffff
	v_lshrrev_b32_e32 v3, 21, v3
; %bb.2936:
	s_and_not1_saveexec_b32 s8, s8
; %bb.2937:
	v_add_f32_e64 v3, 0x43000000, |v2|
; %bb.2938:
	s_or_b32 exec_lo, exec_lo, s8
                                        ; implicit-def: $vgpr5
.LBB102_2939:
	s_and_not1_saveexec_b32 s5, s5
; %bb.2940:
	v_mov_b32_e32 v3, 0x7f
	v_cmp_lt_u32_e32 vcc_lo, 0x7f800000, v5
	s_delay_alu instid0(VALU_DEP_2)
	v_cndmask_b32_e32 v3, 0x7c, v3, vcc_lo
; %bb.2941:
	s_or_b32 exec_lo, exec_lo, s5
	v_lshrrev_b32_e32 v2, 24, v2
	s_delay_alu instid0(VALU_DEP_1)
	v_and_or_b32 v2, 0x80, v2, v3
	global_store_b8 v[6:7], v2, off
.LBB102_2942:
	s_mov_b32 s5, 0
	s_mov_b32 s8, -1
.LBB102_2943:
	s_and_not1_b32 vcc_lo, exec_lo, s5
	s_mov_b32 s5, 0
	s_cbranch_vccnz .LBB102_2950
; %bb.2944:
	s_cmp_gt_i32 s4, 14
	s_mov_b32 s5, -1
	s_cbranch_scc0 .LBB102_2948
; %bb.2945:
	s_cmp_eq_u32 s4, 15
	s_mov_b32 s0, -1
	s_cbranch_scc0 .LBB102_2947
; %bb.2946:
	s_wait_xcnt 0x0
	s_delay_alu instid0(VALU_DEP_2) | instskip(SKIP_2) | instid1(VALU_DEP_1)
	v_cvt_f32_f64_e32 v2, v[0:1]
	s_mov_b32 s0, 0
	s_mov_b32 s8, -1
	v_bfe_u32 v3, v2, 16, 1
	v_cmp_o_f32_e32 vcc_lo, v2, v2
	s_delay_alu instid0(VALU_DEP_2) | instskip(NEXT) | instid1(VALU_DEP_1)
	v_add3_u32 v3, v2, v3, 0x7fff
	v_lshrrev_b32_e32 v3, 16, v3
	s_delay_alu instid0(VALU_DEP_1)
	v_cndmask_b32_e32 v2, 0x7fc0, v3, vcc_lo
	global_store_b16 v[6:7], v2, off
.LBB102_2947:
	s_mov_b32 s5, 0
.LBB102_2948:
	s_delay_alu instid0(SALU_CYCLE_1)
	s_and_b32 vcc_lo, exec_lo, s5
	s_mov_b32 s5, 0
	s_cbranch_vccz .LBB102_2950
; %bb.2949:
	s_cmp_lg_u32 s4, 11
	s_mov_b32 s5, -1
	s_cselect_b32 s0, -1, 0
.LBB102_2950:
	s_delay_alu instid0(SALU_CYCLE_1)
	s_and_b32 vcc_lo, exec_lo, s0
	s_cbranch_vccnz .LBB102_3244
; %bb.2951:
	s_and_not1_b32 vcc_lo, exec_lo, s5
	s_cbranch_vccnz .LBB102_2953
.LBB102_2952:
	s_delay_alu instid0(VALU_DEP_2)
	v_cmp_neq_f64_e32 vcc_lo, 0, v[0:1]
	s_mov_b32 s8, -1
	s_wait_xcnt 0x0
	v_cndmask_b32_e64 v2, 0, 1, vcc_lo
	global_store_b8 v[6:7], v2, off
.LBB102_2953:
	s_mov_b32 s0, 0
	s_branch .LBB102_2955
.LBB102_2954:
	s_mov_b32 s0, -1
	s_mov_b32 s8, 0
.LBB102_2955:
	s_and_b32 vcc_lo, exec_lo, s0
	s_cbranch_vccz .LBB102_2994
; %bb.2956:
	s_and_b32 s0, 0xffff, s19
	s_mov_b32 s4, -1
	s_cmp_lt_i32 s0, 5
	s_cbranch_scc1 .LBB102_2977
; %bb.2957:
	s_cmp_lt_i32 s0, 8
	s_cbranch_scc1 .LBB102_2967
; %bb.2958:
	;; [unrolled: 3-line block ×3, first 2 shown]
	s_cmp_gt_i32 s0, 9
	s_cbranch_scc0 .LBB102_2961
; %bb.2960:
	s_wait_xcnt 0x0
	v_mov_b32_e32 v2, 0
	s_mov_b32 s4, 0
	s_delay_alu instid0(VALU_DEP_1)
	v_mov_b32_e32 v3, v2
	global_store_b128 v[6:7], v[0:3], off
.LBB102_2961:
	s_and_not1_b32 vcc_lo, exec_lo, s4
	s_cbranch_vccnz .LBB102_2963
; %bb.2962:
	s_wait_xcnt 0x0
	s_delay_alu instid0(VALU_DEP_2)
	v_cvt_f32_f64_e32 v2, v[0:1]
	v_mov_b32_e32 v3, 0
	global_store_b64 v[6:7], v[2:3], off
.LBB102_2963:
	s_mov_b32 s4, 0
.LBB102_2964:
	s_delay_alu instid0(SALU_CYCLE_1)
	s_and_not1_b32 vcc_lo, exec_lo, s4
	s_cbranch_vccnz .LBB102_2966
; %bb.2965:
	s_wait_xcnt 0x0
	s_delay_alu instid0(VALU_DEP_2) | instskip(SKIP_2) | instid1(VALU_DEP_3)
	v_and_or_b32 v2, 0x1ff, v1, v0
	v_lshrrev_b32_e32 v3, 8, v1
	v_bfe_u32 v5, v1, 20, 11
	v_cmp_ne_u32_e32 vcc_lo, 0, v2
	s_delay_alu instid0(VALU_DEP_2) | instskip(SKIP_2) | instid1(VALU_DEP_1)
	v_sub_nc_u32_e32 v16, 0x3f1, v5
	v_add_nc_u32_e32 v5, 0xfffffc10, v5
	v_cndmask_b32_e64 v2, 0, 1, vcc_lo
	v_and_or_b32 v2, 0xffe, v3, v2
	s_delay_alu instid0(VALU_DEP_4) | instskip(NEXT) | instid1(VALU_DEP_2)
	v_med3_i32 v3, v16, 0, 13
	v_or_b32_e32 v16, 0x1000, v2
	s_delay_alu instid0(VALU_DEP_1) | instskip(NEXT) | instid1(VALU_DEP_1)
	v_lshrrev_b32_e32 v17, v3, v16
	v_lshlrev_b32_e32 v3, v3, v17
	s_delay_alu instid0(VALU_DEP_1) | instskip(SKIP_3) | instid1(VALU_DEP_2)
	v_cmp_ne_u32_e32 vcc_lo, v3, v16
	v_lshl_or_b32 v16, v5, 12, v2
	v_cndmask_b32_e64 v3, 0, 1, vcc_lo
	v_cmp_gt_i32_e32 vcc_lo, 1, v5
	v_or_b32_e32 v3, v17, v3
	s_delay_alu instid0(VALU_DEP_1) | instskip(NEXT) | instid1(VALU_DEP_1)
	v_cndmask_b32_e32 v3, v16, v3, vcc_lo
	v_dual_lshrrev_b32 v3, 2, v3 :: v_dual_bitop2_b32 v16, 7, v3 bitop3:0x40
	s_delay_alu instid0(VALU_DEP_1) | instskip(SKIP_4) | instid1(VALU_DEP_2)
	v_cmp_lt_i32_e32 vcc_lo, 5, v16
	v_cndmask_b32_e64 v17, 0, 1, vcc_lo
	v_cmp_eq_u32_e32 vcc_lo, 3, v16
	v_cndmask_b32_e64 v16, 0, 1, vcc_lo
	v_cmp_ne_u32_e32 vcc_lo, 0, v2
	v_or_b32_e32 v16, v16, v17
	v_mov_b32_e32 v17, 0x7e00
	s_delay_alu instid0(VALU_DEP_1) | instskip(SKIP_1) | instid1(VALU_DEP_2)
	v_dual_cndmask_b32 v2, 0x7c00, v17 :: v_dual_add_nc_u32 v3, v3, v16
	v_cmp_gt_i32_e32 vcc_lo, 31, v5
	v_dual_cndmask_b32 v3, 0x7c00, v3 :: v_dual_lshrrev_b32 v16, 16, v1
	v_cmp_eq_u32_e32 vcc_lo, 0x40f, v5
	s_delay_alu instid0(VALU_DEP_2) | instskip(NEXT) | instid1(VALU_DEP_3)
	v_cndmask_b32_e32 v2, v3, v2, vcc_lo
	v_and_b32_e32 v3, 0x8000, v16
	s_delay_alu instid0(VALU_DEP_1)
	v_bitop3_b32 v2, v3, 0xffff, v2 bitop3:0xc8
	global_store_b32 v[6:7], v2, off
.LBB102_2966:
	s_mov_b32 s4, 0
.LBB102_2967:
	s_delay_alu instid0(SALU_CYCLE_1)
	s_and_not1_b32 vcc_lo, exec_lo, s4
	s_cbranch_vccnz .LBB102_2976
; %bb.2968:
	s_cmp_lt_i32 s0, 6
	s_mov_b32 s4, -1
	s_cbranch_scc1 .LBB102_2974
; %bb.2969:
	s_cmp_gt_i32 s0, 6
	s_cbranch_scc0 .LBB102_2971
; %bb.2970:
	s_mov_b32 s4, 0
	global_store_b64 v[6:7], v[0:1], off
.LBB102_2971:
	s_and_not1_b32 vcc_lo, exec_lo, s4
	s_cbranch_vccnz .LBB102_2973
; %bb.2972:
	s_wait_xcnt 0x0
	s_delay_alu instid0(VALU_DEP_2)
	v_cvt_f32_f64_e32 v2, v[0:1]
	global_store_b32 v[6:7], v2, off
.LBB102_2973:
	s_mov_b32 s4, 0
.LBB102_2974:
	s_delay_alu instid0(SALU_CYCLE_1)
	s_and_not1_b32 vcc_lo, exec_lo, s4
	s_cbranch_vccnz .LBB102_2976
; %bb.2975:
	s_wait_xcnt 0x0
	s_delay_alu instid0(VALU_DEP_2) | instskip(SKIP_2) | instid1(VALU_DEP_3)
	v_and_or_b32 v2, 0x1ff, v1, v0
	v_lshrrev_b32_e32 v3, 8, v1
	v_bfe_u32 v5, v1, 20, 11
	v_cmp_ne_u32_e32 vcc_lo, 0, v2
	s_delay_alu instid0(VALU_DEP_2) | instskip(SKIP_2) | instid1(VALU_DEP_1)
	v_sub_nc_u32_e32 v16, 0x3f1, v5
	v_add_nc_u32_e32 v5, 0xfffffc10, v5
	v_cndmask_b32_e64 v2, 0, 1, vcc_lo
	v_and_or_b32 v2, 0xffe, v3, v2
	s_delay_alu instid0(VALU_DEP_4) | instskip(NEXT) | instid1(VALU_DEP_2)
	v_med3_i32 v3, v16, 0, 13
	v_or_b32_e32 v16, 0x1000, v2
	s_delay_alu instid0(VALU_DEP_1) | instskip(NEXT) | instid1(VALU_DEP_1)
	v_lshrrev_b32_e32 v17, v3, v16
	v_lshlrev_b32_e32 v3, v3, v17
	s_delay_alu instid0(VALU_DEP_1) | instskip(SKIP_3) | instid1(VALU_DEP_2)
	v_cmp_ne_u32_e32 vcc_lo, v3, v16
	v_lshl_or_b32 v16, v5, 12, v2
	v_cndmask_b32_e64 v3, 0, 1, vcc_lo
	v_cmp_gt_i32_e32 vcc_lo, 1, v5
	v_or_b32_e32 v3, v17, v3
	s_delay_alu instid0(VALU_DEP_1) | instskip(NEXT) | instid1(VALU_DEP_1)
	v_cndmask_b32_e32 v3, v16, v3, vcc_lo
	v_dual_lshrrev_b32 v3, 2, v3 :: v_dual_bitop2_b32 v16, 7, v3 bitop3:0x40
	s_delay_alu instid0(VALU_DEP_1) | instskip(SKIP_4) | instid1(VALU_DEP_2)
	v_cmp_lt_i32_e32 vcc_lo, 5, v16
	v_cndmask_b32_e64 v17, 0, 1, vcc_lo
	v_cmp_eq_u32_e32 vcc_lo, 3, v16
	v_cndmask_b32_e64 v16, 0, 1, vcc_lo
	v_cmp_ne_u32_e32 vcc_lo, 0, v2
	v_or_b32_e32 v16, v16, v17
	v_mov_b32_e32 v17, 0x7e00
	s_delay_alu instid0(VALU_DEP_1) | instskip(SKIP_1) | instid1(VALU_DEP_2)
	v_dual_cndmask_b32 v2, 0x7c00, v17 :: v_dual_add_nc_u32 v3, v3, v16
	v_cmp_gt_i32_e32 vcc_lo, 31, v5
	v_cndmask_b32_e32 v3, 0x7c00, v3, vcc_lo
	v_cmp_eq_u32_e32 vcc_lo, 0x40f, v5
	s_delay_alu instid0(VALU_DEP_2) | instskip(NEXT) | instid1(VALU_DEP_1)
	v_dual_cndmask_b32 v2, v3, v2 :: v_dual_lshrrev_b32 v3, 16, v1
	v_and_or_b32 v2, 0x8000, v3, v2
	global_store_b16 v[6:7], v2, off
.LBB102_2976:
	s_mov_b32 s4, 0
.LBB102_2977:
	s_delay_alu instid0(SALU_CYCLE_1)
	s_and_not1_b32 vcc_lo, exec_lo, s4
	s_cbranch_vccnz .LBB102_2993
; %bb.2978:
	s_cmp_lt_i32 s0, 2
	s_mov_b32 s4, -1
	s_cbranch_scc1 .LBB102_2988
; %bb.2979:
	s_cmp_lt_i32 s0, 3
	s_cbranch_scc1 .LBB102_2985
; %bb.2980:
	s_cmp_gt_i32 s0, 3
	s_cbranch_scc0 .LBB102_2982
; %bb.2981:
	s_wait_xcnt 0x0
	s_delay_alu instid0(VALU_DEP_2) | instskip(SKIP_1) | instid1(VALU_DEP_1)
	v_trunc_f64_e32 v[2:3], v[0:1]
	s_mov_b32 s4, 0
	v_ldexp_f64 v[16:17], v[2:3], 0xffffffe0
	s_delay_alu instid0(VALU_DEP_1) | instskip(NEXT) | instid1(VALU_DEP_1)
	v_floor_f64_e32 v[16:17], v[16:17]
	v_fmamk_f64 v[2:3], v[16:17], 0xc1f00000, v[2:3]
	v_cvt_i32_f64_e32 v17, v[16:17]
	s_delay_alu instid0(VALU_DEP_2)
	v_cvt_u32_f64_e32 v16, v[2:3]
	global_store_b64 v[6:7], v[16:17], off
.LBB102_2982:
	s_and_not1_b32 vcc_lo, exec_lo, s4
	s_cbranch_vccnz .LBB102_2984
; %bb.2983:
	s_wait_xcnt 0x0
	s_delay_alu instid0(VALU_DEP_2)
	v_cvt_i32_f64_e32 v2, v[0:1]
	global_store_b32 v[6:7], v2, off
.LBB102_2984:
	s_mov_b32 s4, 0
.LBB102_2985:
	s_delay_alu instid0(SALU_CYCLE_1)
	s_and_not1_b32 vcc_lo, exec_lo, s4
	s_cbranch_vccnz .LBB102_2987
; %bb.2986:
	s_wait_xcnt 0x0
	s_delay_alu instid0(VALU_DEP_2)
	v_cvt_i32_f64_e32 v2, v[0:1]
	global_store_b16 v[6:7], v2, off
.LBB102_2987:
	s_mov_b32 s4, 0
.LBB102_2988:
	s_delay_alu instid0(SALU_CYCLE_1)
	s_and_not1_b32 vcc_lo, exec_lo, s4
	s_cbranch_vccnz .LBB102_2993
; %bb.2989:
	s_cmp_gt_i32 s0, 0
	s_mov_b32 s0, -1
	s_cbranch_scc0 .LBB102_2991
; %bb.2990:
	s_wait_xcnt 0x0
	s_delay_alu instid0(VALU_DEP_2)
	v_cvt_i32_f64_e32 v2, v[0:1]
	s_mov_b32 s0, 0
	global_store_b8 v[6:7], v2, off
.LBB102_2991:
	s_and_not1_b32 vcc_lo, exec_lo, s0
	s_cbranch_vccnz .LBB102_2993
; %bb.2992:
	s_wait_xcnt 0x0
	s_delay_alu instid0(VALU_DEP_2) | instskip(NEXT) | instid1(VALU_DEP_1)
	v_trunc_f64_e32 v[0:1], v[0:1]
	v_ldexp_f64 v[2:3], v[0:1], 0xffffffe0
	s_delay_alu instid0(VALU_DEP_1) | instskip(NEXT) | instid1(VALU_DEP_1)
	v_floor_f64_e32 v[2:3], v[2:3]
	v_fmamk_f64 v[0:1], v[2:3], 0xc1f00000, v[0:1]
	s_delay_alu instid0(VALU_DEP_1)
	v_cvt_u32_f64_e32 v0, v[0:1]
	global_store_b8 v[6:7], v0, off
.LBB102_2993:
	s_mov_b32 s8, -1
.LBB102_2994:
	s_delay_alu instid0(SALU_CYCLE_1)
	s_and_not1_b32 vcc_lo, exec_lo, s8
	s_cbranch_vccnz .LBB102_3190
; %bb.2995:
	s_wait_xcnt 0x0
	v_mul_f64_e32 v[0:1], s[6:7], v[8:9]
	s_cmp_lt_i32 s19, 11
	v_add_nc_u32_e32 v4, s1, v4
	s_delay_alu instid0(VALU_DEP_1) | instskip(NEXT) | instid1(VALU_DEP_1)
	v_ashrrev_i32_e32 v5, 31, v4
	v_add_nc_u64_e32 v[6:7], s[2:3], v[4:5]
	s_delay_alu instid0(VALU_DEP_4)
	v_mul_f64_e32 v[0:1], v[0:1], v[10:11]
	s_cbranch_scc1 .LBB102_3073
; %bb.2996:
	s_and_b32 s4, 0xffff, s19
	s_mov_b32 s9, -1
	s_mov_b32 s5, 0
	s_cmp_gt_i32 s4, 25
	s_mov_b32 s8, 0
	s_mov_b32 s0, 0
	s_cbranch_scc0 .LBB102_3029
; %bb.2997:
	s_cmp_gt_i32 s4, 28
	s_cbranch_scc0 .LBB102_3012
; %bb.2998:
	s_cmp_gt_i32 s4, 43
	;; [unrolled: 3-line block ×3, first 2 shown]
	s_cbranch_scc0 .LBB102_3002
; %bb.3000:
	s_mov_b32 s0, -1
	s_mov_b32 s9, 0
	s_cmp_eq_u32 s4, 46
	s_cbranch_scc0 .LBB102_3002
; %bb.3001:
	s_delay_alu instid0(VALU_DEP_1) | instskip(SKIP_2) | instid1(VALU_DEP_1)
	v_cvt_f32_f64_e32 v2, v[0:1]
	s_mov_b32 s0, 0
	s_mov_b32 s8, -1
	v_bfe_u32 v3, v2, 16, 1
	v_cmp_o_f32_e32 vcc_lo, v2, v2
	s_delay_alu instid0(VALU_DEP_2) | instskip(NEXT) | instid1(VALU_DEP_1)
	v_add3_u32 v3, v2, v3, 0x7fff
	v_lshrrev_b32_e32 v3, 16, v3
	s_delay_alu instid0(VALU_DEP_1)
	v_cndmask_b32_e32 v2, 0x7fc0, v3, vcc_lo
	global_store_b32 v[6:7], v2, off
.LBB102_3002:
	s_and_b32 vcc_lo, exec_lo, s9
	s_cbranch_vccz .LBB102_3007
; %bb.3003:
	s_cmp_eq_u32 s4, 44
	s_mov_b32 s0, -1
	s_cbranch_scc0 .LBB102_3007
; %bb.3004:
	s_wait_xcnt 0x0
	s_delay_alu instid0(VALU_DEP_1) | instskip(SKIP_2) | instid1(VALU_DEP_2)
	v_cvt_f32_f64_e32 v2, v[0:1]
	v_mov_b32_e32 v3, 0xff
	s_mov_b32 s8, exec_lo
	v_bfe_u32 v5, v2, 23, 8
	s_delay_alu instid0(VALU_DEP_1)
	v_cmpx_ne_u32_e32 0xff, v5
	s_cbranch_execz .LBB102_3006
; %bb.3005:
	v_and_b32_e32 v3, 0x400000, v2
	v_and_or_b32 v5, 0x3fffff, v2, v5
	v_lshrrev_b32_e32 v2, 23, v2
	s_delay_alu instid0(VALU_DEP_3) | instskip(NEXT) | instid1(VALU_DEP_3)
	v_cmp_ne_u32_e32 vcc_lo, 0, v3
	v_cmp_ne_u32_e64 s0, 0, v5
	s_and_b32 s0, vcc_lo, s0
	s_delay_alu instid0(SALU_CYCLE_1) | instskip(NEXT) | instid1(VALU_DEP_1)
	v_cndmask_b32_e64 v3, 0, 1, s0
	v_add_nc_u32_e32 v3, v2, v3
.LBB102_3006:
	s_or_b32 exec_lo, exec_lo, s8
	s_mov_b32 s0, 0
	s_mov_b32 s8, -1
	global_store_b8 v[6:7], v3, off
.LBB102_3007:
	s_mov_b32 s9, 0
.LBB102_3008:
	s_delay_alu instid0(SALU_CYCLE_1)
	s_and_b32 vcc_lo, exec_lo, s9
	s_cbranch_vccz .LBB102_3011
; %bb.3009:
	s_cmp_eq_u32 s4, 29
	s_mov_b32 s0, -1
	s_cbranch_scc0 .LBB102_3011
; %bb.3010:
	s_wait_xcnt 0x0
	s_delay_alu instid0(VALU_DEP_1) | instskip(SKIP_2) | instid1(VALU_DEP_1)
	v_trunc_f64_e32 v[2:3], v[0:1]
	s_mov_b32 s0, 0
	s_mov_b32 s8, -1
	v_ldexp_f64 v[8:9], v[2:3], 0xffffffe0
	s_delay_alu instid0(VALU_DEP_1) | instskip(NEXT) | instid1(VALU_DEP_1)
	v_floor_f64_e32 v[8:9], v[8:9]
	v_fmamk_f64 v[2:3], v[8:9], 0xc1f00000, v[2:3]
	v_cvt_u32_f64_e32 v9, v[8:9]
	s_delay_alu instid0(VALU_DEP_2)
	v_cvt_u32_f64_e32 v8, v[2:3]
	global_store_b64 v[6:7], v[8:9], off
.LBB102_3011:
	s_mov_b32 s9, 0
.LBB102_3012:
	s_delay_alu instid0(SALU_CYCLE_1)
	s_and_b32 vcc_lo, exec_lo, s9
	s_cbranch_vccz .LBB102_3028
; %bb.3013:
	s_cmp_lt_i32 s4, 27
	s_mov_b32 s8, -1
	s_cbranch_scc1 .LBB102_3019
; %bb.3014:
	s_wait_xcnt 0x0
	s_delay_alu instid0(VALU_DEP_1)
	v_cvt_u32_f64_e32 v2, v[0:1]
	s_cmp_gt_i32 s4, 27
	s_cbranch_scc0 .LBB102_3016
; %bb.3015:
	s_mov_b32 s8, 0
	global_store_b32 v[6:7], v2, off
.LBB102_3016:
	s_and_not1_b32 vcc_lo, exec_lo, s8
	s_cbranch_vccnz .LBB102_3018
; %bb.3017:
	global_store_b16 v[6:7], v2, off
.LBB102_3018:
	s_mov_b32 s8, 0
.LBB102_3019:
	s_delay_alu instid0(SALU_CYCLE_1)
	s_and_not1_b32 vcc_lo, exec_lo, s8
	s_cbranch_vccnz .LBB102_3027
; %bb.3020:
	s_wait_xcnt 0x0
	s_delay_alu instid0(VALU_DEP_1) | instskip(SKIP_2) | instid1(VALU_DEP_2)
	v_cvt_f32_f64_e32 v2, v[0:1]
	v_mov_b32_e32 v5, 0x80
	s_mov_b32 s8, exec_lo
	v_and_b32_e32 v3, 0x7fffffff, v2
	s_delay_alu instid0(VALU_DEP_1)
	v_cmpx_gt_u32_e32 0x43800000, v3
	s_cbranch_execz .LBB102_3026
; %bb.3021:
	v_cmp_lt_u32_e32 vcc_lo, 0x3bffffff, v3
	s_mov_b32 s9, 0
                                        ; implicit-def: $vgpr3
	s_and_saveexec_b32 s10, vcc_lo
	s_delay_alu instid0(SALU_CYCLE_1)
	s_xor_b32 s10, exec_lo, s10
	s_cbranch_execz .LBB102_3247
; %bb.3022:
	v_bfe_u32 v3, v2, 20, 1
	s_mov_b32 s9, exec_lo
	s_delay_alu instid0(VALU_DEP_1) | instskip(NEXT) | instid1(VALU_DEP_1)
	v_add3_u32 v3, v2, v3, 0x487ffff
	v_lshrrev_b32_e32 v3, 20, v3
	s_and_not1_saveexec_b32 s10, s10
	s_cbranch_execnz .LBB102_3248
.LBB102_3023:
	s_or_b32 exec_lo, exec_lo, s10
	v_mov_b32_e32 v5, 0
	s_and_saveexec_b32 s10, s9
.LBB102_3024:
	v_lshrrev_b32_e32 v2, 24, v2
	s_delay_alu instid0(VALU_DEP_1)
	v_and_or_b32 v5, 0x80, v2, v3
.LBB102_3025:
	s_or_b32 exec_lo, exec_lo, s10
.LBB102_3026:
	s_delay_alu instid0(SALU_CYCLE_1)
	s_or_b32 exec_lo, exec_lo, s8
	global_store_b8 v[6:7], v5, off
.LBB102_3027:
	s_mov_b32 s8, -1
.LBB102_3028:
	s_mov_b32 s9, 0
.LBB102_3029:
	s_delay_alu instid0(SALU_CYCLE_1)
	s_and_b32 vcc_lo, exec_lo, s9
	s_cbranch_vccz .LBB102_3069
; %bb.3030:
	s_cmp_gt_i32 s4, 22
	s_mov_b32 s5, -1
	s_cbranch_scc0 .LBB102_3062
; %bb.3031:
	s_cmp_lt_i32 s4, 24
	s_cbranch_scc1 .LBB102_3051
; %bb.3032:
	s_cmp_gt_i32 s4, 24
	s_cbranch_scc0 .LBB102_3040
; %bb.3033:
	s_wait_xcnt 0x0
	s_delay_alu instid0(VALU_DEP_1) | instskip(SKIP_2) | instid1(VALU_DEP_2)
	v_cvt_f32_f64_e32 v2, v[0:1]
	v_mov_b32_e32 v5, 0x80
	s_mov_b32 s5, exec_lo
	v_and_b32_e32 v3, 0x7fffffff, v2
	s_delay_alu instid0(VALU_DEP_1)
	v_cmpx_gt_u32_e32 0x47800000, v3
	s_cbranch_execz .LBB102_3039
; %bb.3034:
	v_cmp_lt_u32_e32 vcc_lo, 0x37ffffff, v3
	s_mov_b32 s8, 0
                                        ; implicit-def: $vgpr3
	s_and_saveexec_b32 s9, vcc_lo
	s_delay_alu instid0(SALU_CYCLE_1)
	s_xor_b32 s9, exec_lo, s9
	s_cbranch_execz .LBB102_3250
; %bb.3035:
	v_bfe_u32 v3, v2, 21, 1
	s_mov_b32 s8, exec_lo
	s_delay_alu instid0(VALU_DEP_1) | instskip(NEXT) | instid1(VALU_DEP_1)
	v_add3_u32 v3, v2, v3, 0x88fffff
	v_lshrrev_b32_e32 v3, 21, v3
	s_and_not1_saveexec_b32 s9, s9
	s_cbranch_execnz .LBB102_3251
.LBB102_3036:
	s_or_b32 exec_lo, exec_lo, s9
	v_mov_b32_e32 v5, 0
	s_and_saveexec_b32 s9, s8
.LBB102_3037:
	v_lshrrev_b32_e32 v2, 24, v2
	s_delay_alu instid0(VALU_DEP_1)
	v_and_or_b32 v5, 0x80, v2, v3
.LBB102_3038:
	s_or_b32 exec_lo, exec_lo, s9
.LBB102_3039:
	s_delay_alu instid0(SALU_CYCLE_1)
	s_or_b32 exec_lo, exec_lo, s5
	s_mov_b32 s5, 0
	global_store_b8 v[6:7], v5, off
.LBB102_3040:
	s_and_b32 vcc_lo, exec_lo, s5
	s_cbranch_vccz .LBB102_3050
; %bb.3041:
	s_wait_xcnt 0x0
	s_delay_alu instid0(VALU_DEP_1) | instskip(SKIP_1) | instid1(VALU_DEP_1)
	v_cvt_f32_f64_e32 v2, v[0:1]
	s_mov_b32 s5, exec_lo
                                        ; implicit-def: $vgpr3
	v_and_b32_e32 v5, 0x7fffffff, v2
	s_delay_alu instid0(VALU_DEP_1)
	v_cmpx_gt_u32_e32 0x43f00000, v5
	s_xor_b32 s5, exec_lo, s5
	s_cbranch_execz .LBB102_3047
; %bb.3042:
	s_mov_b32 s8, exec_lo
                                        ; implicit-def: $vgpr3
	v_cmpx_lt_u32_e32 0x3c7fffff, v5
	s_xor_b32 s8, exec_lo, s8
; %bb.3043:
	v_bfe_u32 v3, v2, 20, 1
	s_delay_alu instid0(VALU_DEP_1) | instskip(NEXT) | instid1(VALU_DEP_1)
	v_add3_u32 v3, v2, v3, 0x407ffff
	v_and_b32_e32 v5, 0xff00000, v3
	v_lshrrev_b32_e32 v3, 20, v3
	s_delay_alu instid0(VALU_DEP_2) | instskip(NEXT) | instid1(VALU_DEP_2)
	v_cmp_ne_u32_e32 vcc_lo, 0x7f00000, v5
	v_cndmask_b32_e32 v3, 0x7e, v3, vcc_lo
; %bb.3044:
	s_and_not1_saveexec_b32 s8, s8
; %bb.3045:
	v_add_f32_e64 v3, 0x46800000, |v2|
; %bb.3046:
	s_or_b32 exec_lo, exec_lo, s8
                                        ; implicit-def: $vgpr5
.LBB102_3047:
	s_and_not1_saveexec_b32 s5, s5
; %bb.3048:
	v_mov_b32_e32 v3, 0x7f
	v_cmp_lt_u32_e32 vcc_lo, 0x7f800000, v5
	s_delay_alu instid0(VALU_DEP_2)
	v_cndmask_b32_e32 v3, 0x7e, v3, vcc_lo
; %bb.3049:
	s_or_b32 exec_lo, exec_lo, s5
	v_lshrrev_b32_e32 v2, 24, v2
	s_delay_alu instid0(VALU_DEP_1)
	v_and_or_b32 v2, 0x80, v2, v3
	global_store_b8 v[6:7], v2, off
.LBB102_3050:
	s_mov_b32 s5, 0
.LBB102_3051:
	s_delay_alu instid0(SALU_CYCLE_1)
	s_and_not1_b32 vcc_lo, exec_lo, s5
	s_cbranch_vccnz .LBB102_3061
; %bb.3052:
	s_wait_xcnt 0x0
	s_delay_alu instid0(VALU_DEP_1) | instskip(SKIP_1) | instid1(VALU_DEP_1)
	v_cvt_f32_f64_e32 v2, v[0:1]
	s_mov_b32 s5, exec_lo
                                        ; implicit-def: $vgpr3
	v_and_b32_e32 v5, 0x7fffffff, v2
	s_delay_alu instid0(VALU_DEP_1)
	v_cmpx_gt_u32_e32 0x47800000, v5
	s_xor_b32 s5, exec_lo, s5
	s_cbranch_execz .LBB102_3058
; %bb.3053:
	s_mov_b32 s8, exec_lo
                                        ; implicit-def: $vgpr3
	v_cmpx_lt_u32_e32 0x387fffff, v5
	s_xor_b32 s8, exec_lo, s8
; %bb.3054:
	v_bfe_u32 v3, v2, 21, 1
	s_delay_alu instid0(VALU_DEP_1) | instskip(NEXT) | instid1(VALU_DEP_1)
	v_add3_u32 v3, v2, v3, 0x80fffff
	v_lshrrev_b32_e32 v3, 21, v3
; %bb.3055:
	s_and_not1_saveexec_b32 s8, s8
; %bb.3056:
	v_add_f32_e64 v3, 0x43000000, |v2|
; %bb.3057:
	s_or_b32 exec_lo, exec_lo, s8
                                        ; implicit-def: $vgpr5
.LBB102_3058:
	s_and_not1_saveexec_b32 s5, s5
; %bb.3059:
	v_mov_b32_e32 v3, 0x7f
	v_cmp_lt_u32_e32 vcc_lo, 0x7f800000, v5
	s_delay_alu instid0(VALU_DEP_2)
	v_cndmask_b32_e32 v3, 0x7c, v3, vcc_lo
; %bb.3060:
	s_or_b32 exec_lo, exec_lo, s5
	v_lshrrev_b32_e32 v2, 24, v2
	s_delay_alu instid0(VALU_DEP_1)
	v_and_or_b32 v2, 0x80, v2, v3
	global_store_b8 v[6:7], v2, off
.LBB102_3061:
	s_mov_b32 s5, 0
	s_mov_b32 s8, -1
.LBB102_3062:
	s_and_not1_b32 vcc_lo, exec_lo, s5
	s_mov_b32 s5, 0
	s_cbranch_vccnz .LBB102_3069
; %bb.3063:
	s_cmp_gt_i32 s4, 14
	s_mov_b32 s5, -1
	s_cbranch_scc0 .LBB102_3067
; %bb.3064:
	s_cmp_eq_u32 s4, 15
	s_mov_b32 s0, -1
	s_cbranch_scc0 .LBB102_3066
; %bb.3065:
	s_wait_xcnt 0x0
	s_delay_alu instid0(VALU_DEP_1) | instskip(SKIP_2) | instid1(VALU_DEP_1)
	v_cvt_f32_f64_e32 v2, v[0:1]
	s_mov_b32 s0, 0
	s_mov_b32 s8, -1
	v_bfe_u32 v3, v2, 16, 1
	v_cmp_o_f32_e32 vcc_lo, v2, v2
	s_delay_alu instid0(VALU_DEP_2) | instskip(NEXT) | instid1(VALU_DEP_1)
	v_add3_u32 v3, v2, v3, 0x7fff
	v_lshrrev_b32_e32 v3, 16, v3
	s_delay_alu instid0(VALU_DEP_1)
	v_cndmask_b32_e32 v2, 0x7fc0, v3, vcc_lo
	global_store_b16 v[6:7], v2, off
.LBB102_3066:
	s_mov_b32 s5, 0
.LBB102_3067:
	s_delay_alu instid0(SALU_CYCLE_1)
	s_and_b32 vcc_lo, exec_lo, s5
	s_mov_b32 s5, 0
	s_cbranch_vccz .LBB102_3069
; %bb.3068:
	s_cmp_lg_u32 s4, 11
	s_mov_b32 s5, -1
	s_cselect_b32 s0, -1, 0
.LBB102_3069:
	s_delay_alu instid0(SALU_CYCLE_1)
	s_and_b32 vcc_lo, exec_lo, s0
	s_cbranch_vccnz .LBB102_3249
; %bb.3070:
	s_and_not1_b32 vcc_lo, exec_lo, s5
	s_cbranch_vccnz .LBB102_3072
.LBB102_3071:
	s_delay_alu instid0(VALU_DEP_1)
	v_cmp_neq_f64_e32 vcc_lo, 0, v[0:1]
	s_mov_b32 s8, -1
	s_wait_xcnt 0x0
	v_cndmask_b32_e64 v2, 0, 1, vcc_lo
	global_store_b8 v[6:7], v2, off
.LBB102_3072:
	s_mov_b32 s0, 0
	s_branch .LBB102_3074
.LBB102_3073:
	s_mov_b32 s0, -1
	s_mov_b32 s8, 0
.LBB102_3074:
	s_and_b32 vcc_lo, exec_lo, s0
	s_cbranch_vccz .LBB102_3113
; %bb.3075:
	s_and_b32 s0, 0xffff, s19
	s_mov_b32 s4, -1
	s_cmp_lt_i32 s0, 5
	s_cbranch_scc1 .LBB102_3096
; %bb.3076:
	s_cmp_lt_i32 s0, 8
	s_cbranch_scc1 .LBB102_3086
; %bb.3077:
	;; [unrolled: 3-line block ×3, first 2 shown]
	s_cmp_gt_i32 s0, 9
	s_cbranch_scc0 .LBB102_3080
; %bb.3079:
	s_wait_xcnt 0x0
	v_mov_b32_e32 v2, 0
	s_mov_b32 s4, 0
	s_delay_alu instid0(VALU_DEP_1)
	v_mov_b32_e32 v3, v2
	global_store_b128 v[6:7], v[0:3], off
.LBB102_3080:
	s_and_not1_b32 vcc_lo, exec_lo, s4
	s_cbranch_vccnz .LBB102_3082
; %bb.3081:
	s_wait_xcnt 0x0
	s_delay_alu instid0(VALU_DEP_1)
	v_cvt_f32_f64_e32 v2, v[0:1]
	v_mov_b32_e32 v3, 0
	global_store_b64 v[6:7], v[2:3], off
.LBB102_3082:
	s_mov_b32 s4, 0
.LBB102_3083:
	s_delay_alu instid0(SALU_CYCLE_1)
	s_and_not1_b32 vcc_lo, exec_lo, s4
	s_cbranch_vccnz .LBB102_3085
; %bb.3084:
	s_wait_xcnt 0x0
	s_delay_alu instid0(VALU_DEP_1) | instskip(SKIP_2) | instid1(VALU_DEP_3)
	v_and_or_b32 v2, 0x1ff, v1, v0
	v_lshrrev_b32_e32 v3, 8, v1
	v_bfe_u32 v5, v1, 20, 11
	v_cmp_ne_u32_e32 vcc_lo, 0, v2
	s_delay_alu instid0(VALU_DEP_2) | instskip(SKIP_2) | instid1(VALU_DEP_1)
	v_sub_nc_u32_e32 v8, 0x3f1, v5
	v_add_nc_u32_e32 v5, 0xfffffc10, v5
	v_cndmask_b32_e64 v2, 0, 1, vcc_lo
	v_and_or_b32 v2, 0xffe, v3, v2
	s_delay_alu instid0(VALU_DEP_4) | instskip(NEXT) | instid1(VALU_DEP_2)
	v_med3_i32 v3, v8, 0, 13
	v_or_b32_e32 v8, 0x1000, v2
	s_delay_alu instid0(VALU_DEP_1) | instskip(NEXT) | instid1(VALU_DEP_1)
	v_lshrrev_b32_e32 v9, v3, v8
	v_lshlrev_b32_e32 v3, v3, v9
	s_delay_alu instid0(VALU_DEP_1) | instskip(SKIP_3) | instid1(VALU_DEP_2)
	v_cmp_ne_u32_e32 vcc_lo, v3, v8
	v_lshl_or_b32 v8, v5, 12, v2
	v_cndmask_b32_e64 v3, 0, 1, vcc_lo
	v_cmp_gt_i32_e32 vcc_lo, 1, v5
	v_or_b32_e32 v3, v9, v3
	s_delay_alu instid0(VALU_DEP_1) | instskip(NEXT) | instid1(VALU_DEP_1)
	v_cndmask_b32_e32 v3, v8, v3, vcc_lo
	v_dual_lshrrev_b32 v3, 2, v3 :: v_dual_bitop2_b32 v8, 7, v3 bitop3:0x40
	s_delay_alu instid0(VALU_DEP_1) | instskip(SKIP_4) | instid1(VALU_DEP_2)
	v_cmp_lt_i32_e32 vcc_lo, 5, v8
	v_cndmask_b32_e64 v9, 0, 1, vcc_lo
	v_cmp_eq_u32_e32 vcc_lo, 3, v8
	v_cndmask_b32_e64 v8, 0, 1, vcc_lo
	v_cmp_ne_u32_e32 vcc_lo, 0, v2
	v_or_b32_e32 v8, v8, v9
	v_mov_b32_e32 v9, 0x7e00
	s_delay_alu instid0(VALU_DEP_1) | instskip(SKIP_1) | instid1(VALU_DEP_2)
	v_dual_cndmask_b32 v2, 0x7c00, v9 :: v_dual_add_nc_u32 v3, v3, v8
	v_cmp_gt_i32_e32 vcc_lo, 31, v5
	v_dual_cndmask_b32 v3, 0x7c00, v3 :: v_dual_lshrrev_b32 v8, 16, v1
	v_cmp_eq_u32_e32 vcc_lo, 0x40f, v5
	s_delay_alu instid0(VALU_DEP_2) | instskip(NEXT) | instid1(VALU_DEP_3)
	v_cndmask_b32_e32 v2, v3, v2, vcc_lo
	v_and_b32_e32 v3, 0x8000, v8
	s_delay_alu instid0(VALU_DEP_1)
	v_bitop3_b32 v2, v3, 0xffff, v2 bitop3:0xc8
	global_store_b32 v[6:7], v2, off
.LBB102_3085:
	s_mov_b32 s4, 0
.LBB102_3086:
	s_delay_alu instid0(SALU_CYCLE_1)
	s_and_not1_b32 vcc_lo, exec_lo, s4
	s_cbranch_vccnz .LBB102_3095
; %bb.3087:
	s_cmp_lt_i32 s0, 6
	s_mov_b32 s4, -1
	s_cbranch_scc1 .LBB102_3093
; %bb.3088:
	s_cmp_gt_i32 s0, 6
	s_cbranch_scc0 .LBB102_3090
; %bb.3089:
	s_mov_b32 s4, 0
	global_store_b64 v[6:7], v[0:1], off
.LBB102_3090:
	s_and_not1_b32 vcc_lo, exec_lo, s4
	s_cbranch_vccnz .LBB102_3092
; %bb.3091:
	s_wait_xcnt 0x0
	s_delay_alu instid0(VALU_DEP_1)
	v_cvt_f32_f64_e32 v2, v[0:1]
	global_store_b32 v[6:7], v2, off
.LBB102_3092:
	s_mov_b32 s4, 0
.LBB102_3093:
	s_delay_alu instid0(SALU_CYCLE_1)
	s_and_not1_b32 vcc_lo, exec_lo, s4
	s_cbranch_vccnz .LBB102_3095
; %bb.3094:
	s_wait_xcnt 0x0
	s_delay_alu instid0(VALU_DEP_1) | instskip(SKIP_2) | instid1(VALU_DEP_3)
	v_and_or_b32 v2, 0x1ff, v1, v0
	v_lshrrev_b32_e32 v3, 8, v1
	v_bfe_u32 v5, v1, 20, 11
	v_cmp_ne_u32_e32 vcc_lo, 0, v2
	s_delay_alu instid0(VALU_DEP_2) | instskip(SKIP_2) | instid1(VALU_DEP_1)
	v_sub_nc_u32_e32 v8, 0x3f1, v5
	v_add_nc_u32_e32 v5, 0xfffffc10, v5
	v_cndmask_b32_e64 v2, 0, 1, vcc_lo
	v_and_or_b32 v2, 0xffe, v3, v2
	s_delay_alu instid0(VALU_DEP_4) | instskip(NEXT) | instid1(VALU_DEP_2)
	v_med3_i32 v3, v8, 0, 13
	v_or_b32_e32 v8, 0x1000, v2
	s_delay_alu instid0(VALU_DEP_1) | instskip(NEXT) | instid1(VALU_DEP_1)
	v_lshrrev_b32_e32 v9, v3, v8
	v_lshlrev_b32_e32 v3, v3, v9
	s_delay_alu instid0(VALU_DEP_1) | instskip(SKIP_3) | instid1(VALU_DEP_2)
	v_cmp_ne_u32_e32 vcc_lo, v3, v8
	v_lshl_or_b32 v8, v5, 12, v2
	v_cndmask_b32_e64 v3, 0, 1, vcc_lo
	v_cmp_gt_i32_e32 vcc_lo, 1, v5
	v_or_b32_e32 v3, v9, v3
	s_delay_alu instid0(VALU_DEP_1) | instskip(NEXT) | instid1(VALU_DEP_1)
	v_cndmask_b32_e32 v3, v8, v3, vcc_lo
	v_dual_lshrrev_b32 v3, 2, v3 :: v_dual_bitop2_b32 v8, 7, v3 bitop3:0x40
	s_delay_alu instid0(VALU_DEP_1) | instskip(SKIP_4) | instid1(VALU_DEP_2)
	v_cmp_lt_i32_e32 vcc_lo, 5, v8
	v_cndmask_b32_e64 v9, 0, 1, vcc_lo
	v_cmp_eq_u32_e32 vcc_lo, 3, v8
	v_cndmask_b32_e64 v8, 0, 1, vcc_lo
	v_cmp_ne_u32_e32 vcc_lo, 0, v2
	v_or_b32_e32 v8, v8, v9
	v_mov_b32_e32 v9, 0x7e00
	s_delay_alu instid0(VALU_DEP_1) | instskip(SKIP_1) | instid1(VALU_DEP_2)
	v_dual_cndmask_b32 v2, 0x7c00, v9 :: v_dual_add_nc_u32 v3, v3, v8
	v_cmp_gt_i32_e32 vcc_lo, 31, v5
	v_cndmask_b32_e32 v3, 0x7c00, v3, vcc_lo
	v_cmp_eq_u32_e32 vcc_lo, 0x40f, v5
	s_delay_alu instid0(VALU_DEP_2) | instskip(NEXT) | instid1(VALU_DEP_1)
	v_dual_cndmask_b32 v2, v3, v2 :: v_dual_lshrrev_b32 v3, 16, v1
	v_and_or_b32 v2, 0x8000, v3, v2
	global_store_b16 v[6:7], v2, off
.LBB102_3095:
	s_mov_b32 s4, 0
.LBB102_3096:
	s_delay_alu instid0(SALU_CYCLE_1)
	s_and_not1_b32 vcc_lo, exec_lo, s4
	s_cbranch_vccnz .LBB102_3112
; %bb.3097:
	s_cmp_lt_i32 s0, 2
	s_mov_b32 s4, -1
	s_cbranch_scc1 .LBB102_3107
; %bb.3098:
	s_cmp_lt_i32 s0, 3
	s_cbranch_scc1 .LBB102_3104
; %bb.3099:
	s_cmp_gt_i32 s0, 3
	s_cbranch_scc0 .LBB102_3101
; %bb.3100:
	s_wait_xcnt 0x0
	s_delay_alu instid0(VALU_DEP_1) | instskip(SKIP_1) | instid1(VALU_DEP_1)
	v_trunc_f64_e32 v[2:3], v[0:1]
	s_mov_b32 s4, 0
	v_ldexp_f64 v[8:9], v[2:3], 0xffffffe0
	s_delay_alu instid0(VALU_DEP_1) | instskip(NEXT) | instid1(VALU_DEP_1)
	v_floor_f64_e32 v[8:9], v[8:9]
	v_fmamk_f64 v[2:3], v[8:9], 0xc1f00000, v[2:3]
	v_cvt_i32_f64_e32 v9, v[8:9]
	s_delay_alu instid0(VALU_DEP_2)
	v_cvt_u32_f64_e32 v8, v[2:3]
	global_store_b64 v[6:7], v[8:9], off
.LBB102_3101:
	s_and_not1_b32 vcc_lo, exec_lo, s4
	s_cbranch_vccnz .LBB102_3103
; %bb.3102:
	s_wait_xcnt 0x0
	s_delay_alu instid0(VALU_DEP_1)
	v_cvt_i32_f64_e32 v2, v[0:1]
	global_store_b32 v[6:7], v2, off
.LBB102_3103:
	s_mov_b32 s4, 0
.LBB102_3104:
	s_delay_alu instid0(SALU_CYCLE_1)
	s_and_not1_b32 vcc_lo, exec_lo, s4
	s_cbranch_vccnz .LBB102_3106
; %bb.3105:
	s_wait_xcnt 0x0
	s_delay_alu instid0(VALU_DEP_1)
	v_cvt_i32_f64_e32 v2, v[0:1]
	global_store_b16 v[6:7], v2, off
.LBB102_3106:
	s_mov_b32 s4, 0
.LBB102_3107:
	s_delay_alu instid0(SALU_CYCLE_1)
	s_and_not1_b32 vcc_lo, exec_lo, s4
	s_cbranch_vccnz .LBB102_3112
; %bb.3108:
	s_cmp_gt_i32 s0, 0
	s_mov_b32 s0, -1
	s_cbranch_scc0 .LBB102_3110
; %bb.3109:
	s_wait_xcnt 0x0
	s_delay_alu instid0(VALU_DEP_1)
	v_cvt_i32_f64_e32 v2, v[0:1]
	s_mov_b32 s0, 0
	global_store_b8 v[6:7], v2, off
.LBB102_3110:
	s_and_not1_b32 vcc_lo, exec_lo, s0
	s_cbranch_vccnz .LBB102_3112
; %bb.3111:
	s_wait_xcnt 0x0
	s_delay_alu instid0(VALU_DEP_1) | instskip(NEXT) | instid1(VALU_DEP_1)
	v_trunc_f64_e32 v[0:1], v[0:1]
	v_ldexp_f64 v[2:3], v[0:1], 0xffffffe0
	s_delay_alu instid0(VALU_DEP_1) | instskip(NEXT) | instid1(VALU_DEP_1)
	v_floor_f64_e32 v[2:3], v[2:3]
	v_fmamk_f64 v[0:1], v[2:3], 0xc1f00000, v[0:1]
	s_delay_alu instid0(VALU_DEP_1)
	v_cvt_u32_f64_e32 v0, v[0:1]
	global_store_b8 v[6:7], v0, off
.LBB102_3112:
	s_mov_b32 s8, -1
.LBB102_3113:
	s_delay_alu instid0(SALU_CYCLE_1)
	s_and_not1_b32 vcc_lo, exec_lo, s8
	s_cbranch_vccnz .LBB102_3190
; %bb.3114:
	s_wait_xcnt 0x0
	v_add_nc_u32_e32 v2, s1, v4
	v_mul_f64_e32 v[0:1], s[6:7], v[12:13]
	s_cmp_lt_i32 s19, 11
	s_delay_alu instid0(VALU_DEP_2) | instskip(NEXT) | instid1(VALU_DEP_1)
	v_ashrrev_i32_e32 v3, 31, v2
	v_add_nc_u64_e32 v[4:5], s[2:3], v[2:3]
	s_delay_alu instid0(VALU_DEP_3)
	v_mul_f64_e32 v[0:1], v[0:1], v[14:15]
	s_cbranch_scc1 .LBB102_3235
; %bb.3115:
	s_and_b32 s2, 0xffff, s19
	s_mov_b32 s3, -1
	s_mov_b32 s1, 0
	s_cmp_gt_i32 s2, 25
	s_mov_b32 s0, 0
	s_cbranch_scc0 .LBB102_3148
; %bb.3116:
	s_cmp_gt_i32 s2, 28
	s_cbranch_scc0 .LBB102_3132
; %bb.3117:
	s_cmp_gt_i32 s2, 43
	;; [unrolled: 3-line block ×3, first 2 shown]
	s_cbranch_scc0 .LBB102_3122
; %bb.3119:
	s_cmp_eq_u32 s2, 46
	s_mov_b32 s0, -1
	s_cbranch_scc0 .LBB102_3121
; %bb.3120:
	s_delay_alu instid0(VALU_DEP_1) | instskip(SKIP_1) | instid1(VALU_DEP_1)
	v_cvt_f32_f64_e32 v2, v[0:1]
	s_mov_b32 s0, 0
	v_bfe_u32 v3, v2, 16, 1
	v_cmp_o_f32_e32 vcc_lo, v2, v2
	s_delay_alu instid0(VALU_DEP_2) | instskip(NEXT) | instid1(VALU_DEP_1)
	v_add3_u32 v3, v2, v3, 0x7fff
	v_lshrrev_b32_e32 v3, 16, v3
	s_delay_alu instid0(VALU_DEP_1)
	v_cndmask_b32_e32 v2, 0x7fc0, v3, vcc_lo
	global_store_b32 v[4:5], v2, off
.LBB102_3121:
	s_mov_b32 s3, 0
.LBB102_3122:
	s_delay_alu instid0(SALU_CYCLE_1)
	s_and_b32 vcc_lo, exec_lo, s3
	s_cbranch_vccz .LBB102_3127
; %bb.3123:
	s_cmp_eq_u32 s2, 44
	s_mov_b32 s0, -1
	s_cbranch_scc0 .LBB102_3127
; %bb.3124:
	s_wait_xcnt 0x0
	s_delay_alu instid0(VALU_DEP_1) | instskip(SKIP_2) | instid1(VALU_DEP_2)
	v_cvt_f32_f64_e32 v2, v[0:1]
	v_mov_b32_e32 v3, 0xff
	s_mov_b32 s3, exec_lo
	v_bfe_u32 v6, v2, 23, 8
	s_delay_alu instid0(VALU_DEP_1)
	v_cmpx_ne_u32_e32 0xff, v6
	s_cbranch_execz .LBB102_3126
; %bb.3125:
	v_and_b32_e32 v3, 0x400000, v2
	v_and_or_b32 v6, 0x3fffff, v2, v6
	v_lshrrev_b32_e32 v2, 23, v2
	s_delay_alu instid0(VALU_DEP_3) | instskip(NEXT) | instid1(VALU_DEP_3)
	v_cmp_ne_u32_e32 vcc_lo, 0, v3
	v_cmp_ne_u32_e64 s0, 0, v6
	s_and_b32 s0, vcc_lo, s0
	s_delay_alu instid0(SALU_CYCLE_1) | instskip(NEXT) | instid1(VALU_DEP_1)
	v_cndmask_b32_e64 v3, 0, 1, s0
	v_add_nc_u32_e32 v3, v2, v3
.LBB102_3126:
	s_or_b32 exec_lo, exec_lo, s3
	s_mov_b32 s0, 0
	global_store_b8 v[4:5], v3, off
.LBB102_3127:
	s_mov_b32 s3, 0
.LBB102_3128:
	s_delay_alu instid0(SALU_CYCLE_1)
	s_and_b32 vcc_lo, exec_lo, s3
	s_cbranch_vccz .LBB102_3131
; %bb.3129:
	s_cmp_eq_u32 s2, 29
	s_mov_b32 s0, -1
	s_cbranch_scc0 .LBB102_3131
; %bb.3130:
	s_wait_xcnt 0x0
	s_delay_alu instid0(VALU_DEP_1) | instskip(SKIP_1) | instid1(VALU_DEP_1)
	v_trunc_f64_e32 v[2:3], v[0:1]
	s_mov_b32 s0, 0
	v_ldexp_f64 v[6:7], v[2:3], 0xffffffe0
	s_delay_alu instid0(VALU_DEP_1) | instskip(NEXT) | instid1(VALU_DEP_1)
	v_floor_f64_e32 v[6:7], v[6:7]
	v_fmamk_f64 v[2:3], v[6:7], 0xc1f00000, v[2:3]
	v_cvt_u32_f64_e32 v7, v[6:7]
	s_delay_alu instid0(VALU_DEP_2)
	v_cvt_u32_f64_e32 v6, v[2:3]
	global_store_b64 v[4:5], v[6:7], off
.LBB102_3131:
	s_mov_b32 s3, 0
.LBB102_3132:
	s_delay_alu instid0(SALU_CYCLE_1)
	s_and_b32 vcc_lo, exec_lo, s3
	s_cbranch_vccz .LBB102_3147
; %bb.3133:
	s_cmp_lt_i32 s2, 27
	s_mov_b32 s3, -1
	s_cbranch_scc1 .LBB102_3139
; %bb.3134:
	s_wait_xcnt 0x0
	s_delay_alu instid0(VALU_DEP_1)
	v_cvt_u32_f64_e32 v2, v[0:1]
	s_cmp_gt_i32 s2, 27
	s_cbranch_scc0 .LBB102_3136
; %bb.3135:
	s_mov_b32 s3, 0
	global_store_b32 v[4:5], v2, off
.LBB102_3136:
	s_and_not1_b32 vcc_lo, exec_lo, s3
	s_cbranch_vccnz .LBB102_3138
; %bb.3137:
	global_store_b16 v[4:5], v2, off
.LBB102_3138:
	s_mov_b32 s3, 0
.LBB102_3139:
	s_delay_alu instid0(SALU_CYCLE_1)
	s_and_not1_b32 vcc_lo, exec_lo, s3
	s_cbranch_vccnz .LBB102_3147
; %bb.3140:
	s_wait_xcnt 0x0
	s_delay_alu instid0(VALU_DEP_1) | instskip(SKIP_2) | instid1(VALU_DEP_2)
	v_cvt_f32_f64_e32 v2, v[0:1]
	v_mov_b32_e32 v6, 0x80
	s_mov_b32 s3, exec_lo
	v_and_b32_e32 v3, 0x7fffffff, v2
	s_delay_alu instid0(VALU_DEP_1)
	v_cmpx_gt_u32_e32 0x43800000, v3
	s_cbranch_execz .LBB102_3146
; %bb.3141:
	v_cmp_lt_u32_e32 vcc_lo, 0x3bffffff, v3
	s_mov_b32 s4, 0
                                        ; implicit-def: $vgpr3
	s_and_saveexec_b32 s5, vcc_lo
	s_delay_alu instid0(SALU_CYCLE_1)
	s_xor_b32 s5, exec_lo, s5
	s_cbranch_execz .LBB102_3252
; %bb.3142:
	v_bfe_u32 v3, v2, 20, 1
	s_mov_b32 s4, exec_lo
	s_delay_alu instid0(VALU_DEP_1) | instskip(NEXT) | instid1(VALU_DEP_1)
	v_add3_u32 v3, v2, v3, 0x487ffff
	v_lshrrev_b32_e32 v3, 20, v3
	s_and_not1_saveexec_b32 s5, s5
	s_cbranch_execnz .LBB102_3253
.LBB102_3143:
	s_or_b32 exec_lo, exec_lo, s5
	v_mov_b32_e32 v6, 0
	s_and_saveexec_b32 s5, s4
.LBB102_3144:
	v_lshrrev_b32_e32 v2, 24, v2
	s_delay_alu instid0(VALU_DEP_1)
	v_and_or_b32 v6, 0x80, v2, v3
.LBB102_3145:
	s_or_b32 exec_lo, exec_lo, s5
.LBB102_3146:
	s_delay_alu instid0(SALU_CYCLE_1)
	s_or_b32 exec_lo, exec_lo, s3
	global_store_b8 v[4:5], v6, off
.LBB102_3147:
	s_mov_b32 s3, 0
.LBB102_3148:
	s_delay_alu instid0(SALU_CYCLE_1)
	s_and_b32 vcc_lo, exec_lo, s3
	s_cbranch_vccz .LBB102_3188
; %bb.3149:
	s_cmp_gt_i32 s2, 22
	s_mov_b32 s1, -1
	s_cbranch_scc0 .LBB102_3181
; %bb.3150:
	s_cmp_lt_i32 s2, 24
	s_cbranch_scc1 .LBB102_3170
; %bb.3151:
	s_cmp_gt_i32 s2, 24
	s_cbranch_scc0 .LBB102_3159
; %bb.3152:
	s_wait_xcnt 0x0
	s_delay_alu instid0(VALU_DEP_1) | instskip(SKIP_2) | instid1(VALU_DEP_2)
	v_cvt_f32_f64_e32 v2, v[0:1]
	v_mov_b32_e32 v6, 0x80
	s_mov_b32 s1, exec_lo
	v_and_b32_e32 v3, 0x7fffffff, v2
	s_delay_alu instid0(VALU_DEP_1)
	v_cmpx_gt_u32_e32 0x47800000, v3
	s_cbranch_execz .LBB102_3158
; %bb.3153:
	v_cmp_lt_u32_e32 vcc_lo, 0x37ffffff, v3
	s_mov_b32 s3, 0
                                        ; implicit-def: $vgpr3
	s_and_saveexec_b32 s4, vcc_lo
	s_delay_alu instid0(SALU_CYCLE_1)
	s_xor_b32 s4, exec_lo, s4
	s_cbranch_execz .LBB102_3255
; %bb.3154:
	v_bfe_u32 v3, v2, 21, 1
	s_mov_b32 s3, exec_lo
	s_delay_alu instid0(VALU_DEP_1) | instskip(NEXT) | instid1(VALU_DEP_1)
	v_add3_u32 v3, v2, v3, 0x88fffff
	v_lshrrev_b32_e32 v3, 21, v3
	s_and_not1_saveexec_b32 s4, s4
	s_cbranch_execnz .LBB102_3256
.LBB102_3155:
	s_or_b32 exec_lo, exec_lo, s4
	v_mov_b32_e32 v6, 0
	s_and_saveexec_b32 s4, s3
.LBB102_3156:
	v_lshrrev_b32_e32 v2, 24, v2
	s_delay_alu instid0(VALU_DEP_1)
	v_and_or_b32 v6, 0x80, v2, v3
.LBB102_3157:
	s_or_b32 exec_lo, exec_lo, s4
.LBB102_3158:
	s_delay_alu instid0(SALU_CYCLE_1)
	s_or_b32 exec_lo, exec_lo, s1
	s_mov_b32 s1, 0
	global_store_b8 v[4:5], v6, off
.LBB102_3159:
	s_and_b32 vcc_lo, exec_lo, s1
	s_cbranch_vccz .LBB102_3169
; %bb.3160:
	s_wait_xcnt 0x0
	s_delay_alu instid0(VALU_DEP_1) | instskip(SKIP_1) | instid1(VALU_DEP_1)
	v_cvt_f32_f64_e32 v2, v[0:1]
	s_mov_b32 s1, exec_lo
                                        ; implicit-def: $vgpr3
	v_and_b32_e32 v6, 0x7fffffff, v2
	s_delay_alu instid0(VALU_DEP_1)
	v_cmpx_gt_u32_e32 0x43f00000, v6
	s_xor_b32 s1, exec_lo, s1
	s_cbranch_execz .LBB102_3166
; %bb.3161:
	s_mov_b32 s3, exec_lo
                                        ; implicit-def: $vgpr3
	v_cmpx_lt_u32_e32 0x3c7fffff, v6
	s_xor_b32 s3, exec_lo, s3
; %bb.3162:
	v_bfe_u32 v3, v2, 20, 1
	s_delay_alu instid0(VALU_DEP_1) | instskip(NEXT) | instid1(VALU_DEP_1)
	v_add3_u32 v3, v2, v3, 0x407ffff
	v_and_b32_e32 v6, 0xff00000, v3
	v_lshrrev_b32_e32 v3, 20, v3
	s_delay_alu instid0(VALU_DEP_2) | instskip(NEXT) | instid1(VALU_DEP_2)
	v_cmp_ne_u32_e32 vcc_lo, 0x7f00000, v6
	v_cndmask_b32_e32 v3, 0x7e, v3, vcc_lo
; %bb.3163:
	s_and_not1_saveexec_b32 s3, s3
; %bb.3164:
	v_add_f32_e64 v3, 0x46800000, |v2|
; %bb.3165:
	s_or_b32 exec_lo, exec_lo, s3
                                        ; implicit-def: $vgpr6
.LBB102_3166:
	s_and_not1_saveexec_b32 s1, s1
; %bb.3167:
	v_mov_b32_e32 v3, 0x7f
	v_cmp_lt_u32_e32 vcc_lo, 0x7f800000, v6
	s_delay_alu instid0(VALU_DEP_2)
	v_cndmask_b32_e32 v3, 0x7e, v3, vcc_lo
; %bb.3168:
	s_or_b32 exec_lo, exec_lo, s1
	v_lshrrev_b32_e32 v2, 24, v2
	s_delay_alu instid0(VALU_DEP_1)
	v_and_or_b32 v2, 0x80, v2, v3
	global_store_b8 v[4:5], v2, off
.LBB102_3169:
	s_mov_b32 s1, 0
.LBB102_3170:
	s_delay_alu instid0(SALU_CYCLE_1)
	s_and_not1_b32 vcc_lo, exec_lo, s1
	s_cbranch_vccnz .LBB102_3180
; %bb.3171:
	s_wait_xcnt 0x0
	s_delay_alu instid0(VALU_DEP_1) | instskip(SKIP_1) | instid1(VALU_DEP_1)
	v_cvt_f32_f64_e32 v2, v[0:1]
	s_mov_b32 s1, exec_lo
                                        ; implicit-def: $vgpr3
	v_and_b32_e32 v6, 0x7fffffff, v2
	s_delay_alu instid0(VALU_DEP_1)
	v_cmpx_gt_u32_e32 0x47800000, v6
	s_xor_b32 s1, exec_lo, s1
	s_cbranch_execz .LBB102_3177
; %bb.3172:
	s_mov_b32 s3, exec_lo
                                        ; implicit-def: $vgpr3
	v_cmpx_lt_u32_e32 0x387fffff, v6
	s_xor_b32 s3, exec_lo, s3
; %bb.3173:
	v_bfe_u32 v3, v2, 21, 1
	s_delay_alu instid0(VALU_DEP_1) | instskip(NEXT) | instid1(VALU_DEP_1)
	v_add3_u32 v3, v2, v3, 0x80fffff
	v_lshrrev_b32_e32 v3, 21, v3
; %bb.3174:
	s_and_not1_saveexec_b32 s3, s3
; %bb.3175:
	v_add_f32_e64 v3, 0x43000000, |v2|
; %bb.3176:
	s_or_b32 exec_lo, exec_lo, s3
                                        ; implicit-def: $vgpr6
.LBB102_3177:
	s_and_not1_saveexec_b32 s1, s1
; %bb.3178:
	v_mov_b32_e32 v3, 0x7f
	v_cmp_lt_u32_e32 vcc_lo, 0x7f800000, v6
	s_delay_alu instid0(VALU_DEP_2)
	v_cndmask_b32_e32 v3, 0x7c, v3, vcc_lo
; %bb.3179:
	s_or_b32 exec_lo, exec_lo, s1
	v_lshrrev_b32_e32 v2, 24, v2
	s_delay_alu instid0(VALU_DEP_1)
	v_and_or_b32 v2, 0x80, v2, v3
	global_store_b8 v[4:5], v2, off
.LBB102_3180:
	s_mov_b32 s1, 0
.LBB102_3181:
	s_delay_alu instid0(SALU_CYCLE_1)
	s_and_not1_b32 vcc_lo, exec_lo, s1
	s_mov_b32 s1, 0
	s_cbranch_vccnz .LBB102_3188
; %bb.3182:
	s_cmp_gt_i32 s2, 14
	s_mov_b32 s1, -1
	s_cbranch_scc0 .LBB102_3186
; %bb.3183:
	s_cmp_eq_u32 s2, 15
	s_mov_b32 s0, -1
	s_cbranch_scc0 .LBB102_3185
; %bb.3184:
	s_wait_xcnt 0x0
	s_delay_alu instid0(VALU_DEP_1) | instskip(SKIP_1) | instid1(VALU_DEP_1)
	v_cvt_f32_f64_e32 v2, v[0:1]
	s_mov_b32 s0, 0
	v_bfe_u32 v3, v2, 16, 1
	v_cmp_o_f32_e32 vcc_lo, v2, v2
	s_delay_alu instid0(VALU_DEP_2) | instskip(NEXT) | instid1(VALU_DEP_1)
	v_add3_u32 v3, v2, v3, 0x7fff
	v_lshrrev_b32_e32 v3, 16, v3
	s_delay_alu instid0(VALU_DEP_1)
	v_cndmask_b32_e32 v2, 0x7fc0, v3, vcc_lo
	global_store_b16 v[4:5], v2, off
.LBB102_3185:
	s_mov_b32 s1, 0
.LBB102_3186:
	s_delay_alu instid0(SALU_CYCLE_1)
	s_and_b32 vcc_lo, exec_lo, s1
	s_mov_b32 s1, 0
	s_cbranch_vccz .LBB102_3188
; %bb.3187:
	s_cmp_lg_u32 s2, 11
	s_mov_b32 s1, -1
	s_cselect_b32 s0, -1, 0
.LBB102_3188:
	s_delay_alu instid0(SALU_CYCLE_1)
	s_and_b32 vcc_lo, exec_lo, s0
	s_cbranch_vccnz .LBB102_3254
.LBB102_3189:
	s_mov_b32 s0, 0
	s_branch .LBB102_3191
.LBB102_3190:
	s_mov_b32 s0, 0
	s_mov_b32 s1, 0
                                        ; implicit-def: $sgpr19
                                        ; implicit-def: $vgpr4_vgpr5
                                        ; implicit-def: $vgpr0_vgpr1
.LBB102_3191:
	s_and_not1_b32 s2, s18, exec_lo
	s_and_b32 s3, s15, exec_lo
	s_and_b32 s0, s0, exec_lo
	;; [unrolled: 1-line block ×3, first 2 shown]
	s_or_b32 s18, s2, s3
.LBB102_3192:
	s_wait_xcnt 0x0
	s_or_b32 exec_lo, exec_lo, s17
	s_and_saveexec_b32 s1, s18
	s_cbranch_execz .LBB102_3195
; %bb.3193:
	; divergent unreachable
	s_or_b32 exec_lo, exec_lo, s1
	s_and_saveexec_b32 s1, s15
	s_delay_alu instid0(SALU_CYCLE_1)
	s_xor_b32 s1, exec_lo, s1
	s_cbranch_execnz .LBB102_3196
.LBB102_3194:
	s_or_b32 exec_lo, exec_lo, s1
	s_and_saveexec_b32 s1, s0
	s_cbranch_execnz .LBB102_3197
	s_branch .LBB102_3234
.LBB102_3195:
	s_or_b32 exec_lo, exec_lo, s1
	s_and_saveexec_b32 s1, s15
	s_delay_alu instid0(SALU_CYCLE_1)
	s_xor_b32 s1, exec_lo, s1
	s_cbranch_execz .LBB102_3194
.LBB102_3196:
	s_wait_loadcnt 0x0
	s_delay_alu instid0(VALU_DEP_1)
	v_cmp_neq_f64_e32 vcc_lo, 0, v[0:1]
	v_cndmask_b32_e64 v2, 0, 1, vcc_lo
	global_store_b8 v[4:5], v2, off
	s_wait_xcnt 0x0
	s_or_b32 exec_lo, exec_lo, s1
	s_and_saveexec_b32 s1, s0
	s_cbranch_execz .LBB102_3234
.LBB102_3197:
	s_sext_i32_i16 s1, s19
	s_mov_b32 s0, -1
	s_cmp_lt_i32 s1, 5
	s_cbranch_scc1 .LBB102_3218
; %bb.3198:
	s_cmp_lt_i32 s1, 8
	s_cbranch_scc1 .LBB102_3208
; %bb.3199:
	;; [unrolled: 3-line block ×3, first 2 shown]
	s_cmp_gt_i32 s1, 9
	s_cbranch_scc0 .LBB102_3202
; %bb.3201:
	s_wait_loadcnt 0x0
	v_mov_b32_e32 v2, 0
	s_mov_b32 s0, 0
	s_delay_alu instid0(VALU_DEP_1)
	v_mov_b32_e32 v3, v2
	global_store_b128 v[4:5], v[0:3], off
.LBB102_3202:
	s_and_not1_b32 vcc_lo, exec_lo, s0
	s_cbranch_vccnz .LBB102_3204
; %bb.3203:
	s_wait_loadcnt 0x0
	v_cvt_f32_f64_e32 v2, v[0:1]
	v_mov_b32_e32 v3, 0
	global_store_b64 v[4:5], v[2:3], off
.LBB102_3204:
	s_mov_b32 s0, 0
.LBB102_3205:
	s_delay_alu instid0(SALU_CYCLE_1)
	s_and_not1_b32 vcc_lo, exec_lo, s0
	s_cbranch_vccnz .LBB102_3207
; %bb.3206:
	s_wait_loadcnt 0x0
	v_and_or_b32 v2, 0x1ff, v1, v0
	v_lshrrev_b32_e32 v3, 8, v1
	v_bfe_u32 v6, v1, 20, 11
	s_delay_alu instid0(VALU_DEP_3) | instskip(NEXT) | instid1(VALU_DEP_2)
	v_cmp_ne_u32_e32 vcc_lo, 0, v2
	v_sub_nc_u32_e32 v7, 0x3f1, v6
	v_cndmask_b32_e64 v2, 0, 1, vcc_lo
	s_delay_alu instid0(VALU_DEP_1) | instskip(NEXT) | instid1(VALU_DEP_3)
	v_and_or_b32 v2, 0xffe, v3, v2
	v_med3_i32 v3, v7, 0, 13
	s_delay_alu instid0(VALU_DEP_2) | instskip(NEXT) | instid1(VALU_DEP_1)
	v_or_b32_e32 v7, 0x1000, v2
	v_lshrrev_b32_e32 v8, v3, v7
	s_delay_alu instid0(VALU_DEP_1) | instskip(NEXT) | instid1(VALU_DEP_1)
	v_lshlrev_b32_e32 v3, v3, v8
	v_cmp_ne_u32_e32 vcc_lo, v3, v7
	v_cndmask_b32_e64 v3, 0, 1, vcc_lo
	s_delay_alu instid0(VALU_DEP_1) | instskip(SKIP_1) | instid1(VALU_DEP_1)
	v_or_b32_e32 v3, v8, v3
	v_add_nc_u32_e32 v6, 0xfffffc10, v6
	v_lshl_or_b32 v7, v6, 12, v2
	v_cmp_gt_i32_e32 vcc_lo, 1, v6
	s_delay_alu instid0(VALU_DEP_2) | instskip(NEXT) | instid1(VALU_DEP_1)
	v_cndmask_b32_e32 v3, v7, v3, vcc_lo
	v_dual_lshrrev_b32 v3, 2, v3 :: v_dual_bitop2_b32 v7, 7, v3 bitop3:0x40
	s_delay_alu instid0(VALU_DEP_1) | instskip(SKIP_4) | instid1(VALU_DEP_2)
	v_cmp_lt_i32_e32 vcc_lo, 5, v7
	v_cndmask_b32_e64 v8, 0, 1, vcc_lo
	v_cmp_eq_u32_e32 vcc_lo, 3, v7
	v_cndmask_b32_e64 v7, 0, 1, vcc_lo
	v_cmp_ne_u32_e32 vcc_lo, 0, v2
	v_or_b32_e32 v7, v7, v8
	s_delay_alu instid0(VALU_DEP_1) | instskip(NEXT) | instid1(VALU_DEP_1)
	v_dual_mov_b32 v8, 0x7e00 :: v_dual_add_nc_u32 v3, v3, v7
	v_cndmask_b32_e32 v2, 0x7c00, v8, vcc_lo
	v_cmp_gt_i32_e32 vcc_lo, 31, v6
	v_lshrrev_b32_e32 v7, 16, v1
	s_delay_alu instid0(VALU_DEP_4) | instskip(SKIP_1) | instid1(VALU_DEP_2)
	v_cndmask_b32_e32 v3, 0x7c00, v3, vcc_lo
	v_cmp_eq_u32_e32 vcc_lo, 0x40f, v6
	v_cndmask_b32_e32 v2, v3, v2, vcc_lo
	s_delay_alu instid0(VALU_DEP_4) | instskip(NEXT) | instid1(VALU_DEP_1)
	v_and_b32_e32 v3, 0x8000, v7
	v_bitop3_b32 v2, v3, 0xffff, v2 bitop3:0xc8
	global_store_b32 v[4:5], v2, off
.LBB102_3207:
	s_mov_b32 s0, 0
.LBB102_3208:
	s_delay_alu instid0(SALU_CYCLE_1)
	s_and_not1_b32 vcc_lo, exec_lo, s0
	s_cbranch_vccnz .LBB102_3217
; %bb.3209:
	s_sext_i32_i16 s1, s19
	s_mov_b32 s0, -1
	s_cmp_lt_i32 s1, 6
	s_cbranch_scc1 .LBB102_3215
; %bb.3210:
	s_cmp_gt_i32 s1, 6
	s_cbranch_scc0 .LBB102_3212
; %bb.3211:
	s_mov_b32 s0, 0
	s_wait_loadcnt 0x0
	global_store_b64 v[4:5], v[0:1], off
.LBB102_3212:
	s_and_not1_b32 vcc_lo, exec_lo, s0
	s_cbranch_vccnz .LBB102_3214
; %bb.3213:
	s_wait_loadcnt 0x0
	v_cvt_f32_f64_e32 v2, v[0:1]
	global_store_b32 v[4:5], v2, off
.LBB102_3214:
	s_mov_b32 s0, 0
.LBB102_3215:
	s_delay_alu instid0(SALU_CYCLE_1)
	s_and_not1_b32 vcc_lo, exec_lo, s0
	s_cbranch_vccnz .LBB102_3217
; %bb.3216:
	s_wait_loadcnt 0x0
	v_and_or_b32 v2, 0x1ff, v1, v0
	v_lshrrev_b32_e32 v3, 8, v1
	v_bfe_u32 v6, v1, 20, 11
	s_delay_alu instid0(VALU_DEP_3) | instskip(NEXT) | instid1(VALU_DEP_2)
	v_cmp_ne_u32_e32 vcc_lo, 0, v2
	v_sub_nc_u32_e32 v7, 0x3f1, v6
	v_cndmask_b32_e64 v2, 0, 1, vcc_lo
	s_delay_alu instid0(VALU_DEP_1) | instskip(NEXT) | instid1(VALU_DEP_3)
	v_and_or_b32 v2, 0xffe, v3, v2
	v_med3_i32 v3, v7, 0, 13
	s_delay_alu instid0(VALU_DEP_2) | instskip(NEXT) | instid1(VALU_DEP_1)
	v_or_b32_e32 v7, 0x1000, v2
	v_lshrrev_b32_e32 v8, v3, v7
	s_delay_alu instid0(VALU_DEP_1) | instskip(NEXT) | instid1(VALU_DEP_1)
	v_lshlrev_b32_e32 v3, v3, v8
	v_cmp_ne_u32_e32 vcc_lo, v3, v7
	v_cndmask_b32_e64 v3, 0, 1, vcc_lo
	s_delay_alu instid0(VALU_DEP_1) | instskip(SKIP_1) | instid1(VALU_DEP_1)
	v_or_b32_e32 v3, v8, v3
	v_add_nc_u32_e32 v6, 0xfffffc10, v6
	v_lshl_or_b32 v7, v6, 12, v2
	v_cmp_gt_i32_e32 vcc_lo, 1, v6
	s_delay_alu instid0(VALU_DEP_2) | instskip(NEXT) | instid1(VALU_DEP_1)
	v_cndmask_b32_e32 v3, v7, v3, vcc_lo
	v_dual_lshrrev_b32 v3, 2, v3 :: v_dual_bitop2_b32 v7, 7, v3 bitop3:0x40
	s_delay_alu instid0(VALU_DEP_1) | instskip(SKIP_4) | instid1(VALU_DEP_2)
	v_cmp_lt_i32_e32 vcc_lo, 5, v7
	v_cndmask_b32_e64 v8, 0, 1, vcc_lo
	v_cmp_eq_u32_e32 vcc_lo, 3, v7
	v_cndmask_b32_e64 v7, 0, 1, vcc_lo
	v_cmp_ne_u32_e32 vcc_lo, 0, v2
	v_or_b32_e32 v7, v7, v8
	s_delay_alu instid0(VALU_DEP_1) | instskip(NEXT) | instid1(VALU_DEP_1)
	v_dual_mov_b32 v8, 0x7e00 :: v_dual_add_nc_u32 v3, v3, v7
	v_cndmask_b32_e32 v2, 0x7c00, v8, vcc_lo
	v_cmp_gt_i32_e32 vcc_lo, 31, v6
	s_delay_alu instid0(VALU_DEP_3) | instskip(SKIP_1) | instid1(VALU_DEP_2)
	v_cndmask_b32_e32 v3, 0x7c00, v3, vcc_lo
	v_cmp_eq_u32_e32 vcc_lo, 0x40f, v6
	v_dual_cndmask_b32 v2, v3, v2 :: v_dual_lshrrev_b32 v3, 16, v1
	s_delay_alu instid0(VALU_DEP_1)
	v_and_or_b32 v2, 0x8000, v3, v2
	global_store_b16 v[4:5], v2, off
.LBB102_3217:
	s_mov_b32 s0, 0
.LBB102_3218:
	s_delay_alu instid0(SALU_CYCLE_1)
	s_and_not1_b32 vcc_lo, exec_lo, s0
	s_cbranch_vccnz .LBB102_3234
; %bb.3219:
	s_sext_i32_i16 s1, s19
	s_mov_b32 s0, -1
	s_cmp_lt_i32 s1, 2
	s_cbranch_scc1 .LBB102_3229
; %bb.3220:
	s_cmp_lt_i32 s1, 3
	s_cbranch_scc1 .LBB102_3226
; %bb.3221:
	s_cmp_gt_i32 s1, 3
	s_cbranch_scc0 .LBB102_3223
; %bb.3222:
	s_wait_loadcnt 0x0
	v_trunc_f64_e32 v[2:3], v[0:1]
	s_mov_b32 s0, 0
	s_delay_alu instid0(VALU_DEP_1) | instskip(NEXT) | instid1(VALU_DEP_1)
	v_ldexp_f64 v[6:7], v[2:3], 0xffffffe0
	v_floor_f64_e32 v[6:7], v[6:7]
	s_delay_alu instid0(VALU_DEP_1) | instskip(SKIP_1) | instid1(VALU_DEP_2)
	v_fmamk_f64 v[2:3], v[6:7], 0xc1f00000, v[2:3]
	v_cvt_i32_f64_e32 v7, v[6:7]
	v_cvt_u32_f64_e32 v6, v[2:3]
	global_store_b64 v[4:5], v[6:7], off
.LBB102_3223:
	s_and_not1_b32 vcc_lo, exec_lo, s0
	s_cbranch_vccnz .LBB102_3225
; %bb.3224:
	s_wait_loadcnt 0x0
	v_cvt_i32_f64_e32 v2, v[0:1]
	global_store_b32 v[4:5], v2, off
.LBB102_3225:
	s_mov_b32 s0, 0
.LBB102_3226:
	s_delay_alu instid0(SALU_CYCLE_1)
	s_and_not1_b32 vcc_lo, exec_lo, s0
	s_cbranch_vccnz .LBB102_3228
; %bb.3227:
	s_wait_loadcnt 0x0
	v_cvt_i32_f64_e32 v2, v[0:1]
	global_store_b16 v[4:5], v2, off
.LBB102_3228:
	s_mov_b32 s0, 0
.LBB102_3229:
	s_delay_alu instid0(SALU_CYCLE_1)
	s_and_not1_b32 vcc_lo, exec_lo, s0
	s_cbranch_vccnz .LBB102_3234
; %bb.3230:
	s_sext_i32_i16 s0, s19
	s_delay_alu instid0(SALU_CYCLE_1)
	s_cmp_gt_i32 s0, 0
	s_mov_b32 s0, -1
	s_cbranch_scc0 .LBB102_3232
; %bb.3231:
	s_wait_loadcnt 0x0
	v_cvt_i32_f64_e32 v2, v[0:1]
	s_mov_b32 s0, 0
	global_store_b8 v[4:5], v2, off
.LBB102_3232:
	s_and_not1_b32 vcc_lo, exec_lo, s0
	s_cbranch_vccnz .LBB102_3234
; %bb.3233:
	s_wait_loadcnt 0x0
	v_trunc_f64_e32 v[0:1], v[0:1]
	s_delay_alu instid0(VALU_DEP_1) | instskip(NEXT) | instid1(VALU_DEP_1)
	v_ldexp_f64 v[2:3], v[0:1], 0xffffffe0
	v_floor_f64_e32 v[2:3], v[2:3]
	s_delay_alu instid0(VALU_DEP_1) | instskip(NEXT) | instid1(VALU_DEP_1)
	v_fmamk_f64 v[0:1], v[2:3], 0xc1f00000, v[0:1]
	v_cvt_u32_f64_e32 v0, v[0:1]
	global_store_b8 v[4:5], v0, off
	s_endpgm
.LBB102_3234:
	s_endpgm
.LBB102_3235:
	s_mov_b32 s1, 0
	s_mov_b32 s0, -1
	s_branch .LBB102_3191
.LBB102_3236:
	s_or_b32 s15, s15, exec_lo
	s_trap 2
	s_cbranch_execz .LBB102_2705
	s_branch .LBB102_2706
.LBB102_3237:
	s_and_not1_saveexec_b32 s9, s9
	s_cbranch_execz .LBB102_2785
.LBB102_3238:
	v_add_f32_e64 v3, 0x46000000, |v2|
	s_and_not1_b32 s8, s8, exec_lo
	s_delay_alu instid0(VALU_DEP_1) | instskip(NEXT) | instid1(VALU_DEP_1)
	v_and_b32_e32 v3, 0xff, v3
	v_cmp_ne_u32_e32 vcc_lo, 0, v3
	s_and_b32 s10, vcc_lo, exec_lo
	s_delay_alu instid0(SALU_CYCLE_1)
	s_or_b32 s8, s8, s10
	s_or_b32 exec_lo, exec_lo, s9
	v_mov_b32_e32 v17, 0
	s_and_saveexec_b32 s9, s8
	s_cbranch_execnz .LBB102_2786
	s_branch .LBB102_2787
.LBB102_3239:
	s_or_b32 s15, s15, exec_lo
	s_trap 2
	s_cbranch_execz .LBB102_2833
	s_branch .LBB102_2834
.LBB102_3240:
	s_and_not1_saveexec_b32 s8, s8
	s_cbranch_execz .LBB102_2798
.LBB102_3241:
	v_add_f32_e64 v3, 0x42800000, |v2|
	s_and_not1_b32 s5, s5, exec_lo
	s_delay_alu instid0(VALU_DEP_1) | instskip(NEXT) | instid1(VALU_DEP_1)
	v_and_b32_e32 v3, 0xff, v3
	v_cmp_ne_u32_e32 vcc_lo, 0, v3
	s_and_b32 s9, vcc_lo, exec_lo
	s_delay_alu instid0(SALU_CYCLE_1)
	s_or_b32 s5, s5, s9
	s_or_b32 exec_lo, exec_lo, s8
	v_mov_b32_e32 v17, 0
	s_and_saveexec_b32 s8, s5
	s_cbranch_execnz .LBB102_2799
	s_branch .LBB102_2800
.LBB102_3242:
	s_and_not1_saveexec_b32 s10, s10
	s_cbranch_execz .LBB102_2904
.LBB102_3243:
	v_add_f32_e64 v3, 0x46000000, |v2|
	s_and_not1_b32 s9, s9, exec_lo
	s_delay_alu instid0(VALU_DEP_1) | instskip(NEXT) | instid1(VALU_DEP_1)
	v_and_b32_e32 v3, 0xff, v3
	v_cmp_ne_u32_e32 vcc_lo, 0, v3
	s_and_b32 s11, vcc_lo, exec_lo
	s_delay_alu instid0(SALU_CYCLE_1)
	s_or_b32 s9, s9, s11
	s_or_b32 exec_lo, exec_lo, s10
	v_mov_b32_e32 v5, 0
	s_and_saveexec_b32 s10, s9
	s_cbranch_execnz .LBB102_2905
	s_branch .LBB102_2906
.LBB102_3244:
	s_or_b32 s15, s15, exec_lo
	s_trap 2
	s_cbranch_execz .LBB102_2952
	s_branch .LBB102_2953
.LBB102_3245:
	s_and_not1_saveexec_b32 s9, s9
	s_cbranch_execz .LBB102_2917
.LBB102_3246:
	v_add_f32_e64 v3, 0x42800000, |v2|
	s_and_not1_b32 s8, s8, exec_lo
	s_delay_alu instid0(VALU_DEP_1) | instskip(NEXT) | instid1(VALU_DEP_1)
	v_and_b32_e32 v3, 0xff, v3
	v_cmp_ne_u32_e32 vcc_lo, 0, v3
	s_and_b32 s10, vcc_lo, exec_lo
	s_delay_alu instid0(SALU_CYCLE_1)
	s_or_b32 s8, s8, s10
	s_or_b32 exec_lo, exec_lo, s9
	v_mov_b32_e32 v5, 0
	s_and_saveexec_b32 s9, s8
	s_cbranch_execnz .LBB102_2918
	s_branch .LBB102_2919
.LBB102_3247:
	s_and_not1_saveexec_b32 s10, s10
	s_cbranch_execz .LBB102_3023
.LBB102_3248:
	v_add_f32_e64 v3, 0x46000000, |v2|
	s_and_not1_b32 s9, s9, exec_lo
	s_delay_alu instid0(VALU_DEP_1) | instskip(NEXT) | instid1(VALU_DEP_1)
	v_and_b32_e32 v3, 0xff, v3
	v_cmp_ne_u32_e32 vcc_lo, 0, v3
	s_and_b32 s11, vcc_lo, exec_lo
	s_delay_alu instid0(SALU_CYCLE_1)
	s_or_b32 s9, s9, s11
	s_or_b32 exec_lo, exec_lo, s10
	v_mov_b32_e32 v5, 0
	s_and_saveexec_b32 s10, s9
	s_cbranch_execnz .LBB102_3024
	s_branch .LBB102_3025
.LBB102_3249:
	s_or_b32 s15, s15, exec_lo
	s_trap 2
	s_cbranch_execz .LBB102_3071
	s_branch .LBB102_3072
.LBB102_3250:
	s_and_not1_saveexec_b32 s9, s9
	s_cbranch_execz .LBB102_3036
.LBB102_3251:
	v_add_f32_e64 v3, 0x42800000, |v2|
	s_and_not1_b32 s8, s8, exec_lo
	s_delay_alu instid0(VALU_DEP_1) | instskip(NEXT) | instid1(VALU_DEP_1)
	v_and_b32_e32 v3, 0xff, v3
	v_cmp_ne_u32_e32 vcc_lo, 0, v3
	s_and_b32 s10, vcc_lo, exec_lo
	s_delay_alu instid0(SALU_CYCLE_1)
	s_or_b32 s8, s8, s10
	s_or_b32 exec_lo, exec_lo, s9
	v_mov_b32_e32 v5, 0
	s_and_saveexec_b32 s9, s8
	s_cbranch_execnz .LBB102_3037
	s_branch .LBB102_3038
.LBB102_3252:
	s_and_not1_saveexec_b32 s5, s5
	s_cbranch_execz .LBB102_3143
.LBB102_3253:
	v_add_f32_e64 v3, 0x46000000, |v2|
	s_and_not1_b32 s4, s4, exec_lo
	s_delay_alu instid0(VALU_DEP_1) | instskip(NEXT) | instid1(VALU_DEP_1)
	v_and_b32_e32 v3, 0xff, v3
	v_cmp_ne_u32_e32 vcc_lo, 0, v3
	s_and_b32 s6, vcc_lo, exec_lo
	s_delay_alu instid0(SALU_CYCLE_1)
	s_or_b32 s4, s4, s6
	s_or_b32 exec_lo, exec_lo, s5
	v_mov_b32_e32 v6, 0
	s_and_saveexec_b32 s5, s4
	s_cbranch_execnz .LBB102_3144
	s_branch .LBB102_3145
.LBB102_3254:
	s_mov_b32 s1, 0
	s_or_b32 s15, s15, exec_lo
	s_trap 2
	s_branch .LBB102_3189
.LBB102_3255:
	s_and_not1_saveexec_b32 s4, s4
	s_cbranch_execz .LBB102_3155
.LBB102_3256:
	v_add_f32_e64 v3, 0x42800000, |v2|
	s_and_not1_b32 s3, s3, exec_lo
	s_delay_alu instid0(VALU_DEP_1) | instskip(NEXT) | instid1(VALU_DEP_1)
	v_and_b32_e32 v3, 0xff, v3
	v_cmp_ne_u32_e32 vcc_lo, 0, v3
	s_and_b32 s5, vcc_lo, exec_lo
	s_delay_alu instid0(SALU_CYCLE_1)
	s_or_b32 s3, s3, s5
	s_or_b32 exec_lo, exec_lo, s4
	v_mov_b32_e32 v6, 0
	s_and_saveexec_b32 s4, s3
	s_cbranch_execnz .LBB102_3156
	s_branch .LBB102_3157
	.section	.rodata,"a",@progbits
	.p2align	6, 0x0
	.amdhsa_kernel _ZN2at6native32elementwise_kernel_manual_unrollILi128ELi4EZNS0_15gpu_kernel_implIZZZNS0_12_GLOBAL__N_116addr_kernel_cudaERNS_14TensorIteratorERKN3c106ScalarES9_ENKUlvE_clEvENKUlvE4_clEvEUldddE_EEvRNS_18TensorIteratorBaseERKT_EUlibE_EEviT1_
		.amdhsa_group_segment_fixed_size 0
		.amdhsa_private_segment_fixed_size 0
		.amdhsa_kernarg_size 72
		.amdhsa_user_sgpr_count 2
		.amdhsa_user_sgpr_dispatch_ptr 0
		.amdhsa_user_sgpr_queue_ptr 0
		.amdhsa_user_sgpr_kernarg_segment_ptr 1
		.amdhsa_user_sgpr_dispatch_id 0
		.amdhsa_user_sgpr_kernarg_preload_length 0
		.amdhsa_user_sgpr_kernarg_preload_offset 0
		.amdhsa_user_sgpr_private_segment_size 0
		.amdhsa_wavefront_size32 1
		.amdhsa_uses_dynamic_stack 0
		.amdhsa_enable_private_segment 0
		.amdhsa_system_sgpr_workgroup_id_x 1
		.amdhsa_system_sgpr_workgroup_id_y 0
		.amdhsa_system_sgpr_workgroup_id_z 0
		.amdhsa_system_sgpr_workgroup_info 0
		.amdhsa_system_vgpr_workitem_id 0
		.amdhsa_next_free_vgpr 23
		.amdhsa_next_free_sgpr 40
		.amdhsa_named_barrier_count 0
		.amdhsa_reserve_vcc 1
		.amdhsa_float_round_mode_32 0
		.amdhsa_float_round_mode_16_64 0
		.amdhsa_float_denorm_mode_32 3
		.amdhsa_float_denorm_mode_16_64 3
		.amdhsa_fp16_overflow 0
		.amdhsa_memory_ordered 1
		.amdhsa_forward_progress 1
		.amdhsa_inst_pref_size 255
		.amdhsa_round_robin_scheduling 0
		.amdhsa_exception_fp_ieee_invalid_op 0
		.amdhsa_exception_fp_denorm_src 0
		.amdhsa_exception_fp_ieee_div_zero 0
		.amdhsa_exception_fp_ieee_overflow 0
		.amdhsa_exception_fp_ieee_underflow 0
		.amdhsa_exception_fp_ieee_inexact 0
		.amdhsa_exception_int_div_zero 0
	.end_amdhsa_kernel
	.section	.text._ZN2at6native32elementwise_kernel_manual_unrollILi128ELi4EZNS0_15gpu_kernel_implIZZZNS0_12_GLOBAL__N_116addr_kernel_cudaERNS_14TensorIteratorERKN3c106ScalarES9_ENKUlvE_clEvENKUlvE4_clEvEUldddE_EEvRNS_18TensorIteratorBaseERKT_EUlibE_EEviT1_,"axG",@progbits,_ZN2at6native32elementwise_kernel_manual_unrollILi128ELi4EZNS0_15gpu_kernel_implIZZZNS0_12_GLOBAL__N_116addr_kernel_cudaERNS_14TensorIteratorERKN3c106ScalarES9_ENKUlvE_clEvENKUlvE4_clEvEUldddE_EEvRNS_18TensorIteratorBaseERKT_EUlibE_EEviT1_,comdat
.Lfunc_end102:
	.size	_ZN2at6native32elementwise_kernel_manual_unrollILi128ELi4EZNS0_15gpu_kernel_implIZZZNS0_12_GLOBAL__N_116addr_kernel_cudaERNS_14TensorIteratorERKN3c106ScalarES9_ENKUlvE_clEvENKUlvE4_clEvEUldddE_EEvRNS_18TensorIteratorBaseERKT_EUlibE_EEviT1_, .Lfunc_end102-_ZN2at6native32elementwise_kernel_manual_unrollILi128ELi4EZNS0_15gpu_kernel_implIZZZNS0_12_GLOBAL__N_116addr_kernel_cudaERNS_14TensorIteratorERKN3c106ScalarES9_ENKUlvE_clEvENKUlvE4_clEvEUldddE_EEvRNS_18TensorIteratorBaseERKT_EUlibE_EEviT1_
                                        ; -- End function
	.set _ZN2at6native32elementwise_kernel_manual_unrollILi128ELi4EZNS0_15gpu_kernel_implIZZZNS0_12_GLOBAL__N_116addr_kernel_cudaERNS_14TensorIteratorERKN3c106ScalarES9_ENKUlvE_clEvENKUlvE4_clEvEUldddE_EEvRNS_18TensorIteratorBaseERKT_EUlibE_EEviT1_.num_vgpr, 23
	.set _ZN2at6native32elementwise_kernel_manual_unrollILi128ELi4EZNS0_15gpu_kernel_implIZZZNS0_12_GLOBAL__N_116addr_kernel_cudaERNS_14TensorIteratorERKN3c106ScalarES9_ENKUlvE_clEvENKUlvE4_clEvEUldddE_EEvRNS_18TensorIteratorBaseERKT_EUlibE_EEviT1_.num_agpr, 0
	.set _ZN2at6native32elementwise_kernel_manual_unrollILi128ELi4EZNS0_15gpu_kernel_implIZZZNS0_12_GLOBAL__N_116addr_kernel_cudaERNS_14TensorIteratorERKN3c106ScalarES9_ENKUlvE_clEvENKUlvE4_clEvEUldddE_EEvRNS_18TensorIteratorBaseERKT_EUlibE_EEviT1_.numbered_sgpr, 40
	.set _ZN2at6native32elementwise_kernel_manual_unrollILi128ELi4EZNS0_15gpu_kernel_implIZZZNS0_12_GLOBAL__N_116addr_kernel_cudaERNS_14TensorIteratorERKN3c106ScalarES9_ENKUlvE_clEvENKUlvE4_clEvEUldddE_EEvRNS_18TensorIteratorBaseERKT_EUlibE_EEviT1_.num_named_barrier, 0
	.set _ZN2at6native32elementwise_kernel_manual_unrollILi128ELi4EZNS0_15gpu_kernel_implIZZZNS0_12_GLOBAL__N_116addr_kernel_cudaERNS_14TensorIteratorERKN3c106ScalarES9_ENKUlvE_clEvENKUlvE4_clEvEUldddE_EEvRNS_18TensorIteratorBaseERKT_EUlibE_EEviT1_.private_seg_size, 0
	.set _ZN2at6native32elementwise_kernel_manual_unrollILi128ELi4EZNS0_15gpu_kernel_implIZZZNS0_12_GLOBAL__N_116addr_kernel_cudaERNS_14TensorIteratorERKN3c106ScalarES9_ENKUlvE_clEvENKUlvE4_clEvEUldddE_EEvRNS_18TensorIteratorBaseERKT_EUlibE_EEviT1_.uses_vcc, 1
	.set _ZN2at6native32elementwise_kernel_manual_unrollILi128ELi4EZNS0_15gpu_kernel_implIZZZNS0_12_GLOBAL__N_116addr_kernel_cudaERNS_14TensorIteratorERKN3c106ScalarES9_ENKUlvE_clEvENKUlvE4_clEvEUldddE_EEvRNS_18TensorIteratorBaseERKT_EUlibE_EEviT1_.uses_flat_scratch, 0
	.set _ZN2at6native32elementwise_kernel_manual_unrollILi128ELi4EZNS0_15gpu_kernel_implIZZZNS0_12_GLOBAL__N_116addr_kernel_cudaERNS_14TensorIteratorERKN3c106ScalarES9_ENKUlvE_clEvENKUlvE4_clEvEUldddE_EEvRNS_18TensorIteratorBaseERKT_EUlibE_EEviT1_.has_dyn_sized_stack, 0
	.set _ZN2at6native32elementwise_kernel_manual_unrollILi128ELi4EZNS0_15gpu_kernel_implIZZZNS0_12_GLOBAL__N_116addr_kernel_cudaERNS_14TensorIteratorERKN3c106ScalarES9_ENKUlvE_clEvENKUlvE4_clEvEUldddE_EEvRNS_18TensorIteratorBaseERKT_EUlibE_EEviT1_.has_recursion, 0
	.set _ZN2at6native32elementwise_kernel_manual_unrollILi128ELi4EZNS0_15gpu_kernel_implIZZZNS0_12_GLOBAL__N_116addr_kernel_cudaERNS_14TensorIteratorERKN3c106ScalarES9_ENKUlvE_clEvENKUlvE4_clEvEUldddE_EEvRNS_18TensorIteratorBaseERKT_EUlibE_EEviT1_.has_indirect_call, 0
	.section	.AMDGPU.csdata,"",@progbits
; Kernel info:
; codeLenInByte = 63472
; TotalNumSgprs: 42
; NumVgprs: 23
; ScratchSize: 0
; MemoryBound: 1
; FloatMode: 240
; IeeeMode: 1
; LDSByteSize: 0 bytes/workgroup (compile time only)
; SGPRBlocks: 0
; VGPRBlocks: 1
; NumSGPRsForWavesPerEU: 42
; NumVGPRsForWavesPerEU: 23
; NamedBarCnt: 0
; Occupancy: 16
; WaveLimiterHint : 0
; COMPUTE_PGM_RSRC2:SCRATCH_EN: 0
; COMPUTE_PGM_RSRC2:USER_SGPR: 2
; COMPUTE_PGM_RSRC2:TRAP_HANDLER: 0
; COMPUTE_PGM_RSRC2:TGID_X_EN: 1
; COMPUTE_PGM_RSRC2:TGID_Y_EN: 0
; COMPUTE_PGM_RSRC2:TGID_Z_EN: 0
; COMPUTE_PGM_RSRC2:TIDIG_COMP_CNT: 0
	.section	.text._ZN2at6native32elementwise_kernel_manual_unrollILi128ELi4EZNS0_15gpu_kernel_implIZZZNS0_12_GLOBAL__N_116addr_kernel_cudaERNS_14TensorIteratorERKN3c106ScalarES9_ENKUlvE_clEvENKUlvE4_clEvEUldddE_EEvRNS_18TensorIteratorBaseERKT_EUlibE0_EEviT1_,"axG",@progbits,_ZN2at6native32elementwise_kernel_manual_unrollILi128ELi4EZNS0_15gpu_kernel_implIZZZNS0_12_GLOBAL__N_116addr_kernel_cudaERNS_14TensorIteratorERKN3c106ScalarES9_ENKUlvE_clEvENKUlvE4_clEvEUldddE_EEvRNS_18TensorIteratorBaseERKT_EUlibE0_EEviT1_,comdat
	.globl	_ZN2at6native32elementwise_kernel_manual_unrollILi128ELi4EZNS0_15gpu_kernel_implIZZZNS0_12_GLOBAL__N_116addr_kernel_cudaERNS_14TensorIteratorERKN3c106ScalarES9_ENKUlvE_clEvENKUlvE4_clEvEUldddE_EEvRNS_18TensorIteratorBaseERKT_EUlibE0_EEviT1_ ; -- Begin function _ZN2at6native32elementwise_kernel_manual_unrollILi128ELi4EZNS0_15gpu_kernel_implIZZZNS0_12_GLOBAL__N_116addr_kernel_cudaERNS_14TensorIteratorERKN3c106ScalarES9_ENKUlvE_clEvENKUlvE4_clEvEUldddE_EEvRNS_18TensorIteratorBaseERKT_EUlibE0_EEviT1_
	.p2align	8
	.type	_ZN2at6native32elementwise_kernel_manual_unrollILi128ELi4EZNS0_15gpu_kernel_implIZZZNS0_12_GLOBAL__N_116addr_kernel_cudaERNS_14TensorIteratorERKN3c106ScalarES9_ENKUlvE_clEvENKUlvE4_clEvEUldddE_EEvRNS_18TensorIteratorBaseERKT_EUlibE0_EEviT1_,@function
_ZN2at6native32elementwise_kernel_manual_unrollILi128ELi4EZNS0_15gpu_kernel_implIZZZNS0_12_GLOBAL__N_116addr_kernel_cudaERNS_14TensorIteratorERKN3c106ScalarES9_ENKUlvE_clEvENKUlvE4_clEvEUldddE_EEvRNS_18TensorIteratorBaseERKT_EUlibE0_EEviT1_: ; @_ZN2at6native32elementwise_kernel_manual_unrollILi128ELi4EZNS0_15gpu_kernel_implIZZZNS0_12_GLOBAL__N_116addr_kernel_cudaERNS_14TensorIteratorERKN3c106ScalarES9_ENKUlvE_clEvENKUlvE4_clEvEUldddE_EEvRNS_18TensorIteratorBaseERKT_EUlibE0_EEviT1_
; %bb.0:
	s_clause 0x1
	s_load_b32 s15, s[0:1], 0x8
	s_load_b32 s41, s[0:1], 0x0
	s_bfe_u32 s2, ttmp6, 0x4000c
	s_and_b32 s3, ttmp6, 15
	s_add_co_i32 s2, s2, 1
	s_getreg_b32 s4, hwreg(HW_REG_IB_STS2, 6, 4)
	s_mul_i32 s2, ttmp9, s2
	s_mov_b32 s33, 0
	s_add_co_i32 s3, s3, s2
	s_cmp_eq_u32 s4, 0
	s_mov_b32 s28, -1
	s_cselect_b32 s2, ttmp9, s3
	s_mov_b32 s7, 0
	v_lshl_or_b32 v4, s2, 9, v0
	s_add_nc_u64 s[2:3], s[0:1], 8
	s_wait_xcnt 0x0
	s_mov_b32 s0, exec_lo
	s_delay_alu instid0(VALU_DEP_1) | instskip(SKIP_2) | instid1(SALU_CYCLE_1)
	v_or_b32_e32 v3, 0x180, v4
	s_wait_kmcnt 0x0
	s_add_co_i32 s19, s15, -1
	s_cmp_gt_u32 s19, 1
	s_cselect_b32 s34, -1, 0
	v_cmpx_le_i32_e64 s41, v3
	s_xor_b32 s35, exec_lo, s0
	s_cbranch_execz .LBB103_1670
; %bb.1:
	s_clause 0x7
	s_load_b128 s[8:11], s[2:3], 0x4
	s_load_b64 s[0:1], s[2:3], 0x14
	s_load_b96 s[12:14], s[2:3], 0x1e8
	s_load_b32 s38, s[2:3], 0xc4
	s_load_b96 s[16:18], s[2:3], 0xcc
	s_load_b64 s[24:25], s[2:3], 0xdc
	s_load_b64 s[20:21], s[2:3], 0x1c8
	s_load_b128 s[4:7], s[2:3], 0x1d8
	s_cmp_lg_u32 s15, 0
	s_mov_b32 s23, 0
	s_cselect_b32 s42, -1, 0
	s_min_u32 s40, s19, 15
	s_cmp_gt_u32 s15, 1
	s_mov_b32 s27, s23
	s_cselect_b32 s39, -1, 0
	s_mov_b32 s46, s23
	s_mov_b32 s45, s23
	;; [unrolled: 1-line block ×4, first 2 shown]
	s_mov_b32 s47, exec_lo
	s_wait_kmcnt 0x0
	s_mov_b32 s22, s9
	s_mov_b32 s26, s0
	s_lshr_b32 s36, s14, 16
	s_lshr_b32 s37, s14, 8
	;; [unrolled: 1-line block ×3, first 2 shown]
	v_cmpx_gt_i32_e64 s41, v4
	s_cbranch_execz .LBB103_413
; %bb.2:
	s_and_not1_b32 vcc_lo, exec_lo, s34
	s_cbranch_vccnz .LBB103_8
; %bb.3:
	s_and_not1_b32 vcc_lo, exec_lo, s42
	s_cbranch_vccnz .LBB103_9
; %bb.4:
	v_dual_mov_b32 v2, 0 :: v_dual_mov_b32 v1, v4
	v_dual_mov_b32 v0, 0 :: v_dual_mov_b32 v6, 0
	s_add_co_i32 s0, s40, 1
	s_mov_b64 s[28:29], 0xffffffffffffffe0
	s_and_b32 s0, s0, 30
	s_add_nc_u64 s[28:29], s[2:3], s[28:29]
	s_mov_b64 s[30:31], s[2:3]
.LBB103_5:                              ; =>This Inner Loop Header: Depth=1
	s_clause 0x1
	s_load_b128 s[48:51], s[30:31], 0x4
	s_load_b64 s[52:53], s[30:31], 0x14
	s_clause 0x1
	s_load_b32 s43, s[28:29], 0xe4
	s_load_b96 s[44:46], s[28:29], 0xec
	s_add_co_i32 s0, s0, -2
	s_wait_xcnt 0x0
	s_add_nc_u64 s[30:31], s[30:31], 24
	s_cmp_lg_u32 s0, 0
	s_wait_kmcnt 0x0
	v_mul_hi_u32 v3, s49, v1
	s_delay_alu instid0(VALU_DEP_1) | instskip(NEXT) | instid1(VALU_DEP_1)
	v_add_nc_u32_e32 v3, v1, v3
	v_lshrrev_b32_e32 v3, s50, v3
	s_delay_alu instid0(VALU_DEP_1) | instskip(SKIP_4) | instid1(VALU_DEP_1)
	v_mul_hi_u32 v5, s52, v3
	v_mul_lo_u32 v7, v3, s48
	s_load_b64 s[48:49], s[28:29], 0xfc
	s_wait_xcnt 0x0
	s_add_nc_u64 s[28:29], s[28:29], 32
	v_dual_add_nc_u32 v5, v3, v5 :: v_dual_sub_nc_u32 v7, v1, v7
	s_delay_alu instid0(VALU_DEP_1) | instskip(NEXT) | instid1(VALU_DEP_2)
	v_lshrrev_b32_e32 v1, s53, v5
	v_mad_u32 v2, v7, s43, v2
	v_mad_u32 v6, v7, s45, v6
	v_mad_u32 v0, v7, s44, v0
	s_delay_alu instid0(VALU_DEP_4) | instskip(NEXT) | instid1(VALU_DEP_1)
	v_mul_lo_u32 v5, v1, s51
	v_sub_nc_u32_e32 v3, v3, v5
	s_delay_alu instid0(VALU_DEP_1)
	v_mad_u32 v2, v3, s46, v2
	s_wait_kmcnt 0x0
	v_mad_u32 v6, v3, s49, v6
	v_mad_u32 v0, v3, s48, v0
	s_cbranch_scc1 .LBB103_5
; %bb.6:
	s_bitcmp1_b32 s40, 0
	s_cselect_b32 s0, -1, 0
	s_delay_alu instid0(SALU_CYCLE_1)
	s_and_b32 vcc_lo, exec_lo, s0
	s_cbranch_vccnz .LBB103_10
; %bb.7:
	s_load_b96 s[44:46], s[30:31], 0x4
	s_load_b32 s0, s[28:29], 0xe4
	s_wait_xcnt 0x0
	s_load_b64 s[30:31], s[28:29], 0xec
	s_wait_kmcnt 0x0
	v_mul_hi_u32 v3, s45, v1
	s_delay_alu instid0(VALU_DEP_1) | instskip(NEXT) | instid1(VALU_DEP_1)
	v_add_nc_u32_e32 v3, v1, v3
	v_lshrrev_b32_e32 v3, s46, v3
	s_delay_alu instid0(VALU_DEP_1) | instskip(NEXT) | instid1(VALU_DEP_1)
	v_mul_lo_u32 v3, v3, s44
	v_sub_nc_u32_e32 v1, v1, v3
	s_delay_alu instid0(VALU_DEP_1)
	v_mad_u32 v2, v1, s0, v2
	v_mad_u32 v0, v1, s30, v0
	;; [unrolled: 1-line block ×3, first 2 shown]
	s_cbranch_execz .LBB103_11
	s_branch .LBB103_13
.LBB103_8:
                                        ; implicit-def: $vgpr6
                                        ; implicit-def: $vgpr0
                                        ; implicit-def: $vgpr2
	s_branch .LBB103_11
.LBB103_9:
	v_dual_mov_b32 v6, 0 :: v_dual_mov_b32 v0, 0
	v_mov_b32_e32 v2, 0
.LBB103_10:
	s_cbranch_execnz .LBB103_13
.LBB103_11:
	v_mov_b32_e32 v5, 0
	s_and_not1_b32 vcc_lo, exec_lo, s39
	s_delay_alu instid0(VALU_DEP_1) | instskip(NEXT) | instid1(VALU_DEP_1)
	v_mul_u64_e32 v[0:1], s[22:23], v[4:5]
	v_add_nc_u32_e32 v0, v4, v1
	s_delay_alu instid0(VALU_DEP_1) | instskip(NEXT) | instid1(VALU_DEP_1)
	v_lshrrev_b32_e32 v8, s10, v0
	v_mul_lo_u32 v0, v8, s8
	s_delay_alu instid0(VALU_DEP_1) | instskip(NEXT) | instid1(VALU_DEP_1)
	v_sub_nc_u32_e32 v0, v4, v0
	v_mul_lo_u32 v2, v0, s38
	v_mul_lo_u32 v6, v0, s17
	;; [unrolled: 1-line block ×3, first 2 shown]
	s_cbranch_vccnz .LBB103_13
; %bb.12:
	v_mov_b32_e32 v9, v5
	s_delay_alu instid0(VALU_DEP_1) | instskip(NEXT) | instid1(VALU_DEP_1)
	v_mul_u64_e32 v[10:11], s[26:27], v[8:9]
	v_add_nc_u32_e32 v1, v8, v11
	s_delay_alu instid0(VALU_DEP_1) | instskip(NEXT) | instid1(VALU_DEP_1)
	v_lshrrev_b32_e32 v1, s1, v1
	v_mul_lo_u32 v1, v1, s11
	s_delay_alu instid0(VALU_DEP_1) | instskip(NEXT) | instid1(VALU_DEP_1)
	v_sub_nc_u32_e32 v1, v8, v1
	v_mad_u32 v2, v1, s18, v2
	v_mad_u32 v0, v1, s24, v0
	;; [unrolled: 1-line block ×3, first 2 shown]
.LBB103_13:
	s_and_b32 s28, s37, 0xff
	s_delay_alu instid0(SALU_CYCLE_1)
	s_cmp_lt_i32 s28, 23
	s_cbranch_scc1 .LBB103_17
; %bb.14:
	s_and_b32 s30, 0xffff, s28
	s_delay_alu instid0(SALU_CYCLE_1)
	s_cmp_gt_i32 s30, 43
	s_cbranch_scc0 .LBB103_18
; %bb.15:
	s_cmp_gt_i32 s30, 45
	s_cbranch_scc0 .LBB103_19
; %bb.16:
	s_cmp_eq_u32 s30, 46
	s_mov_b32 s31, 0
	s_mov_b32 s29, -1
	s_cselect_b32 s0, -1, 0
	s_branch .LBB103_20
.LBB103_17:
	s_mov_b32 s29, 0
	s_mov_b32 s0, 0
	s_cbranch_execnz .LBB103_25
	s_branch .LBB103_29
.LBB103_18:
	s_mov_b32 s29, 0
	s_mov_b32 s0, 0
	s_cbranch_execnz .LBB103_23
	s_branch .LBB103_24
.LBB103_19:
	s_mov_b32 s31, -1
	s_mov_b32 s29, 0
	s_mov_b32 s0, 0
.LBB103_20:
	s_and_not1_b32 vcc_lo, exec_lo, s31
	s_cbranch_vccnz .LBB103_22
; %bb.21:
	s_cmp_eq_u32 s30, 44
	s_cselect_b32 s0, -1, 0
	s_cmp_lg_u32 s30, 44
	s_cselect_b32 s29, -1, 0
.LBB103_22:
	s_branch .LBB103_24
.LBB103_23:
	s_cmp_lt_i32 s30, 30
	s_cselect_b32 s0, -1, 0
	s_cmp_gt_i32 s30, 29
	s_cselect_b32 s29, -1, 0
.LBB103_24:
	s_branch .LBB103_29
.LBB103_25:
	s_and_b32 s28, 0xffff, s28
	s_mov_b32 s30, -1
	s_cmp_gt_i32 s28, 14
	s_cbranch_scc0 .LBB103_27
; %bb.26:
	s_cmp_eq_u32 s28, 15
	s_mov_b32 s30, 0
	s_cselect_b32 s0, -1, 0
	s_cmp_lg_u32 s28, 15
	s_cselect_b32 s29, -1, 0
.LBB103_27:
	s_and_not1_b32 vcc_lo, exec_lo, s30
	s_cbranch_vccnz .LBB103_29
; %bb.28:
	s_cmp_lt_i32 s28, 12
	s_cselect_b32 s0, -1, 0
	s_cmp_gt_i32 s28, 11
	s_cselect_b32 s29, -1, 0
.LBB103_29:
	s_and_b32 vcc_lo, exec_lo, s0
	s_cbranch_vccz .LBB103_37
; %bb.30:
	v_mov_b32_e32 v1, 0
	s_and_b32 s0, s36, 0xff
	s_delay_alu instid0(SALU_CYCLE_1) | instskip(NEXT) | instid1(VALU_DEP_1)
	s_cmp_lt_i32 s0, 11
	v_add_nc_u64_e32 v[8:9], s[4:5], v[0:1]
	s_cbranch_scc1 .LBB103_39
; %bb.31:
	s_and_b32 s29, 0xffff, s0
	s_delay_alu instid0(SALU_CYCLE_1)
	s_cmp_gt_i32 s29, 25
	s_cbranch_scc0 .LBB103_40
; %bb.32:
	s_cmp_gt_i32 s29, 28
	s_cbranch_scc0 .LBB103_41
; %bb.33:
	;; [unrolled: 3-line block ×4, first 2 shown]
	s_cmp_eq_u32 s29, 46
	s_mov_b32 s31, 0
	s_cbranch_scc0 .LBB103_44
; %bb.36:
	global_load_b32 v0, v[8:9], off
	s_mov_b32 s30, -1
	s_mov_b32 s28, 0
	s_wait_loadcnt 0x0
	v_lshlrev_b32_e32 v0, 16, v0
	s_delay_alu instid0(VALU_DEP_1)
	v_cvt_f64_f32_e32 v[0:1], v0
	s_branch .LBB103_46
.LBB103_37:
	s_mov_b32 s0, 0
	s_mov_b32 s30, 0
	;; [unrolled: 1-line block ×3, first 2 shown]
.LBB103_38:
	s_mov_b32 s31, 0
                                        ; implicit-def: $vgpr4
	s_branch .LBB103_412
.LBB103_39:
	s_mov_b32 s28, 0
	s_mov_b32 s30, 0
                                        ; implicit-def: $vgpr0_vgpr1
	s_cbranch_execnz .LBB103_111
	s_branch .LBB103_159
.LBB103_40:
	s_mov_b32 s31, -1
	s_mov_b32 s28, 0
	s_mov_b32 s30, 0
                                        ; implicit-def: $vgpr0_vgpr1
	s_branch .LBB103_75
.LBB103_41:
	s_mov_b32 s31, -1
	s_mov_b32 s28, 0
	s_mov_b32 s30, 0
                                        ; implicit-def: $vgpr0_vgpr1
	s_branch .LBB103_56
.LBB103_42:
	s_mov_b32 s31, -1
	s_mov_b32 s28, 0
	s_mov_b32 s30, 0
                                        ; implicit-def: $vgpr0_vgpr1
	s_branch .LBB103_51
.LBB103_43:
	s_mov_b32 s31, -1
	s_mov_b32 s28, 0
	s_branch .LBB103_45
.LBB103_44:
	s_mov_b32 s28, -1
.LBB103_45:
	s_mov_b32 s30, 0
                                        ; implicit-def: $vgpr0_vgpr1
.LBB103_46:
	s_and_b32 vcc_lo, exec_lo, s31
	s_cbranch_vccz .LBB103_50
; %bb.47:
	s_cmp_eq_u32 s29, 44
	s_cbranch_scc0 .LBB103_49
; %bb.48:
	global_load_u8 v3, v[8:9], off
	s_mov_b32 s28, 0
	s_mov_b32 s30, -1
	s_wait_loadcnt 0x0
	v_cmp_ne_u32_e32 vcc_lo, 0xff, v3
	v_lshlrev_b32_e32 v0, 23, v3
	s_delay_alu instid0(VALU_DEP_1) | instskip(NEXT) | instid1(VALU_DEP_1)
	v_cvt_f64_f32_e32 v[0:1], v0
	v_cndmask_b32_e32 v0, 0x20000000, v0, vcc_lo
	s_delay_alu instid0(VALU_DEP_2) | instskip(SKIP_1) | instid1(VALU_DEP_2)
	v_cndmask_b32_e32 v1, 0x7ff80000, v1, vcc_lo
	v_cmp_ne_u32_e32 vcc_lo, 0, v3
	v_cndmask_b32_e32 v1, 0x38000000, v1, vcc_lo
	s_delay_alu instid0(VALU_DEP_4)
	v_cndmask_b32_e32 v0, 0, v0, vcc_lo
	s_branch .LBB103_50
.LBB103_49:
	s_mov_b32 s28, -1
                                        ; implicit-def: $vgpr0_vgpr1
.LBB103_50:
	s_mov_b32 s31, 0
.LBB103_51:
	s_delay_alu instid0(SALU_CYCLE_1)
	s_and_b32 vcc_lo, exec_lo, s31
	s_cbranch_vccz .LBB103_55
; %bb.52:
	s_cmp_eq_u32 s29, 29
	s_cbranch_scc0 .LBB103_54
; %bb.53:
	global_load_b64 v[0:1], v[8:9], off
	s_mov_b32 s30, -1
	s_mov_b32 s28, 0
	s_mov_b32 s31, 0
	s_wait_loadcnt 0x0
	v_cvt_f64_u32_e32 v[10:11], v1
	v_cvt_f64_u32_e32 v[0:1], v0
	s_delay_alu instid0(VALU_DEP_2) | instskip(NEXT) | instid1(VALU_DEP_1)
	v_ldexp_f64 v[10:11], v[10:11], 32
	v_add_f64_e32 v[0:1], v[10:11], v[0:1]
	s_branch .LBB103_56
.LBB103_54:
	s_mov_b32 s28, -1
                                        ; implicit-def: $vgpr0_vgpr1
.LBB103_55:
	s_mov_b32 s31, 0
.LBB103_56:
	s_delay_alu instid0(SALU_CYCLE_1)
	s_and_b32 vcc_lo, exec_lo, s31
	s_cbranch_vccz .LBB103_74
; %bb.57:
	s_cmp_lt_i32 s29, 27
	s_cbranch_scc1 .LBB103_60
; %bb.58:
	s_cmp_gt_i32 s29, 27
	s_cbranch_scc0 .LBB103_61
; %bb.59:
	global_load_b32 v0, v[8:9], off
	s_mov_b32 s30, 0
	s_wait_loadcnt 0x0
	v_cvt_f64_u32_e32 v[0:1], v0
	s_branch .LBB103_62
.LBB103_60:
	s_mov_b32 s30, -1
                                        ; implicit-def: $vgpr0_vgpr1
	s_branch .LBB103_65
.LBB103_61:
	s_mov_b32 s30, -1
                                        ; implicit-def: $vgpr0_vgpr1
.LBB103_62:
	s_delay_alu instid0(SALU_CYCLE_1)
	s_and_not1_b32 vcc_lo, exec_lo, s30
	s_cbranch_vccnz .LBB103_64
; %bb.63:
	global_load_u16 v0, v[8:9], off
	s_wait_loadcnt 0x0
	v_cvt_f64_u32_e32 v[0:1], v0
.LBB103_64:
	s_mov_b32 s30, 0
.LBB103_65:
	s_delay_alu instid0(SALU_CYCLE_1)
	s_and_not1_b32 vcc_lo, exec_lo, s30
	s_cbranch_vccnz .LBB103_73
; %bb.66:
	global_load_u8 v3, v[8:9], off
	s_mov_b32 s30, 0
	s_mov_b32 s31, exec_lo
	s_wait_loadcnt 0x0
	v_cmpx_lt_i16_e32 0x7f, v3
	s_xor_b32 s31, exec_lo, s31
	s_cbranch_execz .LBB103_87
; %bb.67:
	s_mov_b32 s30, -1
	s_mov_b32 s43, exec_lo
	v_cmpx_eq_u16_e32 0x80, v3
; %bb.68:
	s_xor_b32 s30, exec_lo, -1
; %bb.69:
	s_or_b32 exec_lo, exec_lo, s43
	s_delay_alu instid0(SALU_CYCLE_1)
	s_and_b32 s30, s30, exec_lo
	s_or_saveexec_b32 s31, s31
	v_mov_b64_e32 v[0:1], 0x7ff8000020000000
	s_xor_b32 exec_lo, exec_lo, s31
	s_cbranch_execnz .LBB103_88
.LBB103_70:
	s_or_b32 exec_lo, exec_lo, s31
	s_and_saveexec_b32 s31, s30
	s_cbranch_execz .LBB103_72
.LBB103_71:
	v_and_b32_e32 v0, 0xffff, v3
	s_delay_alu instid0(VALU_DEP_1) | instskip(SKIP_1) | instid1(VALU_DEP_2)
	v_and_b32_e32 v1, 7, v0
	v_bfe_u32 v10, v0, 3, 4
	v_clz_i32_u32_e32 v5, v1
	s_delay_alu instid0(VALU_DEP_2) | instskip(NEXT) | instid1(VALU_DEP_2)
	v_cmp_eq_u32_e32 vcc_lo, 0, v10
	v_min_u32_e32 v5, 32, v5
	s_delay_alu instid0(VALU_DEP_1) | instskip(NEXT) | instid1(VALU_DEP_1)
	v_subrev_nc_u32_e32 v7, 28, v5
	v_dual_lshlrev_b32 v0, v7, v0 :: v_dual_sub_nc_u32 v5, 29, v5
	s_delay_alu instid0(VALU_DEP_1) | instskip(NEXT) | instid1(VALU_DEP_1)
	v_dual_lshlrev_b32 v3, 24, v3 :: v_dual_bitop2_b32 v0, 7, v0 bitop3:0x40
	v_dual_cndmask_b32 v5, v10, v5 :: v_dual_cndmask_b32 v0, v1, v0
	s_delay_alu instid0(VALU_DEP_2) | instskip(NEXT) | instid1(VALU_DEP_2)
	v_and_b32_e32 v1, 0x80000000, v3
	v_lshl_add_u32 v3, v5, 23, 0x3b800000
	s_delay_alu instid0(VALU_DEP_3) | instskip(NEXT) | instid1(VALU_DEP_1)
	v_lshlrev_b32_e32 v0, 20, v0
	v_or3_b32 v0, v1, v3, v0
	s_delay_alu instid0(VALU_DEP_1)
	v_cvt_f64_f32_e32 v[0:1], v0
.LBB103_72:
	s_or_b32 exec_lo, exec_lo, s31
.LBB103_73:
	s_mov_b32 s30, -1
.LBB103_74:
	s_mov_b32 s31, 0
.LBB103_75:
	s_delay_alu instid0(SALU_CYCLE_1)
	s_and_b32 vcc_lo, exec_lo, s31
	s_cbranch_vccz .LBB103_110
; %bb.76:
	s_cmp_gt_i32 s29, 22
	s_cbranch_scc0 .LBB103_86
; %bb.77:
	s_cmp_lt_i32 s29, 24
	s_cbranch_scc1 .LBB103_89
; %bb.78:
	s_cmp_gt_i32 s29, 24
	s_cbranch_scc0 .LBB103_90
; %bb.79:
	global_load_u8 v3, v[8:9], off
	s_mov_b32 s30, 0
	s_mov_b32 s31, exec_lo
	s_wait_loadcnt 0x0
	v_cmpx_lt_i16_e32 0x7f, v3
	s_xor_b32 s31, exec_lo, s31
	s_cbranch_execz .LBB103_102
; %bb.80:
	s_mov_b32 s30, -1
	s_mov_b32 s43, exec_lo
	v_cmpx_eq_u16_e32 0x80, v3
; %bb.81:
	s_xor_b32 s30, exec_lo, -1
; %bb.82:
	s_or_b32 exec_lo, exec_lo, s43
	s_delay_alu instid0(SALU_CYCLE_1)
	s_and_b32 s30, s30, exec_lo
	s_or_saveexec_b32 s31, s31
	v_mov_b64_e32 v[0:1], 0x7ff8000020000000
	s_xor_b32 exec_lo, exec_lo, s31
	s_cbranch_execnz .LBB103_103
.LBB103_83:
	s_or_b32 exec_lo, exec_lo, s31
	s_and_saveexec_b32 s31, s30
	s_cbranch_execz .LBB103_85
.LBB103_84:
	v_and_b32_e32 v0, 0xffff, v3
	s_delay_alu instid0(VALU_DEP_1) | instskip(SKIP_1) | instid1(VALU_DEP_2)
	v_and_b32_e32 v1, 3, v0
	v_bfe_u32 v10, v0, 2, 5
	v_clz_i32_u32_e32 v5, v1
	s_delay_alu instid0(VALU_DEP_2) | instskip(NEXT) | instid1(VALU_DEP_2)
	v_cmp_eq_u32_e32 vcc_lo, 0, v10
	v_min_u32_e32 v5, 32, v5
	s_delay_alu instid0(VALU_DEP_1) | instskip(NEXT) | instid1(VALU_DEP_1)
	v_subrev_nc_u32_e32 v7, 29, v5
	v_dual_lshlrev_b32 v0, v7, v0 :: v_dual_sub_nc_u32 v5, 30, v5
	s_delay_alu instid0(VALU_DEP_1) | instskip(NEXT) | instid1(VALU_DEP_1)
	v_dual_lshlrev_b32 v3, 24, v3 :: v_dual_bitop2_b32 v0, 3, v0 bitop3:0x40
	v_dual_cndmask_b32 v5, v10, v5 :: v_dual_cndmask_b32 v0, v1, v0
	s_delay_alu instid0(VALU_DEP_2) | instskip(NEXT) | instid1(VALU_DEP_2)
	v_and_b32_e32 v1, 0x80000000, v3
	v_lshl_add_u32 v3, v5, 23, 0x37800000
	s_delay_alu instid0(VALU_DEP_3) | instskip(NEXT) | instid1(VALU_DEP_1)
	v_lshlrev_b32_e32 v0, 21, v0
	v_or3_b32 v0, v1, v3, v0
	s_delay_alu instid0(VALU_DEP_1)
	v_cvt_f64_f32_e32 v[0:1], v0
.LBB103_85:
	s_or_b32 exec_lo, exec_lo, s31
	s_mov_b32 s30, 0
	s_branch .LBB103_91
.LBB103_86:
	s_mov_b32 s31, -1
                                        ; implicit-def: $vgpr0_vgpr1
	s_branch .LBB103_97
.LBB103_87:
	s_or_saveexec_b32 s31, s31
	v_mov_b64_e32 v[0:1], 0x7ff8000020000000
	s_xor_b32 exec_lo, exec_lo, s31
	s_cbranch_execz .LBB103_70
.LBB103_88:
	v_cmp_ne_u16_e32 vcc_lo, 0, v3
	v_mov_b64_e32 v[0:1], 0
	s_and_not1_b32 s30, s30, exec_lo
	s_and_b32 s43, vcc_lo, exec_lo
	s_delay_alu instid0(SALU_CYCLE_1)
	s_or_b32 s30, s30, s43
	s_or_b32 exec_lo, exec_lo, s31
	s_and_saveexec_b32 s31, s30
	s_cbranch_execnz .LBB103_71
	s_branch .LBB103_72
.LBB103_89:
	s_mov_b32 s30, -1
                                        ; implicit-def: $vgpr0_vgpr1
	s_branch .LBB103_94
.LBB103_90:
	s_mov_b32 s30, -1
                                        ; implicit-def: $vgpr0_vgpr1
.LBB103_91:
	s_delay_alu instid0(SALU_CYCLE_1)
	s_and_b32 vcc_lo, exec_lo, s30
	s_cbranch_vccz .LBB103_93
; %bb.92:
	global_load_u8 v0, v[8:9], off
	s_wait_loadcnt 0x0
	v_lshlrev_b32_e32 v0, 24, v0
	s_delay_alu instid0(VALU_DEP_1) | instskip(NEXT) | instid1(VALU_DEP_1)
	v_and_b32_e32 v1, 0x7f000000, v0
	v_clz_i32_u32_e32 v3, v1
	v_add_nc_u32_e32 v7, 0x1000000, v1
	v_cmp_ne_u32_e32 vcc_lo, 0, v1
	s_delay_alu instid0(VALU_DEP_3) | instskip(NEXT) | instid1(VALU_DEP_1)
	v_min_u32_e32 v3, 32, v3
	v_sub_nc_u32_e64 v3, v3, 4 clamp
	s_delay_alu instid0(VALU_DEP_1) | instskip(NEXT) | instid1(VALU_DEP_1)
	v_dual_lshlrev_b32 v5, v3, v1 :: v_dual_lshlrev_b32 v3, 23, v3
	v_lshrrev_b32_e32 v5, 4, v5
	s_delay_alu instid0(VALU_DEP_1) | instskip(SKIP_1) | instid1(VALU_DEP_2)
	v_sub_nc_u32_e32 v3, v5, v3
	v_ashrrev_i32_e32 v5, 8, v7
	v_add_nc_u32_e32 v3, 0x3c000000, v3
	s_delay_alu instid0(VALU_DEP_1) | instskip(NEXT) | instid1(VALU_DEP_1)
	v_and_or_b32 v3, 0x7f800000, v5, v3
	v_cndmask_b32_e32 v1, 0, v3, vcc_lo
	s_delay_alu instid0(VALU_DEP_1) | instskip(NEXT) | instid1(VALU_DEP_1)
	v_and_or_b32 v0, 0x80000000, v0, v1
	v_cvt_f64_f32_e32 v[0:1], v0
.LBB103_93:
	s_mov_b32 s30, 0
.LBB103_94:
	s_delay_alu instid0(SALU_CYCLE_1)
	s_and_not1_b32 vcc_lo, exec_lo, s30
	s_cbranch_vccnz .LBB103_96
; %bb.95:
	global_load_u8 v0, v[8:9], off
	s_wait_loadcnt 0x0
	v_lshlrev_b32_e32 v1, 25, v0
	v_lshlrev_b16 v0, 8, v0
	s_delay_alu instid0(VALU_DEP_1) | instskip(SKIP_1) | instid1(VALU_DEP_2)
	v_and_or_b32 v5, 0x7f00, v0, 0.5
	v_bfe_i32 v0, v0, 0, 16
	v_add_f32_e32 v5, -0.5, v5
	v_lshrrev_b32_e32 v3, 4, v1
	v_cmp_gt_u32_e32 vcc_lo, 0x8000000, v1
	s_delay_alu instid0(VALU_DEP_2) | instskip(NEXT) | instid1(VALU_DEP_1)
	v_or_b32_e32 v3, 0x70000000, v3
	v_mul_f32_e32 v3, 0x7800000, v3
	s_delay_alu instid0(VALU_DEP_1) | instskip(NEXT) | instid1(VALU_DEP_1)
	v_cndmask_b32_e32 v1, v3, v5, vcc_lo
	v_and_or_b32 v0, 0x80000000, v0, v1
	s_delay_alu instid0(VALU_DEP_1)
	v_cvt_f64_f32_e32 v[0:1], v0
.LBB103_96:
	s_mov_b32 s31, 0
	s_mov_b32 s30, -1
.LBB103_97:
	s_and_not1_b32 vcc_lo, exec_lo, s31
	s_cbranch_vccnz .LBB103_110
; %bb.98:
	s_cmp_gt_i32 s29, 14
	s_cbranch_scc0 .LBB103_101
; %bb.99:
	s_cmp_eq_u32 s29, 15
	s_cbranch_scc0 .LBB103_104
; %bb.100:
	global_load_u16 v0, v[8:9], off
	s_mov_b32 s30, -1
	s_mov_b32 s28, 0
	s_wait_loadcnt 0x0
	v_lshlrev_b32_e32 v0, 16, v0
	s_delay_alu instid0(VALU_DEP_1)
	v_cvt_f64_f32_e32 v[0:1], v0
	s_branch .LBB103_105
.LBB103_101:
	s_mov_b32 s31, -1
                                        ; implicit-def: $vgpr0_vgpr1
	s_branch .LBB103_106
.LBB103_102:
	s_or_saveexec_b32 s31, s31
	v_mov_b64_e32 v[0:1], 0x7ff8000020000000
	s_xor_b32 exec_lo, exec_lo, s31
	s_cbranch_execz .LBB103_83
.LBB103_103:
	v_cmp_ne_u16_e32 vcc_lo, 0, v3
	v_mov_b64_e32 v[0:1], 0
	s_and_not1_b32 s30, s30, exec_lo
	s_and_b32 s43, vcc_lo, exec_lo
	s_delay_alu instid0(SALU_CYCLE_1)
	s_or_b32 s30, s30, s43
	s_or_b32 exec_lo, exec_lo, s31
	s_and_saveexec_b32 s31, s30
	s_cbranch_execnz .LBB103_84
	s_branch .LBB103_85
.LBB103_104:
	s_mov_b32 s28, -1
                                        ; implicit-def: $vgpr0_vgpr1
.LBB103_105:
	s_mov_b32 s31, 0
.LBB103_106:
	s_delay_alu instid0(SALU_CYCLE_1)
	s_and_b32 vcc_lo, exec_lo, s31
	s_cbranch_vccz .LBB103_110
; %bb.107:
	s_cmp_eq_u32 s29, 11
	s_cbranch_scc0 .LBB103_109
; %bb.108:
	global_load_u8 v0, v[8:9], off
	s_mov_b32 s28, 0
	s_mov_b32 s30, -1
	s_wait_loadcnt 0x0
	v_cmp_ne_u16_e32 vcc_lo, 0, v0
	v_mov_b32_e32 v0, 0
	v_cndmask_b32_e64 v1, 0, 0x3ff00000, vcc_lo
	s_branch .LBB103_110
.LBB103_109:
	s_mov_b32 s28, -1
                                        ; implicit-def: $vgpr0_vgpr1
.LBB103_110:
	s_branch .LBB103_159
.LBB103_111:
	s_and_b32 s0, 0xffff, s0
	s_delay_alu instid0(SALU_CYCLE_1)
	s_cmp_lt_i32 s0, 5
	s_cbranch_scc1 .LBB103_116
; %bb.112:
	s_cmp_lt_i32 s0, 8
	s_cbranch_scc1 .LBB103_117
; %bb.113:
	;; [unrolled: 3-line block ×3, first 2 shown]
	s_cmp_gt_i32 s0, 9
	s_cbranch_scc0 .LBB103_119
; %bb.115:
	global_load_b64 v[0:1], v[8:9], off
	s_mov_b32 s29, 0
	s_branch .LBB103_120
.LBB103_116:
	s_mov_b32 s29, -1
                                        ; implicit-def: $vgpr0_vgpr1
	s_branch .LBB103_138
.LBB103_117:
	s_mov_b32 s29, -1
                                        ; implicit-def: $vgpr0_vgpr1
	s_branch .LBB103_126
.LBB103_118:
	s_mov_b32 s29, -1
                                        ; implicit-def: $vgpr0_vgpr1
	s_branch .LBB103_123
.LBB103_119:
	s_mov_b32 s29, -1
                                        ; implicit-def: $vgpr0_vgpr1
.LBB103_120:
	s_delay_alu instid0(SALU_CYCLE_1)
	s_and_not1_b32 vcc_lo, exec_lo, s29
	s_cbranch_vccnz .LBB103_122
; %bb.121:
	s_wait_loadcnt 0x0
	global_load_b32 v0, v[8:9], off
	s_wait_loadcnt 0x0
	v_cvt_f64_f32_e32 v[0:1], v0
.LBB103_122:
	s_mov_b32 s29, 0
.LBB103_123:
	s_delay_alu instid0(SALU_CYCLE_1)
	s_and_not1_b32 vcc_lo, exec_lo, s29
	s_cbranch_vccnz .LBB103_125
; %bb.124:
	s_wait_loadcnt 0x0
	global_load_b32 v0, v[8:9], off
	s_wait_loadcnt 0x0
	v_cvt_f32_f16_e32 v0, v0
	s_delay_alu instid0(VALU_DEP_1)
	v_cvt_f64_f32_e32 v[0:1], v0
.LBB103_125:
	s_mov_b32 s29, 0
.LBB103_126:
	s_delay_alu instid0(SALU_CYCLE_1)
	s_and_not1_b32 vcc_lo, exec_lo, s29
	s_cbranch_vccnz .LBB103_137
; %bb.127:
	s_cmp_lt_i32 s0, 6
	s_cbranch_scc1 .LBB103_130
; %bb.128:
	s_cmp_gt_i32 s0, 6
	s_cbranch_scc0 .LBB103_131
; %bb.129:
	s_wait_loadcnt 0x0
	global_load_b64 v[0:1], v[8:9], off
	s_mov_b32 s29, 0
	s_branch .LBB103_132
.LBB103_130:
	s_mov_b32 s29, -1
                                        ; implicit-def: $vgpr0_vgpr1
	s_branch .LBB103_135
.LBB103_131:
	s_mov_b32 s29, -1
                                        ; implicit-def: $vgpr0_vgpr1
.LBB103_132:
	s_delay_alu instid0(SALU_CYCLE_1)
	s_and_not1_b32 vcc_lo, exec_lo, s29
	s_cbranch_vccnz .LBB103_134
; %bb.133:
	s_wait_loadcnt 0x0
	global_load_b32 v0, v[8:9], off
	s_wait_loadcnt 0x0
	v_cvt_f64_f32_e32 v[0:1], v0
.LBB103_134:
	s_mov_b32 s29, 0
.LBB103_135:
	s_delay_alu instid0(SALU_CYCLE_1)
	s_and_not1_b32 vcc_lo, exec_lo, s29
	s_cbranch_vccnz .LBB103_137
; %bb.136:
	s_wait_loadcnt 0x0
	global_load_u16 v0, v[8:9], off
	s_wait_loadcnt 0x0
	v_cvt_f32_f16_e32 v0, v0
	s_delay_alu instid0(VALU_DEP_1)
	v_cvt_f64_f32_e32 v[0:1], v0
.LBB103_137:
	s_mov_b32 s29, 0
.LBB103_138:
	s_delay_alu instid0(SALU_CYCLE_1)
	s_and_not1_b32 vcc_lo, exec_lo, s29
	s_cbranch_vccnz .LBB103_158
; %bb.139:
	s_cmp_lt_i32 s0, 2
	s_cbranch_scc1 .LBB103_143
; %bb.140:
	s_cmp_lt_i32 s0, 3
	s_cbranch_scc1 .LBB103_144
; %bb.141:
	s_cmp_gt_i32 s0, 3
	s_cbranch_scc0 .LBB103_145
; %bb.142:
	s_wait_loadcnt 0x0
	global_load_b64 v[0:1], v[8:9], off
	s_mov_b32 s29, 0
	s_wait_loadcnt 0x0
	v_cvt_f64_i32_e32 v[10:11], v1
	v_cvt_f64_u32_e32 v[0:1], v0
	s_delay_alu instid0(VALU_DEP_2) | instskip(NEXT) | instid1(VALU_DEP_1)
	v_ldexp_f64 v[10:11], v[10:11], 32
	v_add_f64_e32 v[0:1], v[10:11], v[0:1]
	s_branch .LBB103_146
.LBB103_143:
	s_mov_b32 s29, -1
                                        ; implicit-def: $vgpr0_vgpr1
	s_branch .LBB103_152
.LBB103_144:
	s_mov_b32 s29, -1
                                        ; implicit-def: $vgpr0_vgpr1
	s_branch .LBB103_149
.LBB103_145:
	s_mov_b32 s29, -1
                                        ; implicit-def: $vgpr0_vgpr1
.LBB103_146:
	s_delay_alu instid0(SALU_CYCLE_1)
	s_and_not1_b32 vcc_lo, exec_lo, s29
	s_cbranch_vccnz .LBB103_148
; %bb.147:
	s_wait_loadcnt 0x0
	global_load_b32 v0, v[8:9], off
	s_wait_loadcnt 0x0
	v_cvt_f64_i32_e32 v[0:1], v0
.LBB103_148:
	s_mov_b32 s29, 0
.LBB103_149:
	s_delay_alu instid0(SALU_CYCLE_1)
	s_and_not1_b32 vcc_lo, exec_lo, s29
	s_cbranch_vccnz .LBB103_151
; %bb.150:
	s_wait_loadcnt 0x0
	global_load_i16 v0, v[8:9], off
	s_wait_loadcnt 0x0
	v_cvt_f64_i32_e32 v[0:1], v0
.LBB103_151:
	s_mov_b32 s29, 0
.LBB103_152:
	s_delay_alu instid0(SALU_CYCLE_1)
	s_and_not1_b32 vcc_lo, exec_lo, s29
	s_cbranch_vccnz .LBB103_158
; %bb.153:
	s_cmp_gt_i32 s0, 0
	s_mov_b32 s0, 0
	s_cbranch_scc0 .LBB103_155
; %bb.154:
	s_wait_loadcnt 0x0
	global_load_i8 v0, v[8:9], off
	s_wait_loadcnt 0x0
	v_cvt_f64_i32_e32 v[0:1], v0
	s_branch .LBB103_156
.LBB103_155:
	s_mov_b32 s0, -1
                                        ; implicit-def: $vgpr0_vgpr1
.LBB103_156:
	s_delay_alu instid0(SALU_CYCLE_1)
	s_and_not1_b32 vcc_lo, exec_lo, s0
	s_cbranch_vccnz .LBB103_158
; %bb.157:
	s_wait_loadcnt 0x0
	global_load_u8 v0, v[8:9], off
	s_wait_loadcnt 0x0
	v_cvt_f64_u32_e32 v[0:1], v0
.LBB103_158:
	s_mov_b32 s30, -1
.LBB103_159:
	s_mov_b32 s29, 0
	s_mov_b32 s0, 0
	s_and_not1_b32 vcc_lo, exec_lo, s30
	s_mov_b32 s30, 0
	s_mov_b32 s31, 0
	s_cbranch_vccnz .LBB103_412
; %bb.160:
	v_mov_b32_e32 v7, 0
	s_and_b32 s0, 0xffff, s9
	s_delay_alu instid0(SALU_CYCLE_1) | instskip(NEXT) | instid1(VALU_DEP_1)
	s_cmp_lt_i32 s0, 11
	v_add_nc_u64_e32 v[6:7], s[6:7], v[6:7]
	s_cbranch_scc1 .LBB103_167
; %bb.161:
	s_cmp_gt_i32 s0, 25
	s_cbranch_scc0 .LBB103_168
; %bb.162:
	s_cmp_gt_i32 s0, 28
	s_cbranch_scc0 .LBB103_169
	;; [unrolled: 3-line block ×4, first 2 shown]
; %bb.165:
	s_cmp_eq_u32 s0, 46
	s_mov_b32 s43, 0
	s_cbranch_scc0 .LBB103_172
; %bb.166:
	global_load_b32 v3, v[6:7], off
	s_mov_b32 s31, -1
	s_wait_loadcnt 0x0
	v_lshlrev_b32_e32 v3, 16, v3
	s_delay_alu instid0(VALU_DEP_1)
	v_cvt_f64_f32_e32 v[8:9], v3
	s_branch .LBB103_174
.LBB103_167:
	s_mov_b32 s43, -1
                                        ; implicit-def: $vgpr8_vgpr9
	s_branch .LBB103_239
.LBB103_168:
	s_mov_b32 s43, -1
                                        ; implicit-def: $vgpr8_vgpr9
	s_branch .LBB103_203
.LBB103_169:
	s_mov_b32 s43, -1
                                        ; implicit-def: $vgpr8_vgpr9
	s_branch .LBB103_184
.LBB103_170:
	s_mov_b32 s43, -1
                                        ; implicit-def: $vgpr8_vgpr9
	s_branch .LBB103_179
.LBB103_171:
	s_mov_b32 s43, -1
	s_branch .LBB103_173
.LBB103_172:
	s_mov_b32 s30, -1
.LBB103_173:
                                        ; implicit-def: $vgpr8_vgpr9
.LBB103_174:
	s_and_b32 vcc_lo, exec_lo, s43
	s_cbranch_vccz .LBB103_178
; %bb.175:
	s_cmp_eq_u32 s0, 44
	s_cbranch_scc0 .LBB103_177
; %bb.176:
	global_load_u8 v3, v[6:7], off
	s_mov_b32 s30, 0
	s_mov_b32 s31, -1
	s_wait_loadcnt 0x0
	v_cmp_ne_u32_e32 vcc_lo, 0xff, v3
	v_lshlrev_b32_e32 v5, 23, v3
	s_delay_alu instid0(VALU_DEP_1) | instskip(NEXT) | instid1(VALU_DEP_1)
	v_cvt_f64_f32_e32 v[8:9], v5
	v_cndmask_b32_e32 v5, 0x20000000, v8, vcc_lo
	s_delay_alu instid0(VALU_DEP_2) | instskip(SKIP_1) | instid1(VALU_DEP_2)
	v_cndmask_b32_e32 v8, 0x7ff80000, v9, vcc_lo
	v_cmp_ne_u32_e32 vcc_lo, 0, v3
	v_cndmask_b32_e32 v9, 0x38000000, v8, vcc_lo
	s_delay_alu instid0(VALU_DEP_4)
	v_cndmask_b32_e32 v8, 0, v5, vcc_lo
	s_branch .LBB103_178
.LBB103_177:
	s_mov_b32 s30, -1
                                        ; implicit-def: $vgpr8_vgpr9
.LBB103_178:
	s_mov_b32 s43, 0
.LBB103_179:
	s_delay_alu instid0(SALU_CYCLE_1)
	s_and_b32 vcc_lo, exec_lo, s43
	s_cbranch_vccz .LBB103_183
; %bb.180:
	s_cmp_eq_u32 s0, 29
	s_cbranch_scc0 .LBB103_182
; %bb.181:
	global_load_b64 v[8:9], v[6:7], off
	s_mov_b32 s31, -1
	s_mov_b32 s30, 0
	s_mov_b32 s43, 0
	s_wait_loadcnt 0x0
	v_cvt_f64_u32_e32 v[10:11], v9
	v_cvt_f64_u32_e32 v[8:9], v8
	s_delay_alu instid0(VALU_DEP_2) | instskip(NEXT) | instid1(VALU_DEP_1)
	v_ldexp_f64 v[10:11], v[10:11], 32
	v_add_f64_e32 v[8:9], v[10:11], v[8:9]
	s_branch .LBB103_184
.LBB103_182:
	s_mov_b32 s30, -1
                                        ; implicit-def: $vgpr8_vgpr9
.LBB103_183:
	s_mov_b32 s43, 0
.LBB103_184:
	s_delay_alu instid0(SALU_CYCLE_1)
	s_and_b32 vcc_lo, exec_lo, s43
	s_cbranch_vccz .LBB103_202
; %bb.185:
	s_cmp_lt_i32 s0, 27
	s_cbranch_scc1 .LBB103_188
; %bb.186:
	s_cmp_gt_i32 s0, 27
	s_cbranch_scc0 .LBB103_189
; %bb.187:
	global_load_b32 v3, v[6:7], off
	s_mov_b32 s31, 0
	s_wait_loadcnt 0x0
	v_cvt_f64_u32_e32 v[8:9], v3
	s_branch .LBB103_190
.LBB103_188:
	s_mov_b32 s31, -1
                                        ; implicit-def: $vgpr8_vgpr9
	s_branch .LBB103_193
.LBB103_189:
	s_mov_b32 s31, -1
                                        ; implicit-def: $vgpr8_vgpr9
.LBB103_190:
	s_delay_alu instid0(SALU_CYCLE_1)
	s_and_not1_b32 vcc_lo, exec_lo, s31
	s_cbranch_vccnz .LBB103_192
; %bb.191:
	global_load_u16 v3, v[6:7], off
	s_wait_loadcnt 0x0
	v_cvt_f64_u32_e32 v[8:9], v3
.LBB103_192:
	s_mov_b32 s31, 0
.LBB103_193:
	s_delay_alu instid0(SALU_CYCLE_1)
	s_and_not1_b32 vcc_lo, exec_lo, s31
	s_cbranch_vccnz .LBB103_201
; %bb.194:
	global_load_u8 v3, v[6:7], off
	s_mov_b32 s31, 0
	s_mov_b32 s43, exec_lo
	s_wait_loadcnt 0x0
	v_cmpx_lt_i16_e32 0x7f, v3
	s_xor_b32 s43, exec_lo, s43
	s_cbranch_execz .LBB103_215
; %bb.195:
	s_mov_b32 s31, -1
	s_mov_b32 s44, exec_lo
	v_cmpx_eq_u16_e32 0x80, v3
; %bb.196:
	s_xor_b32 s31, exec_lo, -1
; %bb.197:
	s_or_b32 exec_lo, exec_lo, s44
	s_delay_alu instid0(SALU_CYCLE_1)
	s_and_b32 s31, s31, exec_lo
	s_or_saveexec_b32 s43, s43
	v_mov_b64_e32 v[8:9], 0x7ff8000020000000
	s_xor_b32 exec_lo, exec_lo, s43
	s_cbranch_execnz .LBB103_216
.LBB103_198:
	s_or_b32 exec_lo, exec_lo, s43
	s_and_saveexec_b32 s43, s31
	s_cbranch_execz .LBB103_200
.LBB103_199:
	v_and_b32_e32 v5, 0xffff, v3
	s_delay_alu instid0(VALU_DEP_1) | instskip(SKIP_1) | instid1(VALU_DEP_2)
	v_dual_lshlrev_b32 v3, 24, v3 :: v_dual_bitop2_b32 v8, 7, v5 bitop3:0x40
	v_bfe_u32 v11, v5, 3, 4
	v_and_b32_e32 v3, 0x80000000, v3
	s_delay_alu instid0(VALU_DEP_3) | instskip(NEXT) | instid1(VALU_DEP_3)
	v_clz_i32_u32_e32 v9, v8
	v_cmp_eq_u32_e32 vcc_lo, 0, v11
	s_delay_alu instid0(VALU_DEP_2) | instskip(NEXT) | instid1(VALU_DEP_1)
	v_min_u32_e32 v9, 32, v9
	v_subrev_nc_u32_e32 v10, 28, v9
	v_sub_nc_u32_e32 v9, 29, v9
	s_delay_alu instid0(VALU_DEP_2) | instskip(NEXT) | instid1(VALU_DEP_2)
	v_lshlrev_b32_e32 v5, v10, v5
	v_cndmask_b32_e32 v9, v11, v9, vcc_lo
	s_delay_alu instid0(VALU_DEP_2) | instskip(NEXT) | instid1(VALU_DEP_1)
	v_and_b32_e32 v5, 7, v5
	v_cndmask_b32_e32 v5, v8, v5, vcc_lo
	s_delay_alu instid0(VALU_DEP_3) | instskip(NEXT) | instid1(VALU_DEP_2)
	v_lshl_add_u32 v8, v9, 23, 0x3b800000
	v_lshlrev_b32_e32 v5, 20, v5
	s_delay_alu instid0(VALU_DEP_1) | instskip(NEXT) | instid1(VALU_DEP_1)
	v_or3_b32 v3, v3, v8, v5
	v_cvt_f64_f32_e32 v[8:9], v3
.LBB103_200:
	s_or_b32 exec_lo, exec_lo, s43
.LBB103_201:
	s_mov_b32 s31, -1
.LBB103_202:
	s_mov_b32 s43, 0
.LBB103_203:
	s_delay_alu instid0(SALU_CYCLE_1)
	s_and_b32 vcc_lo, exec_lo, s43
	s_cbranch_vccz .LBB103_238
; %bb.204:
	s_cmp_gt_i32 s0, 22
	s_cbranch_scc0 .LBB103_214
; %bb.205:
	s_cmp_lt_i32 s0, 24
	s_cbranch_scc1 .LBB103_217
; %bb.206:
	s_cmp_gt_i32 s0, 24
	s_cbranch_scc0 .LBB103_218
; %bb.207:
	global_load_u8 v3, v[6:7], off
	s_mov_b32 s31, 0
	s_mov_b32 s43, exec_lo
	s_wait_loadcnt 0x0
	v_cmpx_lt_i16_e32 0x7f, v3
	s_xor_b32 s43, exec_lo, s43
	s_cbranch_execz .LBB103_230
; %bb.208:
	s_mov_b32 s31, -1
	s_mov_b32 s44, exec_lo
	v_cmpx_eq_u16_e32 0x80, v3
; %bb.209:
	s_xor_b32 s31, exec_lo, -1
; %bb.210:
	s_or_b32 exec_lo, exec_lo, s44
	s_delay_alu instid0(SALU_CYCLE_1)
	s_and_b32 s31, s31, exec_lo
	s_or_saveexec_b32 s43, s43
	v_mov_b64_e32 v[8:9], 0x7ff8000020000000
	s_xor_b32 exec_lo, exec_lo, s43
	s_cbranch_execnz .LBB103_231
.LBB103_211:
	s_or_b32 exec_lo, exec_lo, s43
	s_and_saveexec_b32 s43, s31
	s_cbranch_execz .LBB103_213
.LBB103_212:
	v_and_b32_e32 v5, 0xffff, v3
	s_delay_alu instid0(VALU_DEP_1) | instskip(SKIP_1) | instid1(VALU_DEP_2)
	v_dual_lshlrev_b32 v3, 24, v3 :: v_dual_bitop2_b32 v8, 3, v5 bitop3:0x40
	v_bfe_u32 v11, v5, 2, 5
	v_and_b32_e32 v3, 0x80000000, v3
	s_delay_alu instid0(VALU_DEP_3) | instskip(NEXT) | instid1(VALU_DEP_3)
	v_clz_i32_u32_e32 v9, v8
	v_cmp_eq_u32_e32 vcc_lo, 0, v11
	s_delay_alu instid0(VALU_DEP_2) | instskip(NEXT) | instid1(VALU_DEP_1)
	v_min_u32_e32 v9, 32, v9
	v_subrev_nc_u32_e32 v10, 29, v9
	v_sub_nc_u32_e32 v9, 30, v9
	s_delay_alu instid0(VALU_DEP_2) | instskip(NEXT) | instid1(VALU_DEP_2)
	v_lshlrev_b32_e32 v5, v10, v5
	v_cndmask_b32_e32 v9, v11, v9, vcc_lo
	s_delay_alu instid0(VALU_DEP_2) | instskip(NEXT) | instid1(VALU_DEP_1)
	v_and_b32_e32 v5, 3, v5
	v_cndmask_b32_e32 v5, v8, v5, vcc_lo
	s_delay_alu instid0(VALU_DEP_3) | instskip(NEXT) | instid1(VALU_DEP_2)
	v_lshl_add_u32 v8, v9, 23, 0x37800000
	v_lshlrev_b32_e32 v5, 21, v5
	s_delay_alu instid0(VALU_DEP_1) | instskip(NEXT) | instid1(VALU_DEP_1)
	v_or3_b32 v3, v3, v8, v5
	v_cvt_f64_f32_e32 v[8:9], v3
.LBB103_213:
	s_or_b32 exec_lo, exec_lo, s43
	s_mov_b32 s31, 0
	s_branch .LBB103_219
.LBB103_214:
	s_mov_b32 s43, -1
                                        ; implicit-def: $vgpr8_vgpr9
	s_branch .LBB103_225
.LBB103_215:
	s_or_saveexec_b32 s43, s43
	v_mov_b64_e32 v[8:9], 0x7ff8000020000000
	s_xor_b32 exec_lo, exec_lo, s43
	s_cbranch_execz .LBB103_198
.LBB103_216:
	v_cmp_ne_u16_e32 vcc_lo, 0, v3
	v_mov_b64_e32 v[8:9], 0
	s_and_not1_b32 s31, s31, exec_lo
	s_and_b32 s44, vcc_lo, exec_lo
	s_delay_alu instid0(SALU_CYCLE_1)
	s_or_b32 s31, s31, s44
	s_or_b32 exec_lo, exec_lo, s43
	s_and_saveexec_b32 s43, s31
	s_cbranch_execnz .LBB103_199
	s_branch .LBB103_200
.LBB103_217:
	s_mov_b32 s31, -1
                                        ; implicit-def: $vgpr8_vgpr9
	s_branch .LBB103_222
.LBB103_218:
	s_mov_b32 s31, -1
                                        ; implicit-def: $vgpr8_vgpr9
.LBB103_219:
	s_delay_alu instid0(SALU_CYCLE_1)
	s_and_b32 vcc_lo, exec_lo, s31
	s_cbranch_vccz .LBB103_221
; %bb.220:
	global_load_u8 v3, v[6:7], off
	s_wait_loadcnt 0x0
	v_lshlrev_b32_e32 v3, 24, v3
	s_delay_alu instid0(VALU_DEP_1) | instskip(NEXT) | instid1(VALU_DEP_1)
	v_and_b32_e32 v5, 0x7f000000, v3
	v_clz_i32_u32_e32 v8, v5
	v_cmp_ne_u32_e32 vcc_lo, 0, v5
	v_add_nc_u32_e32 v10, 0x1000000, v5
	s_delay_alu instid0(VALU_DEP_3) | instskip(NEXT) | instid1(VALU_DEP_1)
	v_min_u32_e32 v8, 32, v8
	v_sub_nc_u32_e64 v8, v8, 4 clamp
	s_delay_alu instid0(VALU_DEP_1) | instskip(NEXT) | instid1(VALU_DEP_1)
	v_dual_lshlrev_b32 v9, v8, v5 :: v_dual_lshlrev_b32 v8, 23, v8
	v_lshrrev_b32_e32 v9, 4, v9
	s_delay_alu instid0(VALU_DEP_1) | instskip(NEXT) | instid1(VALU_DEP_1)
	v_dual_sub_nc_u32 v8, v9, v8 :: v_dual_ashrrev_i32 v9, 8, v10
	v_add_nc_u32_e32 v8, 0x3c000000, v8
	s_delay_alu instid0(VALU_DEP_1) | instskip(NEXT) | instid1(VALU_DEP_1)
	v_and_or_b32 v8, 0x7f800000, v9, v8
	v_cndmask_b32_e32 v5, 0, v8, vcc_lo
	s_delay_alu instid0(VALU_DEP_1) | instskip(NEXT) | instid1(VALU_DEP_1)
	v_and_or_b32 v3, 0x80000000, v3, v5
	v_cvt_f64_f32_e32 v[8:9], v3
.LBB103_221:
	s_mov_b32 s31, 0
.LBB103_222:
	s_delay_alu instid0(SALU_CYCLE_1)
	s_and_not1_b32 vcc_lo, exec_lo, s31
	s_cbranch_vccnz .LBB103_224
; %bb.223:
	global_load_u8 v3, v[6:7], off
	s_wait_loadcnt 0x0
	v_lshlrev_b32_e32 v5, 25, v3
	v_lshlrev_b16 v3, 8, v3
	s_delay_alu instid0(VALU_DEP_1) | instskip(SKIP_1) | instid1(VALU_DEP_2)
	v_and_or_b32 v9, 0x7f00, v3, 0.5
	v_bfe_i32 v3, v3, 0, 16
	v_add_f32_e32 v9, -0.5, v9
	v_lshrrev_b32_e32 v8, 4, v5
	v_cmp_gt_u32_e32 vcc_lo, 0x8000000, v5
	s_delay_alu instid0(VALU_DEP_2) | instskip(NEXT) | instid1(VALU_DEP_1)
	v_or_b32_e32 v8, 0x70000000, v8
	v_mul_f32_e32 v8, 0x7800000, v8
	s_delay_alu instid0(VALU_DEP_1) | instskip(NEXT) | instid1(VALU_DEP_1)
	v_cndmask_b32_e32 v5, v8, v9, vcc_lo
	v_and_or_b32 v3, 0x80000000, v3, v5
	s_delay_alu instid0(VALU_DEP_1)
	v_cvt_f64_f32_e32 v[8:9], v3
.LBB103_224:
	s_mov_b32 s43, 0
	s_mov_b32 s31, -1
.LBB103_225:
	s_and_not1_b32 vcc_lo, exec_lo, s43
	s_cbranch_vccnz .LBB103_238
; %bb.226:
	s_cmp_gt_i32 s0, 14
	s_cbranch_scc0 .LBB103_229
; %bb.227:
	s_cmp_eq_u32 s0, 15
	s_cbranch_scc0 .LBB103_232
; %bb.228:
	global_load_u16 v3, v[6:7], off
	s_mov_b32 s31, -1
	s_mov_b32 s30, 0
	s_wait_loadcnt 0x0
	v_lshlrev_b32_e32 v3, 16, v3
	s_delay_alu instid0(VALU_DEP_1)
	v_cvt_f64_f32_e32 v[8:9], v3
	s_branch .LBB103_233
.LBB103_229:
	s_mov_b32 s43, -1
                                        ; implicit-def: $vgpr8_vgpr9
	s_branch .LBB103_234
.LBB103_230:
	s_or_saveexec_b32 s43, s43
	v_mov_b64_e32 v[8:9], 0x7ff8000020000000
	s_xor_b32 exec_lo, exec_lo, s43
	s_cbranch_execz .LBB103_211
.LBB103_231:
	v_cmp_ne_u16_e32 vcc_lo, 0, v3
	v_mov_b64_e32 v[8:9], 0
	s_and_not1_b32 s31, s31, exec_lo
	s_and_b32 s44, vcc_lo, exec_lo
	s_delay_alu instid0(SALU_CYCLE_1)
	s_or_b32 s31, s31, s44
	s_or_b32 exec_lo, exec_lo, s43
	s_and_saveexec_b32 s43, s31
	s_cbranch_execnz .LBB103_212
	s_branch .LBB103_213
.LBB103_232:
	s_mov_b32 s30, -1
                                        ; implicit-def: $vgpr8_vgpr9
.LBB103_233:
	s_mov_b32 s43, 0
.LBB103_234:
	s_delay_alu instid0(SALU_CYCLE_1)
	s_and_b32 vcc_lo, exec_lo, s43
	s_cbranch_vccz .LBB103_238
; %bb.235:
	s_cmp_eq_u32 s0, 11
	s_cbranch_scc0 .LBB103_237
; %bb.236:
	global_load_u8 v3, v[6:7], off
	s_wait_xcnt 0x1
	v_mov_b32_e32 v8, 0
	s_mov_b32 s30, 0
	s_mov_b32 s31, -1
	s_wait_loadcnt 0x0
	v_cmp_ne_u16_e32 vcc_lo, 0, v3
	v_cndmask_b32_e64 v9, 0, 0x3ff00000, vcc_lo
	s_branch .LBB103_238
.LBB103_237:
	s_mov_b32 s30, -1
                                        ; implicit-def: $vgpr8_vgpr9
.LBB103_238:
	s_mov_b32 s43, 0
.LBB103_239:
	s_delay_alu instid0(SALU_CYCLE_1)
	s_and_b32 vcc_lo, exec_lo, s43
	s_cbranch_vccz .LBB103_288
; %bb.240:
	s_cmp_lt_i32 s0, 5
	s_cbranch_scc1 .LBB103_245
; %bb.241:
	s_cmp_lt_i32 s0, 8
	s_cbranch_scc1 .LBB103_246
	;; [unrolled: 3-line block ×3, first 2 shown]
; %bb.243:
	s_cmp_gt_i32 s0, 9
	s_cbranch_scc0 .LBB103_248
; %bb.244:
	global_load_b64 v[8:9], v[6:7], off
	s_mov_b32 s31, 0
	s_branch .LBB103_249
.LBB103_245:
	s_mov_b32 s31, -1
                                        ; implicit-def: $vgpr8_vgpr9
	s_branch .LBB103_267
.LBB103_246:
	s_mov_b32 s31, -1
                                        ; implicit-def: $vgpr8_vgpr9
	s_branch .LBB103_255
.LBB103_247:
	s_mov_b32 s31, -1
                                        ; implicit-def: $vgpr8_vgpr9
	s_branch .LBB103_252
.LBB103_248:
	s_mov_b32 s31, -1
                                        ; implicit-def: $vgpr8_vgpr9
.LBB103_249:
	s_delay_alu instid0(SALU_CYCLE_1)
	s_and_not1_b32 vcc_lo, exec_lo, s31
	s_cbranch_vccnz .LBB103_251
; %bb.250:
	global_load_b32 v3, v[6:7], off
	s_wait_loadcnt 0x0
	v_cvt_f64_f32_e32 v[8:9], v3
.LBB103_251:
	s_mov_b32 s31, 0
.LBB103_252:
	s_delay_alu instid0(SALU_CYCLE_1)
	s_and_not1_b32 vcc_lo, exec_lo, s31
	s_cbranch_vccnz .LBB103_254
; %bb.253:
	global_load_b32 v3, v[6:7], off
	s_wait_loadcnt 0x0
	v_cvt_f32_f16_e32 v3, v3
	s_delay_alu instid0(VALU_DEP_1)
	v_cvt_f64_f32_e32 v[8:9], v3
.LBB103_254:
	s_mov_b32 s31, 0
.LBB103_255:
	s_delay_alu instid0(SALU_CYCLE_1)
	s_and_not1_b32 vcc_lo, exec_lo, s31
	s_cbranch_vccnz .LBB103_266
; %bb.256:
	s_cmp_lt_i32 s0, 6
	s_cbranch_scc1 .LBB103_259
; %bb.257:
	s_cmp_gt_i32 s0, 6
	s_cbranch_scc0 .LBB103_260
; %bb.258:
	s_wait_loadcnt 0x0
	global_load_b64 v[8:9], v[6:7], off
	s_mov_b32 s31, 0
	s_branch .LBB103_261
.LBB103_259:
	s_mov_b32 s31, -1
                                        ; implicit-def: $vgpr8_vgpr9
	s_branch .LBB103_264
.LBB103_260:
	s_mov_b32 s31, -1
                                        ; implicit-def: $vgpr8_vgpr9
.LBB103_261:
	s_delay_alu instid0(SALU_CYCLE_1)
	s_and_not1_b32 vcc_lo, exec_lo, s31
	s_cbranch_vccnz .LBB103_263
; %bb.262:
	global_load_b32 v3, v[6:7], off
	s_wait_loadcnt 0x0
	v_cvt_f64_f32_e32 v[8:9], v3
.LBB103_263:
	s_mov_b32 s31, 0
.LBB103_264:
	s_delay_alu instid0(SALU_CYCLE_1)
	s_and_not1_b32 vcc_lo, exec_lo, s31
	s_cbranch_vccnz .LBB103_266
; %bb.265:
	global_load_u16 v3, v[6:7], off
	s_wait_loadcnt 0x0
	v_cvt_f32_f16_e32 v3, v3
	s_delay_alu instid0(VALU_DEP_1)
	v_cvt_f64_f32_e32 v[8:9], v3
.LBB103_266:
	s_mov_b32 s31, 0
.LBB103_267:
	s_delay_alu instid0(SALU_CYCLE_1)
	s_and_not1_b32 vcc_lo, exec_lo, s31
	s_cbranch_vccnz .LBB103_287
; %bb.268:
	s_cmp_lt_i32 s0, 2
	s_cbranch_scc1 .LBB103_272
; %bb.269:
	s_cmp_lt_i32 s0, 3
	s_cbranch_scc1 .LBB103_273
; %bb.270:
	s_cmp_gt_i32 s0, 3
	s_cbranch_scc0 .LBB103_274
; %bb.271:
	s_wait_loadcnt 0x0
	global_load_b64 v[8:9], v[6:7], off
	s_mov_b32 s31, 0
	s_wait_loadcnt 0x0
	v_cvt_f64_i32_e32 v[10:11], v9
	v_cvt_f64_u32_e32 v[8:9], v8
	s_delay_alu instid0(VALU_DEP_2) | instskip(NEXT) | instid1(VALU_DEP_1)
	v_ldexp_f64 v[10:11], v[10:11], 32
	v_add_f64_e32 v[8:9], v[10:11], v[8:9]
	s_branch .LBB103_275
.LBB103_272:
	s_mov_b32 s31, -1
                                        ; implicit-def: $vgpr8_vgpr9
	s_branch .LBB103_281
.LBB103_273:
	s_mov_b32 s31, -1
                                        ; implicit-def: $vgpr8_vgpr9
	s_branch .LBB103_278
.LBB103_274:
	s_mov_b32 s31, -1
                                        ; implicit-def: $vgpr8_vgpr9
.LBB103_275:
	s_delay_alu instid0(SALU_CYCLE_1)
	s_and_not1_b32 vcc_lo, exec_lo, s31
	s_cbranch_vccnz .LBB103_277
; %bb.276:
	global_load_b32 v3, v[6:7], off
	s_wait_loadcnt 0x0
	v_cvt_f64_i32_e32 v[8:9], v3
.LBB103_277:
	s_mov_b32 s31, 0
.LBB103_278:
	s_delay_alu instid0(SALU_CYCLE_1)
	s_and_not1_b32 vcc_lo, exec_lo, s31
	s_cbranch_vccnz .LBB103_280
; %bb.279:
	global_load_i16 v3, v[6:7], off
	s_wait_loadcnt 0x0
	v_cvt_f64_i32_e32 v[8:9], v3
.LBB103_280:
	s_mov_b32 s31, 0
.LBB103_281:
	s_delay_alu instid0(SALU_CYCLE_1)
	s_and_not1_b32 vcc_lo, exec_lo, s31
	s_cbranch_vccnz .LBB103_287
; %bb.282:
	s_cmp_gt_i32 s0, 0
	s_mov_b32 s0, 0
	s_cbranch_scc0 .LBB103_284
; %bb.283:
	global_load_i8 v3, v[6:7], off
	s_wait_loadcnt 0x0
	v_cvt_f64_i32_e32 v[8:9], v3
	s_branch .LBB103_285
.LBB103_284:
	s_mov_b32 s0, -1
                                        ; implicit-def: $vgpr8_vgpr9
.LBB103_285:
	s_delay_alu instid0(SALU_CYCLE_1)
	s_and_not1_b32 vcc_lo, exec_lo, s0
	s_cbranch_vccnz .LBB103_287
; %bb.286:
	global_load_u8 v3, v[6:7], off
	s_wait_loadcnt 0x0
	v_cvt_f64_u32_e32 v[8:9], v3
.LBB103_287:
	s_mov_b32 s31, -1
.LBB103_288:
	s_delay_alu instid0(SALU_CYCLE_1)
	s_and_not1_b32 vcc_lo, exec_lo, s31
	s_cbranch_vccnz .LBB103_296
; %bb.289:
	s_wait_loadcnt 0x0
	s_delay_alu instid0(VALU_DEP_3) | instskip(SKIP_1) | instid1(SALU_CYCLE_1)
	v_dual_mul_f64 v[0:1], s[12:13], v[0:1] :: v_dual_mov_b32 v3, 0
	s_and_b32 s31, s14, 0xff
	s_cmp_lt_i32 s31, 11
	s_delay_alu instid0(VALU_DEP_1) | instskip(NEXT) | instid1(VALU_DEP_2)
	v_add_nc_u64_e32 v[6:7], s[20:21], v[2:3]
	v_mul_f64_e32 v[0:1], v[0:1], v[8:9]
	s_cbranch_scc1 .LBB103_297
; %bb.290:
	s_and_b32 s43, 0xffff, s31
	s_delay_alu instid0(SALU_CYCLE_1)
	s_cmp_gt_i32 s43, 25
	s_cbranch_scc0 .LBB103_298
; %bb.291:
	s_cmp_gt_i32 s43, 28
	s_cbranch_scc0 .LBB103_299
; %bb.292:
	;; [unrolled: 3-line block ×4, first 2 shown]
	s_mov_b32 s45, 0
	s_mov_b32 s0, -1
	s_cmp_eq_u32 s43, 46
	s_mov_b32 s44, 0
	s_cbranch_scc0 .LBB103_302
; %bb.295:
	s_delay_alu instid0(VALU_DEP_1) | instskip(SKIP_2) | instid1(VALU_DEP_1)
	v_cvt_f32_f64_e32 v2, v[0:1]
	s_mov_b32 s44, -1
	s_mov_b32 s0, 0
	v_bfe_u32 v3, v2, 16, 1
	v_cmp_o_f32_e32 vcc_lo, v2, v2
	s_delay_alu instid0(VALU_DEP_2) | instskip(NEXT) | instid1(VALU_DEP_1)
	v_add3_u32 v3, v2, v3, 0x7fff
	v_lshrrev_b32_e32 v3, 16, v3
	s_delay_alu instid0(VALU_DEP_1)
	v_cndmask_b32_e32 v2, 0x7fc0, v3, vcc_lo
	global_store_b32 v[6:7], v2, off
	s_branch .LBB103_302
.LBB103_296:
	s_mov_b32 s0, 0
	s_branch .LBB103_38
.LBB103_297:
	s_mov_b32 s43, -1
	s_mov_b32 s0, 0
	s_mov_b32 s44, 0
	s_branch .LBB103_371
.LBB103_298:
	s_mov_b32 s45, -1
	s_mov_b32 s0, 0
	s_mov_b32 s44, 0
	s_branch .LBB103_329
.LBB103_299:
	s_mov_b32 s45, -1
	s_mov_b32 s0, 0
	s_mov_b32 s44, 0
	s_branch .LBB103_312
.LBB103_300:
	s_mov_b32 s45, -1
	s_mov_b32 s0, 0
	s_mov_b32 s44, 0
	s_branch .LBB103_308
.LBB103_301:
	s_mov_b32 s45, -1
	s_mov_b32 s0, 0
	s_mov_b32 s44, 0
.LBB103_302:
	s_and_b32 vcc_lo, exec_lo, s45
	s_cbranch_vccz .LBB103_307
; %bb.303:
	s_cmp_eq_u32 s43, 44
	s_mov_b32 s0, -1
	s_cbranch_scc0 .LBB103_307
; %bb.304:
	s_wait_xcnt 0x0
	s_delay_alu instid0(VALU_DEP_1) | instskip(SKIP_2) | instid1(VALU_DEP_2)
	v_cvt_f32_f64_e32 v2, v[0:1]
	v_mov_b32_e32 v3, 0xff
	s_mov_b32 s44, exec_lo
	v_bfe_u32 v5, v2, 23, 8
	s_delay_alu instid0(VALU_DEP_1)
	v_cmpx_ne_u32_e32 0xff, v5
	s_cbranch_execz .LBB103_306
; %bb.305:
	v_and_b32_e32 v3, 0x400000, v2
	v_and_or_b32 v5, 0x3fffff, v2, v5
	v_lshrrev_b32_e32 v2, 23, v2
	s_delay_alu instid0(VALU_DEP_3) | instskip(NEXT) | instid1(VALU_DEP_3)
	v_cmp_ne_u32_e32 vcc_lo, 0, v3
	v_cmp_ne_u32_e64 s0, 0, v5
	s_and_b32 s0, vcc_lo, s0
	s_delay_alu instid0(SALU_CYCLE_1) | instskip(NEXT) | instid1(VALU_DEP_1)
	v_cndmask_b32_e64 v3, 0, 1, s0
	v_add_nc_u32_e32 v3, v2, v3
.LBB103_306:
	s_or_b32 exec_lo, exec_lo, s44
	s_mov_b32 s44, -1
	s_mov_b32 s0, 0
	global_store_b8 v[6:7], v3, off
.LBB103_307:
	s_mov_b32 s45, 0
.LBB103_308:
	s_delay_alu instid0(SALU_CYCLE_1)
	s_and_b32 vcc_lo, exec_lo, s45
	s_cbranch_vccz .LBB103_311
; %bb.309:
	s_cmp_eq_u32 s43, 29
	s_mov_b32 s0, -1
	s_cbranch_scc0 .LBB103_311
; %bb.310:
	s_wait_xcnt 0x0
	s_delay_alu instid0(VALU_DEP_1) | instskip(SKIP_3) | instid1(VALU_DEP_1)
	v_trunc_f64_e32 v[2:3], v[0:1]
	s_mov_b32 s44, -1
	s_mov_b32 s0, 0
	s_mov_b32 s45, 0
	v_ldexp_f64 v[8:9], v[2:3], 0xffffffe0
	s_delay_alu instid0(VALU_DEP_1) | instskip(NEXT) | instid1(VALU_DEP_1)
	v_floor_f64_e32 v[8:9], v[8:9]
	v_fmamk_f64 v[2:3], v[8:9], 0xc1f00000, v[2:3]
	v_cvt_u32_f64_e32 v9, v[8:9]
	s_delay_alu instid0(VALU_DEP_2)
	v_cvt_u32_f64_e32 v8, v[2:3]
	global_store_b64 v[6:7], v[8:9], off
	s_branch .LBB103_312
.LBB103_311:
	s_mov_b32 s45, 0
.LBB103_312:
	s_delay_alu instid0(SALU_CYCLE_1)
	s_and_b32 vcc_lo, exec_lo, s45
	s_cbranch_vccz .LBB103_328
; %bb.313:
	s_cmp_lt_i32 s43, 27
	s_mov_b32 s44, -1
	s_cbranch_scc1 .LBB103_319
; %bb.314:
	s_wait_xcnt 0x0
	s_delay_alu instid0(VALU_DEP_1)
	v_cvt_u32_f64_e32 v2, v[0:1]
	s_cmp_gt_i32 s43, 27
	s_cbranch_scc0 .LBB103_316
; %bb.315:
	s_mov_b32 s44, 0
	global_store_b32 v[6:7], v2, off
.LBB103_316:
	s_and_not1_b32 vcc_lo, exec_lo, s44
	s_cbranch_vccnz .LBB103_318
; %bb.317:
	global_store_b16 v[6:7], v2, off
.LBB103_318:
	s_mov_b32 s44, 0
.LBB103_319:
	s_delay_alu instid0(SALU_CYCLE_1)
	s_and_not1_b32 vcc_lo, exec_lo, s44
	s_cbranch_vccnz .LBB103_327
; %bb.320:
	s_wait_xcnt 0x0
	s_delay_alu instid0(VALU_DEP_1) | instskip(SKIP_2) | instid1(VALU_DEP_2)
	v_cvt_f32_f64_e32 v2, v[0:1]
	v_mov_b32_e32 v5, 0x80
	s_mov_b32 s44, exec_lo
	v_and_b32_e32 v3, 0x7fffffff, v2
	s_delay_alu instid0(VALU_DEP_1)
	v_cmpx_gt_u32_e32 0x43800000, v3
	s_cbranch_execz .LBB103_326
; %bb.321:
	v_cmp_lt_u32_e32 vcc_lo, 0x3bffffff, v3
	s_mov_b32 s45, 0
                                        ; implicit-def: $vgpr3
	s_and_saveexec_b32 s46, vcc_lo
	s_delay_alu instid0(SALU_CYCLE_1)
	s_xor_b32 s46, exec_lo, s46
	s_cbranch_execz .LBB103_458
; %bb.322:
	v_bfe_u32 v3, v2, 20, 1
	s_mov_b32 s45, exec_lo
	s_delay_alu instid0(VALU_DEP_1) | instskip(NEXT) | instid1(VALU_DEP_1)
	v_add3_u32 v3, v2, v3, 0x487ffff
	v_lshrrev_b32_e32 v3, 20, v3
	s_and_not1_saveexec_b32 s46, s46
	s_cbranch_execnz .LBB103_459
.LBB103_323:
	s_or_b32 exec_lo, exec_lo, s46
	v_mov_b32_e32 v5, 0
	s_and_saveexec_b32 s46, s45
.LBB103_324:
	v_lshrrev_b32_e32 v2, 24, v2
	s_delay_alu instid0(VALU_DEP_1)
	v_and_or_b32 v5, 0x80, v2, v3
.LBB103_325:
	s_or_b32 exec_lo, exec_lo, s46
.LBB103_326:
	s_delay_alu instid0(SALU_CYCLE_1)
	s_or_b32 exec_lo, exec_lo, s44
	global_store_b8 v[6:7], v5, off
.LBB103_327:
	s_mov_b32 s44, -1
.LBB103_328:
	s_mov_b32 s45, 0
.LBB103_329:
	s_delay_alu instid0(SALU_CYCLE_1)
	s_and_b32 vcc_lo, exec_lo, s45
	s_cbranch_vccz .LBB103_370
; %bb.330:
	s_cmp_gt_i32 s43, 22
	s_mov_b32 s45, -1
	s_cbranch_scc0 .LBB103_362
; %bb.331:
	s_cmp_lt_i32 s43, 24
	s_mov_b32 s44, -1
	s_cbranch_scc1 .LBB103_351
; %bb.332:
	s_cmp_gt_i32 s43, 24
	s_cbranch_scc0 .LBB103_340
; %bb.333:
	s_wait_xcnt 0x0
	s_delay_alu instid0(VALU_DEP_1) | instskip(SKIP_2) | instid1(VALU_DEP_2)
	v_cvt_f32_f64_e32 v2, v[0:1]
	v_mov_b32_e32 v5, 0x80
	s_mov_b32 s44, exec_lo
	v_and_b32_e32 v3, 0x7fffffff, v2
	s_delay_alu instid0(VALU_DEP_1)
	v_cmpx_gt_u32_e32 0x47800000, v3
	s_cbranch_execz .LBB103_339
; %bb.334:
	v_cmp_lt_u32_e32 vcc_lo, 0x37ffffff, v3
	s_mov_b32 s45, 0
                                        ; implicit-def: $vgpr3
	s_and_saveexec_b32 s46, vcc_lo
	s_delay_alu instid0(SALU_CYCLE_1)
	s_xor_b32 s46, exec_lo, s46
	s_cbranch_execz .LBB103_589
; %bb.335:
	v_bfe_u32 v3, v2, 21, 1
	s_mov_b32 s45, exec_lo
	s_delay_alu instid0(VALU_DEP_1) | instskip(NEXT) | instid1(VALU_DEP_1)
	v_add3_u32 v3, v2, v3, 0x88fffff
	v_lshrrev_b32_e32 v3, 21, v3
	s_and_not1_saveexec_b32 s46, s46
	s_cbranch_execnz .LBB103_590
.LBB103_336:
	s_or_b32 exec_lo, exec_lo, s46
	v_mov_b32_e32 v5, 0
	s_and_saveexec_b32 s46, s45
.LBB103_337:
	v_lshrrev_b32_e32 v2, 24, v2
	s_delay_alu instid0(VALU_DEP_1)
	v_and_or_b32 v5, 0x80, v2, v3
.LBB103_338:
	s_or_b32 exec_lo, exec_lo, s46
.LBB103_339:
	s_delay_alu instid0(SALU_CYCLE_1)
	s_or_b32 exec_lo, exec_lo, s44
	s_mov_b32 s44, 0
	global_store_b8 v[6:7], v5, off
.LBB103_340:
	s_and_b32 vcc_lo, exec_lo, s44
	s_cbranch_vccz .LBB103_350
; %bb.341:
	s_wait_xcnt 0x0
	s_delay_alu instid0(VALU_DEP_1) | instskip(SKIP_1) | instid1(VALU_DEP_1)
	v_cvt_f32_f64_e32 v2, v[0:1]
	s_mov_b32 s44, exec_lo
                                        ; implicit-def: $vgpr3
	v_and_b32_e32 v5, 0x7fffffff, v2
	s_delay_alu instid0(VALU_DEP_1)
	v_cmpx_gt_u32_e32 0x43f00000, v5
	s_xor_b32 s44, exec_lo, s44
	s_cbranch_execz .LBB103_347
; %bb.342:
	s_mov_b32 s45, exec_lo
                                        ; implicit-def: $vgpr3
	v_cmpx_lt_u32_e32 0x3c7fffff, v5
	s_xor_b32 s45, exec_lo, s45
; %bb.343:
	v_bfe_u32 v3, v2, 20, 1
	s_delay_alu instid0(VALU_DEP_1) | instskip(NEXT) | instid1(VALU_DEP_1)
	v_add3_u32 v3, v2, v3, 0x407ffff
	v_and_b32_e32 v5, 0xff00000, v3
	v_lshrrev_b32_e32 v3, 20, v3
	s_delay_alu instid0(VALU_DEP_2) | instskip(NEXT) | instid1(VALU_DEP_2)
	v_cmp_ne_u32_e32 vcc_lo, 0x7f00000, v5
	v_cndmask_b32_e32 v3, 0x7e, v3, vcc_lo
; %bb.344:
	s_and_not1_saveexec_b32 s45, s45
; %bb.345:
	v_add_f32_e64 v3, 0x46800000, |v2|
; %bb.346:
	s_or_b32 exec_lo, exec_lo, s45
                                        ; implicit-def: $vgpr5
.LBB103_347:
	s_and_not1_saveexec_b32 s44, s44
; %bb.348:
	v_mov_b32_e32 v3, 0x7f
	v_cmp_lt_u32_e32 vcc_lo, 0x7f800000, v5
	s_delay_alu instid0(VALU_DEP_2)
	v_cndmask_b32_e32 v3, 0x7e, v3, vcc_lo
; %bb.349:
	s_or_b32 exec_lo, exec_lo, s44
	v_lshrrev_b32_e32 v2, 24, v2
	s_delay_alu instid0(VALU_DEP_1)
	v_and_or_b32 v2, 0x80, v2, v3
	global_store_b8 v[6:7], v2, off
.LBB103_350:
	s_mov_b32 s44, 0
.LBB103_351:
	s_delay_alu instid0(SALU_CYCLE_1)
	s_and_not1_b32 vcc_lo, exec_lo, s44
	s_cbranch_vccnz .LBB103_361
; %bb.352:
	s_wait_xcnt 0x0
	s_delay_alu instid0(VALU_DEP_1) | instskip(SKIP_1) | instid1(VALU_DEP_1)
	v_cvt_f32_f64_e32 v2, v[0:1]
	s_mov_b32 s44, exec_lo
                                        ; implicit-def: $vgpr3
	v_and_b32_e32 v5, 0x7fffffff, v2
	s_delay_alu instid0(VALU_DEP_1)
	v_cmpx_gt_u32_e32 0x47800000, v5
	s_xor_b32 s44, exec_lo, s44
	s_cbranch_execz .LBB103_358
; %bb.353:
	s_mov_b32 s45, exec_lo
                                        ; implicit-def: $vgpr3
	v_cmpx_lt_u32_e32 0x387fffff, v5
	s_xor_b32 s45, exec_lo, s45
; %bb.354:
	v_bfe_u32 v3, v2, 21, 1
	s_delay_alu instid0(VALU_DEP_1) | instskip(NEXT) | instid1(VALU_DEP_1)
	v_add3_u32 v3, v2, v3, 0x80fffff
	v_lshrrev_b32_e32 v3, 21, v3
; %bb.355:
	s_and_not1_saveexec_b32 s45, s45
; %bb.356:
	v_add_f32_e64 v3, 0x43000000, |v2|
; %bb.357:
	s_or_b32 exec_lo, exec_lo, s45
                                        ; implicit-def: $vgpr5
.LBB103_358:
	s_and_not1_saveexec_b32 s44, s44
; %bb.359:
	v_mov_b32_e32 v3, 0x7f
	v_cmp_lt_u32_e32 vcc_lo, 0x7f800000, v5
	s_delay_alu instid0(VALU_DEP_2)
	v_cndmask_b32_e32 v3, 0x7c, v3, vcc_lo
; %bb.360:
	s_or_b32 exec_lo, exec_lo, s44
	v_lshrrev_b32_e32 v2, 24, v2
	s_delay_alu instid0(VALU_DEP_1)
	v_and_or_b32 v2, 0x80, v2, v3
	global_store_b8 v[6:7], v2, off
.LBB103_361:
	s_mov_b32 s45, 0
	s_mov_b32 s44, -1
.LBB103_362:
	s_and_not1_b32 vcc_lo, exec_lo, s45
	s_cbranch_vccnz .LBB103_370
; %bb.363:
	s_cmp_gt_i32 s43, 14
	s_mov_b32 s45, -1
	s_cbranch_scc0 .LBB103_367
; %bb.364:
	s_cmp_eq_u32 s43, 15
	s_mov_b32 s0, -1
	s_cbranch_scc0 .LBB103_366
; %bb.365:
	s_wait_xcnt 0x0
	s_delay_alu instid0(VALU_DEP_1) | instskip(SKIP_2) | instid1(VALU_DEP_1)
	v_cvt_f32_f64_e32 v2, v[0:1]
	s_mov_b32 s44, -1
	s_mov_b32 s0, 0
	v_bfe_u32 v3, v2, 16, 1
	v_cmp_o_f32_e32 vcc_lo, v2, v2
	s_delay_alu instid0(VALU_DEP_2) | instskip(NEXT) | instid1(VALU_DEP_1)
	v_add3_u32 v3, v2, v3, 0x7fff
	v_lshrrev_b32_e32 v3, 16, v3
	s_delay_alu instid0(VALU_DEP_1)
	v_cndmask_b32_e32 v2, 0x7fc0, v3, vcc_lo
	global_store_b16 v[6:7], v2, off
.LBB103_366:
	s_mov_b32 s45, 0
.LBB103_367:
	s_delay_alu instid0(SALU_CYCLE_1)
	s_and_b32 vcc_lo, exec_lo, s45
	s_cbranch_vccz .LBB103_370
; %bb.368:
	s_cmp_eq_u32 s43, 11
	s_mov_b32 s0, -1
	s_cbranch_scc0 .LBB103_370
; %bb.369:
	s_delay_alu instid0(VALU_DEP_1)
	v_cmp_neq_f64_e32 vcc_lo, 0, v[0:1]
	s_mov_b32 s44, -1
	s_mov_b32 s0, 0
	s_wait_xcnt 0x0
	v_cndmask_b32_e64 v2, 0, 1, vcc_lo
	global_store_b8 v[6:7], v2, off
.LBB103_370:
	s_mov_b32 s43, 0
.LBB103_371:
	s_delay_alu instid0(SALU_CYCLE_1)
	s_and_b32 vcc_lo, exec_lo, s43
	s_cbranch_vccz .LBB103_410
; %bb.372:
	s_and_b32 s31, 0xffff, s31
	s_mov_b32 s43, -1
	s_cmp_lt_i32 s31, 5
	s_cbranch_scc1 .LBB103_393
; %bb.373:
	s_cmp_lt_i32 s31, 8
	s_cbranch_scc1 .LBB103_383
; %bb.374:
	s_cmp_lt_i32 s31, 9
	s_cbranch_scc1 .LBB103_380
; %bb.375:
	s_cmp_gt_i32 s31, 9
	s_cbranch_scc0 .LBB103_377
; %bb.376:
	s_wait_xcnt 0x0
	v_mov_b32_e32 v2, 0
	s_mov_b32 s43, 0
	s_delay_alu instid0(VALU_DEP_1)
	v_mov_b32_e32 v3, v2
	global_store_b128 v[6:7], v[0:3], off
.LBB103_377:
	s_and_not1_b32 vcc_lo, exec_lo, s43
	s_cbranch_vccnz .LBB103_379
; %bb.378:
	s_wait_xcnt 0x0
	s_delay_alu instid0(VALU_DEP_1)
	v_cvt_f32_f64_e32 v2, v[0:1]
	v_mov_b32_e32 v3, 0
	global_store_b64 v[6:7], v[2:3], off
.LBB103_379:
	s_mov_b32 s43, 0
.LBB103_380:
	s_delay_alu instid0(SALU_CYCLE_1)
	s_and_not1_b32 vcc_lo, exec_lo, s43
	s_cbranch_vccnz .LBB103_382
; %bb.381:
	s_wait_xcnt 0x0
	s_delay_alu instid0(VALU_DEP_1) | instskip(SKIP_2) | instid1(VALU_DEP_3)
	v_and_or_b32 v2, 0x1ff, v1, v0
	v_lshrrev_b32_e32 v3, 8, v1
	v_bfe_u32 v5, v1, 20, 11
	v_cmp_ne_u32_e32 vcc_lo, 0, v2
	s_delay_alu instid0(VALU_DEP_2) | instskip(SKIP_2) | instid1(VALU_DEP_1)
	v_sub_nc_u32_e32 v8, 0x3f1, v5
	v_add_nc_u32_e32 v5, 0xfffffc10, v5
	v_cndmask_b32_e64 v2, 0, 1, vcc_lo
	v_and_or_b32 v2, 0xffe, v3, v2
	s_delay_alu instid0(VALU_DEP_4) | instskip(NEXT) | instid1(VALU_DEP_2)
	v_med3_i32 v3, v8, 0, 13
	v_or_b32_e32 v8, 0x1000, v2
	s_delay_alu instid0(VALU_DEP_1) | instskip(NEXT) | instid1(VALU_DEP_1)
	v_lshrrev_b32_e32 v9, v3, v8
	v_lshlrev_b32_e32 v3, v3, v9
	s_delay_alu instid0(VALU_DEP_1) | instskip(SKIP_3) | instid1(VALU_DEP_2)
	v_cmp_ne_u32_e32 vcc_lo, v3, v8
	v_lshl_or_b32 v8, v5, 12, v2
	v_cndmask_b32_e64 v3, 0, 1, vcc_lo
	v_cmp_gt_i32_e32 vcc_lo, 1, v5
	v_or_b32_e32 v3, v9, v3
	s_delay_alu instid0(VALU_DEP_1) | instskip(NEXT) | instid1(VALU_DEP_1)
	v_cndmask_b32_e32 v3, v8, v3, vcc_lo
	v_dual_lshrrev_b32 v3, 2, v3 :: v_dual_bitop2_b32 v8, 7, v3 bitop3:0x40
	s_delay_alu instid0(VALU_DEP_1) | instskip(SKIP_4) | instid1(VALU_DEP_2)
	v_cmp_lt_i32_e32 vcc_lo, 5, v8
	v_cndmask_b32_e64 v9, 0, 1, vcc_lo
	v_cmp_eq_u32_e32 vcc_lo, 3, v8
	v_cndmask_b32_e64 v8, 0, 1, vcc_lo
	v_cmp_ne_u32_e32 vcc_lo, 0, v2
	v_or_b32_e32 v8, v8, v9
	v_mov_b32_e32 v9, 0x7e00
	s_delay_alu instid0(VALU_DEP_1) | instskip(SKIP_1) | instid1(VALU_DEP_2)
	v_dual_cndmask_b32 v2, 0x7c00, v9 :: v_dual_add_nc_u32 v3, v3, v8
	v_cmp_gt_i32_e32 vcc_lo, 31, v5
	v_dual_cndmask_b32 v3, 0x7c00, v3 :: v_dual_lshrrev_b32 v8, 16, v1
	v_cmp_eq_u32_e32 vcc_lo, 0x40f, v5
	s_delay_alu instid0(VALU_DEP_2) | instskip(NEXT) | instid1(VALU_DEP_3)
	v_cndmask_b32_e32 v2, v3, v2, vcc_lo
	v_and_b32_e32 v3, 0x8000, v8
	s_delay_alu instid0(VALU_DEP_1)
	v_bitop3_b32 v2, v3, 0xffff, v2 bitop3:0xc8
	global_store_b32 v[6:7], v2, off
.LBB103_382:
	s_mov_b32 s43, 0
.LBB103_383:
	s_delay_alu instid0(SALU_CYCLE_1)
	s_and_not1_b32 vcc_lo, exec_lo, s43
	s_cbranch_vccnz .LBB103_392
; %bb.384:
	s_cmp_lt_i32 s31, 6
	s_mov_b32 s43, -1
	s_cbranch_scc1 .LBB103_390
; %bb.385:
	s_cmp_gt_i32 s31, 6
	s_cbranch_scc0 .LBB103_387
; %bb.386:
	s_mov_b32 s43, 0
	global_store_b64 v[6:7], v[0:1], off
.LBB103_387:
	s_and_not1_b32 vcc_lo, exec_lo, s43
	s_cbranch_vccnz .LBB103_389
; %bb.388:
	s_wait_xcnt 0x0
	s_delay_alu instid0(VALU_DEP_1)
	v_cvt_f32_f64_e32 v2, v[0:1]
	global_store_b32 v[6:7], v2, off
.LBB103_389:
	s_mov_b32 s43, 0
.LBB103_390:
	s_delay_alu instid0(SALU_CYCLE_1)
	s_and_not1_b32 vcc_lo, exec_lo, s43
	s_cbranch_vccnz .LBB103_392
; %bb.391:
	s_wait_xcnt 0x0
	s_delay_alu instid0(VALU_DEP_1) | instskip(SKIP_2) | instid1(VALU_DEP_3)
	v_and_or_b32 v2, 0x1ff, v1, v0
	v_lshrrev_b32_e32 v3, 8, v1
	v_bfe_u32 v5, v1, 20, 11
	v_cmp_ne_u32_e32 vcc_lo, 0, v2
	s_delay_alu instid0(VALU_DEP_2) | instskip(SKIP_2) | instid1(VALU_DEP_1)
	v_sub_nc_u32_e32 v8, 0x3f1, v5
	v_add_nc_u32_e32 v5, 0xfffffc10, v5
	v_cndmask_b32_e64 v2, 0, 1, vcc_lo
	v_and_or_b32 v2, 0xffe, v3, v2
	s_delay_alu instid0(VALU_DEP_4) | instskip(NEXT) | instid1(VALU_DEP_2)
	v_med3_i32 v3, v8, 0, 13
	v_or_b32_e32 v8, 0x1000, v2
	s_delay_alu instid0(VALU_DEP_1) | instskip(NEXT) | instid1(VALU_DEP_1)
	v_lshrrev_b32_e32 v9, v3, v8
	v_lshlrev_b32_e32 v3, v3, v9
	s_delay_alu instid0(VALU_DEP_1) | instskip(SKIP_3) | instid1(VALU_DEP_2)
	v_cmp_ne_u32_e32 vcc_lo, v3, v8
	v_lshl_or_b32 v8, v5, 12, v2
	v_cndmask_b32_e64 v3, 0, 1, vcc_lo
	v_cmp_gt_i32_e32 vcc_lo, 1, v5
	v_or_b32_e32 v3, v9, v3
	s_delay_alu instid0(VALU_DEP_1) | instskip(NEXT) | instid1(VALU_DEP_1)
	v_cndmask_b32_e32 v3, v8, v3, vcc_lo
	v_dual_lshrrev_b32 v3, 2, v3 :: v_dual_bitop2_b32 v8, 7, v3 bitop3:0x40
	s_delay_alu instid0(VALU_DEP_1) | instskip(SKIP_4) | instid1(VALU_DEP_2)
	v_cmp_lt_i32_e32 vcc_lo, 5, v8
	v_cndmask_b32_e64 v9, 0, 1, vcc_lo
	v_cmp_eq_u32_e32 vcc_lo, 3, v8
	v_cndmask_b32_e64 v8, 0, 1, vcc_lo
	v_cmp_ne_u32_e32 vcc_lo, 0, v2
	v_or_b32_e32 v8, v8, v9
	v_mov_b32_e32 v9, 0x7e00
	s_delay_alu instid0(VALU_DEP_1) | instskip(SKIP_1) | instid1(VALU_DEP_2)
	v_dual_cndmask_b32 v2, 0x7c00, v9 :: v_dual_add_nc_u32 v3, v3, v8
	v_cmp_gt_i32_e32 vcc_lo, 31, v5
	v_cndmask_b32_e32 v3, 0x7c00, v3, vcc_lo
	v_cmp_eq_u32_e32 vcc_lo, 0x40f, v5
	s_delay_alu instid0(VALU_DEP_2) | instskip(NEXT) | instid1(VALU_DEP_1)
	v_dual_cndmask_b32 v2, v3, v2 :: v_dual_lshrrev_b32 v3, 16, v1
	v_and_or_b32 v2, 0x8000, v3, v2
	global_store_b16 v[6:7], v2, off
.LBB103_392:
	s_mov_b32 s43, 0
.LBB103_393:
	s_delay_alu instid0(SALU_CYCLE_1)
	s_and_not1_b32 vcc_lo, exec_lo, s43
	s_cbranch_vccnz .LBB103_409
; %bb.394:
	s_cmp_lt_i32 s31, 2
	s_mov_b32 s43, -1
	s_cbranch_scc1 .LBB103_404
; %bb.395:
	s_cmp_lt_i32 s31, 3
	s_cbranch_scc1 .LBB103_401
; %bb.396:
	s_cmp_gt_i32 s31, 3
	s_cbranch_scc0 .LBB103_398
; %bb.397:
	s_wait_xcnt 0x0
	s_delay_alu instid0(VALU_DEP_1) | instskip(SKIP_1) | instid1(VALU_DEP_1)
	v_trunc_f64_e32 v[2:3], v[0:1]
	s_mov_b32 s43, 0
	v_ldexp_f64 v[8:9], v[2:3], 0xffffffe0
	s_delay_alu instid0(VALU_DEP_1) | instskip(NEXT) | instid1(VALU_DEP_1)
	v_floor_f64_e32 v[8:9], v[8:9]
	v_fmamk_f64 v[2:3], v[8:9], 0xc1f00000, v[2:3]
	v_cvt_i32_f64_e32 v9, v[8:9]
	s_delay_alu instid0(VALU_DEP_2)
	v_cvt_u32_f64_e32 v8, v[2:3]
	global_store_b64 v[6:7], v[8:9], off
.LBB103_398:
	s_and_not1_b32 vcc_lo, exec_lo, s43
	s_cbranch_vccnz .LBB103_400
; %bb.399:
	s_wait_xcnt 0x0
	s_delay_alu instid0(VALU_DEP_1)
	v_cvt_i32_f64_e32 v2, v[0:1]
	global_store_b32 v[6:7], v2, off
.LBB103_400:
	s_mov_b32 s43, 0
.LBB103_401:
	s_delay_alu instid0(SALU_CYCLE_1)
	s_and_not1_b32 vcc_lo, exec_lo, s43
	s_cbranch_vccnz .LBB103_403
; %bb.402:
	s_wait_xcnt 0x0
	s_delay_alu instid0(VALU_DEP_1)
	v_cvt_i32_f64_e32 v2, v[0:1]
	global_store_b16 v[6:7], v2, off
.LBB103_403:
	s_mov_b32 s43, 0
.LBB103_404:
	s_delay_alu instid0(SALU_CYCLE_1)
	s_and_not1_b32 vcc_lo, exec_lo, s43
	s_cbranch_vccnz .LBB103_409
; %bb.405:
	s_cmp_gt_i32 s31, 0
	s_mov_b32 s31, -1
	s_cbranch_scc0 .LBB103_407
; %bb.406:
	s_wait_xcnt 0x0
	s_delay_alu instid0(VALU_DEP_1)
	v_cvt_i32_f64_e32 v2, v[0:1]
	s_mov_b32 s31, 0
	global_store_b8 v[6:7], v2, off
.LBB103_407:
	s_and_not1_b32 vcc_lo, exec_lo, s31
	s_cbranch_vccnz .LBB103_409
; %bb.408:
	s_wait_xcnt 0x0
	s_delay_alu instid0(VALU_DEP_1) | instskip(NEXT) | instid1(VALU_DEP_1)
	v_trunc_f64_e32 v[0:1], v[0:1]
	v_ldexp_f64 v[2:3], v[0:1], 0xffffffe0
	s_delay_alu instid0(VALU_DEP_1) | instskip(NEXT) | instid1(VALU_DEP_1)
	v_floor_f64_e32 v[2:3], v[2:3]
	v_fmamk_f64 v[0:1], v[2:3], 0xc1f00000, v[0:1]
	s_delay_alu instid0(VALU_DEP_1)
	v_cvt_u32_f64_e32 v0, v[0:1]
	global_store_b8 v[6:7], v0, off
.LBB103_409:
	s_mov_b32 s44, -1
.LBB103_410:
	s_delay_alu instid0(SALU_CYCLE_1)
	s_and_not1_b32 vcc_lo, exec_lo, s44
	s_cbranch_vccnz .LBB103_38
; %bb.411:
	v_add_nc_u32_e32 v4, 0x80, v4
	s_mov_b32 s31, -1
.LBB103_412:
	s_and_b32 s43, s0, exec_lo
	s_and_b32 s44, s30, exec_lo
	;; [unrolled: 1-line block ×4, first 2 shown]
	s_or_not1_b32 s28, s31, exec_lo
.LBB103_413:
	s_wait_xcnt 0x0
	s_or_b32 exec_lo, exec_lo, s47
                                        ; implicit-def: $vgpr0
                                        ; implicit-def: $vgpr8
                                        ; implicit-def: $vgpr2
	s_and_saveexec_b32 s47, s28
	s_cbranch_execz .LBB103_1291
; %bb.414:
	s_mov_b32 s28, -1
	s_mov_b32 s48, s46
	s_mov_b32 s51, s45
	;; [unrolled: 1-line block ×4, first 2 shown]
	s_mov_b32 s52, exec_lo
	v_cmpx_gt_i32_e64 s41, v4
	s_cbranch_execz .LBB103_832
; %bb.415:
	s_and_not1_b32 vcc_lo, exec_lo, s34
	s_cbranch_vccnz .LBB103_421
; %bb.416:
	s_and_not1_b32 vcc_lo, exec_lo, s42
	s_cbranch_vccnz .LBB103_422
; %bb.417:
	s_wait_loadcnt 0x0
	v_dual_mov_b32 v2, 0 :: v_dual_mov_b32 v1, v4
	v_dual_mov_b32 v0, 0 :: v_dual_mov_b32 v6, 0
	s_add_co_i32 s0, s40, 1
	s_mov_b64 s[28:29], 0xffffffffffffffe0
	s_and_b32 s0, s0, 30
	s_add_nc_u64 s[28:29], s[2:3], s[28:29]
	s_mov_b64 s[30:31], s[2:3]
.LBB103_418:                            ; =>This Inner Loop Header: Depth=1
	s_clause 0x1
	s_load_b128 s[48:51], s[30:31], 0x4
	s_load_b64 s[54:55], s[30:31], 0x14
	s_load_b32 s53, s[28:29], 0xe4
	s_add_co_i32 s0, s0, -2
	s_wait_xcnt 0x0
	s_add_nc_u64 s[30:31], s[30:31], 24
	s_cmp_eq_u32 s0, 0
	s_wait_kmcnt 0x0
	v_mul_hi_u32 v3, s49, v1
	s_delay_alu instid0(VALU_DEP_1) | instskip(NEXT) | instid1(VALU_DEP_1)
	v_add_nc_u32_e32 v3, v1, v3
	v_lshrrev_b32_e32 v3, s50, v3
	s_delay_alu instid0(VALU_DEP_1) | instskip(SKIP_2) | instid1(VALU_DEP_1)
	v_mul_hi_u32 v5, s54, v3
	v_mul_lo_u32 v7, v3, s48
	s_load_b96 s[48:50], s[28:29], 0xec
	v_dual_add_nc_u32 v5, v3, v5 :: v_dual_sub_nc_u32 v7, v1, v7
	s_delay_alu instid0(VALU_DEP_1) | instskip(SKIP_1) | instid1(VALU_DEP_2)
	v_lshrrev_b32_e32 v1, s55, v5
	s_load_b64 s[54:55], s[28:29], 0xfc
	v_mad_u32 v2, v7, s53, v2
	s_wait_xcnt 0x0
	s_add_nc_u64 s[28:29], s[28:29], 32
	v_mul_lo_u32 v5, v1, s51
	s_wait_kmcnt 0x0
	v_mad_u32 v6, v7, s49, v6
	v_mad_u32 v0, v7, s48, v0
	s_delay_alu instid0(VALU_DEP_3) | instskip(NEXT) | instid1(VALU_DEP_1)
	v_sub_nc_u32_e32 v3, v3, v5
	v_mad_u32 v2, v3, s50, v2
	s_delay_alu instid0(VALU_DEP_4) | instskip(NEXT) | instid1(VALU_DEP_4)
	v_mad_u32 v6, v3, s55, v6
	v_mad_u32 v0, v3, s54, v0
	s_cbranch_scc0 .LBB103_418
; %bb.419:
	s_bitcmp1_b32 s40, 0
	s_cselect_b32 s0, -1, 0
	s_delay_alu instid0(SALU_CYCLE_1)
	s_and_b32 vcc_lo, exec_lo, s0
	s_cbranch_vccnz .LBB103_423
; %bb.420:
	s_load_b96 s[48:50], s[30:31], 0x4
	s_load_b32 s0, s[28:29], 0xe4
	s_wait_xcnt 0x0
	s_load_b64 s[30:31], s[28:29], 0xec
	s_wait_kmcnt 0x0
	v_mul_hi_u32 v3, s49, v1
	s_delay_alu instid0(VALU_DEP_1) | instskip(NEXT) | instid1(VALU_DEP_1)
	v_add_nc_u32_e32 v3, v1, v3
	v_lshrrev_b32_e32 v3, s50, v3
	s_delay_alu instid0(VALU_DEP_1) | instskip(NEXT) | instid1(VALU_DEP_1)
	v_mul_lo_u32 v3, v3, s48
	v_sub_nc_u32_e32 v1, v1, v3
	s_delay_alu instid0(VALU_DEP_1)
	v_mad_u32 v2, v1, s0, v2
	v_mad_u32 v0, v1, s30, v0
	;; [unrolled: 1-line block ×3, first 2 shown]
	s_branch .LBB103_423
.LBB103_421:
                                        ; implicit-def: $vgpr6
                                        ; implicit-def: $vgpr0
                                        ; implicit-def: $vgpr2
	s_branch .LBB103_424
.LBB103_422:
	s_wait_loadcnt 0x0
	v_dual_mov_b32 v6, 0 :: v_dual_mov_b32 v0, 0
	v_mov_b32_e32 v2, 0
.LBB103_423:
	s_cbranch_execnz .LBB103_426
.LBB103_424:
	v_mov_b32_e32 v5, 0
	s_and_not1_b32 vcc_lo, exec_lo, s39
	s_wait_loadcnt 0x0
	s_delay_alu instid0(VALU_DEP_1) | instskip(NEXT) | instid1(VALU_DEP_1)
	v_mul_u64_e32 v[0:1], s[22:23], v[4:5]
	v_add_nc_u32_e32 v0, v4, v1
	s_delay_alu instid0(VALU_DEP_1) | instskip(NEXT) | instid1(VALU_DEP_1)
	v_lshrrev_b32_e32 v8, s10, v0
	v_mul_lo_u32 v0, v8, s8
	s_delay_alu instid0(VALU_DEP_1) | instskip(NEXT) | instid1(VALU_DEP_1)
	v_sub_nc_u32_e32 v0, v4, v0
	v_mul_lo_u32 v2, v0, s38
	v_mul_lo_u32 v6, v0, s17
	;; [unrolled: 1-line block ×3, first 2 shown]
	s_cbranch_vccnz .LBB103_426
; %bb.425:
	v_mov_b32_e32 v9, v5
	s_delay_alu instid0(VALU_DEP_1) | instskip(NEXT) | instid1(VALU_DEP_1)
	v_mul_u64_e32 v[10:11], s[26:27], v[8:9]
	v_add_nc_u32_e32 v1, v8, v11
	s_delay_alu instid0(VALU_DEP_1) | instskip(NEXT) | instid1(VALU_DEP_1)
	v_lshrrev_b32_e32 v1, s1, v1
	v_mul_lo_u32 v1, v1, s11
	s_delay_alu instid0(VALU_DEP_1) | instskip(NEXT) | instid1(VALU_DEP_1)
	v_sub_nc_u32_e32 v1, v8, v1
	v_mad_u32 v2, v1, s18, v2
	v_mad_u32 v0, v1, s24, v0
	;; [unrolled: 1-line block ×3, first 2 shown]
.LBB103_426:
	s_and_b32 s28, s37, 0xff
	s_delay_alu instid0(SALU_CYCLE_1)
	s_cmp_lt_i32 s28, 23
	s_cbranch_scc1 .LBB103_430
; %bb.427:
	s_and_b32 s30, 0xffff, s28
	s_delay_alu instid0(SALU_CYCLE_1)
	s_cmp_gt_i32 s30, 43
	s_cbranch_scc0 .LBB103_431
; %bb.428:
	s_cmp_gt_i32 s30, 45
	s_cbranch_scc0 .LBB103_432
; %bb.429:
	s_cmp_eq_u32 s30, 46
	s_mov_b32 s31, 0
	s_cselect_b32 s0, -1, 0
	s_or_b32 s29, s46, exec_lo
	s_branch .LBB103_433
.LBB103_430:
	s_mov_b32 s0, 0
	s_mov_b32 s29, s46
	s_cbranch_execnz .LBB103_439
	s_branch .LBB103_443
.LBB103_431:
	s_mov_b32 s31, -1
	s_mov_b32 s0, 0
	s_mov_b32 s29, s46
	s_branch .LBB103_436
.LBB103_432:
	s_mov_b32 s31, -1
	s_mov_b32 s0, 0
	s_mov_b32 s29, s46
.LBB103_433:
	s_and_not1_b32 vcc_lo, exec_lo, s31
	s_cbranch_vccnz .LBB103_435
; %bb.434:
	s_cmp_eq_u32 s30, 44
	s_cselect_b32 s0, -1, 0
	s_cmp_lg_u32 s30, 44
	s_cselect_b32 s31, -1, 0
	s_and_not1_b32 s29, s29, exec_lo
	s_and_b32 s31, s31, exec_lo
	s_delay_alu instid0(SALU_CYCLE_1)
	s_or_b32 s29, s29, s31
.LBB103_435:
	s_mov_b32 s31, 0
.LBB103_436:
	s_delay_alu instid0(SALU_CYCLE_1)
	s_and_b32 vcc_lo, exec_lo, s31
	s_cbranch_vccz .LBB103_438
; %bb.437:
	s_cmp_lt_i32 s30, 30
	s_cselect_b32 s0, -1, 0
	s_cmp_gt_i32 s30, 29
	s_cselect_b32 s30, -1, 0
	s_and_not1_b32 s29, s29, exec_lo
	s_and_b32 s30, s30, exec_lo
	s_delay_alu instid0(SALU_CYCLE_1)
	s_or_b32 s29, s29, s30
.LBB103_438:
	s_branch .LBB103_443
.LBB103_439:
	s_and_b32 s28, 0xffff, s28
	s_mov_b32 s30, -1
	s_cmp_gt_i32 s28, 14
	s_cbranch_scc0 .LBB103_441
; %bb.440:
	s_cmp_eq_u32 s28, 15
	s_cselect_b32 s0, -1, 0
	s_cmp_lg_u32 s28, 15
	s_cselect_b32 s30, -1, 0
	s_and_not1_b32 s29, s29, exec_lo
	s_and_b32 s31, s30, exec_lo
	s_mov_b32 s30, 0
	s_or_b32 s29, s29, s31
.LBB103_441:
	s_and_not1_b32 vcc_lo, exec_lo, s30
	s_cbranch_vccnz .LBB103_443
; %bb.442:
	s_cmp_lt_i32 s28, 12
	s_cselect_b32 s0, -1, 0
	s_cmp_gt_i32 s28, 11
	s_cselect_b32 s28, -1, 0
	s_and_not1_b32 s29, s29, exec_lo
	s_and_b32 s28, s28, exec_lo
	s_delay_alu instid0(SALU_CYCLE_1)
	s_or_b32 s29, s29, s28
.LBB103_443:
	s_and_b32 vcc_lo, exec_lo, s0
	s_cbranch_vccz .LBB103_451
; %bb.444:
	s_wait_loadcnt 0x0
	v_mov_b32_e32 v1, 0
	s_and_b32 s0, s36, 0xff
	s_delay_alu instid0(SALU_CYCLE_1) | instskip(NEXT) | instid1(VALU_DEP_1)
	s_cmp_lt_i32 s0, 11
	v_add_nc_u64_e32 v[8:9], s[4:5], v[0:1]
	s_cbranch_scc1 .LBB103_453
; %bb.445:
	s_and_b32 s29, 0xffff, s0
	s_delay_alu instid0(SALU_CYCLE_1)
	s_cmp_gt_i32 s29, 25
	s_cbranch_scc0 .LBB103_454
; %bb.446:
	s_cmp_gt_i32 s29, 28
	s_cbranch_scc0 .LBB103_455
; %bb.447:
	;; [unrolled: 3-line block ×4, first 2 shown]
	s_cmp_eq_u32 s29, 46
	s_mov_b32 s31, 0
	s_cbranch_scc0 .LBB103_460
; %bb.450:
	global_load_b32 v0, v[8:9], off
	s_mov_b32 s30, -1
	s_mov_b32 s28, 0
	s_wait_loadcnt 0x0
	v_lshlrev_b32_e32 v0, 16, v0
	s_delay_alu instid0(VALU_DEP_1)
	v_cvt_f64_f32_e32 v[0:1], v0
	s_branch .LBB103_462
.LBB103_451:
	s_mov_b32 s31, 0
	s_mov_b32 s0, s43
	;; [unrolled: 1-line block ×4, first 2 shown]
.LBB103_452:
                                        ; implicit-def: $vgpr4
	s_branch .LBB103_831
.LBB103_453:
	s_mov_b32 s29, -1
	s_mov_b32 s30, 0
	s_mov_b32 s28, s45
                                        ; implicit-def: $vgpr0_vgpr1
	s_branch .LBB103_527
.LBB103_454:
	s_mov_b32 s31, -1
	s_mov_b32 s30, 0
	s_mov_b32 s28, s45
                                        ; implicit-def: $vgpr0_vgpr1
	s_branch .LBB103_491
.LBB103_455:
	s_mov_b32 s31, -1
	s_mov_b32 s30, 0
	s_mov_b32 s28, s45
                                        ; implicit-def: $vgpr0_vgpr1
	s_branch .LBB103_472
.LBB103_456:
	s_mov_b32 s31, -1
	s_mov_b32 s30, 0
	s_mov_b32 s28, s45
                                        ; implicit-def: $vgpr0_vgpr1
	s_branch .LBB103_467
.LBB103_457:
	s_mov_b32 s31, -1
	s_mov_b32 s30, 0
	s_mov_b32 s28, s45
	s_branch .LBB103_461
.LBB103_458:
	s_and_not1_saveexec_b32 s46, s46
	s_cbranch_execz .LBB103_323
.LBB103_459:
	v_add_f32_e64 v3, 0x46000000, |v2|
	s_and_not1_b32 s45, s45, exec_lo
	s_delay_alu instid0(VALU_DEP_1) | instskip(NEXT) | instid1(VALU_DEP_1)
	v_and_b32_e32 v3, 0xff, v3
	v_cmp_ne_u32_e32 vcc_lo, 0, v3
	s_and_b32 s48, vcc_lo, exec_lo
	s_delay_alu instid0(SALU_CYCLE_1)
	s_or_b32 s45, s45, s48
	s_or_b32 exec_lo, exec_lo, s46
	v_mov_b32_e32 v5, 0
	s_and_saveexec_b32 s46, s45
	s_cbranch_execnz .LBB103_324
	s_branch .LBB103_325
.LBB103_460:
	s_mov_b32 s28, -1
	s_mov_b32 s30, 0
.LBB103_461:
                                        ; implicit-def: $vgpr0_vgpr1
.LBB103_462:
	s_and_b32 vcc_lo, exec_lo, s31
	s_cbranch_vccz .LBB103_466
; %bb.463:
	s_cmp_eq_u32 s29, 44
	s_cbranch_scc0 .LBB103_465
; %bb.464:
	global_load_u8 v3, v[8:9], off
	s_mov_b32 s28, 0
	s_mov_b32 s30, -1
	s_wait_loadcnt 0x0
	v_cmp_ne_u32_e32 vcc_lo, 0xff, v3
	v_lshlrev_b32_e32 v0, 23, v3
	s_delay_alu instid0(VALU_DEP_1) | instskip(NEXT) | instid1(VALU_DEP_1)
	v_cvt_f64_f32_e32 v[0:1], v0
	v_cndmask_b32_e32 v0, 0x20000000, v0, vcc_lo
	s_delay_alu instid0(VALU_DEP_2) | instskip(SKIP_1) | instid1(VALU_DEP_2)
	v_cndmask_b32_e32 v1, 0x7ff80000, v1, vcc_lo
	v_cmp_ne_u32_e32 vcc_lo, 0, v3
	v_cndmask_b32_e32 v1, 0x38000000, v1, vcc_lo
	s_delay_alu instid0(VALU_DEP_4)
	v_cndmask_b32_e32 v0, 0, v0, vcc_lo
	s_branch .LBB103_466
.LBB103_465:
	s_mov_b32 s28, -1
                                        ; implicit-def: $vgpr0_vgpr1
.LBB103_466:
	s_mov_b32 s31, 0
.LBB103_467:
	s_delay_alu instid0(SALU_CYCLE_1)
	s_and_b32 vcc_lo, exec_lo, s31
	s_cbranch_vccz .LBB103_471
; %bb.468:
	s_cmp_eq_u32 s29, 29
	s_cbranch_scc0 .LBB103_470
; %bb.469:
	global_load_b64 v[0:1], v[8:9], off
	s_mov_b32 s30, -1
	s_mov_b32 s28, 0
	s_mov_b32 s31, 0
	s_wait_loadcnt 0x0
	v_cvt_f64_u32_e32 v[10:11], v1
	v_cvt_f64_u32_e32 v[0:1], v0
	s_delay_alu instid0(VALU_DEP_2) | instskip(NEXT) | instid1(VALU_DEP_1)
	v_ldexp_f64 v[10:11], v[10:11], 32
	v_add_f64_e32 v[0:1], v[10:11], v[0:1]
	s_branch .LBB103_472
.LBB103_470:
	s_mov_b32 s28, -1
                                        ; implicit-def: $vgpr0_vgpr1
.LBB103_471:
	s_mov_b32 s31, 0
.LBB103_472:
	s_delay_alu instid0(SALU_CYCLE_1)
	s_and_b32 vcc_lo, exec_lo, s31
	s_cbranch_vccz .LBB103_490
; %bb.473:
	s_cmp_lt_i32 s29, 27
	s_cbranch_scc1 .LBB103_476
; %bb.474:
	s_cmp_gt_i32 s29, 27
	s_cbranch_scc0 .LBB103_477
; %bb.475:
	global_load_b32 v0, v[8:9], off
	s_mov_b32 s30, 0
	s_wait_loadcnt 0x0
	v_cvt_f64_u32_e32 v[0:1], v0
	s_branch .LBB103_478
.LBB103_476:
	s_mov_b32 s30, -1
                                        ; implicit-def: $vgpr0_vgpr1
	s_branch .LBB103_481
.LBB103_477:
	s_mov_b32 s30, -1
                                        ; implicit-def: $vgpr0_vgpr1
.LBB103_478:
	s_delay_alu instid0(SALU_CYCLE_1)
	s_and_not1_b32 vcc_lo, exec_lo, s30
	s_cbranch_vccnz .LBB103_480
; %bb.479:
	global_load_u16 v0, v[8:9], off
	s_wait_loadcnt 0x0
	v_cvt_f64_u32_e32 v[0:1], v0
.LBB103_480:
	s_mov_b32 s30, 0
.LBB103_481:
	s_delay_alu instid0(SALU_CYCLE_1)
	s_and_not1_b32 vcc_lo, exec_lo, s30
	s_cbranch_vccnz .LBB103_489
; %bb.482:
	global_load_u8 v3, v[8:9], off
	s_mov_b32 s30, 0
	s_mov_b32 s31, exec_lo
	s_wait_loadcnt 0x0
	v_cmpx_lt_i16_e32 0x7f, v3
	s_xor_b32 s31, exec_lo, s31
	s_cbranch_execz .LBB103_503
; %bb.483:
	s_mov_b32 s30, -1
	s_mov_b32 s48, exec_lo
	v_cmpx_eq_u16_e32 0x80, v3
; %bb.484:
	s_xor_b32 s30, exec_lo, -1
; %bb.485:
	s_or_b32 exec_lo, exec_lo, s48
	s_delay_alu instid0(SALU_CYCLE_1)
	s_and_b32 s30, s30, exec_lo
	s_or_saveexec_b32 s31, s31
	v_mov_b64_e32 v[0:1], 0x7ff8000020000000
	s_xor_b32 exec_lo, exec_lo, s31
	s_cbranch_execnz .LBB103_504
.LBB103_486:
	s_or_b32 exec_lo, exec_lo, s31
	s_and_saveexec_b32 s31, s30
	s_cbranch_execz .LBB103_488
.LBB103_487:
	v_and_b32_e32 v0, 0xffff, v3
	s_delay_alu instid0(VALU_DEP_1) | instskip(SKIP_1) | instid1(VALU_DEP_2)
	v_and_b32_e32 v1, 7, v0
	v_bfe_u32 v10, v0, 3, 4
	v_clz_i32_u32_e32 v5, v1
	s_delay_alu instid0(VALU_DEP_2) | instskip(NEXT) | instid1(VALU_DEP_2)
	v_cmp_eq_u32_e32 vcc_lo, 0, v10
	v_min_u32_e32 v5, 32, v5
	s_delay_alu instid0(VALU_DEP_1) | instskip(NEXT) | instid1(VALU_DEP_1)
	v_subrev_nc_u32_e32 v7, 28, v5
	v_dual_lshlrev_b32 v0, v7, v0 :: v_dual_sub_nc_u32 v5, 29, v5
	s_delay_alu instid0(VALU_DEP_1) | instskip(NEXT) | instid1(VALU_DEP_1)
	v_dual_lshlrev_b32 v3, 24, v3 :: v_dual_bitop2_b32 v0, 7, v0 bitop3:0x40
	v_dual_cndmask_b32 v5, v10, v5 :: v_dual_cndmask_b32 v0, v1, v0
	s_delay_alu instid0(VALU_DEP_2) | instskip(NEXT) | instid1(VALU_DEP_2)
	v_and_b32_e32 v1, 0x80000000, v3
	v_lshl_add_u32 v3, v5, 23, 0x3b800000
	s_delay_alu instid0(VALU_DEP_3) | instskip(NEXT) | instid1(VALU_DEP_1)
	v_lshlrev_b32_e32 v0, 20, v0
	v_or3_b32 v0, v1, v3, v0
	s_delay_alu instid0(VALU_DEP_1)
	v_cvt_f64_f32_e32 v[0:1], v0
.LBB103_488:
	s_or_b32 exec_lo, exec_lo, s31
.LBB103_489:
	s_mov_b32 s30, -1
.LBB103_490:
	s_mov_b32 s31, 0
.LBB103_491:
	s_delay_alu instid0(SALU_CYCLE_1)
	s_and_b32 vcc_lo, exec_lo, s31
	s_cbranch_vccz .LBB103_526
; %bb.492:
	s_cmp_gt_i32 s29, 22
	s_cbranch_scc0 .LBB103_502
; %bb.493:
	s_cmp_lt_i32 s29, 24
	s_cbranch_scc1 .LBB103_505
; %bb.494:
	s_cmp_gt_i32 s29, 24
	s_cbranch_scc0 .LBB103_506
; %bb.495:
	global_load_u8 v3, v[8:9], off
	s_mov_b32 s30, 0
	s_mov_b32 s31, exec_lo
	s_wait_loadcnt 0x0
	v_cmpx_lt_i16_e32 0x7f, v3
	s_xor_b32 s31, exec_lo, s31
	s_cbranch_execz .LBB103_518
; %bb.496:
	s_mov_b32 s30, -1
	s_mov_b32 s48, exec_lo
	v_cmpx_eq_u16_e32 0x80, v3
; %bb.497:
	s_xor_b32 s30, exec_lo, -1
; %bb.498:
	s_or_b32 exec_lo, exec_lo, s48
	s_delay_alu instid0(SALU_CYCLE_1)
	s_and_b32 s30, s30, exec_lo
	s_or_saveexec_b32 s31, s31
	v_mov_b64_e32 v[0:1], 0x7ff8000020000000
	s_xor_b32 exec_lo, exec_lo, s31
	s_cbranch_execnz .LBB103_519
.LBB103_499:
	s_or_b32 exec_lo, exec_lo, s31
	s_and_saveexec_b32 s31, s30
	s_cbranch_execz .LBB103_501
.LBB103_500:
	v_and_b32_e32 v0, 0xffff, v3
	s_delay_alu instid0(VALU_DEP_1) | instskip(SKIP_1) | instid1(VALU_DEP_2)
	v_and_b32_e32 v1, 3, v0
	v_bfe_u32 v10, v0, 2, 5
	v_clz_i32_u32_e32 v5, v1
	s_delay_alu instid0(VALU_DEP_2) | instskip(NEXT) | instid1(VALU_DEP_2)
	v_cmp_eq_u32_e32 vcc_lo, 0, v10
	v_min_u32_e32 v5, 32, v5
	s_delay_alu instid0(VALU_DEP_1) | instskip(NEXT) | instid1(VALU_DEP_1)
	v_subrev_nc_u32_e32 v7, 29, v5
	v_dual_lshlrev_b32 v0, v7, v0 :: v_dual_sub_nc_u32 v5, 30, v5
	s_delay_alu instid0(VALU_DEP_1) | instskip(NEXT) | instid1(VALU_DEP_1)
	v_dual_lshlrev_b32 v3, 24, v3 :: v_dual_bitop2_b32 v0, 3, v0 bitop3:0x40
	v_dual_cndmask_b32 v5, v10, v5 :: v_dual_cndmask_b32 v0, v1, v0
	s_delay_alu instid0(VALU_DEP_2) | instskip(NEXT) | instid1(VALU_DEP_2)
	v_and_b32_e32 v1, 0x80000000, v3
	v_lshl_add_u32 v3, v5, 23, 0x37800000
	s_delay_alu instid0(VALU_DEP_3) | instskip(NEXT) | instid1(VALU_DEP_1)
	v_lshlrev_b32_e32 v0, 21, v0
	v_or3_b32 v0, v1, v3, v0
	s_delay_alu instid0(VALU_DEP_1)
	v_cvt_f64_f32_e32 v[0:1], v0
.LBB103_501:
	s_or_b32 exec_lo, exec_lo, s31
	s_mov_b32 s30, 0
	s_branch .LBB103_507
.LBB103_502:
	s_mov_b32 s31, -1
                                        ; implicit-def: $vgpr0_vgpr1
	s_branch .LBB103_513
.LBB103_503:
	s_or_saveexec_b32 s31, s31
	v_mov_b64_e32 v[0:1], 0x7ff8000020000000
	s_xor_b32 exec_lo, exec_lo, s31
	s_cbranch_execz .LBB103_486
.LBB103_504:
	v_cmp_ne_u16_e32 vcc_lo, 0, v3
	v_mov_b64_e32 v[0:1], 0
	s_and_not1_b32 s30, s30, exec_lo
	s_and_b32 s48, vcc_lo, exec_lo
	s_delay_alu instid0(SALU_CYCLE_1)
	s_or_b32 s30, s30, s48
	s_or_b32 exec_lo, exec_lo, s31
	s_and_saveexec_b32 s31, s30
	s_cbranch_execnz .LBB103_487
	s_branch .LBB103_488
.LBB103_505:
	s_mov_b32 s30, -1
                                        ; implicit-def: $vgpr0_vgpr1
	s_branch .LBB103_510
.LBB103_506:
	s_mov_b32 s30, -1
                                        ; implicit-def: $vgpr0_vgpr1
.LBB103_507:
	s_delay_alu instid0(SALU_CYCLE_1)
	s_and_b32 vcc_lo, exec_lo, s30
	s_cbranch_vccz .LBB103_509
; %bb.508:
	global_load_u8 v0, v[8:9], off
	s_wait_loadcnt 0x0
	v_lshlrev_b32_e32 v0, 24, v0
	s_delay_alu instid0(VALU_DEP_1) | instskip(NEXT) | instid1(VALU_DEP_1)
	v_and_b32_e32 v1, 0x7f000000, v0
	v_clz_i32_u32_e32 v3, v1
	v_add_nc_u32_e32 v7, 0x1000000, v1
	v_cmp_ne_u32_e32 vcc_lo, 0, v1
	s_delay_alu instid0(VALU_DEP_3) | instskip(NEXT) | instid1(VALU_DEP_1)
	v_min_u32_e32 v3, 32, v3
	v_sub_nc_u32_e64 v3, v3, 4 clamp
	s_delay_alu instid0(VALU_DEP_1) | instskip(NEXT) | instid1(VALU_DEP_1)
	v_dual_lshlrev_b32 v5, v3, v1 :: v_dual_lshlrev_b32 v3, 23, v3
	v_lshrrev_b32_e32 v5, 4, v5
	s_delay_alu instid0(VALU_DEP_1) | instskip(SKIP_1) | instid1(VALU_DEP_2)
	v_sub_nc_u32_e32 v3, v5, v3
	v_ashrrev_i32_e32 v5, 8, v7
	v_add_nc_u32_e32 v3, 0x3c000000, v3
	s_delay_alu instid0(VALU_DEP_1) | instskip(NEXT) | instid1(VALU_DEP_1)
	v_and_or_b32 v3, 0x7f800000, v5, v3
	v_cndmask_b32_e32 v1, 0, v3, vcc_lo
	s_delay_alu instid0(VALU_DEP_1) | instskip(NEXT) | instid1(VALU_DEP_1)
	v_and_or_b32 v0, 0x80000000, v0, v1
	v_cvt_f64_f32_e32 v[0:1], v0
.LBB103_509:
	s_mov_b32 s30, 0
.LBB103_510:
	s_delay_alu instid0(SALU_CYCLE_1)
	s_and_not1_b32 vcc_lo, exec_lo, s30
	s_cbranch_vccnz .LBB103_512
; %bb.511:
	global_load_u8 v0, v[8:9], off
	s_wait_loadcnt 0x0
	v_lshlrev_b32_e32 v1, 25, v0
	v_lshlrev_b16 v0, 8, v0
	s_delay_alu instid0(VALU_DEP_1) | instskip(SKIP_1) | instid1(VALU_DEP_2)
	v_and_or_b32 v5, 0x7f00, v0, 0.5
	v_bfe_i32 v0, v0, 0, 16
	v_add_f32_e32 v5, -0.5, v5
	v_lshrrev_b32_e32 v3, 4, v1
	v_cmp_gt_u32_e32 vcc_lo, 0x8000000, v1
	s_delay_alu instid0(VALU_DEP_2) | instskip(NEXT) | instid1(VALU_DEP_1)
	v_or_b32_e32 v3, 0x70000000, v3
	v_mul_f32_e32 v3, 0x7800000, v3
	s_delay_alu instid0(VALU_DEP_1) | instskip(NEXT) | instid1(VALU_DEP_1)
	v_cndmask_b32_e32 v1, v3, v5, vcc_lo
	v_and_or_b32 v0, 0x80000000, v0, v1
	s_delay_alu instid0(VALU_DEP_1)
	v_cvt_f64_f32_e32 v[0:1], v0
.LBB103_512:
	s_mov_b32 s31, 0
	s_mov_b32 s30, -1
.LBB103_513:
	s_and_not1_b32 vcc_lo, exec_lo, s31
	s_cbranch_vccnz .LBB103_526
; %bb.514:
	s_cmp_gt_i32 s29, 14
	s_cbranch_scc0 .LBB103_517
; %bb.515:
	s_cmp_eq_u32 s29, 15
	s_cbranch_scc0 .LBB103_520
; %bb.516:
	global_load_u16 v0, v[8:9], off
	s_mov_b32 s30, -1
	s_mov_b32 s28, 0
	s_wait_loadcnt 0x0
	v_lshlrev_b32_e32 v0, 16, v0
	s_delay_alu instid0(VALU_DEP_1)
	v_cvt_f64_f32_e32 v[0:1], v0
	s_branch .LBB103_521
.LBB103_517:
	s_mov_b32 s31, -1
                                        ; implicit-def: $vgpr0_vgpr1
	s_branch .LBB103_522
.LBB103_518:
	s_or_saveexec_b32 s31, s31
	v_mov_b64_e32 v[0:1], 0x7ff8000020000000
	s_xor_b32 exec_lo, exec_lo, s31
	s_cbranch_execz .LBB103_499
.LBB103_519:
	v_cmp_ne_u16_e32 vcc_lo, 0, v3
	v_mov_b64_e32 v[0:1], 0
	s_and_not1_b32 s30, s30, exec_lo
	s_and_b32 s48, vcc_lo, exec_lo
	s_delay_alu instid0(SALU_CYCLE_1)
	s_or_b32 s30, s30, s48
	s_or_b32 exec_lo, exec_lo, s31
	s_and_saveexec_b32 s31, s30
	s_cbranch_execnz .LBB103_500
	s_branch .LBB103_501
.LBB103_520:
	s_mov_b32 s28, -1
                                        ; implicit-def: $vgpr0_vgpr1
.LBB103_521:
	s_mov_b32 s31, 0
.LBB103_522:
	s_delay_alu instid0(SALU_CYCLE_1)
	s_and_b32 vcc_lo, exec_lo, s31
	s_cbranch_vccz .LBB103_526
; %bb.523:
	s_cmp_eq_u32 s29, 11
	s_cbranch_scc0 .LBB103_525
; %bb.524:
	global_load_u8 v0, v[8:9], off
	s_mov_b32 s28, 0
	s_mov_b32 s30, -1
	s_wait_loadcnt 0x0
	v_cmp_ne_u16_e32 vcc_lo, 0, v0
	v_mov_b32_e32 v0, 0
	v_cndmask_b32_e64 v1, 0, 0x3ff00000, vcc_lo
	s_branch .LBB103_526
.LBB103_525:
	s_mov_b32 s28, -1
                                        ; implicit-def: $vgpr0_vgpr1
.LBB103_526:
	s_mov_b32 s29, 0
.LBB103_527:
	s_delay_alu instid0(SALU_CYCLE_1)
	s_and_b32 vcc_lo, exec_lo, s29
	s_cbranch_vccz .LBB103_576
; %bb.528:
	s_and_b32 s0, 0xffff, s0
	s_delay_alu instid0(SALU_CYCLE_1)
	s_cmp_lt_i32 s0, 5
	s_cbranch_scc1 .LBB103_533
; %bb.529:
	s_cmp_lt_i32 s0, 8
	s_cbranch_scc1 .LBB103_534
; %bb.530:
	;; [unrolled: 3-line block ×3, first 2 shown]
	s_cmp_gt_i32 s0, 9
	s_cbranch_scc0 .LBB103_536
; %bb.532:
	global_load_b64 v[0:1], v[8:9], off
	s_mov_b32 s29, 0
	s_branch .LBB103_537
.LBB103_533:
	s_mov_b32 s29, -1
                                        ; implicit-def: $vgpr0_vgpr1
	s_branch .LBB103_555
.LBB103_534:
	s_mov_b32 s29, -1
                                        ; implicit-def: $vgpr0_vgpr1
	s_branch .LBB103_543
.LBB103_535:
	s_mov_b32 s29, -1
                                        ; implicit-def: $vgpr0_vgpr1
	s_branch .LBB103_540
.LBB103_536:
	s_mov_b32 s29, -1
                                        ; implicit-def: $vgpr0_vgpr1
.LBB103_537:
	s_delay_alu instid0(SALU_CYCLE_1)
	s_and_not1_b32 vcc_lo, exec_lo, s29
	s_cbranch_vccnz .LBB103_539
; %bb.538:
	s_wait_loadcnt 0x0
	global_load_b32 v0, v[8:9], off
	s_wait_loadcnt 0x0
	v_cvt_f64_f32_e32 v[0:1], v0
.LBB103_539:
	s_mov_b32 s29, 0
.LBB103_540:
	s_delay_alu instid0(SALU_CYCLE_1)
	s_and_not1_b32 vcc_lo, exec_lo, s29
	s_cbranch_vccnz .LBB103_542
; %bb.541:
	s_wait_loadcnt 0x0
	global_load_b32 v0, v[8:9], off
	s_wait_loadcnt 0x0
	v_cvt_f32_f16_e32 v0, v0
	s_delay_alu instid0(VALU_DEP_1)
	v_cvt_f64_f32_e32 v[0:1], v0
.LBB103_542:
	s_mov_b32 s29, 0
.LBB103_543:
	s_delay_alu instid0(SALU_CYCLE_1)
	s_and_not1_b32 vcc_lo, exec_lo, s29
	s_cbranch_vccnz .LBB103_554
; %bb.544:
	s_cmp_lt_i32 s0, 6
	s_cbranch_scc1 .LBB103_547
; %bb.545:
	s_cmp_gt_i32 s0, 6
	s_cbranch_scc0 .LBB103_548
; %bb.546:
	s_wait_loadcnt 0x0
	global_load_b64 v[0:1], v[8:9], off
	s_mov_b32 s29, 0
	s_branch .LBB103_549
.LBB103_547:
	s_mov_b32 s29, -1
                                        ; implicit-def: $vgpr0_vgpr1
	s_branch .LBB103_552
.LBB103_548:
	s_mov_b32 s29, -1
                                        ; implicit-def: $vgpr0_vgpr1
.LBB103_549:
	s_delay_alu instid0(SALU_CYCLE_1)
	s_and_not1_b32 vcc_lo, exec_lo, s29
	s_cbranch_vccnz .LBB103_551
; %bb.550:
	s_wait_loadcnt 0x0
	global_load_b32 v0, v[8:9], off
	s_wait_loadcnt 0x0
	v_cvt_f64_f32_e32 v[0:1], v0
.LBB103_551:
	s_mov_b32 s29, 0
.LBB103_552:
	s_delay_alu instid0(SALU_CYCLE_1)
	s_and_not1_b32 vcc_lo, exec_lo, s29
	s_cbranch_vccnz .LBB103_554
; %bb.553:
	s_wait_loadcnt 0x0
	global_load_u16 v0, v[8:9], off
	s_wait_loadcnt 0x0
	v_cvt_f32_f16_e32 v0, v0
	s_delay_alu instid0(VALU_DEP_1)
	v_cvt_f64_f32_e32 v[0:1], v0
.LBB103_554:
	s_mov_b32 s29, 0
.LBB103_555:
	s_delay_alu instid0(SALU_CYCLE_1)
	s_and_not1_b32 vcc_lo, exec_lo, s29
	s_cbranch_vccnz .LBB103_575
; %bb.556:
	s_cmp_lt_i32 s0, 2
	s_cbranch_scc1 .LBB103_560
; %bb.557:
	s_cmp_lt_i32 s0, 3
	s_cbranch_scc1 .LBB103_561
; %bb.558:
	s_cmp_gt_i32 s0, 3
	s_cbranch_scc0 .LBB103_562
; %bb.559:
	s_wait_loadcnt 0x0
	global_load_b64 v[0:1], v[8:9], off
	s_mov_b32 s29, 0
	s_wait_loadcnt 0x0
	v_cvt_f64_i32_e32 v[10:11], v1
	v_cvt_f64_u32_e32 v[0:1], v0
	s_delay_alu instid0(VALU_DEP_2) | instskip(NEXT) | instid1(VALU_DEP_1)
	v_ldexp_f64 v[10:11], v[10:11], 32
	v_add_f64_e32 v[0:1], v[10:11], v[0:1]
	s_branch .LBB103_563
.LBB103_560:
	s_mov_b32 s29, -1
                                        ; implicit-def: $vgpr0_vgpr1
	s_branch .LBB103_569
.LBB103_561:
	s_mov_b32 s29, -1
                                        ; implicit-def: $vgpr0_vgpr1
	s_branch .LBB103_566
.LBB103_562:
	s_mov_b32 s29, -1
                                        ; implicit-def: $vgpr0_vgpr1
.LBB103_563:
	s_delay_alu instid0(SALU_CYCLE_1)
	s_and_not1_b32 vcc_lo, exec_lo, s29
	s_cbranch_vccnz .LBB103_565
; %bb.564:
	s_wait_loadcnt 0x0
	global_load_b32 v0, v[8:9], off
	s_wait_loadcnt 0x0
	v_cvt_f64_i32_e32 v[0:1], v0
.LBB103_565:
	s_mov_b32 s29, 0
.LBB103_566:
	s_delay_alu instid0(SALU_CYCLE_1)
	s_and_not1_b32 vcc_lo, exec_lo, s29
	s_cbranch_vccnz .LBB103_568
; %bb.567:
	s_wait_loadcnt 0x0
	global_load_i16 v0, v[8:9], off
	s_wait_loadcnt 0x0
	v_cvt_f64_i32_e32 v[0:1], v0
.LBB103_568:
	s_mov_b32 s29, 0
.LBB103_569:
	s_delay_alu instid0(SALU_CYCLE_1)
	s_and_not1_b32 vcc_lo, exec_lo, s29
	s_cbranch_vccnz .LBB103_575
; %bb.570:
	s_cmp_gt_i32 s0, 0
	s_mov_b32 s0, 0
	s_cbranch_scc0 .LBB103_572
; %bb.571:
	s_wait_loadcnt 0x0
	global_load_i8 v0, v[8:9], off
	s_wait_loadcnt 0x0
	v_cvt_f64_i32_e32 v[0:1], v0
	s_branch .LBB103_573
.LBB103_572:
	s_mov_b32 s0, -1
                                        ; implicit-def: $vgpr0_vgpr1
.LBB103_573:
	s_delay_alu instid0(SALU_CYCLE_1)
	s_and_not1_b32 vcc_lo, exec_lo, s0
	s_cbranch_vccnz .LBB103_575
; %bb.574:
	s_wait_loadcnt 0x0
	global_load_u8 v0, v[8:9], off
	s_wait_loadcnt 0x0
	v_cvt_f64_u32_e32 v[0:1], v0
.LBB103_575:
	s_mov_b32 s30, -1
.LBB103_576:
	s_mov_b32 s29, 0
	s_mov_b32 s0, s43
	s_and_not1_b32 vcc_lo, exec_lo, s30
	s_mov_b32 s30, s44
	s_mov_b32 s31, 0
	s_cbranch_vccnz .LBB103_831
; %bb.577:
	v_mov_b32_e32 v7, 0
	s_and_b32 s0, 0xffff, s9
	s_delay_alu instid0(SALU_CYCLE_1) | instskip(NEXT) | instid1(VALU_DEP_1)
	s_cmp_lt_i32 s0, 11
	v_add_nc_u64_e32 v[6:7], s[6:7], v[6:7]
	s_cbranch_scc1 .LBB103_584
; %bb.578:
	s_cmp_gt_i32 s0, 25
	s_cbranch_scc0 .LBB103_585
; %bb.579:
	s_cmp_gt_i32 s0, 28
	s_cbranch_scc0 .LBB103_586
	;; [unrolled: 3-line block ×4, first 2 shown]
; %bb.582:
	s_cmp_eq_u32 s0, 46
	s_mov_b32 s48, 0
	s_cbranch_scc0 .LBB103_591
; %bb.583:
	global_load_b32 v3, v[6:7], off
	s_mov_b32 s31, -1
	s_mov_b32 s30, 0
	s_wait_loadcnt 0x0
	v_lshlrev_b32_e32 v3, 16, v3
	s_wait_xcnt 0x1
	s_delay_alu instid0(VALU_DEP_1)
	v_cvt_f64_f32_e32 v[8:9], v3
	s_branch .LBB103_593
.LBB103_584:
	s_mov_b32 s48, -1
	s_mov_b32 s30, s44
                                        ; implicit-def: $vgpr8_vgpr9
	s_branch .LBB103_658
.LBB103_585:
	s_mov_b32 s48, -1
	s_mov_b32 s30, s44
                                        ; implicit-def: $vgpr8_vgpr9
	s_branch .LBB103_622
.LBB103_586:
	s_mov_b32 s48, -1
	s_mov_b32 s30, s44
                                        ; implicit-def: $vgpr8_vgpr9
	s_branch .LBB103_603
.LBB103_587:
	s_mov_b32 s48, -1
	s_mov_b32 s30, s44
                                        ; implicit-def: $vgpr8_vgpr9
	s_branch .LBB103_598
.LBB103_588:
	s_mov_b32 s48, -1
	s_mov_b32 s30, s44
	s_branch .LBB103_592
.LBB103_589:
	s_and_not1_saveexec_b32 s46, s46
	s_cbranch_execz .LBB103_336
.LBB103_590:
	v_add_f32_e64 v3, 0x42800000, |v2|
	s_and_not1_b32 s45, s45, exec_lo
	s_delay_alu instid0(VALU_DEP_1) | instskip(NEXT) | instid1(VALU_DEP_1)
	v_and_b32_e32 v3, 0xff, v3
	v_cmp_ne_u32_e32 vcc_lo, 0, v3
	s_and_b32 s48, vcc_lo, exec_lo
	s_delay_alu instid0(SALU_CYCLE_1)
	s_or_b32 s45, s45, s48
	s_or_b32 exec_lo, exec_lo, s46
	v_mov_b32_e32 v5, 0
	s_and_saveexec_b32 s46, s45
	s_cbranch_execnz .LBB103_337
	s_branch .LBB103_338
.LBB103_591:
	s_mov_b32 s30, -1
.LBB103_592:
                                        ; implicit-def: $vgpr8_vgpr9
.LBB103_593:
	s_and_b32 vcc_lo, exec_lo, s48
	s_cbranch_vccz .LBB103_597
; %bb.594:
	s_cmp_eq_u32 s0, 44
	s_cbranch_scc0 .LBB103_596
; %bb.595:
	global_load_u8 v3, v[6:7], off
	s_mov_b32 s30, 0
	s_mov_b32 s31, -1
	s_wait_loadcnt 0x0
	v_cmp_ne_u32_e32 vcc_lo, 0xff, v3
	v_lshlrev_b32_e32 v5, 23, v3
	s_wait_xcnt 0x1
	s_delay_alu instid0(VALU_DEP_1) | instskip(NEXT) | instid1(VALU_DEP_1)
	v_cvt_f64_f32_e32 v[8:9], v5
	v_cndmask_b32_e32 v5, 0x20000000, v8, vcc_lo
	s_delay_alu instid0(VALU_DEP_2) | instskip(SKIP_1) | instid1(VALU_DEP_2)
	v_cndmask_b32_e32 v8, 0x7ff80000, v9, vcc_lo
	v_cmp_ne_u32_e32 vcc_lo, 0, v3
	v_cndmask_b32_e32 v9, 0x38000000, v8, vcc_lo
	s_delay_alu instid0(VALU_DEP_4)
	v_cndmask_b32_e32 v8, 0, v5, vcc_lo
	s_branch .LBB103_597
.LBB103_596:
	s_mov_b32 s30, -1
                                        ; implicit-def: $vgpr8_vgpr9
.LBB103_597:
	s_mov_b32 s48, 0
.LBB103_598:
	s_delay_alu instid0(SALU_CYCLE_1)
	s_and_b32 vcc_lo, exec_lo, s48
	s_cbranch_vccz .LBB103_602
; %bb.599:
	s_cmp_eq_u32 s0, 29
	s_cbranch_scc0 .LBB103_601
; %bb.600:
	global_load_b64 v[8:9], v[6:7], off
	s_mov_b32 s31, -1
	s_mov_b32 s30, 0
	s_mov_b32 s48, 0
	s_wait_loadcnt 0x0
	v_cvt_f64_u32_e32 v[10:11], v9
	v_cvt_f64_u32_e32 v[8:9], v8
	s_delay_alu instid0(VALU_DEP_2) | instskip(NEXT) | instid1(VALU_DEP_1)
	v_ldexp_f64 v[10:11], v[10:11], 32
	v_add_f64_e32 v[8:9], v[10:11], v[8:9]
	s_branch .LBB103_603
.LBB103_601:
	s_mov_b32 s30, -1
                                        ; implicit-def: $vgpr8_vgpr9
.LBB103_602:
	s_mov_b32 s48, 0
.LBB103_603:
	s_delay_alu instid0(SALU_CYCLE_1)
	s_and_b32 vcc_lo, exec_lo, s48
	s_cbranch_vccz .LBB103_621
; %bb.604:
	s_cmp_lt_i32 s0, 27
	s_cbranch_scc1 .LBB103_607
; %bb.605:
	s_cmp_gt_i32 s0, 27
	s_cbranch_scc0 .LBB103_608
; %bb.606:
	global_load_b32 v3, v[6:7], off
	s_mov_b32 s31, 0
	s_wait_loadcnt 0x0
	s_wait_xcnt 0x1
	v_cvt_f64_u32_e32 v[8:9], v3
	s_branch .LBB103_609
.LBB103_607:
	s_mov_b32 s31, -1
                                        ; implicit-def: $vgpr8_vgpr9
	s_branch .LBB103_612
.LBB103_608:
	s_mov_b32 s31, -1
                                        ; implicit-def: $vgpr8_vgpr9
.LBB103_609:
	s_delay_alu instid0(SALU_CYCLE_1)
	s_and_not1_b32 vcc_lo, exec_lo, s31
	s_cbranch_vccnz .LBB103_611
; %bb.610:
	global_load_u16 v3, v[6:7], off
	s_wait_loadcnt 0x0
	s_wait_xcnt 0x1
	v_cvt_f64_u32_e32 v[8:9], v3
.LBB103_611:
	s_mov_b32 s31, 0
.LBB103_612:
	s_delay_alu instid0(SALU_CYCLE_1)
	s_and_not1_b32 vcc_lo, exec_lo, s31
	s_cbranch_vccnz .LBB103_620
; %bb.613:
	global_load_u8 v3, v[6:7], off
	s_mov_b32 s31, 0
	s_mov_b32 s48, exec_lo
	s_wait_loadcnt 0x0
	v_cmpx_lt_i16_e32 0x7f, v3
	s_xor_b32 s48, exec_lo, s48
	s_cbranch_execz .LBB103_634
; %bb.614:
	s_mov_b32 s31, -1
	s_mov_b32 s49, exec_lo
	v_cmpx_eq_u16_e32 0x80, v3
; %bb.615:
	s_xor_b32 s31, exec_lo, -1
; %bb.616:
	s_or_b32 exec_lo, exec_lo, s49
	s_delay_alu instid0(SALU_CYCLE_1)
	s_and_b32 s31, s31, exec_lo
	s_or_saveexec_b32 s48, s48
	v_mov_b64_e32 v[8:9], 0x7ff8000020000000
	s_xor_b32 exec_lo, exec_lo, s48
	s_cbranch_execnz .LBB103_635
.LBB103_617:
	s_or_b32 exec_lo, exec_lo, s48
	s_and_saveexec_b32 s48, s31
	s_cbranch_execz .LBB103_619
.LBB103_618:
	v_and_b32_e32 v5, 0xffff, v3
	s_delay_alu instid0(VALU_DEP_1) | instskip(SKIP_1) | instid1(VALU_DEP_2)
	v_dual_lshlrev_b32 v3, 24, v3 :: v_dual_bitop2_b32 v8, 7, v5 bitop3:0x40
	v_bfe_u32 v11, v5, 3, 4
	v_and_b32_e32 v3, 0x80000000, v3
	s_delay_alu instid0(VALU_DEP_3) | instskip(NEXT) | instid1(VALU_DEP_3)
	v_clz_i32_u32_e32 v9, v8
	v_cmp_eq_u32_e32 vcc_lo, 0, v11
	s_delay_alu instid0(VALU_DEP_2) | instskip(NEXT) | instid1(VALU_DEP_1)
	v_min_u32_e32 v9, 32, v9
	v_subrev_nc_u32_e32 v10, 28, v9
	v_sub_nc_u32_e32 v9, 29, v9
	s_delay_alu instid0(VALU_DEP_2) | instskip(NEXT) | instid1(VALU_DEP_2)
	v_lshlrev_b32_e32 v5, v10, v5
	v_cndmask_b32_e32 v9, v11, v9, vcc_lo
	s_delay_alu instid0(VALU_DEP_2) | instskip(NEXT) | instid1(VALU_DEP_1)
	v_and_b32_e32 v5, 7, v5
	v_cndmask_b32_e32 v5, v8, v5, vcc_lo
	s_delay_alu instid0(VALU_DEP_3) | instskip(NEXT) | instid1(VALU_DEP_2)
	v_lshl_add_u32 v8, v9, 23, 0x3b800000
	v_lshlrev_b32_e32 v5, 20, v5
	s_delay_alu instid0(VALU_DEP_1) | instskip(NEXT) | instid1(VALU_DEP_1)
	v_or3_b32 v3, v3, v8, v5
	v_cvt_f64_f32_e32 v[8:9], v3
.LBB103_619:
	s_or_b32 exec_lo, exec_lo, s48
.LBB103_620:
	s_mov_b32 s31, -1
.LBB103_621:
	s_mov_b32 s48, 0
.LBB103_622:
	s_delay_alu instid0(SALU_CYCLE_1)
	s_and_b32 vcc_lo, exec_lo, s48
	s_cbranch_vccz .LBB103_657
; %bb.623:
	s_cmp_gt_i32 s0, 22
	s_cbranch_scc0 .LBB103_633
; %bb.624:
	s_cmp_lt_i32 s0, 24
	s_cbranch_scc1 .LBB103_636
; %bb.625:
	s_cmp_gt_i32 s0, 24
	s_cbranch_scc0 .LBB103_637
; %bb.626:
	global_load_u8 v3, v[6:7], off
	s_mov_b32 s31, 0
	s_mov_b32 s48, exec_lo
	s_wait_loadcnt 0x0
	v_cmpx_lt_i16_e32 0x7f, v3
	s_xor_b32 s48, exec_lo, s48
	s_cbranch_execz .LBB103_649
; %bb.627:
	s_mov_b32 s31, -1
	s_mov_b32 s49, exec_lo
	v_cmpx_eq_u16_e32 0x80, v3
; %bb.628:
	s_xor_b32 s31, exec_lo, -1
; %bb.629:
	s_or_b32 exec_lo, exec_lo, s49
	s_delay_alu instid0(SALU_CYCLE_1)
	s_and_b32 s31, s31, exec_lo
	s_or_saveexec_b32 s48, s48
	v_mov_b64_e32 v[8:9], 0x7ff8000020000000
	s_xor_b32 exec_lo, exec_lo, s48
	s_cbranch_execnz .LBB103_650
.LBB103_630:
	s_or_b32 exec_lo, exec_lo, s48
	s_and_saveexec_b32 s48, s31
	s_cbranch_execz .LBB103_632
.LBB103_631:
	v_and_b32_e32 v5, 0xffff, v3
	s_delay_alu instid0(VALU_DEP_1) | instskip(SKIP_1) | instid1(VALU_DEP_2)
	v_dual_lshlrev_b32 v3, 24, v3 :: v_dual_bitop2_b32 v8, 3, v5 bitop3:0x40
	v_bfe_u32 v11, v5, 2, 5
	v_and_b32_e32 v3, 0x80000000, v3
	s_delay_alu instid0(VALU_DEP_3) | instskip(NEXT) | instid1(VALU_DEP_3)
	v_clz_i32_u32_e32 v9, v8
	v_cmp_eq_u32_e32 vcc_lo, 0, v11
	s_delay_alu instid0(VALU_DEP_2) | instskip(NEXT) | instid1(VALU_DEP_1)
	v_min_u32_e32 v9, 32, v9
	v_subrev_nc_u32_e32 v10, 29, v9
	v_sub_nc_u32_e32 v9, 30, v9
	s_delay_alu instid0(VALU_DEP_2) | instskip(NEXT) | instid1(VALU_DEP_2)
	v_lshlrev_b32_e32 v5, v10, v5
	v_cndmask_b32_e32 v9, v11, v9, vcc_lo
	s_delay_alu instid0(VALU_DEP_2) | instskip(NEXT) | instid1(VALU_DEP_1)
	v_and_b32_e32 v5, 3, v5
	v_cndmask_b32_e32 v5, v8, v5, vcc_lo
	s_delay_alu instid0(VALU_DEP_3) | instskip(NEXT) | instid1(VALU_DEP_2)
	v_lshl_add_u32 v8, v9, 23, 0x37800000
	v_lshlrev_b32_e32 v5, 21, v5
	s_delay_alu instid0(VALU_DEP_1) | instskip(NEXT) | instid1(VALU_DEP_1)
	v_or3_b32 v3, v3, v8, v5
	v_cvt_f64_f32_e32 v[8:9], v3
.LBB103_632:
	s_or_b32 exec_lo, exec_lo, s48
	s_mov_b32 s31, 0
	s_branch .LBB103_638
.LBB103_633:
	s_mov_b32 s48, -1
                                        ; implicit-def: $vgpr8_vgpr9
	s_branch .LBB103_644
.LBB103_634:
	s_or_saveexec_b32 s48, s48
	v_mov_b64_e32 v[8:9], 0x7ff8000020000000
	s_xor_b32 exec_lo, exec_lo, s48
	s_cbranch_execz .LBB103_617
.LBB103_635:
	v_cmp_ne_u16_e32 vcc_lo, 0, v3
	v_mov_b64_e32 v[8:9], 0
	s_and_not1_b32 s31, s31, exec_lo
	s_and_b32 s49, vcc_lo, exec_lo
	s_delay_alu instid0(SALU_CYCLE_1)
	s_or_b32 s31, s31, s49
	s_or_b32 exec_lo, exec_lo, s48
	s_and_saveexec_b32 s48, s31
	s_cbranch_execnz .LBB103_618
	s_branch .LBB103_619
.LBB103_636:
	s_mov_b32 s31, -1
                                        ; implicit-def: $vgpr8_vgpr9
	s_branch .LBB103_641
.LBB103_637:
	s_mov_b32 s31, -1
                                        ; implicit-def: $vgpr8_vgpr9
.LBB103_638:
	s_delay_alu instid0(SALU_CYCLE_1)
	s_and_b32 vcc_lo, exec_lo, s31
	s_cbranch_vccz .LBB103_640
; %bb.639:
	global_load_u8 v3, v[6:7], off
	s_wait_loadcnt 0x0
	v_lshlrev_b32_e32 v3, 24, v3
	s_delay_alu instid0(VALU_DEP_1) | instskip(SKIP_1) | instid1(VALU_DEP_1)
	v_and_b32_e32 v5, 0x7f000000, v3
	s_wait_xcnt 0x1
	v_clz_i32_u32_e32 v8, v5
	v_cmp_ne_u32_e32 vcc_lo, 0, v5
	v_add_nc_u32_e32 v10, 0x1000000, v5
	s_delay_alu instid0(VALU_DEP_3) | instskip(NEXT) | instid1(VALU_DEP_1)
	v_min_u32_e32 v8, 32, v8
	v_sub_nc_u32_e64 v8, v8, 4 clamp
	s_delay_alu instid0(VALU_DEP_1) | instskip(NEXT) | instid1(VALU_DEP_1)
	v_dual_lshlrev_b32 v9, v8, v5 :: v_dual_lshlrev_b32 v8, 23, v8
	v_lshrrev_b32_e32 v9, 4, v9
	s_delay_alu instid0(VALU_DEP_1) | instskip(NEXT) | instid1(VALU_DEP_1)
	v_dual_sub_nc_u32 v8, v9, v8 :: v_dual_ashrrev_i32 v9, 8, v10
	v_add_nc_u32_e32 v8, 0x3c000000, v8
	s_delay_alu instid0(VALU_DEP_1) | instskip(NEXT) | instid1(VALU_DEP_1)
	v_and_or_b32 v8, 0x7f800000, v9, v8
	v_cndmask_b32_e32 v5, 0, v8, vcc_lo
	s_delay_alu instid0(VALU_DEP_1) | instskip(NEXT) | instid1(VALU_DEP_1)
	v_and_or_b32 v3, 0x80000000, v3, v5
	v_cvt_f64_f32_e32 v[8:9], v3
.LBB103_640:
	s_mov_b32 s31, 0
.LBB103_641:
	s_delay_alu instid0(SALU_CYCLE_1)
	s_and_not1_b32 vcc_lo, exec_lo, s31
	s_cbranch_vccnz .LBB103_643
; %bb.642:
	global_load_u8 v3, v[6:7], off
	s_wait_loadcnt 0x0
	v_lshlrev_b32_e32 v5, 25, v3
	v_lshlrev_b16 v3, 8, v3
	s_wait_xcnt 0x1
	s_delay_alu instid0(VALU_DEP_1) | instskip(SKIP_1) | instid1(VALU_DEP_2)
	v_and_or_b32 v9, 0x7f00, v3, 0.5
	v_bfe_i32 v3, v3, 0, 16
	v_add_f32_e32 v9, -0.5, v9
	v_lshrrev_b32_e32 v8, 4, v5
	v_cmp_gt_u32_e32 vcc_lo, 0x8000000, v5
	s_delay_alu instid0(VALU_DEP_2) | instskip(NEXT) | instid1(VALU_DEP_1)
	v_or_b32_e32 v8, 0x70000000, v8
	v_mul_f32_e32 v8, 0x7800000, v8
	s_delay_alu instid0(VALU_DEP_1) | instskip(NEXT) | instid1(VALU_DEP_1)
	v_cndmask_b32_e32 v5, v8, v9, vcc_lo
	v_and_or_b32 v3, 0x80000000, v3, v5
	s_delay_alu instid0(VALU_DEP_1)
	v_cvt_f64_f32_e32 v[8:9], v3
.LBB103_643:
	s_mov_b32 s48, 0
	s_mov_b32 s31, -1
.LBB103_644:
	s_and_not1_b32 vcc_lo, exec_lo, s48
	s_cbranch_vccnz .LBB103_657
; %bb.645:
	s_cmp_gt_i32 s0, 14
	s_cbranch_scc0 .LBB103_648
; %bb.646:
	s_cmp_eq_u32 s0, 15
	s_cbranch_scc0 .LBB103_651
; %bb.647:
	global_load_u16 v3, v[6:7], off
	s_mov_b32 s31, -1
	s_mov_b32 s30, 0
	s_wait_loadcnt 0x0
	v_lshlrev_b32_e32 v3, 16, v3
	s_wait_xcnt 0x1
	s_delay_alu instid0(VALU_DEP_1)
	v_cvt_f64_f32_e32 v[8:9], v3
	s_branch .LBB103_652
.LBB103_648:
	s_mov_b32 s48, -1
                                        ; implicit-def: $vgpr8_vgpr9
	s_branch .LBB103_653
.LBB103_649:
	s_or_saveexec_b32 s48, s48
	v_mov_b64_e32 v[8:9], 0x7ff8000020000000
	s_xor_b32 exec_lo, exec_lo, s48
	s_cbranch_execz .LBB103_630
.LBB103_650:
	v_cmp_ne_u16_e32 vcc_lo, 0, v3
	v_mov_b64_e32 v[8:9], 0
	s_and_not1_b32 s31, s31, exec_lo
	s_and_b32 s49, vcc_lo, exec_lo
	s_delay_alu instid0(SALU_CYCLE_1)
	s_or_b32 s31, s31, s49
	s_or_b32 exec_lo, exec_lo, s48
	s_and_saveexec_b32 s48, s31
	s_cbranch_execnz .LBB103_631
	s_branch .LBB103_632
.LBB103_651:
	s_mov_b32 s30, -1
                                        ; implicit-def: $vgpr8_vgpr9
.LBB103_652:
	s_mov_b32 s48, 0
.LBB103_653:
	s_delay_alu instid0(SALU_CYCLE_1)
	s_and_b32 vcc_lo, exec_lo, s48
	s_cbranch_vccz .LBB103_657
; %bb.654:
	s_cmp_eq_u32 s0, 11
	s_cbranch_scc0 .LBB103_656
; %bb.655:
	global_load_u8 v3, v[6:7], off
	s_wait_xcnt 0x1
	v_mov_b32_e32 v8, 0
	s_mov_b32 s30, 0
	s_mov_b32 s31, -1
	s_wait_loadcnt 0x0
	v_cmp_ne_u16_e32 vcc_lo, 0, v3
	v_cndmask_b32_e64 v9, 0, 0x3ff00000, vcc_lo
	s_branch .LBB103_657
.LBB103_656:
	s_mov_b32 s30, -1
                                        ; implicit-def: $vgpr8_vgpr9
.LBB103_657:
	s_mov_b32 s48, 0
.LBB103_658:
	s_delay_alu instid0(SALU_CYCLE_1)
	s_and_b32 vcc_lo, exec_lo, s48
	s_cbranch_vccz .LBB103_707
; %bb.659:
	s_cmp_lt_i32 s0, 5
	s_cbranch_scc1 .LBB103_664
; %bb.660:
	s_cmp_lt_i32 s0, 8
	s_cbranch_scc1 .LBB103_665
	;; [unrolled: 3-line block ×3, first 2 shown]
; %bb.662:
	s_cmp_gt_i32 s0, 9
	s_cbranch_scc0 .LBB103_667
; %bb.663:
	global_load_b64 v[8:9], v[6:7], off
	s_mov_b32 s31, 0
	s_branch .LBB103_668
.LBB103_664:
	s_mov_b32 s31, -1
                                        ; implicit-def: $vgpr8_vgpr9
	s_branch .LBB103_686
.LBB103_665:
	s_mov_b32 s31, -1
                                        ; implicit-def: $vgpr8_vgpr9
	s_branch .LBB103_674
.LBB103_666:
	s_mov_b32 s31, -1
                                        ; implicit-def: $vgpr8_vgpr9
	s_branch .LBB103_671
.LBB103_667:
	s_mov_b32 s31, -1
                                        ; implicit-def: $vgpr8_vgpr9
.LBB103_668:
	s_delay_alu instid0(SALU_CYCLE_1)
	s_and_not1_b32 vcc_lo, exec_lo, s31
	s_cbranch_vccnz .LBB103_670
; %bb.669:
	global_load_b32 v3, v[6:7], off
	s_wait_loadcnt 0x0
	s_wait_xcnt 0x1
	v_cvt_f64_f32_e32 v[8:9], v3
.LBB103_670:
	s_mov_b32 s31, 0
.LBB103_671:
	s_delay_alu instid0(SALU_CYCLE_1)
	s_and_not1_b32 vcc_lo, exec_lo, s31
	s_cbranch_vccnz .LBB103_673
; %bb.672:
	global_load_b32 v3, v[6:7], off
	s_wait_loadcnt 0x0
	v_cvt_f32_f16_e32 v3, v3
	s_wait_xcnt 0x1
	s_delay_alu instid0(VALU_DEP_1)
	v_cvt_f64_f32_e32 v[8:9], v3
.LBB103_673:
	s_mov_b32 s31, 0
.LBB103_674:
	s_delay_alu instid0(SALU_CYCLE_1)
	s_and_not1_b32 vcc_lo, exec_lo, s31
	s_cbranch_vccnz .LBB103_685
; %bb.675:
	s_cmp_lt_i32 s0, 6
	s_cbranch_scc1 .LBB103_678
; %bb.676:
	s_cmp_gt_i32 s0, 6
	s_cbranch_scc0 .LBB103_679
; %bb.677:
	s_wait_loadcnt 0x0
	global_load_b64 v[8:9], v[6:7], off
	s_mov_b32 s31, 0
	s_branch .LBB103_680
.LBB103_678:
	s_mov_b32 s31, -1
                                        ; implicit-def: $vgpr8_vgpr9
	s_branch .LBB103_683
.LBB103_679:
	s_mov_b32 s31, -1
                                        ; implicit-def: $vgpr8_vgpr9
.LBB103_680:
	s_delay_alu instid0(SALU_CYCLE_1)
	s_and_not1_b32 vcc_lo, exec_lo, s31
	s_cbranch_vccnz .LBB103_682
; %bb.681:
	global_load_b32 v3, v[6:7], off
	s_wait_loadcnt 0x0
	s_wait_xcnt 0x1
	v_cvt_f64_f32_e32 v[8:9], v3
.LBB103_682:
	s_mov_b32 s31, 0
.LBB103_683:
	s_delay_alu instid0(SALU_CYCLE_1)
	s_and_not1_b32 vcc_lo, exec_lo, s31
	s_cbranch_vccnz .LBB103_685
; %bb.684:
	global_load_u16 v3, v[6:7], off
	s_wait_loadcnt 0x0
	v_cvt_f32_f16_e32 v3, v3
	s_wait_xcnt 0x1
	s_delay_alu instid0(VALU_DEP_1)
	v_cvt_f64_f32_e32 v[8:9], v3
.LBB103_685:
	s_mov_b32 s31, 0
.LBB103_686:
	s_delay_alu instid0(SALU_CYCLE_1)
	s_and_not1_b32 vcc_lo, exec_lo, s31
	s_cbranch_vccnz .LBB103_706
; %bb.687:
	s_cmp_lt_i32 s0, 2
	s_cbranch_scc1 .LBB103_691
; %bb.688:
	s_cmp_lt_i32 s0, 3
	s_cbranch_scc1 .LBB103_692
; %bb.689:
	s_cmp_gt_i32 s0, 3
	s_cbranch_scc0 .LBB103_693
; %bb.690:
	s_wait_loadcnt 0x0
	global_load_b64 v[8:9], v[6:7], off
	s_mov_b32 s31, 0
	s_wait_loadcnt 0x0
	v_cvt_f64_i32_e32 v[10:11], v9
	v_cvt_f64_u32_e32 v[8:9], v8
	s_delay_alu instid0(VALU_DEP_2) | instskip(NEXT) | instid1(VALU_DEP_1)
	v_ldexp_f64 v[10:11], v[10:11], 32
	v_add_f64_e32 v[8:9], v[10:11], v[8:9]
	s_branch .LBB103_694
.LBB103_691:
	s_mov_b32 s31, -1
                                        ; implicit-def: $vgpr8_vgpr9
	s_branch .LBB103_700
.LBB103_692:
	s_mov_b32 s31, -1
                                        ; implicit-def: $vgpr8_vgpr9
	s_branch .LBB103_697
.LBB103_693:
	s_mov_b32 s31, -1
                                        ; implicit-def: $vgpr8_vgpr9
.LBB103_694:
	s_delay_alu instid0(SALU_CYCLE_1)
	s_and_not1_b32 vcc_lo, exec_lo, s31
	s_cbranch_vccnz .LBB103_696
; %bb.695:
	global_load_b32 v3, v[6:7], off
	s_wait_loadcnt 0x0
	s_wait_xcnt 0x1
	v_cvt_f64_i32_e32 v[8:9], v3
.LBB103_696:
	s_mov_b32 s31, 0
.LBB103_697:
	s_delay_alu instid0(SALU_CYCLE_1)
	s_and_not1_b32 vcc_lo, exec_lo, s31
	s_cbranch_vccnz .LBB103_699
; %bb.698:
	global_load_i16 v3, v[6:7], off
	s_wait_loadcnt 0x0
	s_wait_xcnt 0x1
	v_cvt_f64_i32_e32 v[8:9], v3
.LBB103_699:
	s_mov_b32 s31, 0
.LBB103_700:
	s_delay_alu instid0(SALU_CYCLE_1)
	s_and_not1_b32 vcc_lo, exec_lo, s31
	s_cbranch_vccnz .LBB103_706
; %bb.701:
	s_cmp_gt_i32 s0, 0
	s_mov_b32 s0, 0
	s_cbranch_scc0 .LBB103_703
; %bb.702:
	global_load_i8 v3, v[6:7], off
	s_wait_loadcnt 0x0
	s_wait_xcnt 0x1
	v_cvt_f64_i32_e32 v[8:9], v3
	s_branch .LBB103_704
.LBB103_703:
	s_mov_b32 s0, -1
                                        ; implicit-def: $vgpr8_vgpr9
.LBB103_704:
	s_delay_alu instid0(SALU_CYCLE_1)
	s_and_not1_b32 vcc_lo, exec_lo, s0
	s_cbranch_vccnz .LBB103_706
; %bb.705:
	global_load_u8 v3, v[6:7], off
	s_wait_loadcnt 0x0
	s_wait_xcnt 0x1
	v_cvt_f64_u32_e32 v[8:9], v3
.LBB103_706:
	s_mov_b32 s31, -1
.LBB103_707:
	s_delay_alu instid0(SALU_CYCLE_1)
	s_and_not1_b32 vcc_lo, exec_lo, s31
	s_cbranch_vccnz .LBB103_715
; %bb.708:
	s_wait_loadcnt 0x0
	s_delay_alu instid0(VALU_DEP_3) | instskip(SKIP_1) | instid1(SALU_CYCLE_1)
	v_dual_mul_f64 v[0:1], s[12:13], v[0:1] :: v_dual_mov_b32 v3, 0
	s_and_b32 s31, s14, 0xff
	s_cmp_lt_i32 s31, 11
	s_wait_xcnt 0x0
	s_delay_alu instid0(VALU_DEP_1) | instskip(NEXT) | instid1(VALU_DEP_2)
	v_add_nc_u64_e32 v[6:7], s[20:21], v[2:3]
	v_mul_f64_e32 v[0:1], v[0:1], v[8:9]
	s_cbranch_scc1 .LBB103_716
; %bb.709:
	s_and_b32 s48, 0xffff, s31
	s_delay_alu instid0(SALU_CYCLE_1)
	s_cmp_gt_i32 s48, 25
	s_cbranch_scc0 .LBB103_717
; %bb.710:
	s_cmp_gt_i32 s48, 28
	s_cbranch_scc0 .LBB103_718
; %bb.711:
	;; [unrolled: 3-line block ×4, first 2 shown]
	s_mov_b32 s50, 0
	s_mov_b32 s0, -1
	s_cmp_eq_u32 s48, 46
	s_mov_b32 s49, 0
	s_cbranch_scc0 .LBB103_721
; %bb.714:
	s_delay_alu instid0(VALU_DEP_1) | instskip(SKIP_2) | instid1(VALU_DEP_1)
	v_cvt_f32_f64_e32 v2, v[0:1]
	s_mov_b32 s49, -1
	s_mov_b32 s0, 0
	v_bfe_u32 v3, v2, 16, 1
	v_cmp_o_f32_e32 vcc_lo, v2, v2
	s_delay_alu instid0(VALU_DEP_2) | instskip(NEXT) | instid1(VALU_DEP_1)
	v_add3_u32 v3, v2, v3, 0x7fff
	v_lshrrev_b32_e32 v3, 16, v3
	s_delay_alu instid0(VALU_DEP_1)
	v_cndmask_b32_e32 v2, 0x7fc0, v3, vcc_lo
	global_store_b32 v[6:7], v2, off
	s_branch .LBB103_721
.LBB103_715:
	s_mov_b32 s31, 0
	s_mov_b32 s0, s43
	s_branch .LBB103_452
.LBB103_716:
	s_mov_b32 s48, -1
	s_mov_b32 s49, 0
	s_mov_b32 s0, s43
	s_branch .LBB103_790
.LBB103_717:
	s_mov_b32 s50, -1
	s_mov_b32 s49, 0
	s_mov_b32 s0, s43
	s_branch .LBB103_748
.LBB103_718:
	s_mov_b32 s50, -1
	s_mov_b32 s49, 0
	s_mov_b32 s0, s43
	s_branch .LBB103_731
.LBB103_719:
	s_mov_b32 s50, -1
	s_mov_b32 s49, 0
	s_mov_b32 s0, s43
	s_branch .LBB103_727
.LBB103_720:
	s_mov_b32 s50, -1
	s_mov_b32 s49, 0
	s_mov_b32 s0, s43
.LBB103_721:
	s_and_b32 vcc_lo, exec_lo, s50
	s_cbranch_vccz .LBB103_726
; %bb.722:
	s_cmp_eq_u32 s48, 44
	s_mov_b32 s0, -1
	s_cbranch_scc0 .LBB103_726
; %bb.723:
	s_wait_xcnt 0x0
	s_delay_alu instid0(VALU_DEP_1) | instskip(SKIP_2) | instid1(VALU_DEP_2)
	v_cvt_f32_f64_e32 v2, v[0:1]
	v_mov_b32_e32 v3, 0xff
	s_mov_b32 s49, exec_lo
	v_bfe_u32 v5, v2, 23, 8
	s_delay_alu instid0(VALU_DEP_1)
	v_cmpx_ne_u32_e32 0xff, v5
	s_cbranch_execz .LBB103_725
; %bb.724:
	v_and_b32_e32 v3, 0x400000, v2
	v_and_or_b32 v5, 0x3fffff, v2, v5
	v_lshrrev_b32_e32 v2, 23, v2
	s_delay_alu instid0(VALU_DEP_3) | instskip(NEXT) | instid1(VALU_DEP_3)
	v_cmp_ne_u32_e32 vcc_lo, 0, v3
	v_cmp_ne_u32_e64 s0, 0, v5
	s_and_b32 s0, vcc_lo, s0
	s_delay_alu instid0(SALU_CYCLE_1) | instskip(NEXT) | instid1(VALU_DEP_1)
	v_cndmask_b32_e64 v3, 0, 1, s0
	v_add_nc_u32_e32 v3, v2, v3
.LBB103_725:
	s_or_b32 exec_lo, exec_lo, s49
	s_mov_b32 s49, -1
	s_mov_b32 s0, 0
	global_store_b8 v[6:7], v3, off
.LBB103_726:
	s_mov_b32 s50, 0
.LBB103_727:
	s_delay_alu instid0(SALU_CYCLE_1)
	s_and_b32 vcc_lo, exec_lo, s50
	s_cbranch_vccz .LBB103_730
; %bb.728:
	s_cmp_eq_u32 s48, 29
	s_mov_b32 s0, -1
	s_cbranch_scc0 .LBB103_730
; %bb.729:
	s_wait_xcnt 0x0
	s_delay_alu instid0(VALU_DEP_1) | instskip(SKIP_3) | instid1(VALU_DEP_1)
	v_trunc_f64_e32 v[2:3], v[0:1]
	s_mov_b32 s49, -1
	s_mov_b32 s0, 0
	s_mov_b32 s50, 0
	v_ldexp_f64 v[8:9], v[2:3], 0xffffffe0
	s_delay_alu instid0(VALU_DEP_1) | instskip(NEXT) | instid1(VALU_DEP_1)
	v_floor_f64_e32 v[8:9], v[8:9]
	v_fmamk_f64 v[2:3], v[8:9], 0xc1f00000, v[2:3]
	v_cvt_u32_f64_e32 v9, v[8:9]
	s_delay_alu instid0(VALU_DEP_2)
	v_cvt_u32_f64_e32 v8, v[2:3]
	global_store_b64 v[6:7], v[8:9], off
	s_branch .LBB103_731
.LBB103_730:
	s_mov_b32 s50, 0
.LBB103_731:
	s_delay_alu instid0(SALU_CYCLE_1)
	s_and_b32 vcc_lo, exec_lo, s50
	s_cbranch_vccz .LBB103_747
; %bb.732:
	s_cmp_lt_i32 s48, 27
	s_mov_b32 s49, -1
	s_cbranch_scc1 .LBB103_738
; %bb.733:
	s_cmp_gt_i32 s48, 27
	s_cbranch_scc0 .LBB103_735
; %bb.734:
	s_wait_xcnt 0x0
	s_delay_alu instid0(VALU_DEP_1)
	v_cvt_u32_f64_e32 v2, v[0:1]
	s_mov_b32 s49, 0
	global_store_b32 v[6:7], v2, off
.LBB103_735:
	s_and_not1_b32 vcc_lo, exec_lo, s49
	s_cbranch_vccnz .LBB103_737
; %bb.736:
	s_wait_xcnt 0x0
	s_delay_alu instid0(VALU_DEP_1)
	v_cvt_u32_f64_e32 v2, v[0:1]
	global_store_b16 v[6:7], v2, off
.LBB103_737:
	s_mov_b32 s49, 0
.LBB103_738:
	s_delay_alu instid0(SALU_CYCLE_1)
	s_and_not1_b32 vcc_lo, exec_lo, s49
	s_cbranch_vccnz .LBB103_746
; %bb.739:
	s_wait_xcnt 0x0
	s_delay_alu instid0(VALU_DEP_1) | instskip(SKIP_2) | instid1(VALU_DEP_2)
	v_cvt_f32_f64_e32 v2, v[0:1]
	v_mov_b32_e32 v5, 0x80
	s_mov_b32 s49, exec_lo
	v_and_b32_e32 v3, 0x7fffffff, v2
	s_delay_alu instid0(VALU_DEP_1)
	v_cmpx_gt_u32_e32 0x43800000, v3
	s_cbranch_execz .LBB103_745
; %bb.740:
	v_cmp_lt_u32_e32 vcc_lo, 0x3bffffff, v3
	s_mov_b32 s50, 0
                                        ; implicit-def: $vgpr3
	s_and_saveexec_b32 s51, vcc_lo
	s_delay_alu instid0(SALU_CYCLE_1)
	s_xor_b32 s51, exec_lo, s51
	s_cbranch_execz .LBB103_880
; %bb.741:
	v_bfe_u32 v3, v2, 20, 1
	s_mov_b32 s50, exec_lo
	s_delay_alu instid0(VALU_DEP_1) | instskip(NEXT) | instid1(VALU_DEP_1)
	v_add3_u32 v3, v2, v3, 0x487ffff
	v_lshrrev_b32_e32 v3, 20, v3
	s_and_not1_saveexec_b32 s51, s51
	s_cbranch_execnz .LBB103_881
.LBB103_742:
	s_or_b32 exec_lo, exec_lo, s51
	v_mov_b32_e32 v5, 0
	s_and_saveexec_b32 s51, s50
.LBB103_743:
	v_lshrrev_b32_e32 v2, 24, v2
	s_delay_alu instid0(VALU_DEP_1)
	v_and_or_b32 v5, 0x80, v2, v3
.LBB103_744:
	s_or_b32 exec_lo, exec_lo, s51
.LBB103_745:
	s_delay_alu instid0(SALU_CYCLE_1)
	s_or_b32 exec_lo, exec_lo, s49
	global_store_b8 v[6:7], v5, off
.LBB103_746:
	s_mov_b32 s49, -1
.LBB103_747:
	s_mov_b32 s50, 0
.LBB103_748:
	s_delay_alu instid0(SALU_CYCLE_1)
	s_and_b32 vcc_lo, exec_lo, s50
	s_cbranch_vccz .LBB103_789
; %bb.749:
	s_cmp_gt_i32 s48, 22
	s_mov_b32 s50, -1
	s_cbranch_scc0 .LBB103_781
; %bb.750:
	s_cmp_lt_i32 s48, 24
	s_mov_b32 s49, -1
	s_cbranch_scc1 .LBB103_770
; %bb.751:
	s_cmp_gt_i32 s48, 24
	s_cbranch_scc0 .LBB103_759
; %bb.752:
	s_wait_xcnt 0x0
	s_delay_alu instid0(VALU_DEP_1) | instskip(SKIP_2) | instid1(VALU_DEP_2)
	v_cvt_f32_f64_e32 v2, v[0:1]
	v_mov_b32_e32 v5, 0x80
	s_mov_b32 s49, exec_lo
	v_and_b32_e32 v3, 0x7fffffff, v2
	s_delay_alu instid0(VALU_DEP_1)
	v_cmpx_gt_u32_e32 0x47800000, v3
	s_cbranch_execz .LBB103_758
; %bb.753:
	v_cmp_lt_u32_e32 vcc_lo, 0x37ffffff, v3
	s_mov_b32 s50, 0
                                        ; implicit-def: $vgpr3
	s_and_saveexec_b32 s51, vcc_lo
	s_delay_alu instid0(SALU_CYCLE_1)
	s_xor_b32 s51, exec_lo, s51
	s_cbranch_execz .LBB103_1011
; %bb.754:
	v_bfe_u32 v3, v2, 21, 1
	s_mov_b32 s50, exec_lo
	s_delay_alu instid0(VALU_DEP_1) | instskip(NEXT) | instid1(VALU_DEP_1)
	v_add3_u32 v3, v2, v3, 0x88fffff
	v_lshrrev_b32_e32 v3, 21, v3
	s_and_not1_saveexec_b32 s51, s51
	s_cbranch_execnz .LBB103_1012
.LBB103_755:
	s_or_b32 exec_lo, exec_lo, s51
	v_mov_b32_e32 v5, 0
	s_and_saveexec_b32 s51, s50
.LBB103_756:
	v_lshrrev_b32_e32 v2, 24, v2
	s_delay_alu instid0(VALU_DEP_1)
	v_and_or_b32 v5, 0x80, v2, v3
.LBB103_757:
	s_or_b32 exec_lo, exec_lo, s51
.LBB103_758:
	s_delay_alu instid0(SALU_CYCLE_1)
	s_or_b32 exec_lo, exec_lo, s49
	s_mov_b32 s49, 0
	global_store_b8 v[6:7], v5, off
.LBB103_759:
	s_and_b32 vcc_lo, exec_lo, s49
	s_cbranch_vccz .LBB103_769
; %bb.760:
	s_wait_xcnt 0x0
	s_delay_alu instid0(VALU_DEP_1) | instskip(SKIP_1) | instid1(VALU_DEP_1)
	v_cvt_f32_f64_e32 v2, v[0:1]
	s_mov_b32 s49, exec_lo
                                        ; implicit-def: $vgpr3
	v_and_b32_e32 v5, 0x7fffffff, v2
	s_delay_alu instid0(VALU_DEP_1)
	v_cmpx_gt_u32_e32 0x43f00000, v5
	s_xor_b32 s49, exec_lo, s49
	s_cbranch_execz .LBB103_766
; %bb.761:
	s_mov_b32 s50, exec_lo
                                        ; implicit-def: $vgpr3
	v_cmpx_lt_u32_e32 0x3c7fffff, v5
	s_xor_b32 s50, exec_lo, s50
; %bb.762:
	v_bfe_u32 v3, v2, 20, 1
	s_delay_alu instid0(VALU_DEP_1) | instskip(NEXT) | instid1(VALU_DEP_1)
	v_add3_u32 v3, v2, v3, 0x407ffff
	v_and_b32_e32 v5, 0xff00000, v3
	v_lshrrev_b32_e32 v3, 20, v3
	s_delay_alu instid0(VALU_DEP_2) | instskip(NEXT) | instid1(VALU_DEP_2)
	v_cmp_ne_u32_e32 vcc_lo, 0x7f00000, v5
	v_cndmask_b32_e32 v3, 0x7e, v3, vcc_lo
; %bb.763:
	s_and_not1_saveexec_b32 s50, s50
; %bb.764:
	v_add_f32_e64 v3, 0x46800000, |v2|
; %bb.765:
	s_or_b32 exec_lo, exec_lo, s50
                                        ; implicit-def: $vgpr5
.LBB103_766:
	s_and_not1_saveexec_b32 s49, s49
; %bb.767:
	v_mov_b32_e32 v3, 0x7f
	v_cmp_lt_u32_e32 vcc_lo, 0x7f800000, v5
	s_delay_alu instid0(VALU_DEP_2)
	v_cndmask_b32_e32 v3, 0x7e, v3, vcc_lo
; %bb.768:
	s_or_b32 exec_lo, exec_lo, s49
	v_lshrrev_b32_e32 v2, 24, v2
	s_delay_alu instid0(VALU_DEP_1)
	v_and_or_b32 v2, 0x80, v2, v3
	global_store_b8 v[6:7], v2, off
.LBB103_769:
	s_mov_b32 s49, 0
.LBB103_770:
	s_delay_alu instid0(SALU_CYCLE_1)
	s_and_not1_b32 vcc_lo, exec_lo, s49
	s_cbranch_vccnz .LBB103_780
; %bb.771:
	s_wait_xcnt 0x0
	s_delay_alu instid0(VALU_DEP_1) | instskip(SKIP_1) | instid1(VALU_DEP_1)
	v_cvt_f32_f64_e32 v2, v[0:1]
	s_mov_b32 s49, exec_lo
                                        ; implicit-def: $vgpr3
	v_and_b32_e32 v5, 0x7fffffff, v2
	s_delay_alu instid0(VALU_DEP_1)
	v_cmpx_gt_u32_e32 0x47800000, v5
	s_xor_b32 s49, exec_lo, s49
	s_cbranch_execz .LBB103_777
; %bb.772:
	s_mov_b32 s50, exec_lo
                                        ; implicit-def: $vgpr3
	v_cmpx_lt_u32_e32 0x387fffff, v5
	s_xor_b32 s50, exec_lo, s50
; %bb.773:
	v_bfe_u32 v3, v2, 21, 1
	s_delay_alu instid0(VALU_DEP_1) | instskip(NEXT) | instid1(VALU_DEP_1)
	v_add3_u32 v3, v2, v3, 0x80fffff
	v_lshrrev_b32_e32 v3, 21, v3
; %bb.774:
	s_and_not1_saveexec_b32 s50, s50
; %bb.775:
	v_add_f32_e64 v3, 0x43000000, |v2|
; %bb.776:
	s_or_b32 exec_lo, exec_lo, s50
                                        ; implicit-def: $vgpr5
.LBB103_777:
	s_and_not1_saveexec_b32 s49, s49
; %bb.778:
	v_mov_b32_e32 v3, 0x7f
	v_cmp_lt_u32_e32 vcc_lo, 0x7f800000, v5
	s_delay_alu instid0(VALU_DEP_2)
	v_cndmask_b32_e32 v3, 0x7c, v3, vcc_lo
; %bb.779:
	s_or_b32 exec_lo, exec_lo, s49
	v_lshrrev_b32_e32 v2, 24, v2
	s_delay_alu instid0(VALU_DEP_1)
	v_and_or_b32 v2, 0x80, v2, v3
	global_store_b8 v[6:7], v2, off
.LBB103_780:
	s_mov_b32 s50, 0
	s_mov_b32 s49, -1
.LBB103_781:
	s_and_not1_b32 vcc_lo, exec_lo, s50
	s_cbranch_vccnz .LBB103_789
; %bb.782:
	s_cmp_gt_i32 s48, 14
	s_mov_b32 s50, -1
	s_cbranch_scc0 .LBB103_786
; %bb.783:
	s_cmp_eq_u32 s48, 15
	s_mov_b32 s0, -1
	s_cbranch_scc0 .LBB103_785
; %bb.784:
	s_wait_xcnt 0x0
	s_delay_alu instid0(VALU_DEP_1) | instskip(SKIP_2) | instid1(VALU_DEP_1)
	v_cvt_f32_f64_e32 v2, v[0:1]
	s_mov_b32 s49, -1
	s_mov_b32 s0, 0
	v_bfe_u32 v3, v2, 16, 1
	v_cmp_o_f32_e32 vcc_lo, v2, v2
	s_delay_alu instid0(VALU_DEP_2) | instskip(NEXT) | instid1(VALU_DEP_1)
	v_add3_u32 v3, v2, v3, 0x7fff
	v_lshrrev_b32_e32 v3, 16, v3
	s_delay_alu instid0(VALU_DEP_1)
	v_cndmask_b32_e32 v2, 0x7fc0, v3, vcc_lo
	global_store_b16 v[6:7], v2, off
.LBB103_785:
	s_mov_b32 s50, 0
.LBB103_786:
	s_delay_alu instid0(SALU_CYCLE_1)
	s_and_b32 vcc_lo, exec_lo, s50
	s_cbranch_vccz .LBB103_789
; %bb.787:
	s_cmp_eq_u32 s48, 11
	s_mov_b32 s0, -1
	s_cbranch_scc0 .LBB103_789
; %bb.788:
	s_delay_alu instid0(VALU_DEP_1)
	v_cmp_neq_f64_e32 vcc_lo, 0, v[0:1]
	s_mov_b32 s49, -1
	s_mov_b32 s0, 0
	s_wait_xcnt 0x0
	v_cndmask_b32_e64 v2, 0, 1, vcc_lo
	global_store_b8 v[6:7], v2, off
.LBB103_789:
	s_mov_b32 s48, 0
.LBB103_790:
	s_delay_alu instid0(SALU_CYCLE_1)
	s_and_b32 vcc_lo, exec_lo, s48
	s_cbranch_vccz .LBB103_829
; %bb.791:
	s_and_b32 s31, 0xffff, s31
	s_mov_b32 s48, -1
	s_cmp_lt_i32 s31, 5
	s_cbranch_scc1 .LBB103_812
; %bb.792:
	s_cmp_lt_i32 s31, 8
	s_cbranch_scc1 .LBB103_802
; %bb.793:
	;; [unrolled: 3-line block ×3, first 2 shown]
	s_cmp_gt_i32 s31, 9
	s_cbranch_scc0 .LBB103_796
; %bb.795:
	s_wait_xcnt 0x0
	v_mov_b32_e32 v2, 0
	s_mov_b32 s48, 0
	s_delay_alu instid0(VALU_DEP_1)
	v_mov_b32_e32 v3, v2
	global_store_b128 v[6:7], v[0:3], off
.LBB103_796:
	s_and_not1_b32 vcc_lo, exec_lo, s48
	s_cbranch_vccnz .LBB103_798
; %bb.797:
	s_wait_xcnt 0x0
	s_delay_alu instid0(VALU_DEP_1)
	v_cvt_f32_f64_e32 v2, v[0:1]
	v_mov_b32_e32 v3, 0
	global_store_b64 v[6:7], v[2:3], off
.LBB103_798:
	s_mov_b32 s48, 0
.LBB103_799:
	s_delay_alu instid0(SALU_CYCLE_1)
	s_and_not1_b32 vcc_lo, exec_lo, s48
	s_cbranch_vccnz .LBB103_801
; %bb.800:
	s_wait_xcnt 0x0
	s_delay_alu instid0(VALU_DEP_1) | instskip(SKIP_2) | instid1(VALU_DEP_3)
	v_and_or_b32 v2, 0x1ff, v1, v0
	v_lshrrev_b32_e32 v3, 8, v1
	v_bfe_u32 v5, v1, 20, 11
	v_cmp_ne_u32_e32 vcc_lo, 0, v2
	s_delay_alu instid0(VALU_DEP_2) | instskip(SKIP_2) | instid1(VALU_DEP_1)
	v_sub_nc_u32_e32 v8, 0x3f1, v5
	v_add_nc_u32_e32 v5, 0xfffffc10, v5
	v_cndmask_b32_e64 v2, 0, 1, vcc_lo
	v_and_or_b32 v2, 0xffe, v3, v2
	s_delay_alu instid0(VALU_DEP_4) | instskip(NEXT) | instid1(VALU_DEP_2)
	v_med3_i32 v3, v8, 0, 13
	v_or_b32_e32 v8, 0x1000, v2
	s_delay_alu instid0(VALU_DEP_1) | instskip(NEXT) | instid1(VALU_DEP_1)
	v_lshrrev_b32_e32 v9, v3, v8
	v_lshlrev_b32_e32 v3, v3, v9
	s_delay_alu instid0(VALU_DEP_1) | instskip(SKIP_3) | instid1(VALU_DEP_2)
	v_cmp_ne_u32_e32 vcc_lo, v3, v8
	v_lshl_or_b32 v8, v5, 12, v2
	v_cndmask_b32_e64 v3, 0, 1, vcc_lo
	v_cmp_gt_i32_e32 vcc_lo, 1, v5
	v_or_b32_e32 v3, v9, v3
	s_delay_alu instid0(VALU_DEP_1) | instskip(NEXT) | instid1(VALU_DEP_1)
	v_cndmask_b32_e32 v3, v8, v3, vcc_lo
	v_dual_lshrrev_b32 v3, 2, v3 :: v_dual_bitop2_b32 v8, 7, v3 bitop3:0x40
	s_delay_alu instid0(VALU_DEP_1) | instskip(SKIP_4) | instid1(VALU_DEP_2)
	v_cmp_lt_i32_e32 vcc_lo, 5, v8
	v_cndmask_b32_e64 v9, 0, 1, vcc_lo
	v_cmp_eq_u32_e32 vcc_lo, 3, v8
	v_cndmask_b32_e64 v8, 0, 1, vcc_lo
	v_cmp_ne_u32_e32 vcc_lo, 0, v2
	v_or_b32_e32 v8, v8, v9
	v_mov_b32_e32 v9, 0x7e00
	s_delay_alu instid0(VALU_DEP_1) | instskip(SKIP_1) | instid1(VALU_DEP_2)
	v_dual_cndmask_b32 v2, 0x7c00, v9 :: v_dual_add_nc_u32 v3, v3, v8
	v_cmp_gt_i32_e32 vcc_lo, 31, v5
	v_dual_cndmask_b32 v3, 0x7c00, v3 :: v_dual_lshrrev_b32 v8, 16, v1
	v_cmp_eq_u32_e32 vcc_lo, 0x40f, v5
	s_delay_alu instid0(VALU_DEP_2) | instskip(NEXT) | instid1(VALU_DEP_3)
	v_cndmask_b32_e32 v2, v3, v2, vcc_lo
	v_and_b32_e32 v3, 0x8000, v8
	s_delay_alu instid0(VALU_DEP_1)
	v_bitop3_b32 v2, v3, 0xffff, v2 bitop3:0xc8
	global_store_b32 v[6:7], v2, off
.LBB103_801:
	s_mov_b32 s48, 0
.LBB103_802:
	s_delay_alu instid0(SALU_CYCLE_1)
	s_and_not1_b32 vcc_lo, exec_lo, s48
	s_cbranch_vccnz .LBB103_811
; %bb.803:
	s_cmp_lt_i32 s31, 6
	s_mov_b32 s48, -1
	s_cbranch_scc1 .LBB103_809
; %bb.804:
	s_cmp_gt_i32 s31, 6
	s_cbranch_scc0 .LBB103_806
; %bb.805:
	s_mov_b32 s48, 0
	global_store_b64 v[6:7], v[0:1], off
.LBB103_806:
	s_and_not1_b32 vcc_lo, exec_lo, s48
	s_cbranch_vccnz .LBB103_808
; %bb.807:
	s_wait_xcnt 0x0
	s_delay_alu instid0(VALU_DEP_1)
	v_cvt_f32_f64_e32 v2, v[0:1]
	global_store_b32 v[6:7], v2, off
.LBB103_808:
	s_mov_b32 s48, 0
.LBB103_809:
	s_delay_alu instid0(SALU_CYCLE_1)
	s_and_not1_b32 vcc_lo, exec_lo, s48
	s_cbranch_vccnz .LBB103_811
; %bb.810:
	s_wait_xcnt 0x0
	s_delay_alu instid0(VALU_DEP_1) | instskip(SKIP_2) | instid1(VALU_DEP_3)
	v_and_or_b32 v2, 0x1ff, v1, v0
	v_lshrrev_b32_e32 v3, 8, v1
	v_bfe_u32 v5, v1, 20, 11
	v_cmp_ne_u32_e32 vcc_lo, 0, v2
	s_delay_alu instid0(VALU_DEP_2) | instskip(SKIP_2) | instid1(VALU_DEP_1)
	v_sub_nc_u32_e32 v8, 0x3f1, v5
	v_add_nc_u32_e32 v5, 0xfffffc10, v5
	v_cndmask_b32_e64 v2, 0, 1, vcc_lo
	v_and_or_b32 v2, 0xffe, v3, v2
	s_delay_alu instid0(VALU_DEP_4) | instskip(NEXT) | instid1(VALU_DEP_2)
	v_med3_i32 v3, v8, 0, 13
	v_or_b32_e32 v8, 0x1000, v2
	s_delay_alu instid0(VALU_DEP_1) | instskip(NEXT) | instid1(VALU_DEP_1)
	v_lshrrev_b32_e32 v9, v3, v8
	v_lshlrev_b32_e32 v3, v3, v9
	s_delay_alu instid0(VALU_DEP_1) | instskip(SKIP_3) | instid1(VALU_DEP_2)
	v_cmp_ne_u32_e32 vcc_lo, v3, v8
	v_lshl_or_b32 v8, v5, 12, v2
	v_cndmask_b32_e64 v3, 0, 1, vcc_lo
	v_cmp_gt_i32_e32 vcc_lo, 1, v5
	v_or_b32_e32 v3, v9, v3
	s_delay_alu instid0(VALU_DEP_1) | instskip(NEXT) | instid1(VALU_DEP_1)
	v_cndmask_b32_e32 v3, v8, v3, vcc_lo
	v_dual_lshrrev_b32 v3, 2, v3 :: v_dual_bitop2_b32 v8, 7, v3 bitop3:0x40
	s_delay_alu instid0(VALU_DEP_1) | instskip(SKIP_4) | instid1(VALU_DEP_2)
	v_cmp_lt_i32_e32 vcc_lo, 5, v8
	v_cndmask_b32_e64 v9, 0, 1, vcc_lo
	v_cmp_eq_u32_e32 vcc_lo, 3, v8
	v_cndmask_b32_e64 v8, 0, 1, vcc_lo
	v_cmp_ne_u32_e32 vcc_lo, 0, v2
	v_or_b32_e32 v8, v8, v9
	v_mov_b32_e32 v9, 0x7e00
	s_delay_alu instid0(VALU_DEP_1) | instskip(SKIP_1) | instid1(VALU_DEP_2)
	v_dual_cndmask_b32 v2, 0x7c00, v9 :: v_dual_add_nc_u32 v3, v3, v8
	v_cmp_gt_i32_e32 vcc_lo, 31, v5
	v_cndmask_b32_e32 v3, 0x7c00, v3, vcc_lo
	v_cmp_eq_u32_e32 vcc_lo, 0x40f, v5
	s_delay_alu instid0(VALU_DEP_2) | instskip(NEXT) | instid1(VALU_DEP_1)
	v_dual_cndmask_b32 v2, v3, v2 :: v_dual_lshrrev_b32 v3, 16, v1
	v_and_or_b32 v2, 0x8000, v3, v2
	global_store_b16 v[6:7], v2, off
.LBB103_811:
	s_mov_b32 s48, 0
.LBB103_812:
	s_delay_alu instid0(SALU_CYCLE_1)
	s_and_not1_b32 vcc_lo, exec_lo, s48
	s_cbranch_vccnz .LBB103_828
; %bb.813:
	s_cmp_lt_i32 s31, 2
	s_mov_b32 s48, -1
	s_cbranch_scc1 .LBB103_823
; %bb.814:
	s_cmp_lt_i32 s31, 3
	s_cbranch_scc1 .LBB103_820
; %bb.815:
	s_cmp_gt_i32 s31, 3
	s_cbranch_scc0 .LBB103_817
; %bb.816:
	s_wait_xcnt 0x0
	s_delay_alu instid0(VALU_DEP_1) | instskip(SKIP_1) | instid1(VALU_DEP_1)
	v_trunc_f64_e32 v[2:3], v[0:1]
	s_mov_b32 s48, 0
	v_ldexp_f64 v[8:9], v[2:3], 0xffffffe0
	s_delay_alu instid0(VALU_DEP_1) | instskip(NEXT) | instid1(VALU_DEP_1)
	v_floor_f64_e32 v[8:9], v[8:9]
	v_fmamk_f64 v[2:3], v[8:9], 0xc1f00000, v[2:3]
	v_cvt_i32_f64_e32 v9, v[8:9]
	s_delay_alu instid0(VALU_DEP_2)
	v_cvt_u32_f64_e32 v8, v[2:3]
	global_store_b64 v[6:7], v[8:9], off
.LBB103_817:
	s_and_not1_b32 vcc_lo, exec_lo, s48
	s_cbranch_vccnz .LBB103_819
; %bb.818:
	s_wait_xcnt 0x0
	s_delay_alu instid0(VALU_DEP_1)
	v_cvt_i32_f64_e32 v2, v[0:1]
	global_store_b32 v[6:7], v2, off
.LBB103_819:
	s_mov_b32 s48, 0
.LBB103_820:
	s_delay_alu instid0(SALU_CYCLE_1)
	s_and_not1_b32 vcc_lo, exec_lo, s48
	s_cbranch_vccnz .LBB103_822
; %bb.821:
	s_wait_xcnt 0x0
	s_delay_alu instid0(VALU_DEP_1)
	v_cvt_i32_f64_e32 v2, v[0:1]
	global_store_b16 v[6:7], v2, off
.LBB103_822:
	s_mov_b32 s48, 0
.LBB103_823:
	s_delay_alu instid0(SALU_CYCLE_1)
	s_and_not1_b32 vcc_lo, exec_lo, s48
	s_cbranch_vccnz .LBB103_828
; %bb.824:
	s_cmp_gt_i32 s31, 0
	s_mov_b32 s31, -1
	s_cbranch_scc0 .LBB103_826
; %bb.825:
	s_wait_xcnt 0x0
	s_delay_alu instid0(VALU_DEP_1)
	v_cvt_i32_f64_e32 v2, v[0:1]
	s_mov_b32 s31, 0
	global_store_b8 v[6:7], v2, off
.LBB103_826:
	s_and_not1_b32 vcc_lo, exec_lo, s31
	s_cbranch_vccnz .LBB103_828
; %bb.827:
	s_wait_xcnt 0x0
	s_delay_alu instid0(VALU_DEP_1) | instskip(NEXT) | instid1(VALU_DEP_1)
	v_trunc_f64_e32 v[0:1], v[0:1]
	v_ldexp_f64 v[2:3], v[0:1], 0xffffffe0
	s_delay_alu instid0(VALU_DEP_1) | instskip(NEXT) | instid1(VALU_DEP_1)
	v_floor_f64_e32 v[2:3], v[2:3]
	v_fmamk_f64 v[0:1], v[2:3], 0xc1f00000, v[0:1]
	s_delay_alu instid0(VALU_DEP_1)
	v_cvt_u32_f64_e32 v0, v[0:1]
	global_store_b8 v[6:7], v0, off
.LBB103_828:
	s_mov_b32 s49, -1
.LBB103_829:
	s_delay_alu instid0(SALU_CYCLE_1)
	s_and_not1_b32 vcc_lo, exec_lo, s49
	s_cbranch_vccnz .LBB103_852
; %bb.830:
	v_add_nc_u32_e32 v4, 0x80, v4
	s_mov_b32 s31, -1
.LBB103_831:
	s_and_not1_b32 s48, s43, exec_lo
	s_and_b32 s0, s0, exec_lo
	s_and_not1_b32 s50, s44, exec_lo
	s_and_b32 s30, s30, exec_lo
	s_or_b32 s49, s48, s0
	s_or_b32 s50, s50, s30
	s_and_not1_b32 s0, s45, exec_lo
	s_and_b32 s28, s28, exec_lo
	s_and_not1_b32 s30, s46, exec_lo
	s_and_b32 s29, s29, exec_lo
	s_or_b32 s51, s0, s28
	s_or_b32 s48, s30, s29
	s_or_not1_b32 s28, s31, exec_lo
.LBB103_832:
	s_wait_xcnt 0x0
	s_or_b32 exec_lo, exec_lo, s52
	s_mov_b32 s0, 0
                                        ; implicit-def: $vgpr0
                                        ; implicit-def: $vgpr8
                                        ; implicit-def: $vgpr2
	s_and_saveexec_b32 s52, s28
	s_cbranch_execz .LBB103_1290
; %bb.833:
	s_mov_b32 s29, -1
	s_mov_b32 s0, s48
	s_mov_b32 s55, s51
	;; [unrolled: 1-line block ×4, first 2 shown]
	s_mov_b32 s53, exec_lo
	v_cmpx_gt_i32_e64 s41, v4
	s_cbranch_execz .LBB103_1254
; %bb.834:
	s_and_not1_b32 vcc_lo, exec_lo, s34
	s_cbranch_vccnz .LBB103_840
; %bb.835:
	s_and_not1_b32 vcc_lo, exec_lo, s42
	s_cbranch_vccnz .LBB103_841
; %bb.836:
	s_wait_loadcnt 0x0
	v_dual_mov_b32 v2, 0 :: v_dual_mov_b32 v1, v4
	v_dual_mov_b32 v0, 0 :: v_dual_mov_b32 v6, 0
	s_add_co_i32 s0, s40, 1
	s_mov_b64 s[28:29], 0xffffffffffffffe0
	s_and_b32 s0, s0, 30
	s_add_nc_u64 s[28:29], s[2:3], s[28:29]
	s_mov_b64 s[30:31], s[2:3]
.LBB103_837:                            ; =>This Inner Loop Header: Depth=1
	s_clause 0x1
	s_load_b128 s[56:59], s[30:31], 0x4
	s_load_b64 s[54:55], s[30:31], 0x14
	s_load_b32 s60, s[28:29], 0xe4
	s_add_co_i32 s0, s0, -2
	s_wait_xcnt 0x0
	s_add_nc_u64 s[30:31], s[30:31], 24
	s_cmp_eq_u32 s0, 0
	s_wait_kmcnt 0x0
	v_mul_hi_u32 v3, s57, v1
	s_delay_alu instid0(VALU_DEP_1) | instskip(NEXT) | instid1(VALU_DEP_1)
	v_add_nc_u32_e32 v3, v1, v3
	v_lshrrev_b32_e32 v3, s58, v3
	s_delay_alu instid0(VALU_DEP_1) | instskip(SKIP_2) | instid1(VALU_DEP_1)
	v_mul_hi_u32 v5, s54, v3
	v_mul_lo_u32 v7, v3, s56
	s_load_b96 s[56:58], s[28:29], 0xec
	v_dual_add_nc_u32 v5, v3, v5 :: v_dual_sub_nc_u32 v7, v1, v7
	s_delay_alu instid0(VALU_DEP_1) | instskip(SKIP_1) | instid1(VALU_DEP_2)
	v_lshrrev_b32_e32 v1, s55, v5
	s_load_b64 s[54:55], s[28:29], 0xfc
	v_mad_u32 v2, v7, s60, v2
	s_wait_xcnt 0x0
	s_add_nc_u64 s[28:29], s[28:29], 32
	v_mul_lo_u32 v5, v1, s59
	s_wait_kmcnt 0x0
	v_mad_u32 v6, v7, s57, v6
	v_mad_u32 v0, v7, s56, v0
	s_delay_alu instid0(VALU_DEP_3) | instskip(NEXT) | instid1(VALU_DEP_1)
	v_sub_nc_u32_e32 v3, v3, v5
	v_mad_u32 v2, v3, s58, v2
	s_delay_alu instid0(VALU_DEP_4) | instskip(NEXT) | instid1(VALU_DEP_4)
	v_mad_u32 v6, v3, s55, v6
	v_mad_u32 v0, v3, s54, v0
	s_cbranch_scc0 .LBB103_837
; %bb.838:
	s_bitcmp1_b32 s40, 0
	s_cselect_b32 s0, -1, 0
	s_delay_alu instid0(SALU_CYCLE_1)
	s_and_b32 vcc_lo, exec_lo, s0
	s_cbranch_vccnz .LBB103_842
; %bb.839:
	s_load_b96 s[56:58], s[30:31], 0x4
	s_load_b32 s0, s[28:29], 0xe4
	s_wait_xcnt 0x0
	s_load_b64 s[30:31], s[28:29], 0xec
	s_wait_kmcnt 0x0
	v_mul_hi_u32 v3, s57, v1
	s_delay_alu instid0(VALU_DEP_1) | instskip(NEXT) | instid1(VALU_DEP_1)
	v_add_nc_u32_e32 v3, v1, v3
	v_lshrrev_b32_e32 v3, s58, v3
	s_delay_alu instid0(VALU_DEP_1) | instskip(NEXT) | instid1(VALU_DEP_1)
	v_mul_lo_u32 v3, v3, s56
	v_sub_nc_u32_e32 v1, v1, v3
	s_delay_alu instid0(VALU_DEP_1)
	v_mad_u32 v2, v1, s0, v2
	v_mad_u32 v0, v1, s30, v0
	;; [unrolled: 1-line block ×3, first 2 shown]
	s_branch .LBB103_842
.LBB103_840:
	s_mov_b32 s0, -1
                                        ; implicit-def: $vgpr6
                                        ; implicit-def: $vgpr0
                                        ; implicit-def: $vgpr2
	s_branch .LBB103_843
.LBB103_841:
	s_wait_loadcnt 0x0
	v_dual_mov_b32 v6, 0 :: v_dual_mov_b32 v0, 0
	v_mov_b32_e32 v2, 0
.LBB103_842:
	s_mov_b32 s0, 0
.LBB103_843:
	s_delay_alu instid0(SALU_CYCLE_1)
	s_and_not1_b32 vcc_lo, exec_lo, s0
	s_cbranch_vccnz .LBB103_846
; %bb.844:
	v_mov_b32_e32 v5, 0
	s_and_not1_b32 vcc_lo, exec_lo, s39
	s_wait_loadcnt 0x0
	s_delay_alu instid0(VALU_DEP_1) | instskip(NEXT) | instid1(VALU_DEP_1)
	v_mul_u64_e32 v[0:1], s[22:23], v[4:5]
	v_add_nc_u32_e32 v0, v4, v1
	s_delay_alu instid0(VALU_DEP_1) | instskip(NEXT) | instid1(VALU_DEP_1)
	v_lshrrev_b32_e32 v8, s10, v0
	v_mul_lo_u32 v0, v8, s8
	s_delay_alu instid0(VALU_DEP_1) | instskip(NEXT) | instid1(VALU_DEP_1)
	v_sub_nc_u32_e32 v0, v4, v0
	v_mul_lo_u32 v2, v0, s38
	v_mul_lo_u32 v6, v0, s17
	;; [unrolled: 1-line block ×3, first 2 shown]
	s_cbranch_vccnz .LBB103_846
; %bb.845:
	v_mov_b32_e32 v9, v5
	s_delay_alu instid0(VALU_DEP_1) | instskip(NEXT) | instid1(VALU_DEP_1)
	v_mul_u64_e32 v[10:11], s[26:27], v[8:9]
	v_add_nc_u32_e32 v1, v8, v11
	s_delay_alu instid0(VALU_DEP_1) | instskip(NEXT) | instid1(VALU_DEP_1)
	v_lshrrev_b32_e32 v1, s1, v1
	v_mul_lo_u32 v1, v1, s11
	s_delay_alu instid0(VALU_DEP_1) | instskip(NEXT) | instid1(VALU_DEP_1)
	v_sub_nc_u32_e32 v1, v8, v1
	v_mad_u32 v2, v1, s18, v2
	v_mad_u32 v0, v1, s24, v0
	;; [unrolled: 1-line block ×3, first 2 shown]
.LBB103_846:
	s_and_b32 s28, s37, 0xff
	s_delay_alu instid0(SALU_CYCLE_1)
	s_cmp_lt_i32 s28, 23
	s_cbranch_scc1 .LBB103_850
; %bb.847:
	s_and_b32 s30, 0xffff, s28
	s_delay_alu instid0(SALU_CYCLE_1)
	s_cmp_gt_i32 s30, 43
	s_cbranch_scc0 .LBB103_851
; %bb.848:
	s_cmp_gt_i32 s30, 45
	s_cbranch_scc0 .LBB103_853
; %bb.849:
	s_cmp_eq_u32 s30, 46
	s_mov_b32 s31, 0
	s_cselect_b32 s0, -1, 0
	s_or_b32 s29, s48, exec_lo
	s_branch .LBB103_854
.LBB103_850:
	s_mov_b32 s30, -1
	s_mov_b32 s0, 0
	s_mov_b32 s29, s48
	s_branch .LBB103_860
.LBB103_851:
	s_mov_b32 s31, -1
	s_mov_b32 s0, 0
	s_mov_b32 s29, s48
	s_branch .LBB103_857
.LBB103_852:
	s_mov_b32 s31, 0
	s_branch .LBB103_452
.LBB103_853:
	s_mov_b32 s31, -1
	s_mov_b32 s0, 0
	s_mov_b32 s29, s48
.LBB103_854:
	s_and_not1_b32 vcc_lo, exec_lo, s31
	s_cbranch_vccnz .LBB103_856
; %bb.855:
	s_cmp_eq_u32 s30, 44
	s_cselect_b32 s0, -1, 0
	s_cmp_lg_u32 s30, 44
	s_cselect_b32 s31, -1, 0
	s_and_not1_b32 s29, s29, exec_lo
	s_and_b32 s31, s31, exec_lo
	s_delay_alu instid0(SALU_CYCLE_1)
	s_or_b32 s29, s29, s31
.LBB103_856:
	s_mov_b32 s31, 0
.LBB103_857:
	s_delay_alu instid0(SALU_CYCLE_1)
	s_and_b32 vcc_lo, exec_lo, s31
	s_cbranch_vccz .LBB103_859
; %bb.858:
	s_cmp_lt_i32 s30, 30
	s_cselect_b32 s0, -1, 0
	s_cmp_gt_i32 s30, 29
	s_cselect_b32 s30, -1, 0
	s_and_not1_b32 s29, s29, exec_lo
	s_and_b32 s30, s30, exec_lo
	s_delay_alu instid0(SALU_CYCLE_1)
	s_or_b32 s29, s29, s30
.LBB103_859:
	s_mov_b32 s30, 0
.LBB103_860:
	s_delay_alu instid0(SALU_CYCLE_1)
	s_and_b32 vcc_lo, exec_lo, s30
	s_cbranch_vccz .LBB103_865
; %bb.861:
	s_and_b32 s28, 0xffff, s28
	s_mov_b32 s30, -1
	s_cmp_gt_i32 s28, 14
	s_cbranch_scc0 .LBB103_863
; %bb.862:
	s_cmp_eq_u32 s28, 15
	s_cselect_b32 s0, -1, 0
	s_cmp_lg_u32 s28, 15
	s_cselect_b32 s30, -1, 0
	s_and_not1_b32 s29, s29, exec_lo
	s_and_b32 s31, s30, exec_lo
	s_mov_b32 s30, 0
	s_or_b32 s29, s29, s31
.LBB103_863:
	s_and_not1_b32 vcc_lo, exec_lo, s30
	s_cbranch_vccnz .LBB103_865
; %bb.864:
	s_cmp_lt_i32 s28, 12
	s_cselect_b32 s0, -1, 0
	s_cmp_gt_i32 s28, 11
	s_cselect_b32 s28, -1, 0
	s_and_not1_b32 s29, s29, exec_lo
	s_and_b32 s28, s28, exec_lo
	s_delay_alu instid0(SALU_CYCLE_1)
	s_or_b32 s29, s29, s28
.LBB103_865:
	s_and_b32 vcc_lo, exec_lo, s0
	s_cbranch_vccz .LBB103_873
; %bb.866:
	s_wait_loadcnt 0x0
	v_mov_b32_e32 v1, 0
	s_and_b32 s0, s36, 0xff
	s_delay_alu instid0(SALU_CYCLE_1) | instskip(NEXT) | instid1(VALU_DEP_1)
	s_cmp_lt_i32 s0, 11
	v_add_nc_u64_e32 v[8:9], s[4:5], v[0:1]
	s_cbranch_scc1 .LBB103_875
; %bb.867:
	s_and_b32 s29, 0xffff, s0
	s_delay_alu instid0(SALU_CYCLE_1)
	s_cmp_gt_i32 s29, 25
	s_cbranch_scc0 .LBB103_876
; %bb.868:
	s_cmp_gt_i32 s29, 28
	s_cbranch_scc0 .LBB103_877
; %bb.869:
	;; [unrolled: 3-line block ×4, first 2 shown]
	s_cmp_eq_u32 s29, 46
	s_mov_b32 s31, 0
	s_cbranch_scc0 .LBB103_882
; %bb.872:
	global_load_b32 v0, v[8:9], off
	s_mov_b32 s30, -1
	s_mov_b32 s28, 0
	s_wait_loadcnt 0x0
	v_lshlrev_b32_e32 v0, 16, v0
	s_delay_alu instid0(VALU_DEP_1)
	v_cvt_f64_f32_e32 v[0:1], v0
	s_branch .LBB103_884
.LBB103_873:
	s_mov_b32 s31, 0
	s_mov_b32 s0, s49
	;; [unrolled: 1-line block ×4, first 2 shown]
.LBB103_874:
                                        ; implicit-def: $vgpr4
	s_branch .LBB103_1253
.LBB103_875:
	s_mov_b32 s29, -1
	s_mov_b32 s30, 0
	s_mov_b32 s28, s51
                                        ; implicit-def: $vgpr0_vgpr1
	s_branch .LBB103_949
.LBB103_876:
	s_mov_b32 s31, -1
	s_mov_b32 s30, 0
	s_mov_b32 s28, s51
                                        ; implicit-def: $vgpr0_vgpr1
	s_branch .LBB103_913
.LBB103_877:
	s_mov_b32 s31, -1
	s_mov_b32 s30, 0
	s_mov_b32 s28, s51
                                        ; implicit-def: $vgpr0_vgpr1
	s_branch .LBB103_894
.LBB103_878:
	s_mov_b32 s31, -1
	s_mov_b32 s30, 0
	s_mov_b32 s28, s51
                                        ; implicit-def: $vgpr0_vgpr1
	s_branch .LBB103_889
.LBB103_879:
	s_mov_b32 s31, -1
	s_mov_b32 s30, 0
	s_mov_b32 s28, s51
	s_branch .LBB103_883
.LBB103_880:
	s_and_not1_saveexec_b32 s51, s51
	s_cbranch_execz .LBB103_742
.LBB103_881:
	v_add_f32_e64 v3, 0x46000000, |v2|
	s_and_not1_b32 s50, s50, exec_lo
	s_delay_alu instid0(VALU_DEP_1) | instskip(NEXT) | instid1(VALU_DEP_1)
	v_and_b32_e32 v3, 0xff, v3
	v_cmp_ne_u32_e32 vcc_lo, 0, v3
	s_and_b32 s53, vcc_lo, exec_lo
	s_delay_alu instid0(SALU_CYCLE_1)
	s_or_b32 s50, s50, s53
	s_or_b32 exec_lo, exec_lo, s51
	v_mov_b32_e32 v5, 0
	s_and_saveexec_b32 s51, s50
	s_cbranch_execnz .LBB103_743
	s_branch .LBB103_744
.LBB103_882:
	s_mov_b32 s28, -1
	s_mov_b32 s30, 0
.LBB103_883:
                                        ; implicit-def: $vgpr0_vgpr1
.LBB103_884:
	s_and_b32 vcc_lo, exec_lo, s31
	s_cbranch_vccz .LBB103_888
; %bb.885:
	s_cmp_eq_u32 s29, 44
	s_cbranch_scc0 .LBB103_887
; %bb.886:
	global_load_u8 v3, v[8:9], off
	s_mov_b32 s28, 0
	s_mov_b32 s30, -1
	s_wait_loadcnt 0x0
	v_cmp_ne_u32_e32 vcc_lo, 0xff, v3
	v_lshlrev_b32_e32 v0, 23, v3
	s_delay_alu instid0(VALU_DEP_1) | instskip(NEXT) | instid1(VALU_DEP_1)
	v_cvt_f64_f32_e32 v[0:1], v0
	v_cndmask_b32_e32 v0, 0x20000000, v0, vcc_lo
	s_delay_alu instid0(VALU_DEP_2) | instskip(SKIP_1) | instid1(VALU_DEP_2)
	v_cndmask_b32_e32 v1, 0x7ff80000, v1, vcc_lo
	v_cmp_ne_u32_e32 vcc_lo, 0, v3
	v_cndmask_b32_e32 v1, 0x38000000, v1, vcc_lo
	s_delay_alu instid0(VALU_DEP_4)
	v_cndmask_b32_e32 v0, 0, v0, vcc_lo
	s_branch .LBB103_888
.LBB103_887:
	s_mov_b32 s28, -1
                                        ; implicit-def: $vgpr0_vgpr1
.LBB103_888:
	s_mov_b32 s31, 0
.LBB103_889:
	s_delay_alu instid0(SALU_CYCLE_1)
	s_and_b32 vcc_lo, exec_lo, s31
	s_cbranch_vccz .LBB103_893
; %bb.890:
	s_cmp_eq_u32 s29, 29
	s_cbranch_scc0 .LBB103_892
; %bb.891:
	global_load_b64 v[0:1], v[8:9], off
	s_mov_b32 s30, -1
	s_mov_b32 s28, 0
	s_mov_b32 s31, 0
	s_wait_loadcnt 0x0
	v_cvt_f64_u32_e32 v[10:11], v1
	v_cvt_f64_u32_e32 v[0:1], v0
	s_delay_alu instid0(VALU_DEP_2) | instskip(NEXT) | instid1(VALU_DEP_1)
	v_ldexp_f64 v[10:11], v[10:11], 32
	v_add_f64_e32 v[0:1], v[10:11], v[0:1]
	s_branch .LBB103_894
.LBB103_892:
	s_mov_b32 s28, -1
                                        ; implicit-def: $vgpr0_vgpr1
.LBB103_893:
	s_mov_b32 s31, 0
.LBB103_894:
	s_delay_alu instid0(SALU_CYCLE_1)
	s_and_b32 vcc_lo, exec_lo, s31
	s_cbranch_vccz .LBB103_912
; %bb.895:
	s_cmp_lt_i32 s29, 27
	s_cbranch_scc1 .LBB103_898
; %bb.896:
	s_cmp_gt_i32 s29, 27
	s_cbranch_scc0 .LBB103_899
; %bb.897:
	global_load_b32 v0, v[8:9], off
	s_mov_b32 s30, 0
	s_wait_loadcnt 0x0
	v_cvt_f64_u32_e32 v[0:1], v0
	s_branch .LBB103_900
.LBB103_898:
	s_mov_b32 s30, -1
                                        ; implicit-def: $vgpr0_vgpr1
	s_branch .LBB103_903
.LBB103_899:
	s_mov_b32 s30, -1
                                        ; implicit-def: $vgpr0_vgpr1
.LBB103_900:
	s_delay_alu instid0(SALU_CYCLE_1)
	s_and_not1_b32 vcc_lo, exec_lo, s30
	s_cbranch_vccnz .LBB103_902
; %bb.901:
	global_load_u16 v0, v[8:9], off
	s_wait_loadcnt 0x0
	v_cvt_f64_u32_e32 v[0:1], v0
.LBB103_902:
	s_mov_b32 s30, 0
.LBB103_903:
	s_delay_alu instid0(SALU_CYCLE_1)
	s_and_not1_b32 vcc_lo, exec_lo, s30
	s_cbranch_vccnz .LBB103_911
; %bb.904:
	global_load_u8 v3, v[8:9], off
	s_mov_b32 s30, 0
	s_mov_b32 s31, exec_lo
	s_wait_loadcnt 0x0
	v_cmpx_lt_i16_e32 0x7f, v3
	s_xor_b32 s31, exec_lo, s31
	s_cbranch_execz .LBB103_925
; %bb.905:
	s_mov_b32 s30, -1
	s_mov_b32 s54, exec_lo
	v_cmpx_eq_u16_e32 0x80, v3
; %bb.906:
	s_xor_b32 s30, exec_lo, -1
; %bb.907:
	s_or_b32 exec_lo, exec_lo, s54
	s_delay_alu instid0(SALU_CYCLE_1)
	s_and_b32 s30, s30, exec_lo
	s_or_saveexec_b32 s31, s31
	v_mov_b64_e32 v[0:1], 0x7ff8000020000000
	s_xor_b32 exec_lo, exec_lo, s31
	s_cbranch_execnz .LBB103_926
.LBB103_908:
	s_or_b32 exec_lo, exec_lo, s31
	s_and_saveexec_b32 s31, s30
	s_cbranch_execz .LBB103_910
.LBB103_909:
	v_and_b32_e32 v0, 0xffff, v3
	s_delay_alu instid0(VALU_DEP_1) | instskip(SKIP_1) | instid1(VALU_DEP_2)
	v_and_b32_e32 v1, 7, v0
	v_bfe_u32 v10, v0, 3, 4
	v_clz_i32_u32_e32 v5, v1
	s_delay_alu instid0(VALU_DEP_2) | instskip(NEXT) | instid1(VALU_DEP_2)
	v_cmp_eq_u32_e32 vcc_lo, 0, v10
	v_min_u32_e32 v5, 32, v5
	s_delay_alu instid0(VALU_DEP_1) | instskip(NEXT) | instid1(VALU_DEP_1)
	v_subrev_nc_u32_e32 v7, 28, v5
	v_dual_lshlrev_b32 v0, v7, v0 :: v_dual_sub_nc_u32 v5, 29, v5
	s_delay_alu instid0(VALU_DEP_1) | instskip(NEXT) | instid1(VALU_DEP_1)
	v_dual_lshlrev_b32 v3, 24, v3 :: v_dual_bitop2_b32 v0, 7, v0 bitop3:0x40
	v_dual_cndmask_b32 v5, v10, v5 :: v_dual_cndmask_b32 v0, v1, v0
	s_delay_alu instid0(VALU_DEP_2) | instskip(NEXT) | instid1(VALU_DEP_2)
	v_and_b32_e32 v1, 0x80000000, v3
	v_lshl_add_u32 v3, v5, 23, 0x3b800000
	s_delay_alu instid0(VALU_DEP_3) | instskip(NEXT) | instid1(VALU_DEP_1)
	v_lshlrev_b32_e32 v0, 20, v0
	v_or3_b32 v0, v1, v3, v0
	s_delay_alu instid0(VALU_DEP_1)
	v_cvt_f64_f32_e32 v[0:1], v0
.LBB103_910:
	s_or_b32 exec_lo, exec_lo, s31
.LBB103_911:
	s_mov_b32 s30, -1
.LBB103_912:
	s_mov_b32 s31, 0
.LBB103_913:
	s_delay_alu instid0(SALU_CYCLE_1)
	s_and_b32 vcc_lo, exec_lo, s31
	s_cbranch_vccz .LBB103_948
; %bb.914:
	s_cmp_gt_i32 s29, 22
	s_cbranch_scc0 .LBB103_924
; %bb.915:
	s_cmp_lt_i32 s29, 24
	s_cbranch_scc1 .LBB103_927
; %bb.916:
	s_cmp_gt_i32 s29, 24
	s_cbranch_scc0 .LBB103_928
; %bb.917:
	global_load_u8 v3, v[8:9], off
	s_mov_b32 s30, 0
	s_mov_b32 s31, exec_lo
	s_wait_loadcnt 0x0
	v_cmpx_lt_i16_e32 0x7f, v3
	s_xor_b32 s31, exec_lo, s31
	s_cbranch_execz .LBB103_940
; %bb.918:
	s_mov_b32 s30, -1
	s_mov_b32 s54, exec_lo
	v_cmpx_eq_u16_e32 0x80, v3
; %bb.919:
	s_xor_b32 s30, exec_lo, -1
; %bb.920:
	s_or_b32 exec_lo, exec_lo, s54
	s_delay_alu instid0(SALU_CYCLE_1)
	s_and_b32 s30, s30, exec_lo
	s_or_saveexec_b32 s31, s31
	v_mov_b64_e32 v[0:1], 0x7ff8000020000000
	s_xor_b32 exec_lo, exec_lo, s31
	s_cbranch_execnz .LBB103_941
.LBB103_921:
	s_or_b32 exec_lo, exec_lo, s31
	s_and_saveexec_b32 s31, s30
	s_cbranch_execz .LBB103_923
.LBB103_922:
	v_and_b32_e32 v0, 0xffff, v3
	s_delay_alu instid0(VALU_DEP_1) | instskip(SKIP_1) | instid1(VALU_DEP_2)
	v_and_b32_e32 v1, 3, v0
	v_bfe_u32 v10, v0, 2, 5
	v_clz_i32_u32_e32 v5, v1
	s_delay_alu instid0(VALU_DEP_2) | instskip(NEXT) | instid1(VALU_DEP_2)
	v_cmp_eq_u32_e32 vcc_lo, 0, v10
	v_min_u32_e32 v5, 32, v5
	s_delay_alu instid0(VALU_DEP_1) | instskip(NEXT) | instid1(VALU_DEP_1)
	v_subrev_nc_u32_e32 v7, 29, v5
	v_dual_lshlrev_b32 v0, v7, v0 :: v_dual_sub_nc_u32 v5, 30, v5
	s_delay_alu instid0(VALU_DEP_1) | instskip(NEXT) | instid1(VALU_DEP_1)
	v_dual_lshlrev_b32 v3, 24, v3 :: v_dual_bitop2_b32 v0, 3, v0 bitop3:0x40
	v_dual_cndmask_b32 v5, v10, v5 :: v_dual_cndmask_b32 v0, v1, v0
	s_delay_alu instid0(VALU_DEP_2) | instskip(NEXT) | instid1(VALU_DEP_2)
	v_and_b32_e32 v1, 0x80000000, v3
	v_lshl_add_u32 v3, v5, 23, 0x37800000
	s_delay_alu instid0(VALU_DEP_3) | instskip(NEXT) | instid1(VALU_DEP_1)
	v_lshlrev_b32_e32 v0, 21, v0
	v_or3_b32 v0, v1, v3, v0
	s_delay_alu instid0(VALU_DEP_1)
	v_cvt_f64_f32_e32 v[0:1], v0
.LBB103_923:
	s_or_b32 exec_lo, exec_lo, s31
	s_mov_b32 s30, 0
	s_branch .LBB103_929
.LBB103_924:
	s_mov_b32 s31, -1
                                        ; implicit-def: $vgpr0_vgpr1
	s_branch .LBB103_935
.LBB103_925:
	s_or_saveexec_b32 s31, s31
	v_mov_b64_e32 v[0:1], 0x7ff8000020000000
	s_xor_b32 exec_lo, exec_lo, s31
	s_cbranch_execz .LBB103_908
.LBB103_926:
	v_cmp_ne_u16_e32 vcc_lo, 0, v3
	v_mov_b64_e32 v[0:1], 0
	s_and_not1_b32 s30, s30, exec_lo
	s_and_b32 s54, vcc_lo, exec_lo
	s_delay_alu instid0(SALU_CYCLE_1)
	s_or_b32 s30, s30, s54
	s_or_b32 exec_lo, exec_lo, s31
	s_and_saveexec_b32 s31, s30
	s_cbranch_execnz .LBB103_909
	s_branch .LBB103_910
.LBB103_927:
	s_mov_b32 s30, -1
                                        ; implicit-def: $vgpr0_vgpr1
	s_branch .LBB103_932
.LBB103_928:
	s_mov_b32 s30, -1
                                        ; implicit-def: $vgpr0_vgpr1
.LBB103_929:
	s_delay_alu instid0(SALU_CYCLE_1)
	s_and_b32 vcc_lo, exec_lo, s30
	s_cbranch_vccz .LBB103_931
; %bb.930:
	global_load_u8 v0, v[8:9], off
	s_wait_loadcnt 0x0
	v_lshlrev_b32_e32 v0, 24, v0
	s_delay_alu instid0(VALU_DEP_1) | instskip(NEXT) | instid1(VALU_DEP_1)
	v_and_b32_e32 v1, 0x7f000000, v0
	v_clz_i32_u32_e32 v3, v1
	v_add_nc_u32_e32 v7, 0x1000000, v1
	v_cmp_ne_u32_e32 vcc_lo, 0, v1
	s_delay_alu instid0(VALU_DEP_3) | instskip(NEXT) | instid1(VALU_DEP_1)
	v_min_u32_e32 v3, 32, v3
	v_sub_nc_u32_e64 v3, v3, 4 clamp
	s_delay_alu instid0(VALU_DEP_1) | instskip(NEXT) | instid1(VALU_DEP_1)
	v_dual_lshlrev_b32 v5, v3, v1 :: v_dual_lshlrev_b32 v3, 23, v3
	v_lshrrev_b32_e32 v5, 4, v5
	s_delay_alu instid0(VALU_DEP_1) | instskip(SKIP_1) | instid1(VALU_DEP_2)
	v_sub_nc_u32_e32 v3, v5, v3
	v_ashrrev_i32_e32 v5, 8, v7
	v_add_nc_u32_e32 v3, 0x3c000000, v3
	s_delay_alu instid0(VALU_DEP_1) | instskip(NEXT) | instid1(VALU_DEP_1)
	v_and_or_b32 v3, 0x7f800000, v5, v3
	v_cndmask_b32_e32 v1, 0, v3, vcc_lo
	s_delay_alu instid0(VALU_DEP_1) | instskip(NEXT) | instid1(VALU_DEP_1)
	v_and_or_b32 v0, 0x80000000, v0, v1
	v_cvt_f64_f32_e32 v[0:1], v0
.LBB103_931:
	s_mov_b32 s30, 0
.LBB103_932:
	s_delay_alu instid0(SALU_CYCLE_1)
	s_and_not1_b32 vcc_lo, exec_lo, s30
	s_cbranch_vccnz .LBB103_934
; %bb.933:
	global_load_u8 v0, v[8:9], off
	s_wait_loadcnt 0x0
	v_lshlrev_b32_e32 v1, 25, v0
	v_lshlrev_b16 v0, 8, v0
	s_delay_alu instid0(VALU_DEP_1) | instskip(SKIP_1) | instid1(VALU_DEP_2)
	v_and_or_b32 v5, 0x7f00, v0, 0.5
	v_bfe_i32 v0, v0, 0, 16
	v_add_f32_e32 v5, -0.5, v5
	v_lshrrev_b32_e32 v3, 4, v1
	v_cmp_gt_u32_e32 vcc_lo, 0x8000000, v1
	s_delay_alu instid0(VALU_DEP_2) | instskip(NEXT) | instid1(VALU_DEP_1)
	v_or_b32_e32 v3, 0x70000000, v3
	v_mul_f32_e32 v3, 0x7800000, v3
	s_delay_alu instid0(VALU_DEP_1) | instskip(NEXT) | instid1(VALU_DEP_1)
	v_cndmask_b32_e32 v1, v3, v5, vcc_lo
	v_and_or_b32 v0, 0x80000000, v0, v1
	s_delay_alu instid0(VALU_DEP_1)
	v_cvt_f64_f32_e32 v[0:1], v0
.LBB103_934:
	s_mov_b32 s31, 0
	s_mov_b32 s30, -1
.LBB103_935:
	s_and_not1_b32 vcc_lo, exec_lo, s31
	s_cbranch_vccnz .LBB103_948
; %bb.936:
	s_cmp_gt_i32 s29, 14
	s_cbranch_scc0 .LBB103_939
; %bb.937:
	s_cmp_eq_u32 s29, 15
	s_cbranch_scc0 .LBB103_942
; %bb.938:
	global_load_u16 v0, v[8:9], off
	s_mov_b32 s30, -1
	s_mov_b32 s28, 0
	s_wait_loadcnt 0x0
	v_lshlrev_b32_e32 v0, 16, v0
	s_delay_alu instid0(VALU_DEP_1)
	v_cvt_f64_f32_e32 v[0:1], v0
	s_branch .LBB103_943
.LBB103_939:
	s_mov_b32 s31, -1
                                        ; implicit-def: $vgpr0_vgpr1
	s_branch .LBB103_944
.LBB103_940:
	s_or_saveexec_b32 s31, s31
	v_mov_b64_e32 v[0:1], 0x7ff8000020000000
	s_xor_b32 exec_lo, exec_lo, s31
	s_cbranch_execz .LBB103_921
.LBB103_941:
	v_cmp_ne_u16_e32 vcc_lo, 0, v3
	v_mov_b64_e32 v[0:1], 0
	s_and_not1_b32 s30, s30, exec_lo
	s_and_b32 s54, vcc_lo, exec_lo
	s_delay_alu instid0(SALU_CYCLE_1)
	s_or_b32 s30, s30, s54
	s_or_b32 exec_lo, exec_lo, s31
	s_and_saveexec_b32 s31, s30
	s_cbranch_execnz .LBB103_922
	s_branch .LBB103_923
.LBB103_942:
	s_mov_b32 s28, -1
                                        ; implicit-def: $vgpr0_vgpr1
.LBB103_943:
	s_mov_b32 s31, 0
.LBB103_944:
	s_delay_alu instid0(SALU_CYCLE_1)
	s_and_b32 vcc_lo, exec_lo, s31
	s_cbranch_vccz .LBB103_948
; %bb.945:
	s_cmp_eq_u32 s29, 11
	s_cbranch_scc0 .LBB103_947
; %bb.946:
	global_load_u8 v0, v[8:9], off
	s_mov_b32 s28, 0
	s_mov_b32 s30, -1
	s_wait_loadcnt 0x0
	v_cmp_ne_u16_e32 vcc_lo, 0, v0
	v_mov_b32_e32 v0, 0
	v_cndmask_b32_e64 v1, 0, 0x3ff00000, vcc_lo
	s_branch .LBB103_948
.LBB103_947:
	s_mov_b32 s28, -1
                                        ; implicit-def: $vgpr0_vgpr1
.LBB103_948:
	s_mov_b32 s29, 0
.LBB103_949:
	s_delay_alu instid0(SALU_CYCLE_1)
	s_and_b32 vcc_lo, exec_lo, s29
	s_cbranch_vccz .LBB103_998
; %bb.950:
	s_and_b32 s0, 0xffff, s0
	s_delay_alu instid0(SALU_CYCLE_1)
	s_cmp_lt_i32 s0, 5
	s_cbranch_scc1 .LBB103_955
; %bb.951:
	s_cmp_lt_i32 s0, 8
	s_cbranch_scc1 .LBB103_956
; %bb.952:
	;; [unrolled: 3-line block ×3, first 2 shown]
	s_cmp_gt_i32 s0, 9
	s_cbranch_scc0 .LBB103_958
; %bb.954:
	global_load_b64 v[0:1], v[8:9], off
	s_mov_b32 s29, 0
	s_branch .LBB103_959
.LBB103_955:
	s_mov_b32 s29, -1
                                        ; implicit-def: $vgpr0_vgpr1
	s_branch .LBB103_977
.LBB103_956:
	s_mov_b32 s29, -1
                                        ; implicit-def: $vgpr0_vgpr1
	s_branch .LBB103_965
.LBB103_957:
	s_mov_b32 s29, -1
                                        ; implicit-def: $vgpr0_vgpr1
	s_branch .LBB103_962
.LBB103_958:
	s_mov_b32 s29, -1
                                        ; implicit-def: $vgpr0_vgpr1
.LBB103_959:
	s_delay_alu instid0(SALU_CYCLE_1)
	s_and_not1_b32 vcc_lo, exec_lo, s29
	s_cbranch_vccnz .LBB103_961
; %bb.960:
	s_wait_loadcnt 0x0
	global_load_b32 v0, v[8:9], off
	s_wait_loadcnt 0x0
	v_cvt_f64_f32_e32 v[0:1], v0
.LBB103_961:
	s_mov_b32 s29, 0
.LBB103_962:
	s_delay_alu instid0(SALU_CYCLE_1)
	s_and_not1_b32 vcc_lo, exec_lo, s29
	s_cbranch_vccnz .LBB103_964
; %bb.963:
	s_wait_loadcnt 0x0
	global_load_b32 v0, v[8:9], off
	s_wait_loadcnt 0x0
	v_cvt_f32_f16_e32 v0, v0
	s_delay_alu instid0(VALU_DEP_1)
	v_cvt_f64_f32_e32 v[0:1], v0
.LBB103_964:
	s_mov_b32 s29, 0
.LBB103_965:
	s_delay_alu instid0(SALU_CYCLE_1)
	s_and_not1_b32 vcc_lo, exec_lo, s29
	s_cbranch_vccnz .LBB103_976
; %bb.966:
	s_cmp_lt_i32 s0, 6
	s_cbranch_scc1 .LBB103_969
; %bb.967:
	s_cmp_gt_i32 s0, 6
	s_cbranch_scc0 .LBB103_970
; %bb.968:
	s_wait_loadcnt 0x0
	global_load_b64 v[0:1], v[8:9], off
	s_mov_b32 s29, 0
	s_branch .LBB103_971
.LBB103_969:
	s_mov_b32 s29, -1
                                        ; implicit-def: $vgpr0_vgpr1
	s_branch .LBB103_974
.LBB103_970:
	s_mov_b32 s29, -1
                                        ; implicit-def: $vgpr0_vgpr1
.LBB103_971:
	s_delay_alu instid0(SALU_CYCLE_1)
	s_and_not1_b32 vcc_lo, exec_lo, s29
	s_cbranch_vccnz .LBB103_973
; %bb.972:
	s_wait_loadcnt 0x0
	global_load_b32 v0, v[8:9], off
	s_wait_loadcnt 0x0
	v_cvt_f64_f32_e32 v[0:1], v0
.LBB103_973:
	s_mov_b32 s29, 0
.LBB103_974:
	s_delay_alu instid0(SALU_CYCLE_1)
	s_and_not1_b32 vcc_lo, exec_lo, s29
	s_cbranch_vccnz .LBB103_976
; %bb.975:
	s_wait_loadcnt 0x0
	global_load_u16 v0, v[8:9], off
	s_wait_loadcnt 0x0
	v_cvt_f32_f16_e32 v0, v0
	s_delay_alu instid0(VALU_DEP_1)
	v_cvt_f64_f32_e32 v[0:1], v0
.LBB103_976:
	s_mov_b32 s29, 0
.LBB103_977:
	s_delay_alu instid0(SALU_CYCLE_1)
	s_and_not1_b32 vcc_lo, exec_lo, s29
	s_cbranch_vccnz .LBB103_997
; %bb.978:
	s_cmp_lt_i32 s0, 2
	s_cbranch_scc1 .LBB103_982
; %bb.979:
	s_cmp_lt_i32 s0, 3
	s_cbranch_scc1 .LBB103_983
; %bb.980:
	s_cmp_gt_i32 s0, 3
	s_cbranch_scc0 .LBB103_984
; %bb.981:
	s_wait_loadcnt 0x0
	global_load_b64 v[0:1], v[8:9], off
	s_mov_b32 s29, 0
	s_wait_loadcnt 0x0
	v_cvt_f64_i32_e32 v[10:11], v1
	v_cvt_f64_u32_e32 v[0:1], v0
	s_delay_alu instid0(VALU_DEP_2) | instskip(NEXT) | instid1(VALU_DEP_1)
	v_ldexp_f64 v[10:11], v[10:11], 32
	v_add_f64_e32 v[0:1], v[10:11], v[0:1]
	s_branch .LBB103_985
.LBB103_982:
	s_mov_b32 s29, -1
                                        ; implicit-def: $vgpr0_vgpr1
	s_branch .LBB103_991
.LBB103_983:
	s_mov_b32 s29, -1
                                        ; implicit-def: $vgpr0_vgpr1
	s_branch .LBB103_988
.LBB103_984:
	s_mov_b32 s29, -1
                                        ; implicit-def: $vgpr0_vgpr1
.LBB103_985:
	s_delay_alu instid0(SALU_CYCLE_1)
	s_and_not1_b32 vcc_lo, exec_lo, s29
	s_cbranch_vccnz .LBB103_987
; %bb.986:
	s_wait_loadcnt 0x0
	global_load_b32 v0, v[8:9], off
	s_wait_loadcnt 0x0
	v_cvt_f64_i32_e32 v[0:1], v0
.LBB103_987:
	s_mov_b32 s29, 0
.LBB103_988:
	s_delay_alu instid0(SALU_CYCLE_1)
	s_and_not1_b32 vcc_lo, exec_lo, s29
	s_cbranch_vccnz .LBB103_990
; %bb.989:
	s_wait_loadcnt 0x0
	global_load_i16 v0, v[8:9], off
	s_wait_loadcnt 0x0
	v_cvt_f64_i32_e32 v[0:1], v0
.LBB103_990:
	s_mov_b32 s29, 0
.LBB103_991:
	s_delay_alu instid0(SALU_CYCLE_1)
	s_and_not1_b32 vcc_lo, exec_lo, s29
	s_cbranch_vccnz .LBB103_997
; %bb.992:
	s_cmp_gt_i32 s0, 0
	s_mov_b32 s0, 0
	s_cbranch_scc0 .LBB103_994
; %bb.993:
	s_wait_loadcnt 0x0
	global_load_i8 v0, v[8:9], off
	s_wait_loadcnt 0x0
	v_cvt_f64_i32_e32 v[0:1], v0
	s_branch .LBB103_995
.LBB103_994:
	s_mov_b32 s0, -1
                                        ; implicit-def: $vgpr0_vgpr1
.LBB103_995:
	s_delay_alu instid0(SALU_CYCLE_1)
	s_and_not1_b32 vcc_lo, exec_lo, s0
	s_cbranch_vccnz .LBB103_997
; %bb.996:
	s_wait_loadcnt 0x0
	global_load_u8 v0, v[8:9], off
	s_wait_loadcnt 0x0
	v_cvt_f64_u32_e32 v[0:1], v0
.LBB103_997:
	s_mov_b32 s30, -1
.LBB103_998:
	s_mov_b32 s29, 0
	s_mov_b32 s0, s49
	s_and_not1_b32 vcc_lo, exec_lo, s30
	s_mov_b32 s30, s50
	s_mov_b32 s31, 0
	s_cbranch_vccnz .LBB103_1253
; %bb.999:
	v_mov_b32_e32 v7, 0
	s_and_b32 s0, 0xffff, s9
	s_delay_alu instid0(SALU_CYCLE_1) | instskip(NEXT) | instid1(VALU_DEP_1)
	s_cmp_lt_i32 s0, 11
	v_add_nc_u64_e32 v[6:7], s[6:7], v[6:7]
	s_cbranch_scc1 .LBB103_1006
; %bb.1000:
	s_cmp_gt_i32 s0, 25
	s_cbranch_scc0 .LBB103_1007
; %bb.1001:
	s_cmp_gt_i32 s0, 28
	s_cbranch_scc0 .LBB103_1008
	;; [unrolled: 3-line block ×4, first 2 shown]
; %bb.1004:
	s_cmp_eq_u32 s0, 46
	s_mov_b32 s54, 0
	s_cbranch_scc0 .LBB103_1013
; %bb.1005:
	global_load_b32 v3, v[6:7], off
	s_mov_b32 s31, -1
	s_mov_b32 s30, 0
	s_wait_loadcnt 0x0
	v_lshlrev_b32_e32 v3, 16, v3
	s_wait_xcnt 0x1
	s_delay_alu instid0(VALU_DEP_1)
	v_cvt_f64_f32_e32 v[8:9], v3
	s_branch .LBB103_1015
.LBB103_1006:
	s_mov_b32 s54, -1
	s_mov_b32 s30, s50
                                        ; implicit-def: $vgpr8_vgpr9
	s_branch .LBB103_1080
.LBB103_1007:
	s_mov_b32 s54, -1
	s_mov_b32 s30, s50
                                        ; implicit-def: $vgpr8_vgpr9
	s_branch .LBB103_1044
.LBB103_1008:
	s_mov_b32 s54, -1
	s_mov_b32 s30, s50
                                        ; implicit-def: $vgpr8_vgpr9
	s_branch .LBB103_1025
.LBB103_1009:
	s_mov_b32 s54, -1
	s_mov_b32 s30, s50
                                        ; implicit-def: $vgpr8_vgpr9
	s_branch .LBB103_1020
.LBB103_1010:
	s_mov_b32 s54, -1
	s_mov_b32 s30, s50
	s_branch .LBB103_1014
.LBB103_1011:
	s_and_not1_saveexec_b32 s51, s51
	s_cbranch_execz .LBB103_755
.LBB103_1012:
	v_add_f32_e64 v3, 0x42800000, |v2|
	s_and_not1_b32 s50, s50, exec_lo
	s_delay_alu instid0(VALU_DEP_1) | instskip(NEXT) | instid1(VALU_DEP_1)
	v_and_b32_e32 v3, 0xff, v3
	v_cmp_ne_u32_e32 vcc_lo, 0, v3
	s_and_b32 s53, vcc_lo, exec_lo
	s_delay_alu instid0(SALU_CYCLE_1)
	s_or_b32 s50, s50, s53
	s_or_b32 exec_lo, exec_lo, s51
	v_mov_b32_e32 v5, 0
	s_and_saveexec_b32 s51, s50
	s_cbranch_execnz .LBB103_756
	s_branch .LBB103_757
.LBB103_1013:
	s_mov_b32 s30, -1
.LBB103_1014:
                                        ; implicit-def: $vgpr8_vgpr9
.LBB103_1015:
	s_and_b32 vcc_lo, exec_lo, s54
	s_cbranch_vccz .LBB103_1019
; %bb.1016:
	s_cmp_eq_u32 s0, 44
	s_cbranch_scc0 .LBB103_1018
; %bb.1017:
	global_load_u8 v3, v[6:7], off
	s_mov_b32 s30, 0
	s_mov_b32 s31, -1
	s_wait_loadcnt 0x0
	v_cmp_ne_u32_e32 vcc_lo, 0xff, v3
	v_lshlrev_b32_e32 v5, 23, v3
	s_wait_xcnt 0x1
	s_delay_alu instid0(VALU_DEP_1) | instskip(NEXT) | instid1(VALU_DEP_1)
	v_cvt_f64_f32_e32 v[8:9], v5
	v_cndmask_b32_e32 v5, 0x20000000, v8, vcc_lo
	s_delay_alu instid0(VALU_DEP_2) | instskip(SKIP_1) | instid1(VALU_DEP_2)
	v_cndmask_b32_e32 v8, 0x7ff80000, v9, vcc_lo
	v_cmp_ne_u32_e32 vcc_lo, 0, v3
	v_cndmask_b32_e32 v9, 0x38000000, v8, vcc_lo
	s_delay_alu instid0(VALU_DEP_4)
	v_cndmask_b32_e32 v8, 0, v5, vcc_lo
	s_branch .LBB103_1019
.LBB103_1018:
	s_mov_b32 s30, -1
                                        ; implicit-def: $vgpr8_vgpr9
.LBB103_1019:
	s_mov_b32 s54, 0
.LBB103_1020:
	s_delay_alu instid0(SALU_CYCLE_1)
	s_and_b32 vcc_lo, exec_lo, s54
	s_cbranch_vccz .LBB103_1024
; %bb.1021:
	s_cmp_eq_u32 s0, 29
	s_cbranch_scc0 .LBB103_1023
; %bb.1022:
	global_load_b64 v[8:9], v[6:7], off
	s_mov_b32 s31, -1
	s_mov_b32 s30, 0
	s_mov_b32 s54, 0
	s_wait_loadcnt 0x0
	v_cvt_f64_u32_e32 v[10:11], v9
	v_cvt_f64_u32_e32 v[8:9], v8
	s_delay_alu instid0(VALU_DEP_2) | instskip(NEXT) | instid1(VALU_DEP_1)
	v_ldexp_f64 v[10:11], v[10:11], 32
	v_add_f64_e32 v[8:9], v[10:11], v[8:9]
	s_branch .LBB103_1025
.LBB103_1023:
	s_mov_b32 s30, -1
                                        ; implicit-def: $vgpr8_vgpr9
.LBB103_1024:
	s_mov_b32 s54, 0
.LBB103_1025:
	s_delay_alu instid0(SALU_CYCLE_1)
	s_and_b32 vcc_lo, exec_lo, s54
	s_cbranch_vccz .LBB103_1043
; %bb.1026:
	s_cmp_lt_i32 s0, 27
	s_cbranch_scc1 .LBB103_1029
; %bb.1027:
	s_cmp_gt_i32 s0, 27
	s_cbranch_scc0 .LBB103_1030
; %bb.1028:
	global_load_b32 v3, v[6:7], off
	s_mov_b32 s31, 0
	s_wait_loadcnt 0x0
	s_wait_xcnt 0x1
	v_cvt_f64_u32_e32 v[8:9], v3
	s_branch .LBB103_1031
.LBB103_1029:
	s_mov_b32 s31, -1
                                        ; implicit-def: $vgpr8_vgpr9
	s_branch .LBB103_1034
.LBB103_1030:
	s_mov_b32 s31, -1
                                        ; implicit-def: $vgpr8_vgpr9
.LBB103_1031:
	s_delay_alu instid0(SALU_CYCLE_1)
	s_and_not1_b32 vcc_lo, exec_lo, s31
	s_cbranch_vccnz .LBB103_1033
; %bb.1032:
	global_load_u16 v3, v[6:7], off
	s_wait_loadcnt 0x0
	s_wait_xcnt 0x1
	v_cvt_f64_u32_e32 v[8:9], v3
.LBB103_1033:
	s_mov_b32 s31, 0
.LBB103_1034:
	s_delay_alu instid0(SALU_CYCLE_1)
	s_and_not1_b32 vcc_lo, exec_lo, s31
	s_cbranch_vccnz .LBB103_1042
; %bb.1035:
	global_load_u8 v3, v[6:7], off
	s_mov_b32 s31, 0
	s_mov_b32 s54, exec_lo
	s_wait_loadcnt 0x0
	v_cmpx_lt_i16_e32 0x7f, v3
	s_xor_b32 s54, exec_lo, s54
	s_cbranch_execz .LBB103_1056
; %bb.1036:
	s_mov_b32 s31, -1
	s_mov_b32 s55, exec_lo
	v_cmpx_eq_u16_e32 0x80, v3
; %bb.1037:
	s_xor_b32 s31, exec_lo, -1
; %bb.1038:
	s_or_b32 exec_lo, exec_lo, s55
	s_delay_alu instid0(SALU_CYCLE_1)
	s_and_b32 s31, s31, exec_lo
	s_or_saveexec_b32 s54, s54
	v_mov_b64_e32 v[8:9], 0x7ff8000020000000
	s_xor_b32 exec_lo, exec_lo, s54
	s_cbranch_execnz .LBB103_1057
.LBB103_1039:
	s_or_b32 exec_lo, exec_lo, s54
	s_and_saveexec_b32 s54, s31
	s_cbranch_execz .LBB103_1041
.LBB103_1040:
	v_and_b32_e32 v5, 0xffff, v3
	s_delay_alu instid0(VALU_DEP_1) | instskip(SKIP_1) | instid1(VALU_DEP_2)
	v_dual_lshlrev_b32 v3, 24, v3 :: v_dual_bitop2_b32 v8, 7, v5 bitop3:0x40
	v_bfe_u32 v11, v5, 3, 4
	v_and_b32_e32 v3, 0x80000000, v3
	s_delay_alu instid0(VALU_DEP_3) | instskip(NEXT) | instid1(VALU_DEP_3)
	v_clz_i32_u32_e32 v9, v8
	v_cmp_eq_u32_e32 vcc_lo, 0, v11
	s_delay_alu instid0(VALU_DEP_2) | instskip(NEXT) | instid1(VALU_DEP_1)
	v_min_u32_e32 v9, 32, v9
	v_subrev_nc_u32_e32 v10, 28, v9
	v_sub_nc_u32_e32 v9, 29, v9
	s_delay_alu instid0(VALU_DEP_2) | instskip(NEXT) | instid1(VALU_DEP_2)
	v_lshlrev_b32_e32 v5, v10, v5
	v_cndmask_b32_e32 v9, v11, v9, vcc_lo
	s_delay_alu instid0(VALU_DEP_2) | instskip(NEXT) | instid1(VALU_DEP_1)
	v_and_b32_e32 v5, 7, v5
	v_cndmask_b32_e32 v5, v8, v5, vcc_lo
	s_delay_alu instid0(VALU_DEP_3) | instskip(NEXT) | instid1(VALU_DEP_2)
	v_lshl_add_u32 v8, v9, 23, 0x3b800000
	v_lshlrev_b32_e32 v5, 20, v5
	s_delay_alu instid0(VALU_DEP_1) | instskip(NEXT) | instid1(VALU_DEP_1)
	v_or3_b32 v3, v3, v8, v5
	v_cvt_f64_f32_e32 v[8:9], v3
.LBB103_1041:
	s_or_b32 exec_lo, exec_lo, s54
.LBB103_1042:
	s_mov_b32 s31, -1
.LBB103_1043:
	s_mov_b32 s54, 0
.LBB103_1044:
	s_delay_alu instid0(SALU_CYCLE_1)
	s_and_b32 vcc_lo, exec_lo, s54
	s_cbranch_vccz .LBB103_1079
; %bb.1045:
	s_cmp_gt_i32 s0, 22
	s_cbranch_scc0 .LBB103_1055
; %bb.1046:
	s_cmp_lt_i32 s0, 24
	s_cbranch_scc1 .LBB103_1058
; %bb.1047:
	s_cmp_gt_i32 s0, 24
	s_cbranch_scc0 .LBB103_1059
; %bb.1048:
	global_load_u8 v3, v[6:7], off
	s_mov_b32 s31, 0
	s_mov_b32 s54, exec_lo
	s_wait_loadcnt 0x0
	v_cmpx_lt_i16_e32 0x7f, v3
	s_xor_b32 s54, exec_lo, s54
	s_cbranch_execz .LBB103_1071
; %bb.1049:
	s_mov_b32 s31, -1
	s_mov_b32 s55, exec_lo
	v_cmpx_eq_u16_e32 0x80, v3
; %bb.1050:
	s_xor_b32 s31, exec_lo, -1
; %bb.1051:
	s_or_b32 exec_lo, exec_lo, s55
	s_delay_alu instid0(SALU_CYCLE_1)
	s_and_b32 s31, s31, exec_lo
	s_or_saveexec_b32 s54, s54
	v_mov_b64_e32 v[8:9], 0x7ff8000020000000
	s_xor_b32 exec_lo, exec_lo, s54
	s_cbranch_execnz .LBB103_1072
.LBB103_1052:
	s_or_b32 exec_lo, exec_lo, s54
	s_and_saveexec_b32 s54, s31
	s_cbranch_execz .LBB103_1054
.LBB103_1053:
	v_and_b32_e32 v5, 0xffff, v3
	s_delay_alu instid0(VALU_DEP_1) | instskip(SKIP_1) | instid1(VALU_DEP_2)
	v_dual_lshlrev_b32 v3, 24, v3 :: v_dual_bitop2_b32 v8, 3, v5 bitop3:0x40
	v_bfe_u32 v11, v5, 2, 5
	v_and_b32_e32 v3, 0x80000000, v3
	s_delay_alu instid0(VALU_DEP_3) | instskip(NEXT) | instid1(VALU_DEP_3)
	v_clz_i32_u32_e32 v9, v8
	v_cmp_eq_u32_e32 vcc_lo, 0, v11
	s_delay_alu instid0(VALU_DEP_2) | instskip(NEXT) | instid1(VALU_DEP_1)
	v_min_u32_e32 v9, 32, v9
	v_subrev_nc_u32_e32 v10, 29, v9
	v_sub_nc_u32_e32 v9, 30, v9
	s_delay_alu instid0(VALU_DEP_2) | instskip(NEXT) | instid1(VALU_DEP_2)
	v_lshlrev_b32_e32 v5, v10, v5
	v_cndmask_b32_e32 v9, v11, v9, vcc_lo
	s_delay_alu instid0(VALU_DEP_2) | instskip(NEXT) | instid1(VALU_DEP_1)
	v_and_b32_e32 v5, 3, v5
	v_cndmask_b32_e32 v5, v8, v5, vcc_lo
	s_delay_alu instid0(VALU_DEP_3) | instskip(NEXT) | instid1(VALU_DEP_2)
	v_lshl_add_u32 v8, v9, 23, 0x37800000
	v_lshlrev_b32_e32 v5, 21, v5
	s_delay_alu instid0(VALU_DEP_1) | instskip(NEXT) | instid1(VALU_DEP_1)
	v_or3_b32 v3, v3, v8, v5
	v_cvt_f64_f32_e32 v[8:9], v3
.LBB103_1054:
	s_or_b32 exec_lo, exec_lo, s54
	s_mov_b32 s31, 0
	s_branch .LBB103_1060
.LBB103_1055:
	s_mov_b32 s54, -1
                                        ; implicit-def: $vgpr8_vgpr9
	s_branch .LBB103_1066
.LBB103_1056:
	s_or_saveexec_b32 s54, s54
	v_mov_b64_e32 v[8:9], 0x7ff8000020000000
	s_xor_b32 exec_lo, exec_lo, s54
	s_cbranch_execz .LBB103_1039
.LBB103_1057:
	v_cmp_ne_u16_e32 vcc_lo, 0, v3
	v_mov_b64_e32 v[8:9], 0
	s_and_not1_b32 s31, s31, exec_lo
	s_and_b32 s55, vcc_lo, exec_lo
	s_delay_alu instid0(SALU_CYCLE_1)
	s_or_b32 s31, s31, s55
	s_or_b32 exec_lo, exec_lo, s54
	s_and_saveexec_b32 s54, s31
	s_cbranch_execnz .LBB103_1040
	s_branch .LBB103_1041
.LBB103_1058:
	s_mov_b32 s31, -1
                                        ; implicit-def: $vgpr8_vgpr9
	s_branch .LBB103_1063
.LBB103_1059:
	s_mov_b32 s31, -1
                                        ; implicit-def: $vgpr8_vgpr9
.LBB103_1060:
	s_delay_alu instid0(SALU_CYCLE_1)
	s_and_b32 vcc_lo, exec_lo, s31
	s_cbranch_vccz .LBB103_1062
; %bb.1061:
	global_load_u8 v3, v[6:7], off
	s_wait_loadcnt 0x0
	v_lshlrev_b32_e32 v3, 24, v3
	s_delay_alu instid0(VALU_DEP_1) | instskip(SKIP_1) | instid1(VALU_DEP_1)
	v_and_b32_e32 v5, 0x7f000000, v3
	s_wait_xcnt 0x1
	v_clz_i32_u32_e32 v8, v5
	v_cmp_ne_u32_e32 vcc_lo, 0, v5
	v_add_nc_u32_e32 v10, 0x1000000, v5
	s_delay_alu instid0(VALU_DEP_3) | instskip(NEXT) | instid1(VALU_DEP_1)
	v_min_u32_e32 v8, 32, v8
	v_sub_nc_u32_e64 v8, v8, 4 clamp
	s_delay_alu instid0(VALU_DEP_1) | instskip(NEXT) | instid1(VALU_DEP_1)
	v_dual_lshlrev_b32 v9, v8, v5 :: v_dual_lshlrev_b32 v8, 23, v8
	v_lshrrev_b32_e32 v9, 4, v9
	s_delay_alu instid0(VALU_DEP_1) | instskip(NEXT) | instid1(VALU_DEP_1)
	v_dual_sub_nc_u32 v8, v9, v8 :: v_dual_ashrrev_i32 v9, 8, v10
	v_add_nc_u32_e32 v8, 0x3c000000, v8
	s_delay_alu instid0(VALU_DEP_1) | instskip(NEXT) | instid1(VALU_DEP_1)
	v_and_or_b32 v8, 0x7f800000, v9, v8
	v_cndmask_b32_e32 v5, 0, v8, vcc_lo
	s_delay_alu instid0(VALU_DEP_1) | instskip(NEXT) | instid1(VALU_DEP_1)
	v_and_or_b32 v3, 0x80000000, v3, v5
	v_cvt_f64_f32_e32 v[8:9], v3
.LBB103_1062:
	s_mov_b32 s31, 0
.LBB103_1063:
	s_delay_alu instid0(SALU_CYCLE_1)
	s_and_not1_b32 vcc_lo, exec_lo, s31
	s_cbranch_vccnz .LBB103_1065
; %bb.1064:
	global_load_u8 v3, v[6:7], off
	s_wait_loadcnt 0x0
	v_lshlrev_b32_e32 v5, 25, v3
	v_lshlrev_b16 v3, 8, v3
	s_wait_xcnt 0x1
	s_delay_alu instid0(VALU_DEP_1) | instskip(SKIP_1) | instid1(VALU_DEP_2)
	v_and_or_b32 v9, 0x7f00, v3, 0.5
	v_bfe_i32 v3, v3, 0, 16
	v_add_f32_e32 v9, -0.5, v9
	v_lshrrev_b32_e32 v8, 4, v5
	v_cmp_gt_u32_e32 vcc_lo, 0x8000000, v5
	s_delay_alu instid0(VALU_DEP_2) | instskip(NEXT) | instid1(VALU_DEP_1)
	v_or_b32_e32 v8, 0x70000000, v8
	v_mul_f32_e32 v8, 0x7800000, v8
	s_delay_alu instid0(VALU_DEP_1) | instskip(NEXT) | instid1(VALU_DEP_1)
	v_cndmask_b32_e32 v5, v8, v9, vcc_lo
	v_and_or_b32 v3, 0x80000000, v3, v5
	s_delay_alu instid0(VALU_DEP_1)
	v_cvt_f64_f32_e32 v[8:9], v3
.LBB103_1065:
	s_mov_b32 s54, 0
	s_mov_b32 s31, -1
.LBB103_1066:
	s_and_not1_b32 vcc_lo, exec_lo, s54
	s_cbranch_vccnz .LBB103_1079
; %bb.1067:
	s_cmp_gt_i32 s0, 14
	s_cbranch_scc0 .LBB103_1070
; %bb.1068:
	s_cmp_eq_u32 s0, 15
	s_cbranch_scc0 .LBB103_1073
; %bb.1069:
	global_load_u16 v3, v[6:7], off
	s_mov_b32 s31, -1
	s_mov_b32 s30, 0
	s_wait_loadcnt 0x0
	v_lshlrev_b32_e32 v3, 16, v3
	s_wait_xcnt 0x1
	s_delay_alu instid0(VALU_DEP_1)
	v_cvt_f64_f32_e32 v[8:9], v3
	s_branch .LBB103_1074
.LBB103_1070:
	s_mov_b32 s54, -1
                                        ; implicit-def: $vgpr8_vgpr9
	s_branch .LBB103_1075
.LBB103_1071:
	s_or_saveexec_b32 s54, s54
	v_mov_b64_e32 v[8:9], 0x7ff8000020000000
	s_xor_b32 exec_lo, exec_lo, s54
	s_cbranch_execz .LBB103_1052
.LBB103_1072:
	v_cmp_ne_u16_e32 vcc_lo, 0, v3
	v_mov_b64_e32 v[8:9], 0
	s_and_not1_b32 s31, s31, exec_lo
	s_and_b32 s55, vcc_lo, exec_lo
	s_delay_alu instid0(SALU_CYCLE_1)
	s_or_b32 s31, s31, s55
	s_or_b32 exec_lo, exec_lo, s54
	s_and_saveexec_b32 s54, s31
	s_cbranch_execnz .LBB103_1053
	s_branch .LBB103_1054
.LBB103_1073:
	s_mov_b32 s30, -1
                                        ; implicit-def: $vgpr8_vgpr9
.LBB103_1074:
	s_mov_b32 s54, 0
.LBB103_1075:
	s_delay_alu instid0(SALU_CYCLE_1)
	s_and_b32 vcc_lo, exec_lo, s54
	s_cbranch_vccz .LBB103_1079
; %bb.1076:
	s_cmp_eq_u32 s0, 11
	s_cbranch_scc0 .LBB103_1078
; %bb.1077:
	global_load_u8 v3, v[6:7], off
	s_wait_xcnt 0x1
	v_mov_b32_e32 v8, 0
	s_mov_b32 s30, 0
	s_mov_b32 s31, -1
	s_wait_loadcnt 0x0
	v_cmp_ne_u16_e32 vcc_lo, 0, v3
	v_cndmask_b32_e64 v9, 0, 0x3ff00000, vcc_lo
	s_branch .LBB103_1079
.LBB103_1078:
	s_mov_b32 s30, -1
                                        ; implicit-def: $vgpr8_vgpr9
.LBB103_1079:
	s_mov_b32 s54, 0
.LBB103_1080:
	s_delay_alu instid0(SALU_CYCLE_1)
	s_and_b32 vcc_lo, exec_lo, s54
	s_cbranch_vccz .LBB103_1129
; %bb.1081:
	s_cmp_lt_i32 s0, 5
	s_cbranch_scc1 .LBB103_1086
; %bb.1082:
	s_cmp_lt_i32 s0, 8
	s_cbranch_scc1 .LBB103_1087
	;; [unrolled: 3-line block ×3, first 2 shown]
; %bb.1084:
	s_cmp_gt_i32 s0, 9
	s_cbranch_scc0 .LBB103_1089
; %bb.1085:
	global_load_b64 v[8:9], v[6:7], off
	s_mov_b32 s31, 0
	s_branch .LBB103_1090
.LBB103_1086:
	s_mov_b32 s31, -1
                                        ; implicit-def: $vgpr8_vgpr9
	s_branch .LBB103_1108
.LBB103_1087:
	s_mov_b32 s31, -1
                                        ; implicit-def: $vgpr8_vgpr9
	s_branch .LBB103_1096
.LBB103_1088:
	s_mov_b32 s31, -1
                                        ; implicit-def: $vgpr8_vgpr9
	s_branch .LBB103_1093
.LBB103_1089:
	s_mov_b32 s31, -1
                                        ; implicit-def: $vgpr8_vgpr9
.LBB103_1090:
	s_delay_alu instid0(SALU_CYCLE_1)
	s_and_not1_b32 vcc_lo, exec_lo, s31
	s_cbranch_vccnz .LBB103_1092
; %bb.1091:
	global_load_b32 v3, v[6:7], off
	s_wait_loadcnt 0x0
	s_wait_xcnt 0x1
	v_cvt_f64_f32_e32 v[8:9], v3
.LBB103_1092:
	s_mov_b32 s31, 0
.LBB103_1093:
	s_delay_alu instid0(SALU_CYCLE_1)
	s_and_not1_b32 vcc_lo, exec_lo, s31
	s_cbranch_vccnz .LBB103_1095
; %bb.1094:
	global_load_b32 v3, v[6:7], off
	s_wait_loadcnt 0x0
	v_cvt_f32_f16_e32 v3, v3
	s_wait_xcnt 0x1
	s_delay_alu instid0(VALU_DEP_1)
	v_cvt_f64_f32_e32 v[8:9], v3
.LBB103_1095:
	s_mov_b32 s31, 0
.LBB103_1096:
	s_delay_alu instid0(SALU_CYCLE_1)
	s_and_not1_b32 vcc_lo, exec_lo, s31
	s_cbranch_vccnz .LBB103_1107
; %bb.1097:
	s_cmp_lt_i32 s0, 6
	s_cbranch_scc1 .LBB103_1100
; %bb.1098:
	s_cmp_gt_i32 s0, 6
	s_cbranch_scc0 .LBB103_1101
; %bb.1099:
	s_wait_loadcnt 0x0
	global_load_b64 v[8:9], v[6:7], off
	s_mov_b32 s31, 0
	s_branch .LBB103_1102
.LBB103_1100:
	s_mov_b32 s31, -1
                                        ; implicit-def: $vgpr8_vgpr9
	s_branch .LBB103_1105
.LBB103_1101:
	s_mov_b32 s31, -1
                                        ; implicit-def: $vgpr8_vgpr9
.LBB103_1102:
	s_delay_alu instid0(SALU_CYCLE_1)
	s_and_not1_b32 vcc_lo, exec_lo, s31
	s_cbranch_vccnz .LBB103_1104
; %bb.1103:
	global_load_b32 v3, v[6:7], off
	s_wait_loadcnt 0x0
	s_wait_xcnt 0x1
	v_cvt_f64_f32_e32 v[8:9], v3
.LBB103_1104:
	s_mov_b32 s31, 0
.LBB103_1105:
	s_delay_alu instid0(SALU_CYCLE_1)
	s_and_not1_b32 vcc_lo, exec_lo, s31
	s_cbranch_vccnz .LBB103_1107
; %bb.1106:
	global_load_u16 v3, v[6:7], off
	s_wait_loadcnt 0x0
	v_cvt_f32_f16_e32 v3, v3
	s_wait_xcnt 0x1
	s_delay_alu instid0(VALU_DEP_1)
	v_cvt_f64_f32_e32 v[8:9], v3
.LBB103_1107:
	s_mov_b32 s31, 0
.LBB103_1108:
	s_delay_alu instid0(SALU_CYCLE_1)
	s_and_not1_b32 vcc_lo, exec_lo, s31
	s_cbranch_vccnz .LBB103_1128
; %bb.1109:
	s_cmp_lt_i32 s0, 2
	s_cbranch_scc1 .LBB103_1113
; %bb.1110:
	s_cmp_lt_i32 s0, 3
	s_cbranch_scc1 .LBB103_1114
; %bb.1111:
	s_cmp_gt_i32 s0, 3
	s_cbranch_scc0 .LBB103_1115
; %bb.1112:
	s_wait_loadcnt 0x0
	global_load_b64 v[8:9], v[6:7], off
	s_mov_b32 s31, 0
	s_wait_loadcnt 0x0
	v_cvt_f64_i32_e32 v[10:11], v9
	v_cvt_f64_u32_e32 v[8:9], v8
	s_delay_alu instid0(VALU_DEP_2) | instskip(NEXT) | instid1(VALU_DEP_1)
	v_ldexp_f64 v[10:11], v[10:11], 32
	v_add_f64_e32 v[8:9], v[10:11], v[8:9]
	s_branch .LBB103_1116
.LBB103_1113:
	s_mov_b32 s31, -1
                                        ; implicit-def: $vgpr8_vgpr9
	s_branch .LBB103_1122
.LBB103_1114:
	s_mov_b32 s31, -1
                                        ; implicit-def: $vgpr8_vgpr9
	s_branch .LBB103_1119
.LBB103_1115:
	s_mov_b32 s31, -1
                                        ; implicit-def: $vgpr8_vgpr9
.LBB103_1116:
	s_delay_alu instid0(SALU_CYCLE_1)
	s_and_not1_b32 vcc_lo, exec_lo, s31
	s_cbranch_vccnz .LBB103_1118
; %bb.1117:
	global_load_b32 v3, v[6:7], off
	s_wait_loadcnt 0x0
	s_wait_xcnt 0x1
	v_cvt_f64_i32_e32 v[8:9], v3
.LBB103_1118:
	s_mov_b32 s31, 0
.LBB103_1119:
	s_delay_alu instid0(SALU_CYCLE_1)
	s_and_not1_b32 vcc_lo, exec_lo, s31
	s_cbranch_vccnz .LBB103_1121
; %bb.1120:
	global_load_i16 v3, v[6:7], off
	s_wait_loadcnt 0x0
	s_wait_xcnt 0x1
	v_cvt_f64_i32_e32 v[8:9], v3
.LBB103_1121:
	s_mov_b32 s31, 0
.LBB103_1122:
	s_delay_alu instid0(SALU_CYCLE_1)
	s_and_not1_b32 vcc_lo, exec_lo, s31
	s_cbranch_vccnz .LBB103_1128
; %bb.1123:
	s_cmp_gt_i32 s0, 0
	s_mov_b32 s0, 0
	s_cbranch_scc0 .LBB103_1125
; %bb.1124:
	global_load_i8 v3, v[6:7], off
	s_wait_loadcnt 0x0
	s_wait_xcnt 0x1
	v_cvt_f64_i32_e32 v[8:9], v3
	s_branch .LBB103_1126
.LBB103_1125:
	s_mov_b32 s0, -1
                                        ; implicit-def: $vgpr8_vgpr9
.LBB103_1126:
	s_delay_alu instid0(SALU_CYCLE_1)
	s_and_not1_b32 vcc_lo, exec_lo, s0
	s_cbranch_vccnz .LBB103_1128
; %bb.1127:
	global_load_u8 v3, v[6:7], off
	s_wait_loadcnt 0x0
	s_wait_xcnt 0x1
	v_cvt_f64_u32_e32 v[8:9], v3
.LBB103_1128:
	s_mov_b32 s31, -1
.LBB103_1129:
	s_delay_alu instid0(SALU_CYCLE_1)
	s_and_not1_b32 vcc_lo, exec_lo, s31
	s_cbranch_vccnz .LBB103_1137
; %bb.1130:
	s_wait_loadcnt 0x0
	s_delay_alu instid0(VALU_DEP_3) | instskip(SKIP_1) | instid1(SALU_CYCLE_1)
	v_dual_mul_f64 v[0:1], s[12:13], v[0:1] :: v_dual_mov_b32 v3, 0
	s_and_b32 s31, s14, 0xff
	s_cmp_lt_i32 s31, 11
	s_wait_xcnt 0x0
	s_delay_alu instid0(VALU_DEP_1) | instskip(NEXT) | instid1(VALU_DEP_2)
	v_add_nc_u64_e32 v[6:7], s[20:21], v[2:3]
	v_mul_f64_e32 v[0:1], v[0:1], v[8:9]
	s_cbranch_scc1 .LBB103_1138
; %bb.1131:
	s_and_b32 s54, 0xffff, s31
	s_delay_alu instid0(SALU_CYCLE_1)
	s_cmp_gt_i32 s54, 25
	s_cbranch_scc0 .LBB103_1139
; %bb.1132:
	s_cmp_gt_i32 s54, 28
	s_cbranch_scc0 .LBB103_1140
; %bb.1133:
	;; [unrolled: 3-line block ×4, first 2 shown]
	s_mov_b32 s56, 0
	s_mov_b32 s0, -1
	s_cmp_eq_u32 s54, 46
	s_mov_b32 s55, 0
	s_cbranch_scc0 .LBB103_1143
; %bb.1136:
	s_delay_alu instid0(VALU_DEP_1) | instskip(SKIP_2) | instid1(VALU_DEP_1)
	v_cvt_f32_f64_e32 v2, v[0:1]
	s_mov_b32 s55, -1
	s_mov_b32 s0, 0
	v_bfe_u32 v3, v2, 16, 1
	v_cmp_o_f32_e32 vcc_lo, v2, v2
	s_delay_alu instid0(VALU_DEP_2) | instskip(NEXT) | instid1(VALU_DEP_1)
	v_add3_u32 v3, v2, v3, 0x7fff
	v_lshrrev_b32_e32 v3, 16, v3
	s_delay_alu instid0(VALU_DEP_1)
	v_cndmask_b32_e32 v2, 0x7fc0, v3, vcc_lo
	global_store_b32 v[6:7], v2, off
	s_branch .LBB103_1143
.LBB103_1137:
	s_mov_b32 s31, 0
	s_mov_b32 s0, s49
	s_branch .LBB103_874
.LBB103_1138:
	s_mov_b32 s54, -1
	s_mov_b32 s55, 0
	s_mov_b32 s0, s49
	s_branch .LBB103_1212
.LBB103_1139:
	s_mov_b32 s56, -1
	s_mov_b32 s55, 0
	s_mov_b32 s0, s49
	s_branch .LBB103_1170
.LBB103_1140:
	s_mov_b32 s56, -1
	s_mov_b32 s55, 0
	s_mov_b32 s0, s49
	s_branch .LBB103_1153
.LBB103_1141:
	s_mov_b32 s56, -1
	s_mov_b32 s55, 0
	s_mov_b32 s0, s49
	s_branch .LBB103_1149
.LBB103_1142:
	s_mov_b32 s56, -1
	s_mov_b32 s55, 0
	s_mov_b32 s0, s49
.LBB103_1143:
	s_and_b32 vcc_lo, exec_lo, s56
	s_cbranch_vccz .LBB103_1148
; %bb.1144:
	s_cmp_eq_u32 s54, 44
	s_mov_b32 s0, -1
	s_cbranch_scc0 .LBB103_1148
; %bb.1145:
	s_wait_xcnt 0x0
	s_delay_alu instid0(VALU_DEP_1) | instskip(SKIP_2) | instid1(VALU_DEP_2)
	v_cvt_f32_f64_e32 v2, v[0:1]
	v_mov_b32_e32 v3, 0xff
	s_mov_b32 s55, exec_lo
	v_bfe_u32 v5, v2, 23, 8
	s_delay_alu instid0(VALU_DEP_1)
	v_cmpx_ne_u32_e32 0xff, v5
	s_cbranch_execz .LBB103_1147
; %bb.1146:
	v_and_b32_e32 v3, 0x400000, v2
	v_and_or_b32 v5, 0x3fffff, v2, v5
	v_lshrrev_b32_e32 v2, 23, v2
	s_delay_alu instid0(VALU_DEP_3) | instskip(NEXT) | instid1(VALU_DEP_3)
	v_cmp_ne_u32_e32 vcc_lo, 0, v3
	v_cmp_ne_u32_e64 s0, 0, v5
	s_and_b32 s0, vcc_lo, s0
	s_delay_alu instid0(SALU_CYCLE_1) | instskip(NEXT) | instid1(VALU_DEP_1)
	v_cndmask_b32_e64 v3, 0, 1, s0
	v_add_nc_u32_e32 v3, v2, v3
.LBB103_1147:
	s_or_b32 exec_lo, exec_lo, s55
	s_mov_b32 s55, -1
	s_mov_b32 s0, 0
	global_store_b8 v[6:7], v3, off
.LBB103_1148:
	s_mov_b32 s56, 0
.LBB103_1149:
	s_delay_alu instid0(SALU_CYCLE_1)
	s_and_b32 vcc_lo, exec_lo, s56
	s_cbranch_vccz .LBB103_1152
; %bb.1150:
	s_cmp_eq_u32 s54, 29
	s_mov_b32 s0, -1
	s_cbranch_scc0 .LBB103_1152
; %bb.1151:
	s_wait_xcnt 0x0
	s_delay_alu instid0(VALU_DEP_1) | instskip(SKIP_3) | instid1(VALU_DEP_1)
	v_trunc_f64_e32 v[2:3], v[0:1]
	s_mov_b32 s55, -1
	s_mov_b32 s0, 0
	s_mov_b32 s56, 0
	v_ldexp_f64 v[8:9], v[2:3], 0xffffffe0
	s_delay_alu instid0(VALU_DEP_1) | instskip(NEXT) | instid1(VALU_DEP_1)
	v_floor_f64_e32 v[8:9], v[8:9]
	v_fmamk_f64 v[2:3], v[8:9], 0xc1f00000, v[2:3]
	v_cvt_u32_f64_e32 v9, v[8:9]
	s_delay_alu instid0(VALU_DEP_2)
	v_cvt_u32_f64_e32 v8, v[2:3]
	global_store_b64 v[6:7], v[8:9], off
	s_branch .LBB103_1153
.LBB103_1152:
	s_mov_b32 s56, 0
.LBB103_1153:
	s_delay_alu instid0(SALU_CYCLE_1)
	s_and_b32 vcc_lo, exec_lo, s56
	s_cbranch_vccz .LBB103_1169
; %bb.1154:
	s_cmp_lt_i32 s54, 27
	s_mov_b32 s55, -1
	s_cbranch_scc1 .LBB103_1160
; %bb.1155:
	s_cmp_gt_i32 s54, 27
	s_cbranch_scc0 .LBB103_1157
; %bb.1156:
	s_wait_xcnt 0x0
	s_delay_alu instid0(VALU_DEP_1)
	v_cvt_u32_f64_e32 v2, v[0:1]
	s_mov_b32 s55, 0
	global_store_b32 v[6:7], v2, off
.LBB103_1157:
	s_and_not1_b32 vcc_lo, exec_lo, s55
	s_cbranch_vccnz .LBB103_1159
; %bb.1158:
	s_wait_xcnt 0x0
	s_delay_alu instid0(VALU_DEP_1)
	v_cvt_u32_f64_e32 v2, v[0:1]
	global_store_b16 v[6:7], v2, off
.LBB103_1159:
	s_mov_b32 s55, 0
.LBB103_1160:
	s_delay_alu instid0(SALU_CYCLE_1)
	s_and_not1_b32 vcc_lo, exec_lo, s55
	s_cbranch_vccnz .LBB103_1168
; %bb.1161:
	s_wait_xcnt 0x0
	s_delay_alu instid0(VALU_DEP_1) | instskip(SKIP_2) | instid1(VALU_DEP_2)
	v_cvt_f32_f64_e32 v2, v[0:1]
	v_mov_b32_e32 v5, 0x80
	s_mov_b32 s55, exec_lo
	v_and_b32_e32 v3, 0x7fffffff, v2
	s_delay_alu instid0(VALU_DEP_1)
	v_cmpx_gt_u32_e32 0x43800000, v3
	s_cbranch_execz .LBB103_1167
; %bb.1162:
	v_cmp_lt_u32_e32 vcc_lo, 0x3bffffff, v3
	s_mov_b32 s56, 0
                                        ; implicit-def: $vgpr3
	s_and_saveexec_b32 s57, vcc_lo
	s_delay_alu instid0(SALU_CYCLE_1)
	s_xor_b32 s57, exec_lo, s57
	s_cbranch_execz .LBB103_2159
; %bb.1163:
	v_bfe_u32 v3, v2, 20, 1
	s_mov_b32 s56, exec_lo
	s_delay_alu instid0(VALU_DEP_1) | instskip(NEXT) | instid1(VALU_DEP_1)
	v_add3_u32 v3, v2, v3, 0x487ffff
	v_lshrrev_b32_e32 v3, 20, v3
	s_and_not1_saveexec_b32 s57, s57
	s_cbranch_execnz .LBB103_2160
.LBB103_1164:
	s_or_b32 exec_lo, exec_lo, s57
	v_mov_b32_e32 v5, 0
	s_and_saveexec_b32 s57, s56
.LBB103_1165:
	v_lshrrev_b32_e32 v2, 24, v2
	s_delay_alu instid0(VALU_DEP_1)
	v_and_or_b32 v5, 0x80, v2, v3
.LBB103_1166:
	s_or_b32 exec_lo, exec_lo, s57
.LBB103_1167:
	s_delay_alu instid0(SALU_CYCLE_1)
	s_or_b32 exec_lo, exec_lo, s55
	global_store_b8 v[6:7], v5, off
.LBB103_1168:
	s_mov_b32 s55, -1
.LBB103_1169:
	s_mov_b32 s56, 0
.LBB103_1170:
	s_delay_alu instid0(SALU_CYCLE_1)
	s_and_b32 vcc_lo, exec_lo, s56
	s_cbranch_vccz .LBB103_1211
; %bb.1171:
	s_cmp_gt_i32 s54, 22
	s_mov_b32 s56, -1
	s_cbranch_scc0 .LBB103_1203
; %bb.1172:
	s_cmp_lt_i32 s54, 24
	s_mov_b32 s55, -1
	s_cbranch_scc1 .LBB103_1192
; %bb.1173:
	s_cmp_gt_i32 s54, 24
	s_cbranch_scc0 .LBB103_1181
; %bb.1174:
	s_wait_xcnt 0x0
	s_delay_alu instid0(VALU_DEP_1) | instskip(SKIP_2) | instid1(VALU_DEP_2)
	v_cvt_f32_f64_e32 v2, v[0:1]
	v_mov_b32_e32 v5, 0x80
	s_mov_b32 s55, exec_lo
	v_and_b32_e32 v3, 0x7fffffff, v2
	s_delay_alu instid0(VALU_DEP_1)
	v_cmpx_gt_u32_e32 0x47800000, v3
	s_cbranch_execz .LBB103_1180
; %bb.1175:
	v_cmp_lt_u32_e32 vcc_lo, 0x37ffffff, v3
	s_mov_b32 s56, 0
                                        ; implicit-def: $vgpr3
	s_and_saveexec_b32 s57, vcc_lo
	s_delay_alu instid0(SALU_CYCLE_1)
	s_xor_b32 s57, exec_lo, s57
	s_cbranch_execz .LBB103_2312
; %bb.1176:
	v_bfe_u32 v3, v2, 21, 1
	s_mov_b32 s56, exec_lo
	s_delay_alu instid0(VALU_DEP_1) | instskip(NEXT) | instid1(VALU_DEP_1)
	v_add3_u32 v3, v2, v3, 0x88fffff
	v_lshrrev_b32_e32 v3, 21, v3
	s_and_not1_saveexec_b32 s57, s57
	s_cbranch_execnz .LBB103_2313
.LBB103_1177:
	s_or_b32 exec_lo, exec_lo, s57
	v_mov_b32_e32 v5, 0
	s_and_saveexec_b32 s57, s56
.LBB103_1178:
	v_lshrrev_b32_e32 v2, 24, v2
	s_delay_alu instid0(VALU_DEP_1)
	v_and_or_b32 v5, 0x80, v2, v3
.LBB103_1179:
	s_or_b32 exec_lo, exec_lo, s57
.LBB103_1180:
	s_delay_alu instid0(SALU_CYCLE_1)
	s_or_b32 exec_lo, exec_lo, s55
	s_mov_b32 s55, 0
	global_store_b8 v[6:7], v5, off
.LBB103_1181:
	s_and_b32 vcc_lo, exec_lo, s55
	s_cbranch_vccz .LBB103_1191
; %bb.1182:
	s_wait_xcnt 0x0
	s_delay_alu instid0(VALU_DEP_1) | instskip(SKIP_1) | instid1(VALU_DEP_1)
	v_cvt_f32_f64_e32 v2, v[0:1]
	s_mov_b32 s55, exec_lo
                                        ; implicit-def: $vgpr3
	v_and_b32_e32 v5, 0x7fffffff, v2
	s_delay_alu instid0(VALU_DEP_1)
	v_cmpx_gt_u32_e32 0x43f00000, v5
	s_xor_b32 s55, exec_lo, s55
	s_cbranch_execz .LBB103_1188
; %bb.1183:
	s_mov_b32 s56, exec_lo
                                        ; implicit-def: $vgpr3
	v_cmpx_lt_u32_e32 0x3c7fffff, v5
	s_xor_b32 s56, exec_lo, s56
; %bb.1184:
	v_bfe_u32 v3, v2, 20, 1
	s_delay_alu instid0(VALU_DEP_1) | instskip(NEXT) | instid1(VALU_DEP_1)
	v_add3_u32 v3, v2, v3, 0x407ffff
	v_and_b32_e32 v5, 0xff00000, v3
	v_lshrrev_b32_e32 v3, 20, v3
	s_delay_alu instid0(VALU_DEP_2) | instskip(NEXT) | instid1(VALU_DEP_2)
	v_cmp_ne_u32_e32 vcc_lo, 0x7f00000, v5
	v_cndmask_b32_e32 v3, 0x7e, v3, vcc_lo
; %bb.1185:
	s_and_not1_saveexec_b32 s56, s56
; %bb.1186:
	v_add_f32_e64 v3, 0x46800000, |v2|
; %bb.1187:
	s_or_b32 exec_lo, exec_lo, s56
                                        ; implicit-def: $vgpr5
.LBB103_1188:
	s_and_not1_saveexec_b32 s55, s55
; %bb.1189:
	v_mov_b32_e32 v3, 0x7f
	v_cmp_lt_u32_e32 vcc_lo, 0x7f800000, v5
	s_delay_alu instid0(VALU_DEP_2)
	v_cndmask_b32_e32 v3, 0x7e, v3, vcc_lo
; %bb.1190:
	s_or_b32 exec_lo, exec_lo, s55
	v_lshrrev_b32_e32 v2, 24, v2
	s_delay_alu instid0(VALU_DEP_1)
	v_and_or_b32 v2, 0x80, v2, v3
	global_store_b8 v[6:7], v2, off
.LBB103_1191:
	s_mov_b32 s55, 0
.LBB103_1192:
	s_delay_alu instid0(SALU_CYCLE_1)
	s_and_not1_b32 vcc_lo, exec_lo, s55
	s_cbranch_vccnz .LBB103_1202
; %bb.1193:
	s_wait_xcnt 0x0
	s_delay_alu instid0(VALU_DEP_1) | instskip(SKIP_1) | instid1(VALU_DEP_1)
	v_cvt_f32_f64_e32 v2, v[0:1]
	s_mov_b32 s55, exec_lo
                                        ; implicit-def: $vgpr3
	v_and_b32_e32 v5, 0x7fffffff, v2
	s_delay_alu instid0(VALU_DEP_1)
	v_cmpx_gt_u32_e32 0x47800000, v5
	s_xor_b32 s55, exec_lo, s55
	s_cbranch_execz .LBB103_1199
; %bb.1194:
	s_mov_b32 s56, exec_lo
                                        ; implicit-def: $vgpr3
	v_cmpx_lt_u32_e32 0x387fffff, v5
	s_xor_b32 s56, exec_lo, s56
; %bb.1195:
	v_bfe_u32 v3, v2, 21, 1
	s_delay_alu instid0(VALU_DEP_1) | instskip(NEXT) | instid1(VALU_DEP_1)
	v_add3_u32 v3, v2, v3, 0x80fffff
	v_lshrrev_b32_e32 v3, 21, v3
; %bb.1196:
	s_and_not1_saveexec_b32 s56, s56
; %bb.1197:
	v_add_f32_e64 v3, 0x43000000, |v2|
; %bb.1198:
	s_or_b32 exec_lo, exec_lo, s56
                                        ; implicit-def: $vgpr5
.LBB103_1199:
	s_and_not1_saveexec_b32 s55, s55
; %bb.1200:
	v_mov_b32_e32 v3, 0x7f
	v_cmp_lt_u32_e32 vcc_lo, 0x7f800000, v5
	s_delay_alu instid0(VALU_DEP_2)
	v_cndmask_b32_e32 v3, 0x7c, v3, vcc_lo
; %bb.1201:
	s_or_b32 exec_lo, exec_lo, s55
	v_lshrrev_b32_e32 v2, 24, v2
	s_delay_alu instid0(VALU_DEP_1)
	v_and_or_b32 v2, 0x80, v2, v3
	global_store_b8 v[6:7], v2, off
.LBB103_1202:
	s_mov_b32 s56, 0
	s_mov_b32 s55, -1
.LBB103_1203:
	s_and_not1_b32 vcc_lo, exec_lo, s56
	s_cbranch_vccnz .LBB103_1211
; %bb.1204:
	s_cmp_gt_i32 s54, 14
	s_mov_b32 s56, -1
	s_cbranch_scc0 .LBB103_1208
; %bb.1205:
	s_cmp_eq_u32 s54, 15
	s_mov_b32 s0, -1
	s_cbranch_scc0 .LBB103_1207
; %bb.1206:
	s_wait_xcnt 0x0
	s_delay_alu instid0(VALU_DEP_1) | instskip(SKIP_2) | instid1(VALU_DEP_1)
	v_cvt_f32_f64_e32 v2, v[0:1]
	s_mov_b32 s55, -1
	s_mov_b32 s0, 0
	v_bfe_u32 v3, v2, 16, 1
	v_cmp_o_f32_e32 vcc_lo, v2, v2
	s_delay_alu instid0(VALU_DEP_2) | instskip(NEXT) | instid1(VALU_DEP_1)
	v_add3_u32 v3, v2, v3, 0x7fff
	v_lshrrev_b32_e32 v3, 16, v3
	s_delay_alu instid0(VALU_DEP_1)
	v_cndmask_b32_e32 v2, 0x7fc0, v3, vcc_lo
	global_store_b16 v[6:7], v2, off
.LBB103_1207:
	s_mov_b32 s56, 0
.LBB103_1208:
	s_delay_alu instid0(SALU_CYCLE_1)
	s_and_b32 vcc_lo, exec_lo, s56
	s_cbranch_vccz .LBB103_1211
; %bb.1209:
	s_cmp_eq_u32 s54, 11
	s_mov_b32 s0, -1
	s_cbranch_scc0 .LBB103_1211
; %bb.1210:
	s_delay_alu instid0(VALU_DEP_1)
	v_cmp_neq_f64_e32 vcc_lo, 0, v[0:1]
	s_mov_b32 s55, -1
	s_mov_b32 s0, 0
	s_wait_xcnt 0x0
	v_cndmask_b32_e64 v2, 0, 1, vcc_lo
	global_store_b8 v[6:7], v2, off
.LBB103_1211:
	s_mov_b32 s54, 0
.LBB103_1212:
	s_delay_alu instid0(SALU_CYCLE_1)
	s_and_b32 vcc_lo, exec_lo, s54
	s_cbranch_vccz .LBB103_1251
; %bb.1213:
	s_and_b32 s31, 0xffff, s31
	s_mov_b32 s54, -1
	s_cmp_lt_i32 s31, 5
	s_cbranch_scc1 .LBB103_1234
; %bb.1214:
	s_cmp_lt_i32 s31, 8
	s_cbranch_scc1 .LBB103_1224
; %bb.1215:
	;; [unrolled: 3-line block ×3, first 2 shown]
	s_cmp_gt_i32 s31, 9
	s_cbranch_scc0 .LBB103_1218
; %bb.1217:
	s_wait_xcnt 0x0
	v_mov_b32_e32 v2, 0
	s_mov_b32 s54, 0
	s_delay_alu instid0(VALU_DEP_1)
	v_mov_b32_e32 v3, v2
	global_store_b128 v[6:7], v[0:3], off
.LBB103_1218:
	s_and_not1_b32 vcc_lo, exec_lo, s54
	s_cbranch_vccnz .LBB103_1220
; %bb.1219:
	s_wait_xcnt 0x0
	s_delay_alu instid0(VALU_DEP_1)
	v_cvt_f32_f64_e32 v2, v[0:1]
	v_mov_b32_e32 v3, 0
	global_store_b64 v[6:7], v[2:3], off
.LBB103_1220:
	s_mov_b32 s54, 0
.LBB103_1221:
	s_delay_alu instid0(SALU_CYCLE_1)
	s_and_not1_b32 vcc_lo, exec_lo, s54
	s_cbranch_vccnz .LBB103_1223
; %bb.1222:
	s_wait_xcnt 0x0
	s_delay_alu instid0(VALU_DEP_1) | instskip(SKIP_2) | instid1(VALU_DEP_3)
	v_and_or_b32 v2, 0x1ff, v1, v0
	v_lshrrev_b32_e32 v3, 8, v1
	v_bfe_u32 v5, v1, 20, 11
	v_cmp_ne_u32_e32 vcc_lo, 0, v2
	s_delay_alu instid0(VALU_DEP_2) | instskip(SKIP_2) | instid1(VALU_DEP_1)
	v_sub_nc_u32_e32 v8, 0x3f1, v5
	v_add_nc_u32_e32 v5, 0xfffffc10, v5
	v_cndmask_b32_e64 v2, 0, 1, vcc_lo
	v_and_or_b32 v2, 0xffe, v3, v2
	s_delay_alu instid0(VALU_DEP_4) | instskip(NEXT) | instid1(VALU_DEP_2)
	v_med3_i32 v3, v8, 0, 13
	v_or_b32_e32 v8, 0x1000, v2
	s_delay_alu instid0(VALU_DEP_1) | instskip(NEXT) | instid1(VALU_DEP_1)
	v_lshrrev_b32_e32 v9, v3, v8
	v_lshlrev_b32_e32 v3, v3, v9
	s_delay_alu instid0(VALU_DEP_1) | instskip(SKIP_3) | instid1(VALU_DEP_2)
	v_cmp_ne_u32_e32 vcc_lo, v3, v8
	v_lshl_or_b32 v8, v5, 12, v2
	v_cndmask_b32_e64 v3, 0, 1, vcc_lo
	v_cmp_gt_i32_e32 vcc_lo, 1, v5
	v_or_b32_e32 v3, v9, v3
	s_delay_alu instid0(VALU_DEP_1) | instskip(NEXT) | instid1(VALU_DEP_1)
	v_cndmask_b32_e32 v3, v8, v3, vcc_lo
	v_dual_lshrrev_b32 v3, 2, v3 :: v_dual_bitop2_b32 v8, 7, v3 bitop3:0x40
	s_delay_alu instid0(VALU_DEP_1) | instskip(SKIP_4) | instid1(VALU_DEP_2)
	v_cmp_lt_i32_e32 vcc_lo, 5, v8
	v_cndmask_b32_e64 v9, 0, 1, vcc_lo
	v_cmp_eq_u32_e32 vcc_lo, 3, v8
	v_cndmask_b32_e64 v8, 0, 1, vcc_lo
	v_cmp_ne_u32_e32 vcc_lo, 0, v2
	v_or_b32_e32 v8, v8, v9
	v_mov_b32_e32 v9, 0x7e00
	s_delay_alu instid0(VALU_DEP_1) | instskip(SKIP_1) | instid1(VALU_DEP_2)
	v_dual_cndmask_b32 v2, 0x7c00, v9 :: v_dual_add_nc_u32 v3, v3, v8
	v_cmp_gt_i32_e32 vcc_lo, 31, v5
	v_dual_cndmask_b32 v3, 0x7c00, v3 :: v_dual_lshrrev_b32 v8, 16, v1
	v_cmp_eq_u32_e32 vcc_lo, 0x40f, v5
	s_delay_alu instid0(VALU_DEP_2) | instskip(NEXT) | instid1(VALU_DEP_3)
	v_cndmask_b32_e32 v2, v3, v2, vcc_lo
	v_and_b32_e32 v3, 0x8000, v8
	s_delay_alu instid0(VALU_DEP_1)
	v_bitop3_b32 v2, v3, 0xffff, v2 bitop3:0xc8
	global_store_b32 v[6:7], v2, off
.LBB103_1223:
	s_mov_b32 s54, 0
.LBB103_1224:
	s_delay_alu instid0(SALU_CYCLE_1)
	s_and_not1_b32 vcc_lo, exec_lo, s54
	s_cbranch_vccnz .LBB103_1233
; %bb.1225:
	s_cmp_lt_i32 s31, 6
	s_mov_b32 s54, -1
	s_cbranch_scc1 .LBB103_1231
; %bb.1226:
	s_cmp_gt_i32 s31, 6
	s_cbranch_scc0 .LBB103_1228
; %bb.1227:
	s_mov_b32 s54, 0
	global_store_b64 v[6:7], v[0:1], off
.LBB103_1228:
	s_and_not1_b32 vcc_lo, exec_lo, s54
	s_cbranch_vccnz .LBB103_1230
; %bb.1229:
	s_wait_xcnt 0x0
	s_delay_alu instid0(VALU_DEP_1)
	v_cvt_f32_f64_e32 v2, v[0:1]
	global_store_b32 v[6:7], v2, off
.LBB103_1230:
	s_mov_b32 s54, 0
.LBB103_1231:
	s_delay_alu instid0(SALU_CYCLE_1)
	s_and_not1_b32 vcc_lo, exec_lo, s54
	s_cbranch_vccnz .LBB103_1233
; %bb.1232:
	s_wait_xcnt 0x0
	s_delay_alu instid0(VALU_DEP_1) | instskip(SKIP_2) | instid1(VALU_DEP_3)
	v_and_or_b32 v2, 0x1ff, v1, v0
	v_lshrrev_b32_e32 v3, 8, v1
	v_bfe_u32 v5, v1, 20, 11
	v_cmp_ne_u32_e32 vcc_lo, 0, v2
	s_delay_alu instid0(VALU_DEP_2) | instskip(SKIP_2) | instid1(VALU_DEP_1)
	v_sub_nc_u32_e32 v8, 0x3f1, v5
	v_add_nc_u32_e32 v5, 0xfffffc10, v5
	v_cndmask_b32_e64 v2, 0, 1, vcc_lo
	v_and_or_b32 v2, 0xffe, v3, v2
	s_delay_alu instid0(VALU_DEP_4) | instskip(NEXT) | instid1(VALU_DEP_2)
	v_med3_i32 v3, v8, 0, 13
	v_or_b32_e32 v8, 0x1000, v2
	s_delay_alu instid0(VALU_DEP_1) | instskip(NEXT) | instid1(VALU_DEP_1)
	v_lshrrev_b32_e32 v9, v3, v8
	v_lshlrev_b32_e32 v3, v3, v9
	s_delay_alu instid0(VALU_DEP_1) | instskip(SKIP_3) | instid1(VALU_DEP_2)
	v_cmp_ne_u32_e32 vcc_lo, v3, v8
	v_lshl_or_b32 v8, v5, 12, v2
	v_cndmask_b32_e64 v3, 0, 1, vcc_lo
	v_cmp_gt_i32_e32 vcc_lo, 1, v5
	v_or_b32_e32 v3, v9, v3
	s_delay_alu instid0(VALU_DEP_1) | instskip(NEXT) | instid1(VALU_DEP_1)
	v_cndmask_b32_e32 v3, v8, v3, vcc_lo
	v_dual_lshrrev_b32 v3, 2, v3 :: v_dual_bitop2_b32 v8, 7, v3 bitop3:0x40
	s_delay_alu instid0(VALU_DEP_1) | instskip(SKIP_4) | instid1(VALU_DEP_2)
	v_cmp_lt_i32_e32 vcc_lo, 5, v8
	v_cndmask_b32_e64 v9, 0, 1, vcc_lo
	v_cmp_eq_u32_e32 vcc_lo, 3, v8
	v_cndmask_b32_e64 v8, 0, 1, vcc_lo
	v_cmp_ne_u32_e32 vcc_lo, 0, v2
	v_or_b32_e32 v8, v8, v9
	v_mov_b32_e32 v9, 0x7e00
	s_delay_alu instid0(VALU_DEP_1) | instskip(SKIP_1) | instid1(VALU_DEP_2)
	v_dual_cndmask_b32 v2, 0x7c00, v9 :: v_dual_add_nc_u32 v3, v3, v8
	v_cmp_gt_i32_e32 vcc_lo, 31, v5
	v_cndmask_b32_e32 v3, 0x7c00, v3, vcc_lo
	v_cmp_eq_u32_e32 vcc_lo, 0x40f, v5
	s_delay_alu instid0(VALU_DEP_2) | instskip(NEXT) | instid1(VALU_DEP_1)
	v_dual_cndmask_b32 v2, v3, v2 :: v_dual_lshrrev_b32 v3, 16, v1
	v_and_or_b32 v2, 0x8000, v3, v2
	global_store_b16 v[6:7], v2, off
.LBB103_1233:
	s_mov_b32 s54, 0
.LBB103_1234:
	s_delay_alu instid0(SALU_CYCLE_1)
	s_and_not1_b32 vcc_lo, exec_lo, s54
	s_cbranch_vccnz .LBB103_1250
; %bb.1235:
	s_cmp_lt_i32 s31, 2
	s_mov_b32 s54, -1
	s_cbranch_scc1 .LBB103_1245
; %bb.1236:
	s_cmp_lt_i32 s31, 3
	s_cbranch_scc1 .LBB103_1242
; %bb.1237:
	s_cmp_gt_i32 s31, 3
	s_cbranch_scc0 .LBB103_1239
; %bb.1238:
	s_wait_xcnt 0x0
	s_delay_alu instid0(VALU_DEP_1) | instskip(SKIP_1) | instid1(VALU_DEP_1)
	v_trunc_f64_e32 v[2:3], v[0:1]
	s_mov_b32 s54, 0
	v_ldexp_f64 v[8:9], v[2:3], 0xffffffe0
	s_delay_alu instid0(VALU_DEP_1) | instskip(NEXT) | instid1(VALU_DEP_1)
	v_floor_f64_e32 v[8:9], v[8:9]
	v_fmamk_f64 v[2:3], v[8:9], 0xc1f00000, v[2:3]
	v_cvt_i32_f64_e32 v9, v[8:9]
	s_delay_alu instid0(VALU_DEP_2)
	v_cvt_u32_f64_e32 v8, v[2:3]
	global_store_b64 v[6:7], v[8:9], off
.LBB103_1239:
	s_and_not1_b32 vcc_lo, exec_lo, s54
	s_cbranch_vccnz .LBB103_1241
; %bb.1240:
	s_wait_xcnt 0x0
	s_delay_alu instid0(VALU_DEP_1)
	v_cvt_i32_f64_e32 v2, v[0:1]
	global_store_b32 v[6:7], v2, off
.LBB103_1241:
	s_mov_b32 s54, 0
.LBB103_1242:
	s_delay_alu instid0(SALU_CYCLE_1)
	s_and_not1_b32 vcc_lo, exec_lo, s54
	s_cbranch_vccnz .LBB103_1244
; %bb.1243:
	s_wait_xcnt 0x0
	s_delay_alu instid0(VALU_DEP_1)
	v_cvt_i32_f64_e32 v2, v[0:1]
	global_store_b16 v[6:7], v2, off
.LBB103_1244:
	s_mov_b32 s54, 0
.LBB103_1245:
	s_delay_alu instid0(SALU_CYCLE_1)
	s_and_not1_b32 vcc_lo, exec_lo, s54
	s_cbranch_vccnz .LBB103_1250
; %bb.1246:
	s_cmp_gt_i32 s31, 0
	s_mov_b32 s31, -1
	s_cbranch_scc0 .LBB103_1248
; %bb.1247:
	s_wait_xcnt 0x0
	s_delay_alu instid0(VALU_DEP_1)
	v_cvt_i32_f64_e32 v2, v[0:1]
	s_mov_b32 s31, 0
	global_store_b8 v[6:7], v2, off
.LBB103_1248:
	s_and_not1_b32 vcc_lo, exec_lo, s31
	s_cbranch_vccnz .LBB103_1250
; %bb.1249:
	s_wait_xcnt 0x0
	s_delay_alu instid0(VALU_DEP_1) | instskip(NEXT) | instid1(VALU_DEP_1)
	v_trunc_f64_e32 v[0:1], v[0:1]
	v_ldexp_f64 v[2:3], v[0:1], 0xffffffe0
	s_delay_alu instid0(VALU_DEP_1) | instskip(NEXT) | instid1(VALU_DEP_1)
	v_floor_f64_e32 v[2:3], v[2:3]
	v_fmamk_f64 v[0:1], v[2:3], 0xc1f00000, v[0:1]
	s_delay_alu instid0(VALU_DEP_1)
	v_cvt_u32_f64_e32 v0, v[0:1]
	global_store_b8 v[6:7], v0, off
.LBB103_1250:
	s_mov_b32 s55, -1
.LBB103_1251:
	s_delay_alu instid0(SALU_CYCLE_1)
	s_and_not1_b32 vcc_lo, exec_lo, s55
	s_cbranch_vccnz .LBB103_1274
; %bb.1252:
	v_add_nc_u32_e32 v4, 0x80, v4
	s_mov_b32 s31, -1
.LBB103_1253:
	s_and_not1_b32 s54, s49, exec_lo
	s_and_b32 s0, s0, exec_lo
	s_and_not1_b32 s55, s50, exec_lo
	s_and_b32 s30, s30, exec_lo
	s_or_b32 s56, s54, s0
	s_or_b32 s54, s55, s30
	s_and_not1_b32 s0, s51, exec_lo
	s_and_b32 s28, s28, exec_lo
	s_and_not1_b32 s30, s48, exec_lo
	s_and_b32 s29, s29, exec_lo
	s_or_b32 s55, s0, s28
	s_or_b32 s0, s30, s29
	s_or_not1_b32 s29, s31, exec_lo
.LBB103_1254:
	s_wait_xcnt 0x0
	s_or_b32 exec_lo, exec_lo, s53
	s_mov_b32 s28, 0
                                        ; implicit-def: $vgpr0
                                        ; implicit-def: $vgpr8
                                        ; implicit-def: $vgpr2
	s_and_saveexec_b32 s53, s29
	s_cbranch_execz .LBB103_1289
; %bb.1255:
	v_cmp_gt_i32_e32 vcc_lo, s41, v4
	s_mov_b32 s29, s0
                                        ; implicit-def: $vgpr0
                                        ; implicit-def: $vgpr8
                                        ; implicit-def: $vgpr2
	s_and_saveexec_b32 s41, vcc_lo
	s_cbranch_execz .LBB103_1288
; %bb.1256:
	s_and_not1_b32 vcc_lo, exec_lo, s34
	s_cbranch_vccnz .LBB103_1262
; %bb.1257:
	s_and_not1_b32 vcc_lo, exec_lo, s42
	s_cbranch_vccnz .LBB103_1263
; %bb.1258:
	s_wait_loadcnt 0x0
	v_dual_mov_b32 v2, 0 :: v_dual_mov_b32 v1, v4
	v_dual_mov_b32 v8, 0 :: v_dual_mov_b32 v0, 0
	s_add_co_i32 s30, s40, 1
	s_mov_b64 s[28:29], 0xffffffffffffffe0
	s_and_b32 s42, s30, 30
	s_add_nc_u64 s[28:29], s[2:3], s[28:29]
	s_mov_b64 s[30:31], s[2:3]
.LBB103_1259:                           ; =>This Inner Loop Header: Depth=1
	s_clause 0x1
	s_load_b128 s[60:63], s[30:31], 0x4
	s_load_b64 s[58:59], s[30:31], 0x14
	s_load_b32 s57, s[28:29], 0xe4
	s_add_co_i32 s42, s42, -2
	s_wait_xcnt 0x0
	s_add_nc_u64 s[30:31], s[30:31], 24
	s_cmp_eq_u32 s42, 0
	s_wait_kmcnt 0x0
	v_mul_hi_u32 v3, s61, v1
	s_delay_alu instid0(VALU_DEP_1) | instskip(NEXT) | instid1(VALU_DEP_1)
	v_add_nc_u32_e32 v3, v1, v3
	v_lshrrev_b32_e32 v3, s62, v3
	s_delay_alu instid0(VALU_DEP_1) | instskip(SKIP_2) | instid1(VALU_DEP_1)
	v_mul_hi_u32 v5, s58, v3
	v_mul_lo_u32 v6, v3, s60
	s_load_b96 s[60:62], s[28:29], 0xec
	v_dual_add_nc_u32 v5, v3, v5 :: v_dual_sub_nc_u32 v6, v1, v6
	s_delay_alu instid0(VALU_DEP_1) | instskip(SKIP_1) | instid1(VALU_DEP_2)
	v_lshrrev_b32_e32 v1, s59, v5
	s_load_b64 s[58:59], s[28:29], 0xfc
	v_mad_u32 v2, v6, s57, v2
	s_wait_xcnt 0x0
	s_add_nc_u64 s[28:29], s[28:29], 32
	v_mul_lo_u32 v5, v1, s63
	s_wait_kmcnt 0x0
	v_mad_u32 v0, v6, s61, v0
	v_mad_u32 v6, v6, s60, v8
	s_delay_alu instid0(VALU_DEP_3) | instskip(NEXT) | instid1(VALU_DEP_1)
	v_sub_nc_u32_e32 v3, v3, v5
	v_mad_u32 v2, v3, s62, v2
	s_delay_alu instid0(VALU_DEP_4) | instskip(NEXT) | instid1(VALU_DEP_4)
	v_mad_u32 v0, v3, s59, v0
	v_mad_u32 v8, v3, s58, v6
	s_cbranch_scc0 .LBB103_1259
; %bb.1260:
	s_bitcmp1_b32 s40, 0
	s_cselect_b32 s40, -1, 0
	s_delay_alu instid0(SALU_CYCLE_1)
	s_and_b32 vcc_lo, exec_lo, s40
	s_cbranch_vccnz .LBB103_1264
; %bb.1261:
	s_load_b96 s[60:62], s[30:31], 0x4
	s_load_b32 s40, s[28:29], 0xe4
	s_wait_xcnt 0x0
	s_load_b64 s[30:31], s[28:29], 0xec
	s_wait_kmcnt 0x0
	v_mul_hi_u32 v3, s61, v1
	s_delay_alu instid0(VALU_DEP_1) | instskip(NEXT) | instid1(VALU_DEP_1)
	v_add_nc_u32_e32 v3, v1, v3
	v_lshrrev_b32_e32 v3, s62, v3
	s_delay_alu instid0(VALU_DEP_1) | instskip(NEXT) | instid1(VALU_DEP_1)
	v_mul_lo_u32 v3, v3, s60
	v_sub_nc_u32_e32 v1, v1, v3
	s_delay_alu instid0(VALU_DEP_1)
	v_mad_u32 v2, v1, s40, v2
	v_mad_u32 v8, v1, s30, v8
	;; [unrolled: 1-line block ×3, first 2 shown]
	s_branch .LBB103_1264
.LBB103_1262:
	s_mov_b32 s28, -1
                                        ; implicit-def: $vgpr0
                                        ; implicit-def: $vgpr8
                                        ; implicit-def: $vgpr2
	s_branch .LBB103_1265
.LBB103_1263:
	s_wait_loadcnt 0x0
	v_dual_mov_b32 v0, 0 :: v_dual_mov_b32 v8, 0
	v_mov_b32_e32 v2, 0
.LBB103_1264:
	s_mov_b32 s28, 0
.LBB103_1265:
	s_delay_alu instid0(SALU_CYCLE_1)
	s_and_not1_b32 vcc_lo, exec_lo, s28
	s_cbranch_vccnz .LBB103_1268
; %bb.1266:
	v_mov_b32_e32 v5, 0
	s_and_not1_b32 vcc_lo, exec_lo, s39
	s_wait_loadcnt 0x0
	s_delay_alu instid0(VALU_DEP_1) | instskip(NEXT) | instid1(VALU_DEP_1)
	v_mul_u64_e32 v[0:1], s[22:23], v[4:5]
	v_add_nc_u32_e32 v0, v4, v1
	s_delay_alu instid0(VALU_DEP_1) | instskip(NEXT) | instid1(VALU_DEP_1)
	v_lshrrev_b32_e32 v6, s10, v0
	v_mul_lo_u32 v0, v6, s8
	s_delay_alu instid0(VALU_DEP_1) | instskip(NEXT) | instid1(VALU_DEP_1)
	v_sub_nc_u32_e32 v1, v4, v0
	v_mul_lo_u32 v2, v1, s38
	v_mul_lo_u32 v0, v1, s17
	;; [unrolled: 1-line block ×3, first 2 shown]
	s_cbranch_vccnz .LBB103_1268
; %bb.1267:
	v_mov_b32_e32 v7, v5
	s_delay_alu instid0(VALU_DEP_1) | instskip(NEXT) | instid1(VALU_DEP_1)
	v_mul_u64_e32 v[4:5], s[26:27], v[6:7]
	v_add_nc_u32_e32 v1, v6, v5
	s_delay_alu instid0(VALU_DEP_1) | instskip(NEXT) | instid1(VALU_DEP_1)
	v_lshrrev_b32_e32 v1, s1, v1
	v_mul_lo_u32 v1, v1, s11
	s_delay_alu instid0(VALU_DEP_1) | instskip(NEXT) | instid1(VALU_DEP_1)
	v_sub_nc_u32_e32 v1, v6, v1
	v_mad_u32 v2, v1, s18, v2
	v_mad_u32 v8, v1, s24, v8
	;; [unrolled: 1-line block ×3, first 2 shown]
.LBB103_1268:
	s_and_b32 s10, s37, 0xff
	s_delay_alu instid0(SALU_CYCLE_1)
	s_cmp_lt_i32 s10, 23
	s_cbranch_scc1 .LBB103_1272
; %bb.1269:
	s_and_b32 s11, 0xffff, s10
	s_delay_alu instid0(SALU_CYCLE_1)
	s_cmp_gt_i32 s11, 43
	s_cbranch_scc0 .LBB103_1273
; %bb.1270:
	s_cmp_gt_i32 s11, 45
	s_cbranch_scc0 .LBB103_1275
; %bb.1271:
	s_cmp_lg_u32 s11, 46
	s_mov_b32 s16, 0
	s_cselect_b32 s1, -1, 0
	s_and_not1_b32 s8, s0, exec_lo
	s_and_b32 s17, s1, exec_lo
	s_mov_b32 s1, -1
	s_or_b32 s8, s8, s17
	s_branch .LBB103_1276
.LBB103_1272:
	s_mov_b32 s11, -1
	s_mov_b32 s1, 0
	s_mov_b32 s8, s0
	s_branch .LBB103_1282
.LBB103_1273:
	s_mov_b32 s16, -1
	s_mov_b32 s1, 0
	s_mov_b32 s8, s0
	s_branch .LBB103_1279
.LBB103_1274:
	s_mov_b32 s31, 0
	s_branch .LBB103_874
.LBB103_1275:
	s_mov_b32 s16, -1
	s_mov_b32 s1, 0
	s_mov_b32 s8, s0
.LBB103_1276:
	s_and_not1_b32 vcc_lo, exec_lo, s16
	s_cbranch_vccnz .LBB103_1278
; %bb.1277:
	s_cmp_eq_u32 s11, 44
	s_cselect_b32 s1, -1, 0
	s_cmp_lg_u32 s11, 44
	s_cselect_b32 s16, -1, 0
	s_and_not1_b32 s8, s8, exec_lo
	s_and_b32 s16, s16, exec_lo
	s_delay_alu instid0(SALU_CYCLE_1)
	s_or_b32 s8, s8, s16
.LBB103_1278:
	s_mov_b32 s16, 0
.LBB103_1279:
	s_delay_alu instid0(SALU_CYCLE_1)
	s_and_b32 vcc_lo, exec_lo, s16
	s_cbranch_vccz .LBB103_1281
; %bb.1280:
	s_cmp_lt_i32 s11, 30
	s_cselect_b32 s1, -1, 0
	s_cmp_gt_i32 s11, 29
	s_cselect_b32 s11, -1, 0
	s_and_not1_b32 s8, s8, exec_lo
	s_and_b32 s11, s11, exec_lo
	s_delay_alu instid0(SALU_CYCLE_1)
	s_or_b32 s8, s8, s11
.LBB103_1281:
	s_mov_b32 s11, 0
.LBB103_1282:
	s_delay_alu instid0(SALU_CYCLE_1)
	s_and_b32 vcc_lo, exec_lo, s11
	s_cbranch_vccz .LBB103_1287
; %bb.1283:
	s_and_b32 s10, 0xffff, s10
	s_mov_b32 s11, -1
	s_cmp_gt_i32 s10, 14
	s_cbranch_scc0 .LBB103_1285
; %bb.1284:
	s_cmp_eq_u32 s10, 15
	s_cselect_b32 s1, -1, 0
	s_cmp_lg_u32 s10, 15
	s_cselect_b32 s11, -1, 0
	s_and_not1_b32 s8, s8, exec_lo
	s_and_b32 s16, s11, exec_lo
	s_mov_b32 s11, 0
	s_or_b32 s8, s8, s16
.LBB103_1285:
	s_and_not1_b32 vcc_lo, exec_lo, s11
	s_cbranch_vccnz .LBB103_1287
; %bb.1286:
	s_cmp_lt_i32 s10, 12
	s_cselect_b32 s1, -1, 0
	s_cmp_gt_i32 s10, 11
	s_cselect_b32 s10, -1, 0
	s_and_not1_b32 s8, s8, exec_lo
	s_and_b32 s10, s10, exec_lo
	s_delay_alu instid0(SALU_CYCLE_1)
	s_or_b32 s8, s8, s10
.LBB103_1287:
	s_and_not1_b32 s10, s0, exec_lo
	s_and_b32 s8, s8, exec_lo
	s_and_b32 s28, s1, exec_lo
	s_or_b32 s29, s10, s8
.LBB103_1288:
	s_or_b32 exec_lo, exec_lo, s41
	s_delay_alu instid0(SALU_CYCLE_1)
	s_and_not1_b32 s0, s0, exec_lo
	s_and_b32 s1, s29, exec_lo
	s_and_b32 s28, s28, exec_lo
	s_or_b32 s0, s0, s1
.LBB103_1289:
	s_or_b32 exec_lo, exec_lo, s53
	s_delay_alu instid0(SALU_CYCLE_1)
	s_and_not1_b32 s1, s49, exec_lo
	s_and_b32 s8, s56, exec_lo
	s_and_not1_b32 s10, s51, exec_lo
	s_or_b32 s49, s1, s8
	s_and_not1_b32 s1, s50, exec_lo
	s_and_b32 s8, s54, exec_lo
	s_and_b32 s11, s55, exec_lo
	s_or_b32 s50, s1, s8
	s_and_not1_b32 s1, s48, exec_lo
	s_and_b32 s8, s0, exec_lo
	s_or_b32 s51, s10, s11
	s_and_b32 s0, s28, exec_lo
	s_or_b32 s48, s1, s8
.LBB103_1290:
	s_or_b32 exec_lo, exec_lo, s52
	s_delay_alu instid0(SALU_CYCLE_1)
	s_and_not1_b32 s1, s43, exec_lo
	s_and_b32 s8, s49, exec_lo
	s_and_not1_b32 s10, s45, exec_lo
	s_or_b32 s43, s1, s8
	s_and_not1_b32 s1, s44, exec_lo
	s_and_b32 s8, s50, exec_lo
	s_and_b32 s11, s51, exec_lo
	s_or_b32 s44, s1, s8
	s_and_not1_b32 s1, s46, exec_lo
	s_and_b32 s8, s48, exec_lo
	s_or_b32 s45, s10, s11
	s_and_b32 s23, s0, exec_lo
	s_or_b32 s46, s1, s8
.LBB103_1291:
	s_or_b32 exec_lo, exec_lo, s47
	s_mov_b32 s10, 0
	s_mov_b32 s1, 0
	s_and_saveexec_b32 s0, s46
	s_cbranch_execnz .LBB103_1306
.LBB103_1292:
	s_or_b32 exec_lo, exec_lo, s0
	s_mov_b32 s16, 0
	s_mov_b32 s11, 0
                                        ; implicit-def: $sgpr0
                                        ; implicit-def: $vgpr6_vgpr7
                                        ; implicit-def: $vgpr4_vgpr5
	s_and_saveexec_b32 s8, s23
	s_cbranch_execz .LBB103_1300
; %bb.1293:
	s_wait_loadcnt 0x0
	v_mov_b32_e32 v9, 0
	s_and_b32 s0, s36, 0xff
	s_delay_alu instid0(SALU_CYCLE_1) | instskip(NEXT) | instid1(VALU_DEP_1)
	s_cmp_lt_i32 s0, 11
	v_add_nc_u64_e32 v[6:7], s[4:5], v[8:9]
	s_cbranch_scc1 .LBB103_1303
; %bb.1294:
	s_and_b32 s4, 0xffff, s0
	s_delay_alu instid0(SALU_CYCLE_1)
	s_cmp_gt_i32 s4, 25
	s_cbranch_scc0 .LBB103_1304
; %bb.1295:
	s_cmp_gt_i32 s4, 28
	s_cbranch_scc0 .LBB103_1305
; %bb.1296:
	;; [unrolled: 3-line block ×4, first 2 shown]
	s_cmp_eq_u32 s4, 46
	s_cbranch_scc0 .LBB103_1309
; %bb.1299:
	global_load_b32 v1, v[6:7], off
	s_mov_b32 s5, 0
	s_mov_b32 s11, -1
	s_wait_loadcnt 0x0
	v_lshlrev_b32_e32 v1, 16, v1
	s_delay_alu instid0(VALU_DEP_1)
	v_cvt_f64_f32_e32 v[4:5], v1
	s_branch .LBB103_1311
.LBB103_1300:
	s_or_b32 exec_lo, exec_lo, s8
	s_and_saveexec_b32 s4, s45
	s_cbranch_execnz .LBB103_1374
.LBB103_1301:
	s_or_b32 exec_lo, exec_lo, s4
	s_and_saveexec_b32 s4, s10
	s_delay_alu instid0(SALU_CYCLE_1)
	s_xor_b32 s4, exec_lo, s4
	s_cbranch_execz .LBB103_1375
.LBB103_1302:
	s_wait_loadcnt 0x0
	global_load_u8 v1, v[6:7], off
	v_mov_b32_e32 v4, 0
	s_or_b32 s11, s11, exec_lo
	s_wait_loadcnt 0x0
	v_cmp_ne_u16_e32 vcc_lo, 0, v1
	v_cndmask_b32_e64 v5, 0, 0x3ff00000, vcc_lo
	s_wait_xcnt 0x0
	s_or_b32 exec_lo, exec_lo, s4
	s_and_saveexec_b32 s4, s16
	s_cbranch_execz .LBB103_1421
	s_branch .LBB103_1376
.LBB103_1303:
	s_mov_b32 s4, -1
	s_mov_b32 s5, s45
                                        ; implicit-def: $vgpr4_vgpr5
	s_branch .LBB103_1373
.LBB103_1304:
	s_mov_b32 s5, s45
                                        ; implicit-def: $vgpr4_vgpr5
	s_cbranch_execnz .LBB103_1340
	s_branch .LBB103_1372
.LBB103_1305:
	s_mov_b32 s16, -1
	s_mov_b32 s5, s45
                                        ; implicit-def: $vgpr4_vgpr5
	s_branch .LBB103_1321
.LBB103_1306:
	s_mov_b32 s1, exec_lo
	s_and_not1_b32 s23, s23, exec_lo
	s_trap 2
	s_branch .LBB103_1292
.LBB103_1307:
	s_mov_b32 s16, -1
	s_mov_b32 s5, s45
                                        ; implicit-def: $vgpr4_vgpr5
	s_branch .LBB103_1316
.LBB103_1308:
	s_mov_b32 s16, -1
	s_mov_b32 s5, s45
	s_branch .LBB103_1310
.LBB103_1309:
	s_mov_b32 s5, -1
.LBB103_1310:
                                        ; implicit-def: $vgpr4_vgpr5
.LBB103_1311:
	s_and_b32 vcc_lo, exec_lo, s16
	s_cbranch_vccz .LBB103_1315
; %bb.1312:
	s_cmp_eq_u32 s4, 44
	s_cbranch_scc0 .LBB103_1314
; %bb.1313:
	global_load_u8 v1, v[6:7], off
	s_mov_b32 s5, 0
	s_mov_b32 s11, -1
	s_wait_loadcnt 0x0
	v_lshlrev_b32_e32 v3, 23, v1
	v_cmp_ne_u32_e32 vcc_lo, 0xff, v1
	s_delay_alu instid0(VALU_DEP_2) | instskip(NEXT) | instid1(VALU_DEP_1)
	v_cvt_f64_f32_e32 v[4:5], v3
	v_cndmask_b32_e32 v3, 0x20000000, v4, vcc_lo
	s_delay_alu instid0(VALU_DEP_2) | instskip(SKIP_1) | instid1(VALU_DEP_2)
	v_cndmask_b32_e32 v4, 0x7ff80000, v5, vcc_lo
	v_cmp_ne_u32_e32 vcc_lo, 0, v1
	v_cndmask_b32_e32 v5, 0x38000000, v4, vcc_lo
	s_delay_alu instid0(VALU_DEP_4)
	v_cndmask_b32_e32 v4, 0, v3, vcc_lo
	s_branch .LBB103_1315
.LBB103_1314:
	s_mov_b32 s5, -1
                                        ; implicit-def: $vgpr4_vgpr5
.LBB103_1315:
	s_mov_b32 s16, 0
.LBB103_1316:
	s_delay_alu instid0(SALU_CYCLE_1)
	s_and_b32 vcc_lo, exec_lo, s16
	s_cbranch_vccz .LBB103_1320
; %bb.1317:
	s_cmp_eq_u32 s4, 29
	s_cbranch_scc0 .LBB103_1319
; %bb.1318:
	global_load_b64 v[4:5], v[6:7], off
	s_mov_b32 s5, 0
	s_mov_b32 s11, -1
	s_mov_b32 s16, 0
	s_wait_loadcnt 0x0
	v_cvt_f64_u32_e32 v[8:9], v5
	v_cvt_f64_u32_e32 v[4:5], v4
	s_delay_alu instid0(VALU_DEP_2) | instskip(NEXT) | instid1(VALU_DEP_1)
	v_ldexp_f64 v[8:9], v[8:9], 32
	v_add_f64_e32 v[4:5], v[8:9], v[4:5]
	s_branch .LBB103_1321
.LBB103_1319:
	s_mov_b32 s5, -1
                                        ; implicit-def: $vgpr4_vgpr5
.LBB103_1320:
	s_mov_b32 s16, 0
.LBB103_1321:
	s_delay_alu instid0(SALU_CYCLE_1)
	s_and_b32 vcc_lo, exec_lo, s16
	s_cbranch_vccz .LBB103_1339
; %bb.1322:
	s_cmp_lt_i32 s4, 27
	s_cbranch_scc1 .LBB103_1325
; %bb.1323:
	s_cmp_gt_i32 s4, 27
	s_cbranch_scc0 .LBB103_1326
; %bb.1324:
	global_load_b32 v1, v[6:7], off
	s_mov_b32 s11, 0
	s_wait_loadcnt 0x0
	v_cvt_f64_u32_e32 v[4:5], v1
	s_branch .LBB103_1327
.LBB103_1325:
	s_mov_b32 s11, -1
                                        ; implicit-def: $vgpr4_vgpr5
	s_branch .LBB103_1330
.LBB103_1326:
	s_mov_b32 s11, -1
                                        ; implicit-def: $vgpr4_vgpr5
.LBB103_1327:
	s_delay_alu instid0(SALU_CYCLE_1)
	s_and_not1_b32 vcc_lo, exec_lo, s11
	s_cbranch_vccnz .LBB103_1329
; %bb.1328:
	global_load_u16 v1, v[6:7], off
	s_wait_loadcnt 0x0
	v_cvt_f64_u32_e32 v[4:5], v1
.LBB103_1329:
	s_mov_b32 s11, 0
.LBB103_1330:
	s_delay_alu instid0(SALU_CYCLE_1)
	s_and_not1_b32 vcc_lo, exec_lo, s11
	s_cbranch_vccnz .LBB103_1338
; %bb.1331:
	global_load_u8 v1, v[6:7], off
	s_mov_b32 s11, 0
	s_mov_b32 s16, exec_lo
	s_wait_loadcnt 0x0
	v_cmpx_lt_i16_e32 0x7f, v1
	s_xor_b32 s16, exec_lo, s16
	s_cbranch_execz .LBB103_1351
; %bb.1332:
	s_mov_b32 s11, -1
	s_mov_b32 s17, exec_lo
	v_cmpx_eq_u16_e32 0x80, v1
; %bb.1333:
	s_xor_b32 s11, exec_lo, -1
; %bb.1334:
	s_or_b32 exec_lo, exec_lo, s17
	s_delay_alu instid0(SALU_CYCLE_1)
	s_and_b32 s11, s11, exec_lo
	s_or_saveexec_b32 s16, s16
	v_mov_b64_e32 v[4:5], 0x7ff8000020000000
	s_xor_b32 exec_lo, exec_lo, s16
	s_cbranch_execnz .LBB103_1352
.LBB103_1335:
	s_or_b32 exec_lo, exec_lo, s16
	s_and_saveexec_b32 s16, s11
	s_cbranch_execz .LBB103_1337
.LBB103_1336:
	v_and_b32_e32 v3, 0xffff, v1
	s_delay_alu instid0(VALU_DEP_1) | instskip(SKIP_1) | instid1(VALU_DEP_2)
	v_and_b32_e32 v4, 7, v3
	v_bfe_u32 v9, v3, 3, 4
	v_clz_i32_u32_e32 v5, v4
	s_delay_alu instid0(VALU_DEP_2) | instskip(NEXT) | instid1(VALU_DEP_2)
	v_cmp_eq_u32_e32 vcc_lo, 0, v9
	v_min_u32_e32 v5, 32, v5
	s_delay_alu instid0(VALU_DEP_1) | instskip(NEXT) | instid1(VALU_DEP_1)
	v_subrev_nc_u32_e32 v8, 28, v5
	v_dual_lshlrev_b32 v3, v8, v3 :: v_dual_sub_nc_u32 v5, 29, v5
	s_delay_alu instid0(VALU_DEP_1) | instskip(NEXT) | instid1(VALU_DEP_1)
	v_dual_lshlrev_b32 v1, 24, v1 :: v_dual_bitop2_b32 v3, 7, v3 bitop3:0x40
	v_dual_cndmask_b32 v3, v4, v3, vcc_lo :: v_dual_cndmask_b32 v5, v9, v5, vcc_lo
	s_delay_alu instid0(VALU_DEP_2) | instskip(NEXT) | instid1(VALU_DEP_2)
	v_and_b32_e32 v1, 0x80000000, v1
	v_lshlrev_b32_e32 v3, 20, v3
	s_delay_alu instid0(VALU_DEP_3) | instskip(NEXT) | instid1(VALU_DEP_1)
	v_lshl_add_u32 v4, v5, 23, 0x3b800000
	v_or3_b32 v1, v1, v4, v3
	s_delay_alu instid0(VALU_DEP_1)
	v_cvt_f64_f32_e32 v[4:5], v1
.LBB103_1337:
	s_or_b32 exec_lo, exec_lo, s16
.LBB103_1338:
	s_mov_b32 s11, -1
.LBB103_1339:
	s_branch .LBB103_1372
.LBB103_1340:
	s_cmp_gt_i32 s4, 22
	s_cbranch_scc0 .LBB103_1350
; %bb.1341:
	s_cmp_lt_i32 s4, 24
	s_cbranch_scc1 .LBB103_1353
; %bb.1342:
	s_cmp_gt_i32 s4, 24
	s_cbranch_scc0 .LBB103_1354
; %bb.1343:
	global_load_u8 v1, v[6:7], off
	s_mov_b32 s11, exec_lo
	s_wait_loadcnt 0x0
	v_cmpx_lt_i16_e32 0x7f, v1
	s_xor_b32 s11, exec_lo, s11
	s_cbranch_execz .LBB103_1366
; %bb.1344:
	s_mov_b32 s10, -1
	s_mov_b32 s16, exec_lo
	v_cmpx_eq_u16_e32 0x80, v1
; %bb.1345:
	s_xor_b32 s10, exec_lo, -1
; %bb.1346:
	s_or_b32 exec_lo, exec_lo, s16
	s_delay_alu instid0(SALU_CYCLE_1)
	s_and_b32 s10, s10, exec_lo
	s_or_saveexec_b32 s11, s11
	v_mov_b64_e32 v[4:5], 0x7ff8000020000000
	s_xor_b32 exec_lo, exec_lo, s11
	s_cbranch_execnz .LBB103_1367
.LBB103_1347:
	s_or_b32 exec_lo, exec_lo, s11
	s_and_saveexec_b32 s11, s10
	s_cbranch_execz .LBB103_1349
.LBB103_1348:
	v_and_b32_e32 v3, 0xffff, v1
	s_delay_alu instid0(VALU_DEP_1) | instskip(SKIP_1) | instid1(VALU_DEP_2)
	v_and_b32_e32 v4, 3, v3
	v_bfe_u32 v9, v3, 2, 5
	v_clz_i32_u32_e32 v5, v4
	s_delay_alu instid0(VALU_DEP_2) | instskip(NEXT) | instid1(VALU_DEP_2)
	v_cmp_eq_u32_e32 vcc_lo, 0, v9
	v_min_u32_e32 v5, 32, v5
	s_delay_alu instid0(VALU_DEP_1) | instskip(NEXT) | instid1(VALU_DEP_1)
	v_subrev_nc_u32_e32 v8, 29, v5
	v_dual_lshlrev_b32 v3, v8, v3 :: v_dual_sub_nc_u32 v5, 30, v5
	s_delay_alu instid0(VALU_DEP_1) | instskip(NEXT) | instid1(VALU_DEP_1)
	v_dual_lshlrev_b32 v1, 24, v1 :: v_dual_bitop2_b32 v3, 3, v3 bitop3:0x40
	v_dual_cndmask_b32 v3, v4, v3, vcc_lo :: v_dual_cndmask_b32 v5, v9, v5, vcc_lo
	s_delay_alu instid0(VALU_DEP_2) | instskip(NEXT) | instid1(VALU_DEP_2)
	v_and_b32_e32 v1, 0x80000000, v1
	v_lshlrev_b32_e32 v3, 21, v3
	s_delay_alu instid0(VALU_DEP_3) | instskip(NEXT) | instid1(VALU_DEP_1)
	v_lshl_add_u32 v4, v5, 23, 0x37800000
	v_or3_b32 v1, v1, v4, v3
	s_delay_alu instid0(VALU_DEP_1)
	v_cvt_f64_f32_e32 v[4:5], v1
.LBB103_1349:
	s_or_b32 exec_lo, exec_lo, s11
	s_mov_b32 s10, 0
	s_branch .LBB103_1355
.LBB103_1350:
	s_mov_b32 s10, -1
                                        ; implicit-def: $vgpr4_vgpr5
	s_branch .LBB103_1361
.LBB103_1351:
	s_or_saveexec_b32 s16, s16
	v_mov_b64_e32 v[4:5], 0x7ff8000020000000
	s_xor_b32 exec_lo, exec_lo, s16
	s_cbranch_execz .LBB103_1335
.LBB103_1352:
	v_cmp_ne_u16_e32 vcc_lo, 0, v1
	v_mov_b64_e32 v[4:5], 0
	s_and_not1_b32 s11, s11, exec_lo
	s_and_b32 s17, vcc_lo, exec_lo
	s_delay_alu instid0(SALU_CYCLE_1)
	s_or_b32 s11, s11, s17
	s_or_b32 exec_lo, exec_lo, s16
	s_and_saveexec_b32 s16, s11
	s_cbranch_execnz .LBB103_1336
	s_branch .LBB103_1337
.LBB103_1353:
	s_mov_b32 s10, -1
                                        ; implicit-def: $vgpr4_vgpr5
	s_branch .LBB103_1358
.LBB103_1354:
	s_mov_b32 s10, -1
                                        ; implicit-def: $vgpr4_vgpr5
.LBB103_1355:
	s_delay_alu instid0(SALU_CYCLE_1)
	s_and_b32 vcc_lo, exec_lo, s10
	s_cbranch_vccz .LBB103_1357
; %bb.1356:
	global_load_u8 v1, v[6:7], off
	s_wait_loadcnt 0x0
	v_lshlrev_b32_e32 v1, 24, v1
	s_delay_alu instid0(VALU_DEP_1) | instskip(NEXT) | instid1(VALU_DEP_1)
	v_and_b32_e32 v3, 0x7f000000, v1
	v_clz_i32_u32_e32 v4, v3
	v_cmp_ne_u32_e32 vcc_lo, 0, v3
	v_add_nc_u32_e32 v8, 0x1000000, v3
	s_delay_alu instid0(VALU_DEP_3) | instskip(NEXT) | instid1(VALU_DEP_1)
	v_min_u32_e32 v4, 32, v4
	v_sub_nc_u32_e64 v4, v4, 4 clamp
	s_delay_alu instid0(VALU_DEP_1) | instskip(NEXT) | instid1(VALU_DEP_1)
	v_dual_lshlrev_b32 v5, v4, v3 :: v_dual_lshlrev_b32 v4, 23, v4
	v_lshrrev_b32_e32 v5, 4, v5
	s_delay_alu instid0(VALU_DEP_1) | instskip(SKIP_1) | instid1(VALU_DEP_2)
	v_sub_nc_u32_e32 v4, v5, v4
	v_ashrrev_i32_e32 v5, 8, v8
	v_add_nc_u32_e32 v4, 0x3c000000, v4
	s_delay_alu instid0(VALU_DEP_1) | instskip(NEXT) | instid1(VALU_DEP_1)
	v_and_or_b32 v4, 0x7f800000, v5, v4
	v_cndmask_b32_e32 v3, 0, v4, vcc_lo
	s_delay_alu instid0(VALU_DEP_1) | instskip(NEXT) | instid1(VALU_DEP_1)
	v_and_or_b32 v1, 0x80000000, v1, v3
	v_cvt_f64_f32_e32 v[4:5], v1
.LBB103_1357:
	s_mov_b32 s10, 0
.LBB103_1358:
	s_delay_alu instid0(SALU_CYCLE_1)
	s_and_not1_b32 vcc_lo, exec_lo, s10
	s_cbranch_vccnz .LBB103_1360
; %bb.1359:
	global_load_u8 v1, v[6:7], off
	s_wait_loadcnt 0x0
	v_lshlrev_b32_e32 v3, 25, v1
	v_lshlrev_b16 v1, 8, v1
	s_delay_alu instid0(VALU_DEP_1) | instskip(NEXT) | instid1(VALU_DEP_3)
	v_and_or_b32 v5, 0x7f00, v1, 0.5
	v_lshrrev_b32_e32 v4, 4, v3
	v_bfe_i32 v1, v1, 0, 16
	s_delay_alu instid0(VALU_DEP_3) | instskip(NEXT) | instid1(VALU_DEP_3)
	v_add_f32_e32 v5, -0.5, v5
	v_or_b32_e32 v4, 0x70000000, v4
	s_delay_alu instid0(VALU_DEP_1) | instskip(SKIP_1) | instid1(VALU_DEP_2)
	v_mul_f32_e32 v4, 0x7800000, v4
	v_cmp_gt_u32_e32 vcc_lo, 0x8000000, v3
	v_cndmask_b32_e32 v3, v4, v5, vcc_lo
	s_delay_alu instid0(VALU_DEP_1) | instskip(NEXT) | instid1(VALU_DEP_1)
	v_and_or_b32 v1, 0x80000000, v1, v3
	v_cvt_f64_f32_e32 v[4:5], v1
.LBB103_1360:
	s_mov_b32 s10, 0
	s_mov_b32 s11, -1
.LBB103_1361:
	s_and_not1_b32 vcc_lo, exec_lo, s10
	s_mov_b32 s10, 0
	s_cbranch_vccnz .LBB103_1372
; %bb.1362:
	s_cmp_gt_i32 s4, 14
	s_cbranch_scc0 .LBB103_1365
; %bb.1363:
	s_cmp_eq_u32 s4, 15
	s_cbranch_scc0 .LBB103_1368
; %bb.1364:
	global_load_u16 v1, v[6:7], off
	s_mov_b32 s5, 0
	s_mov_b32 s11, -1
	s_wait_loadcnt 0x0
	v_lshlrev_b32_e32 v1, 16, v1
	s_delay_alu instid0(VALU_DEP_1)
	v_cvt_f64_f32_e32 v[4:5], v1
	s_branch .LBB103_1370
.LBB103_1365:
	s_mov_b32 s10, -1
	s_branch .LBB103_1369
.LBB103_1366:
	s_or_saveexec_b32 s11, s11
	v_mov_b64_e32 v[4:5], 0x7ff8000020000000
	s_xor_b32 exec_lo, exec_lo, s11
	s_cbranch_execz .LBB103_1347
.LBB103_1367:
	v_cmp_ne_u16_e32 vcc_lo, 0, v1
	v_mov_b64_e32 v[4:5], 0
	s_and_not1_b32 s10, s10, exec_lo
	s_and_b32 s16, vcc_lo, exec_lo
	s_delay_alu instid0(SALU_CYCLE_1)
	s_or_b32 s10, s10, s16
	s_or_b32 exec_lo, exec_lo, s11
	s_and_saveexec_b32 s11, s10
	s_cbranch_execnz .LBB103_1348
	s_branch .LBB103_1349
.LBB103_1368:
	s_mov_b32 s5, -1
.LBB103_1369:
                                        ; implicit-def: $vgpr4_vgpr5
.LBB103_1370:
	s_and_b32 vcc_lo, exec_lo, s10
	s_mov_b32 s10, 0
	s_cbranch_vccz .LBB103_1372
; %bb.1371:
	s_cmp_lg_u32 s4, 11
	s_mov_b32 s10, -1
	s_cselect_b32 s4, -1, 0
	s_and_not1_b32 s5, s5, exec_lo
	s_and_b32 s4, s4, exec_lo
	s_delay_alu instid0(SALU_CYCLE_1)
	s_or_b32 s5, s5, s4
.LBB103_1372:
	s_mov_b32 s4, 0
.LBB103_1373:
	s_delay_alu instid0(SALU_CYCLE_1)
	s_and_b32 s16, s4, exec_lo
	s_and_not1_b32 s4, s45, exec_lo
	s_and_b32 s5, s5, exec_lo
	s_and_b32 s11, s11, exec_lo
	;; [unrolled: 1-line block ×3, first 2 shown]
	s_or_b32 s45, s4, s5
	s_wait_xcnt 0x0
	s_or_b32 exec_lo, exec_lo, s8
	s_and_saveexec_b32 s4, s45
	s_cbranch_execz .LBB103_1301
.LBB103_1374:
	s_or_b32 s1, s1, exec_lo
	s_and_not1_b32 s10, s10, exec_lo
	s_trap 2
	s_or_b32 exec_lo, exec_lo, s4
	s_and_saveexec_b32 s4, s10
	s_delay_alu instid0(SALU_CYCLE_1)
	s_xor_b32 s4, exec_lo, s4
	s_cbranch_execnz .LBB103_1302
.LBB103_1375:
	s_or_b32 exec_lo, exec_lo, s4
	s_and_saveexec_b32 s4, s16
	s_cbranch_execz .LBB103_1421
.LBB103_1376:
	s_sext_i32_i16 s5, s0
	s_delay_alu instid0(SALU_CYCLE_1)
	s_cmp_lt_i32 s5, 5
	s_cbranch_scc1 .LBB103_1381
; %bb.1377:
	s_cmp_lt_i32 s5, 8
	s_cbranch_scc1 .LBB103_1382
; %bb.1378:
	;; [unrolled: 3-line block ×3, first 2 shown]
	s_cmp_gt_i32 s5, 9
	s_cbranch_scc0 .LBB103_1384
; %bb.1380:
	global_load_b64 v[4:5], v[6:7], off
	s_mov_b32 s5, 0
	s_branch .LBB103_1385
.LBB103_1381:
                                        ; implicit-def: $vgpr4_vgpr5
	s_branch .LBB103_1402
.LBB103_1382:
                                        ; implicit-def: $vgpr4_vgpr5
	s_branch .LBB103_1391
.LBB103_1383:
	s_mov_b32 s5, -1
                                        ; implicit-def: $vgpr4_vgpr5
	s_branch .LBB103_1388
.LBB103_1384:
	s_mov_b32 s5, -1
                                        ; implicit-def: $vgpr4_vgpr5
.LBB103_1385:
	s_delay_alu instid0(SALU_CYCLE_1)
	s_and_not1_b32 vcc_lo, exec_lo, s5
	s_cbranch_vccnz .LBB103_1387
; %bb.1386:
	s_wait_loadcnt 0x0
	global_load_b32 v1, v[6:7], off
	s_wait_loadcnt 0x0
	v_cvt_f64_f32_e32 v[4:5], v1
.LBB103_1387:
	s_mov_b32 s5, 0
.LBB103_1388:
	s_delay_alu instid0(SALU_CYCLE_1)
	s_and_not1_b32 vcc_lo, exec_lo, s5
	s_cbranch_vccnz .LBB103_1390
; %bb.1389:
	s_wait_loadcnt 0x0
	global_load_b32 v1, v[6:7], off
	s_wait_loadcnt 0x0
	v_cvt_f32_f16_e32 v1, v1
	s_delay_alu instid0(VALU_DEP_1)
	v_cvt_f64_f32_e32 v[4:5], v1
.LBB103_1390:
	s_cbranch_execnz .LBB103_1401
.LBB103_1391:
	s_sext_i32_i16 s5, s0
	s_delay_alu instid0(SALU_CYCLE_1)
	s_cmp_lt_i32 s5, 6
	s_cbranch_scc1 .LBB103_1394
; %bb.1392:
	s_cmp_gt_i32 s5, 6
	s_cbranch_scc0 .LBB103_1395
; %bb.1393:
	s_wait_loadcnt 0x0
	global_load_b64 v[4:5], v[6:7], off
	s_mov_b32 s5, 0
	s_branch .LBB103_1396
.LBB103_1394:
	s_mov_b32 s5, -1
                                        ; implicit-def: $vgpr4_vgpr5
	s_branch .LBB103_1399
.LBB103_1395:
	s_mov_b32 s5, -1
                                        ; implicit-def: $vgpr4_vgpr5
.LBB103_1396:
	s_delay_alu instid0(SALU_CYCLE_1)
	s_and_not1_b32 vcc_lo, exec_lo, s5
	s_cbranch_vccnz .LBB103_1398
; %bb.1397:
	s_wait_loadcnt 0x0
	global_load_b32 v1, v[6:7], off
	s_wait_loadcnt 0x0
	v_cvt_f64_f32_e32 v[4:5], v1
.LBB103_1398:
	s_mov_b32 s5, 0
.LBB103_1399:
	s_delay_alu instid0(SALU_CYCLE_1)
	s_and_not1_b32 vcc_lo, exec_lo, s5
	s_cbranch_vccnz .LBB103_1401
; %bb.1400:
	s_wait_loadcnt 0x0
	global_load_u16 v1, v[6:7], off
	s_wait_loadcnt 0x0
	v_cvt_f32_f16_e32 v1, v1
	s_delay_alu instid0(VALU_DEP_1)
	v_cvt_f64_f32_e32 v[4:5], v1
.LBB103_1401:
	s_cbranch_execnz .LBB103_1420
.LBB103_1402:
	s_sext_i32_i16 s5, s0
	s_delay_alu instid0(SALU_CYCLE_1)
	s_cmp_lt_i32 s5, 2
	s_cbranch_scc1 .LBB103_1406
; %bb.1403:
	s_cmp_lt_i32 s5, 3
	s_cbranch_scc1 .LBB103_1407
; %bb.1404:
	s_cmp_gt_i32 s5, 3
	s_cbranch_scc0 .LBB103_1408
; %bb.1405:
	s_wait_loadcnt 0x0
	global_load_b64 v[4:5], v[6:7], off
	s_mov_b32 s5, 0
	s_wait_loadcnt 0x0
	v_cvt_f64_i32_e32 v[8:9], v5
	v_cvt_f64_u32_e32 v[4:5], v4
	s_delay_alu instid0(VALU_DEP_2) | instskip(NEXT) | instid1(VALU_DEP_1)
	v_ldexp_f64 v[8:9], v[8:9], 32
	v_add_f64_e32 v[4:5], v[8:9], v[4:5]
	s_branch .LBB103_1409
.LBB103_1406:
                                        ; implicit-def: $vgpr4_vgpr5
	s_branch .LBB103_1415
.LBB103_1407:
	s_mov_b32 s5, -1
                                        ; implicit-def: $vgpr4_vgpr5
	s_branch .LBB103_1412
.LBB103_1408:
	s_mov_b32 s5, -1
                                        ; implicit-def: $vgpr4_vgpr5
.LBB103_1409:
	s_delay_alu instid0(SALU_CYCLE_1)
	s_and_not1_b32 vcc_lo, exec_lo, s5
	s_cbranch_vccnz .LBB103_1411
; %bb.1410:
	s_wait_loadcnt 0x0
	global_load_b32 v1, v[6:7], off
	s_wait_loadcnt 0x0
	v_cvt_f64_i32_e32 v[4:5], v1
.LBB103_1411:
	s_mov_b32 s5, 0
.LBB103_1412:
	s_delay_alu instid0(SALU_CYCLE_1)
	s_and_not1_b32 vcc_lo, exec_lo, s5
	s_cbranch_vccnz .LBB103_1414
; %bb.1413:
	s_wait_loadcnt 0x0
	global_load_i16 v1, v[6:7], off
	s_wait_loadcnt 0x0
	v_cvt_f64_i32_e32 v[4:5], v1
.LBB103_1414:
	s_cbranch_execnz .LBB103_1420
.LBB103_1415:
	s_sext_i32_i16 s0, s0
	s_delay_alu instid0(SALU_CYCLE_1)
	s_cmp_gt_i32 s0, 0
	s_mov_b32 s0, 0
	s_cbranch_scc0 .LBB103_1417
; %bb.1416:
	s_wait_loadcnt 0x0
	global_load_i8 v1, v[6:7], off
	s_wait_loadcnt 0x0
	v_cvt_f64_i32_e32 v[4:5], v1
	s_branch .LBB103_1418
.LBB103_1417:
	s_mov_b32 s0, -1
                                        ; implicit-def: $vgpr4_vgpr5
.LBB103_1418:
	s_delay_alu instid0(SALU_CYCLE_1)
	s_and_not1_b32 vcc_lo, exec_lo, s0
	s_cbranch_vccnz .LBB103_1420
; %bb.1419:
	s_wait_loadcnt 0x0
	global_load_u8 v1, v[6:7], off
	s_wait_loadcnt 0x0
	v_cvt_f64_u32_e32 v[4:5], v1
.LBB103_1420:
	s_or_b32 s11, s11, exec_lo
.LBB103_1421:
	s_wait_xcnt 0x0
	s_or_b32 exec_lo, exec_lo, s4
	s_mov_b32 s5, 0
	s_mov_b32 s4, 0
	;; [unrolled: 1-line block ×3, first 2 shown]
                                        ; implicit-def: $vgpr6_vgpr7
                                        ; implicit-def: $vgpr8_vgpr9
	s_and_saveexec_b32 s0, s11
	s_cbranch_execz .LBB103_1429
; %bb.1422:
	s_wait_loadcnt 0x0
	v_mov_b32_e32 v1, 0
	s_and_b32 s4, 0xffff, s9
	s_delay_alu instid0(SALU_CYCLE_1) | instskip(NEXT) | instid1(VALU_DEP_1)
	s_cmp_lt_i32 s4, 11
	v_add_nc_u64_e32 v[6:7], s[6:7], v[0:1]
	s_cbranch_scc1 .LBB103_1432
; %bb.1423:
	s_cmp_gt_i32 s4, 25
	s_mov_b32 s6, 0
	s_cbranch_scc0 .LBB103_1433
; %bb.1424:
	s_cmp_gt_i32 s4, 28
	s_cbranch_scc0 .LBB103_1434
; %bb.1425:
	s_cmp_gt_i32 s4, 43
	s_cbranch_scc0 .LBB103_1435
; %bb.1426:
	s_cmp_gt_i32 s4, 45
	s_cbranch_scc0 .LBB103_1436
; %bb.1427:
	s_cmp_eq_u32 s4, 46
	s_cbranch_scc0 .LBB103_1437
; %bb.1428:
	global_load_b32 v0, v[6:7], off
	s_mov_b32 s7, -1
	s_wait_loadcnt 0x0
	v_lshlrev_b32_e32 v0, 16, v0
	s_delay_alu instid0(VALU_DEP_1)
	v_cvt_f64_f32_e32 v[8:9], v0
	s_branch .LBB103_1439
.LBB103_1429:
	s_or_b32 exec_lo, exec_lo, s0
	s_and_saveexec_b32 s0, s44
	s_cbranch_execnz .LBB103_1502
.LBB103_1430:
	s_or_b32 exec_lo, exec_lo, s0
	s_and_saveexec_b32 s0, s5
	s_delay_alu instid0(SALU_CYCLE_1)
	s_xor_b32 s0, exec_lo, s0
	s_cbranch_execz .LBB103_1503
.LBB103_1431:
	s_wait_loadcnt 0x0
	global_load_u8 v0, v[6:7], off
	v_mov_b32_e32 v8, 0
	s_or_b32 s8, s8, exec_lo
	s_wait_loadcnt 0x0
	v_cmp_ne_u16_e32 vcc_lo, 0, v0
	v_cndmask_b32_e64 v9, 0, 0x3ff00000, vcc_lo
	s_wait_xcnt 0x0
	s_or_b32 exec_lo, exec_lo, s0
	s_and_saveexec_b32 s0, s4
	s_cbranch_execz .LBB103_1549
	s_branch .LBB103_1504
.LBB103_1432:
	s_mov_b32 s4, -1
	s_mov_b32 s7, 0
	s_mov_b32 s6, 0
	s_mov_b32 s5, s44
                                        ; implicit-def: $vgpr8_vgpr9
	s_branch .LBB103_1501
.LBB103_1433:
	s_mov_b32 s7, 0
	s_mov_b32 s5, s44
                                        ; implicit-def: $vgpr8_vgpr9
	s_cbranch_execnz .LBB103_1468
	s_branch .LBB103_1500
.LBB103_1434:
	s_mov_b32 s8, -1
	s_mov_b32 s7, 0
	s_mov_b32 s5, s44
                                        ; implicit-def: $vgpr8_vgpr9
	s_branch .LBB103_1449
.LBB103_1435:
	s_mov_b32 s8, -1
	s_mov_b32 s7, 0
	s_mov_b32 s5, s44
                                        ; implicit-def: $vgpr8_vgpr9
	s_branch .LBB103_1444
.LBB103_1436:
	s_mov_b32 s8, -1
	s_mov_b32 s7, 0
	s_mov_b32 s5, s44
	s_branch .LBB103_1438
.LBB103_1437:
	s_mov_b32 s5, -1
	s_mov_b32 s7, 0
.LBB103_1438:
                                        ; implicit-def: $vgpr8_vgpr9
.LBB103_1439:
	s_and_b32 vcc_lo, exec_lo, s8
	s_cbranch_vccz .LBB103_1443
; %bb.1440:
	s_cmp_eq_u32 s4, 44
	s_cbranch_scc0 .LBB103_1442
; %bb.1441:
	global_load_u8 v3, v[6:7], off
	s_mov_b32 s5, 0
	s_mov_b32 s7, -1
	s_wait_loadcnt 0x0
	v_cmp_ne_u32_e32 vcc_lo, 0xff, v3
	v_lshlrev_b32_e32 v0, 23, v3
	s_delay_alu instid0(VALU_DEP_1) | instskip(NEXT) | instid1(VALU_DEP_1)
	v_cvt_f64_f32_e32 v[0:1], v0
	v_cndmask_b32_e32 v0, 0x20000000, v0, vcc_lo
	s_delay_alu instid0(VALU_DEP_2) | instskip(SKIP_1) | instid1(VALU_DEP_2)
	v_cndmask_b32_e32 v1, 0x7ff80000, v1, vcc_lo
	v_cmp_ne_u32_e32 vcc_lo, 0, v3
	v_cndmask_b32_e32 v9, 0x38000000, v1, vcc_lo
	s_delay_alu instid0(VALU_DEP_4)
	v_cndmask_b32_e32 v8, 0, v0, vcc_lo
	s_branch .LBB103_1443
.LBB103_1442:
	s_mov_b32 s5, -1
                                        ; implicit-def: $vgpr8_vgpr9
.LBB103_1443:
	s_mov_b32 s8, 0
.LBB103_1444:
	s_delay_alu instid0(SALU_CYCLE_1)
	s_and_b32 vcc_lo, exec_lo, s8
	s_cbranch_vccz .LBB103_1448
; %bb.1445:
	s_cmp_eq_u32 s4, 29
	s_cbranch_scc0 .LBB103_1447
; %bb.1446:
	global_load_b64 v[0:1], v[6:7], off
	s_mov_b32 s5, 0
	s_mov_b32 s7, -1
	s_mov_b32 s8, 0
	s_wait_loadcnt 0x0
	v_cvt_f64_u32_e32 v[8:9], v1
	v_cvt_f64_u32_e32 v[0:1], v0
	s_delay_alu instid0(VALU_DEP_2) | instskip(NEXT) | instid1(VALU_DEP_1)
	v_ldexp_f64 v[8:9], v[8:9], 32
	v_add_f64_e32 v[8:9], v[8:9], v[0:1]
	s_branch .LBB103_1449
.LBB103_1447:
	s_mov_b32 s5, -1
                                        ; implicit-def: $vgpr8_vgpr9
.LBB103_1448:
	s_mov_b32 s8, 0
.LBB103_1449:
	s_delay_alu instid0(SALU_CYCLE_1)
	s_and_b32 vcc_lo, exec_lo, s8
	s_cbranch_vccz .LBB103_1467
; %bb.1450:
	s_cmp_lt_i32 s4, 27
	s_cbranch_scc1 .LBB103_1453
; %bb.1451:
	s_cmp_gt_i32 s4, 27
	s_cbranch_scc0 .LBB103_1454
; %bb.1452:
	global_load_b32 v0, v[6:7], off
	s_mov_b32 s7, 0
	s_wait_loadcnt 0x0
	v_cvt_f64_u32_e32 v[8:9], v0
	s_branch .LBB103_1455
.LBB103_1453:
	s_mov_b32 s7, -1
                                        ; implicit-def: $vgpr8_vgpr9
	s_branch .LBB103_1458
.LBB103_1454:
	s_mov_b32 s7, -1
                                        ; implicit-def: $vgpr8_vgpr9
.LBB103_1455:
	s_delay_alu instid0(SALU_CYCLE_1)
	s_and_not1_b32 vcc_lo, exec_lo, s7
	s_cbranch_vccnz .LBB103_1457
; %bb.1456:
	global_load_u16 v0, v[6:7], off
	s_wait_loadcnt 0x0
	v_cvt_f64_u32_e32 v[8:9], v0
.LBB103_1457:
	s_mov_b32 s7, 0
.LBB103_1458:
	s_delay_alu instid0(SALU_CYCLE_1)
	s_and_not1_b32 vcc_lo, exec_lo, s7
	s_cbranch_vccnz .LBB103_1466
; %bb.1459:
	global_load_u8 v0, v[6:7], off
	s_mov_b32 s7, 0
	s_mov_b32 s8, exec_lo
	s_wait_loadcnt 0x0
	v_cmpx_lt_i16_e32 0x7f, v0
	s_xor_b32 s8, exec_lo, s8
	s_cbranch_execz .LBB103_1479
; %bb.1460:
	s_mov_b32 s7, -1
	s_mov_b32 s10, exec_lo
	v_cmpx_eq_u16_e32 0x80, v0
; %bb.1461:
	s_xor_b32 s7, exec_lo, -1
; %bb.1462:
	s_or_b32 exec_lo, exec_lo, s10
	s_delay_alu instid0(SALU_CYCLE_1)
	s_and_b32 s7, s7, exec_lo
	s_or_saveexec_b32 s8, s8
	v_mov_b64_e32 v[8:9], 0x7ff8000020000000
	s_xor_b32 exec_lo, exec_lo, s8
	s_cbranch_execnz .LBB103_1480
.LBB103_1463:
	s_or_b32 exec_lo, exec_lo, s8
	s_and_saveexec_b32 s8, s7
	s_cbranch_execz .LBB103_1465
.LBB103_1464:
	v_and_b32_e32 v1, 0xffff, v0
	s_delay_alu instid0(VALU_DEP_1) | instskip(SKIP_1) | instid1(VALU_DEP_2)
	v_and_b32_e32 v3, 7, v1
	v_bfe_u32 v10, v1, 3, 4
	v_clz_i32_u32_e32 v8, v3
	s_delay_alu instid0(VALU_DEP_2) | instskip(NEXT) | instid1(VALU_DEP_2)
	v_cmp_eq_u32_e32 vcc_lo, 0, v10
	v_min_u32_e32 v8, 32, v8
	s_delay_alu instid0(VALU_DEP_1) | instskip(NEXT) | instid1(VALU_DEP_1)
	v_subrev_nc_u32_e32 v9, 28, v8
	v_dual_lshlrev_b32 v1, v9, v1 :: v_dual_sub_nc_u32 v8, 29, v8
	s_delay_alu instid0(VALU_DEP_1) | instskip(NEXT) | instid1(VALU_DEP_1)
	v_dual_lshlrev_b32 v0, 24, v0 :: v_dual_bitop2_b32 v1, 7, v1 bitop3:0x40
	v_dual_cndmask_b32 v1, v3, v1 :: v_dual_cndmask_b32 v8, v10, v8
	s_delay_alu instid0(VALU_DEP_2) | instskip(NEXT) | instid1(VALU_DEP_2)
	v_and_b32_e32 v0, 0x80000000, v0
	v_lshlrev_b32_e32 v1, 20, v1
	s_delay_alu instid0(VALU_DEP_3) | instskip(NEXT) | instid1(VALU_DEP_1)
	v_lshl_add_u32 v3, v8, 23, 0x3b800000
	v_or3_b32 v0, v0, v3, v1
	s_delay_alu instid0(VALU_DEP_1)
	v_cvt_f64_f32_e32 v[8:9], v0
.LBB103_1465:
	s_or_b32 exec_lo, exec_lo, s8
.LBB103_1466:
	s_mov_b32 s7, -1
.LBB103_1467:
	s_branch .LBB103_1500
.LBB103_1468:
	s_cmp_gt_i32 s4, 22
	s_cbranch_scc0 .LBB103_1478
; %bb.1469:
	s_cmp_lt_i32 s4, 24
	s_cbranch_scc1 .LBB103_1481
; %bb.1470:
	s_cmp_gt_i32 s4, 24
	s_cbranch_scc0 .LBB103_1482
; %bb.1471:
	global_load_u8 v0, v[6:7], off
	s_mov_b32 s7, exec_lo
	s_wait_loadcnt 0x0
	v_cmpx_lt_i16_e32 0x7f, v0
	s_xor_b32 s7, exec_lo, s7
	s_cbranch_execz .LBB103_1494
; %bb.1472:
	s_mov_b32 s6, -1
	s_mov_b32 s8, exec_lo
	v_cmpx_eq_u16_e32 0x80, v0
; %bb.1473:
	s_xor_b32 s6, exec_lo, -1
; %bb.1474:
	s_or_b32 exec_lo, exec_lo, s8
	s_delay_alu instid0(SALU_CYCLE_1)
	s_and_b32 s6, s6, exec_lo
	s_or_saveexec_b32 s7, s7
	v_mov_b64_e32 v[8:9], 0x7ff8000020000000
	s_xor_b32 exec_lo, exec_lo, s7
	s_cbranch_execnz .LBB103_1495
.LBB103_1475:
	s_or_b32 exec_lo, exec_lo, s7
	s_and_saveexec_b32 s7, s6
	s_cbranch_execz .LBB103_1477
.LBB103_1476:
	v_and_b32_e32 v1, 0xffff, v0
	s_delay_alu instid0(VALU_DEP_1) | instskip(SKIP_1) | instid1(VALU_DEP_2)
	v_and_b32_e32 v3, 3, v1
	v_bfe_u32 v10, v1, 2, 5
	v_clz_i32_u32_e32 v8, v3
	s_delay_alu instid0(VALU_DEP_2) | instskip(NEXT) | instid1(VALU_DEP_2)
	v_cmp_eq_u32_e32 vcc_lo, 0, v10
	v_min_u32_e32 v8, 32, v8
	s_delay_alu instid0(VALU_DEP_1) | instskip(NEXT) | instid1(VALU_DEP_1)
	v_subrev_nc_u32_e32 v9, 29, v8
	v_dual_lshlrev_b32 v1, v9, v1 :: v_dual_sub_nc_u32 v8, 30, v8
	s_delay_alu instid0(VALU_DEP_1) | instskip(NEXT) | instid1(VALU_DEP_1)
	v_dual_lshlrev_b32 v0, 24, v0 :: v_dual_bitop2_b32 v1, 3, v1 bitop3:0x40
	v_dual_cndmask_b32 v1, v3, v1 :: v_dual_cndmask_b32 v8, v10, v8
	s_delay_alu instid0(VALU_DEP_2) | instskip(NEXT) | instid1(VALU_DEP_2)
	v_and_b32_e32 v0, 0x80000000, v0
	v_lshlrev_b32_e32 v1, 21, v1
	s_delay_alu instid0(VALU_DEP_3) | instskip(NEXT) | instid1(VALU_DEP_1)
	v_lshl_add_u32 v3, v8, 23, 0x37800000
	v_or3_b32 v0, v0, v3, v1
	s_delay_alu instid0(VALU_DEP_1)
	v_cvt_f64_f32_e32 v[8:9], v0
.LBB103_1477:
	s_or_b32 exec_lo, exec_lo, s7
	s_mov_b32 s6, 0
	s_branch .LBB103_1483
.LBB103_1478:
	s_mov_b32 s6, -1
                                        ; implicit-def: $vgpr8_vgpr9
	s_branch .LBB103_1489
.LBB103_1479:
	s_or_saveexec_b32 s8, s8
	v_mov_b64_e32 v[8:9], 0x7ff8000020000000
	s_xor_b32 exec_lo, exec_lo, s8
	s_cbranch_execz .LBB103_1463
.LBB103_1480:
	v_cmp_ne_u16_e32 vcc_lo, 0, v0
	v_mov_b64_e32 v[8:9], 0
	s_and_not1_b32 s7, s7, exec_lo
	s_and_b32 s10, vcc_lo, exec_lo
	s_delay_alu instid0(SALU_CYCLE_1)
	s_or_b32 s7, s7, s10
	s_or_b32 exec_lo, exec_lo, s8
	s_and_saveexec_b32 s8, s7
	s_cbranch_execnz .LBB103_1464
	s_branch .LBB103_1465
.LBB103_1481:
	s_mov_b32 s6, -1
                                        ; implicit-def: $vgpr8_vgpr9
	s_branch .LBB103_1486
.LBB103_1482:
	s_mov_b32 s6, -1
                                        ; implicit-def: $vgpr8_vgpr9
.LBB103_1483:
	s_delay_alu instid0(SALU_CYCLE_1)
	s_and_b32 vcc_lo, exec_lo, s6
	s_cbranch_vccz .LBB103_1485
; %bb.1484:
	global_load_u8 v0, v[6:7], off
	s_wait_loadcnt 0x0
	v_lshlrev_b32_e32 v0, 24, v0
	s_delay_alu instid0(VALU_DEP_1) | instskip(NEXT) | instid1(VALU_DEP_1)
	v_and_b32_e32 v1, 0x7f000000, v0
	v_clz_i32_u32_e32 v3, v1
	v_add_nc_u32_e32 v9, 0x1000000, v1
	v_cmp_ne_u32_e32 vcc_lo, 0, v1
	s_delay_alu instid0(VALU_DEP_3) | instskip(NEXT) | instid1(VALU_DEP_1)
	v_min_u32_e32 v3, 32, v3
	v_sub_nc_u32_e64 v3, v3, 4 clamp
	s_delay_alu instid0(VALU_DEP_1) | instskip(NEXT) | instid1(VALU_DEP_1)
	v_dual_lshlrev_b32 v8, v3, v1 :: v_dual_lshlrev_b32 v3, 23, v3
	v_lshrrev_b32_e32 v8, 4, v8
	s_delay_alu instid0(VALU_DEP_1) | instskip(NEXT) | instid1(VALU_DEP_1)
	v_dual_sub_nc_u32 v3, v8, v3 :: v_dual_ashrrev_i32 v8, 8, v9
	v_add_nc_u32_e32 v3, 0x3c000000, v3
	s_delay_alu instid0(VALU_DEP_1) | instskip(NEXT) | instid1(VALU_DEP_1)
	v_and_or_b32 v3, 0x7f800000, v8, v3
	v_cndmask_b32_e32 v1, 0, v3, vcc_lo
	s_delay_alu instid0(VALU_DEP_1) | instskip(NEXT) | instid1(VALU_DEP_1)
	v_and_or_b32 v0, 0x80000000, v0, v1
	v_cvt_f64_f32_e32 v[8:9], v0
.LBB103_1485:
	s_mov_b32 s6, 0
.LBB103_1486:
	s_delay_alu instid0(SALU_CYCLE_1)
	s_and_not1_b32 vcc_lo, exec_lo, s6
	s_cbranch_vccnz .LBB103_1488
; %bb.1487:
	global_load_u8 v0, v[6:7], off
	s_wait_loadcnt 0x0
	v_lshlrev_b32_e32 v1, 25, v0
	v_lshlrev_b16 v0, 8, v0
	s_delay_alu instid0(VALU_DEP_2) | instskip(NEXT) | instid1(VALU_DEP_2)
	v_cmp_gt_u32_e32 vcc_lo, 0x8000000, v1
	v_and_or_b32 v8, 0x7f00, v0, 0.5
	v_lshrrev_b32_e32 v3, 4, v1
	v_bfe_i32 v0, v0, 0, 16
	s_delay_alu instid0(VALU_DEP_3) | instskip(NEXT) | instid1(VALU_DEP_3)
	v_add_f32_e32 v8, -0.5, v8
	v_or_b32_e32 v3, 0x70000000, v3
	s_delay_alu instid0(VALU_DEP_1) | instskip(NEXT) | instid1(VALU_DEP_1)
	v_mul_f32_e32 v3, 0x7800000, v3
	v_cndmask_b32_e32 v1, v3, v8, vcc_lo
	s_delay_alu instid0(VALU_DEP_1) | instskip(NEXT) | instid1(VALU_DEP_1)
	v_and_or_b32 v0, 0x80000000, v0, v1
	v_cvt_f64_f32_e32 v[8:9], v0
.LBB103_1488:
	s_mov_b32 s6, 0
	s_mov_b32 s7, -1
.LBB103_1489:
	s_and_not1_b32 vcc_lo, exec_lo, s6
	s_mov_b32 s6, 0
	s_cbranch_vccnz .LBB103_1500
; %bb.1490:
	s_cmp_gt_i32 s4, 14
	s_cbranch_scc0 .LBB103_1493
; %bb.1491:
	s_cmp_eq_u32 s4, 15
	s_cbranch_scc0 .LBB103_1496
; %bb.1492:
	global_load_u16 v0, v[6:7], off
	s_mov_b32 s5, 0
	s_mov_b32 s7, -1
	s_wait_loadcnt 0x0
	v_lshlrev_b32_e32 v0, 16, v0
	s_delay_alu instid0(VALU_DEP_1)
	v_cvt_f64_f32_e32 v[8:9], v0
	s_branch .LBB103_1498
.LBB103_1493:
	s_mov_b32 s6, -1
	s_branch .LBB103_1497
.LBB103_1494:
	s_or_saveexec_b32 s7, s7
	v_mov_b64_e32 v[8:9], 0x7ff8000020000000
	s_xor_b32 exec_lo, exec_lo, s7
	s_cbranch_execz .LBB103_1475
.LBB103_1495:
	v_cmp_ne_u16_e32 vcc_lo, 0, v0
	v_mov_b64_e32 v[8:9], 0
	s_and_not1_b32 s6, s6, exec_lo
	s_and_b32 s8, vcc_lo, exec_lo
	s_delay_alu instid0(SALU_CYCLE_1)
	s_or_b32 s6, s6, s8
	s_or_b32 exec_lo, exec_lo, s7
	s_and_saveexec_b32 s7, s6
	s_cbranch_execnz .LBB103_1476
	s_branch .LBB103_1477
.LBB103_1496:
	s_mov_b32 s5, -1
.LBB103_1497:
                                        ; implicit-def: $vgpr8_vgpr9
.LBB103_1498:
	s_and_b32 vcc_lo, exec_lo, s6
	s_mov_b32 s6, 0
	s_cbranch_vccz .LBB103_1500
; %bb.1499:
	s_cmp_lg_u32 s4, 11
	s_mov_b32 s6, -1
	s_cselect_b32 s4, -1, 0
	s_and_not1_b32 s5, s5, exec_lo
	s_and_b32 s4, s4, exec_lo
	s_delay_alu instid0(SALU_CYCLE_1)
	s_or_b32 s5, s5, s4
.LBB103_1500:
	s_mov_b32 s4, 0
.LBB103_1501:
	s_and_b32 s8, s7, exec_lo
	s_and_not1_b32 s7, s44, exec_lo
	s_and_b32 s10, s5, exec_lo
	s_and_b32 s4, s4, exec_lo
	s_and_b32 s5, s6, exec_lo
	s_or_b32 s44, s7, s10
	s_wait_xcnt 0x0
	s_or_b32 exec_lo, exec_lo, s0
	s_and_saveexec_b32 s0, s44
	s_cbranch_execz .LBB103_1430
.LBB103_1502:
	s_or_b32 s1, s1, exec_lo
	s_and_not1_b32 s5, s5, exec_lo
	s_trap 2
	s_or_b32 exec_lo, exec_lo, s0
	s_and_saveexec_b32 s0, s5
	s_delay_alu instid0(SALU_CYCLE_1)
	s_xor_b32 s0, exec_lo, s0
	s_cbranch_execnz .LBB103_1431
.LBB103_1503:
	s_or_b32 exec_lo, exec_lo, s0
	s_and_saveexec_b32 s0, s4
	s_cbranch_execz .LBB103_1549
.LBB103_1504:
	s_sext_i32_i16 s4, s9
	s_delay_alu instid0(SALU_CYCLE_1)
	s_cmp_lt_i32 s4, 5
	s_cbranch_scc1 .LBB103_1509
; %bb.1505:
	s_cmp_lt_i32 s4, 8
	s_cbranch_scc1 .LBB103_1510
; %bb.1506:
	;; [unrolled: 3-line block ×3, first 2 shown]
	s_cmp_gt_i32 s4, 9
	s_cbranch_scc0 .LBB103_1512
; %bb.1508:
	s_wait_loadcnt 0x0
	global_load_b64 v[8:9], v[6:7], off
	s_mov_b32 s4, 0
	s_branch .LBB103_1513
.LBB103_1509:
                                        ; implicit-def: $vgpr8_vgpr9
	s_branch .LBB103_1530
.LBB103_1510:
                                        ; implicit-def: $vgpr8_vgpr9
	s_branch .LBB103_1519
.LBB103_1511:
	s_mov_b32 s4, -1
                                        ; implicit-def: $vgpr8_vgpr9
	s_branch .LBB103_1516
.LBB103_1512:
	s_mov_b32 s4, -1
                                        ; implicit-def: $vgpr8_vgpr9
.LBB103_1513:
	s_delay_alu instid0(SALU_CYCLE_1)
	s_and_not1_b32 vcc_lo, exec_lo, s4
	s_cbranch_vccnz .LBB103_1515
; %bb.1514:
	s_wait_loadcnt 0x0
	global_load_b32 v0, v[6:7], off
	s_wait_loadcnt 0x0
	v_cvt_f64_f32_e32 v[8:9], v0
.LBB103_1515:
	s_mov_b32 s4, 0
.LBB103_1516:
	s_delay_alu instid0(SALU_CYCLE_1)
	s_and_not1_b32 vcc_lo, exec_lo, s4
	s_cbranch_vccnz .LBB103_1518
; %bb.1517:
	s_wait_loadcnt 0x0
	global_load_b32 v0, v[6:7], off
	s_wait_loadcnt 0x0
	v_cvt_f32_f16_e32 v0, v0
	s_delay_alu instid0(VALU_DEP_1)
	v_cvt_f64_f32_e32 v[8:9], v0
.LBB103_1518:
	s_cbranch_execnz .LBB103_1529
.LBB103_1519:
	s_sext_i32_i16 s4, s9
	s_delay_alu instid0(SALU_CYCLE_1)
	s_cmp_lt_i32 s4, 6
	s_cbranch_scc1 .LBB103_1522
; %bb.1520:
	s_cmp_gt_i32 s4, 6
	s_cbranch_scc0 .LBB103_1523
; %bb.1521:
	s_wait_loadcnt 0x0
	global_load_b64 v[8:9], v[6:7], off
	s_mov_b32 s4, 0
	s_branch .LBB103_1524
.LBB103_1522:
	s_mov_b32 s4, -1
                                        ; implicit-def: $vgpr8_vgpr9
	s_branch .LBB103_1527
.LBB103_1523:
	s_mov_b32 s4, -1
                                        ; implicit-def: $vgpr8_vgpr9
.LBB103_1524:
	s_delay_alu instid0(SALU_CYCLE_1)
	s_and_not1_b32 vcc_lo, exec_lo, s4
	s_cbranch_vccnz .LBB103_1526
; %bb.1525:
	s_wait_loadcnt 0x0
	global_load_b32 v0, v[6:7], off
	s_wait_loadcnt 0x0
	v_cvt_f64_f32_e32 v[8:9], v0
.LBB103_1526:
	s_mov_b32 s4, 0
.LBB103_1527:
	s_delay_alu instid0(SALU_CYCLE_1)
	s_and_not1_b32 vcc_lo, exec_lo, s4
	s_cbranch_vccnz .LBB103_1529
; %bb.1528:
	s_wait_loadcnt 0x0
	global_load_u16 v0, v[6:7], off
	s_wait_loadcnt 0x0
	v_cvt_f32_f16_e32 v0, v0
	s_delay_alu instid0(VALU_DEP_1)
	v_cvt_f64_f32_e32 v[8:9], v0
.LBB103_1529:
	s_cbranch_execnz .LBB103_1548
.LBB103_1530:
	s_sext_i32_i16 s4, s9
	s_delay_alu instid0(SALU_CYCLE_1)
	s_cmp_lt_i32 s4, 2
	s_cbranch_scc1 .LBB103_1534
; %bb.1531:
	s_cmp_lt_i32 s4, 3
	s_cbranch_scc1 .LBB103_1535
; %bb.1532:
	s_cmp_gt_i32 s4, 3
	s_cbranch_scc0 .LBB103_1536
; %bb.1533:
	s_wait_loadcnt 0x0
	global_load_b64 v[0:1], v[6:7], off
	s_mov_b32 s4, 0
	s_wait_loadcnt 0x0
	v_cvt_f64_i32_e32 v[8:9], v1
	v_cvt_f64_u32_e32 v[0:1], v0
	s_delay_alu instid0(VALU_DEP_2) | instskip(NEXT) | instid1(VALU_DEP_1)
	v_ldexp_f64 v[8:9], v[8:9], 32
	v_add_f64_e32 v[8:9], v[8:9], v[0:1]
	s_branch .LBB103_1537
.LBB103_1534:
                                        ; implicit-def: $vgpr8_vgpr9
	s_branch .LBB103_1543
.LBB103_1535:
	s_mov_b32 s4, -1
                                        ; implicit-def: $vgpr8_vgpr9
	s_branch .LBB103_1540
.LBB103_1536:
	s_mov_b32 s4, -1
                                        ; implicit-def: $vgpr8_vgpr9
.LBB103_1537:
	s_delay_alu instid0(SALU_CYCLE_1)
	s_and_not1_b32 vcc_lo, exec_lo, s4
	s_cbranch_vccnz .LBB103_1539
; %bb.1538:
	s_wait_loadcnt 0x0
	global_load_b32 v0, v[6:7], off
	s_wait_loadcnt 0x0
	v_cvt_f64_i32_e32 v[8:9], v0
.LBB103_1539:
	s_mov_b32 s4, 0
.LBB103_1540:
	s_delay_alu instid0(SALU_CYCLE_1)
	s_and_not1_b32 vcc_lo, exec_lo, s4
	s_cbranch_vccnz .LBB103_1542
; %bb.1541:
	s_wait_loadcnt 0x0
	global_load_i16 v0, v[6:7], off
	s_wait_loadcnt 0x0
	v_cvt_f64_i32_e32 v[8:9], v0
.LBB103_1542:
	s_cbranch_execnz .LBB103_1548
.LBB103_1543:
	s_sext_i32_i16 s4, s9
	s_delay_alu instid0(SALU_CYCLE_1)
	s_cmp_gt_i32 s4, 0
	s_mov_b32 s4, 0
	s_cbranch_scc0 .LBB103_1545
; %bb.1544:
	s_wait_loadcnt 0x0
	global_load_i8 v0, v[6:7], off
	s_wait_loadcnt 0x0
	v_cvt_f64_i32_e32 v[8:9], v0
	s_branch .LBB103_1546
.LBB103_1545:
	s_mov_b32 s4, -1
                                        ; implicit-def: $vgpr8_vgpr9
.LBB103_1546:
	s_delay_alu instid0(SALU_CYCLE_1)
	s_and_not1_b32 vcc_lo, exec_lo, s4
	s_cbranch_vccnz .LBB103_1548
; %bb.1547:
	s_wait_loadcnt 0x0
	global_load_u8 v0, v[6:7], off
	s_wait_loadcnt 0x0
	v_cvt_f64_u32_e32 v[8:9], v0
.LBB103_1548:
	s_or_b32 s8, s8, exec_lo
.LBB103_1549:
	s_wait_xcnt 0x0
	s_or_b32 exec_lo, exec_lo, s0
	s_mov_b32 s0, 0
	s_mov_b32 s6, 0
                                        ; implicit-def: $sgpr4
                                        ; implicit-def: $vgpr6_vgpr7
                                        ; implicit-def: $vgpr0_vgpr1
	s_and_saveexec_b32 s5, s8
	s_cbranch_execz .LBB103_1557
; %bb.1550:
	s_wait_loadcnt 0x0
	s_delay_alu instid0(VALU_DEP_1) | instskip(SKIP_1) | instid1(SALU_CYCLE_1)
	v_dual_mul_f64 v[0:1], s[12:13], v[4:5] :: v_dual_mov_b32 v3, 0
	s_and_b32 s4, s14, 0xff
	s_cmp_lt_i32 s4, 11
	s_delay_alu instid0(VALU_DEP_1) | instskip(NEXT) | instid1(VALU_DEP_2)
	v_add_nc_u64_e32 v[6:7], s[20:21], v[2:3]
	v_mul_f64_e32 v[0:1], v[0:1], v[8:9]
	s_cbranch_scc1 .LBB103_1560
; %bb.1551:
	s_and_b32 s6, 0xffff, s4
	s_mov_b32 s7, -1
	s_cmp_gt_i32 s6, 25
	s_mov_b32 s0, s43
	s_cbranch_scc0 .LBB103_1588
; %bb.1552:
	s_cmp_gt_i32 s6, 28
	s_mov_b32 s0, s43
	s_cbranch_scc0 .LBB103_1572
; %bb.1553:
	;; [unrolled: 4-line block ×4, first 2 shown]
	s_cmp_eq_u32 s6, 46
	s_mov_b32 s0, -1
	s_cbranch_scc0 .LBB103_1561
; %bb.1556:
	s_delay_alu instid0(VALU_DEP_1) | instskip(SKIP_2) | instid1(VALU_DEP_1)
	v_cvt_f32_f64_e32 v2, v[0:1]
	s_mov_b32 s0, 0
	s_mov_b32 s7, 0
	v_bfe_u32 v3, v2, 16, 1
	v_cmp_o_f32_e32 vcc_lo, v2, v2
	s_delay_alu instid0(VALU_DEP_2) | instskip(NEXT) | instid1(VALU_DEP_1)
	v_add3_u32 v3, v2, v3, 0x7fff
	v_lshrrev_b32_e32 v3, 16, v3
	s_delay_alu instid0(VALU_DEP_1)
	v_cndmask_b32_e32 v2, 0x7fc0, v3, vcc_lo
	global_store_b32 v[6:7], v2, off
	s_branch .LBB103_1562
.LBB103_1557:
	s_or_b32 exec_lo, exec_lo, s5
	s_and_saveexec_b32 s5, s43
	s_cbranch_execnz .LBB103_1630
.LBB103_1558:
	s_or_b32 exec_lo, exec_lo, s5
	s_and_saveexec_b32 s5, s0
	s_delay_alu instid0(SALU_CYCLE_1)
	s_xor_b32 s0, exec_lo, s5
	s_cbranch_execz .LBB103_1631
.LBB103_1559:
	s_wait_loadcnt 0x0
	s_delay_alu instid0(VALU_DEP_1)
	v_cmp_neq_f64_e32 vcc_lo, 0, v[0:1]
	v_cndmask_b32_e64 v2, 0, 1, vcc_lo
	global_store_b8 v[6:7], v2, off
	s_wait_xcnt 0x0
	s_or_b32 exec_lo, exec_lo, s0
	s_and_saveexec_b32 s0, s6
	s_delay_alu instid0(SALU_CYCLE_1)
	s_xor_b32 s0, exec_lo, s0
	s_cbranch_execz .LBB103_1669
	s_branch .LBB103_1632
.LBB103_1560:
	s_mov_b32 s8, 0
	s_mov_b32 s7, -1
	s_mov_b32 s0, s43
	s_branch .LBB103_1629
.LBB103_1561:
	s_mov_b32 s7, 0
.LBB103_1562:
	s_delay_alu instid0(SALU_CYCLE_1)
	s_and_b32 vcc_lo, exec_lo, s7
	s_cbranch_vccz .LBB103_1567
; %bb.1563:
	s_cmp_eq_u32 s6, 44
	s_mov_b32 s0, -1
	s_cbranch_scc0 .LBB103_1567
; %bb.1564:
	s_wait_xcnt 0x0
	s_delay_alu instid0(VALU_DEP_1) | instskip(SKIP_2) | instid1(VALU_DEP_2)
	v_cvt_f32_f64_e32 v2, v[0:1]
	v_mov_b32_e32 v3, 0xff
	s_mov_b32 s7, exec_lo
	v_bfe_u32 v4, v2, 23, 8
	s_delay_alu instid0(VALU_DEP_1)
	v_cmpx_ne_u32_e32 0xff, v4
	s_cbranch_execz .LBB103_1566
; %bb.1565:
	v_and_b32_e32 v3, 0x400000, v2
	v_and_or_b32 v4, 0x3fffff, v2, v4
	v_lshrrev_b32_e32 v2, 23, v2
	s_delay_alu instid0(VALU_DEP_3) | instskip(NEXT) | instid1(VALU_DEP_3)
	v_cmp_ne_u32_e32 vcc_lo, 0, v3
	v_cmp_ne_u32_e64 s0, 0, v4
	s_and_b32 s0, vcc_lo, s0
	s_delay_alu instid0(SALU_CYCLE_1) | instskip(NEXT) | instid1(VALU_DEP_1)
	v_cndmask_b32_e64 v3, 0, 1, s0
	v_add_nc_u32_e32 v3, v2, v3
.LBB103_1566:
	s_or_b32 exec_lo, exec_lo, s7
	s_mov_b32 s0, 0
	global_store_b8 v[6:7], v3, off
.LBB103_1567:
	s_mov_b32 s7, 0
.LBB103_1568:
	s_delay_alu instid0(SALU_CYCLE_1)
	s_and_b32 vcc_lo, exec_lo, s7
	s_cbranch_vccz .LBB103_1571
; %bb.1569:
	s_cmp_eq_u32 s6, 29
	s_mov_b32 s0, -1
	s_cbranch_scc0 .LBB103_1571
; %bb.1570:
	s_wait_xcnt 0x0
	s_delay_alu instid0(VALU_DEP_1) | instskip(SKIP_2) | instid1(VALU_DEP_1)
	v_trunc_f64_e32 v[2:3], v[0:1]
	s_mov_b32 s0, 0
	s_mov_b32 s7, 0
	v_ldexp_f64 v[4:5], v[2:3], 0xffffffe0
	s_delay_alu instid0(VALU_DEP_1) | instskip(NEXT) | instid1(VALU_DEP_1)
	v_floor_f64_e32 v[4:5], v[4:5]
	v_fmamk_f64 v[2:3], v[4:5], 0xc1f00000, v[2:3]
	v_cvt_u32_f64_e32 v5, v[4:5]
	s_delay_alu instid0(VALU_DEP_2)
	v_cvt_u32_f64_e32 v4, v[2:3]
	global_store_b64 v[6:7], v[4:5], off
	s_branch .LBB103_1572
.LBB103_1571:
	s_mov_b32 s7, 0
.LBB103_1572:
	s_delay_alu instid0(SALU_CYCLE_1)
	s_and_b32 vcc_lo, exec_lo, s7
	s_cbranch_vccz .LBB103_1587
; %bb.1573:
	s_cmp_lt_i32 s6, 27
	s_mov_b32 s7, -1
	s_cbranch_scc1 .LBB103_1579
; %bb.1574:
	s_cmp_gt_i32 s6, 27
	s_cbranch_scc0 .LBB103_1576
; %bb.1575:
	s_wait_xcnt 0x0
	s_delay_alu instid0(VALU_DEP_1)
	v_cvt_u32_f64_e32 v2, v[0:1]
	s_mov_b32 s7, 0
	global_store_b32 v[6:7], v2, off
.LBB103_1576:
	s_and_not1_b32 vcc_lo, exec_lo, s7
	s_cbranch_vccnz .LBB103_1578
; %bb.1577:
	s_wait_xcnt 0x0
	s_delay_alu instid0(VALU_DEP_1)
	v_cvt_u32_f64_e32 v2, v[0:1]
	global_store_b16 v[6:7], v2, off
.LBB103_1578:
	s_mov_b32 s7, 0
.LBB103_1579:
	s_delay_alu instid0(SALU_CYCLE_1)
	s_and_not1_b32 vcc_lo, exec_lo, s7
	s_cbranch_vccnz .LBB103_1587
; %bb.1580:
	s_wait_xcnt 0x0
	s_delay_alu instid0(VALU_DEP_1) | instskip(SKIP_2) | instid1(VALU_DEP_2)
	v_cvt_f32_f64_e32 v2, v[0:1]
	v_mov_b32_e32 v4, 0x80
	s_mov_b32 s7, exec_lo
	v_and_b32_e32 v3, 0x7fffffff, v2
	s_delay_alu instid0(VALU_DEP_1)
	v_cmpx_gt_u32_e32 0x43800000, v3
	s_cbranch_execz .LBB103_1586
; %bb.1581:
	v_cmp_lt_u32_e32 vcc_lo, 0x3bffffff, v3
	s_mov_b32 s8, 0
                                        ; implicit-def: $vgpr3
	s_and_saveexec_b32 s9, vcc_lo
	s_delay_alu instid0(SALU_CYCLE_1)
	s_xor_b32 s9, exec_lo, s9
	s_cbranch_execz .LBB103_1745
; %bb.1582:
	v_bfe_u32 v3, v2, 20, 1
	s_mov_b32 s8, exec_lo
	s_delay_alu instid0(VALU_DEP_1) | instskip(NEXT) | instid1(VALU_DEP_1)
	v_add3_u32 v3, v2, v3, 0x487ffff
	v_lshrrev_b32_e32 v3, 20, v3
	s_and_not1_saveexec_b32 s9, s9
	s_cbranch_execnz .LBB103_1746
.LBB103_1583:
	s_or_b32 exec_lo, exec_lo, s9
	v_mov_b32_e32 v4, 0
	s_and_saveexec_b32 s9, s8
.LBB103_1584:
	v_lshrrev_b32_e32 v2, 24, v2
	s_delay_alu instid0(VALU_DEP_1)
	v_and_or_b32 v4, 0x80, v2, v3
.LBB103_1585:
	s_or_b32 exec_lo, exec_lo, s9
.LBB103_1586:
	s_delay_alu instid0(SALU_CYCLE_1)
	s_or_b32 exec_lo, exec_lo, s7
	global_store_b8 v[6:7], v4, off
.LBB103_1587:
	s_mov_b32 s7, 0
.LBB103_1588:
	s_delay_alu instid0(SALU_CYCLE_1)
	s_and_b32 vcc_lo, exec_lo, s7
	s_mov_b32 s7, 0
	s_cbranch_vccz .LBB103_1628
; %bb.1589:
	s_cmp_gt_i32 s6, 22
	s_mov_b32 s8, -1
	s_cbranch_scc0 .LBB103_1621
; %bb.1590:
	s_cmp_lt_i32 s6, 24
	s_cbranch_scc1 .LBB103_1610
; %bb.1591:
	s_cmp_gt_i32 s6, 24
	s_cbranch_scc0 .LBB103_1599
; %bb.1592:
	s_wait_xcnt 0x0
	s_delay_alu instid0(VALU_DEP_1) | instskip(SKIP_2) | instid1(VALU_DEP_2)
	v_cvt_f32_f64_e32 v2, v[0:1]
	v_mov_b32_e32 v4, 0x80
	s_mov_b32 s8, exec_lo
	v_and_b32_e32 v3, 0x7fffffff, v2
	s_delay_alu instid0(VALU_DEP_1)
	v_cmpx_gt_u32_e32 0x47800000, v3
	s_cbranch_execz .LBB103_1598
; %bb.1593:
	v_cmp_lt_u32_e32 vcc_lo, 0x37ffffff, v3
	s_mov_b32 s9, 0
                                        ; implicit-def: $vgpr3
	s_and_saveexec_b32 s10, vcc_lo
	s_delay_alu instid0(SALU_CYCLE_1)
	s_xor_b32 s10, exec_lo, s10
	s_cbranch_execz .LBB103_1748
; %bb.1594:
	v_bfe_u32 v3, v2, 21, 1
	s_mov_b32 s9, exec_lo
	s_delay_alu instid0(VALU_DEP_1) | instskip(NEXT) | instid1(VALU_DEP_1)
	v_add3_u32 v3, v2, v3, 0x88fffff
	v_lshrrev_b32_e32 v3, 21, v3
	s_and_not1_saveexec_b32 s10, s10
	s_cbranch_execnz .LBB103_1749
.LBB103_1595:
	s_or_b32 exec_lo, exec_lo, s10
	v_mov_b32_e32 v4, 0
	s_and_saveexec_b32 s10, s9
.LBB103_1596:
	v_lshrrev_b32_e32 v2, 24, v2
	s_delay_alu instid0(VALU_DEP_1)
	v_and_or_b32 v4, 0x80, v2, v3
.LBB103_1597:
	s_or_b32 exec_lo, exec_lo, s10
.LBB103_1598:
	s_delay_alu instid0(SALU_CYCLE_1)
	s_or_b32 exec_lo, exec_lo, s8
	s_mov_b32 s8, 0
	global_store_b8 v[6:7], v4, off
.LBB103_1599:
	s_and_b32 vcc_lo, exec_lo, s8
	s_cbranch_vccz .LBB103_1609
; %bb.1600:
	s_wait_xcnt 0x0
	s_delay_alu instid0(VALU_DEP_1) | instskip(SKIP_1) | instid1(VALU_DEP_1)
	v_cvt_f32_f64_e32 v2, v[0:1]
	s_mov_b32 s8, exec_lo
                                        ; implicit-def: $vgpr3
	v_and_b32_e32 v4, 0x7fffffff, v2
	s_delay_alu instid0(VALU_DEP_1)
	v_cmpx_gt_u32_e32 0x43f00000, v4
	s_xor_b32 s8, exec_lo, s8
	s_cbranch_execz .LBB103_1606
; %bb.1601:
	s_mov_b32 s9, exec_lo
                                        ; implicit-def: $vgpr3
	v_cmpx_lt_u32_e32 0x3c7fffff, v4
	s_xor_b32 s9, exec_lo, s9
; %bb.1602:
	v_bfe_u32 v3, v2, 20, 1
	s_delay_alu instid0(VALU_DEP_1) | instskip(NEXT) | instid1(VALU_DEP_1)
	v_add3_u32 v3, v2, v3, 0x407ffff
	v_and_b32_e32 v4, 0xff00000, v3
	v_lshrrev_b32_e32 v3, 20, v3
	s_delay_alu instid0(VALU_DEP_2) | instskip(NEXT) | instid1(VALU_DEP_2)
	v_cmp_ne_u32_e32 vcc_lo, 0x7f00000, v4
	v_cndmask_b32_e32 v3, 0x7e, v3, vcc_lo
; %bb.1603:
	s_and_not1_saveexec_b32 s9, s9
; %bb.1604:
	v_add_f32_e64 v3, 0x46800000, |v2|
; %bb.1605:
	s_or_b32 exec_lo, exec_lo, s9
                                        ; implicit-def: $vgpr4
.LBB103_1606:
	s_and_not1_saveexec_b32 s8, s8
; %bb.1607:
	v_mov_b32_e32 v3, 0x7f
	v_cmp_lt_u32_e32 vcc_lo, 0x7f800000, v4
	s_delay_alu instid0(VALU_DEP_2)
	v_cndmask_b32_e32 v3, 0x7e, v3, vcc_lo
; %bb.1608:
	s_or_b32 exec_lo, exec_lo, s8
	v_lshrrev_b32_e32 v2, 24, v2
	s_delay_alu instid0(VALU_DEP_1)
	v_and_or_b32 v2, 0x80, v2, v3
	global_store_b8 v[6:7], v2, off
.LBB103_1609:
	s_mov_b32 s8, 0
.LBB103_1610:
	s_delay_alu instid0(SALU_CYCLE_1)
	s_and_not1_b32 vcc_lo, exec_lo, s8
	s_cbranch_vccnz .LBB103_1620
; %bb.1611:
	s_wait_xcnt 0x0
	s_delay_alu instid0(VALU_DEP_1) | instskip(SKIP_1) | instid1(VALU_DEP_1)
	v_cvt_f32_f64_e32 v2, v[0:1]
	s_mov_b32 s8, exec_lo
                                        ; implicit-def: $vgpr3
	v_and_b32_e32 v4, 0x7fffffff, v2
	s_delay_alu instid0(VALU_DEP_1)
	v_cmpx_gt_u32_e32 0x47800000, v4
	s_xor_b32 s8, exec_lo, s8
	s_cbranch_execz .LBB103_1617
; %bb.1612:
	s_mov_b32 s9, exec_lo
                                        ; implicit-def: $vgpr3
	v_cmpx_lt_u32_e32 0x387fffff, v4
	s_xor_b32 s9, exec_lo, s9
; %bb.1613:
	v_bfe_u32 v3, v2, 21, 1
	s_delay_alu instid0(VALU_DEP_1) | instskip(NEXT) | instid1(VALU_DEP_1)
	v_add3_u32 v3, v2, v3, 0x80fffff
	v_lshrrev_b32_e32 v3, 21, v3
; %bb.1614:
	s_and_not1_saveexec_b32 s9, s9
; %bb.1615:
	v_add_f32_e64 v3, 0x43000000, |v2|
; %bb.1616:
	s_or_b32 exec_lo, exec_lo, s9
                                        ; implicit-def: $vgpr4
.LBB103_1617:
	s_and_not1_saveexec_b32 s8, s8
; %bb.1618:
	v_mov_b32_e32 v3, 0x7f
	v_cmp_lt_u32_e32 vcc_lo, 0x7f800000, v4
	s_delay_alu instid0(VALU_DEP_2)
	v_cndmask_b32_e32 v3, 0x7c, v3, vcc_lo
; %bb.1619:
	s_or_b32 exec_lo, exec_lo, s8
	v_lshrrev_b32_e32 v2, 24, v2
	s_delay_alu instid0(VALU_DEP_1)
	v_and_or_b32 v2, 0x80, v2, v3
	global_store_b8 v[6:7], v2, off
.LBB103_1620:
	s_mov_b32 s8, 0
.LBB103_1621:
	s_delay_alu instid0(SALU_CYCLE_1)
	s_and_not1_b32 vcc_lo, exec_lo, s8
	s_mov_b32 s8, 0
	s_cbranch_vccnz .LBB103_1629
; %bb.1622:
	s_cmp_gt_i32 s6, 14
	s_mov_b32 s8, -1
	s_cbranch_scc0 .LBB103_1626
; %bb.1623:
	s_cmp_eq_u32 s6, 15
	s_mov_b32 s0, -1
	s_cbranch_scc0 .LBB103_1625
; %bb.1624:
	s_wait_xcnt 0x0
	s_delay_alu instid0(VALU_DEP_1) | instskip(SKIP_1) | instid1(VALU_DEP_1)
	v_cvt_f32_f64_e32 v2, v[0:1]
	s_mov_b32 s0, 0
	v_bfe_u32 v3, v2, 16, 1
	v_cmp_o_f32_e32 vcc_lo, v2, v2
	s_delay_alu instid0(VALU_DEP_2) | instskip(NEXT) | instid1(VALU_DEP_1)
	v_add3_u32 v3, v2, v3, 0x7fff
	v_lshrrev_b32_e32 v3, 16, v3
	s_delay_alu instid0(VALU_DEP_1)
	v_cndmask_b32_e32 v2, 0x7fc0, v3, vcc_lo
	global_store_b16 v[6:7], v2, off
.LBB103_1625:
	s_mov_b32 s8, 0
.LBB103_1626:
	s_delay_alu instid0(SALU_CYCLE_1)
	s_and_b32 vcc_lo, exec_lo, s8
	s_mov_b32 s8, 0
	s_cbranch_vccz .LBB103_1629
; %bb.1627:
	s_cmp_lg_u32 s6, 11
	s_mov_b32 s8, -1
	s_cselect_b32 s6, -1, 0
	s_and_not1_b32 s0, s0, exec_lo
	s_and_b32 s6, s6, exec_lo
	s_delay_alu instid0(SALU_CYCLE_1)
	s_or_b32 s0, s0, s6
	s_branch .LBB103_1629
.LBB103_1628:
	s_mov_b32 s8, 0
.LBB103_1629:
	s_and_b32 s6, s7, exec_lo
	s_and_not1_b32 s7, s43, exec_lo
	s_and_b32 s9, s0, exec_lo
	s_and_b32 s0, s8, exec_lo
	s_or_b32 s43, s7, s9
	s_wait_xcnt 0x0
	s_or_b32 exec_lo, exec_lo, s5
	s_and_saveexec_b32 s5, s43
	s_cbranch_execz .LBB103_1558
.LBB103_1630:
	s_or_b32 s1, s1, exec_lo
	s_and_not1_b32 s0, s0, exec_lo
	s_trap 2
	s_or_b32 exec_lo, exec_lo, s5
	s_and_saveexec_b32 s5, s0
	s_delay_alu instid0(SALU_CYCLE_1)
	s_xor_b32 s0, exec_lo, s5
	s_cbranch_execnz .LBB103_1559
.LBB103_1631:
	s_or_b32 exec_lo, exec_lo, s0
	s_and_saveexec_b32 s0, s6
	s_delay_alu instid0(SALU_CYCLE_1)
	s_xor_b32 s0, exec_lo, s0
	s_cbranch_execz .LBB103_1669
.LBB103_1632:
	s_sext_i32_i16 s6, s4
	s_mov_b32 s5, -1
	s_cmp_lt_i32 s6, 5
	s_cbranch_scc1 .LBB103_1653
; %bb.1633:
	s_cmp_lt_i32 s6, 8
	s_cbranch_scc1 .LBB103_1643
; %bb.1634:
	;; [unrolled: 3-line block ×3, first 2 shown]
	s_cmp_gt_i32 s6, 9
	s_cbranch_scc0 .LBB103_1637
; %bb.1636:
	v_mov_b32_e32 v2, 0
	s_mov_b32 s5, 0
	s_delay_alu instid0(VALU_DEP_1)
	v_mov_b32_e32 v3, v2
	s_wait_loadcnt 0x0
	global_store_b128 v[6:7], v[0:3], off
.LBB103_1637:
	s_and_not1_b32 vcc_lo, exec_lo, s5
	s_cbranch_vccnz .LBB103_1639
; %bb.1638:
	s_wait_loadcnt 0x0
	v_cvt_f32_f64_e32 v2, v[0:1]
	v_mov_b32_e32 v3, 0
	global_store_b64 v[6:7], v[2:3], off
.LBB103_1639:
	s_mov_b32 s5, 0
.LBB103_1640:
	s_delay_alu instid0(SALU_CYCLE_1)
	s_and_not1_b32 vcc_lo, exec_lo, s5
	s_cbranch_vccnz .LBB103_1642
; %bb.1641:
	s_wait_loadcnt 0x0
	v_and_or_b32 v2, 0x1ff, v1, v0
	v_lshrrev_b32_e32 v3, 8, v1
	v_bfe_u32 v4, v1, 20, 11
	s_delay_alu instid0(VALU_DEP_3) | instskip(NEXT) | instid1(VALU_DEP_2)
	v_cmp_ne_u32_e32 vcc_lo, 0, v2
	v_sub_nc_u32_e32 v5, 0x3f1, v4
	v_add_nc_u32_e32 v4, 0xfffffc10, v4
	v_cndmask_b32_e64 v2, 0, 1, vcc_lo
	s_delay_alu instid0(VALU_DEP_1) | instskip(NEXT) | instid1(VALU_DEP_4)
	v_and_or_b32 v2, 0xffe, v3, v2
	v_med3_i32 v3, v5, 0, 13
	s_delay_alu instid0(VALU_DEP_2) | instskip(NEXT) | instid1(VALU_DEP_1)
	v_or_b32_e32 v5, 0x1000, v2
	v_lshrrev_b32_e32 v8, v3, v5
	s_delay_alu instid0(VALU_DEP_1) | instskip(NEXT) | instid1(VALU_DEP_1)
	v_lshlrev_b32_e32 v3, v3, v8
	v_cmp_ne_u32_e32 vcc_lo, v3, v5
	v_lshl_or_b32 v5, v4, 12, v2
	v_cndmask_b32_e64 v3, 0, 1, vcc_lo
	v_cmp_gt_i32_e32 vcc_lo, 1, v4
	s_delay_alu instid0(VALU_DEP_2) | instskip(NEXT) | instid1(VALU_DEP_1)
	v_or_b32_e32 v3, v8, v3
	v_cndmask_b32_e32 v3, v5, v3, vcc_lo
	s_delay_alu instid0(VALU_DEP_1) | instskip(NEXT) | instid1(VALU_DEP_1)
	v_dual_lshrrev_b32 v3, 2, v3 :: v_dual_bitop2_b32 v5, 7, v3 bitop3:0x40
	v_cmp_lt_i32_e32 vcc_lo, 5, v5
	v_cndmask_b32_e64 v8, 0, 1, vcc_lo
	v_cmp_eq_u32_e32 vcc_lo, 3, v5
	v_cndmask_b32_e64 v5, 0, 1, vcc_lo
	v_cmp_ne_u32_e32 vcc_lo, 0, v2
	s_delay_alu instid0(VALU_DEP_2) | instskip(NEXT) | instid1(VALU_DEP_1)
	v_or_b32_e32 v5, v5, v8
	v_dual_mov_b32 v8, 0x7e00 :: v_dual_add_nc_u32 v3, v3, v5
	s_delay_alu instid0(VALU_DEP_1) | instskip(SKIP_2) | instid1(VALU_DEP_4)
	v_cndmask_b32_e32 v2, 0x7c00, v8, vcc_lo
	v_cmp_gt_i32_e32 vcc_lo, 31, v4
	v_lshrrev_b32_e32 v5, 16, v1
	v_cndmask_b32_e32 v3, 0x7c00, v3, vcc_lo
	v_cmp_eq_u32_e32 vcc_lo, 0x40f, v4
	s_delay_alu instid0(VALU_DEP_2) | instskip(NEXT) | instid1(VALU_DEP_4)
	v_cndmask_b32_e32 v2, v3, v2, vcc_lo
	v_and_b32_e32 v3, 0x8000, v5
	s_delay_alu instid0(VALU_DEP_1)
	v_bitop3_b32 v2, v3, 0xffff, v2 bitop3:0xc8
	global_store_b32 v[6:7], v2, off
.LBB103_1642:
	s_mov_b32 s5, 0
.LBB103_1643:
	s_delay_alu instid0(SALU_CYCLE_1)
	s_and_not1_b32 vcc_lo, exec_lo, s5
	s_cbranch_vccnz .LBB103_1652
; %bb.1644:
	s_sext_i32_i16 s6, s4
	s_mov_b32 s5, -1
	s_cmp_lt_i32 s6, 6
	s_cbranch_scc1 .LBB103_1650
; %bb.1645:
	s_cmp_gt_i32 s6, 6
	s_cbranch_scc0 .LBB103_1647
; %bb.1646:
	s_mov_b32 s5, 0
	s_wait_loadcnt 0x0
	global_store_b64 v[6:7], v[0:1], off
.LBB103_1647:
	s_and_not1_b32 vcc_lo, exec_lo, s5
	s_cbranch_vccnz .LBB103_1649
; %bb.1648:
	s_wait_loadcnt 0x0
	v_cvt_f32_f64_e32 v2, v[0:1]
	global_store_b32 v[6:7], v2, off
.LBB103_1649:
	s_mov_b32 s5, 0
.LBB103_1650:
	s_delay_alu instid0(SALU_CYCLE_1)
	s_and_not1_b32 vcc_lo, exec_lo, s5
	s_cbranch_vccnz .LBB103_1652
; %bb.1651:
	s_wait_loadcnt 0x0
	v_and_or_b32 v2, 0x1ff, v1, v0
	v_lshrrev_b32_e32 v3, 8, v1
	v_bfe_u32 v4, v1, 20, 11
	s_delay_alu instid0(VALU_DEP_3) | instskip(NEXT) | instid1(VALU_DEP_2)
	v_cmp_ne_u32_e32 vcc_lo, 0, v2
	v_sub_nc_u32_e32 v5, 0x3f1, v4
	v_add_nc_u32_e32 v4, 0xfffffc10, v4
	v_cndmask_b32_e64 v2, 0, 1, vcc_lo
	s_delay_alu instid0(VALU_DEP_1) | instskip(NEXT) | instid1(VALU_DEP_4)
	v_and_or_b32 v2, 0xffe, v3, v2
	v_med3_i32 v3, v5, 0, 13
	s_delay_alu instid0(VALU_DEP_2) | instskip(NEXT) | instid1(VALU_DEP_1)
	v_or_b32_e32 v5, 0x1000, v2
	v_lshrrev_b32_e32 v8, v3, v5
	s_delay_alu instid0(VALU_DEP_1) | instskip(NEXT) | instid1(VALU_DEP_1)
	v_lshlrev_b32_e32 v3, v3, v8
	v_cmp_ne_u32_e32 vcc_lo, v3, v5
	v_lshl_or_b32 v5, v4, 12, v2
	v_cndmask_b32_e64 v3, 0, 1, vcc_lo
	v_cmp_gt_i32_e32 vcc_lo, 1, v4
	s_delay_alu instid0(VALU_DEP_2) | instskip(NEXT) | instid1(VALU_DEP_1)
	v_or_b32_e32 v3, v8, v3
	v_cndmask_b32_e32 v3, v5, v3, vcc_lo
	s_delay_alu instid0(VALU_DEP_1) | instskip(NEXT) | instid1(VALU_DEP_1)
	v_dual_lshrrev_b32 v3, 2, v3 :: v_dual_bitop2_b32 v5, 7, v3 bitop3:0x40
	v_cmp_lt_i32_e32 vcc_lo, 5, v5
	v_cndmask_b32_e64 v8, 0, 1, vcc_lo
	v_cmp_eq_u32_e32 vcc_lo, 3, v5
	v_cndmask_b32_e64 v5, 0, 1, vcc_lo
	v_cmp_ne_u32_e32 vcc_lo, 0, v2
	s_delay_alu instid0(VALU_DEP_2) | instskip(NEXT) | instid1(VALU_DEP_1)
	v_or_b32_e32 v5, v5, v8
	v_dual_mov_b32 v8, 0x7e00 :: v_dual_add_nc_u32 v3, v3, v5
	s_delay_alu instid0(VALU_DEP_1) | instskip(SKIP_1) | instid1(VALU_DEP_3)
	v_cndmask_b32_e32 v2, 0x7c00, v8, vcc_lo
	v_cmp_gt_i32_e32 vcc_lo, 31, v4
	v_cndmask_b32_e32 v3, 0x7c00, v3, vcc_lo
	v_cmp_eq_u32_e32 vcc_lo, 0x40f, v4
	s_delay_alu instid0(VALU_DEP_2) | instskip(NEXT) | instid1(VALU_DEP_1)
	v_dual_cndmask_b32 v2, v3, v2 :: v_dual_lshrrev_b32 v3, 16, v1
	v_and_or_b32 v2, 0x8000, v3, v2
	global_store_b16 v[6:7], v2, off
.LBB103_1652:
	s_mov_b32 s5, 0
.LBB103_1653:
	s_delay_alu instid0(SALU_CYCLE_1)
	s_and_not1_b32 vcc_lo, exec_lo, s5
	s_cbranch_vccnz .LBB103_1669
; %bb.1654:
	s_sext_i32_i16 s6, s4
	s_mov_b32 s5, -1
	s_cmp_lt_i32 s6, 2
	s_cbranch_scc1 .LBB103_1664
; %bb.1655:
	s_cmp_lt_i32 s6, 3
	s_cbranch_scc1 .LBB103_1661
; %bb.1656:
	s_cmp_gt_i32 s6, 3
	s_cbranch_scc0 .LBB103_1658
; %bb.1657:
	s_wait_loadcnt 0x0
	v_trunc_f64_e32 v[2:3], v[0:1]
	s_mov_b32 s5, 0
	s_delay_alu instid0(VALU_DEP_1) | instskip(NEXT) | instid1(VALU_DEP_1)
	v_ldexp_f64 v[4:5], v[2:3], 0xffffffe0
	v_floor_f64_e32 v[4:5], v[4:5]
	s_delay_alu instid0(VALU_DEP_1) | instskip(SKIP_1) | instid1(VALU_DEP_2)
	v_fmamk_f64 v[2:3], v[4:5], 0xc1f00000, v[2:3]
	v_cvt_i32_f64_e32 v5, v[4:5]
	v_cvt_u32_f64_e32 v4, v[2:3]
	global_store_b64 v[6:7], v[4:5], off
.LBB103_1658:
	s_and_not1_b32 vcc_lo, exec_lo, s5
	s_cbranch_vccnz .LBB103_1660
; %bb.1659:
	s_wait_loadcnt 0x0
	v_cvt_i32_f64_e32 v2, v[0:1]
	global_store_b32 v[6:7], v2, off
.LBB103_1660:
	s_mov_b32 s5, 0
.LBB103_1661:
	s_delay_alu instid0(SALU_CYCLE_1)
	s_and_not1_b32 vcc_lo, exec_lo, s5
	s_cbranch_vccnz .LBB103_1663
; %bb.1662:
	s_wait_loadcnt 0x0
	v_cvt_i32_f64_e32 v2, v[0:1]
	global_store_b16 v[6:7], v2, off
.LBB103_1663:
	s_mov_b32 s5, 0
.LBB103_1664:
	s_delay_alu instid0(SALU_CYCLE_1)
	s_and_not1_b32 vcc_lo, exec_lo, s5
	s_cbranch_vccnz .LBB103_1669
; %bb.1665:
	s_sext_i32_i16 s4, s4
	s_delay_alu instid0(SALU_CYCLE_1)
	s_cmp_gt_i32 s4, 0
	s_mov_b32 s4, -1
	s_cbranch_scc0 .LBB103_1667
; %bb.1666:
	s_wait_loadcnt 0x0
	v_cvt_i32_f64_e32 v2, v[0:1]
	s_mov_b32 s4, 0
	global_store_b8 v[6:7], v2, off
.LBB103_1667:
	s_and_not1_b32 vcc_lo, exec_lo, s4
	s_cbranch_vccnz .LBB103_1669
; %bb.1668:
	s_wait_loadcnt 0x0
	v_trunc_f64_e32 v[0:1], v[0:1]
	s_delay_alu instid0(VALU_DEP_1) | instskip(NEXT) | instid1(VALU_DEP_1)
	v_ldexp_f64 v[2:3], v[0:1], 0xffffffe0
	v_floor_f64_e32 v[2:3], v[2:3]
	s_delay_alu instid0(VALU_DEP_1) | instskip(NEXT) | instid1(VALU_DEP_1)
	v_fmamk_f64 v[0:1], v[2:3], 0xc1f00000, v[0:1]
	v_cvt_u32_f64_e32 v0, v[0:1]
	global_store_b8 v[6:7], v0, off
.LBB103_1669:
	s_wait_xcnt 0x0
	s_or_b32 exec_lo, exec_lo, s0
	s_delay_alu instid0(SALU_CYCLE_1)
	s_and_b32 s7, s1, exec_lo
                                        ; implicit-def: $vgpr3
                                        ; implicit-def: $vgpr4
.LBB103_1670:
	s_or_saveexec_b32 s8, s35
	s_mov_b32 s0, 0
                                        ; implicit-def: $vgpr6_vgpr7
                                        ; implicit-def: $sgpr1
                                        ; implicit-def: $vgpr0_vgpr1
	s_xor_b32 exec_lo, exec_lo, s8
	s_cbranch_execz .LBB103_3282
; %bb.1671:
	s_wait_loadcnt 0x0
	v_cndmask_b32_e64 v1, 0, 1, s34
	s_and_not1_b32 vcc_lo, exec_lo, s34
	s_cbranch_vccnz .LBB103_1677
; %bb.1672:
	s_cmp_lg_u32 s15, 0
	s_mov_b32 s6, 0
	s_cbranch_scc0 .LBB103_1681
; %bb.1673:
	s_min_u32 s9, s19, 15
	v_dual_mov_b32 v2, 0 :: v_dual_mov_b32 v5, v4
	v_dual_mov_b32 v0, 0 :: v_dual_mov_b32 v12, 0
	s_add_co_i32 s4, s9, 1
	s_mov_b64 s[0:1], 0xffffffffffffffe0
	s_and_b32 s10, s4, 30
	s_add_nc_u64 s[0:1], s[2:3], s[0:1]
	s_mov_b64 s[4:5], s[2:3]
.LBB103_1674:                           ; =>This Inner Loop Header: Depth=1
	s_clause 0x1
	s_load_b128 s[20:23], s[4:5], 0x4
	s_load_b64 s[16:17], s[4:5], 0x14
	s_clause 0x1
	s_load_b32 s11, s[0:1], 0xe4
	s_load_b96 s[12:14], s[0:1], 0xec
	s_add_co_i32 s10, s10, -2
	s_wait_xcnt 0x0
	s_add_nc_u64 s[4:5], s[4:5], 24
	s_cmp_lg_u32 s10, 0
	s_wait_kmcnt 0x0
	v_mul_hi_u32 v6, s21, v5
	s_delay_alu instid0(VALU_DEP_1) | instskip(NEXT) | instid1(VALU_DEP_1)
	v_add_nc_u32_e32 v6, v5, v6
	v_lshrrev_b32_e32 v6, s22, v6
	s_delay_alu instid0(VALU_DEP_1) | instskip(SKIP_1) | instid1(VALU_DEP_1)
	v_mul_hi_u32 v7, s16, v6
	v_mul_lo_u32 v8, v6, s20
	v_dual_add_nc_u32 v7, v6, v7 :: v_dual_sub_nc_u32 v8, v5, v8
	s_delay_alu instid0(VALU_DEP_1) | instskip(SKIP_1) | instid1(VALU_DEP_2)
	v_lshrrev_b32_e32 v5, s17, v7
	s_load_b64 s[16:17], s[0:1], 0xfc
	v_mad_u32 v2, v8, s11, v2
	v_mad_u32 v9, v8, s13, v12
	;; [unrolled: 1-line block ×3, first 2 shown]
	v_mul_lo_u32 v7, v5, s23
	s_wait_xcnt 0x0
	s_add_nc_u64 s[0:1], s[0:1], 32
	s_delay_alu instid0(VALU_DEP_1) | instskip(NEXT) | instid1(VALU_DEP_1)
	v_sub_nc_u32_e32 v6, v6, v7
	v_mad_u32 v2, v6, s14, v2
	s_wait_kmcnt 0x0
	v_mad_u32 v12, v6, s17, v9
	v_mad_u32 v0, v6, s16, v0
	s_cbranch_scc1 .LBB103_1674
; %bb.1675:
	s_bitcmp1_b32 s9, 0
	s_cselect_b32 s9, -1, 0
	s_delay_alu instid0(SALU_CYCLE_1)
	s_and_b32 vcc_lo, exec_lo, s9
	s_cbranch_vccnz .LBB103_1678
; %bb.1676:
	s_load_b96 s[12:14], s[4:5], 0x4
	s_load_b32 s9, s[0:1], 0xe4
	s_wait_xcnt 0x0
	s_load_b64 s[4:5], s[0:1], 0xec
	s_wait_kmcnt 0x0
	v_mul_hi_u32 v6, s13, v5
	s_delay_alu instid0(VALU_DEP_1) | instskip(NEXT) | instid1(VALU_DEP_1)
	v_add_nc_u32_e32 v6, v5, v6
	v_lshrrev_b32_e32 v6, s14, v6
	s_delay_alu instid0(VALU_DEP_1) | instskip(NEXT) | instid1(VALU_DEP_1)
	v_mul_lo_u32 v6, v6, s12
	v_sub_nc_u32_e32 v5, v5, v6
	s_delay_alu instid0(VALU_DEP_1)
	v_mad_u32 v2, v5, s9, v2
	v_mad_u32 v0, v5, s4, v0
	;; [unrolled: 1-line block ×3, first 2 shown]
	s_and_not1_b32 vcc_lo, exec_lo, s6
	s_cbranch_vccz .LBB103_1679
	s_branch .LBB103_1682
.LBB103_1677:
	s_mov_b32 s6, -1
                                        ; implicit-def: $vgpr12
                                        ; implicit-def: $vgpr0
                                        ; implicit-def: $vgpr2
.LBB103_1678:
	s_delay_alu instid0(SALU_CYCLE_1)
	s_and_not1_b32 vcc_lo, exec_lo, s6
	s_cbranch_vccnz .LBB103_1682
.LBB103_1679:
	s_clause 0x2
	s_load_b96 s[4:6], s[2:3], 0x4
	s_load_b32 s9, s[2:3], 0xc4
	s_load_b64 s[0:1], s[2:3], 0xcc
	s_cmp_lt_u32 s15, 2
	s_wait_kmcnt 0x0
	v_mul_hi_u32 v0, s5, v4
	s_delay_alu instid0(VALU_DEP_1) | instskip(NEXT) | instid1(VALU_DEP_1)
	v_add_nc_u32_e32 v0, v4, v0
	v_lshrrev_b32_e32 v5, s6, v0
	s_delay_alu instid0(VALU_DEP_1) | instskip(NEXT) | instid1(VALU_DEP_1)
	v_mul_lo_u32 v0, v5, s4
	v_sub_nc_u32_e32 v0, v4, v0
	s_delay_alu instid0(VALU_DEP_1)
	v_mul_lo_u32 v2, v0, s9
	v_mul_lo_u32 v12, v0, s1
	;; [unrolled: 1-line block ×3, first 2 shown]
	s_cbranch_scc1 .LBB103_1682
; %bb.1680:
	s_clause 0x2
	s_load_b96 s[4:6], s[2:3], 0x10
	s_load_b32 s9, s[2:3], 0xd4
	s_load_b64 s[0:1], s[2:3], 0xdc
	s_wait_kmcnt 0x0
	v_mul_hi_u32 v6, s5, v5
	s_delay_alu instid0(VALU_DEP_1) | instskip(NEXT) | instid1(VALU_DEP_1)
	v_add_nc_u32_e32 v6, v5, v6
	v_lshrrev_b32_e32 v6, s6, v6
	s_delay_alu instid0(VALU_DEP_1) | instskip(NEXT) | instid1(VALU_DEP_1)
	v_mul_lo_u32 v6, v6, s4
	v_sub_nc_u32_e32 v5, v5, v6
	s_delay_alu instid0(VALU_DEP_1)
	v_mad_u32 v2, v5, s9, v2
	v_mad_u32 v0, v5, s0, v0
	;; [unrolled: 1-line block ×3, first 2 shown]
	s_branch .LBB103_1682
.LBB103_1681:
	v_dual_mov_b32 v12, 0 :: v_dual_mov_b32 v0, 0
	v_mov_b32_e32 v2, 0
	s_and_not1_b32 vcc_lo, exec_lo, s6
	s_cbranch_vccz .LBB103_1679
.LBB103_1682:
	v_cmp_ne_u32_e32 vcc_lo, 1, v1
	v_add_nc_u32_e32 v5, 0x80, v4
	s_cbranch_vccnz .LBB103_1688
; %bb.1683:
	s_cmp_lg_u32 s15, 0
	s_mov_b32 s6, 0
	s_cbranch_scc0 .LBB103_1692
; %bb.1684:
	s_min_u32 s9, s19, 15
	v_dual_mov_b32 v8, 0 :: v_dual_mov_b32 v6, v5
	v_dual_mov_b32 v14, 0 :: v_dual_mov_b32 v18, 0
	s_add_co_i32 s4, s9, 1
	s_mov_b64 s[0:1], 0xffffffffffffffe0
	s_and_b32 s10, s4, 30
	s_add_nc_u64 s[0:1], s[2:3], s[0:1]
	s_mov_b64 s[4:5], s[2:3]
.LBB103_1685:                           ; =>This Inner Loop Header: Depth=1
	s_clause 0x1
	s_load_b128 s[20:23], s[4:5], 0x4
	s_load_b64 s[16:17], s[4:5], 0x14
	s_clause 0x1
	s_load_b32 s11, s[0:1], 0xe4
	s_load_b96 s[12:14], s[0:1], 0xec
	s_add_co_i32 s10, s10, -2
	s_wait_xcnt 0x0
	s_add_nc_u64 s[4:5], s[4:5], 24
	s_cmp_lg_u32 s10, 0
	s_wait_kmcnt 0x0
	v_mul_hi_u32 v7, s21, v6
	s_delay_alu instid0(VALU_DEP_1) | instskip(NEXT) | instid1(VALU_DEP_1)
	v_add_nc_u32_e32 v7, v6, v7
	v_lshrrev_b32_e32 v7, s22, v7
	s_delay_alu instid0(VALU_DEP_1) | instskip(SKIP_1) | instid1(VALU_DEP_1)
	v_mul_hi_u32 v9, s16, v7
	v_mul_lo_u32 v10, v7, s20
	v_dual_add_nc_u32 v9, v7, v9 :: v_dual_sub_nc_u32 v10, v6, v10
	s_delay_alu instid0(VALU_DEP_1) | instskip(SKIP_1) | instid1(VALU_DEP_2)
	v_lshrrev_b32_e32 v6, s17, v9
	s_load_b64 s[16:17], s[0:1], 0xfc
	v_mad_u32 v8, v10, s11, v8
	v_mad_u32 v11, v10, s13, v18
	;; [unrolled: 1-line block ×3, first 2 shown]
	v_mul_lo_u32 v9, v6, s23
	s_wait_xcnt 0x0
	s_add_nc_u64 s[0:1], s[0:1], 32
	s_delay_alu instid0(VALU_DEP_1) | instskip(NEXT) | instid1(VALU_DEP_1)
	v_sub_nc_u32_e32 v7, v7, v9
	v_mad_u32 v8, v7, s14, v8
	s_wait_kmcnt 0x0
	v_mad_u32 v18, v7, s17, v11
	v_mad_u32 v14, v7, s16, v10
	s_cbranch_scc1 .LBB103_1685
; %bb.1686:
	s_bitcmp1_b32 s9, 0
	s_cselect_b32 s9, -1, 0
	s_delay_alu instid0(SALU_CYCLE_1)
	s_and_b32 vcc_lo, exec_lo, s9
	s_cbranch_vccnz .LBB103_1689
; %bb.1687:
	s_load_b96 s[12:14], s[4:5], 0x4
	s_load_b32 s9, s[0:1], 0xe4
	s_wait_xcnt 0x0
	s_load_b64 s[4:5], s[0:1], 0xec
	s_wait_kmcnt 0x0
	v_mul_hi_u32 v7, s13, v6
	s_delay_alu instid0(VALU_DEP_1) | instskip(NEXT) | instid1(VALU_DEP_1)
	v_add_nc_u32_e32 v7, v6, v7
	v_lshrrev_b32_e32 v7, s14, v7
	s_delay_alu instid0(VALU_DEP_1) | instskip(NEXT) | instid1(VALU_DEP_1)
	v_mul_lo_u32 v7, v7, s12
	v_sub_nc_u32_e32 v6, v6, v7
	s_delay_alu instid0(VALU_DEP_1)
	v_mad_u32 v8, v6, s9, v8
	v_mad_u32 v14, v6, s4, v14
	;; [unrolled: 1-line block ×3, first 2 shown]
	s_and_not1_b32 vcc_lo, exec_lo, s6
	s_cbranch_vccz .LBB103_1690
	s_branch .LBB103_1693
.LBB103_1688:
	s_mov_b32 s6, -1
                                        ; implicit-def: $vgpr18
                                        ; implicit-def: $vgpr14
                                        ; implicit-def: $vgpr8
.LBB103_1689:
	s_delay_alu instid0(SALU_CYCLE_1)
	s_and_not1_b32 vcc_lo, exec_lo, s6
	s_cbranch_vccnz .LBB103_1693
.LBB103_1690:
	s_clause 0x2
	s_load_b96 s[4:6], s[2:3], 0x4
	s_load_b32 s9, s[2:3], 0xc4
	s_load_b64 s[0:1], s[2:3], 0xcc
	s_cmp_lt_u32 s15, 2
	s_wait_kmcnt 0x0
	v_mul_hi_u32 v6, s5, v5
	s_delay_alu instid0(VALU_DEP_1) | instskip(NEXT) | instid1(VALU_DEP_1)
	v_add_nc_u32_e32 v6, v5, v6
	v_lshrrev_b32_e32 v6, s6, v6
	s_delay_alu instid0(VALU_DEP_1) | instskip(NEXT) | instid1(VALU_DEP_1)
	v_mul_lo_u32 v7, v6, s4
	v_sub_nc_u32_e32 v5, v5, v7
	s_delay_alu instid0(VALU_DEP_1)
	v_mul_lo_u32 v8, v5, s9
	v_mul_lo_u32 v18, v5, s1
	v_mul_lo_u32 v14, v5, s0
	s_cbranch_scc1 .LBB103_1693
; %bb.1691:
	s_clause 0x2
	s_load_b96 s[4:6], s[2:3], 0x10
	s_load_b32 s9, s[2:3], 0xd4
	s_load_b64 s[0:1], s[2:3], 0xdc
	s_wait_kmcnt 0x0
	v_mul_hi_u32 v5, s5, v6
	s_delay_alu instid0(VALU_DEP_1) | instskip(NEXT) | instid1(VALU_DEP_1)
	v_add_nc_u32_e32 v5, v6, v5
	v_lshrrev_b32_e32 v5, s6, v5
	s_delay_alu instid0(VALU_DEP_1) | instskip(NEXT) | instid1(VALU_DEP_1)
	v_mul_lo_u32 v5, v5, s4
	v_sub_nc_u32_e32 v5, v6, v5
	s_delay_alu instid0(VALU_DEP_1)
	v_mad_u32 v8, v5, s9, v8
	v_mad_u32 v14, v5, s0, v14
	;; [unrolled: 1-line block ×3, first 2 shown]
	s_branch .LBB103_1693
.LBB103_1692:
	v_dual_mov_b32 v18, 0 :: v_dual_mov_b32 v14, 0
	v_mov_b32_e32 v8, 0
	s_and_not1_b32 vcc_lo, exec_lo, s6
	s_cbranch_vccz .LBB103_1690
.LBB103_1693:
	v_cmp_ne_u32_e32 vcc_lo, 1, v1
	v_add_nc_u32_e32 v4, 0x100, v4
	s_cbranch_vccnz .LBB103_1699
; %bb.1694:
	s_cmp_lg_u32 s15, 0
	s_mov_b32 s6, 0
	s_cbranch_scc0 .LBB103_1703
; %bb.1695:
	s_min_u32 s9, s19, 15
	v_dual_mov_b32 v6, 0 :: v_dual_mov_b32 v5, v4
	v_dual_mov_b32 v20, 0 :: v_dual_mov_b32 v22, 0
	s_add_co_i32 s4, s9, 1
	s_mov_b64 s[0:1], 0xffffffffffffffe0
	s_and_b32 s10, s4, 30
	s_add_nc_u64 s[0:1], s[2:3], s[0:1]
	s_mov_b64 s[4:5], s[2:3]
.LBB103_1696:                           ; =>This Inner Loop Header: Depth=1
	s_clause 0x1
	s_load_b128 s[20:23], s[4:5], 0x4
	s_load_b64 s[16:17], s[4:5], 0x14
	s_clause 0x1
	s_load_b32 s11, s[0:1], 0xe4
	s_load_b96 s[12:14], s[0:1], 0xec
	s_add_co_i32 s10, s10, -2
	s_wait_xcnt 0x0
	s_add_nc_u64 s[4:5], s[4:5], 24
	s_cmp_lg_u32 s10, 0
	s_wait_kmcnt 0x0
	v_mul_hi_u32 v7, s21, v5
	s_delay_alu instid0(VALU_DEP_1) | instskip(NEXT) | instid1(VALU_DEP_1)
	v_add_nc_u32_e32 v7, v5, v7
	v_lshrrev_b32_e32 v7, s22, v7
	s_delay_alu instid0(VALU_DEP_1) | instskip(SKIP_1) | instid1(VALU_DEP_1)
	v_mul_hi_u32 v9, s16, v7
	v_mul_lo_u32 v10, v7, s20
	v_dual_add_nc_u32 v9, v7, v9 :: v_dual_sub_nc_u32 v10, v5, v10
	s_delay_alu instid0(VALU_DEP_1) | instskip(SKIP_1) | instid1(VALU_DEP_2)
	v_lshrrev_b32_e32 v5, s17, v9
	s_load_b64 s[16:17], s[0:1], 0xfc
	v_mad_u32 v6, v10, s11, v6
	v_mad_u32 v11, v10, s13, v22
	;; [unrolled: 1-line block ×3, first 2 shown]
	v_mul_lo_u32 v9, v5, s23
	s_wait_xcnt 0x0
	s_add_nc_u64 s[0:1], s[0:1], 32
	s_delay_alu instid0(VALU_DEP_1) | instskip(NEXT) | instid1(VALU_DEP_1)
	v_sub_nc_u32_e32 v7, v7, v9
	v_mad_u32 v6, v7, s14, v6
	s_wait_kmcnt 0x0
	v_mad_u32 v22, v7, s17, v11
	v_mad_u32 v20, v7, s16, v10
	s_cbranch_scc1 .LBB103_1696
; %bb.1697:
	s_bitcmp1_b32 s9, 0
	s_cselect_b32 s9, -1, 0
	s_delay_alu instid0(SALU_CYCLE_1)
	s_and_b32 vcc_lo, exec_lo, s9
	s_cbranch_vccnz .LBB103_1700
; %bb.1698:
	s_load_b96 s[12:14], s[4:5], 0x4
	s_load_b32 s9, s[0:1], 0xe4
	s_wait_xcnt 0x0
	s_load_b64 s[4:5], s[0:1], 0xec
	s_wait_kmcnt 0x0
	v_mul_hi_u32 v7, s13, v5
	s_delay_alu instid0(VALU_DEP_1) | instskip(NEXT) | instid1(VALU_DEP_1)
	v_add_nc_u32_e32 v7, v5, v7
	v_lshrrev_b32_e32 v7, s14, v7
	s_delay_alu instid0(VALU_DEP_1) | instskip(NEXT) | instid1(VALU_DEP_1)
	v_mul_lo_u32 v7, v7, s12
	v_sub_nc_u32_e32 v5, v5, v7
	s_delay_alu instid0(VALU_DEP_1)
	v_mad_u32 v6, v5, s9, v6
	v_mad_u32 v20, v5, s4, v20
	;; [unrolled: 1-line block ×3, first 2 shown]
	s_and_not1_b32 vcc_lo, exec_lo, s6
	s_cbranch_vccz .LBB103_1701
	s_branch .LBB103_1704
.LBB103_1699:
	s_mov_b32 s6, -1
                                        ; implicit-def: $vgpr22
                                        ; implicit-def: $vgpr20
                                        ; implicit-def: $vgpr6
.LBB103_1700:
	s_delay_alu instid0(SALU_CYCLE_1)
	s_and_not1_b32 vcc_lo, exec_lo, s6
	s_cbranch_vccnz .LBB103_1704
.LBB103_1701:
	s_clause 0x2
	s_load_b96 s[4:6], s[2:3], 0x4
	s_load_b32 s9, s[2:3], 0xc4
	s_load_b64 s[0:1], s[2:3], 0xcc
	s_cmp_lt_u32 s15, 2
	s_wait_kmcnt 0x0
	v_mul_hi_u32 v5, s5, v4
	s_delay_alu instid0(VALU_DEP_1) | instskip(NEXT) | instid1(VALU_DEP_1)
	v_add_nc_u32_e32 v5, v4, v5
	v_lshrrev_b32_e32 v5, s6, v5
	s_delay_alu instid0(VALU_DEP_1) | instskip(NEXT) | instid1(VALU_DEP_1)
	v_mul_lo_u32 v6, v5, s4
	v_sub_nc_u32_e32 v4, v4, v6
	s_delay_alu instid0(VALU_DEP_1)
	v_mul_lo_u32 v6, v4, s9
	v_mul_lo_u32 v22, v4, s1
	;; [unrolled: 1-line block ×3, first 2 shown]
	s_cbranch_scc1 .LBB103_1704
; %bb.1702:
	s_clause 0x2
	s_load_b96 s[4:6], s[2:3], 0x10
	s_load_b32 s9, s[2:3], 0xd4
	s_load_b64 s[0:1], s[2:3], 0xdc
	s_wait_kmcnt 0x0
	v_mul_hi_u32 v4, s5, v5
	s_delay_alu instid0(VALU_DEP_1) | instskip(NEXT) | instid1(VALU_DEP_1)
	v_add_nc_u32_e32 v4, v5, v4
	v_lshrrev_b32_e32 v4, s6, v4
	s_delay_alu instid0(VALU_DEP_1) | instskip(NEXT) | instid1(VALU_DEP_1)
	v_mul_lo_u32 v4, v4, s4
	v_sub_nc_u32_e32 v4, v5, v4
	s_delay_alu instid0(VALU_DEP_1)
	v_mad_u32 v6, v4, s9, v6
	v_mad_u32 v20, v4, s0, v20
	v_mad_u32 v22, v4, s1, v22
	s_branch .LBB103_1704
.LBB103_1703:
	v_dual_mov_b32 v22, 0 :: v_dual_mov_b32 v20, 0
	v_mov_b32_e32 v6, 0
	s_and_not1_b32 vcc_lo, exec_lo, s6
	s_cbranch_vccz .LBB103_1701
.LBB103_1704:
	v_cmp_ne_u32_e32 vcc_lo, 1, v1
	s_cbranch_vccnz .LBB103_1710
; %bb.1705:
	s_cmp_lg_u32 s15, 0
	s_mov_b32 s6, 0
	s_cbranch_scc0 .LBB103_1714
; %bb.1706:
	s_min_u32 s9, s19, 15
	v_dual_mov_b32 v4, 0 :: v_dual_mov_b32 v1, v3
	v_dual_mov_b32 v16, 0 :: v_dual_mov_b32 v10, 0
	s_add_co_i32 s4, s9, 1
	s_mov_b64 s[0:1], 0xffffffffffffffe0
	s_and_b32 s10, s4, 30
	s_add_nc_u64 s[0:1], s[2:3], s[0:1]
	s_mov_b64 s[4:5], s[2:3]
.LBB103_1707:                           ; =>This Inner Loop Header: Depth=1
	s_clause 0x1
	s_load_b128 s[16:19], s[4:5], 0x4
	s_load_b64 s[20:21], s[4:5], 0x14
	s_clause 0x1
	s_load_b32 s11, s[0:1], 0xe4
	s_load_b96 s[12:14], s[0:1], 0xec
	s_add_co_i32 s10, s10, -2
	s_wait_xcnt 0x0
	s_add_nc_u64 s[4:5], s[4:5], 24
	s_cmp_lg_u32 s10, 0
	s_wait_kmcnt 0x0
	v_mul_hi_u32 v5, s17, v1
	s_delay_alu instid0(VALU_DEP_1) | instskip(NEXT) | instid1(VALU_DEP_1)
	v_add_nc_u32_e32 v5, v1, v5
	v_lshrrev_b32_e32 v5, s18, v5
	s_delay_alu instid0(VALU_DEP_1) | instskip(SKIP_4) | instid1(VALU_DEP_2)
	v_mul_hi_u32 v7, s20, v5
	v_mul_lo_u32 v9, v5, s16
	s_load_b64 s[16:17], s[0:1], 0xfc
	s_wait_xcnt 0x0
	s_add_nc_u64 s[0:1], s[0:1], 32
	v_add_nc_u32_e32 v7, v5, v7
	s_delay_alu instid0(VALU_DEP_1) | instskip(NEXT) | instid1(VALU_DEP_1)
	v_dual_sub_nc_u32 v9, v1, v9 :: v_dual_lshrrev_b32 v1, s21, v7
	v_mad_u32 v4, v9, s11, v4
	v_mad_u32 v10, v9, s13, v10
	;; [unrolled: 1-line block ×3, first 2 shown]
	s_delay_alu instid0(VALU_DEP_4) | instskip(NEXT) | instid1(VALU_DEP_1)
	v_mul_lo_u32 v7, v1, s19
	v_sub_nc_u32_e32 v5, v5, v7
	s_delay_alu instid0(VALU_DEP_1)
	v_mad_u32 v4, v5, s14, v4
	s_wait_kmcnt 0x0
	v_mad_u32 v10, v5, s17, v10
	v_mad_u32 v16, v5, s16, v9
	s_cbranch_scc1 .LBB103_1707
; %bb.1708:
	s_bitcmp1_b32 s9, 0
	s_cselect_b32 s9, -1, 0
	s_delay_alu instid0(SALU_CYCLE_1)
	s_and_b32 vcc_lo, exec_lo, s9
	s_cbranch_vccnz .LBB103_1711
; %bb.1709:
	s_load_b96 s[12:14], s[4:5], 0x4
	s_load_b32 s9, s[0:1], 0xe4
	s_wait_xcnt 0x0
	s_load_b64 s[4:5], s[0:1], 0xec
	s_wait_kmcnt 0x0
	v_mul_hi_u32 v5, s13, v1
	s_delay_alu instid0(VALU_DEP_1) | instskip(NEXT) | instid1(VALU_DEP_1)
	v_add_nc_u32_e32 v5, v1, v5
	v_lshrrev_b32_e32 v5, s14, v5
	s_delay_alu instid0(VALU_DEP_1) | instskip(NEXT) | instid1(VALU_DEP_1)
	v_mul_lo_u32 v5, v5, s12
	v_sub_nc_u32_e32 v1, v1, v5
	s_delay_alu instid0(VALU_DEP_1)
	v_mad_u32 v4, v1, s9, v4
	v_mad_u32 v16, v1, s4, v16
	;; [unrolled: 1-line block ×3, first 2 shown]
	s_and_not1_b32 vcc_lo, exec_lo, s6
	s_cbranch_vccz .LBB103_1712
	s_branch .LBB103_1715
.LBB103_1710:
	s_mov_b32 s6, -1
                                        ; implicit-def: $vgpr10
                                        ; implicit-def: $vgpr16
                                        ; implicit-def: $vgpr4
.LBB103_1711:
	s_delay_alu instid0(SALU_CYCLE_1)
	s_and_not1_b32 vcc_lo, exec_lo, s6
	s_cbranch_vccnz .LBB103_1715
.LBB103_1712:
	s_clause 0x2
	s_load_b96 s[4:6], s[2:3], 0x4
	s_load_b32 s9, s[2:3], 0xc4
	s_load_b64 s[0:1], s[2:3], 0xcc
	s_cmp_lt_u32 s15, 2
	s_wait_kmcnt 0x0
	v_mul_hi_u32 v1, s5, v3
	s_delay_alu instid0(VALU_DEP_1) | instskip(NEXT) | instid1(VALU_DEP_1)
	v_add_nc_u32_e32 v1, v3, v1
	v_lshrrev_b32_e32 v1, s6, v1
	s_delay_alu instid0(VALU_DEP_1) | instskip(NEXT) | instid1(VALU_DEP_1)
	v_mul_lo_u32 v4, v1, s4
	v_sub_nc_u32_e32 v3, v3, v4
	s_delay_alu instid0(VALU_DEP_1)
	v_mul_lo_u32 v4, v3, s9
	v_mul_lo_u32 v10, v3, s1
	v_mul_lo_u32 v16, v3, s0
	s_cbranch_scc1 .LBB103_1715
; %bb.1713:
	s_clause 0x2
	s_load_b96 s[4:6], s[2:3], 0x10
	s_load_b32 s9, s[2:3], 0xd4
	s_load_b64 s[0:1], s[2:3], 0xdc
	s_wait_kmcnt 0x0
	v_mul_hi_u32 v3, s5, v1
	s_delay_alu instid0(VALU_DEP_1) | instskip(NEXT) | instid1(VALU_DEP_1)
	v_add_nc_u32_e32 v3, v1, v3
	v_lshrrev_b32_e32 v3, s6, v3
	s_delay_alu instid0(VALU_DEP_1) | instskip(NEXT) | instid1(VALU_DEP_1)
	v_mul_lo_u32 v3, v3, s4
	v_sub_nc_u32_e32 v1, v1, v3
	s_delay_alu instid0(VALU_DEP_1)
	v_mad_u32 v4, v1, s9, v4
	v_mad_u32 v16, v1, s0, v16
	;; [unrolled: 1-line block ×3, first 2 shown]
	s_branch .LBB103_1715
.LBB103_1714:
	v_dual_mov_b32 v10, 0 :: v_dual_mov_b32 v16, 0
	v_mov_b32_e32 v4, 0
	s_and_not1_b32 vcc_lo, exec_lo, s6
	s_cbranch_vccz .LBB103_1712
.LBB103_1715:
	v_mov_b32_e32 v1, 0
	global_load_u8 v1, v1, s[2:3] offset:497
	s_wait_loadcnt 0x0
	v_and_b32_e32 v3, 0xffff, v1
	v_readfirstlane_b32 s6, v1
	s_delay_alu instid0(VALU_DEP_2)
	v_cmp_gt_i32_e32 vcc_lo, 23, v3
	s_cbranch_vccnz .LBB103_1719
; %bb.1716:
	s_and_b32 s4, 0xffff, s6
	s_delay_alu instid0(SALU_CYCLE_1)
	s_cmp_gt_i32 s4, 43
	s_cbranch_scc0 .LBB103_1720
; %bb.1717:
	s_cmp_gt_i32 s4, 45
	s_cbranch_scc0 .LBB103_1721
; %bb.1718:
	s_cmp_lg_u32 s4, 46
	s_mov_b32 s0, -1
	s_cselect_b32 s1, -1, 0
	s_cbranch_execz .LBB103_1722
	s_branch .LBB103_1723
.LBB103_1719:
	s_mov_b32 s0, 0
	s_mov_b32 s1, 0
	s_cbranch_execnz .LBB103_1726
	s_branch .LBB103_1730
.LBB103_1720:
	s_mov_b32 s0, 0
	s_mov_b32 s1, 0
	s_cbranch_execnz .LBB103_1724
	s_branch .LBB103_1725
.LBB103_1721:
	s_mov_b32 s0, 0
	s_mov_b32 s1, 0
.LBB103_1722:
	s_cmp_eq_u32 s4, 44
	s_cselect_b32 s0, -1, 0
	s_cmp_lg_u32 s4, 44
	s_cselect_b32 s1, -1, 0
.LBB103_1723:
	s_branch .LBB103_1725
.LBB103_1724:
	s_cmp_lt_i32 s4, 30
	s_cselect_b32 s0, -1, 0
	s_cmp_gt_i32 s4, 29
	s_cselect_b32 s1, -1, 0
.LBB103_1725:
	s_branch .LBB103_1730
.LBB103_1726:
	s_and_b32 s4, 0xffff, s6
	s_mov_b32 s5, -1
	s_cmp_gt_i32 s4, 14
	s_cbranch_scc0 .LBB103_1728
; %bb.1727:
	s_cmp_eq_u32 s4, 15
	s_mov_b32 s5, 0
	s_cselect_b32 s0, -1, 0
	s_cmp_lg_u32 s4, 15
	s_cselect_b32 s1, -1, 0
.LBB103_1728:
	s_and_not1_b32 vcc_lo, exec_lo, s5
	s_cbranch_vccnz .LBB103_1730
; %bb.1729:
	s_cmp_lt_i32 s4, 12
	s_cselect_b32 s0, -1, 0
	s_cmp_gt_i32 s4, 11
	s_cselect_b32 s1, -1, 0
.LBB103_1730:
	s_delay_alu instid0(SALU_CYCLE_1)
	s_and_b32 vcc_lo, exec_lo, s1
	s_mov_b32 s9, s7
	s_cbranch_vccnz .LBB103_1743
; %bb.1731:
	s_and_not1_b32 vcc_lo, exec_lo, s0
	s_cbranch_vccnz .LBB103_3280
.LBB103_1732:
	s_wait_xcnt 0x0
	v_mov_b32_e32 v1, 0
	s_load_b64 s[0:1], s[2:3], 0x1d8
	global_load_u8 v3, v1, s[2:3] offset:498
	s_wait_kmcnt 0x0
	v_add_nc_u64_e32 v[24:25], s[0:1], v[0:1]
	s_wait_loadcnt 0x0
	v_and_b32_e32 v5, 0xffff, v3
	v_readfirstlane_b32 s10, v3
	s_delay_alu instid0(VALU_DEP_2)
	v_cmp_gt_i32_e32 vcc_lo, 11, v5
	s_cbranch_vccnz .LBB103_1739
; %bb.1733:
	s_and_b32 s4, 0xffff, s10
	s_mov_b32 s11, 0
	s_cmp_gt_i32 s4, 25
	s_cbranch_scc0 .LBB103_1741
; %bb.1734:
	s_cmp_gt_i32 s4, 28
	s_cbranch_scc0 .LBB103_1742
; %bb.1735:
	;; [unrolled: 3-line block ×4, first 2 shown]
	s_cmp_eq_u32 s4, 46
	s_mov_b32 s13, 0
	s_cbranch_scc0 .LBB103_1750
; %bb.1738:
	global_load_b32 v0, v[24:25], off
	s_mov_b32 s5, 0
	s_mov_b32 s12, -1
	s_wait_loadcnt 0x0
	v_lshlrev_b32_e32 v0, 16, v0
	s_wait_xcnt 0x1
	s_delay_alu instid0(VALU_DEP_1)
	v_cvt_f64_f32_e32 v[0:1], v0
	s_branch .LBB103_1752
.LBB103_1739:
	s_mov_b32 s12, 0
                                        ; implicit-def: $vgpr0_vgpr1
	s_cbranch_execnz .LBB103_1817
.LBB103_1740:
	s_and_not1_b32 vcc_lo, exec_lo, s12
	s_cbranch_vccz .LBB103_1864
	s_branch .LBB103_3280
.LBB103_1741:
	s_mov_b32 s12, 0
	s_mov_b32 s5, 0
                                        ; implicit-def: $vgpr0_vgpr1
	s_cbranch_execnz .LBB103_1781
	s_branch .LBB103_1813
.LBB103_1742:
	s_mov_b32 s13, -1
	s_mov_b32 s12, 0
	s_mov_b32 s5, 0
                                        ; implicit-def: $vgpr0_vgpr1
	s_branch .LBB103_1762
.LBB103_1743:
	s_or_b32 s9, s7, exec_lo
	s_trap 2
	s_cbranch_execz .LBB103_1732
	s_branch .LBB103_3280
.LBB103_1744:
	s_mov_b32 s13, -1
	s_mov_b32 s12, 0
	s_mov_b32 s5, 0
                                        ; implicit-def: $vgpr0_vgpr1
	s_branch .LBB103_1757
.LBB103_1745:
	s_and_not1_saveexec_b32 s9, s9
	s_cbranch_execz .LBB103_1583
.LBB103_1746:
	v_add_f32_e64 v3, 0x46000000, |v2|
	s_and_not1_b32 s8, s8, exec_lo
	s_delay_alu instid0(VALU_DEP_1) | instskip(NEXT) | instid1(VALU_DEP_1)
	v_and_b32_e32 v3, 0xff, v3
	v_cmp_ne_u32_e32 vcc_lo, 0, v3
	s_and_b32 s10, vcc_lo, exec_lo
	s_delay_alu instid0(SALU_CYCLE_1)
	s_or_b32 s8, s8, s10
	s_or_b32 exec_lo, exec_lo, s9
	v_mov_b32_e32 v4, 0
	s_and_saveexec_b32 s9, s8
	s_cbranch_execnz .LBB103_1584
	s_branch .LBB103_1585
.LBB103_1747:
	s_mov_b32 s13, -1
	s_mov_b32 s12, 0
	s_mov_b32 s5, 0
	s_branch .LBB103_1751
.LBB103_1748:
	s_and_not1_saveexec_b32 s10, s10
	s_cbranch_execz .LBB103_1595
.LBB103_1749:
	v_add_f32_e64 v3, 0x42800000, |v2|
	s_and_not1_b32 s9, s9, exec_lo
	s_delay_alu instid0(VALU_DEP_1) | instskip(NEXT) | instid1(VALU_DEP_1)
	v_and_b32_e32 v3, 0xff, v3
	v_cmp_ne_u32_e32 vcc_lo, 0, v3
	s_and_b32 s11, vcc_lo, exec_lo
	s_delay_alu instid0(SALU_CYCLE_1)
	s_or_b32 s9, s9, s11
	s_or_b32 exec_lo, exec_lo, s10
	v_mov_b32_e32 v4, 0
	s_and_saveexec_b32 s10, s9
	s_cbranch_execnz .LBB103_1596
	s_branch .LBB103_1597
.LBB103_1750:
	s_mov_b32 s5, -1
	s_mov_b32 s12, 0
.LBB103_1751:
                                        ; implicit-def: $vgpr0_vgpr1
.LBB103_1752:
	s_and_b32 vcc_lo, exec_lo, s13
	s_cbranch_vccz .LBB103_1756
; %bb.1753:
	s_cmp_eq_u32 s4, 44
	s_cbranch_scc0 .LBB103_1755
; %bb.1754:
	global_load_u8 v3, v[24:25], off
	s_mov_b32 s5, 0
	s_mov_b32 s12, -1
	s_wait_loadcnt 0x0
	v_cmp_ne_u32_e32 vcc_lo, 0xff, v3
	v_lshlrev_b32_e32 v0, 23, v3
	s_wait_xcnt 0x1
	s_delay_alu instid0(VALU_DEP_1) | instskip(NEXT) | instid1(VALU_DEP_1)
	v_cvt_f64_f32_e32 v[0:1], v0
	v_cndmask_b32_e32 v0, 0x20000000, v0, vcc_lo
	s_delay_alu instid0(VALU_DEP_2) | instskip(SKIP_1) | instid1(VALU_DEP_2)
	v_cndmask_b32_e32 v1, 0x7ff80000, v1, vcc_lo
	v_cmp_ne_u32_e32 vcc_lo, 0, v3
	v_cndmask_b32_e32 v1, 0x38000000, v1, vcc_lo
	s_delay_alu instid0(VALU_DEP_4)
	v_cndmask_b32_e32 v0, 0, v0, vcc_lo
	s_branch .LBB103_1756
.LBB103_1755:
	s_mov_b32 s5, -1
                                        ; implicit-def: $vgpr0_vgpr1
.LBB103_1756:
	s_mov_b32 s13, 0
.LBB103_1757:
	s_delay_alu instid0(SALU_CYCLE_1)
	s_and_b32 vcc_lo, exec_lo, s13
	s_cbranch_vccz .LBB103_1761
; %bb.1758:
	s_cmp_eq_u32 s4, 29
	s_cbranch_scc0 .LBB103_1760
; %bb.1759:
	global_load_b64 v[0:1], v[24:25], off
	s_mov_b32 s5, 0
	s_mov_b32 s12, -1
	s_mov_b32 s13, 0
	s_wait_loadcnt 0x0
	v_cvt_f64_u32_e32 v[26:27], v1
	v_cvt_f64_u32_e32 v[0:1], v0
	s_delay_alu instid0(VALU_DEP_2) | instskip(NEXT) | instid1(VALU_DEP_1)
	v_ldexp_f64 v[26:27], v[26:27], 32
	v_add_f64_e32 v[0:1], v[26:27], v[0:1]
	s_branch .LBB103_1762
.LBB103_1760:
	s_mov_b32 s5, -1
                                        ; implicit-def: $vgpr0_vgpr1
.LBB103_1761:
	s_mov_b32 s13, 0
.LBB103_1762:
	s_delay_alu instid0(SALU_CYCLE_1)
	s_and_b32 vcc_lo, exec_lo, s13
	s_cbranch_vccz .LBB103_1780
; %bb.1763:
	s_cmp_lt_i32 s4, 27
	s_cbranch_scc1 .LBB103_1766
; %bb.1764:
	s_cmp_gt_i32 s4, 27
	s_cbranch_scc0 .LBB103_1767
; %bb.1765:
	global_load_b32 v0, v[24:25], off
	s_mov_b32 s12, 0
	s_wait_loadcnt 0x0
	s_wait_xcnt 0x1
	v_cvt_f64_u32_e32 v[0:1], v0
	s_branch .LBB103_1768
.LBB103_1766:
	s_mov_b32 s12, -1
                                        ; implicit-def: $vgpr0_vgpr1
	s_branch .LBB103_1771
.LBB103_1767:
	s_mov_b32 s12, -1
                                        ; implicit-def: $vgpr0_vgpr1
.LBB103_1768:
	s_delay_alu instid0(SALU_CYCLE_1)
	s_and_not1_b32 vcc_lo, exec_lo, s12
	s_cbranch_vccnz .LBB103_1770
; %bb.1769:
	global_load_u16 v0, v[24:25], off
	s_wait_loadcnt 0x0
	s_wait_xcnt 0x1
	v_cvt_f64_u32_e32 v[0:1], v0
.LBB103_1770:
	s_mov_b32 s12, 0
.LBB103_1771:
	s_delay_alu instid0(SALU_CYCLE_1)
	s_and_not1_b32 vcc_lo, exec_lo, s12
	s_cbranch_vccnz .LBB103_1779
; %bb.1772:
	global_load_u8 v3, v[24:25], off
	s_mov_b32 s12, 0
	s_mov_b32 s13, exec_lo
	s_wait_loadcnt 0x0
	v_cmpx_lt_i16_e32 0x7f, v3
	s_xor_b32 s13, exec_lo, s13
	s_cbranch_execz .LBB103_1792
; %bb.1773:
	s_mov_b32 s12, -1
	s_mov_b32 s14, exec_lo
	v_cmpx_eq_u16_e32 0x80, v3
; %bb.1774:
	s_xor_b32 s12, exec_lo, -1
; %bb.1775:
	s_or_b32 exec_lo, exec_lo, s14
	s_delay_alu instid0(SALU_CYCLE_1)
	s_and_b32 s12, s12, exec_lo
	s_or_saveexec_b32 s13, s13
	v_mov_b64_e32 v[0:1], 0x7ff8000020000000
	s_xor_b32 exec_lo, exec_lo, s13
	s_cbranch_execnz .LBB103_1793
.LBB103_1776:
	s_or_b32 exec_lo, exec_lo, s13
	s_and_saveexec_b32 s13, s12
	s_cbranch_execz .LBB103_1778
.LBB103_1777:
	v_and_b32_e32 v0, 0xffff, v3
	s_delay_alu instid0(VALU_DEP_1) | instskip(SKIP_1) | instid1(VALU_DEP_2)
	v_and_b32_e32 v1, 7, v0
	v_bfe_u32 v9, v0, 3, 4
	v_clz_i32_u32_e32 v5, v1
	s_delay_alu instid0(VALU_DEP_2) | instskip(NEXT) | instid1(VALU_DEP_2)
	v_cmp_eq_u32_e32 vcc_lo, 0, v9
	v_min_u32_e32 v5, 32, v5
	s_delay_alu instid0(VALU_DEP_1) | instskip(NEXT) | instid1(VALU_DEP_1)
	v_subrev_nc_u32_e32 v7, 28, v5
	v_dual_lshlrev_b32 v0, v7, v0 :: v_dual_sub_nc_u32 v5, 29, v5
	s_delay_alu instid0(VALU_DEP_1) | instskip(NEXT) | instid1(VALU_DEP_2)
	v_dual_lshlrev_b32 v3, 24, v3 :: v_dual_bitop2_b32 v0, 7, v0 bitop3:0x40
	v_cndmask_b32_e32 v5, v9, v5, vcc_lo
	s_delay_alu instid0(VALU_DEP_2) | instskip(NEXT) | instid1(VALU_DEP_3)
	v_cndmask_b32_e32 v0, v1, v0, vcc_lo
	v_and_b32_e32 v1, 0x80000000, v3
	s_delay_alu instid0(VALU_DEP_3) | instskip(NEXT) | instid1(VALU_DEP_3)
	v_lshl_add_u32 v3, v5, 23, 0x3b800000
	v_lshlrev_b32_e32 v0, 20, v0
	s_delay_alu instid0(VALU_DEP_1) | instskip(NEXT) | instid1(VALU_DEP_1)
	v_or3_b32 v0, v1, v3, v0
	v_cvt_f64_f32_e32 v[0:1], v0
.LBB103_1778:
	s_or_b32 exec_lo, exec_lo, s13
.LBB103_1779:
	s_mov_b32 s12, -1
.LBB103_1780:
	s_branch .LBB103_1813
.LBB103_1781:
	s_cmp_gt_i32 s4, 22
	s_cbranch_scc0 .LBB103_1791
; %bb.1782:
	s_cmp_lt_i32 s4, 24
	s_cbranch_scc1 .LBB103_1794
; %bb.1783:
	s_cmp_gt_i32 s4, 24
	s_cbranch_scc0 .LBB103_1795
; %bb.1784:
	global_load_u8 v3, v[24:25], off
	s_mov_b32 s12, exec_lo
	s_wait_loadcnt 0x0
	v_cmpx_lt_i16_e32 0x7f, v3
	s_xor_b32 s12, exec_lo, s12
	s_cbranch_execz .LBB103_1807
; %bb.1785:
	s_mov_b32 s11, -1
	s_mov_b32 s13, exec_lo
	v_cmpx_eq_u16_e32 0x80, v3
; %bb.1786:
	s_xor_b32 s11, exec_lo, -1
; %bb.1787:
	s_or_b32 exec_lo, exec_lo, s13
	s_delay_alu instid0(SALU_CYCLE_1)
	s_and_b32 s11, s11, exec_lo
	s_or_saveexec_b32 s12, s12
	v_mov_b64_e32 v[0:1], 0x7ff8000020000000
	s_xor_b32 exec_lo, exec_lo, s12
	s_cbranch_execnz .LBB103_1808
.LBB103_1788:
	s_or_b32 exec_lo, exec_lo, s12
	s_and_saveexec_b32 s12, s11
	s_cbranch_execz .LBB103_1790
.LBB103_1789:
	v_and_b32_e32 v0, 0xffff, v3
	s_delay_alu instid0(VALU_DEP_1) | instskip(SKIP_1) | instid1(VALU_DEP_2)
	v_and_b32_e32 v1, 3, v0
	v_bfe_u32 v9, v0, 2, 5
	v_clz_i32_u32_e32 v5, v1
	s_delay_alu instid0(VALU_DEP_2) | instskip(NEXT) | instid1(VALU_DEP_2)
	v_cmp_eq_u32_e32 vcc_lo, 0, v9
	v_min_u32_e32 v5, 32, v5
	s_delay_alu instid0(VALU_DEP_1) | instskip(NEXT) | instid1(VALU_DEP_1)
	v_subrev_nc_u32_e32 v7, 29, v5
	v_dual_lshlrev_b32 v0, v7, v0 :: v_dual_sub_nc_u32 v5, 30, v5
	s_delay_alu instid0(VALU_DEP_1) | instskip(NEXT) | instid1(VALU_DEP_2)
	v_dual_lshlrev_b32 v3, 24, v3 :: v_dual_bitop2_b32 v0, 3, v0 bitop3:0x40
	v_cndmask_b32_e32 v5, v9, v5, vcc_lo
	s_delay_alu instid0(VALU_DEP_2) | instskip(NEXT) | instid1(VALU_DEP_3)
	v_cndmask_b32_e32 v0, v1, v0, vcc_lo
	v_and_b32_e32 v1, 0x80000000, v3
	s_delay_alu instid0(VALU_DEP_3) | instskip(NEXT) | instid1(VALU_DEP_3)
	v_lshl_add_u32 v3, v5, 23, 0x37800000
	v_lshlrev_b32_e32 v0, 21, v0
	s_delay_alu instid0(VALU_DEP_1) | instskip(NEXT) | instid1(VALU_DEP_1)
	v_or3_b32 v0, v1, v3, v0
	v_cvt_f64_f32_e32 v[0:1], v0
.LBB103_1790:
	s_or_b32 exec_lo, exec_lo, s12
	s_mov_b32 s11, 0
	s_branch .LBB103_1796
.LBB103_1791:
	s_mov_b32 s11, -1
                                        ; implicit-def: $vgpr0_vgpr1
	s_branch .LBB103_1802
.LBB103_1792:
	s_or_saveexec_b32 s13, s13
	v_mov_b64_e32 v[0:1], 0x7ff8000020000000
	s_xor_b32 exec_lo, exec_lo, s13
	s_cbranch_execz .LBB103_1776
.LBB103_1793:
	v_cmp_ne_u16_e32 vcc_lo, 0, v3
	v_mov_b64_e32 v[0:1], 0
	s_and_not1_b32 s12, s12, exec_lo
	s_and_b32 s14, vcc_lo, exec_lo
	s_delay_alu instid0(SALU_CYCLE_1)
	s_or_b32 s12, s12, s14
	s_or_b32 exec_lo, exec_lo, s13
	s_and_saveexec_b32 s13, s12
	s_cbranch_execnz .LBB103_1777
	s_branch .LBB103_1778
.LBB103_1794:
	s_mov_b32 s11, -1
                                        ; implicit-def: $vgpr0_vgpr1
	s_branch .LBB103_1799
.LBB103_1795:
	s_mov_b32 s11, -1
                                        ; implicit-def: $vgpr0_vgpr1
.LBB103_1796:
	s_delay_alu instid0(SALU_CYCLE_1)
	s_and_b32 vcc_lo, exec_lo, s11
	s_cbranch_vccz .LBB103_1798
; %bb.1797:
	global_load_u8 v0, v[24:25], off
	s_wait_loadcnt 0x0
	v_lshlrev_b32_e32 v0, 24, v0
	s_wait_xcnt 0x1
	s_delay_alu instid0(VALU_DEP_1) | instskip(NEXT) | instid1(VALU_DEP_1)
	v_and_b32_e32 v1, 0x7f000000, v0
	v_clz_i32_u32_e32 v3, v1
	v_add_nc_u32_e32 v7, 0x1000000, v1
	v_cmp_ne_u32_e32 vcc_lo, 0, v1
	s_delay_alu instid0(VALU_DEP_3) | instskip(NEXT) | instid1(VALU_DEP_1)
	v_min_u32_e32 v3, 32, v3
	v_sub_nc_u32_e64 v3, v3, 4 clamp
	s_delay_alu instid0(VALU_DEP_1) | instskip(NEXT) | instid1(VALU_DEP_1)
	v_dual_lshlrev_b32 v5, v3, v1 :: v_dual_lshlrev_b32 v3, 23, v3
	v_lshrrev_b32_e32 v5, 4, v5
	s_delay_alu instid0(VALU_DEP_1) | instskip(SKIP_1) | instid1(VALU_DEP_2)
	v_sub_nc_u32_e32 v3, v5, v3
	v_ashrrev_i32_e32 v5, 8, v7
	v_add_nc_u32_e32 v3, 0x3c000000, v3
	s_delay_alu instid0(VALU_DEP_1) | instskip(NEXT) | instid1(VALU_DEP_1)
	v_and_or_b32 v3, 0x7f800000, v5, v3
	v_cndmask_b32_e32 v1, 0, v3, vcc_lo
	s_delay_alu instid0(VALU_DEP_1) | instskip(NEXT) | instid1(VALU_DEP_1)
	v_and_or_b32 v0, 0x80000000, v0, v1
	v_cvt_f64_f32_e32 v[0:1], v0
.LBB103_1798:
	s_mov_b32 s11, 0
.LBB103_1799:
	s_delay_alu instid0(SALU_CYCLE_1)
	s_and_not1_b32 vcc_lo, exec_lo, s11
	s_cbranch_vccnz .LBB103_1801
; %bb.1800:
	global_load_u8 v0, v[24:25], off
	s_wait_loadcnt 0x0
	s_wait_xcnt 0x1
	v_lshlrev_b32_e32 v1, 25, v0
	v_lshlrev_b16 v0, 8, v0
	s_delay_alu instid0(VALU_DEP_1) | instskip(SKIP_1) | instid1(VALU_DEP_2)
	v_and_or_b32 v5, 0x7f00, v0, 0.5
	v_bfe_i32 v0, v0, 0, 16
	v_add_f32_e32 v5, -0.5, v5
	v_lshrrev_b32_e32 v3, 4, v1
	v_cmp_gt_u32_e32 vcc_lo, 0x8000000, v1
	s_delay_alu instid0(VALU_DEP_2) | instskip(NEXT) | instid1(VALU_DEP_1)
	v_or_b32_e32 v3, 0x70000000, v3
	v_mul_f32_e32 v3, 0x7800000, v3
	s_delay_alu instid0(VALU_DEP_1) | instskip(NEXT) | instid1(VALU_DEP_1)
	v_cndmask_b32_e32 v1, v3, v5, vcc_lo
	v_and_or_b32 v0, 0x80000000, v0, v1
	s_delay_alu instid0(VALU_DEP_1)
	v_cvt_f64_f32_e32 v[0:1], v0
.LBB103_1801:
	s_mov_b32 s11, 0
	s_mov_b32 s12, -1
.LBB103_1802:
	s_and_not1_b32 vcc_lo, exec_lo, s11
	s_mov_b32 s11, 0
	s_cbranch_vccnz .LBB103_1813
; %bb.1803:
	s_cmp_gt_i32 s4, 14
	s_cbranch_scc0 .LBB103_1806
; %bb.1804:
	s_cmp_eq_u32 s4, 15
	s_cbranch_scc0 .LBB103_1809
; %bb.1805:
	global_load_u16 v0, v[24:25], off
	s_mov_b32 s5, 0
	s_mov_b32 s12, -1
	s_wait_loadcnt 0x0
	v_lshlrev_b32_e32 v0, 16, v0
	s_wait_xcnt 0x1
	s_delay_alu instid0(VALU_DEP_1)
	v_cvt_f64_f32_e32 v[0:1], v0
	s_branch .LBB103_1811
.LBB103_1806:
	s_mov_b32 s11, -1
	s_branch .LBB103_1810
.LBB103_1807:
	s_or_saveexec_b32 s12, s12
	v_mov_b64_e32 v[0:1], 0x7ff8000020000000
	s_xor_b32 exec_lo, exec_lo, s12
	s_cbranch_execz .LBB103_1788
.LBB103_1808:
	v_cmp_ne_u16_e32 vcc_lo, 0, v3
	v_mov_b64_e32 v[0:1], 0
	s_and_not1_b32 s11, s11, exec_lo
	s_and_b32 s13, vcc_lo, exec_lo
	s_delay_alu instid0(SALU_CYCLE_1)
	s_or_b32 s11, s11, s13
	s_or_b32 exec_lo, exec_lo, s12
	s_and_saveexec_b32 s12, s11
	s_cbranch_execnz .LBB103_1789
	s_branch .LBB103_1790
.LBB103_1809:
	s_mov_b32 s5, -1
.LBB103_1810:
                                        ; implicit-def: $vgpr0_vgpr1
.LBB103_1811:
	s_and_b32 vcc_lo, exec_lo, s11
	s_mov_b32 s11, 0
	s_cbranch_vccz .LBB103_1813
; %bb.1812:
	s_cmp_lg_u32 s4, 11
	s_mov_b32 s11, -1
	s_cselect_b32 s5, -1, 0
.LBB103_1813:
	s_delay_alu instid0(SALU_CYCLE_1)
	s_and_b32 vcc_lo, exec_lo, s5
	s_cbranch_vccnz .LBB103_1876
; %bb.1814:
	s_and_not1_b32 vcc_lo, exec_lo, s11
	s_cbranch_vccnz .LBB103_1816
.LBB103_1815:
	global_load_u8 v0, v[24:25], off
	s_mov_b32 s12, -1
	s_wait_loadcnt 0x0
	v_cmp_ne_u16_e32 vcc_lo, 0, v0
	v_mov_b32_e32 v0, 0
	s_wait_xcnt 0x1
	v_cndmask_b32_e64 v1, 0, 0x3ff00000, vcc_lo
.LBB103_1816:
	s_branch .LBB103_1740
.LBB103_1817:
	s_and_b32 s4, 0xffff, s10
	s_delay_alu instid0(SALU_CYCLE_1)
	s_cmp_lt_i32 s4, 5
	s_cbranch_scc1 .LBB103_1822
; %bb.1818:
	s_cmp_lt_i32 s4, 8
	s_cbranch_scc1 .LBB103_1823
; %bb.1819:
	;; [unrolled: 3-line block ×3, first 2 shown]
	s_cmp_gt_i32 s4, 9
	s_cbranch_scc0 .LBB103_1825
; %bb.1821:
	global_load_b64 v[0:1], v[24:25], off
	s_mov_b32 s5, 0
	s_branch .LBB103_1826
.LBB103_1822:
                                        ; implicit-def: $vgpr0_vgpr1
	s_branch .LBB103_1844
.LBB103_1823:
	s_mov_b32 s5, -1
                                        ; implicit-def: $vgpr0_vgpr1
	s_branch .LBB103_1832
.LBB103_1824:
	s_mov_b32 s5, -1
                                        ; implicit-def: $vgpr0_vgpr1
	s_branch .LBB103_1829
.LBB103_1825:
	s_mov_b32 s5, -1
                                        ; implicit-def: $vgpr0_vgpr1
.LBB103_1826:
	s_delay_alu instid0(SALU_CYCLE_1)
	s_and_not1_b32 vcc_lo, exec_lo, s5
	s_cbranch_vccnz .LBB103_1828
; %bb.1827:
	s_wait_loadcnt 0x0
	global_load_b32 v0, v[24:25], off
	s_wait_loadcnt 0x0
	s_wait_xcnt 0x1
	v_cvt_f64_f32_e32 v[0:1], v0
.LBB103_1828:
	s_mov_b32 s5, 0
.LBB103_1829:
	s_delay_alu instid0(SALU_CYCLE_1)
	s_and_not1_b32 vcc_lo, exec_lo, s5
	s_cbranch_vccnz .LBB103_1831
; %bb.1830:
	s_wait_loadcnt 0x0
	global_load_b32 v0, v[24:25], off
	s_wait_loadcnt 0x0
	v_cvt_f32_f16_e32 v0, v0
	s_wait_xcnt 0x1
	s_delay_alu instid0(VALU_DEP_1)
	v_cvt_f64_f32_e32 v[0:1], v0
.LBB103_1831:
	s_mov_b32 s5, 0
.LBB103_1832:
	s_delay_alu instid0(SALU_CYCLE_1)
	s_and_not1_b32 vcc_lo, exec_lo, s5
	s_cbranch_vccnz .LBB103_1843
; %bb.1833:
	s_cmp_lt_i32 s4, 6
	s_cbranch_scc1 .LBB103_1836
; %bb.1834:
	s_cmp_gt_i32 s4, 6
	s_cbranch_scc0 .LBB103_1837
; %bb.1835:
	s_wait_loadcnt 0x0
	global_load_b64 v[0:1], v[24:25], off
	s_mov_b32 s5, 0
	s_branch .LBB103_1838
.LBB103_1836:
	s_mov_b32 s5, -1
                                        ; implicit-def: $vgpr0_vgpr1
	s_branch .LBB103_1841
.LBB103_1837:
	s_mov_b32 s5, -1
                                        ; implicit-def: $vgpr0_vgpr1
.LBB103_1838:
	s_delay_alu instid0(SALU_CYCLE_1)
	s_and_not1_b32 vcc_lo, exec_lo, s5
	s_cbranch_vccnz .LBB103_1840
; %bb.1839:
	s_wait_loadcnt 0x0
	global_load_b32 v0, v[24:25], off
	s_wait_loadcnt 0x0
	s_wait_xcnt 0x1
	v_cvt_f64_f32_e32 v[0:1], v0
.LBB103_1840:
	s_mov_b32 s5, 0
.LBB103_1841:
	s_delay_alu instid0(SALU_CYCLE_1)
	s_and_not1_b32 vcc_lo, exec_lo, s5
	s_cbranch_vccnz .LBB103_1843
; %bb.1842:
	s_wait_loadcnt 0x0
	global_load_u16 v0, v[24:25], off
	s_wait_loadcnt 0x0
	v_cvt_f32_f16_e32 v0, v0
	s_wait_xcnt 0x1
	s_delay_alu instid0(VALU_DEP_1)
	v_cvt_f64_f32_e32 v[0:1], v0
.LBB103_1843:
	s_cbranch_execnz .LBB103_1863
.LBB103_1844:
	s_cmp_lt_i32 s4, 2
	s_cbranch_scc1 .LBB103_1848
; %bb.1845:
	s_cmp_lt_i32 s4, 3
	s_cbranch_scc1 .LBB103_1849
; %bb.1846:
	s_cmp_gt_i32 s4, 3
	s_cbranch_scc0 .LBB103_1850
; %bb.1847:
	s_wait_loadcnt 0x0
	global_load_b64 v[0:1], v[24:25], off
	s_mov_b32 s5, 0
	s_wait_loadcnt 0x0
	v_cvt_f64_i32_e32 v[26:27], v1
	v_cvt_f64_u32_e32 v[0:1], v0
	s_delay_alu instid0(VALU_DEP_2) | instskip(NEXT) | instid1(VALU_DEP_1)
	v_ldexp_f64 v[26:27], v[26:27], 32
	v_add_f64_e32 v[0:1], v[26:27], v[0:1]
	s_branch .LBB103_1851
.LBB103_1848:
	s_mov_b32 s5, -1
                                        ; implicit-def: $vgpr0_vgpr1
	s_branch .LBB103_1857
.LBB103_1849:
	s_mov_b32 s5, -1
                                        ; implicit-def: $vgpr0_vgpr1
	s_branch .LBB103_1854
.LBB103_1850:
	s_mov_b32 s5, -1
                                        ; implicit-def: $vgpr0_vgpr1
.LBB103_1851:
	s_delay_alu instid0(SALU_CYCLE_1)
	s_and_not1_b32 vcc_lo, exec_lo, s5
	s_cbranch_vccnz .LBB103_1853
; %bb.1852:
	s_wait_loadcnt 0x0
	global_load_b32 v0, v[24:25], off
	s_wait_loadcnt 0x0
	s_wait_xcnt 0x1
	v_cvt_f64_i32_e32 v[0:1], v0
.LBB103_1853:
	s_mov_b32 s5, 0
.LBB103_1854:
	s_delay_alu instid0(SALU_CYCLE_1)
	s_and_not1_b32 vcc_lo, exec_lo, s5
	s_cbranch_vccnz .LBB103_1856
; %bb.1855:
	s_wait_loadcnt 0x0
	global_load_i16 v0, v[24:25], off
	s_wait_loadcnt 0x0
	s_wait_xcnt 0x1
	v_cvt_f64_i32_e32 v[0:1], v0
.LBB103_1856:
	s_mov_b32 s5, 0
.LBB103_1857:
	s_delay_alu instid0(SALU_CYCLE_1)
	s_and_not1_b32 vcc_lo, exec_lo, s5
	s_cbranch_vccnz .LBB103_1863
; %bb.1858:
	s_cmp_gt_i32 s4, 0
	s_mov_b32 s4, 0
	s_cbranch_scc0 .LBB103_1860
; %bb.1859:
	s_wait_loadcnt 0x0
	global_load_i8 v0, v[24:25], off
	s_wait_loadcnt 0x0
	s_wait_xcnt 0x1
	v_cvt_f64_i32_e32 v[0:1], v0
	s_branch .LBB103_1861
.LBB103_1860:
	s_mov_b32 s4, -1
                                        ; implicit-def: $vgpr0_vgpr1
.LBB103_1861:
	s_delay_alu instid0(SALU_CYCLE_1)
	s_and_not1_b32 vcc_lo, exec_lo, s4
	s_cbranch_vccnz .LBB103_1863
; %bb.1862:
	s_wait_loadcnt 0x0
	global_load_u8 v0, v[24:25], off
	s_wait_loadcnt 0x0
	s_wait_xcnt 0x1
	v_cvt_f64_u32_e32 v[0:1], v0
.LBB103_1863:
.LBB103_1864:
	v_mov_b32_e32 v13, 0
	s_load_b64 s[4:5], s[2:3], 0x1e0
	global_load_u8 v3, v13, s[2:3] offset:499
	s_wait_kmcnt 0x0
	v_add_nc_u64_e32 v[24:25], s[4:5], v[12:13]
	s_wait_loadcnt 0x0
	v_and_b32_e32 v5, 0xffff, v3
	v_readfirstlane_b32 s12, v3
	s_delay_alu instid0(VALU_DEP_2)
	v_cmp_gt_i32_e32 vcc_lo, 11, v5
	s_cbranch_vccnz .LBB103_1871
; %bb.1865:
	s_and_b32 s11, 0xffff, s12
	s_mov_b32 s14, 0
	s_cmp_gt_i32 s11, 25
	s_cbranch_scc0 .LBB103_1873
; %bb.1866:
	s_cmp_gt_i32 s11, 28
	s_cbranch_scc0 .LBB103_1874
; %bb.1867:
	;; [unrolled: 3-line block ×4, first 2 shown]
	s_cmp_eq_u32 s11, 46
	s_mov_b32 s16, 0
	s_cbranch_scc0 .LBB103_1878
; %bb.1870:
	global_load_b32 v3, v[24:25], off
	s_mov_b32 s13, 0
	s_mov_b32 s15, -1
	s_wait_loadcnt 0x0
	v_lshlrev_b32_e32 v3, 16, v3
	s_wait_xcnt 0x1
	s_delay_alu instid0(VALU_DEP_1)
	v_cvt_f64_f32_e32 v[12:13], v3
	s_branch .LBB103_1880
.LBB103_1871:
	s_mov_b32 s15, 0
                                        ; implicit-def: $vgpr12_vgpr13
	s_cbranch_execnz .LBB103_1946
.LBB103_1872:
	s_and_not1_b32 vcc_lo, exec_lo, s15
	s_cbranch_vccz .LBB103_1994
	s_branch .LBB103_3280
.LBB103_1873:
	s_mov_b32 s16, -1
	s_mov_b32 s15, 0
	s_mov_b32 s13, 0
                                        ; implicit-def: $vgpr12_vgpr13
	s_branch .LBB103_1909
.LBB103_1874:
	s_mov_b32 s16, -1
	s_mov_b32 s15, 0
	s_mov_b32 s13, 0
                                        ; implicit-def: $vgpr12_vgpr13
	s_branch .LBB103_1890
.LBB103_1875:
	s_mov_b32 s16, -1
	s_mov_b32 s15, 0
	s_mov_b32 s13, 0
                                        ; implicit-def: $vgpr12_vgpr13
	s_branch .LBB103_1885
.LBB103_1876:
	s_or_b32 s9, s9, exec_lo
	s_trap 2
	s_cbranch_execz .LBB103_1815
	s_branch .LBB103_1816
.LBB103_1877:
	s_mov_b32 s16, -1
	s_mov_b32 s15, 0
	s_mov_b32 s13, 0
	s_branch .LBB103_1879
.LBB103_1878:
	s_mov_b32 s13, -1
	s_mov_b32 s15, 0
.LBB103_1879:
                                        ; implicit-def: $vgpr12_vgpr13
.LBB103_1880:
	s_and_b32 vcc_lo, exec_lo, s16
	s_cbranch_vccz .LBB103_1884
; %bb.1881:
	s_cmp_eq_u32 s11, 44
	s_cbranch_scc0 .LBB103_1883
; %bb.1882:
	global_load_u8 v3, v[24:25], off
	s_mov_b32 s13, 0
	s_mov_b32 s15, -1
	s_wait_loadcnt 0x0
	v_lshlrev_b32_e32 v5, 23, v3
	v_cmp_ne_u32_e32 vcc_lo, 0xff, v3
	s_wait_xcnt 0x1
	s_delay_alu instid0(VALU_DEP_2) | instskip(NEXT) | instid1(VALU_DEP_1)
	v_cvt_f64_f32_e32 v[12:13], v5
	v_cndmask_b32_e32 v5, 0x20000000, v12, vcc_lo
	s_delay_alu instid0(VALU_DEP_2) | instskip(SKIP_1) | instid1(VALU_DEP_2)
	v_cndmask_b32_e32 v7, 0x7ff80000, v13, vcc_lo
	v_cmp_ne_u32_e32 vcc_lo, 0, v3
	v_cndmask_b32_e32 v13, 0x38000000, v7, vcc_lo
	s_delay_alu instid0(VALU_DEP_4)
	v_cndmask_b32_e32 v12, 0, v5, vcc_lo
	s_branch .LBB103_1884
.LBB103_1883:
	s_mov_b32 s13, -1
                                        ; implicit-def: $vgpr12_vgpr13
.LBB103_1884:
	s_mov_b32 s16, 0
.LBB103_1885:
	s_delay_alu instid0(SALU_CYCLE_1)
	s_and_b32 vcc_lo, exec_lo, s16
	s_cbranch_vccz .LBB103_1889
; %bb.1886:
	s_cmp_eq_u32 s11, 29
	s_cbranch_scc0 .LBB103_1888
; %bb.1887:
	global_load_b64 v[12:13], v[24:25], off
	s_mov_b32 s13, 0
	s_mov_b32 s15, -1
	s_mov_b32 s16, 0
	s_wait_loadcnt 0x0
	v_cvt_f64_u32_e32 v[26:27], v13
	v_cvt_f64_u32_e32 v[12:13], v12
	s_delay_alu instid0(VALU_DEP_2) | instskip(NEXT) | instid1(VALU_DEP_1)
	v_ldexp_f64 v[26:27], v[26:27], 32
	v_add_f64_e32 v[12:13], v[26:27], v[12:13]
	s_branch .LBB103_1890
.LBB103_1888:
	s_mov_b32 s13, -1
                                        ; implicit-def: $vgpr12_vgpr13
.LBB103_1889:
	s_mov_b32 s16, 0
.LBB103_1890:
	s_delay_alu instid0(SALU_CYCLE_1)
	s_and_b32 vcc_lo, exec_lo, s16
	s_cbranch_vccz .LBB103_1908
; %bb.1891:
	s_cmp_lt_i32 s11, 27
	s_cbranch_scc1 .LBB103_1894
; %bb.1892:
	s_cmp_gt_i32 s11, 27
	s_cbranch_scc0 .LBB103_1895
; %bb.1893:
	global_load_b32 v3, v[24:25], off
	s_mov_b32 s15, 0
	s_wait_loadcnt 0x0
	s_wait_xcnt 0x1
	v_cvt_f64_u32_e32 v[12:13], v3
	s_branch .LBB103_1896
.LBB103_1894:
	s_mov_b32 s15, -1
                                        ; implicit-def: $vgpr12_vgpr13
	s_branch .LBB103_1899
.LBB103_1895:
	s_mov_b32 s15, -1
                                        ; implicit-def: $vgpr12_vgpr13
.LBB103_1896:
	s_delay_alu instid0(SALU_CYCLE_1)
	s_and_not1_b32 vcc_lo, exec_lo, s15
	s_cbranch_vccnz .LBB103_1898
; %bb.1897:
	global_load_u16 v3, v[24:25], off
	s_wait_loadcnt 0x0
	s_wait_xcnt 0x1
	v_cvt_f64_u32_e32 v[12:13], v3
.LBB103_1898:
	s_mov_b32 s15, 0
.LBB103_1899:
	s_delay_alu instid0(SALU_CYCLE_1)
	s_and_not1_b32 vcc_lo, exec_lo, s15
	s_cbranch_vccnz .LBB103_1907
; %bb.1900:
	global_load_u8 v3, v[24:25], off
	s_mov_b32 s15, 0
	s_mov_b32 s16, exec_lo
	s_wait_loadcnt 0x0
	v_cmpx_lt_i16_e32 0x7f, v3
	s_xor_b32 s16, exec_lo, s16
	s_cbranch_execz .LBB103_1921
; %bb.1901:
	s_mov_b32 s15, -1
	s_mov_b32 s17, exec_lo
	v_cmpx_eq_u16_e32 0x80, v3
; %bb.1902:
	s_xor_b32 s15, exec_lo, -1
; %bb.1903:
	s_or_b32 exec_lo, exec_lo, s17
	s_delay_alu instid0(SALU_CYCLE_1)
	s_and_b32 s15, s15, exec_lo
	s_or_saveexec_b32 s16, s16
	v_mov_b64_e32 v[12:13], 0x7ff8000020000000
	s_xor_b32 exec_lo, exec_lo, s16
	s_cbranch_execnz .LBB103_1922
.LBB103_1904:
	s_or_b32 exec_lo, exec_lo, s16
	s_and_saveexec_b32 s16, s15
	s_cbranch_execz .LBB103_1906
.LBB103_1905:
	v_and_b32_e32 v5, 0xffff, v3
	s_delay_alu instid0(VALU_DEP_1) | instskip(SKIP_1) | instid1(VALU_DEP_2)
	v_dual_lshlrev_b32 v3, 24, v3 :: v_dual_bitop2_b32 v7, 7, v5 bitop3:0x40
	v_bfe_u32 v12, v5, 3, 4
	v_and_b32_e32 v3, 0x80000000, v3
	s_delay_alu instid0(VALU_DEP_3) | instskip(NEXT) | instid1(VALU_DEP_3)
	v_clz_i32_u32_e32 v9, v7
	v_cmp_eq_u32_e32 vcc_lo, 0, v12
	s_delay_alu instid0(VALU_DEP_2) | instskip(NEXT) | instid1(VALU_DEP_1)
	v_min_u32_e32 v9, 32, v9
	v_subrev_nc_u32_e32 v11, 28, v9
	v_sub_nc_u32_e32 v9, 29, v9
	s_delay_alu instid0(VALU_DEP_2) | instskip(NEXT) | instid1(VALU_DEP_2)
	v_lshlrev_b32_e32 v5, v11, v5
	v_cndmask_b32_e32 v9, v12, v9, vcc_lo
	s_delay_alu instid0(VALU_DEP_2) | instskip(NEXT) | instid1(VALU_DEP_1)
	v_and_b32_e32 v5, 7, v5
	v_cndmask_b32_e32 v5, v7, v5, vcc_lo
	s_delay_alu instid0(VALU_DEP_3) | instskip(NEXT) | instid1(VALU_DEP_2)
	v_lshl_add_u32 v7, v9, 23, 0x3b800000
	v_lshlrev_b32_e32 v5, 20, v5
	s_delay_alu instid0(VALU_DEP_1) | instskip(NEXT) | instid1(VALU_DEP_1)
	v_or3_b32 v3, v3, v7, v5
	v_cvt_f64_f32_e32 v[12:13], v3
.LBB103_1906:
	s_or_b32 exec_lo, exec_lo, s16
.LBB103_1907:
	s_mov_b32 s15, -1
.LBB103_1908:
	s_mov_b32 s16, 0
.LBB103_1909:
	s_delay_alu instid0(SALU_CYCLE_1)
	s_and_b32 vcc_lo, exec_lo, s16
	s_cbranch_vccz .LBB103_1942
; %bb.1910:
	s_cmp_gt_i32 s11, 22
	s_cbranch_scc0 .LBB103_1920
; %bb.1911:
	s_cmp_lt_i32 s11, 24
	s_cbranch_scc1 .LBB103_1923
; %bb.1912:
	s_cmp_gt_i32 s11, 24
	s_cbranch_scc0 .LBB103_1924
; %bb.1913:
	global_load_u8 v3, v[24:25], off
	s_mov_b32 s15, exec_lo
	s_wait_loadcnt 0x0
	v_cmpx_lt_i16_e32 0x7f, v3
	s_xor_b32 s15, exec_lo, s15
	s_cbranch_execz .LBB103_1936
; %bb.1914:
	s_mov_b32 s14, -1
	s_mov_b32 s16, exec_lo
	v_cmpx_eq_u16_e32 0x80, v3
; %bb.1915:
	s_xor_b32 s14, exec_lo, -1
; %bb.1916:
	s_or_b32 exec_lo, exec_lo, s16
	s_delay_alu instid0(SALU_CYCLE_1)
	s_and_b32 s14, s14, exec_lo
	s_or_saveexec_b32 s15, s15
	v_mov_b64_e32 v[12:13], 0x7ff8000020000000
	s_xor_b32 exec_lo, exec_lo, s15
	s_cbranch_execnz .LBB103_1937
.LBB103_1917:
	s_or_b32 exec_lo, exec_lo, s15
	s_and_saveexec_b32 s15, s14
	s_cbranch_execz .LBB103_1919
.LBB103_1918:
	v_and_b32_e32 v5, 0xffff, v3
	s_delay_alu instid0(VALU_DEP_1) | instskip(SKIP_1) | instid1(VALU_DEP_2)
	v_dual_lshlrev_b32 v3, 24, v3 :: v_dual_bitop2_b32 v7, 3, v5 bitop3:0x40
	v_bfe_u32 v12, v5, 2, 5
	v_and_b32_e32 v3, 0x80000000, v3
	s_delay_alu instid0(VALU_DEP_3) | instskip(NEXT) | instid1(VALU_DEP_3)
	v_clz_i32_u32_e32 v9, v7
	v_cmp_eq_u32_e32 vcc_lo, 0, v12
	s_delay_alu instid0(VALU_DEP_2) | instskip(NEXT) | instid1(VALU_DEP_1)
	v_min_u32_e32 v9, 32, v9
	v_subrev_nc_u32_e32 v11, 29, v9
	v_sub_nc_u32_e32 v9, 30, v9
	s_delay_alu instid0(VALU_DEP_2) | instskip(NEXT) | instid1(VALU_DEP_2)
	v_lshlrev_b32_e32 v5, v11, v5
	v_cndmask_b32_e32 v9, v12, v9, vcc_lo
	s_delay_alu instid0(VALU_DEP_2) | instskip(NEXT) | instid1(VALU_DEP_1)
	v_and_b32_e32 v5, 3, v5
	v_cndmask_b32_e32 v5, v7, v5, vcc_lo
	s_delay_alu instid0(VALU_DEP_3) | instskip(NEXT) | instid1(VALU_DEP_2)
	v_lshl_add_u32 v7, v9, 23, 0x37800000
	v_lshlrev_b32_e32 v5, 21, v5
	s_delay_alu instid0(VALU_DEP_1) | instskip(NEXT) | instid1(VALU_DEP_1)
	v_or3_b32 v3, v3, v7, v5
	v_cvt_f64_f32_e32 v[12:13], v3
.LBB103_1919:
	s_or_b32 exec_lo, exec_lo, s15
	s_mov_b32 s14, 0
	s_branch .LBB103_1925
.LBB103_1920:
	s_mov_b32 s14, -1
                                        ; implicit-def: $vgpr12_vgpr13
	s_branch .LBB103_1931
.LBB103_1921:
	s_or_saveexec_b32 s16, s16
	v_mov_b64_e32 v[12:13], 0x7ff8000020000000
	s_xor_b32 exec_lo, exec_lo, s16
	s_cbranch_execz .LBB103_1904
.LBB103_1922:
	v_cmp_ne_u16_e32 vcc_lo, 0, v3
	v_mov_b64_e32 v[12:13], 0
	s_and_not1_b32 s15, s15, exec_lo
	s_and_b32 s17, vcc_lo, exec_lo
	s_delay_alu instid0(SALU_CYCLE_1)
	s_or_b32 s15, s15, s17
	s_or_b32 exec_lo, exec_lo, s16
	s_and_saveexec_b32 s16, s15
	s_cbranch_execnz .LBB103_1905
	s_branch .LBB103_1906
.LBB103_1923:
	s_mov_b32 s14, -1
                                        ; implicit-def: $vgpr12_vgpr13
	s_branch .LBB103_1928
.LBB103_1924:
	s_mov_b32 s14, -1
                                        ; implicit-def: $vgpr12_vgpr13
.LBB103_1925:
	s_delay_alu instid0(SALU_CYCLE_1)
	s_and_b32 vcc_lo, exec_lo, s14
	s_cbranch_vccz .LBB103_1927
; %bb.1926:
	global_load_u8 v3, v[24:25], off
	s_wait_loadcnt 0x0
	v_lshlrev_b32_e32 v3, 24, v3
	s_delay_alu instid0(VALU_DEP_1) | instskip(NEXT) | instid1(VALU_DEP_1)
	v_and_b32_e32 v5, 0x7f000000, v3
	v_clz_i32_u32_e32 v7, v5
	v_add_nc_u32_e32 v11, 0x1000000, v5
	v_cmp_ne_u32_e32 vcc_lo, 0, v5
	s_delay_alu instid0(VALU_DEP_3) | instskip(NEXT) | instid1(VALU_DEP_1)
	v_min_u32_e32 v7, 32, v7
	v_sub_nc_u32_e64 v7, v7, 4 clamp
	s_delay_alu instid0(VALU_DEP_1) | instskip(NEXT) | instid1(VALU_DEP_1)
	v_dual_lshlrev_b32 v9, v7, v5 :: v_dual_lshlrev_b32 v7, 23, v7
	v_lshrrev_b32_e32 v9, 4, v9
	s_delay_alu instid0(VALU_DEP_1) | instskip(SKIP_1) | instid1(VALU_DEP_2)
	v_sub_nc_u32_e32 v7, v9, v7
	v_ashrrev_i32_e32 v9, 8, v11
	v_add_nc_u32_e32 v7, 0x3c000000, v7
	s_delay_alu instid0(VALU_DEP_1) | instskip(NEXT) | instid1(VALU_DEP_1)
	v_and_or_b32 v7, 0x7f800000, v9, v7
	v_cndmask_b32_e32 v5, 0, v7, vcc_lo
	s_delay_alu instid0(VALU_DEP_1) | instskip(SKIP_1) | instid1(VALU_DEP_1)
	v_and_or_b32 v3, 0x80000000, v3, v5
	s_wait_xcnt 0x1
	v_cvt_f64_f32_e32 v[12:13], v3
.LBB103_1927:
	s_mov_b32 s14, 0
.LBB103_1928:
	s_delay_alu instid0(SALU_CYCLE_1)
	s_and_not1_b32 vcc_lo, exec_lo, s14
	s_cbranch_vccnz .LBB103_1930
; %bb.1929:
	global_load_u8 v3, v[24:25], off
	s_wait_loadcnt 0x0
	v_lshlrev_b32_e32 v5, 25, v3
	v_lshlrev_b16 v3, 8, v3
	s_delay_alu instid0(VALU_DEP_1) | instskip(SKIP_1) | instid1(VALU_DEP_2)
	v_and_or_b32 v9, 0x7f00, v3, 0.5
	v_bfe_i32 v3, v3, 0, 16
	v_add_f32_e32 v9, -0.5, v9
	v_lshrrev_b32_e32 v7, 4, v5
	v_cmp_gt_u32_e32 vcc_lo, 0x8000000, v5
	s_delay_alu instid0(VALU_DEP_2) | instskip(NEXT) | instid1(VALU_DEP_1)
	v_or_b32_e32 v7, 0x70000000, v7
	v_mul_f32_e32 v7, 0x7800000, v7
	s_delay_alu instid0(VALU_DEP_1) | instskip(NEXT) | instid1(VALU_DEP_1)
	v_cndmask_b32_e32 v5, v7, v9, vcc_lo
	v_and_or_b32 v3, 0x80000000, v3, v5
	s_wait_xcnt 0x1
	s_delay_alu instid0(VALU_DEP_1)
	v_cvt_f64_f32_e32 v[12:13], v3
.LBB103_1930:
	s_mov_b32 s14, 0
	s_mov_b32 s15, -1
.LBB103_1931:
	s_and_not1_b32 vcc_lo, exec_lo, s14
	s_mov_b32 s14, 0
	s_cbranch_vccnz .LBB103_1942
; %bb.1932:
	s_cmp_gt_i32 s11, 14
	s_cbranch_scc0 .LBB103_1935
; %bb.1933:
	s_cmp_eq_u32 s11, 15
	s_cbranch_scc0 .LBB103_1938
; %bb.1934:
	global_load_u16 v3, v[24:25], off
	s_mov_b32 s13, 0
	s_mov_b32 s15, -1
	s_wait_loadcnt 0x0
	v_lshlrev_b32_e32 v3, 16, v3
	s_wait_xcnt 0x1
	s_delay_alu instid0(VALU_DEP_1)
	v_cvt_f64_f32_e32 v[12:13], v3
	s_branch .LBB103_1940
.LBB103_1935:
	s_mov_b32 s14, -1
	s_branch .LBB103_1939
.LBB103_1936:
	s_or_saveexec_b32 s15, s15
	v_mov_b64_e32 v[12:13], 0x7ff8000020000000
	s_xor_b32 exec_lo, exec_lo, s15
	s_cbranch_execz .LBB103_1917
.LBB103_1937:
	v_cmp_ne_u16_e32 vcc_lo, 0, v3
	v_mov_b64_e32 v[12:13], 0
	s_and_not1_b32 s14, s14, exec_lo
	s_and_b32 s16, vcc_lo, exec_lo
	s_delay_alu instid0(SALU_CYCLE_1)
	s_or_b32 s14, s14, s16
	s_or_b32 exec_lo, exec_lo, s15
	s_and_saveexec_b32 s15, s14
	s_cbranch_execnz .LBB103_1918
	s_branch .LBB103_1919
.LBB103_1938:
	s_mov_b32 s13, -1
.LBB103_1939:
                                        ; implicit-def: $vgpr12_vgpr13
.LBB103_1940:
	s_and_b32 vcc_lo, exec_lo, s14
	s_mov_b32 s14, 0
	s_cbranch_vccz .LBB103_1942
; %bb.1941:
	s_cmp_lg_u32 s11, 11
	s_mov_b32 s14, -1
	s_cselect_b32 s13, -1, 0
.LBB103_1942:
	s_delay_alu instid0(SALU_CYCLE_1)
	s_and_b32 vcc_lo, exec_lo, s13
	s_cbranch_vccnz .LBB103_2024
; %bb.1943:
	s_and_not1_b32 vcc_lo, exec_lo, s14
	s_cbranch_vccnz .LBB103_1945
.LBB103_1944:
	global_load_u8 v3, v[24:25], off
	v_mov_b32_e32 v12, 0
	s_mov_b32 s15, -1
	s_wait_loadcnt 0x0
	v_cmp_ne_u16_e32 vcc_lo, 0, v3
	s_wait_xcnt 0x1
	v_cndmask_b32_e64 v13, 0, 0x3ff00000, vcc_lo
.LBB103_1945:
	s_branch .LBB103_1872
.LBB103_1946:
	s_and_b32 s11, 0xffff, s12
	s_delay_alu instid0(SALU_CYCLE_1)
	s_cmp_lt_i32 s11, 5
	s_cbranch_scc1 .LBB103_1951
; %bb.1947:
	s_cmp_lt_i32 s11, 8
	s_cbranch_scc1 .LBB103_1952
; %bb.1948:
	;; [unrolled: 3-line block ×3, first 2 shown]
	s_cmp_gt_i32 s11, 9
	s_cbranch_scc0 .LBB103_1954
; %bb.1950:
	global_load_b64 v[12:13], v[24:25], off
	s_mov_b32 s13, 0
	s_branch .LBB103_1955
.LBB103_1951:
	s_mov_b32 s13, -1
                                        ; implicit-def: $vgpr12_vgpr13
	s_branch .LBB103_1973
.LBB103_1952:
	s_mov_b32 s13, -1
                                        ; implicit-def: $vgpr12_vgpr13
	s_branch .LBB103_1961
.LBB103_1953:
	s_mov_b32 s13, -1
                                        ; implicit-def: $vgpr12_vgpr13
	s_branch .LBB103_1958
.LBB103_1954:
	s_mov_b32 s13, -1
                                        ; implicit-def: $vgpr12_vgpr13
.LBB103_1955:
	s_delay_alu instid0(SALU_CYCLE_1)
	s_and_not1_b32 vcc_lo, exec_lo, s13
	s_cbranch_vccnz .LBB103_1957
; %bb.1956:
	global_load_b32 v3, v[24:25], off
	s_wait_loadcnt 0x0
	s_wait_xcnt 0x1
	v_cvt_f64_f32_e32 v[12:13], v3
.LBB103_1957:
	s_mov_b32 s13, 0
.LBB103_1958:
	s_delay_alu instid0(SALU_CYCLE_1)
	s_and_not1_b32 vcc_lo, exec_lo, s13
	s_cbranch_vccnz .LBB103_1960
; %bb.1959:
	global_load_b32 v3, v[24:25], off
	s_wait_loadcnt 0x0
	v_cvt_f32_f16_e32 v3, v3
	s_wait_xcnt 0x1
	s_delay_alu instid0(VALU_DEP_1)
	v_cvt_f64_f32_e32 v[12:13], v3
.LBB103_1960:
	s_mov_b32 s13, 0
.LBB103_1961:
	s_delay_alu instid0(SALU_CYCLE_1)
	s_and_not1_b32 vcc_lo, exec_lo, s13
	s_cbranch_vccnz .LBB103_1972
; %bb.1962:
	s_cmp_lt_i32 s11, 6
	s_cbranch_scc1 .LBB103_1965
; %bb.1963:
	s_cmp_gt_i32 s11, 6
	s_cbranch_scc0 .LBB103_1966
; %bb.1964:
	s_wait_loadcnt 0x0
	global_load_b64 v[12:13], v[24:25], off
	s_mov_b32 s13, 0
	s_branch .LBB103_1967
.LBB103_1965:
	s_mov_b32 s13, -1
                                        ; implicit-def: $vgpr12_vgpr13
	s_branch .LBB103_1970
.LBB103_1966:
	s_mov_b32 s13, -1
                                        ; implicit-def: $vgpr12_vgpr13
.LBB103_1967:
	s_delay_alu instid0(SALU_CYCLE_1)
	s_and_not1_b32 vcc_lo, exec_lo, s13
	s_cbranch_vccnz .LBB103_1969
; %bb.1968:
	global_load_b32 v3, v[24:25], off
	s_wait_loadcnt 0x0
	s_wait_xcnt 0x1
	v_cvt_f64_f32_e32 v[12:13], v3
.LBB103_1969:
	s_mov_b32 s13, 0
.LBB103_1970:
	s_delay_alu instid0(SALU_CYCLE_1)
	s_and_not1_b32 vcc_lo, exec_lo, s13
	s_cbranch_vccnz .LBB103_1972
; %bb.1971:
	global_load_u16 v3, v[24:25], off
	s_wait_loadcnt 0x0
	v_cvt_f32_f16_e32 v3, v3
	s_wait_xcnt 0x1
	s_delay_alu instid0(VALU_DEP_1)
	v_cvt_f64_f32_e32 v[12:13], v3
.LBB103_1972:
	s_mov_b32 s13, 0
.LBB103_1973:
	s_delay_alu instid0(SALU_CYCLE_1)
	s_and_not1_b32 vcc_lo, exec_lo, s13
	s_cbranch_vccnz .LBB103_1993
; %bb.1974:
	s_cmp_lt_i32 s11, 2
	s_cbranch_scc1 .LBB103_1978
; %bb.1975:
	s_cmp_lt_i32 s11, 3
	s_cbranch_scc1 .LBB103_1979
; %bb.1976:
	s_cmp_gt_i32 s11, 3
	s_cbranch_scc0 .LBB103_1980
; %bb.1977:
	s_wait_loadcnt 0x0
	global_load_b64 v[12:13], v[24:25], off
	s_mov_b32 s13, 0
	s_wait_loadcnt 0x0
	v_cvt_f64_i32_e32 v[26:27], v13
	v_cvt_f64_u32_e32 v[12:13], v12
	s_delay_alu instid0(VALU_DEP_2) | instskip(NEXT) | instid1(VALU_DEP_1)
	v_ldexp_f64 v[26:27], v[26:27], 32
	v_add_f64_e32 v[12:13], v[26:27], v[12:13]
	s_branch .LBB103_1981
.LBB103_1978:
	s_mov_b32 s13, -1
                                        ; implicit-def: $vgpr12_vgpr13
	s_branch .LBB103_1987
.LBB103_1979:
	s_mov_b32 s13, -1
                                        ; implicit-def: $vgpr12_vgpr13
	s_branch .LBB103_1984
.LBB103_1980:
	s_mov_b32 s13, -1
                                        ; implicit-def: $vgpr12_vgpr13
.LBB103_1981:
	s_delay_alu instid0(SALU_CYCLE_1)
	s_and_not1_b32 vcc_lo, exec_lo, s13
	s_cbranch_vccnz .LBB103_1983
; %bb.1982:
	global_load_b32 v3, v[24:25], off
	s_wait_loadcnt 0x0
	s_wait_xcnt 0x1
	v_cvt_f64_i32_e32 v[12:13], v3
.LBB103_1983:
	s_mov_b32 s13, 0
.LBB103_1984:
	s_delay_alu instid0(SALU_CYCLE_1)
	s_and_not1_b32 vcc_lo, exec_lo, s13
	s_cbranch_vccnz .LBB103_1986
; %bb.1985:
	global_load_i16 v3, v[24:25], off
	s_wait_loadcnt 0x0
	s_wait_xcnt 0x1
	v_cvt_f64_i32_e32 v[12:13], v3
.LBB103_1986:
	s_mov_b32 s13, 0
.LBB103_1987:
	s_delay_alu instid0(SALU_CYCLE_1)
	s_and_not1_b32 vcc_lo, exec_lo, s13
	s_cbranch_vccnz .LBB103_1993
; %bb.1988:
	s_cmp_gt_i32 s11, 0
	s_mov_b32 s11, 0
	s_cbranch_scc0 .LBB103_1990
; %bb.1989:
	global_load_i8 v3, v[24:25], off
	s_wait_loadcnt 0x0
	s_wait_xcnt 0x1
	v_cvt_f64_i32_e32 v[12:13], v3
	s_branch .LBB103_1991
.LBB103_1990:
	s_mov_b32 s11, -1
                                        ; implicit-def: $vgpr12_vgpr13
.LBB103_1991:
	s_delay_alu instid0(SALU_CYCLE_1)
	s_and_not1_b32 vcc_lo, exec_lo, s11
	s_cbranch_vccnz .LBB103_1993
; %bb.1992:
	global_load_u8 v3, v[24:25], off
	s_wait_loadcnt 0x0
	s_wait_xcnt 0x1
	v_cvt_f64_u32_e32 v[12:13], v3
.LBB103_1993:
.LBB103_1994:
	s_and_b32 s11, 0xffff, s6
	s_delay_alu instid0(SALU_CYCLE_1)
	s_cmp_lt_i32 s11, 23
	s_cbranch_scc1 .LBB103_1998
; %bb.1995:
	s_cmp_gt_i32 s11, 43
	s_cbranch_scc0 .LBB103_1999
; %bb.1996:
	s_cmp_gt_i32 s11, 45
	s_cbranch_scc0 .LBB103_2000
; %bb.1997:
	s_cmp_lg_u32 s11, 46
	s_mov_b32 s14, 0
	s_mov_b32 s6, -1
	s_cselect_b32 s13, -1, 0
	s_branch .LBB103_2001
.LBB103_1998:
	s_mov_b32 s14, -1
	s_mov_b32 s6, 0
	s_mov_b32 s13, 0
	s_branch .LBB103_2007
.LBB103_1999:
	s_mov_b32 s14, -1
	s_mov_b32 s6, 0
	s_mov_b32 s13, 0
	s_branch .LBB103_2004
.LBB103_2000:
	s_mov_b32 s14, -1
	s_mov_b32 s6, 0
	s_mov_b32 s13, 0
.LBB103_2001:
	s_and_not1_b32 vcc_lo, exec_lo, s14
	s_cbranch_vccnz .LBB103_2003
; %bb.2002:
	s_cmp_eq_u32 s11, 44
	s_cselect_b32 s6, -1, 0
	s_cmp_lg_u32 s11, 44
	s_cselect_b32 s13, -1, 0
.LBB103_2003:
	s_mov_b32 s14, 0
.LBB103_2004:
	s_delay_alu instid0(SALU_CYCLE_1)
	s_and_b32 vcc_lo, exec_lo, s14
	s_cbranch_vccz .LBB103_2006
; %bb.2005:
	s_cmp_lt_i32 s11, 30
	s_cselect_b32 s6, -1, 0
	s_cmp_gt_i32 s11, 29
	s_cselect_b32 s13, -1, 0
.LBB103_2006:
	s_mov_b32 s14, 0
.LBB103_2007:
	s_delay_alu instid0(SALU_CYCLE_1)
	s_and_b32 vcc_lo, exec_lo, s14
	s_cbranch_vccz .LBB103_2012
; %bb.2008:
	s_cmp_gt_i32 s11, 14
	s_mov_b32 s14, -1
	s_cbranch_scc0 .LBB103_2010
; %bb.2009:
	s_cmp_eq_u32 s11, 15
	s_mov_b32 s14, 0
	s_cselect_b32 s6, -1, 0
	s_cmp_lg_u32 s11, 15
	s_cselect_b32 s13, -1, 0
.LBB103_2010:
	s_and_not1_b32 vcc_lo, exec_lo, s14
	s_cbranch_vccnz .LBB103_2012
; %bb.2011:
	s_cmp_lt_i32 s11, 12
	s_cselect_b32 s6, -1, 0
	s_cmp_gt_i32 s11, 11
	s_cselect_b32 s13, -1, 0
.LBB103_2012:
	s_delay_alu instid0(SALU_CYCLE_1)
	s_and_b32 vcc_lo, exec_lo, s13
	s_cbranch_vccnz .LBB103_2025
; %bb.2013:
	s_and_not1_b32 vcc_lo, exec_lo, s6
	s_cbranch_vccnz .LBB103_3280
.LBB103_2014:
	v_mov_b32_e32 v15, 0
	s_and_b32 s6, 0xffff, s10
	s_delay_alu instid0(SALU_CYCLE_1) | instskip(SKIP_1) | instid1(VALU_DEP_1)
	s_cmp_lt_i32 s6, 11
	s_wait_xcnt 0x0
	v_add_nc_u64_e32 v[24:25], s[0:1], v[14:15]
	s_cbranch_scc1 .LBB103_2021
; %bb.2015:
	s_cmp_gt_i32 s6, 25
	s_mov_b32 s13, 0
	s_cbranch_scc0 .LBB103_2022
; %bb.2016:
	s_cmp_gt_i32 s6, 28
	s_cbranch_scc0 .LBB103_2023
; %bb.2017:
	s_cmp_gt_i32 s6, 43
	;; [unrolled: 3-line block ×3, first 2 shown]
	s_cbranch_scc0 .LBB103_2027
; %bb.2019:
	s_cmp_eq_u32 s6, 46
	s_mov_b32 s15, 0
	s_cbranch_scc0 .LBB103_2028
; %bb.2020:
	global_load_b32 v3, v[24:25], off
	s_mov_b32 s10, 0
	s_mov_b32 s14, -1
	s_wait_loadcnt 0x0
	v_lshlrev_b32_e32 v3, 16, v3
	s_delay_alu instid0(VALU_DEP_1)
	v_cvt_f64_f32_e32 v[14:15], v3
	s_branch .LBB103_2030
.LBB103_2021:
	s_mov_b32 s10, -1
	s_mov_b32 s14, 0
                                        ; implicit-def: $vgpr14_vgpr15
	s_branch .LBB103_2096
.LBB103_2022:
	s_mov_b32 s15, -1
	s_mov_b32 s14, 0
	s_mov_b32 s10, 0
                                        ; implicit-def: $vgpr14_vgpr15
	s_branch .LBB103_2059
.LBB103_2023:
	s_mov_b32 s15, -1
	s_mov_b32 s14, 0
	s_mov_b32 s10, 0
                                        ; implicit-def: $vgpr14_vgpr15
	s_branch .LBB103_2040
.LBB103_2024:
	s_or_b32 s9, s9, exec_lo
	s_trap 2
	s_cbranch_execz .LBB103_1944
	s_branch .LBB103_1945
.LBB103_2025:
	s_or_b32 s9, s9, exec_lo
	s_trap 2
	s_cbranch_execz .LBB103_2014
	s_branch .LBB103_3280
.LBB103_2026:
	s_mov_b32 s15, -1
	s_mov_b32 s14, 0
	s_mov_b32 s10, 0
                                        ; implicit-def: $vgpr14_vgpr15
	s_branch .LBB103_2035
.LBB103_2027:
	s_mov_b32 s15, -1
	s_mov_b32 s14, 0
	s_mov_b32 s10, 0
	s_branch .LBB103_2029
.LBB103_2028:
	s_mov_b32 s10, -1
	s_mov_b32 s14, 0
.LBB103_2029:
                                        ; implicit-def: $vgpr14_vgpr15
.LBB103_2030:
	s_and_b32 vcc_lo, exec_lo, s15
	s_cbranch_vccz .LBB103_2034
; %bb.2031:
	s_cmp_eq_u32 s6, 44
	s_cbranch_scc0 .LBB103_2033
; %bb.2032:
	global_load_u8 v3, v[24:25], off
	s_mov_b32 s10, 0
	s_mov_b32 s14, -1
	s_wait_loadcnt 0x0
	v_lshlrev_b32_e32 v5, 23, v3
	v_cmp_ne_u32_e32 vcc_lo, 0xff, v3
	s_delay_alu instid0(VALU_DEP_2) | instskip(NEXT) | instid1(VALU_DEP_1)
	v_cvt_f64_f32_e32 v[14:15], v5
	v_cndmask_b32_e32 v5, 0x20000000, v14, vcc_lo
	s_delay_alu instid0(VALU_DEP_2) | instskip(SKIP_1) | instid1(VALU_DEP_2)
	v_cndmask_b32_e32 v7, 0x7ff80000, v15, vcc_lo
	v_cmp_ne_u32_e32 vcc_lo, 0, v3
	v_cndmask_b32_e32 v15, 0x38000000, v7, vcc_lo
	s_delay_alu instid0(VALU_DEP_4)
	v_cndmask_b32_e32 v14, 0, v5, vcc_lo
	s_branch .LBB103_2034
.LBB103_2033:
	s_mov_b32 s10, -1
                                        ; implicit-def: $vgpr14_vgpr15
.LBB103_2034:
	s_mov_b32 s15, 0
.LBB103_2035:
	s_delay_alu instid0(SALU_CYCLE_1)
	s_and_b32 vcc_lo, exec_lo, s15
	s_cbranch_vccz .LBB103_2039
; %bb.2036:
	s_cmp_eq_u32 s6, 29
	s_cbranch_scc0 .LBB103_2038
; %bb.2037:
	global_load_b64 v[14:15], v[24:25], off
	s_mov_b32 s10, 0
	s_mov_b32 s14, -1
	s_mov_b32 s15, 0
	s_wait_loadcnt 0x0
	v_cvt_f64_u32_e32 v[26:27], v15
	v_cvt_f64_u32_e32 v[14:15], v14
	s_delay_alu instid0(VALU_DEP_2) | instskip(NEXT) | instid1(VALU_DEP_1)
	v_ldexp_f64 v[26:27], v[26:27], 32
	v_add_f64_e32 v[14:15], v[26:27], v[14:15]
	s_branch .LBB103_2040
.LBB103_2038:
	s_mov_b32 s10, -1
                                        ; implicit-def: $vgpr14_vgpr15
.LBB103_2039:
	s_mov_b32 s15, 0
.LBB103_2040:
	s_delay_alu instid0(SALU_CYCLE_1)
	s_and_b32 vcc_lo, exec_lo, s15
	s_cbranch_vccz .LBB103_2058
; %bb.2041:
	s_cmp_lt_i32 s6, 27
	s_cbranch_scc1 .LBB103_2044
; %bb.2042:
	s_cmp_gt_i32 s6, 27
	s_cbranch_scc0 .LBB103_2045
; %bb.2043:
	global_load_b32 v3, v[24:25], off
	s_mov_b32 s14, 0
	s_wait_loadcnt 0x0
	v_cvt_f64_u32_e32 v[14:15], v3
	s_branch .LBB103_2046
.LBB103_2044:
	s_mov_b32 s14, -1
                                        ; implicit-def: $vgpr14_vgpr15
	s_branch .LBB103_2049
.LBB103_2045:
	s_mov_b32 s14, -1
                                        ; implicit-def: $vgpr14_vgpr15
.LBB103_2046:
	s_delay_alu instid0(SALU_CYCLE_1)
	s_and_not1_b32 vcc_lo, exec_lo, s14
	s_cbranch_vccnz .LBB103_2048
; %bb.2047:
	global_load_u16 v3, v[24:25], off
	s_wait_loadcnt 0x0
	v_cvt_f64_u32_e32 v[14:15], v3
.LBB103_2048:
	s_mov_b32 s14, 0
.LBB103_2049:
	s_delay_alu instid0(SALU_CYCLE_1)
	s_and_not1_b32 vcc_lo, exec_lo, s14
	s_cbranch_vccnz .LBB103_2057
; %bb.2050:
	global_load_u8 v3, v[24:25], off
	s_mov_b32 s14, 0
	s_mov_b32 s15, exec_lo
	s_wait_loadcnt 0x0
	v_cmpx_lt_i16_e32 0x7f, v3
	s_xor_b32 s15, exec_lo, s15
	s_cbranch_execz .LBB103_2071
; %bb.2051:
	s_mov_b32 s14, -1
	s_mov_b32 s16, exec_lo
	v_cmpx_eq_u16_e32 0x80, v3
; %bb.2052:
	s_xor_b32 s14, exec_lo, -1
; %bb.2053:
	s_or_b32 exec_lo, exec_lo, s16
	s_delay_alu instid0(SALU_CYCLE_1)
	s_and_b32 s14, s14, exec_lo
	s_or_saveexec_b32 s15, s15
	v_mov_b64_e32 v[14:15], 0x7ff8000020000000
	s_xor_b32 exec_lo, exec_lo, s15
	s_cbranch_execnz .LBB103_2072
.LBB103_2054:
	s_or_b32 exec_lo, exec_lo, s15
	s_and_saveexec_b32 s15, s14
	s_cbranch_execz .LBB103_2056
.LBB103_2055:
	v_and_b32_e32 v5, 0xffff, v3
	s_delay_alu instid0(VALU_DEP_1) | instskip(SKIP_1) | instid1(VALU_DEP_2)
	v_dual_lshlrev_b32 v3, 24, v3 :: v_dual_bitop2_b32 v7, 7, v5 bitop3:0x40
	v_bfe_u32 v14, v5, 3, 4
	v_and_b32_e32 v3, 0x80000000, v3
	s_delay_alu instid0(VALU_DEP_3) | instskip(NEXT) | instid1(VALU_DEP_3)
	v_clz_i32_u32_e32 v9, v7
	v_cmp_eq_u32_e32 vcc_lo, 0, v14
	s_delay_alu instid0(VALU_DEP_2) | instskip(NEXT) | instid1(VALU_DEP_1)
	v_min_u32_e32 v9, 32, v9
	v_subrev_nc_u32_e32 v11, 28, v9
	v_sub_nc_u32_e32 v9, 29, v9
	s_delay_alu instid0(VALU_DEP_2) | instskip(NEXT) | instid1(VALU_DEP_2)
	v_lshlrev_b32_e32 v5, v11, v5
	v_cndmask_b32_e32 v9, v14, v9, vcc_lo
	s_delay_alu instid0(VALU_DEP_2) | instskip(NEXT) | instid1(VALU_DEP_1)
	v_and_b32_e32 v5, 7, v5
	v_cndmask_b32_e32 v5, v7, v5, vcc_lo
	s_delay_alu instid0(VALU_DEP_3) | instskip(NEXT) | instid1(VALU_DEP_2)
	v_lshl_add_u32 v7, v9, 23, 0x3b800000
	v_lshlrev_b32_e32 v5, 20, v5
	s_delay_alu instid0(VALU_DEP_1) | instskip(NEXT) | instid1(VALU_DEP_1)
	v_or3_b32 v3, v3, v7, v5
	v_cvt_f64_f32_e32 v[14:15], v3
.LBB103_2056:
	s_or_b32 exec_lo, exec_lo, s15
.LBB103_2057:
	s_mov_b32 s14, -1
.LBB103_2058:
	s_mov_b32 s15, 0
.LBB103_2059:
	s_delay_alu instid0(SALU_CYCLE_1)
	s_and_b32 vcc_lo, exec_lo, s15
	s_cbranch_vccz .LBB103_2092
; %bb.2060:
	s_cmp_gt_i32 s6, 22
	s_cbranch_scc0 .LBB103_2070
; %bb.2061:
	s_cmp_lt_i32 s6, 24
	s_cbranch_scc1 .LBB103_2073
; %bb.2062:
	s_cmp_gt_i32 s6, 24
	s_cbranch_scc0 .LBB103_2074
; %bb.2063:
	global_load_u8 v3, v[24:25], off
	s_mov_b32 s14, exec_lo
	s_wait_loadcnt 0x0
	v_cmpx_lt_i16_e32 0x7f, v3
	s_xor_b32 s14, exec_lo, s14
	s_cbranch_execz .LBB103_2086
; %bb.2064:
	s_mov_b32 s13, -1
	s_mov_b32 s15, exec_lo
	v_cmpx_eq_u16_e32 0x80, v3
; %bb.2065:
	s_xor_b32 s13, exec_lo, -1
; %bb.2066:
	s_or_b32 exec_lo, exec_lo, s15
	s_delay_alu instid0(SALU_CYCLE_1)
	s_and_b32 s13, s13, exec_lo
	s_or_saveexec_b32 s14, s14
	v_mov_b64_e32 v[14:15], 0x7ff8000020000000
	s_xor_b32 exec_lo, exec_lo, s14
	s_cbranch_execnz .LBB103_2087
.LBB103_2067:
	s_or_b32 exec_lo, exec_lo, s14
	s_and_saveexec_b32 s14, s13
	s_cbranch_execz .LBB103_2069
.LBB103_2068:
	v_and_b32_e32 v5, 0xffff, v3
	s_delay_alu instid0(VALU_DEP_1) | instskip(SKIP_1) | instid1(VALU_DEP_2)
	v_dual_lshlrev_b32 v3, 24, v3 :: v_dual_bitop2_b32 v7, 3, v5 bitop3:0x40
	v_bfe_u32 v14, v5, 2, 5
	v_and_b32_e32 v3, 0x80000000, v3
	s_delay_alu instid0(VALU_DEP_3) | instskip(NEXT) | instid1(VALU_DEP_3)
	v_clz_i32_u32_e32 v9, v7
	v_cmp_eq_u32_e32 vcc_lo, 0, v14
	s_delay_alu instid0(VALU_DEP_2) | instskip(NEXT) | instid1(VALU_DEP_1)
	v_min_u32_e32 v9, 32, v9
	v_subrev_nc_u32_e32 v11, 29, v9
	v_sub_nc_u32_e32 v9, 30, v9
	s_delay_alu instid0(VALU_DEP_2) | instskip(NEXT) | instid1(VALU_DEP_2)
	v_lshlrev_b32_e32 v5, v11, v5
	v_cndmask_b32_e32 v9, v14, v9, vcc_lo
	s_delay_alu instid0(VALU_DEP_2) | instskip(NEXT) | instid1(VALU_DEP_1)
	v_and_b32_e32 v5, 3, v5
	v_cndmask_b32_e32 v5, v7, v5, vcc_lo
	s_delay_alu instid0(VALU_DEP_3) | instskip(NEXT) | instid1(VALU_DEP_2)
	v_lshl_add_u32 v7, v9, 23, 0x37800000
	v_lshlrev_b32_e32 v5, 21, v5
	s_delay_alu instid0(VALU_DEP_1) | instskip(NEXT) | instid1(VALU_DEP_1)
	v_or3_b32 v3, v3, v7, v5
	v_cvt_f64_f32_e32 v[14:15], v3
.LBB103_2069:
	s_or_b32 exec_lo, exec_lo, s14
	s_mov_b32 s13, 0
	s_branch .LBB103_2075
.LBB103_2070:
	s_mov_b32 s13, -1
                                        ; implicit-def: $vgpr14_vgpr15
	s_branch .LBB103_2081
.LBB103_2071:
	s_or_saveexec_b32 s15, s15
	v_mov_b64_e32 v[14:15], 0x7ff8000020000000
	s_xor_b32 exec_lo, exec_lo, s15
	s_cbranch_execz .LBB103_2054
.LBB103_2072:
	v_cmp_ne_u16_e32 vcc_lo, 0, v3
	v_mov_b64_e32 v[14:15], 0
	s_and_not1_b32 s14, s14, exec_lo
	s_and_b32 s16, vcc_lo, exec_lo
	s_delay_alu instid0(SALU_CYCLE_1)
	s_or_b32 s14, s14, s16
	s_or_b32 exec_lo, exec_lo, s15
	s_and_saveexec_b32 s15, s14
	s_cbranch_execnz .LBB103_2055
	s_branch .LBB103_2056
.LBB103_2073:
	s_mov_b32 s13, -1
                                        ; implicit-def: $vgpr14_vgpr15
	s_branch .LBB103_2078
.LBB103_2074:
	s_mov_b32 s13, -1
                                        ; implicit-def: $vgpr14_vgpr15
.LBB103_2075:
	s_delay_alu instid0(SALU_CYCLE_1)
	s_and_b32 vcc_lo, exec_lo, s13
	s_cbranch_vccz .LBB103_2077
; %bb.2076:
	global_load_u8 v3, v[24:25], off
	s_wait_loadcnt 0x0
	v_lshlrev_b32_e32 v3, 24, v3
	s_delay_alu instid0(VALU_DEP_1) | instskip(NEXT) | instid1(VALU_DEP_1)
	v_and_b32_e32 v5, 0x7f000000, v3
	v_clz_i32_u32_e32 v7, v5
	v_add_nc_u32_e32 v11, 0x1000000, v5
	v_cmp_ne_u32_e32 vcc_lo, 0, v5
	s_delay_alu instid0(VALU_DEP_3) | instskip(NEXT) | instid1(VALU_DEP_1)
	v_min_u32_e32 v7, 32, v7
	v_sub_nc_u32_e64 v7, v7, 4 clamp
	s_delay_alu instid0(VALU_DEP_1) | instskip(NEXT) | instid1(VALU_DEP_1)
	v_dual_lshlrev_b32 v9, v7, v5 :: v_dual_lshlrev_b32 v7, 23, v7
	v_lshrrev_b32_e32 v9, 4, v9
	s_delay_alu instid0(VALU_DEP_1) | instskip(SKIP_1) | instid1(VALU_DEP_2)
	v_sub_nc_u32_e32 v7, v9, v7
	v_ashrrev_i32_e32 v9, 8, v11
	v_add_nc_u32_e32 v7, 0x3c000000, v7
	s_delay_alu instid0(VALU_DEP_1) | instskip(NEXT) | instid1(VALU_DEP_1)
	v_and_or_b32 v7, 0x7f800000, v9, v7
	v_cndmask_b32_e32 v5, 0, v7, vcc_lo
	s_delay_alu instid0(VALU_DEP_1) | instskip(NEXT) | instid1(VALU_DEP_1)
	v_and_or_b32 v3, 0x80000000, v3, v5
	v_cvt_f64_f32_e32 v[14:15], v3
.LBB103_2077:
	s_mov_b32 s13, 0
.LBB103_2078:
	s_delay_alu instid0(SALU_CYCLE_1)
	s_and_not1_b32 vcc_lo, exec_lo, s13
	s_cbranch_vccnz .LBB103_2080
; %bb.2079:
	global_load_u8 v3, v[24:25], off
	s_wait_loadcnt 0x0
	v_lshlrev_b32_e32 v5, 25, v3
	v_lshlrev_b16 v3, 8, v3
	s_delay_alu instid0(VALU_DEP_1) | instskip(SKIP_1) | instid1(VALU_DEP_2)
	v_and_or_b32 v9, 0x7f00, v3, 0.5
	v_bfe_i32 v3, v3, 0, 16
	v_add_f32_e32 v9, -0.5, v9
	v_lshrrev_b32_e32 v7, 4, v5
	v_cmp_gt_u32_e32 vcc_lo, 0x8000000, v5
	s_delay_alu instid0(VALU_DEP_2) | instskip(NEXT) | instid1(VALU_DEP_1)
	v_or_b32_e32 v7, 0x70000000, v7
	v_mul_f32_e32 v7, 0x7800000, v7
	s_delay_alu instid0(VALU_DEP_1) | instskip(NEXT) | instid1(VALU_DEP_1)
	v_cndmask_b32_e32 v5, v7, v9, vcc_lo
	v_and_or_b32 v3, 0x80000000, v3, v5
	s_delay_alu instid0(VALU_DEP_1)
	v_cvt_f64_f32_e32 v[14:15], v3
.LBB103_2080:
	s_mov_b32 s13, 0
	s_mov_b32 s14, -1
.LBB103_2081:
	s_and_not1_b32 vcc_lo, exec_lo, s13
	s_mov_b32 s13, 0
	s_cbranch_vccnz .LBB103_2092
; %bb.2082:
	s_cmp_gt_i32 s6, 14
	s_cbranch_scc0 .LBB103_2085
; %bb.2083:
	s_cmp_eq_u32 s6, 15
	s_cbranch_scc0 .LBB103_2088
; %bb.2084:
	global_load_u16 v3, v[24:25], off
	s_mov_b32 s10, 0
	s_mov_b32 s14, -1
	s_wait_loadcnt 0x0
	v_lshlrev_b32_e32 v3, 16, v3
	s_delay_alu instid0(VALU_DEP_1)
	v_cvt_f64_f32_e32 v[14:15], v3
	s_branch .LBB103_2090
.LBB103_2085:
	s_mov_b32 s13, -1
	s_branch .LBB103_2089
.LBB103_2086:
	s_or_saveexec_b32 s14, s14
	v_mov_b64_e32 v[14:15], 0x7ff8000020000000
	s_xor_b32 exec_lo, exec_lo, s14
	s_cbranch_execz .LBB103_2067
.LBB103_2087:
	v_cmp_ne_u16_e32 vcc_lo, 0, v3
	v_mov_b64_e32 v[14:15], 0
	s_and_not1_b32 s13, s13, exec_lo
	s_and_b32 s15, vcc_lo, exec_lo
	s_delay_alu instid0(SALU_CYCLE_1)
	s_or_b32 s13, s13, s15
	s_or_b32 exec_lo, exec_lo, s14
	s_and_saveexec_b32 s14, s13
	s_cbranch_execnz .LBB103_2068
	s_branch .LBB103_2069
.LBB103_2088:
	s_mov_b32 s10, -1
.LBB103_2089:
                                        ; implicit-def: $vgpr14_vgpr15
.LBB103_2090:
	s_and_b32 vcc_lo, exec_lo, s13
	s_mov_b32 s13, 0
	s_cbranch_vccz .LBB103_2092
; %bb.2091:
	s_cmp_lg_u32 s6, 11
	s_mov_b32 s13, -1
	s_cselect_b32 s10, -1, 0
.LBB103_2092:
	s_delay_alu instid0(SALU_CYCLE_1)
	s_and_b32 vcc_lo, exec_lo, s10
	s_cbranch_vccnz .LBB103_2157
; %bb.2093:
	s_and_not1_b32 vcc_lo, exec_lo, s13
	s_cbranch_vccnz .LBB103_2095
.LBB103_2094:
	global_load_u8 v3, v[24:25], off
	v_mov_b32_e32 v14, 0
	s_mov_b32 s14, -1
	s_wait_loadcnt 0x0
	v_cmp_ne_u16_e32 vcc_lo, 0, v3
	v_cndmask_b32_e64 v15, 0, 0x3ff00000, vcc_lo
.LBB103_2095:
	s_mov_b32 s10, 0
.LBB103_2096:
	s_delay_alu instid0(SALU_CYCLE_1)
	s_and_b32 vcc_lo, exec_lo, s10
	s_cbranch_vccz .LBB103_2145
; %bb.2097:
	s_cmp_lt_i32 s6, 5
	s_cbranch_scc1 .LBB103_2102
; %bb.2098:
	s_cmp_lt_i32 s6, 8
	s_cbranch_scc1 .LBB103_2103
	;; [unrolled: 3-line block ×3, first 2 shown]
; %bb.2100:
	s_cmp_gt_i32 s6, 9
	s_cbranch_scc0 .LBB103_2105
; %bb.2101:
	global_load_b64 v[14:15], v[24:25], off
	s_mov_b32 s10, 0
	s_branch .LBB103_2106
.LBB103_2102:
	s_mov_b32 s10, -1
                                        ; implicit-def: $vgpr14_vgpr15
	s_branch .LBB103_2124
.LBB103_2103:
	s_mov_b32 s10, -1
                                        ; implicit-def: $vgpr14_vgpr15
	s_branch .LBB103_2112
.LBB103_2104:
	s_mov_b32 s10, -1
                                        ; implicit-def: $vgpr14_vgpr15
	s_branch .LBB103_2109
.LBB103_2105:
	s_mov_b32 s10, -1
                                        ; implicit-def: $vgpr14_vgpr15
.LBB103_2106:
	s_delay_alu instid0(SALU_CYCLE_1)
	s_and_not1_b32 vcc_lo, exec_lo, s10
	s_cbranch_vccnz .LBB103_2108
; %bb.2107:
	global_load_b32 v3, v[24:25], off
	s_wait_loadcnt 0x0
	v_cvt_f64_f32_e32 v[14:15], v3
.LBB103_2108:
	s_mov_b32 s10, 0
.LBB103_2109:
	s_delay_alu instid0(SALU_CYCLE_1)
	s_and_not1_b32 vcc_lo, exec_lo, s10
	s_cbranch_vccnz .LBB103_2111
; %bb.2110:
	global_load_b32 v3, v[24:25], off
	s_wait_loadcnt 0x0
	v_cvt_f32_f16_e32 v3, v3
	s_delay_alu instid0(VALU_DEP_1)
	v_cvt_f64_f32_e32 v[14:15], v3
.LBB103_2111:
	s_mov_b32 s10, 0
.LBB103_2112:
	s_delay_alu instid0(SALU_CYCLE_1)
	s_and_not1_b32 vcc_lo, exec_lo, s10
	s_cbranch_vccnz .LBB103_2123
; %bb.2113:
	s_cmp_lt_i32 s6, 6
	s_cbranch_scc1 .LBB103_2116
; %bb.2114:
	s_cmp_gt_i32 s6, 6
	s_cbranch_scc0 .LBB103_2117
; %bb.2115:
	s_wait_loadcnt 0x0
	global_load_b64 v[14:15], v[24:25], off
	s_mov_b32 s10, 0
	s_branch .LBB103_2118
.LBB103_2116:
	s_mov_b32 s10, -1
                                        ; implicit-def: $vgpr14_vgpr15
	s_branch .LBB103_2121
.LBB103_2117:
	s_mov_b32 s10, -1
                                        ; implicit-def: $vgpr14_vgpr15
.LBB103_2118:
	s_delay_alu instid0(SALU_CYCLE_1)
	s_and_not1_b32 vcc_lo, exec_lo, s10
	s_cbranch_vccnz .LBB103_2120
; %bb.2119:
	global_load_b32 v3, v[24:25], off
	s_wait_loadcnt 0x0
	v_cvt_f64_f32_e32 v[14:15], v3
.LBB103_2120:
	s_mov_b32 s10, 0
.LBB103_2121:
	s_delay_alu instid0(SALU_CYCLE_1)
	s_and_not1_b32 vcc_lo, exec_lo, s10
	s_cbranch_vccnz .LBB103_2123
; %bb.2122:
	global_load_u16 v3, v[24:25], off
	s_wait_loadcnt 0x0
	v_cvt_f32_f16_e32 v3, v3
	s_delay_alu instid0(VALU_DEP_1)
	v_cvt_f64_f32_e32 v[14:15], v3
.LBB103_2123:
	s_mov_b32 s10, 0
.LBB103_2124:
	s_delay_alu instid0(SALU_CYCLE_1)
	s_and_not1_b32 vcc_lo, exec_lo, s10
	s_cbranch_vccnz .LBB103_2144
; %bb.2125:
	s_cmp_lt_i32 s6, 2
	s_cbranch_scc1 .LBB103_2129
; %bb.2126:
	s_cmp_lt_i32 s6, 3
	s_cbranch_scc1 .LBB103_2130
; %bb.2127:
	s_cmp_gt_i32 s6, 3
	s_cbranch_scc0 .LBB103_2131
; %bb.2128:
	s_wait_loadcnt 0x0
	global_load_b64 v[14:15], v[24:25], off
	s_mov_b32 s10, 0
	s_wait_loadcnt 0x0
	v_cvt_f64_i32_e32 v[26:27], v15
	v_cvt_f64_u32_e32 v[14:15], v14
	s_delay_alu instid0(VALU_DEP_2) | instskip(NEXT) | instid1(VALU_DEP_1)
	v_ldexp_f64 v[26:27], v[26:27], 32
	v_add_f64_e32 v[14:15], v[26:27], v[14:15]
	s_branch .LBB103_2132
.LBB103_2129:
	s_mov_b32 s10, -1
                                        ; implicit-def: $vgpr14_vgpr15
	s_branch .LBB103_2138
.LBB103_2130:
	s_mov_b32 s10, -1
                                        ; implicit-def: $vgpr14_vgpr15
	s_branch .LBB103_2135
.LBB103_2131:
	s_mov_b32 s10, -1
                                        ; implicit-def: $vgpr14_vgpr15
.LBB103_2132:
	s_delay_alu instid0(SALU_CYCLE_1)
	s_and_not1_b32 vcc_lo, exec_lo, s10
	s_cbranch_vccnz .LBB103_2134
; %bb.2133:
	global_load_b32 v3, v[24:25], off
	s_wait_loadcnt 0x0
	v_cvt_f64_i32_e32 v[14:15], v3
.LBB103_2134:
	s_mov_b32 s10, 0
.LBB103_2135:
	s_delay_alu instid0(SALU_CYCLE_1)
	s_and_not1_b32 vcc_lo, exec_lo, s10
	s_cbranch_vccnz .LBB103_2137
; %bb.2136:
	global_load_i16 v3, v[24:25], off
	s_wait_loadcnt 0x0
	v_cvt_f64_i32_e32 v[14:15], v3
.LBB103_2137:
	s_mov_b32 s10, 0
.LBB103_2138:
	s_delay_alu instid0(SALU_CYCLE_1)
	s_and_not1_b32 vcc_lo, exec_lo, s10
	s_cbranch_vccnz .LBB103_2144
; %bb.2139:
	s_cmp_gt_i32 s6, 0
	s_mov_b32 s10, 0
	s_cbranch_scc0 .LBB103_2141
; %bb.2140:
	global_load_i8 v3, v[24:25], off
	s_wait_loadcnt 0x0
	v_cvt_f64_i32_e32 v[14:15], v3
	s_branch .LBB103_2142
.LBB103_2141:
	s_mov_b32 s10, -1
                                        ; implicit-def: $vgpr14_vgpr15
.LBB103_2142:
	s_delay_alu instid0(SALU_CYCLE_1)
	s_and_not1_b32 vcc_lo, exec_lo, s10
	s_cbranch_vccnz .LBB103_2144
; %bb.2143:
	global_load_u8 v3, v[24:25], off
	s_wait_loadcnt 0x0
	v_cvt_f64_u32_e32 v[14:15], v3
.LBB103_2144:
	s_mov_b32 s14, -1
.LBB103_2145:
	s_delay_alu instid0(SALU_CYCLE_1)
	s_and_not1_b32 vcc_lo, exec_lo, s14
	s_cbranch_vccnz .LBB103_3280
; %bb.2146:
	v_mov_b32_e32 v19, 0
	s_and_b32 s10, 0xffff, s12
	s_delay_alu instid0(SALU_CYCLE_1) | instskip(SKIP_1) | instid1(VALU_DEP_1)
	s_cmp_lt_i32 s10, 11
	s_wait_xcnt 0x0
	v_add_nc_u64_e32 v[24:25], s[4:5], v[18:19]
	s_cbranch_scc1 .LBB103_2153
; %bb.2147:
	s_cmp_gt_i32 s10, 25
	s_mov_b32 s13, 0
	s_cbranch_scc0 .LBB103_2154
; %bb.2148:
	s_cmp_gt_i32 s10, 28
	s_cbranch_scc0 .LBB103_2155
; %bb.2149:
	s_cmp_gt_i32 s10, 43
	;; [unrolled: 3-line block ×3, first 2 shown]
	s_cbranch_scc0 .LBB103_2158
; %bb.2151:
	s_cmp_eq_u32 s10, 46
	s_mov_b32 s15, 0
	s_cbranch_scc0 .LBB103_2161
; %bb.2152:
	global_load_b32 v3, v[24:25], off
	s_mov_b32 s12, 0
	s_mov_b32 s14, -1
	s_wait_loadcnt 0x0
	v_lshlrev_b32_e32 v3, 16, v3
	s_delay_alu instid0(VALU_DEP_1)
	v_cvt_f64_f32_e32 v[18:19], v3
	s_branch .LBB103_2163
.LBB103_2153:
	s_mov_b32 s12, -1
	s_mov_b32 s14, 0
                                        ; implicit-def: $vgpr18_vgpr19
	s_branch .LBB103_2229
.LBB103_2154:
	s_mov_b32 s15, -1
	s_mov_b32 s14, 0
	s_mov_b32 s12, 0
                                        ; implicit-def: $vgpr18_vgpr19
	s_branch .LBB103_2192
.LBB103_2155:
	s_mov_b32 s15, -1
	s_mov_b32 s14, 0
	s_mov_b32 s12, 0
                                        ; implicit-def: $vgpr18_vgpr19
	s_branch .LBB103_2173
.LBB103_2156:
	s_mov_b32 s15, -1
	s_mov_b32 s14, 0
	s_mov_b32 s12, 0
                                        ; implicit-def: $vgpr18_vgpr19
	s_branch .LBB103_2168
.LBB103_2157:
	s_or_b32 s9, s9, exec_lo
	s_trap 2
	s_cbranch_execz .LBB103_2094
	s_branch .LBB103_2095
.LBB103_2158:
	s_mov_b32 s15, -1
	s_mov_b32 s14, 0
	s_mov_b32 s12, 0
	s_branch .LBB103_2162
.LBB103_2159:
	s_and_not1_saveexec_b32 s57, s57
	s_cbranch_execz .LBB103_1164
.LBB103_2160:
	v_add_f32_e64 v3, 0x46000000, |v2|
	s_and_not1_b32 s56, s56, exec_lo
	s_delay_alu instid0(VALU_DEP_1) | instskip(NEXT) | instid1(VALU_DEP_1)
	v_and_b32_e32 v3, 0xff, v3
	v_cmp_ne_u32_e32 vcc_lo, 0, v3
	s_and_b32 s58, vcc_lo, exec_lo
	s_delay_alu instid0(SALU_CYCLE_1)
	s_or_b32 s56, s56, s58
	s_or_b32 exec_lo, exec_lo, s57
	v_mov_b32_e32 v5, 0
	s_and_saveexec_b32 s57, s56
	s_cbranch_execnz .LBB103_1165
	s_branch .LBB103_1166
.LBB103_2161:
	s_mov_b32 s12, -1
	s_mov_b32 s14, 0
.LBB103_2162:
                                        ; implicit-def: $vgpr18_vgpr19
.LBB103_2163:
	s_and_b32 vcc_lo, exec_lo, s15
	s_cbranch_vccz .LBB103_2167
; %bb.2164:
	s_cmp_eq_u32 s10, 44
	s_cbranch_scc0 .LBB103_2166
; %bb.2165:
	global_load_u8 v3, v[24:25], off
	s_mov_b32 s12, 0
	s_mov_b32 s14, -1
	s_wait_loadcnt 0x0
	v_lshlrev_b32_e32 v5, 23, v3
	v_cmp_ne_u32_e32 vcc_lo, 0xff, v3
	s_delay_alu instid0(VALU_DEP_2) | instskip(NEXT) | instid1(VALU_DEP_1)
	v_cvt_f64_f32_e32 v[18:19], v5
	v_cndmask_b32_e32 v5, 0x20000000, v18, vcc_lo
	s_delay_alu instid0(VALU_DEP_2) | instskip(SKIP_1) | instid1(VALU_DEP_2)
	v_cndmask_b32_e32 v7, 0x7ff80000, v19, vcc_lo
	v_cmp_ne_u32_e32 vcc_lo, 0, v3
	v_cndmask_b32_e32 v19, 0x38000000, v7, vcc_lo
	s_delay_alu instid0(VALU_DEP_4)
	v_cndmask_b32_e32 v18, 0, v5, vcc_lo
	s_branch .LBB103_2167
.LBB103_2166:
	s_mov_b32 s12, -1
                                        ; implicit-def: $vgpr18_vgpr19
.LBB103_2167:
	s_mov_b32 s15, 0
.LBB103_2168:
	s_delay_alu instid0(SALU_CYCLE_1)
	s_and_b32 vcc_lo, exec_lo, s15
	s_cbranch_vccz .LBB103_2172
; %bb.2169:
	s_cmp_eq_u32 s10, 29
	s_cbranch_scc0 .LBB103_2171
; %bb.2170:
	global_load_b64 v[18:19], v[24:25], off
	s_mov_b32 s12, 0
	s_mov_b32 s14, -1
	s_mov_b32 s15, 0
	s_wait_loadcnt 0x0
	v_cvt_f64_u32_e32 v[26:27], v19
	v_cvt_f64_u32_e32 v[18:19], v18
	s_delay_alu instid0(VALU_DEP_2) | instskip(NEXT) | instid1(VALU_DEP_1)
	v_ldexp_f64 v[26:27], v[26:27], 32
	v_add_f64_e32 v[18:19], v[26:27], v[18:19]
	s_branch .LBB103_2173
.LBB103_2171:
	s_mov_b32 s12, -1
                                        ; implicit-def: $vgpr18_vgpr19
.LBB103_2172:
	s_mov_b32 s15, 0
.LBB103_2173:
	s_delay_alu instid0(SALU_CYCLE_1)
	s_and_b32 vcc_lo, exec_lo, s15
	s_cbranch_vccz .LBB103_2191
; %bb.2174:
	s_cmp_lt_i32 s10, 27
	s_cbranch_scc1 .LBB103_2177
; %bb.2175:
	s_cmp_gt_i32 s10, 27
	s_cbranch_scc0 .LBB103_2178
; %bb.2176:
	global_load_b32 v3, v[24:25], off
	s_mov_b32 s14, 0
	s_wait_loadcnt 0x0
	v_cvt_f64_u32_e32 v[18:19], v3
	s_branch .LBB103_2179
.LBB103_2177:
	s_mov_b32 s14, -1
                                        ; implicit-def: $vgpr18_vgpr19
	s_branch .LBB103_2182
.LBB103_2178:
	s_mov_b32 s14, -1
                                        ; implicit-def: $vgpr18_vgpr19
.LBB103_2179:
	s_delay_alu instid0(SALU_CYCLE_1)
	s_and_not1_b32 vcc_lo, exec_lo, s14
	s_cbranch_vccnz .LBB103_2181
; %bb.2180:
	global_load_u16 v3, v[24:25], off
	s_wait_loadcnt 0x0
	v_cvt_f64_u32_e32 v[18:19], v3
.LBB103_2181:
	s_mov_b32 s14, 0
.LBB103_2182:
	s_delay_alu instid0(SALU_CYCLE_1)
	s_and_not1_b32 vcc_lo, exec_lo, s14
	s_cbranch_vccnz .LBB103_2190
; %bb.2183:
	global_load_u8 v3, v[24:25], off
	s_mov_b32 s14, 0
	s_mov_b32 s15, exec_lo
	s_wait_loadcnt 0x0
	v_cmpx_lt_i16_e32 0x7f, v3
	s_xor_b32 s15, exec_lo, s15
	s_cbranch_execz .LBB103_2204
; %bb.2184:
	s_mov_b32 s14, -1
	s_mov_b32 s16, exec_lo
	v_cmpx_eq_u16_e32 0x80, v3
; %bb.2185:
	s_xor_b32 s14, exec_lo, -1
; %bb.2186:
	s_or_b32 exec_lo, exec_lo, s16
	s_delay_alu instid0(SALU_CYCLE_1)
	s_and_b32 s14, s14, exec_lo
	s_or_saveexec_b32 s15, s15
	v_mov_b64_e32 v[18:19], 0x7ff8000020000000
	s_xor_b32 exec_lo, exec_lo, s15
	s_cbranch_execnz .LBB103_2205
.LBB103_2187:
	s_or_b32 exec_lo, exec_lo, s15
	s_and_saveexec_b32 s15, s14
	s_cbranch_execz .LBB103_2189
.LBB103_2188:
	v_and_b32_e32 v5, 0xffff, v3
	s_delay_alu instid0(VALU_DEP_1) | instskip(SKIP_1) | instid1(VALU_DEP_2)
	v_dual_lshlrev_b32 v3, 24, v3 :: v_dual_bitop2_b32 v7, 7, v5 bitop3:0x40
	v_bfe_u32 v17, v5, 3, 4
	v_and_b32_e32 v3, 0x80000000, v3
	s_delay_alu instid0(VALU_DEP_3) | instskip(NEXT) | instid1(VALU_DEP_3)
	v_clz_i32_u32_e32 v9, v7
	v_cmp_eq_u32_e32 vcc_lo, 0, v17
	s_delay_alu instid0(VALU_DEP_2) | instskip(NEXT) | instid1(VALU_DEP_1)
	v_min_u32_e32 v9, 32, v9
	v_subrev_nc_u32_e32 v11, 28, v9
	v_sub_nc_u32_e32 v9, 29, v9
	s_delay_alu instid0(VALU_DEP_2) | instskip(NEXT) | instid1(VALU_DEP_2)
	v_lshlrev_b32_e32 v5, v11, v5
	v_cndmask_b32_e32 v9, v17, v9, vcc_lo
	s_delay_alu instid0(VALU_DEP_2) | instskip(NEXT) | instid1(VALU_DEP_1)
	v_and_b32_e32 v5, 7, v5
	v_cndmask_b32_e32 v5, v7, v5, vcc_lo
	s_delay_alu instid0(VALU_DEP_3) | instskip(NEXT) | instid1(VALU_DEP_2)
	v_lshl_add_u32 v7, v9, 23, 0x3b800000
	v_lshlrev_b32_e32 v5, 20, v5
	s_delay_alu instid0(VALU_DEP_1) | instskip(NEXT) | instid1(VALU_DEP_1)
	v_or3_b32 v3, v3, v7, v5
	v_cvt_f64_f32_e32 v[18:19], v3
.LBB103_2189:
	s_or_b32 exec_lo, exec_lo, s15
.LBB103_2190:
	s_mov_b32 s14, -1
.LBB103_2191:
	s_mov_b32 s15, 0
.LBB103_2192:
	s_delay_alu instid0(SALU_CYCLE_1)
	s_and_b32 vcc_lo, exec_lo, s15
	s_cbranch_vccz .LBB103_2225
; %bb.2193:
	s_cmp_gt_i32 s10, 22
	s_cbranch_scc0 .LBB103_2203
; %bb.2194:
	s_cmp_lt_i32 s10, 24
	s_cbranch_scc1 .LBB103_2206
; %bb.2195:
	s_cmp_gt_i32 s10, 24
	s_cbranch_scc0 .LBB103_2207
; %bb.2196:
	global_load_u8 v3, v[24:25], off
	s_mov_b32 s14, exec_lo
	s_wait_loadcnt 0x0
	v_cmpx_lt_i16_e32 0x7f, v3
	s_xor_b32 s14, exec_lo, s14
	s_cbranch_execz .LBB103_2219
; %bb.2197:
	s_mov_b32 s13, -1
	s_mov_b32 s15, exec_lo
	v_cmpx_eq_u16_e32 0x80, v3
; %bb.2198:
	s_xor_b32 s13, exec_lo, -1
; %bb.2199:
	s_or_b32 exec_lo, exec_lo, s15
	s_delay_alu instid0(SALU_CYCLE_1)
	s_and_b32 s13, s13, exec_lo
	s_or_saveexec_b32 s14, s14
	v_mov_b64_e32 v[18:19], 0x7ff8000020000000
	s_xor_b32 exec_lo, exec_lo, s14
	s_cbranch_execnz .LBB103_2220
.LBB103_2200:
	s_or_b32 exec_lo, exec_lo, s14
	s_and_saveexec_b32 s14, s13
	s_cbranch_execz .LBB103_2202
.LBB103_2201:
	v_and_b32_e32 v5, 0xffff, v3
	s_delay_alu instid0(VALU_DEP_1) | instskip(SKIP_1) | instid1(VALU_DEP_2)
	v_dual_lshlrev_b32 v3, 24, v3 :: v_dual_bitop2_b32 v7, 3, v5 bitop3:0x40
	v_bfe_u32 v17, v5, 2, 5
	v_and_b32_e32 v3, 0x80000000, v3
	s_delay_alu instid0(VALU_DEP_3) | instskip(NEXT) | instid1(VALU_DEP_3)
	v_clz_i32_u32_e32 v9, v7
	v_cmp_eq_u32_e32 vcc_lo, 0, v17
	s_delay_alu instid0(VALU_DEP_2) | instskip(NEXT) | instid1(VALU_DEP_1)
	v_min_u32_e32 v9, 32, v9
	v_subrev_nc_u32_e32 v11, 29, v9
	v_sub_nc_u32_e32 v9, 30, v9
	s_delay_alu instid0(VALU_DEP_2) | instskip(NEXT) | instid1(VALU_DEP_2)
	v_lshlrev_b32_e32 v5, v11, v5
	v_cndmask_b32_e32 v9, v17, v9, vcc_lo
	s_delay_alu instid0(VALU_DEP_2) | instskip(NEXT) | instid1(VALU_DEP_1)
	v_and_b32_e32 v5, 3, v5
	v_cndmask_b32_e32 v5, v7, v5, vcc_lo
	s_delay_alu instid0(VALU_DEP_3) | instskip(NEXT) | instid1(VALU_DEP_2)
	v_lshl_add_u32 v7, v9, 23, 0x37800000
	v_lshlrev_b32_e32 v5, 21, v5
	s_delay_alu instid0(VALU_DEP_1) | instskip(NEXT) | instid1(VALU_DEP_1)
	v_or3_b32 v3, v3, v7, v5
	v_cvt_f64_f32_e32 v[18:19], v3
.LBB103_2202:
	s_or_b32 exec_lo, exec_lo, s14
	s_mov_b32 s13, 0
	s_branch .LBB103_2208
.LBB103_2203:
	s_mov_b32 s13, -1
                                        ; implicit-def: $vgpr18_vgpr19
	s_branch .LBB103_2214
.LBB103_2204:
	s_or_saveexec_b32 s15, s15
	v_mov_b64_e32 v[18:19], 0x7ff8000020000000
	s_xor_b32 exec_lo, exec_lo, s15
	s_cbranch_execz .LBB103_2187
.LBB103_2205:
	v_cmp_ne_u16_e32 vcc_lo, 0, v3
	v_mov_b64_e32 v[18:19], 0
	s_and_not1_b32 s14, s14, exec_lo
	s_and_b32 s16, vcc_lo, exec_lo
	s_delay_alu instid0(SALU_CYCLE_1)
	s_or_b32 s14, s14, s16
	s_or_b32 exec_lo, exec_lo, s15
	s_and_saveexec_b32 s15, s14
	s_cbranch_execnz .LBB103_2188
	s_branch .LBB103_2189
.LBB103_2206:
	s_mov_b32 s13, -1
                                        ; implicit-def: $vgpr18_vgpr19
	s_branch .LBB103_2211
.LBB103_2207:
	s_mov_b32 s13, -1
                                        ; implicit-def: $vgpr18_vgpr19
.LBB103_2208:
	s_delay_alu instid0(SALU_CYCLE_1)
	s_and_b32 vcc_lo, exec_lo, s13
	s_cbranch_vccz .LBB103_2210
; %bb.2209:
	global_load_u8 v3, v[24:25], off
	s_wait_loadcnt 0x0
	v_lshlrev_b32_e32 v3, 24, v3
	s_delay_alu instid0(VALU_DEP_1) | instskip(NEXT) | instid1(VALU_DEP_1)
	v_and_b32_e32 v5, 0x7f000000, v3
	v_clz_i32_u32_e32 v7, v5
	v_add_nc_u32_e32 v11, 0x1000000, v5
	v_cmp_ne_u32_e32 vcc_lo, 0, v5
	s_delay_alu instid0(VALU_DEP_3) | instskip(NEXT) | instid1(VALU_DEP_1)
	v_min_u32_e32 v7, 32, v7
	v_sub_nc_u32_e64 v7, v7, 4 clamp
	s_delay_alu instid0(VALU_DEP_1) | instskip(NEXT) | instid1(VALU_DEP_1)
	v_dual_lshlrev_b32 v9, v7, v5 :: v_dual_lshlrev_b32 v7, 23, v7
	v_lshrrev_b32_e32 v9, 4, v9
	s_delay_alu instid0(VALU_DEP_1) | instskip(SKIP_1) | instid1(VALU_DEP_2)
	v_sub_nc_u32_e32 v7, v9, v7
	v_ashrrev_i32_e32 v9, 8, v11
	v_add_nc_u32_e32 v7, 0x3c000000, v7
	s_delay_alu instid0(VALU_DEP_1) | instskip(NEXT) | instid1(VALU_DEP_1)
	v_and_or_b32 v7, 0x7f800000, v9, v7
	v_cndmask_b32_e32 v5, 0, v7, vcc_lo
	s_delay_alu instid0(VALU_DEP_1) | instskip(NEXT) | instid1(VALU_DEP_1)
	v_and_or_b32 v3, 0x80000000, v3, v5
	v_cvt_f64_f32_e32 v[18:19], v3
.LBB103_2210:
	s_mov_b32 s13, 0
.LBB103_2211:
	s_delay_alu instid0(SALU_CYCLE_1)
	s_and_not1_b32 vcc_lo, exec_lo, s13
	s_cbranch_vccnz .LBB103_2213
; %bb.2212:
	global_load_u8 v3, v[24:25], off
	s_wait_loadcnt 0x0
	v_lshlrev_b32_e32 v5, 25, v3
	v_lshlrev_b16 v3, 8, v3
	s_delay_alu instid0(VALU_DEP_1) | instskip(SKIP_1) | instid1(VALU_DEP_2)
	v_and_or_b32 v9, 0x7f00, v3, 0.5
	v_bfe_i32 v3, v3, 0, 16
	v_add_f32_e32 v9, -0.5, v9
	v_lshrrev_b32_e32 v7, 4, v5
	v_cmp_gt_u32_e32 vcc_lo, 0x8000000, v5
	s_delay_alu instid0(VALU_DEP_2) | instskip(NEXT) | instid1(VALU_DEP_1)
	v_or_b32_e32 v7, 0x70000000, v7
	v_mul_f32_e32 v7, 0x7800000, v7
	s_delay_alu instid0(VALU_DEP_1) | instskip(NEXT) | instid1(VALU_DEP_1)
	v_cndmask_b32_e32 v5, v7, v9, vcc_lo
	v_and_or_b32 v3, 0x80000000, v3, v5
	s_delay_alu instid0(VALU_DEP_1)
	v_cvt_f64_f32_e32 v[18:19], v3
.LBB103_2213:
	s_mov_b32 s13, 0
	s_mov_b32 s14, -1
.LBB103_2214:
	s_and_not1_b32 vcc_lo, exec_lo, s13
	s_mov_b32 s13, 0
	s_cbranch_vccnz .LBB103_2225
; %bb.2215:
	s_cmp_gt_i32 s10, 14
	s_cbranch_scc0 .LBB103_2218
; %bb.2216:
	s_cmp_eq_u32 s10, 15
	s_cbranch_scc0 .LBB103_2221
; %bb.2217:
	global_load_u16 v3, v[24:25], off
	s_mov_b32 s12, 0
	s_mov_b32 s14, -1
	s_wait_loadcnt 0x0
	v_lshlrev_b32_e32 v3, 16, v3
	s_delay_alu instid0(VALU_DEP_1)
	v_cvt_f64_f32_e32 v[18:19], v3
	s_branch .LBB103_2223
.LBB103_2218:
	s_mov_b32 s13, -1
	s_branch .LBB103_2222
.LBB103_2219:
	s_or_saveexec_b32 s14, s14
	v_mov_b64_e32 v[18:19], 0x7ff8000020000000
	s_xor_b32 exec_lo, exec_lo, s14
	s_cbranch_execz .LBB103_2200
.LBB103_2220:
	v_cmp_ne_u16_e32 vcc_lo, 0, v3
	v_mov_b64_e32 v[18:19], 0
	s_and_not1_b32 s13, s13, exec_lo
	s_and_b32 s15, vcc_lo, exec_lo
	s_delay_alu instid0(SALU_CYCLE_1)
	s_or_b32 s13, s13, s15
	s_or_b32 exec_lo, exec_lo, s14
	s_and_saveexec_b32 s14, s13
	s_cbranch_execnz .LBB103_2201
	s_branch .LBB103_2202
.LBB103_2221:
	s_mov_b32 s12, -1
.LBB103_2222:
                                        ; implicit-def: $vgpr18_vgpr19
.LBB103_2223:
	s_and_b32 vcc_lo, exec_lo, s13
	s_mov_b32 s13, 0
	s_cbranch_vccz .LBB103_2225
; %bb.2224:
	s_cmp_lg_u32 s10, 11
	s_mov_b32 s13, -1
	s_cselect_b32 s12, -1, 0
.LBB103_2225:
	s_delay_alu instid0(SALU_CYCLE_1)
	s_and_b32 vcc_lo, exec_lo, s12
	s_cbranch_vccnz .LBB103_2309
; %bb.2226:
	s_and_not1_b32 vcc_lo, exec_lo, s13
	s_cbranch_vccnz .LBB103_2228
.LBB103_2227:
	global_load_u8 v3, v[24:25], off
	v_mov_b32_e32 v18, 0
	s_mov_b32 s14, -1
	s_wait_loadcnt 0x0
	v_cmp_ne_u16_e32 vcc_lo, 0, v3
	v_cndmask_b32_e64 v19, 0, 0x3ff00000, vcc_lo
.LBB103_2228:
	s_mov_b32 s12, 0
.LBB103_2229:
	s_delay_alu instid0(SALU_CYCLE_1)
	s_and_b32 vcc_lo, exec_lo, s12
	s_cbranch_vccz .LBB103_2278
; %bb.2230:
	s_cmp_lt_i32 s10, 5
	s_cbranch_scc1 .LBB103_2235
; %bb.2231:
	s_cmp_lt_i32 s10, 8
	s_cbranch_scc1 .LBB103_2236
	;; [unrolled: 3-line block ×3, first 2 shown]
; %bb.2233:
	s_cmp_gt_i32 s10, 9
	s_cbranch_scc0 .LBB103_2238
; %bb.2234:
	global_load_b64 v[18:19], v[24:25], off
	s_mov_b32 s12, 0
	s_branch .LBB103_2239
.LBB103_2235:
	s_mov_b32 s12, -1
                                        ; implicit-def: $vgpr18_vgpr19
	s_branch .LBB103_2257
.LBB103_2236:
	s_mov_b32 s12, -1
                                        ; implicit-def: $vgpr18_vgpr19
	s_branch .LBB103_2245
.LBB103_2237:
	s_mov_b32 s12, -1
                                        ; implicit-def: $vgpr18_vgpr19
	s_branch .LBB103_2242
.LBB103_2238:
	s_mov_b32 s12, -1
                                        ; implicit-def: $vgpr18_vgpr19
.LBB103_2239:
	s_delay_alu instid0(SALU_CYCLE_1)
	s_and_not1_b32 vcc_lo, exec_lo, s12
	s_cbranch_vccnz .LBB103_2241
; %bb.2240:
	global_load_b32 v3, v[24:25], off
	s_wait_loadcnt 0x0
	v_cvt_f64_f32_e32 v[18:19], v3
.LBB103_2241:
	s_mov_b32 s12, 0
.LBB103_2242:
	s_delay_alu instid0(SALU_CYCLE_1)
	s_and_not1_b32 vcc_lo, exec_lo, s12
	s_cbranch_vccnz .LBB103_2244
; %bb.2243:
	global_load_b32 v3, v[24:25], off
	s_wait_loadcnt 0x0
	v_cvt_f32_f16_e32 v3, v3
	s_delay_alu instid0(VALU_DEP_1)
	v_cvt_f64_f32_e32 v[18:19], v3
.LBB103_2244:
	s_mov_b32 s12, 0
.LBB103_2245:
	s_delay_alu instid0(SALU_CYCLE_1)
	s_and_not1_b32 vcc_lo, exec_lo, s12
	s_cbranch_vccnz .LBB103_2256
; %bb.2246:
	s_cmp_lt_i32 s10, 6
	s_cbranch_scc1 .LBB103_2249
; %bb.2247:
	s_cmp_gt_i32 s10, 6
	s_cbranch_scc0 .LBB103_2250
; %bb.2248:
	s_wait_loadcnt 0x0
	global_load_b64 v[18:19], v[24:25], off
	s_mov_b32 s12, 0
	s_branch .LBB103_2251
.LBB103_2249:
	s_mov_b32 s12, -1
                                        ; implicit-def: $vgpr18_vgpr19
	s_branch .LBB103_2254
.LBB103_2250:
	s_mov_b32 s12, -1
                                        ; implicit-def: $vgpr18_vgpr19
.LBB103_2251:
	s_delay_alu instid0(SALU_CYCLE_1)
	s_and_not1_b32 vcc_lo, exec_lo, s12
	s_cbranch_vccnz .LBB103_2253
; %bb.2252:
	global_load_b32 v3, v[24:25], off
	s_wait_loadcnt 0x0
	v_cvt_f64_f32_e32 v[18:19], v3
.LBB103_2253:
	s_mov_b32 s12, 0
.LBB103_2254:
	s_delay_alu instid0(SALU_CYCLE_1)
	s_and_not1_b32 vcc_lo, exec_lo, s12
	s_cbranch_vccnz .LBB103_2256
; %bb.2255:
	global_load_u16 v3, v[24:25], off
	s_wait_loadcnt 0x0
	v_cvt_f32_f16_e32 v3, v3
	s_delay_alu instid0(VALU_DEP_1)
	v_cvt_f64_f32_e32 v[18:19], v3
.LBB103_2256:
	s_mov_b32 s12, 0
.LBB103_2257:
	s_delay_alu instid0(SALU_CYCLE_1)
	s_and_not1_b32 vcc_lo, exec_lo, s12
	s_cbranch_vccnz .LBB103_2277
; %bb.2258:
	s_cmp_lt_i32 s10, 2
	s_cbranch_scc1 .LBB103_2262
; %bb.2259:
	s_cmp_lt_i32 s10, 3
	s_cbranch_scc1 .LBB103_2263
; %bb.2260:
	s_cmp_gt_i32 s10, 3
	s_cbranch_scc0 .LBB103_2264
; %bb.2261:
	s_wait_loadcnt 0x0
	global_load_b64 v[18:19], v[24:25], off
	s_mov_b32 s12, 0
	s_wait_loadcnt 0x0
	v_cvt_f64_i32_e32 v[26:27], v19
	v_cvt_f64_u32_e32 v[18:19], v18
	s_delay_alu instid0(VALU_DEP_2) | instskip(NEXT) | instid1(VALU_DEP_1)
	v_ldexp_f64 v[26:27], v[26:27], 32
	v_add_f64_e32 v[18:19], v[26:27], v[18:19]
	s_branch .LBB103_2265
.LBB103_2262:
	s_mov_b32 s12, -1
                                        ; implicit-def: $vgpr18_vgpr19
	s_branch .LBB103_2271
.LBB103_2263:
	s_mov_b32 s12, -1
                                        ; implicit-def: $vgpr18_vgpr19
	s_branch .LBB103_2268
.LBB103_2264:
	s_mov_b32 s12, -1
                                        ; implicit-def: $vgpr18_vgpr19
.LBB103_2265:
	s_delay_alu instid0(SALU_CYCLE_1)
	s_and_not1_b32 vcc_lo, exec_lo, s12
	s_cbranch_vccnz .LBB103_2267
; %bb.2266:
	global_load_b32 v3, v[24:25], off
	s_wait_loadcnt 0x0
	v_cvt_f64_i32_e32 v[18:19], v3
.LBB103_2267:
	s_mov_b32 s12, 0
.LBB103_2268:
	s_delay_alu instid0(SALU_CYCLE_1)
	s_and_not1_b32 vcc_lo, exec_lo, s12
	s_cbranch_vccnz .LBB103_2270
; %bb.2269:
	global_load_i16 v3, v[24:25], off
	s_wait_loadcnt 0x0
	v_cvt_f64_i32_e32 v[18:19], v3
.LBB103_2270:
	s_mov_b32 s12, 0
.LBB103_2271:
	s_delay_alu instid0(SALU_CYCLE_1)
	s_and_not1_b32 vcc_lo, exec_lo, s12
	s_cbranch_vccnz .LBB103_2277
; %bb.2272:
	s_cmp_gt_i32 s10, 0
	s_mov_b32 s12, 0
	s_cbranch_scc0 .LBB103_2274
; %bb.2273:
	global_load_i8 v3, v[24:25], off
	s_wait_loadcnt 0x0
	v_cvt_f64_i32_e32 v[18:19], v3
	s_branch .LBB103_2275
.LBB103_2274:
	s_mov_b32 s12, -1
                                        ; implicit-def: $vgpr18_vgpr19
.LBB103_2275:
	s_delay_alu instid0(SALU_CYCLE_1)
	s_and_not1_b32 vcc_lo, exec_lo, s12
	s_cbranch_vccnz .LBB103_2277
; %bb.2276:
	global_load_u8 v3, v[24:25], off
	s_wait_loadcnt 0x0
	v_cvt_f64_u32_e32 v[18:19], v3
.LBB103_2277:
	s_mov_b32 s14, -1
.LBB103_2278:
	s_delay_alu instid0(SALU_CYCLE_1)
	s_and_not1_b32 vcc_lo, exec_lo, s14
	s_cbranch_vccnz .LBB103_3280
; %bb.2279:
	s_cmp_lt_i32 s11, 23
	s_cbranch_scc1 .LBB103_2283
; %bb.2280:
	s_cmp_gt_i32 s11, 43
	s_cbranch_scc0 .LBB103_2284
; %bb.2281:
	s_cmp_gt_i32 s11, 45
	s_cbranch_scc0 .LBB103_2285
; %bb.2282:
	s_cmp_lg_u32 s11, 46
	s_mov_b32 s14, 0
	s_mov_b32 s12, -1
	s_cselect_b32 s13, -1, 0
	s_branch .LBB103_2286
.LBB103_2283:
	s_mov_b32 s14, -1
	s_mov_b32 s12, 0
	s_mov_b32 s13, 0
	s_branch .LBB103_2292
.LBB103_2284:
	s_mov_b32 s14, -1
	s_mov_b32 s12, 0
	s_mov_b32 s13, 0
	s_branch .LBB103_2289
.LBB103_2285:
	s_mov_b32 s14, -1
	s_mov_b32 s12, 0
	s_mov_b32 s13, 0
.LBB103_2286:
	s_and_not1_b32 vcc_lo, exec_lo, s14
	s_cbranch_vccnz .LBB103_2288
; %bb.2287:
	s_cmp_eq_u32 s11, 44
	s_cselect_b32 s12, -1, 0
	s_cmp_lg_u32 s11, 44
	s_cselect_b32 s13, -1, 0
.LBB103_2288:
	s_mov_b32 s14, 0
.LBB103_2289:
	s_delay_alu instid0(SALU_CYCLE_1)
	s_and_b32 vcc_lo, exec_lo, s14
	s_cbranch_vccz .LBB103_2291
; %bb.2290:
	s_cmp_lt_i32 s11, 30
	s_cselect_b32 s12, -1, 0
	s_cmp_gt_i32 s11, 29
	s_cselect_b32 s13, -1, 0
.LBB103_2291:
	s_mov_b32 s14, 0
.LBB103_2292:
	s_delay_alu instid0(SALU_CYCLE_1)
	s_and_b32 vcc_lo, exec_lo, s14
	s_cbranch_vccz .LBB103_2297
; %bb.2293:
	s_cmp_gt_i32 s11, 14
	s_mov_b32 s14, -1
	s_cbranch_scc0 .LBB103_2295
; %bb.2294:
	s_cmp_eq_u32 s11, 15
	s_mov_b32 s14, 0
	s_cselect_b32 s12, -1, 0
	s_cmp_lg_u32 s11, 15
	s_cselect_b32 s13, -1, 0
.LBB103_2295:
	s_and_not1_b32 vcc_lo, exec_lo, s14
	s_cbranch_vccnz .LBB103_2297
; %bb.2296:
	s_cmp_lt_i32 s11, 12
	s_cselect_b32 s12, -1, 0
	s_cmp_gt_i32 s11, 11
	s_cselect_b32 s13, -1, 0
.LBB103_2297:
	s_delay_alu instid0(SALU_CYCLE_1)
	s_and_b32 vcc_lo, exec_lo, s13
	s_cbranch_vccnz .LBB103_2310
; %bb.2298:
	s_and_not1_b32 vcc_lo, exec_lo, s12
	s_cbranch_vccnz .LBB103_3280
.LBB103_2299:
	v_mov_b32_e32 v21, 0
	s_cmp_lt_i32 s6, 11
	s_wait_xcnt 0x0
	s_delay_alu instid0(VALU_DEP_1)
	v_add_nc_u64_e32 v[24:25], s[0:1], v[20:21]
	s_cbranch_scc1 .LBB103_2306
; %bb.2300:
	s_cmp_gt_i32 s6, 25
	s_mov_b32 s13, 0
	s_cbranch_scc0 .LBB103_2307
; %bb.2301:
	s_cmp_gt_i32 s6, 28
	s_cbranch_scc0 .LBB103_2308
; %bb.2302:
	s_cmp_gt_i32 s6, 43
	;; [unrolled: 3-line block ×3, first 2 shown]
	s_cbranch_scc0 .LBB103_2314
; %bb.2304:
	s_cmp_eq_u32 s6, 46
	s_mov_b32 s15, 0
	s_cbranch_scc0 .LBB103_2315
; %bb.2305:
	global_load_b32 v3, v[24:25], off
	s_mov_b32 s12, 0
	s_mov_b32 s14, -1
	s_wait_loadcnt 0x0
	v_lshlrev_b32_e32 v3, 16, v3
	s_delay_alu instid0(VALU_DEP_1)
	v_cvt_f64_f32_e32 v[20:21], v3
	s_branch .LBB103_2317
.LBB103_2306:
	s_mov_b32 s12, -1
	s_mov_b32 s14, 0
                                        ; implicit-def: $vgpr20_vgpr21
	s_branch .LBB103_2383
.LBB103_2307:
	s_mov_b32 s15, -1
	s_mov_b32 s14, 0
	s_mov_b32 s12, 0
                                        ; implicit-def: $vgpr20_vgpr21
	s_branch .LBB103_2346
.LBB103_2308:
	s_mov_b32 s15, -1
	s_mov_b32 s14, 0
	s_mov_b32 s12, 0
                                        ; implicit-def: $vgpr20_vgpr21
	s_branch .LBB103_2327
.LBB103_2309:
	s_or_b32 s9, s9, exec_lo
	s_trap 2
	s_cbranch_execz .LBB103_2227
	s_branch .LBB103_2228
.LBB103_2310:
	s_or_b32 s9, s9, exec_lo
	s_trap 2
	s_cbranch_execz .LBB103_2299
	s_branch .LBB103_3280
.LBB103_2311:
	s_mov_b32 s15, -1
	s_mov_b32 s14, 0
	s_mov_b32 s12, 0
                                        ; implicit-def: $vgpr20_vgpr21
	s_branch .LBB103_2322
.LBB103_2312:
	s_and_not1_saveexec_b32 s57, s57
	s_cbranch_execz .LBB103_1177
.LBB103_2313:
	v_add_f32_e64 v3, 0x42800000, |v2|
	s_and_not1_b32 s56, s56, exec_lo
	s_delay_alu instid0(VALU_DEP_1) | instskip(NEXT) | instid1(VALU_DEP_1)
	v_and_b32_e32 v3, 0xff, v3
	v_cmp_ne_u32_e32 vcc_lo, 0, v3
	s_and_b32 s58, vcc_lo, exec_lo
	s_delay_alu instid0(SALU_CYCLE_1)
	s_or_b32 s56, s56, s58
	s_or_b32 exec_lo, exec_lo, s57
	v_mov_b32_e32 v5, 0
	s_and_saveexec_b32 s57, s56
	s_cbranch_execnz .LBB103_1178
	s_branch .LBB103_1179
.LBB103_2314:
	s_mov_b32 s15, -1
	s_mov_b32 s14, 0
	s_mov_b32 s12, 0
	s_branch .LBB103_2316
.LBB103_2315:
	s_mov_b32 s12, -1
	s_mov_b32 s14, 0
.LBB103_2316:
                                        ; implicit-def: $vgpr20_vgpr21
.LBB103_2317:
	s_and_b32 vcc_lo, exec_lo, s15
	s_cbranch_vccz .LBB103_2321
; %bb.2318:
	s_cmp_eq_u32 s6, 44
	s_cbranch_scc0 .LBB103_2320
; %bb.2319:
	global_load_u8 v3, v[24:25], off
	s_mov_b32 s12, 0
	s_mov_b32 s14, -1
	s_wait_loadcnt 0x0
	v_lshlrev_b32_e32 v5, 23, v3
	v_cmp_ne_u32_e32 vcc_lo, 0xff, v3
	s_delay_alu instid0(VALU_DEP_2) | instskip(NEXT) | instid1(VALU_DEP_1)
	v_cvt_f64_f32_e32 v[20:21], v5
	v_cndmask_b32_e32 v5, 0x20000000, v20, vcc_lo
	s_delay_alu instid0(VALU_DEP_2) | instskip(SKIP_1) | instid1(VALU_DEP_2)
	v_cndmask_b32_e32 v7, 0x7ff80000, v21, vcc_lo
	v_cmp_ne_u32_e32 vcc_lo, 0, v3
	v_cndmask_b32_e32 v21, 0x38000000, v7, vcc_lo
	s_delay_alu instid0(VALU_DEP_4)
	v_cndmask_b32_e32 v20, 0, v5, vcc_lo
	s_branch .LBB103_2321
.LBB103_2320:
	s_mov_b32 s12, -1
                                        ; implicit-def: $vgpr20_vgpr21
.LBB103_2321:
	s_mov_b32 s15, 0
.LBB103_2322:
	s_delay_alu instid0(SALU_CYCLE_1)
	s_and_b32 vcc_lo, exec_lo, s15
	s_cbranch_vccz .LBB103_2326
; %bb.2323:
	s_cmp_eq_u32 s6, 29
	s_cbranch_scc0 .LBB103_2325
; %bb.2324:
	global_load_b64 v[20:21], v[24:25], off
	s_mov_b32 s12, 0
	s_mov_b32 s14, -1
	s_mov_b32 s15, 0
	s_wait_loadcnt 0x0
	v_cvt_f64_u32_e32 v[26:27], v21
	v_cvt_f64_u32_e32 v[20:21], v20
	s_delay_alu instid0(VALU_DEP_2) | instskip(NEXT) | instid1(VALU_DEP_1)
	v_ldexp_f64 v[26:27], v[26:27], 32
	v_add_f64_e32 v[20:21], v[26:27], v[20:21]
	s_branch .LBB103_2327
.LBB103_2325:
	s_mov_b32 s12, -1
                                        ; implicit-def: $vgpr20_vgpr21
.LBB103_2326:
	s_mov_b32 s15, 0
.LBB103_2327:
	s_delay_alu instid0(SALU_CYCLE_1)
	s_and_b32 vcc_lo, exec_lo, s15
	s_cbranch_vccz .LBB103_2345
; %bb.2328:
	s_cmp_lt_i32 s6, 27
	s_cbranch_scc1 .LBB103_2331
; %bb.2329:
	s_cmp_gt_i32 s6, 27
	s_cbranch_scc0 .LBB103_2332
; %bb.2330:
	global_load_b32 v3, v[24:25], off
	s_mov_b32 s14, 0
	s_wait_loadcnt 0x0
	v_cvt_f64_u32_e32 v[20:21], v3
	s_branch .LBB103_2333
.LBB103_2331:
	s_mov_b32 s14, -1
                                        ; implicit-def: $vgpr20_vgpr21
	s_branch .LBB103_2336
.LBB103_2332:
	s_mov_b32 s14, -1
                                        ; implicit-def: $vgpr20_vgpr21
.LBB103_2333:
	s_delay_alu instid0(SALU_CYCLE_1)
	s_and_not1_b32 vcc_lo, exec_lo, s14
	s_cbranch_vccnz .LBB103_2335
; %bb.2334:
	global_load_u16 v3, v[24:25], off
	s_wait_loadcnt 0x0
	v_cvt_f64_u32_e32 v[20:21], v3
.LBB103_2335:
	s_mov_b32 s14, 0
.LBB103_2336:
	s_delay_alu instid0(SALU_CYCLE_1)
	s_and_not1_b32 vcc_lo, exec_lo, s14
	s_cbranch_vccnz .LBB103_2344
; %bb.2337:
	global_load_u8 v3, v[24:25], off
	s_mov_b32 s14, 0
	s_mov_b32 s15, exec_lo
	s_wait_loadcnt 0x0
	v_cmpx_lt_i16_e32 0x7f, v3
	s_xor_b32 s15, exec_lo, s15
	s_cbranch_execz .LBB103_2358
; %bb.2338:
	s_mov_b32 s14, -1
	s_mov_b32 s16, exec_lo
	v_cmpx_eq_u16_e32 0x80, v3
; %bb.2339:
	s_xor_b32 s14, exec_lo, -1
; %bb.2340:
	s_or_b32 exec_lo, exec_lo, s16
	s_delay_alu instid0(SALU_CYCLE_1)
	s_and_b32 s14, s14, exec_lo
	s_or_saveexec_b32 s15, s15
	v_mov_b64_e32 v[20:21], 0x7ff8000020000000
	s_xor_b32 exec_lo, exec_lo, s15
	s_cbranch_execnz .LBB103_2359
.LBB103_2341:
	s_or_b32 exec_lo, exec_lo, s15
	s_and_saveexec_b32 s15, s14
	s_cbranch_execz .LBB103_2343
.LBB103_2342:
	v_and_b32_e32 v5, 0xffff, v3
	s_delay_alu instid0(VALU_DEP_1) | instskip(SKIP_1) | instid1(VALU_DEP_2)
	v_dual_lshlrev_b32 v3, 24, v3 :: v_dual_bitop2_b32 v7, 7, v5 bitop3:0x40
	v_bfe_u32 v17, v5, 3, 4
	v_and_b32_e32 v3, 0x80000000, v3
	s_delay_alu instid0(VALU_DEP_3) | instskip(NEXT) | instid1(VALU_DEP_3)
	v_clz_i32_u32_e32 v9, v7
	v_cmp_eq_u32_e32 vcc_lo, 0, v17
	s_delay_alu instid0(VALU_DEP_2) | instskip(NEXT) | instid1(VALU_DEP_1)
	v_min_u32_e32 v9, 32, v9
	v_subrev_nc_u32_e32 v11, 28, v9
	v_sub_nc_u32_e32 v9, 29, v9
	s_delay_alu instid0(VALU_DEP_2) | instskip(NEXT) | instid1(VALU_DEP_2)
	v_lshlrev_b32_e32 v5, v11, v5
	v_cndmask_b32_e32 v9, v17, v9, vcc_lo
	s_delay_alu instid0(VALU_DEP_2) | instskip(NEXT) | instid1(VALU_DEP_1)
	v_and_b32_e32 v5, 7, v5
	v_cndmask_b32_e32 v5, v7, v5, vcc_lo
	s_delay_alu instid0(VALU_DEP_3) | instskip(NEXT) | instid1(VALU_DEP_2)
	v_lshl_add_u32 v7, v9, 23, 0x3b800000
	v_lshlrev_b32_e32 v5, 20, v5
	s_delay_alu instid0(VALU_DEP_1) | instskip(NEXT) | instid1(VALU_DEP_1)
	v_or3_b32 v3, v3, v7, v5
	v_cvt_f64_f32_e32 v[20:21], v3
.LBB103_2343:
	s_or_b32 exec_lo, exec_lo, s15
.LBB103_2344:
	s_mov_b32 s14, -1
.LBB103_2345:
	s_mov_b32 s15, 0
.LBB103_2346:
	s_delay_alu instid0(SALU_CYCLE_1)
	s_and_b32 vcc_lo, exec_lo, s15
	s_cbranch_vccz .LBB103_2379
; %bb.2347:
	s_cmp_gt_i32 s6, 22
	s_cbranch_scc0 .LBB103_2357
; %bb.2348:
	s_cmp_lt_i32 s6, 24
	s_cbranch_scc1 .LBB103_2360
; %bb.2349:
	s_cmp_gt_i32 s6, 24
	s_cbranch_scc0 .LBB103_2361
; %bb.2350:
	global_load_u8 v3, v[24:25], off
	s_mov_b32 s14, exec_lo
	s_wait_loadcnt 0x0
	v_cmpx_lt_i16_e32 0x7f, v3
	s_xor_b32 s14, exec_lo, s14
	s_cbranch_execz .LBB103_2373
; %bb.2351:
	s_mov_b32 s13, -1
	s_mov_b32 s15, exec_lo
	v_cmpx_eq_u16_e32 0x80, v3
; %bb.2352:
	s_xor_b32 s13, exec_lo, -1
; %bb.2353:
	s_or_b32 exec_lo, exec_lo, s15
	s_delay_alu instid0(SALU_CYCLE_1)
	s_and_b32 s13, s13, exec_lo
	s_or_saveexec_b32 s14, s14
	v_mov_b64_e32 v[20:21], 0x7ff8000020000000
	s_xor_b32 exec_lo, exec_lo, s14
	s_cbranch_execnz .LBB103_2374
.LBB103_2354:
	s_or_b32 exec_lo, exec_lo, s14
	s_and_saveexec_b32 s14, s13
	s_cbranch_execz .LBB103_2356
.LBB103_2355:
	v_and_b32_e32 v5, 0xffff, v3
	s_delay_alu instid0(VALU_DEP_1) | instskip(SKIP_1) | instid1(VALU_DEP_2)
	v_dual_lshlrev_b32 v3, 24, v3 :: v_dual_bitop2_b32 v7, 3, v5 bitop3:0x40
	v_bfe_u32 v17, v5, 2, 5
	v_and_b32_e32 v3, 0x80000000, v3
	s_delay_alu instid0(VALU_DEP_3) | instskip(NEXT) | instid1(VALU_DEP_3)
	v_clz_i32_u32_e32 v9, v7
	v_cmp_eq_u32_e32 vcc_lo, 0, v17
	s_delay_alu instid0(VALU_DEP_2) | instskip(NEXT) | instid1(VALU_DEP_1)
	v_min_u32_e32 v9, 32, v9
	v_subrev_nc_u32_e32 v11, 29, v9
	v_sub_nc_u32_e32 v9, 30, v9
	s_delay_alu instid0(VALU_DEP_2) | instskip(NEXT) | instid1(VALU_DEP_2)
	v_lshlrev_b32_e32 v5, v11, v5
	v_cndmask_b32_e32 v9, v17, v9, vcc_lo
	s_delay_alu instid0(VALU_DEP_2) | instskip(NEXT) | instid1(VALU_DEP_1)
	v_and_b32_e32 v5, 3, v5
	v_cndmask_b32_e32 v5, v7, v5, vcc_lo
	s_delay_alu instid0(VALU_DEP_3) | instskip(NEXT) | instid1(VALU_DEP_2)
	v_lshl_add_u32 v7, v9, 23, 0x37800000
	v_lshlrev_b32_e32 v5, 21, v5
	s_delay_alu instid0(VALU_DEP_1) | instskip(NEXT) | instid1(VALU_DEP_1)
	v_or3_b32 v3, v3, v7, v5
	v_cvt_f64_f32_e32 v[20:21], v3
.LBB103_2356:
	s_or_b32 exec_lo, exec_lo, s14
	s_mov_b32 s13, 0
	s_branch .LBB103_2362
.LBB103_2357:
	s_mov_b32 s13, -1
                                        ; implicit-def: $vgpr20_vgpr21
	s_branch .LBB103_2368
.LBB103_2358:
	s_or_saveexec_b32 s15, s15
	v_mov_b64_e32 v[20:21], 0x7ff8000020000000
	s_xor_b32 exec_lo, exec_lo, s15
	s_cbranch_execz .LBB103_2341
.LBB103_2359:
	v_cmp_ne_u16_e32 vcc_lo, 0, v3
	v_mov_b64_e32 v[20:21], 0
	s_and_not1_b32 s14, s14, exec_lo
	s_and_b32 s16, vcc_lo, exec_lo
	s_delay_alu instid0(SALU_CYCLE_1)
	s_or_b32 s14, s14, s16
	s_or_b32 exec_lo, exec_lo, s15
	s_and_saveexec_b32 s15, s14
	s_cbranch_execnz .LBB103_2342
	s_branch .LBB103_2343
.LBB103_2360:
	s_mov_b32 s13, -1
                                        ; implicit-def: $vgpr20_vgpr21
	s_branch .LBB103_2365
.LBB103_2361:
	s_mov_b32 s13, -1
                                        ; implicit-def: $vgpr20_vgpr21
.LBB103_2362:
	s_delay_alu instid0(SALU_CYCLE_1)
	s_and_b32 vcc_lo, exec_lo, s13
	s_cbranch_vccz .LBB103_2364
; %bb.2363:
	global_load_u8 v3, v[24:25], off
	s_wait_loadcnt 0x0
	v_lshlrev_b32_e32 v3, 24, v3
	s_delay_alu instid0(VALU_DEP_1) | instskip(NEXT) | instid1(VALU_DEP_1)
	v_and_b32_e32 v5, 0x7f000000, v3
	v_clz_i32_u32_e32 v7, v5
	v_add_nc_u32_e32 v11, 0x1000000, v5
	v_cmp_ne_u32_e32 vcc_lo, 0, v5
	s_delay_alu instid0(VALU_DEP_3) | instskip(NEXT) | instid1(VALU_DEP_1)
	v_min_u32_e32 v7, 32, v7
	v_sub_nc_u32_e64 v7, v7, 4 clamp
	s_delay_alu instid0(VALU_DEP_1) | instskip(NEXT) | instid1(VALU_DEP_1)
	v_dual_lshlrev_b32 v9, v7, v5 :: v_dual_lshlrev_b32 v7, 23, v7
	v_lshrrev_b32_e32 v9, 4, v9
	s_delay_alu instid0(VALU_DEP_1) | instskip(SKIP_1) | instid1(VALU_DEP_2)
	v_sub_nc_u32_e32 v7, v9, v7
	v_ashrrev_i32_e32 v9, 8, v11
	v_add_nc_u32_e32 v7, 0x3c000000, v7
	s_delay_alu instid0(VALU_DEP_1) | instskip(NEXT) | instid1(VALU_DEP_1)
	v_and_or_b32 v7, 0x7f800000, v9, v7
	v_cndmask_b32_e32 v5, 0, v7, vcc_lo
	s_delay_alu instid0(VALU_DEP_1) | instskip(NEXT) | instid1(VALU_DEP_1)
	v_and_or_b32 v3, 0x80000000, v3, v5
	v_cvt_f64_f32_e32 v[20:21], v3
.LBB103_2364:
	s_mov_b32 s13, 0
.LBB103_2365:
	s_delay_alu instid0(SALU_CYCLE_1)
	s_and_not1_b32 vcc_lo, exec_lo, s13
	s_cbranch_vccnz .LBB103_2367
; %bb.2366:
	global_load_u8 v3, v[24:25], off
	s_wait_loadcnt 0x0
	v_lshlrev_b32_e32 v5, 25, v3
	v_lshlrev_b16 v3, 8, v3
	s_delay_alu instid0(VALU_DEP_1) | instskip(SKIP_1) | instid1(VALU_DEP_2)
	v_and_or_b32 v9, 0x7f00, v3, 0.5
	v_bfe_i32 v3, v3, 0, 16
	v_add_f32_e32 v9, -0.5, v9
	v_lshrrev_b32_e32 v7, 4, v5
	v_cmp_gt_u32_e32 vcc_lo, 0x8000000, v5
	s_delay_alu instid0(VALU_DEP_2) | instskip(NEXT) | instid1(VALU_DEP_1)
	v_or_b32_e32 v7, 0x70000000, v7
	v_mul_f32_e32 v7, 0x7800000, v7
	s_delay_alu instid0(VALU_DEP_1) | instskip(NEXT) | instid1(VALU_DEP_1)
	v_cndmask_b32_e32 v5, v7, v9, vcc_lo
	v_and_or_b32 v3, 0x80000000, v3, v5
	s_delay_alu instid0(VALU_DEP_1)
	v_cvt_f64_f32_e32 v[20:21], v3
.LBB103_2367:
	s_mov_b32 s13, 0
	s_mov_b32 s14, -1
.LBB103_2368:
	s_and_not1_b32 vcc_lo, exec_lo, s13
	s_mov_b32 s13, 0
	s_cbranch_vccnz .LBB103_2379
; %bb.2369:
	s_cmp_gt_i32 s6, 14
	s_cbranch_scc0 .LBB103_2372
; %bb.2370:
	s_cmp_eq_u32 s6, 15
	s_cbranch_scc0 .LBB103_2375
; %bb.2371:
	global_load_u16 v3, v[24:25], off
	s_mov_b32 s12, 0
	s_mov_b32 s14, -1
	s_wait_loadcnt 0x0
	v_lshlrev_b32_e32 v3, 16, v3
	s_delay_alu instid0(VALU_DEP_1)
	v_cvt_f64_f32_e32 v[20:21], v3
	s_branch .LBB103_2377
.LBB103_2372:
	s_mov_b32 s13, -1
	s_branch .LBB103_2376
.LBB103_2373:
	s_or_saveexec_b32 s14, s14
	v_mov_b64_e32 v[20:21], 0x7ff8000020000000
	s_xor_b32 exec_lo, exec_lo, s14
	s_cbranch_execz .LBB103_2354
.LBB103_2374:
	v_cmp_ne_u16_e32 vcc_lo, 0, v3
	v_mov_b64_e32 v[20:21], 0
	s_and_not1_b32 s13, s13, exec_lo
	s_and_b32 s15, vcc_lo, exec_lo
	s_delay_alu instid0(SALU_CYCLE_1)
	s_or_b32 s13, s13, s15
	s_or_b32 exec_lo, exec_lo, s14
	s_and_saveexec_b32 s14, s13
	s_cbranch_execnz .LBB103_2355
	s_branch .LBB103_2356
.LBB103_2375:
	s_mov_b32 s12, -1
.LBB103_2376:
                                        ; implicit-def: $vgpr20_vgpr21
.LBB103_2377:
	s_and_b32 vcc_lo, exec_lo, s13
	s_mov_b32 s13, 0
	s_cbranch_vccz .LBB103_2379
; %bb.2378:
	s_cmp_lg_u32 s6, 11
	s_mov_b32 s13, -1
	s_cselect_b32 s12, -1, 0
.LBB103_2379:
	s_delay_alu instid0(SALU_CYCLE_1)
	s_and_b32 vcc_lo, exec_lo, s12
	s_cbranch_vccnz .LBB103_2444
; %bb.2380:
	s_and_not1_b32 vcc_lo, exec_lo, s13
	s_cbranch_vccnz .LBB103_2382
.LBB103_2381:
	global_load_u8 v3, v[24:25], off
	v_mov_b32_e32 v20, 0
	s_mov_b32 s14, -1
	s_wait_loadcnt 0x0
	v_cmp_ne_u16_e32 vcc_lo, 0, v3
	v_cndmask_b32_e64 v21, 0, 0x3ff00000, vcc_lo
.LBB103_2382:
	s_mov_b32 s12, 0
.LBB103_2383:
	s_delay_alu instid0(SALU_CYCLE_1)
	s_and_b32 vcc_lo, exec_lo, s12
	s_cbranch_vccz .LBB103_2432
; %bb.2384:
	s_cmp_lt_i32 s6, 5
	s_cbranch_scc1 .LBB103_2389
; %bb.2385:
	s_cmp_lt_i32 s6, 8
	s_cbranch_scc1 .LBB103_2390
	;; [unrolled: 3-line block ×3, first 2 shown]
; %bb.2387:
	s_cmp_gt_i32 s6, 9
	s_cbranch_scc0 .LBB103_2392
; %bb.2388:
	global_load_b64 v[20:21], v[24:25], off
	s_mov_b32 s12, 0
	s_branch .LBB103_2393
.LBB103_2389:
	s_mov_b32 s12, -1
                                        ; implicit-def: $vgpr20_vgpr21
	s_branch .LBB103_2411
.LBB103_2390:
	s_mov_b32 s12, -1
                                        ; implicit-def: $vgpr20_vgpr21
	s_branch .LBB103_2399
.LBB103_2391:
	s_mov_b32 s12, -1
                                        ; implicit-def: $vgpr20_vgpr21
	s_branch .LBB103_2396
.LBB103_2392:
	s_mov_b32 s12, -1
                                        ; implicit-def: $vgpr20_vgpr21
.LBB103_2393:
	s_delay_alu instid0(SALU_CYCLE_1)
	s_and_not1_b32 vcc_lo, exec_lo, s12
	s_cbranch_vccnz .LBB103_2395
; %bb.2394:
	global_load_b32 v3, v[24:25], off
	s_wait_loadcnt 0x0
	v_cvt_f64_f32_e32 v[20:21], v3
.LBB103_2395:
	s_mov_b32 s12, 0
.LBB103_2396:
	s_delay_alu instid0(SALU_CYCLE_1)
	s_and_not1_b32 vcc_lo, exec_lo, s12
	s_cbranch_vccnz .LBB103_2398
; %bb.2397:
	global_load_b32 v3, v[24:25], off
	s_wait_loadcnt 0x0
	v_cvt_f32_f16_e32 v3, v3
	s_delay_alu instid0(VALU_DEP_1)
	v_cvt_f64_f32_e32 v[20:21], v3
.LBB103_2398:
	s_mov_b32 s12, 0
.LBB103_2399:
	s_delay_alu instid0(SALU_CYCLE_1)
	s_and_not1_b32 vcc_lo, exec_lo, s12
	s_cbranch_vccnz .LBB103_2410
; %bb.2400:
	s_cmp_lt_i32 s6, 6
	s_cbranch_scc1 .LBB103_2403
; %bb.2401:
	s_cmp_gt_i32 s6, 6
	s_cbranch_scc0 .LBB103_2404
; %bb.2402:
	s_wait_loadcnt 0x0
	global_load_b64 v[20:21], v[24:25], off
	s_mov_b32 s12, 0
	s_branch .LBB103_2405
.LBB103_2403:
	s_mov_b32 s12, -1
                                        ; implicit-def: $vgpr20_vgpr21
	s_branch .LBB103_2408
.LBB103_2404:
	s_mov_b32 s12, -1
                                        ; implicit-def: $vgpr20_vgpr21
.LBB103_2405:
	s_delay_alu instid0(SALU_CYCLE_1)
	s_and_not1_b32 vcc_lo, exec_lo, s12
	s_cbranch_vccnz .LBB103_2407
; %bb.2406:
	global_load_b32 v3, v[24:25], off
	s_wait_loadcnt 0x0
	v_cvt_f64_f32_e32 v[20:21], v3
.LBB103_2407:
	s_mov_b32 s12, 0
.LBB103_2408:
	s_delay_alu instid0(SALU_CYCLE_1)
	s_and_not1_b32 vcc_lo, exec_lo, s12
	s_cbranch_vccnz .LBB103_2410
; %bb.2409:
	global_load_u16 v3, v[24:25], off
	s_wait_loadcnt 0x0
	v_cvt_f32_f16_e32 v3, v3
	s_delay_alu instid0(VALU_DEP_1)
	v_cvt_f64_f32_e32 v[20:21], v3
.LBB103_2410:
	s_mov_b32 s12, 0
.LBB103_2411:
	s_delay_alu instid0(SALU_CYCLE_1)
	s_and_not1_b32 vcc_lo, exec_lo, s12
	s_cbranch_vccnz .LBB103_2431
; %bb.2412:
	s_cmp_lt_i32 s6, 2
	s_cbranch_scc1 .LBB103_2416
; %bb.2413:
	s_cmp_lt_i32 s6, 3
	s_cbranch_scc1 .LBB103_2417
; %bb.2414:
	s_cmp_gt_i32 s6, 3
	s_cbranch_scc0 .LBB103_2418
; %bb.2415:
	s_wait_loadcnt 0x0
	global_load_b64 v[20:21], v[24:25], off
	s_mov_b32 s12, 0
	s_wait_loadcnt 0x0
	v_cvt_f64_i32_e32 v[26:27], v21
	v_cvt_f64_u32_e32 v[20:21], v20
	s_delay_alu instid0(VALU_DEP_2) | instskip(NEXT) | instid1(VALU_DEP_1)
	v_ldexp_f64 v[26:27], v[26:27], 32
	v_add_f64_e32 v[20:21], v[26:27], v[20:21]
	s_branch .LBB103_2419
.LBB103_2416:
	s_mov_b32 s12, -1
                                        ; implicit-def: $vgpr20_vgpr21
	s_branch .LBB103_2425
.LBB103_2417:
	s_mov_b32 s12, -1
                                        ; implicit-def: $vgpr20_vgpr21
	s_branch .LBB103_2422
.LBB103_2418:
	s_mov_b32 s12, -1
                                        ; implicit-def: $vgpr20_vgpr21
.LBB103_2419:
	s_delay_alu instid0(SALU_CYCLE_1)
	s_and_not1_b32 vcc_lo, exec_lo, s12
	s_cbranch_vccnz .LBB103_2421
; %bb.2420:
	global_load_b32 v3, v[24:25], off
	s_wait_loadcnt 0x0
	v_cvt_f64_i32_e32 v[20:21], v3
.LBB103_2421:
	s_mov_b32 s12, 0
.LBB103_2422:
	s_delay_alu instid0(SALU_CYCLE_1)
	s_and_not1_b32 vcc_lo, exec_lo, s12
	s_cbranch_vccnz .LBB103_2424
; %bb.2423:
	global_load_i16 v3, v[24:25], off
	s_wait_loadcnt 0x0
	v_cvt_f64_i32_e32 v[20:21], v3
.LBB103_2424:
	s_mov_b32 s12, 0
.LBB103_2425:
	s_delay_alu instid0(SALU_CYCLE_1)
	s_and_not1_b32 vcc_lo, exec_lo, s12
	s_cbranch_vccnz .LBB103_2431
; %bb.2426:
	s_cmp_gt_i32 s6, 0
	s_mov_b32 s12, 0
	s_cbranch_scc0 .LBB103_2428
; %bb.2427:
	global_load_i8 v3, v[24:25], off
	s_wait_loadcnt 0x0
	v_cvt_f64_i32_e32 v[20:21], v3
	s_branch .LBB103_2429
.LBB103_2428:
	s_mov_b32 s12, -1
                                        ; implicit-def: $vgpr20_vgpr21
.LBB103_2429:
	s_delay_alu instid0(SALU_CYCLE_1)
	s_and_not1_b32 vcc_lo, exec_lo, s12
	s_cbranch_vccnz .LBB103_2431
; %bb.2430:
	global_load_u8 v3, v[24:25], off
	s_wait_loadcnt 0x0
	v_cvt_f64_u32_e32 v[20:21], v3
.LBB103_2431:
	s_mov_b32 s14, -1
.LBB103_2432:
	s_delay_alu instid0(SALU_CYCLE_1)
	s_and_not1_b32 vcc_lo, exec_lo, s14
	s_cbranch_vccnz .LBB103_3280
; %bb.2433:
	v_mov_b32_e32 v23, 0
	s_cmp_lt_i32 s10, 11
	s_wait_xcnt 0x0
	s_delay_alu instid0(VALU_DEP_1)
	v_add_nc_u64_e32 v[24:25], s[4:5], v[22:23]
	s_cbranch_scc1 .LBB103_2440
; %bb.2434:
	s_cmp_gt_i32 s10, 25
	s_mov_b32 s13, 0
	s_cbranch_scc0 .LBB103_2441
; %bb.2435:
	s_cmp_gt_i32 s10, 28
	s_cbranch_scc0 .LBB103_2442
; %bb.2436:
	s_cmp_gt_i32 s10, 43
	;; [unrolled: 3-line block ×3, first 2 shown]
	s_cbranch_scc0 .LBB103_2445
; %bb.2438:
	s_cmp_eq_u32 s10, 46
	s_mov_b32 s15, 0
	s_cbranch_scc0 .LBB103_2446
; %bb.2439:
	global_load_b32 v3, v[24:25], off
	s_mov_b32 s12, 0
	s_mov_b32 s14, -1
	s_wait_loadcnt 0x0
	v_lshlrev_b32_e32 v3, 16, v3
	s_delay_alu instid0(VALU_DEP_1)
	v_cvt_f64_f32_e32 v[22:23], v3
	s_branch .LBB103_2448
.LBB103_2440:
	s_mov_b32 s12, -1
	s_mov_b32 s14, 0
                                        ; implicit-def: $vgpr22_vgpr23
	s_branch .LBB103_2514
.LBB103_2441:
	s_mov_b32 s15, -1
	s_mov_b32 s14, 0
	s_mov_b32 s12, 0
                                        ; implicit-def: $vgpr22_vgpr23
	s_branch .LBB103_2477
.LBB103_2442:
	s_mov_b32 s15, -1
	s_mov_b32 s14, 0
	s_mov_b32 s12, 0
                                        ; implicit-def: $vgpr22_vgpr23
	s_branch .LBB103_2458
.LBB103_2443:
	s_mov_b32 s15, -1
	s_mov_b32 s14, 0
	s_mov_b32 s12, 0
                                        ; implicit-def: $vgpr22_vgpr23
	s_branch .LBB103_2453
.LBB103_2444:
	s_or_b32 s9, s9, exec_lo
	s_trap 2
	s_cbranch_execz .LBB103_2381
	s_branch .LBB103_2382
.LBB103_2445:
	s_mov_b32 s15, -1
	s_mov_b32 s14, 0
	s_mov_b32 s12, 0
	s_branch .LBB103_2447
.LBB103_2446:
	s_mov_b32 s12, -1
	s_mov_b32 s14, 0
.LBB103_2447:
                                        ; implicit-def: $vgpr22_vgpr23
.LBB103_2448:
	s_and_b32 vcc_lo, exec_lo, s15
	s_cbranch_vccz .LBB103_2452
; %bb.2449:
	s_cmp_eq_u32 s10, 44
	s_cbranch_scc0 .LBB103_2451
; %bb.2450:
	global_load_u8 v3, v[24:25], off
	s_mov_b32 s12, 0
	s_mov_b32 s14, -1
	s_wait_loadcnt 0x0
	v_lshlrev_b32_e32 v5, 23, v3
	v_cmp_ne_u32_e32 vcc_lo, 0xff, v3
	s_delay_alu instid0(VALU_DEP_2) | instskip(NEXT) | instid1(VALU_DEP_1)
	v_cvt_f64_f32_e32 v[22:23], v5
	v_cndmask_b32_e32 v5, 0x20000000, v22, vcc_lo
	s_delay_alu instid0(VALU_DEP_2) | instskip(SKIP_1) | instid1(VALU_DEP_2)
	v_cndmask_b32_e32 v7, 0x7ff80000, v23, vcc_lo
	v_cmp_ne_u32_e32 vcc_lo, 0, v3
	v_cndmask_b32_e32 v23, 0x38000000, v7, vcc_lo
	s_delay_alu instid0(VALU_DEP_4)
	v_cndmask_b32_e32 v22, 0, v5, vcc_lo
	s_branch .LBB103_2452
.LBB103_2451:
	s_mov_b32 s12, -1
                                        ; implicit-def: $vgpr22_vgpr23
.LBB103_2452:
	s_mov_b32 s15, 0
.LBB103_2453:
	s_delay_alu instid0(SALU_CYCLE_1)
	s_and_b32 vcc_lo, exec_lo, s15
	s_cbranch_vccz .LBB103_2457
; %bb.2454:
	s_cmp_eq_u32 s10, 29
	s_cbranch_scc0 .LBB103_2456
; %bb.2455:
	global_load_b64 v[22:23], v[24:25], off
	s_mov_b32 s12, 0
	s_mov_b32 s14, -1
	s_mov_b32 s15, 0
	s_wait_loadcnt 0x0
	v_cvt_f64_u32_e32 v[26:27], v23
	v_cvt_f64_u32_e32 v[22:23], v22
	s_delay_alu instid0(VALU_DEP_2) | instskip(NEXT) | instid1(VALU_DEP_1)
	v_ldexp_f64 v[26:27], v[26:27], 32
	v_add_f64_e32 v[22:23], v[26:27], v[22:23]
	s_branch .LBB103_2458
.LBB103_2456:
	s_mov_b32 s12, -1
                                        ; implicit-def: $vgpr22_vgpr23
.LBB103_2457:
	s_mov_b32 s15, 0
.LBB103_2458:
	s_delay_alu instid0(SALU_CYCLE_1)
	s_and_b32 vcc_lo, exec_lo, s15
	s_cbranch_vccz .LBB103_2476
; %bb.2459:
	s_cmp_lt_i32 s10, 27
	s_cbranch_scc1 .LBB103_2462
; %bb.2460:
	s_cmp_gt_i32 s10, 27
	s_cbranch_scc0 .LBB103_2463
; %bb.2461:
	global_load_b32 v3, v[24:25], off
	s_mov_b32 s14, 0
	s_wait_loadcnt 0x0
	v_cvt_f64_u32_e32 v[22:23], v3
	s_branch .LBB103_2464
.LBB103_2462:
	s_mov_b32 s14, -1
                                        ; implicit-def: $vgpr22_vgpr23
	s_branch .LBB103_2467
.LBB103_2463:
	s_mov_b32 s14, -1
                                        ; implicit-def: $vgpr22_vgpr23
.LBB103_2464:
	s_delay_alu instid0(SALU_CYCLE_1)
	s_and_not1_b32 vcc_lo, exec_lo, s14
	s_cbranch_vccnz .LBB103_2466
; %bb.2465:
	global_load_u16 v3, v[24:25], off
	s_wait_loadcnt 0x0
	v_cvt_f64_u32_e32 v[22:23], v3
.LBB103_2466:
	s_mov_b32 s14, 0
.LBB103_2467:
	s_delay_alu instid0(SALU_CYCLE_1)
	s_and_not1_b32 vcc_lo, exec_lo, s14
	s_cbranch_vccnz .LBB103_2475
; %bb.2468:
	global_load_u8 v3, v[24:25], off
	s_mov_b32 s14, 0
	s_mov_b32 s15, exec_lo
	s_wait_loadcnt 0x0
	v_cmpx_lt_i16_e32 0x7f, v3
	s_xor_b32 s15, exec_lo, s15
	s_cbranch_execz .LBB103_2489
; %bb.2469:
	s_mov_b32 s14, -1
	s_mov_b32 s16, exec_lo
	v_cmpx_eq_u16_e32 0x80, v3
; %bb.2470:
	s_xor_b32 s14, exec_lo, -1
; %bb.2471:
	s_or_b32 exec_lo, exec_lo, s16
	s_delay_alu instid0(SALU_CYCLE_1)
	s_and_b32 s14, s14, exec_lo
	s_or_saveexec_b32 s15, s15
	v_mov_b64_e32 v[22:23], 0x7ff8000020000000
	s_xor_b32 exec_lo, exec_lo, s15
	s_cbranch_execnz .LBB103_2490
.LBB103_2472:
	s_or_b32 exec_lo, exec_lo, s15
	s_and_saveexec_b32 s15, s14
	s_cbranch_execz .LBB103_2474
.LBB103_2473:
	v_and_b32_e32 v5, 0xffff, v3
	s_delay_alu instid0(VALU_DEP_1) | instskip(SKIP_1) | instid1(VALU_DEP_2)
	v_dual_lshlrev_b32 v3, 24, v3 :: v_dual_bitop2_b32 v7, 7, v5 bitop3:0x40
	v_bfe_u32 v17, v5, 3, 4
	v_and_b32_e32 v3, 0x80000000, v3
	s_delay_alu instid0(VALU_DEP_3) | instskip(NEXT) | instid1(VALU_DEP_3)
	v_clz_i32_u32_e32 v9, v7
	v_cmp_eq_u32_e32 vcc_lo, 0, v17
	s_delay_alu instid0(VALU_DEP_2) | instskip(NEXT) | instid1(VALU_DEP_1)
	v_min_u32_e32 v9, 32, v9
	v_subrev_nc_u32_e32 v11, 28, v9
	v_sub_nc_u32_e32 v9, 29, v9
	s_delay_alu instid0(VALU_DEP_2) | instskip(NEXT) | instid1(VALU_DEP_2)
	v_lshlrev_b32_e32 v5, v11, v5
	v_cndmask_b32_e32 v9, v17, v9, vcc_lo
	s_delay_alu instid0(VALU_DEP_2) | instskip(NEXT) | instid1(VALU_DEP_1)
	v_and_b32_e32 v5, 7, v5
	v_cndmask_b32_e32 v5, v7, v5, vcc_lo
	s_delay_alu instid0(VALU_DEP_3) | instskip(NEXT) | instid1(VALU_DEP_2)
	v_lshl_add_u32 v7, v9, 23, 0x3b800000
	v_lshlrev_b32_e32 v5, 20, v5
	s_delay_alu instid0(VALU_DEP_1) | instskip(NEXT) | instid1(VALU_DEP_1)
	v_or3_b32 v3, v3, v7, v5
	v_cvt_f64_f32_e32 v[22:23], v3
.LBB103_2474:
	s_or_b32 exec_lo, exec_lo, s15
.LBB103_2475:
	s_mov_b32 s14, -1
.LBB103_2476:
	s_mov_b32 s15, 0
.LBB103_2477:
	s_delay_alu instid0(SALU_CYCLE_1)
	s_and_b32 vcc_lo, exec_lo, s15
	s_cbranch_vccz .LBB103_2510
; %bb.2478:
	s_cmp_gt_i32 s10, 22
	s_cbranch_scc0 .LBB103_2488
; %bb.2479:
	s_cmp_lt_i32 s10, 24
	s_cbranch_scc1 .LBB103_2491
; %bb.2480:
	s_cmp_gt_i32 s10, 24
	s_cbranch_scc0 .LBB103_2492
; %bb.2481:
	global_load_u8 v3, v[24:25], off
	s_mov_b32 s14, exec_lo
	s_wait_loadcnt 0x0
	v_cmpx_lt_i16_e32 0x7f, v3
	s_xor_b32 s14, exec_lo, s14
	s_cbranch_execz .LBB103_2504
; %bb.2482:
	s_mov_b32 s13, -1
	s_mov_b32 s15, exec_lo
	v_cmpx_eq_u16_e32 0x80, v3
; %bb.2483:
	s_xor_b32 s13, exec_lo, -1
; %bb.2484:
	s_or_b32 exec_lo, exec_lo, s15
	s_delay_alu instid0(SALU_CYCLE_1)
	s_and_b32 s13, s13, exec_lo
	s_or_saveexec_b32 s14, s14
	v_mov_b64_e32 v[22:23], 0x7ff8000020000000
	s_xor_b32 exec_lo, exec_lo, s14
	s_cbranch_execnz .LBB103_2505
.LBB103_2485:
	s_or_b32 exec_lo, exec_lo, s14
	s_and_saveexec_b32 s14, s13
	s_cbranch_execz .LBB103_2487
.LBB103_2486:
	v_and_b32_e32 v5, 0xffff, v3
	s_delay_alu instid0(VALU_DEP_1) | instskip(SKIP_1) | instid1(VALU_DEP_2)
	v_dual_lshlrev_b32 v3, 24, v3 :: v_dual_bitop2_b32 v7, 3, v5 bitop3:0x40
	v_bfe_u32 v17, v5, 2, 5
	v_and_b32_e32 v3, 0x80000000, v3
	s_delay_alu instid0(VALU_DEP_3) | instskip(NEXT) | instid1(VALU_DEP_3)
	v_clz_i32_u32_e32 v9, v7
	v_cmp_eq_u32_e32 vcc_lo, 0, v17
	s_delay_alu instid0(VALU_DEP_2) | instskip(NEXT) | instid1(VALU_DEP_1)
	v_min_u32_e32 v9, 32, v9
	v_subrev_nc_u32_e32 v11, 29, v9
	v_sub_nc_u32_e32 v9, 30, v9
	s_delay_alu instid0(VALU_DEP_2) | instskip(NEXT) | instid1(VALU_DEP_2)
	v_lshlrev_b32_e32 v5, v11, v5
	v_cndmask_b32_e32 v9, v17, v9, vcc_lo
	s_delay_alu instid0(VALU_DEP_2) | instskip(NEXT) | instid1(VALU_DEP_1)
	v_and_b32_e32 v5, 3, v5
	v_cndmask_b32_e32 v5, v7, v5, vcc_lo
	s_delay_alu instid0(VALU_DEP_3) | instskip(NEXT) | instid1(VALU_DEP_2)
	v_lshl_add_u32 v7, v9, 23, 0x37800000
	v_lshlrev_b32_e32 v5, 21, v5
	s_delay_alu instid0(VALU_DEP_1) | instskip(NEXT) | instid1(VALU_DEP_1)
	v_or3_b32 v3, v3, v7, v5
	v_cvt_f64_f32_e32 v[22:23], v3
.LBB103_2487:
	s_or_b32 exec_lo, exec_lo, s14
	s_mov_b32 s13, 0
	s_branch .LBB103_2493
.LBB103_2488:
	s_mov_b32 s13, -1
                                        ; implicit-def: $vgpr22_vgpr23
	s_branch .LBB103_2499
.LBB103_2489:
	s_or_saveexec_b32 s15, s15
	v_mov_b64_e32 v[22:23], 0x7ff8000020000000
	s_xor_b32 exec_lo, exec_lo, s15
	s_cbranch_execz .LBB103_2472
.LBB103_2490:
	v_cmp_ne_u16_e32 vcc_lo, 0, v3
	v_mov_b64_e32 v[22:23], 0
	s_and_not1_b32 s14, s14, exec_lo
	s_and_b32 s16, vcc_lo, exec_lo
	s_delay_alu instid0(SALU_CYCLE_1)
	s_or_b32 s14, s14, s16
	s_or_b32 exec_lo, exec_lo, s15
	s_and_saveexec_b32 s15, s14
	s_cbranch_execnz .LBB103_2473
	s_branch .LBB103_2474
.LBB103_2491:
	s_mov_b32 s13, -1
                                        ; implicit-def: $vgpr22_vgpr23
	s_branch .LBB103_2496
.LBB103_2492:
	s_mov_b32 s13, -1
                                        ; implicit-def: $vgpr22_vgpr23
.LBB103_2493:
	s_delay_alu instid0(SALU_CYCLE_1)
	s_and_b32 vcc_lo, exec_lo, s13
	s_cbranch_vccz .LBB103_2495
; %bb.2494:
	global_load_u8 v3, v[24:25], off
	s_wait_loadcnt 0x0
	v_lshlrev_b32_e32 v3, 24, v3
	s_delay_alu instid0(VALU_DEP_1) | instskip(NEXT) | instid1(VALU_DEP_1)
	v_and_b32_e32 v5, 0x7f000000, v3
	v_clz_i32_u32_e32 v7, v5
	v_add_nc_u32_e32 v11, 0x1000000, v5
	v_cmp_ne_u32_e32 vcc_lo, 0, v5
	s_delay_alu instid0(VALU_DEP_3) | instskip(NEXT) | instid1(VALU_DEP_1)
	v_min_u32_e32 v7, 32, v7
	v_sub_nc_u32_e64 v7, v7, 4 clamp
	s_delay_alu instid0(VALU_DEP_1) | instskip(NEXT) | instid1(VALU_DEP_1)
	v_dual_lshlrev_b32 v9, v7, v5 :: v_dual_lshlrev_b32 v7, 23, v7
	v_lshrrev_b32_e32 v9, 4, v9
	s_delay_alu instid0(VALU_DEP_1) | instskip(SKIP_1) | instid1(VALU_DEP_2)
	v_sub_nc_u32_e32 v7, v9, v7
	v_ashrrev_i32_e32 v9, 8, v11
	v_add_nc_u32_e32 v7, 0x3c000000, v7
	s_delay_alu instid0(VALU_DEP_1) | instskip(NEXT) | instid1(VALU_DEP_1)
	v_and_or_b32 v7, 0x7f800000, v9, v7
	v_cndmask_b32_e32 v5, 0, v7, vcc_lo
	s_delay_alu instid0(VALU_DEP_1) | instskip(NEXT) | instid1(VALU_DEP_1)
	v_and_or_b32 v3, 0x80000000, v3, v5
	v_cvt_f64_f32_e32 v[22:23], v3
.LBB103_2495:
	s_mov_b32 s13, 0
.LBB103_2496:
	s_delay_alu instid0(SALU_CYCLE_1)
	s_and_not1_b32 vcc_lo, exec_lo, s13
	s_cbranch_vccnz .LBB103_2498
; %bb.2497:
	global_load_u8 v3, v[24:25], off
	s_wait_loadcnt 0x0
	v_lshlrev_b32_e32 v5, 25, v3
	v_lshlrev_b16 v3, 8, v3
	s_delay_alu instid0(VALU_DEP_1) | instskip(SKIP_1) | instid1(VALU_DEP_2)
	v_and_or_b32 v9, 0x7f00, v3, 0.5
	v_bfe_i32 v3, v3, 0, 16
	v_add_f32_e32 v9, -0.5, v9
	v_lshrrev_b32_e32 v7, 4, v5
	v_cmp_gt_u32_e32 vcc_lo, 0x8000000, v5
	s_delay_alu instid0(VALU_DEP_2) | instskip(NEXT) | instid1(VALU_DEP_1)
	v_or_b32_e32 v7, 0x70000000, v7
	v_mul_f32_e32 v7, 0x7800000, v7
	s_delay_alu instid0(VALU_DEP_1) | instskip(NEXT) | instid1(VALU_DEP_1)
	v_cndmask_b32_e32 v5, v7, v9, vcc_lo
	v_and_or_b32 v3, 0x80000000, v3, v5
	s_delay_alu instid0(VALU_DEP_1)
	v_cvt_f64_f32_e32 v[22:23], v3
.LBB103_2498:
	s_mov_b32 s13, 0
	s_mov_b32 s14, -1
.LBB103_2499:
	s_and_not1_b32 vcc_lo, exec_lo, s13
	s_mov_b32 s13, 0
	s_cbranch_vccnz .LBB103_2510
; %bb.2500:
	s_cmp_gt_i32 s10, 14
	s_cbranch_scc0 .LBB103_2503
; %bb.2501:
	s_cmp_eq_u32 s10, 15
	s_cbranch_scc0 .LBB103_2506
; %bb.2502:
	global_load_u16 v3, v[24:25], off
	s_mov_b32 s12, 0
	s_mov_b32 s14, -1
	s_wait_loadcnt 0x0
	v_lshlrev_b32_e32 v3, 16, v3
	s_delay_alu instid0(VALU_DEP_1)
	v_cvt_f64_f32_e32 v[22:23], v3
	s_branch .LBB103_2508
.LBB103_2503:
	s_mov_b32 s13, -1
	s_branch .LBB103_2507
.LBB103_2504:
	s_or_saveexec_b32 s14, s14
	v_mov_b64_e32 v[22:23], 0x7ff8000020000000
	s_xor_b32 exec_lo, exec_lo, s14
	s_cbranch_execz .LBB103_2485
.LBB103_2505:
	v_cmp_ne_u16_e32 vcc_lo, 0, v3
	v_mov_b64_e32 v[22:23], 0
	s_and_not1_b32 s13, s13, exec_lo
	s_and_b32 s15, vcc_lo, exec_lo
	s_delay_alu instid0(SALU_CYCLE_1)
	s_or_b32 s13, s13, s15
	s_or_b32 exec_lo, exec_lo, s14
	s_and_saveexec_b32 s14, s13
	s_cbranch_execnz .LBB103_2486
	s_branch .LBB103_2487
.LBB103_2506:
	s_mov_b32 s12, -1
.LBB103_2507:
                                        ; implicit-def: $vgpr22_vgpr23
.LBB103_2508:
	s_and_b32 vcc_lo, exec_lo, s13
	s_mov_b32 s13, 0
	s_cbranch_vccz .LBB103_2510
; %bb.2509:
	s_cmp_lg_u32 s10, 11
	s_mov_b32 s13, -1
	s_cselect_b32 s12, -1, 0
.LBB103_2510:
	s_delay_alu instid0(SALU_CYCLE_1)
	s_and_b32 vcc_lo, exec_lo, s12
	s_cbranch_vccnz .LBB103_2594
; %bb.2511:
	s_and_not1_b32 vcc_lo, exec_lo, s13
	s_cbranch_vccnz .LBB103_2513
.LBB103_2512:
	global_load_u8 v3, v[24:25], off
	v_mov_b32_e32 v22, 0
	s_mov_b32 s14, -1
	s_wait_loadcnt 0x0
	v_cmp_ne_u16_e32 vcc_lo, 0, v3
	v_cndmask_b32_e64 v23, 0, 0x3ff00000, vcc_lo
.LBB103_2513:
	s_mov_b32 s12, 0
.LBB103_2514:
	s_delay_alu instid0(SALU_CYCLE_1)
	s_and_b32 vcc_lo, exec_lo, s12
	s_cbranch_vccz .LBB103_2563
; %bb.2515:
	s_cmp_lt_i32 s10, 5
	s_cbranch_scc1 .LBB103_2520
; %bb.2516:
	s_cmp_lt_i32 s10, 8
	s_cbranch_scc1 .LBB103_2521
; %bb.2517:
	s_cmp_lt_i32 s10, 9
	s_cbranch_scc1 .LBB103_2522
; %bb.2518:
	s_cmp_gt_i32 s10, 9
	s_cbranch_scc0 .LBB103_2523
; %bb.2519:
	global_load_b64 v[22:23], v[24:25], off
	s_mov_b32 s12, 0
	s_branch .LBB103_2524
.LBB103_2520:
	s_mov_b32 s12, -1
                                        ; implicit-def: $vgpr22_vgpr23
	s_branch .LBB103_2542
.LBB103_2521:
	s_mov_b32 s12, -1
                                        ; implicit-def: $vgpr22_vgpr23
	s_branch .LBB103_2530
.LBB103_2522:
	s_mov_b32 s12, -1
                                        ; implicit-def: $vgpr22_vgpr23
	s_branch .LBB103_2527
.LBB103_2523:
	s_mov_b32 s12, -1
                                        ; implicit-def: $vgpr22_vgpr23
.LBB103_2524:
	s_delay_alu instid0(SALU_CYCLE_1)
	s_and_not1_b32 vcc_lo, exec_lo, s12
	s_cbranch_vccnz .LBB103_2526
; %bb.2525:
	global_load_b32 v3, v[24:25], off
	s_wait_loadcnt 0x0
	v_cvt_f64_f32_e32 v[22:23], v3
.LBB103_2526:
	s_mov_b32 s12, 0
.LBB103_2527:
	s_delay_alu instid0(SALU_CYCLE_1)
	s_and_not1_b32 vcc_lo, exec_lo, s12
	s_cbranch_vccnz .LBB103_2529
; %bb.2528:
	global_load_b32 v3, v[24:25], off
	s_wait_loadcnt 0x0
	v_cvt_f32_f16_e32 v3, v3
	s_delay_alu instid0(VALU_DEP_1)
	v_cvt_f64_f32_e32 v[22:23], v3
.LBB103_2529:
	s_mov_b32 s12, 0
.LBB103_2530:
	s_delay_alu instid0(SALU_CYCLE_1)
	s_and_not1_b32 vcc_lo, exec_lo, s12
	s_cbranch_vccnz .LBB103_2541
; %bb.2531:
	s_cmp_lt_i32 s10, 6
	s_cbranch_scc1 .LBB103_2534
; %bb.2532:
	s_cmp_gt_i32 s10, 6
	s_cbranch_scc0 .LBB103_2535
; %bb.2533:
	s_wait_loadcnt 0x0
	global_load_b64 v[22:23], v[24:25], off
	s_mov_b32 s12, 0
	s_branch .LBB103_2536
.LBB103_2534:
	s_mov_b32 s12, -1
                                        ; implicit-def: $vgpr22_vgpr23
	s_branch .LBB103_2539
.LBB103_2535:
	s_mov_b32 s12, -1
                                        ; implicit-def: $vgpr22_vgpr23
.LBB103_2536:
	s_delay_alu instid0(SALU_CYCLE_1)
	s_and_not1_b32 vcc_lo, exec_lo, s12
	s_cbranch_vccnz .LBB103_2538
; %bb.2537:
	global_load_b32 v3, v[24:25], off
	s_wait_loadcnt 0x0
	v_cvt_f64_f32_e32 v[22:23], v3
.LBB103_2538:
	s_mov_b32 s12, 0
.LBB103_2539:
	s_delay_alu instid0(SALU_CYCLE_1)
	s_and_not1_b32 vcc_lo, exec_lo, s12
	s_cbranch_vccnz .LBB103_2541
; %bb.2540:
	global_load_u16 v3, v[24:25], off
	s_wait_loadcnt 0x0
	v_cvt_f32_f16_e32 v3, v3
	s_delay_alu instid0(VALU_DEP_1)
	v_cvt_f64_f32_e32 v[22:23], v3
.LBB103_2541:
	s_mov_b32 s12, 0
.LBB103_2542:
	s_delay_alu instid0(SALU_CYCLE_1)
	s_and_not1_b32 vcc_lo, exec_lo, s12
	s_cbranch_vccnz .LBB103_2562
; %bb.2543:
	s_cmp_lt_i32 s10, 2
	s_cbranch_scc1 .LBB103_2547
; %bb.2544:
	s_cmp_lt_i32 s10, 3
	s_cbranch_scc1 .LBB103_2548
; %bb.2545:
	s_cmp_gt_i32 s10, 3
	s_cbranch_scc0 .LBB103_2549
; %bb.2546:
	s_wait_loadcnt 0x0
	global_load_b64 v[22:23], v[24:25], off
	s_mov_b32 s12, 0
	s_wait_loadcnt 0x0
	v_cvt_f64_i32_e32 v[26:27], v23
	v_cvt_f64_u32_e32 v[22:23], v22
	s_delay_alu instid0(VALU_DEP_2) | instskip(NEXT) | instid1(VALU_DEP_1)
	v_ldexp_f64 v[26:27], v[26:27], 32
	v_add_f64_e32 v[22:23], v[26:27], v[22:23]
	s_branch .LBB103_2550
.LBB103_2547:
	s_mov_b32 s12, -1
                                        ; implicit-def: $vgpr22_vgpr23
	s_branch .LBB103_2556
.LBB103_2548:
	s_mov_b32 s12, -1
                                        ; implicit-def: $vgpr22_vgpr23
	s_branch .LBB103_2553
.LBB103_2549:
	s_mov_b32 s12, -1
                                        ; implicit-def: $vgpr22_vgpr23
.LBB103_2550:
	s_delay_alu instid0(SALU_CYCLE_1)
	s_and_not1_b32 vcc_lo, exec_lo, s12
	s_cbranch_vccnz .LBB103_2552
; %bb.2551:
	global_load_b32 v3, v[24:25], off
	s_wait_loadcnt 0x0
	v_cvt_f64_i32_e32 v[22:23], v3
.LBB103_2552:
	s_mov_b32 s12, 0
.LBB103_2553:
	s_delay_alu instid0(SALU_CYCLE_1)
	s_and_not1_b32 vcc_lo, exec_lo, s12
	s_cbranch_vccnz .LBB103_2555
; %bb.2554:
	global_load_i16 v3, v[24:25], off
	s_wait_loadcnt 0x0
	v_cvt_f64_i32_e32 v[22:23], v3
.LBB103_2555:
	s_mov_b32 s12, 0
.LBB103_2556:
	s_delay_alu instid0(SALU_CYCLE_1)
	s_and_not1_b32 vcc_lo, exec_lo, s12
	s_cbranch_vccnz .LBB103_2562
; %bb.2557:
	s_cmp_gt_i32 s10, 0
	s_mov_b32 s12, 0
	s_cbranch_scc0 .LBB103_2559
; %bb.2558:
	global_load_i8 v3, v[24:25], off
	s_wait_loadcnt 0x0
	v_cvt_f64_i32_e32 v[22:23], v3
	s_branch .LBB103_2560
.LBB103_2559:
	s_mov_b32 s12, -1
                                        ; implicit-def: $vgpr22_vgpr23
.LBB103_2560:
	s_delay_alu instid0(SALU_CYCLE_1)
	s_and_not1_b32 vcc_lo, exec_lo, s12
	s_cbranch_vccnz .LBB103_2562
; %bb.2561:
	global_load_u8 v3, v[24:25], off
	s_wait_loadcnt 0x0
	v_cvt_f64_u32_e32 v[22:23], v3
.LBB103_2562:
	s_mov_b32 s14, -1
.LBB103_2563:
	s_delay_alu instid0(SALU_CYCLE_1)
	s_and_not1_b32 vcc_lo, exec_lo, s14
	s_cbranch_vccnz .LBB103_3280
; %bb.2564:
	s_cmp_lt_i32 s11, 23
	s_cbranch_scc1 .LBB103_2568
; %bb.2565:
	s_cmp_gt_i32 s11, 43
	s_cbranch_scc0 .LBB103_2569
; %bb.2566:
	s_cmp_gt_i32 s11, 45
	s_cbranch_scc0 .LBB103_2570
; %bb.2567:
	s_cmp_lg_u32 s11, 46
	s_mov_b32 s14, 0
	s_mov_b32 s12, -1
	s_cselect_b32 s13, -1, 0
	s_branch .LBB103_2571
.LBB103_2568:
	s_mov_b32 s14, -1
	s_mov_b32 s12, 0
	s_mov_b32 s13, 0
	s_branch .LBB103_2577
.LBB103_2569:
	s_mov_b32 s14, -1
	s_mov_b32 s12, 0
	s_mov_b32 s13, 0
	s_branch .LBB103_2574
.LBB103_2570:
	s_mov_b32 s14, -1
	s_mov_b32 s12, 0
	s_mov_b32 s13, 0
.LBB103_2571:
	s_and_not1_b32 vcc_lo, exec_lo, s14
	s_cbranch_vccnz .LBB103_2573
; %bb.2572:
	s_cmp_eq_u32 s11, 44
	s_cselect_b32 s12, -1, 0
	s_cmp_lg_u32 s11, 44
	s_cselect_b32 s13, -1, 0
.LBB103_2573:
	s_mov_b32 s14, 0
.LBB103_2574:
	s_delay_alu instid0(SALU_CYCLE_1)
	s_and_b32 vcc_lo, exec_lo, s14
	s_cbranch_vccz .LBB103_2576
; %bb.2575:
	s_cmp_lt_i32 s11, 30
	s_cselect_b32 s12, -1, 0
	s_cmp_gt_i32 s11, 29
	s_cselect_b32 s13, -1, 0
.LBB103_2576:
	s_mov_b32 s14, 0
.LBB103_2577:
	s_delay_alu instid0(SALU_CYCLE_1)
	s_and_b32 vcc_lo, exec_lo, s14
	s_cbranch_vccz .LBB103_2582
; %bb.2578:
	s_cmp_gt_i32 s11, 14
	s_mov_b32 s14, -1
	s_cbranch_scc0 .LBB103_2580
; %bb.2579:
	s_cmp_eq_u32 s11, 15
	s_mov_b32 s14, 0
	s_cselect_b32 s12, -1, 0
	s_cmp_lg_u32 s11, 15
	s_cselect_b32 s13, -1, 0
.LBB103_2580:
	s_and_not1_b32 vcc_lo, exec_lo, s14
	s_cbranch_vccnz .LBB103_2582
; %bb.2581:
	s_cmp_lt_i32 s11, 12
	s_cselect_b32 s12, -1, 0
	s_cmp_gt_i32 s11, 11
	s_cselect_b32 s13, -1, 0
.LBB103_2582:
	s_delay_alu instid0(SALU_CYCLE_1)
	s_and_b32 vcc_lo, exec_lo, s13
	s_cbranch_vccnz .LBB103_2595
; %bb.2583:
	s_and_not1_b32 vcc_lo, exec_lo, s12
	s_cbranch_vccnz .LBB103_3280
.LBB103_2584:
	v_mov_b32_e32 v17, 0
	s_cmp_lt_i32 s6, 11
	s_wait_xcnt 0x0
	s_delay_alu instid0(VALU_DEP_1)
	v_add_nc_u64_e32 v[24:25], s[0:1], v[16:17]
	s_cbranch_scc1 .LBB103_2591
; %bb.2585:
	s_cmp_gt_i32 s6, 25
	s_mov_b32 s1, 0
	s_cbranch_scc0 .LBB103_2592
; %bb.2586:
	s_cmp_gt_i32 s6, 28
	s_cbranch_scc0 .LBB103_2593
; %bb.2587:
	s_cmp_gt_i32 s6, 43
	s_cbranch_scc0 .LBB103_2596
; %bb.2588:
	s_cmp_gt_i32 s6, 45
	s_cbranch_scc0 .LBB103_2597
; %bb.2589:
	s_cmp_eq_u32 s6, 46
	s_mov_b32 s12, 0
	s_cbranch_scc0 .LBB103_2598
; %bb.2590:
	global_load_b32 v3, v[24:25], off
	s_mov_b32 s0, 0
	s_mov_b32 s11, -1
	s_wait_loadcnt 0x0
	v_lshlrev_b32_e32 v3, 16, v3
	s_delay_alu instid0(VALU_DEP_1)
	v_cvt_f64_f32_e32 v[16:17], v3
	s_branch .LBB103_2600
.LBB103_2591:
	s_mov_b32 s0, -1
	s_mov_b32 s11, 0
                                        ; implicit-def: $vgpr16_vgpr17
	s_branch .LBB103_2666
.LBB103_2592:
	s_mov_b32 s12, -1
	s_mov_b32 s11, 0
	s_mov_b32 s0, 0
                                        ; implicit-def: $vgpr16_vgpr17
	s_branch .LBB103_2629
.LBB103_2593:
	s_mov_b32 s12, -1
	s_mov_b32 s11, 0
	s_mov_b32 s0, 0
                                        ; implicit-def: $vgpr16_vgpr17
	s_branch .LBB103_2610
.LBB103_2594:
	s_or_b32 s9, s9, exec_lo
	s_trap 2
	s_cbranch_execz .LBB103_2512
	s_branch .LBB103_2513
.LBB103_2595:
	s_or_b32 s9, s9, exec_lo
	s_trap 2
	s_cbranch_execz .LBB103_2584
	s_branch .LBB103_3280
.LBB103_2596:
	s_mov_b32 s12, -1
	s_mov_b32 s11, 0
	s_mov_b32 s0, 0
                                        ; implicit-def: $vgpr16_vgpr17
	s_branch .LBB103_2605
.LBB103_2597:
	s_mov_b32 s12, -1
	s_mov_b32 s11, 0
	s_mov_b32 s0, 0
	s_branch .LBB103_2599
.LBB103_2598:
	s_mov_b32 s0, -1
	s_mov_b32 s11, 0
.LBB103_2599:
                                        ; implicit-def: $vgpr16_vgpr17
.LBB103_2600:
	s_and_b32 vcc_lo, exec_lo, s12
	s_cbranch_vccz .LBB103_2604
; %bb.2601:
	s_cmp_eq_u32 s6, 44
	s_cbranch_scc0 .LBB103_2603
; %bb.2602:
	global_load_u8 v3, v[24:25], off
	s_mov_b32 s0, 0
	s_mov_b32 s11, -1
	s_wait_loadcnt 0x0
	v_lshlrev_b32_e32 v5, 23, v3
	v_cmp_ne_u32_e32 vcc_lo, 0xff, v3
	s_delay_alu instid0(VALU_DEP_2) | instskip(NEXT) | instid1(VALU_DEP_1)
	v_cvt_f64_f32_e32 v[16:17], v5
	v_cndmask_b32_e32 v5, 0x20000000, v16, vcc_lo
	s_delay_alu instid0(VALU_DEP_2) | instskip(SKIP_1) | instid1(VALU_DEP_2)
	v_cndmask_b32_e32 v7, 0x7ff80000, v17, vcc_lo
	v_cmp_ne_u32_e32 vcc_lo, 0, v3
	v_cndmask_b32_e32 v17, 0x38000000, v7, vcc_lo
	s_delay_alu instid0(VALU_DEP_4)
	v_cndmask_b32_e32 v16, 0, v5, vcc_lo
	s_branch .LBB103_2604
.LBB103_2603:
	s_mov_b32 s0, -1
                                        ; implicit-def: $vgpr16_vgpr17
.LBB103_2604:
	s_mov_b32 s12, 0
.LBB103_2605:
	s_delay_alu instid0(SALU_CYCLE_1)
	s_and_b32 vcc_lo, exec_lo, s12
	s_cbranch_vccz .LBB103_2609
; %bb.2606:
	s_cmp_eq_u32 s6, 29
	s_cbranch_scc0 .LBB103_2608
; %bb.2607:
	global_load_b64 v[16:17], v[24:25], off
	s_mov_b32 s0, 0
	s_mov_b32 s11, -1
	s_mov_b32 s12, 0
	s_wait_loadcnt 0x0
	v_cvt_f64_u32_e32 v[26:27], v17
	v_cvt_f64_u32_e32 v[16:17], v16
	s_delay_alu instid0(VALU_DEP_2) | instskip(NEXT) | instid1(VALU_DEP_1)
	v_ldexp_f64 v[26:27], v[26:27], 32
	v_add_f64_e32 v[16:17], v[26:27], v[16:17]
	s_branch .LBB103_2610
.LBB103_2608:
	s_mov_b32 s0, -1
                                        ; implicit-def: $vgpr16_vgpr17
.LBB103_2609:
	s_mov_b32 s12, 0
.LBB103_2610:
	s_delay_alu instid0(SALU_CYCLE_1)
	s_and_b32 vcc_lo, exec_lo, s12
	s_cbranch_vccz .LBB103_2628
; %bb.2611:
	s_cmp_lt_i32 s6, 27
	s_cbranch_scc1 .LBB103_2614
; %bb.2612:
	s_cmp_gt_i32 s6, 27
	s_cbranch_scc0 .LBB103_2615
; %bb.2613:
	global_load_b32 v3, v[24:25], off
	s_mov_b32 s11, 0
	s_wait_loadcnt 0x0
	v_cvt_f64_u32_e32 v[16:17], v3
	s_branch .LBB103_2616
.LBB103_2614:
	s_mov_b32 s11, -1
                                        ; implicit-def: $vgpr16_vgpr17
	s_branch .LBB103_2619
.LBB103_2615:
	s_mov_b32 s11, -1
                                        ; implicit-def: $vgpr16_vgpr17
.LBB103_2616:
	s_delay_alu instid0(SALU_CYCLE_1)
	s_and_not1_b32 vcc_lo, exec_lo, s11
	s_cbranch_vccnz .LBB103_2618
; %bb.2617:
	global_load_u16 v3, v[24:25], off
	s_wait_loadcnt 0x0
	v_cvt_f64_u32_e32 v[16:17], v3
.LBB103_2618:
	s_mov_b32 s11, 0
.LBB103_2619:
	s_delay_alu instid0(SALU_CYCLE_1)
	s_and_not1_b32 vcc_lo, exec_lo, s11
	s_cbranch_vccnz .LBB103_2627
; %bb.2620:
	global_load_u8 v3, v[24:25], off
	s_mov_b32 s11, 0
	s_mov_b32 s12, exec_lo
	s_wait_loadcnt 0x0
	v_cmpx_lt_i16_e32 0x7f, v3
	s_xor_b32 s12, exec_lo, s12
	s_cbranch_execz .LBB103_2641
; %bb.2621:
	s_mov_b32 s11, -1
	s_mov_b32 s13, exec_lo
	v_cmpx_eq_u16_e32 0x80, v3
; %bb.2622:
	s_xor_b32 s11, exec_lo, -1
; %bb.2623:
	s_or_b32 exec_lo, exec_lo, s13
	s_delay_alu instid0(SALU_CYCLE_1)
	s_and_b32 s11, s11, exec_lo
	s_or_saveexec_b32 s12, s12
	v_mov_b64_e32 v[16:17], 0x7ff8000020000000
	s_xor_b32 exec_lo, exec_lo, s12
	s_cbranch_execnz .LBB103_2642
.LBB103_2624:
	s_or_b32 exec_lo, exec_lo, s12
	s_and_saveexec_b32 s12, s11
	s_cbranch_execz .LBB103_2626
.LBB103_2625:
	v_and_b32_e32 v5, 0xffff, v3
	s_delay_alu instid0(VALU_DEP_1) | instskip(SKIP_1) | instid1(VALU_DEP_2)
	v_dual_lshlrev_b32 v3, 24, v3 :: v_dual_bitop2_b32 v7, 7, v5 bitop3:0x40
	v_bfe_u32 v16, v5, 3, 4
	v_and_b32_e32 v3, 0x80000000, v3
	s_delay_alu instid0(VALU_DEP_3) | instskip(NEXT) | instid1(VALU_DEP_3)
	v_clz_i32_u32_e32 v9, v7
	v_cmp_eq_u32_e32 vcc_lo, 0, v16
	s_delay_alu instid0(VALU_DEP_2) | instskip(NEXT) | instid1(VALU_DEP_1)
	v_min_u32_e32 v9, 32, v9
	v_subrev_nc_u32_e32 v11, 28, v9
	v_sub_nc_u32_e32 v9, 29, v9
	s_delay_alu instid0(VALU_DEP_2) | instskip(NEXT) | instid1(VALU_DEP_2)
	v_lshlrev_b32_e32 v5, v11, v5
	v_cndmask_b32_e32 v9, v16, v9, vcc_lo
	s_delay_alu instid0(VALU_DEP_2) | instskip(NEXT) | instid1(VALU_DEP_1)
	v_and_b32_e32 v5, 7, v5
	v_cndmask_b32_e32 v5, v7, v5, vcc_lo
	s_delay_alu instid0(VALU_DEP_3) | instskip(NEXT) | instid1(VALU_DEP_2)
	v_lshl_add_u32 v7, v9, 23, 0x3b800000
	v_lshlrev_b32_e32 v5, 20, v5
	s_delay_alu instid0(VALU_DEP_1) | instskip(NEXT) | instid1(VALU_DEP_1)
	v_or3_b32 v3, v3, v7, v5
	v_cvt_f64_f32_e32 v[16:17], v3
.LBB103_2626:
	s_or_b32 exec_lo, exec_lo, s12
.LBB103_2627:
	s_mov_b32 s11, -1
.LBB103_2628:
	s_mov_b32 s12, 0
.LBB103_2629:
	s_delay_alu instid0(SALU_CYCLE_1)
	s_and_b32 vcc_lo, exec_lo, s12
	s_cbranch_vccz .LBB103_2662
; %bb.2630:
	s_cmp_gt_i32 s6, 22
	s_cbranch_scc0 .LBB103_2640
; %bb.2631:
	s_cmp_lt_i32 s6, 24
	s_cbranch_scc1 .LBB103_2643
; %bb.2632:
	s_cmp_gt_i32 s6, 24
	s_cbranch_scc0 .LBB103_2644
; %bb.2633:
	global_load_u8 v3, v[24:25], off
	s_mov_b32 s11, exec_lo
	s_wait_loadcnt 0x0
	v_cmpx_lt_i16_e32 0x7f, v3
	s_xor_b32 s11, exec_lo, s11
	s_cbranch_execz .LBB103_2656
; %bb.2634:
	s_mov_b32 s1, -1
	s_mov_b32 s12, exec_lo
	v_cmpx_eq_u16_e32 0x80, v3
; %bb.2635:
	s_xor_b32 s1, exec_lo, -1
; %bb.2636:
	s_or_b32 exec_lo, exec_lo, s12
	s_delay_alu instid0(SALU_CYCLE_1)
	s_and_b32 s1, s1, exec_lo
	s_or_saveexec_b32 s11, s11
	v_mov_b64_e32 v[16:17], 0x7ff8000020000000
	s_xor_b32 exec_lo, exec_lo, s11
	s_cbranch_execnz .LBB103_2657
.LBB103_2637:
	s_or_b32 exec_lo, exec_lo, s11
	s_and_saveexec_b32 s11, s1
	s_cbranch_execz .LBB103_2639
.LBB103_2638:
	v_and_b32_e32 v5, 0xffff, v3
	s_delay_alu instid0(VALU_DEP_1) | instskip(SKIP_1) | instid1(VALU_DEP_2)
	v_dual_lshlrev_b32 v3, 24, v3 :: v_dual_bitop2_b32 v7, 3, v5 bitop3:0x40
	v_bfe_u32 v16, v5, 2, 5
	v_and_b32_e32 v3, 0x80000000, v3
	s_delay_alu instid0(VALU_DEP_3) | instskip(NEXT) | instid1(VALU_DEP_3)
	v_clz_i32_u32_e32 v9, v7
	v_cmp_eq_u32_e32 vcc_lo, 0, v16
	s_delay_alu instid0(VALU_DEP_2) | instskip(NEXT) | instid1(VALU_DEP_1)
	v_min_u32_e32 v9, 32, v9
	v_subrev_nc_u32_e32 v11, 29, v9
	v_sub_nc_u32_e32 v9, 30, v9
	s_delay_alu instid0(VALU_DEP_2) | instskip(NEXT) | instid1(VALU_DEP_2)
	v_lshlrev_b32_e32 v5, v11, v5
	v_cndmask_b32_e32 v9, v16, v9, vcc_lo
	s_delay_alu instid0(VALU_DEP_2) | instskip(NEXT) | instid1(VALU_DEP_1)
	v_and_b32_e32 v5, 3, v5
	v_cndmask_b32_e32 v5, v7, v5, vcc_lo
	s_delay_alu instid0(VALU_DEP_3) | instskip(NEXT) | instid1(VALU_DEP_2)
	v_lshl_add_u32 v7, v9, 23, 0x37800000
	v_lshlrev_b32_e32 v5, 21, v5
	s_delay_alu instid0(VALU_DEP_1) | instskip(NEXT) | instid1(VALU_DEP_1)
	v_or3_b32 v3, v3, v7, v5
	v_cvt_f64_f32_e32 v[16:17], v3
.LBB103_2639:
	s_or_b32 exec_lo, exec_lo, s11
	s_mov_b32 s1, 0
	s_branch .LBB103_2645
.LBB103_2640:
	s_mov_b32 s1, -1
                                        ; implicit-def: $vgpr16_vgpr17
	s_branch .LBB103_2651
.LBB103_2641:
	s_or_saveexec_b32 s12, s12
	v_mov_b64_e32 v[16:17], 0x7ff8000020000000
	s_xor_b32 exec_lo, exec_lo, s12
	s_cbranch_execz .LBB103_2624
.LBB103_2642:
	v_cmp_ne_u16_e32 vcc_lo, 0, v3
	v_mov_b64_e32 v[16:17], 0
	s_and_not1_b32 s11, s11, exec_lo
	s_and_b32 s13, vcc_lo, exec_lo
	s_delay_alu instid0(SALU_CYCLE_1)
	s_or_b32 s11, s11, s13
	s_or_b32 exec_lo, exec_lo, s12
	s_and_saveexec_b32 s12, s11
	s_cbranch_execnz .LBB103_2625
	s_branch .LBB103_2626
.LBB103_2643:
	s_mov_b32 s1, -1
                                        ; implicit-def: $vgpr16_vgpr17
	s_branch .LBB103_2648
.LBB103_2644:
	s_mov_b32 s1, -1
                                        ; implicit-def: $vgpr16_vgpr17
.LBB103_2645:
	s_delay_alu instid0(SALU_CYCLE_1)
	s_and_b32 vcc_lo, exec_lo, s1
	s_cbranch_vccz .LBB103_2647
; %bb.2646:
	global_load_u8 v3, v[24:25], off
	s_wait_loadcnt 0x0
	v_lshlrev_b32_e32 v3, 24, v3
	s_delay_alu instid0(VALU_DEP_1) | instskip(NEXT) | instid1(VALU_DEP_1)
	v_and_b32_e32 v5, 0x7f000000, v3
	v_clz_i32_u32_e32 v7, v5
	v_add_nc_u32_e32 v11, 0x1000000, v5
	v_cmp_ne_u32_e32 vcc_lo, 0, v5
	s_delay_alu instid0(VALU_DEP_3) | instskip(NEXT) | instid1(VALU_DEP_1)
	v_min_u32_e32 v7, 32, v7
	v_sub_nc_u32_e64 v7, v7, 4 clamp
	s_delay_alu instid0(VALU_DEP_1) | instskip(NEXT) | instid1(VALU_DEP_1)
	v_dual_lshlrev_b32 v9, v7, v5 :: v_dual_lshlrev_b32 v7, 23, v7
	v_lshrrev_b32_e32 v9, 4, v9
	s_delay_alu instid0(VALU_DEP_1) | instskip(SKIP_1) | instid1(VALU_DEP_2)
	v_sub_nc_u32_e32 v7, v9, v7
	v_ashrrev_i32_e32 v9, 8, v11
	v_add_nc_u32_e32 v7, 0x3c000000, v7
	s_delay_alu instid0(VALU_DEP_1) | instskip(NEXT) | instid1(VALU_DEP_1)
	v_and_or_b32 v7, 0x7f800000, v9, v7
	v_cndmask_b32_e32 v5, 0, v7, vcc_lo
	s_delay_alu instid0(VALU_DEP_1) | instskip(NEXT) | instid1(VALU_DEP_1)
	v_and_or_b32 v3, 0x80000000, v3, v5
	v_cvt_f64_f32_e32 v[16:17], v3
.LBB103_2647:
	s_mov_b32 s1, 0
.LBB103_2648:
	s_delay_alu instid0(SALU_CYCLE_1)
	s_and_not1_b32 vcc_lo, exec_lo, s1
	s_cbranch_vccnz .LBB103_2650
; %bb.2649:
	global_load_u8 v3, v[24:25], off
	s_wait_loadcnt 0x0
	v_lshlrev_b32_e32 v5, 25, v3
	v_lshlrev_b16 v3, 8, v3
	s_delay_alu instid0(VALU_DEP_1) | instskip(SKIP_1) | instid1(VALU_DEP_2)
	v_and_or_b32 v9, 0x7f00, v3, 0.5
	v_bfe_i32 v3, v3, 0, 16
	v_add_f32_e32 v9, -0.5, v9
	v_lshrrev_b32_e32 v7, 4, v5
	v_cmp_gt_u32_e32 vcc_lo, 0x8000000, v5
	s_delay_alu instid0(VALU_DEP_2) | instskip(NEXT) | instid1(VALU_DEP_1)
	v_or_b32_e32 v7, 0x70000000, v7
	v_mul_f32_e32 v7, 0x7800000, v7
	s_delay_alu instid0(VALU_DEP_1) | instskip(NEXT) | instid1(VALU_DEP_1)
	v_cndmask_b32_e32 v5, v7, v9, vcc_lo
	v_and_or_b32 v3, 0x80000000, v3, v5
	s_delay_alu instid0(VALU_DEP_1)
	v_cvt_f64_f32_e32 v[16:17], v3
.LBB103_2650:
	s_mov_b32 s1, 0
	s_mov_b32 s11, -1
.LBB103_2651:
	s_and_not1_b32 vcc_lo, exec_lo, s1
	s_mov_b32 s1, 0
	s_cbranch_vccnz .LBB103_2662
; %bb.2652:
	s_cmp_gt_i32 s6, 14
	s_cbranch_scc0 .LBB103_2655
; %bb.2653:
	s_cmp_eq_u32 s6, 15
	s_cbranch_scc0 .LBB103_2658
; %bb.2654:
	global_load_u16 v3, v[24:25], off
	s_mov_b32 s0, 0
	s_mov_b32 s11, -1
	s_wait_loadcnt 0x0
	v_lshlrev_b32_e32 v3, 16, v3
	s_delay_alu instid0(VALU_DEP_1)
	v_cvt_f64_f32_e32 v[16:17], v3
	s_branch .LBB103_2660
.LBB103_2655:
	s_mov_b32 s1, -1
	s_branch .LBB103_2659
.LBB103_2656:
	s_or_saveexec_b32 s11, s11
	v_mov_b64_e32 v[16:17], 0x7ff8000020000000
	s_xor_b32 exec_lo, exec_lo, s11
	s_cbranch_execz .LBB103_2637
.LBB103_2657:
	v_cmp_ne_u16_e32 vcc_lo, 0, v3
	v_mov_b64_e32 v[16:17], 0
	s_and_not1_b32 s1, s1, exec_lo
	s_and_b32 s12, vcc_lo, exec_lo
	s_delay_alu instid0(SALU_CYCLE_1)
	s_or_b32 s1, s1, s12
	s_or_b32 exec_lo, exec_lo, s11
	s_and_saveexec_b32 s11, s1
	s_cbranch_execnz .LBB103_2638
	s_branch .LBB103_2639
.LBB103_2658:
	s_mov_b32 s0, -1
.LBB103_2659:
                                        ; implicit-def: $vgpr16_vgpr17
.LBB103_2660:
	s_and_b32 vcc_lo, exec_lo, s1
	s_mov_b32 s1, 0
	s_cbranch_vccz .LBB103_2662
; %bb.2661:
	s_cmp_lg_u32 s6, 11
	s_mov_b32 s1, -1
	s_cselect_b32 s0, -1, 0
.LBB103_2662:
	s_delay_alu instid0(SALU_CYCLE_1)
	s_and_b32 vcc_lo, exec_lo, s0
	s_cbranch_vccnz .LBB103_2727
; %bb.2663:
	s_and_not1_b32 vcc_lo, exec_lo, s1
	s_cbranch_vccnz .LBB103_2665
.LBB103_2664:
	global_load_u8 v3, v[24:25], off
	v_mov_b32_e32 v16, 0
	s_mov_b32 s11, -1
	s_wait_loadcnt 0x0
	v_cmp_ne_u16_e32 vcc_lo, 0, v3
	v_cndmask_b32_e64 v17, 0, 0x3ff00000, vcc_lo
.LBB103_2665:
	s_mov_b32 s0, 0
.LBB103_2666:
	s_delay_alu instid0(SALU_CYCLE_1)
	s_and_b32 vcc_lo, exec_lo, s0
	s_cbranch_vccz .LBB103_2715
; %bb.2667:
	s_cmp_lt_i32 s6, 5
	s_cbranch_scc1 .LBB103_2672
; %bb.2668:
	s_cmp_lt_i32 s6, 8
	s_cbranch_scc1 .LBB103_2673
	;; [unrolled: 3-line block ×3, first 2 shown]
; %bb.2670:
	s_cmp_gt_i32 s6, 9
	s_cbranch_scc0 .LBB103_2675
; %bb.2671:
	global_load_b64 v[16:17], v[24:25], off
	s_mov_b32 s0, 0
	s_branch .LBB103_2676
.LBB103_2672:
	s_mov_b32 s0, -1
                                        ; implicit-def: $vgpr16_vgpr17
	s_branch .LBB103_2694
.LBB103_2673:
	s_mov_b32 s0, -1
                                        ; implicit-def: $vgpr16_vgpr17
	s_branch .LBB103_2682
.LBB103_2674:
	s_mov_b32 s0, -1
                                        ; implicit-def: $vgpr16_vgpr17
	s_branch .LBB103_2679
.LBB103_2675:
	s_mov_b32 s0, -1
                                        ; implicit-def: $vgpr16_vgpr17
.LBB103_2676:
	s_delay_alu instid0(SALU_CYCLE_1)
	s_and_not1_b32 vcc_lo, exec_lo, s0
	s_cbranch_vccnz .LBB103_2678
; %bb.2677:
	global_load_b32 v3, v[24:25], off
	s_wait_loadcnt 0x0
	v_cvt_f64_f32_e32 v[16:17], v3
.LBB103_2678:
	s_mov_b32 s0, 0
.LBB103_2679:
	s_delay_alu instid0(SALU_CYCLE_1)
	s_and_not1_b32 vcc_lo, exec_lo, s0
	s_cbranch_vccnz .LBB103_2681
; %bb.2680:
	global_load_b32 v3, v[24:25], off
	s_wait_loadcnt 0x0
	v_cvt_f32_f16_e32 v3, v3
	s_delay_alu instid0(VALU_DEP_1)
	v_cvt_f64_f32_e32 v[16:17], v3
.LBB103_2681:
	s_mov_b32 s0, 0
.LBB103_2682:
	s_delay_alu instid0(SALU_CYCLE_1)
	s_and_not1_b32 vcc_lo, exec_lo, s0
	s_cbranch_vccnz .LBB103_2693
; %bb.2683:
	s_cmp_lt_i32 s6, 6
	s_cbranch_scc1 .LBB103_2686
; %bb.2684:
	s_cmp_gt_i32 s6, 6
	s_cbranch_scc0 .LBB103_2687
; %bb.2685:
	s_wait_loadcnt 0x0
	global_load_b64 v[16:17], v[24:25], off
	s_mov_b32 s0, 0
	s_branch .LBB103_2688
.LBB103_2686:
	s_mov_b32 s0, -1
                                        ; implicit-def: $vgpr16_vgpr17
	s_branch .LBB103_2691
.LBB103_2687:
	s_mov_b32 s0, -1
                                        ; implicit-def: $vgpr16_vgpr17
.LBB103_2688:
	s_delay_alu instid0(SALU_CYCLE_1)
	s_and_not1_b32 vcc_lo, exec_lo, s0
	s_cbranch_vccnz .LBB103_2690
; %bb.2689:
	global_load_b32 v3, v[24:25], off
	s_wait_loadcnt 0x0
	v_cvt_f64_f32_e32 v[16:17], v3
.LBB103_2690:
	s_mov_b32 s0, 0
.LBB103_2691:
	s_delay_alu instid0(SALU_CYCLE_1)
	s_and_not1_b32 vcc_lo, exec_lo, s0
	s_cbranch_vccnz .LBB103_2693
; %bb.2692:
	global_load_u16 v3, v[24:25], off
	s_wait_loadcnt 0x0
	v_cvt_f32_f16_e32 v3, v3
	s_delay_alu instid0(VALU_DEP_1)
	v_cvt_f64_f32_e32 v[16:17], v3
.LBB103_2693:
	s_mov_b32 s0, 0
.LBB103_2694:
	s_delay_alu instid0(SALU_CYCLE_1)
	s_and_not1_b32 vcc_lo, exec_lo, s0
	s_cbranch_vccnz .LBB103_2714
; %bb.2695:
	s_cmp_lt_i32 s6, 2
	s_cbranch_scc1 .LBB103_2699
; %bb.2696:
	s_cmp_lt_i32 s6, 3
	s_cbranch_scc1 .LBB103_2700
; %bb.2697:
	s_cmp_gt_i32 s6, 3
	s_cbranch_scc0 .LBB103_2701
; %bb.2698:
	s_wait_loadcnt 0x0
	global_load_b64 v[16:17], v[24:25], off
	s_mov_b32 s0, 0
	s_wait_loadcnt 0x0
	v_cvt_f64_i32_e32 v[26:27], v17
	v_cvt_f64_u32_e32 v[16:17], v16
	s_delay_alu instid0(VALU_DEP_2) | instskip(NEXT) | instid1(VALU_DEP_1)
	v_ldexp_f64 v[26:27], v[26:27], 32
	v_add_f64_e32 v[16:17], v[26:27], v[16:17]
	s_branch .LBB103_2702
.LBB103_2699:
	s_mov_b32 s0, -1
                                        ; implicit-def: $vgpr16_vgpr17
	s_branch .LBB103_2708
.LBB103_2700:
	s_mov_b32 s0, -1
                                        ; implicit-def: $vgpr16_vgpr17
	s_branch .LBB103_2705
.LBB103_2701:
	s_mov_b32 s0, -1
                                        ; implicit-def: $vgpr16_vgpr17
.LBB103_2702:
	s_delay_alu instid0(SALU_CYCLE_1)
	s_and_not1_b32 vcc_lo, exec_lo, s0
	s_cbranch_vccnz .LBB103_2704
; %bb.2703:
	global_load_b32 v3, v[24:25], off
	s_wait_loadcnt 0x0
	v_cvt_f64_i32_e32 v[16:17], v3
.LBB103_2704:
	s_mov_b32 s0, 0
.LBB103_2705:
	s_delay_alu instid0(SALU_CYCLE_1)
	s_and_not1_b32 vcc_lo, exec_lo, s0
	s_cbranch_vccnz .LBB103_2707
; %bb.2706:
	global_load_i16 v3, v[24:25], off
	s_wait_loadcnt 0x0
	v_cvt_f64_i32_e32 v[16:17], v3
.LBB103_2707:
	s_mov_b32 s0, 0
.LBB103_2708:
	s_delay_alu instid0(SALU_CYCLE_1)
	s_and_not1_b32 vcc_lo, exec_lo, s0
	s_cbranch_vccnz .LBB103_2714
; %bb.2709:
	s_cmp_gt_i32 s6, 0
	s_mov_b32 s0, 0
	s_cbranch_scc0 .LBB103_2711
; %bb.2710:
	global_load_i8 v3, v[24:25], off
	s_wait_loadcnt 0x0
	v_cvt_f64_i32_e32 v[16:17], v3
	s_branch .LBB103_2712
.LBB103_2711:
	s_mov_b32 s0, -1
                                        ; implicit-def: $vgpr16_vgpr17
.LBB103_2712:
	s_delay_alu instid0(SALU_CYCLE_1)
	s_and_not1_b32 vcc_lo, exec_lo, s0
	s_cbranch_vccnz .LBB103_2714
; %bb.2713:
	global_load_u8 v3, v[24:25], off
	s_wait_loadcnt 0x0
	v_cvt_f64_u32_e32 v[16:17], v3
.LBB103_2714:
	s_mov_b32 s11, -1
.LBB103_2715:
	s_delay_alu instid0(SALU_CYCLE_1)
	s_and_not1_b32 vcc_lo, exec_lo, s11
	s_cbranch_vccnz .LBB103_3280
; %bb.2716:
	v_mov_b32_e32 v11, 0
	s_cmp_lt_i32 s10, 11
	s_wait_xcnt 0x0
	s_delay_alu instid0(VALU_DEP_1)
	v_add_nc_u64_e32 v[24:25], s[4:5], v[10:11]
	s_cbranch_scc1 .LBB103_2723
; %bb.2717:
	s_cmp_gt_i32 s10, 25
	s_mov_b32 s1, 0
	s_cbranch_scc0 .LBB103_2724
; %bb.2718:
	s_cmp_gt_i32 s10, 28
	s_cbranch_scc0 .LBB103_2725
; %bb.2719:
	s_cmp_gt_i32 s10, 43
	;; [unrolled: 3-line block ×3, first 2 shown]
	s_cbranch_scc0 .LBB103_2728
; %bb.2721:
	s_cmp_eq_u32 s10, 46
	s_mov_b32 s5, 0
	s_cbranch_scc0 .LBB103_2729
; %bb.2722:
	global_load_b32 v3, v[24:25], off
	s_mov_b32 s0, 0
	s_mov_b32 s4, -1
	s_wait_loadcnt 0x0
	v_lshlrev_b32_e32 v3, 16, v3
	s_delay_alu instid0(VALU_DEP_1)
	v_cvt_f64_f32_e32 v[10:11], v3
	s_branch .LBB103_2731
.LBB103_2723:
	s_mov_b32 s0, -1
	s_mov_b32 s4, 0
                                        ; implicit-def: $vgpr10_vgpr11
	s_branch .LBB103_2797
.LBB103_2724:
	s_mov_b32 s5, -1
	s_mov_b32 s4, 0
	s_mov_b32 s0, 0
                                        ; implicit-def: $vgpr10_vgpr11
	s_branch .LBB103_2760
.LBB103_2725:
	s_mov_b32 s5, -1
	s_mov_b32 s4, 0
	s_mov_b32 s0, 0
                                        ; implicit-def: $vgpr10_vgpr11
	s_branch .LBB103_2741
.LBB103_2726:
	s_mov_b32 s5, -1
	s_mov_b32 s4, 0
	s_mov_b32 s0, 0
                                        ; implicit-def: $vgpr10_vgpr11
	s_branch .LBB103_2736
.LBB103_2727:
	s_or_b32 s9, s9, exec_lo
	s_trap 2
	s_cbranch_execz .LBB103_2664
	s_branch .LBB103_2665
.LBB103_2728:
	s_mov_b32 s5, -1
	s_mov_b32 s4, 0
	s_mov_b32 s0, 0
	s_branch .LBB103_2730
.LBB103_2729:
	s_mov_b32 s0, -1
	s_mov_b32 s4, 0
.LBB103_2730:
                                        ; implicit-def: $vgpr10_vgpr11
.LBB103_2731:
	s_and_b32 vcc_lo, exec_lo, s5
	s_cbranch_vccz .LBB103_2735
; %bb.2732:
	s_cmp_eq_u32 s10, 44
	s_cbranch_scc0 .LBB103_2734
; %bb.2733:
	global_load_u8 v3, v[24:25], off
	s_mov_b32 s0, 0
	s_mov_b32 s4, -1
	s_wait_loadcnt 0x0
	v_lshlrev_b32_e32 v5, 23, v3
	v_cmp_ne_u32_e32 vcc_lo, 0xff, v3
	s_delay_alu instid0(VALU_DEP_2) | instskip(NEXT) | instid1(VALU_DEP_1)
	v_cvt_f64_f32_e32 v[10:11], v5
	v_cndmask_b32_e32 v5, 0x20000000, v10, vcc_lo
	s_delay_alu instid0(VALU_DEP_2) | instskip(SKIP_1) | instid1(VALU_DEP_2)
	v_cndmask_b32_e32 v7, 0x7ff80000, v11, vcc_lo
	v_cmp_ne_u32_e32 vcc_lo, 0, v3
	v_cndmask_b32_e32 v11, 0x38000000, v7, vcc_lo
	s_delay_alu instid0(VALU_DEP_4)
	v_cndmask_b32_e32 v10, 0, v5, vcc_lo
	s_branch .LBB103_2735
.LBB103_2734:
	s_mov_b32 s0, -1
                                        ; implicit-def: $vgpr10_vgpr11
.LBB103_2735:
	s_mov_b32 s5, 0
.LBB103_2736:
	s_delay_alu instid0(SALU_CYCLE_1)
	s_and_b32 vcc_lo, exec_lo, s5
	s_cbranch_vccz .LBB103_2740
; %bb.2737:
	s_cmp_eq_u32 s10, 29
	s_cbranch_scc0 .LBB103_2739
; %bb.2738:
	global_load_b64 v[10:11], v[24:25], off
	s_mov_b32 s0, 0
	s_mov_b32 s4, -1
	s_mov_b32 s5, 0
	s_wait_loadcnt 0x0
	v_cvt_f64_u32_e32 v[26:27], v11
	v_cvt_f64_u32_e32 v[10:11], v10
	s_delay_alu instid0(VALU_DEP_2) | instskip(NEXT) | instid1(VALU_DEP_1)
	v_ldexp_f64 v[26:27], v[26:27], 32
	v_add_f64_e32 v[10:11], v[26:27], v[10:11]
	s_branch .LBB103_2741
.LBB103_2739:
	s_mov_b32 s0, -1
                                        ; implicit-def: $vgpr10_vgpr11
.LBB103_2740:
	s_mov_b32 s5, 0
.LBB103_2741:
	s_delay_alu instid0(SALU_CYCLE_1)
	s_and_b32 vcc_lo, exec_lo, s5
	s_cbranch_vccz .LBB103_2759
; %bb.2742:
	s_cmp_lt_i32 s10, 27
	s_cbranch_scc1 .LBB103_2745
; %bb.2743:
	s_cmp_gt_i32 s10, 27
	s_cbranch_scc0 .LBB103_2746
; %bb.2744:
	global_load_b32 v3, v[24:25], off
	s_mov_b32 s4, 0
	s_wait_loadcnt 0x0
	v_cvt_f64_u32_e32 v[10:11], v3
	s_branch .LBB103_2747
.LBB103_2745:
	s_mov_b32 s4, -1
                                        ; implicit-def: $vgpr10_vgpr11
	s_branch .LBB103_2750
.LBB103_2746:
	s_mov_b32 s4, -1
                                        ; implicit-def: $vgpr10_vgpr11
.LBB103_2747:
	s_delay_alu instid0(SALU_CYCLE_1)
	s_and_not1_b32 vcc_lo, exec_lo, s4
	s_cbranch_vccnz .LBB103_2749
; %bb.2748:
	global_load_u16 v3, v[24:25], off
	s_wait_loadcnt 0x0
	v_cvt_f64_u32_e32 v[10:11], v3
.LBB103_2749:
	s_mov_b32 s4, 0
.LBB103_2750:
	s_delay_alu instid0(SALU_CYCLE_1)
	s_and_not1_b32 vcc_lo, exec_lo, s4
	s_cbranch_vccnz .LBB103_2758
; %bb.2751:
	global_load_u8 v3, v[24:25], off
	s_mov_b32 s4, 0
	s_mov_b32 s5, exec_lo
	s_wait_loadcnt 0x0
	v_cmpx_lt_i16_e32 0x7f, v3
	s_xor_b32 s5, exec_lo, s5
	s_cbranch_execz .LBB103_2772
; %bb.2752:
	s_mov_b32 s4, -1
	s_mov_b32 s6, exec_lo
	v_cmpx_eq_u16_e32 0x80, v3
; %bb.2753:
	s_xor_b32 s4, exec_lo, -1
; %bb.2754:
	s_or_b32 exec_lo, exec_lo, s6
	s_delay_alu instid0(SALU_CYCLE_1)
	s_and_b32 s4, s4, exec_lo
	s_or_saveexec_b32 s5, s5
	v_mov_b64_e32 v[10:11], 0x7ff8000020000000
	s_xor_b32 exec_lo, exec_lo, s5
	s_cbranch_execnz .LBB103_2773
.LBB103_2755:
	s_or_b32 exec_lo, exec_lo, s5
	s_and_saveexec_b32 s5, s4
	s_cbranch_execz .LBB103_2757
.LBB103_2756:
	v_and_b32_e32 v5, 0xffff, v3
	s_delay_alu instid0(VALU_DEP_1) | instskip(SKIP_1) | instid1(VALU_DEP_2)
	v_dual_lshlrev_b32 v3, 24, v3 :: v_dual_bitop2_b32 v7, 7, v5 bitop3:0x40
	v_bfe_u32 v11, v5, 3, 4
	v_and_b32_e32 v3, 0x80000000, v3
	s_delay_alu instid0(VALU_DEP_3) | instskip(NEXT) | instid1(VALU_DEP_3)
	v_clz_i32_u32_e32 v9, v7
	v_cmp_eq_u32_e32 vcc_lo, 0, v11
	s_delay_alu instid0(VALU_DEP_2) | instskip(NEXT) | instid1(VALU_DEP_1)
	v_min_u32_e32 v9, 32, v9
	v_subrev_nc_u32_e32 v10, 28, v9
	v_sub_nc_u32_e32 v9, 29, v9
	s_delay_alu instid0(VALU_DEP_2) | instskip(NEXT) | instid1(VALU_DEP_2)
	v_lshlrev_b32_e32 v5, v10, v5
	v_cndmask_b32_e32 v9, v11, v9, vcc_lo
	s_delay_alu instid0(VALU_DEP_2) | instskip(NEXT) | instid1(VALU_DEP_1)
	v_and_b32_e32 v5, 7, v5
	v_cndmask_b32_e32 v5, v7, v5, vcc_lo
	s_delay_alu instid0(VALU_DEP_3) | instskip(NEXT) | instid1(VALU_DEP_2)
	v_lshl_add_u32 v7, v9, 23, 0x3b800000
	v_lshlrev_b32_e32 v5, 20, v5
	s_delay_alu instid0(VALU_DEP_1) | instskip(NEXT) | instid1(VALU_DEP_1)
	v_or3_b32 v3, v3, v7, v5
	v_cvt_f64_f32_e32 v[10:11], v3
.LBB103_2757:
	s_or_b32 exec_lo, exec_lo, s5
.LBB103_2758:
	s_mov_b32 s4, -1
.LBB103_2759:
	s_mov_b32 s5, 0
.LBB103_2760:
	s_delay_alu instid0(SALU_CYCLE_1)
	s_and_b32 vcc_lo, exec_lo, s5
	s_cbranch_vccz .LBB103_2793
; %bb.2761:
	s_cmp_gt_i32 s10, 22
	s_cbranch_scc0 .LBB103_2771
; %bb.2762:
	s_cmp_lt_i32 s10, 24
	s_cbranch_scc1 .LBB103_2774
; %bb.2763:
	s_cmp_gt_i32 s10, 24
	s_cbranch_scc0 .LBB103_2775
; %bb.2764:
	global_load_u8 v3, v[24:25], off
	s_mov_b32 s4, exec_lo
	s_wait_loadcnt 0x0
	v_cmpx_lt_i16_e32 0x7f, v3
	s_xor_b32 s4, exec_lo, s4
	s_cbranch_execz .LBB103_2787
; %bb.2765:
	s_mov_b32 s1, -1
	s_mov_b32 s5, exec_lo
	v_cmpx_eq_u16_e32 0x80, v3
; %bb.2766:
	s_xor_b32 s1, exec_lo, -1
; %bb.2767:
	s_or_b32 exec_lo, exec_lo, s5
	s_delay_alu instid0(SALU_CYCLE_1)
	s_and_b32 s1, s1, exec_lo
	s_or_saveexec_b32 s4, s4
	v_mov_b64_e32 v[10:11], 0x7ff8000020000000
	s_xor_b32 exec_lo, exec_lo, s4
	s_cbranch_execnz .LBB103_2788
.LBB103_2768:
	s_or_b32 exec_lo, exec_lo, s4
	s_and_saveexec_b32 s4, s1
	s_cbranch_execz .LBB103_2770
.LBB103_2769:
	v_and_b32_e32 v5, 0xffff, v3
	s_delay_alu instid0(VALU_DEP_1) | instskip(SKIP_1) | instid1(VALU_DEP_2)
	v_dual_lshlrev_b32 v3, 24, v3 :: v_dual_bitop2_b32 v7, 3, v5 bitop3:0x40
	v_bfe_u32 v11, v5, 2, 5
	v_and_b32_e32 v3, 0x80000000, v3
	s_delay_alu instid0(VALU_DEP_3) | instskip(NEXT) | instid1(VALU_DEP_3)
	v_clz_i32_u32_e32 v9, v7
	v_cmp_eq_u32_e32 vcc_lo, 0, v11
	s_delay_alu instid0(VALU_DEP_2) | instskip(NEXT) | instid1(VALU_DEP_1)
	v_min_u32_e32 v9, 32, v9
	v_subrev_nc_u32_e32 v10, 29, v9
	v_sub_nc_u32_e32 v9, 30, v9
	s_delay_alu instid0(VALU_DEP_2) | instskip(NEXT) | instid1(VALU_DEP_2)
	v_lshlrev_b32_e32 v5, v10, v5
	v_cndmask_b32_e32 v9, v11, v9, vcc_lo
	s_delay_alu instid0(VALU_DEP_2) | instskip(NEXT) | instid1(VALU_DEP_1)
	v_and_b32_e32 v5, 3, v5
	v_cndmask_b32_e32 v5, v7, v5, vcc_lo
	s_delay_alu instid0(VALU_DEP_3) | instskip(NEXT) | instid1(VALU_DEP_2)
	v_lshl_add_u32 v7, v9, 23, 0x37800000
	v_lshlrev_b32_e32 v5, 21, v5
	s_delay_alu instid0(VALU_DEP_1) | instskip(NEXT) | instid1(VALU_DEP_1)
	v_or3_b32 v3, v3, v7, v5
	v_cvt_f64_f32_e32 v[10:11], v3
.LBB103_2770:
	s_or_b32 exec_lo, exec_lo, s4
	s_mov_b32 s1, 0
	s_branch .LBB103_2776
.LBB103_2771:
	s_mov_b32 s1, -1
                                        ; implicit-def: $vgpr10_vgpr11
	s_branch .LBB103_2782
.LBB103_2772:
	s_or_saveexec_b32 s5, s5
	v_mov_b64_e32 v[10:11], 0x7ff8000020000000
	s_xor_b32 exec_lo, exec_lo, s5
	s_cbranch_execz .LBB103_2755
.LBB103_2773:
	v_cmp_ne_u16_e32 vcc_lo, 0, v3
	v_mov_b64_e32 v[10:11], 0
	s_and_not1_b32 s4, s4, exec_lo
	s_and_b32 s6, vcc_lo, exec_lo
	s_delay_alu instid0(SALU_CYCLE_1)
	s_or_b32 s4, s4, s6
	s_or_b32 exec_lo, exec_lo, s5
	s_and_saveexec_b32 s5, s4
	s_cbranch_execnz .LBB103_2756
	s_branch .LBB103_2757
.LBB103_2774:
	s_mov_b32 s1, -1
                                        ; implicit-def: $vgpr10_vgpr11
	s_branch .LBB103_2779
.LBB103_2775:
	s_mov_b32 s1, -1
                                        ; implicit-def: $vgpr10_vgpr11
.LBB103_2776:
	s_delay_alu instid0(SALU_CYCLE_1)
	s_and_b32 vcc_lo, exec_lo, s1
	s_cbranch_vccz .LBB103_2778
; %bb.2777:
	global_load_u8 v3, v[24:25], off
	s_wait_loadcnt 0x0
	v_lshlrev_b32_e32 v3, 24, v3
	s_delay_alu instid0(VALU_DEP_1) | instskip(NEXT) | instid1(VALU_DEP_1)
	v_and_b32_e32 v5, 0x7f000000, v3
	v_clz_i32_u32_e32 v7, v5
	v_cmp_ne_u32_e32 vcc_lo, 0, v5
	v_add_nc_u32_e32 v10, 0x1000000, v5
	s_delay_alu instid0(VALU_DEP_3) | instskip(NEXT) | instid1(VALU_DEP_1)
	v_min_u32_e32 v7, 32, v7
	v_sub_nc_u32_e64 v7, v7, 4 clamp
	s_delay_alu instid0(VALU_DEP_1) | instskip(NEXT) | instid1(VALU_DEP_1)
	v_dual_lshlrev_b32 v9, v7, v5 :: v_dual_lshlrev_b32 v7, 23, v7
	v_lshrrev_b32_e32 v9, 4, v9
	s_delay_alu instid0(VALU_DEP_1) | instskip(NEXT) | instid1(VALU_DEP_1)
	v_dual_sub_nc_u32 v7, v9, v7 :: v_dual_ashrrev_i32 v9, 8, v10
	v_add_nc_u32_e32 v7, 0x3c000000, v7
	s_delay_alu instid0(VALU_DEP_1) | instskip(NEXT) | instid1(VALU_DEP_1)
	v_and_or_b32 v7, 0x7f800000, v9, v7
	v_cndmask_b32_e32 v5, 0, v7, vcc_lo
	s_delay_alu instid0(VALU_DEP_1) | instskip(NEXT) | instid1(VALU_DEP_1)
	v_and_or_b32 v3, 0x80000000, v3, v5
	v_cvt_f64_f32_e32 v[10:11], v3
.LBB103_2778:
	s_mov_b32 s1, 0
.LBB103_2779:
	s_delay_alu instid0(SALU_CYCLE_1)
	s_and_not1_b32 vcc_lo, exec_lo, s1
	s_cbranch_vccnz .LBB103_2781
; %bb.2780:
	global_load_u8 v3, v[24:25], off
	s_wait_loadcnt 0x0
	v_lshlrev_b32_e32 v5, 25, v3
	v_lshlrev_b16 v3, 8, v3
	s_delay_alu instid0(VALU_DEP_1) | instskip(SKIP_1) | instid1(VALU_DEP_2)
	v_and_or_b32 v9, 0x7f00, v3, 0.5
	v_bfe_i32 v3, v3, 0, 16
	v_add_f32_e32 v9, -0.5, v9
	v_lshrrev_b32_e32 v7, 4, v5
	v_cmp_gt_u32_e32 vcc_lo, 0x8000000, v5
	s_delay_alu instid0(VALU_DEP_2) | instskip(NEXT) | instid1(VALU_DEP_1)
	v_or_b32_e32 v7, 0x70000000, v7
	v_mul_f32_e32 v7, 0x7800000, v7
	s_delay_alu instid0(VALU_DEP_1) | instskip(NEXT) | instid1(VALU_DEP_1)
	v_cndmask_b32_e32 v5, v7, v9, vcc_lo
	v_and_or_b32 v3, 0x80000000, v3, v5
	s_delay_alu instid0(VALU_DEP_1)
	v_cvt_f64_f32_e32 v[10:11], v3
.LBB103_2781:
	s_mov_b32 s1, 0
	s_mov_b32 s4, -1
.LBB103_2782:
	s_and_not1_b32 vcc_lo, exec_lo, s1
	s_mov_b32 s1, 0
	s_cbranch_vccnz .LBB103_2793
; %bb.2783:
	s_cmp_gt_i32 s10, 14
	s_cbranch_scc0 .LBB103_2786
; %bb.2784:
	s_cmp_eq_u32 s10, 15
	s_cbranch_scc0 .LBB103_2789
; %bb.2785:
	global_load_u16 v3, v[24:25], off
	s_mov_b32 s0, 0
	s_mov_b32 s4, -1
	s_wait_loadcnt 0x0
	v_lshlrev_b32_e32 v3, 16, v3
	s_delay_alu instid0(VALU_DEP_1)
	v_cvt_f64_f32_e32 v[10:11], v3
	s_branch .LBB103_2791
.LBB103_2786:
	s_mov_b32 s1, -1
	s_branch .LBB103_2790
.LBB103_2787:
	s_or_saveexec_b32 s4, s4
	v_mov_b64_e32 v[10:11], 0x7ff8000020000000
	s_xor_b32 exec_lo, exec_lo, s4
	s_cbranch_execz .LBB103_2768
.LBB103_2788:
	v_cmp_ne_u16_e32 vcc_lo, 0, v3
	v_mov_b64_e32 v[10:11], 0
	s_and_not1_b32 s1, s1, exec_lo
	s_and_b32 s5, vcc_lo, exec_lo
	s_delay_alu instid0(SALU_CYCLE_1)
	s_or_b32 s1, s1, s5
	s_or_b32 exec_lo, exec_lo, s4
	s_and_saveexec_b32 s4, s1
	s_cbranch_execnz .LBB103_2769
	s_branch .LBB103_2770
.LBB103_2789:
	s_mov_b32 s0, -1
.LBB103_2790:
                                        ; implicit-def: $vgpr10_vgpr11
.LBB103_2791:
	s_and_b32 vcc_lo, exec_lo, s1
	s_mov_b32 s1, 0
	s_cbranch_vccz .LBB103_2793
; %bb.2792:
	s_cmp_lg_u32 s10, 11
	s_mov_b32 s1, -1
	s_cselect_b32 s0, -1, 0
.LBB103_2793:
	s_delay_alu instid0(SALU_CYCLE_1)
	s_and_b32 vcc_lo, exec_lo, s0
	s_cbranch_vccnz .LBB103_3326
; %bb.2794:
	s_and_not1_b32 vcc_lo, exec_lo, s1
	s_cbranch_vccnz .LBB103_2796
.LBB103_2795:
	global_load_u8 v3, v[24:25], off
	v_mov_b32_e32 v10, 0
	s_mov_b32 s4, -1
	s_wait_loadcnt 0x0
	v_cmp_ne_u16_e32 vcc_lo, 0, v3
	v_cndmask_b32_e64 v11, 0, 0x3ff00000, vcc_lo
.LBB103_2796:
	s_mov_b32 s0, 0
.LBB103_2797:
	s_delay_alu instid0(SALU_CYCLE_1)
	s_and_b32 vcc_lo, exec_lo, s0
	s_cbranch_vccz .LBB103_2846
; %bb.2798:
	s_cmp_lt_i32 s10, 5
	s_cbranch_scc1 .LBB103_2803
; %bb.2799:
	s_cmp_lt_i32 s10, 8
	s_cbranch_scc1 .LBB103_2804
	;; [unrolled: 3-line block ×3, first 2 shown]
; %bb.2801:
	s_cmp_gt_i32 s10, 9
	s_cbranch_scc0 .LBB103_2806
; %bb.2802:
	global_load_b64 v[10:11], v[24:25], off
	s_mov_b32 s0, 0
	s_branch .LBB103_2807
.LBB103_2803:
	s_mov_b32 s0, -1
                                        ; implicit-def: $vgpr10_vgpr11
	s_branch .LBB103_2825
.LBB103_2804:
	s_mov_b32 s0, -1
                                        ; implicit-def: $vgpr10_vgpr11
	s_branch .LBB103_2813
.LBB103_2805:
	s_mov_b32 s0, -1
                                        ; implicit-def: $vgpr10_vgpr11
	s_branch .LBB103_2810
.LBB103_2806:
	s_mov_b32 s0, -1
                                        ; implicit-def: $vgpr10_vgpr11
.LBB103_2807:
	s_delay_alu instid0(SALU_CYCLE_1)
	s_and_not1_b32 vcc_lo, exec_lo, s0
	s_cbranch_vccnz .LBB103_2809
; %bb.2808:
	global_load_b32 v3, v[24:25], off
	s_wait_loadcnt 0x0
	v_cvt_f64_f32_e32 v[10:11], v3
.LBB103_2809:
	s_mov_b32 s0, 0
.LBB103_2810:
	s_delay_alu instid0(SALU_CYCLE_1)
	s_and_not1_b32 vcc_lo, exec_lo, s0
	s_cbranch_vccnz .LBB103_2812
; %bb.2811:
	global_load_b32 v3, v[24:25], off
	s_wait_loadcnt 0x0
	v_cvt_f32_f16_e32 v3, v3
	s_delay_alu instid0(VALU_DEP_1)
	v_cvt_f64_f32_e32 v[10:11], v3
.LBB103_2812:
	s_mov_b32 s0, 0
.LBB103_2813:
	s_delay_alu instid0(SALU_CYCLE_1)
	s_and_not1_b32 vcc_lo, exec_lo, s0
	s_cbranch_vccnz .LBB103_2824
; %bb.2814:
	s_cmp_lt_i32 s10, 6
	s_cbranch_scc1 .LBB103_2817
; %bb.2815:
	s_cmp_gt_i32 s10, 6
	s_cbranch_scc0 .LBB103_2818
; %bb.2816:
	s_wait_loadcnt 0x0
	global_load_b64 v[10:11], v[24:25], off
	s_mov_b32 s0, 0
	s_branch .LBB103_2819
.LBB103_2817:
	s_mov_b32 s0, -1
                                        ; implicit-def: $vgpr10_vgpr11
	s_branch .LBB103_2822
.LBB103_2818:
	s_mov_b32 s0, -1
                                        ; implicit-def: $vgpr10_vgpr11
.LBB103_2819:
	s_delay_alu instid0(SALU_CYCLE_1)
	s_and_not1_b32 vcc_lo, exec_lo, s0
	s_cbranch_vccnz .LBB103_2821
; %bb.2820:
	global_load_b32 v3, v[24:25], off
	s_wait_loadcnt 0x0
	v_cvt_f64_f32_e32 v[10:11], v3
.LBB103_2821:
	s_mov_b32 s0, 0
.LBB103_2822:
	s_delay_alu instid0(SALU_CYCLE_1)
	s_and_not1_b32 vcc_lo, exec_lo, s0
	s_cbranch_vccnz .LBB103_2824
; %bb.2823:
	global_load_u16 v3, v[24:25], off
	s_wait_loadcnt 0x0
	v_cvt_f32_f16_e32 v3, v3
	s_delay_alu instid0(VALU_DEP_1)
	v_cvt_f64_f32_e32 v[10:11], v3
.LBB103_2824:
	s_mov_b32 s0, 0
.LBB103_2825:
	s_delay_alu instid0(SALU_CYCLE_1)
	s_and_not1_b32 vcc_lo, exec_lo, s0
	s_cbranch_vccnz .LBB103_2845
; %bb.2826:
	s_cmp_lt_i32 s10, 2
	s_cbranch_scc1 .LBB103_2830
; %bb.2827:
	s_cmp_lt_i32 s10, 3
	s_cbranch_scc1 .LBB103_2831
; %bb.2828:
	s_cmp_gt_i32 s10, 3
	s_cbranch_scc0 .LBB103_2832
; %bb.2829:
	s_wait_loadcnt 0x0
	global_load_b64 v[10:11], v[24:25], off
	s_mov_b32 s0, 0
	s_wait_loadcnt 0x0
	v_cvt_f64_i32_e32 v[26:27], v11
	v_cvt_f64_u32_e32 v[10:11], v10
	s_delay_alu instid0(VALU_DEP_2) | instskip(NEXT) | instid1(VALU_DEP_1)
	v_ldexp_f64 v[26:27], v[26:27], 32
	v_add_f64_e32 v[10:11], v[26:27], v[10:11]
	s_branch .LBB103_2833
.LBB103_2830:
	s_mov_b32 s0, -1
                                        ; implicit-def: $vgpr10_vgpr11
	s_branch .LBB103_2839
.LBB103_2831:
	s_mov_b32 s0, -1
                                        ; implicit-def: $vgpr10_vgpr11
	s_branch .LBB103_2836
.LBB103_2832:
	s_mov_b32 s0, -1
                                        ; implicit-def: $vgpr10_vgpr11
.LBB103_2833:
	s_delay_alu instid0(SALU_CYCLE_1)
	s_and_not1_b32 vcc_lo, exec_lo, s0
	s_cbranch_vccnz .LBB103_2835
; %bb.2834:
	global_load_b32 v3, v[24:25], off
	s_wait_loadcnt 0x0
	v_cvt_f64_i32_e32 v[10:11], v3
.LBB103_2835:
	s_mov_b32 s0, 0
.LBB103_2836:
	s_delay_alu instid0(SALU_CYCLE_1)
	s_and_not1_b32 vcc_lo, exec_lo, s0
	s_cbranch_vccnz .LBB103_2838
; %bb.2837:
	global_load_i16 v3, v[24:25], off
	s_wait_loadcnt 0x0
	v_cvt_f64_i32_e32 v[10:11], v3
.LBB103_2838:
	s_mov_b32 s0, 0
.LBB103_2839:
	s_delay_alu instid0(SALU_CYCLE_1)
	s_and_not1_b32 vcc_lo, exec_lo, s0
	s_cbranch_vccnz .LBB103_2845
; %bb.2840:
	s_cmp_gt_i32 s10, 0
	s_mov_b32 s0, 0
	s_cbranch_scc0 .LBB103_2842
; %bb.2841:
	global_load_i8 v3, v[24:25], off
	s_wait_loadcnt 0x0
	v_cvt_f64_i32_e32 v[10:11], v3
	s_branch .LBB103_2843
.LBB103_2842:
	s_mov_b32 s0, -1
                                        ; implicit-def: $vgpr10_vgpr11
.LBB103_2843:
	s_delay_alu instid0(SALU_CYCLE_1)
	s_and_not1_b32 vcc_lo, exec_lo, s0
	s_cbranch_vccnz .LBB103_2845
; %bb.2844:
	global_load_u8 v3, v[24:25], off
	s_wait_loadcnt 0x0
	v_cvt_f64_u32_e32 v[10:11], v3
.LBB103_2845:
	s_mov_b32 s4, -1
.LBB103_2846:
	s_delay_alu instid0(SALU_CYCLE_1)
	s_and_not1_b32 vcc_lo, exec_lo, s4
	s_cbranch_vccnz .LBB103_3280
; %bb.2847:
	s_load_b96 s[4:6], s[2:3], 0x1e8
	v_mov_b32_e32 v3, 0
	s_wait_xcnt 0x0
	s_load_b64 s[2:3], s[2:3], 0x1c8
	s_wait_kmcnt 0x0
	v_mul_f64_e32 v[0:1], s[4:5], v[0:1]
	s_and_b32 s1, s6, 0xff
	s_delay_alu instid0(SALU_CYCLE_1) | instskip(SKIP_1) | instid1(VALU_DEP_1)
	s_cmp_lt_i32 s1, 11
	s_wait_loadcnt 0x0
	v_mul_f64_e32 v[0:1], v[0:1], v[12:13]
	v_add_nc_u64_e32 v[12:13], s[2:3], v[2:3]
	s_cbranch_scc1 .LBB103_2925
; %bb.2848:
	s_and_b32 s6, 0xffff, s1
	s_mov_b32 s12, -1
	s_mov_b32 s10, 0
	s_cmp_gt_i32 s6, 25
	s_mov_b32 s11, 0
	s_mov_b32 s0, 0
	s_cbranch_scc0 .LBB103_2881
; %bb.2849:
	s_cmp_gt_i32 s6, 28
	s_cbranch_scc0 .LBB103_2864
; %bb.2850:
	s_cmp_gt_i32 s6, 43
	;; [unrolled: 3-line block ×3, first 2 shown]
	s_cbranch_scc0 .LBB103_2854
; %bb.2852:
	s_mov_b32 s0, -1
	s_mov_b32 s12, 0
	s_cmp_eq_u32 s6, 46
	s_cbranch_scc0 .LBB103_2854
; %bb.2853:
	s_delay_alu instid0(VALU_DEP_2) | instskip(SKIP_2) | instid1(VALU_DEP_1)
	v_cvt_f32_f64_e32 v2, v[0:1]
	s_mov_b32 s0, 0
	s_mov_b32 s11, -1
	v_bfe_u32 v3, v2, 16, 1
	v_cmp_o_f32_e32 vcc_lo, v2, v2
	s_delay_alu instid0(VALU_DEP_2) | instskip(NEXT) | instid1(VALU_DEP_1)
	v_add3_u32 v3, v2, v3, 0x7fff
	v_lshrrev_b32_e32 v3, 16, v3
	s_delay_alu instid0(VALU_DEP_1)
	v_cndmask_b32_e32 v2, 0x7fc0, v3, vcc_lo
	global_store_b32 v[12:13], v2, off
.LBB103_2854:
	s_and_b32 vcc_lo, exec_lo, s12
	s_cbranch_vccz .LBB103_2859
; %bb.2855:
	s_cmp_eq_u32 s6, 44
	s_mov_b32 s0, -1
	s_cbranch_scc0 .LBB103_2859
; %bb.2856:
	s_wait_xcnt 0x0
	s_delay_alu instid0(VALU_DEP_2) | instskip(SKIP_2) | instid1(VALU_DEP_2)
	v_cvt_f32_f64_e32 v2, v[0:1]
	v_mov_b32_e32 v3, 0xff
	s_mov_b32 s11, exec_lo
	v_bfe_u32 v5, v2, 23, 8
	s_delay_alu instid0(VALU_DEP_1)
	v_cmpx_ne_u32_e32 0xff, v5
	s_cbranch_execz .LBB103_2858
; %bb.2857:
	v_and_b32_e32 v3, 0x400000, v2
	v_and_or_b32 v5, 0x3fffff, v2, v5
	v_lshrrev_b32_e32 v2, 23, v2
	s_delay_alu instid0(VALU_DEP_3) | instskip(NEXT) | instid1(VALU_DEP_3)
	v_cmp_ne_u32_e32 vcc_lo, 0, v3
	v_cmp_ne_u32_e64 s0, 0, v5
	s_and_b32 s0, vcc_lo, s0
	s_delay_alu instid0(SALU_CYCLE_1) | instskip(NEXT) | instid1(VALU_DEP_1)
	v_cndmask_b32_e64 v3, 0, 1, s0
	v_add_nc_u32_e32 v3, v2, v3
.LBB103_2858:
	s_or_b32 exec_lo, exec_lo, s11
	s_mov_b32 s0, 0
	s_mov_b32 s11, -1
	global_store_b8 v[12:13], v3, off
.LBB103_2859:
	s_mov_b32 s12, 0
.LBB103_2860:
	s_delay_alu instid0(SALU_CYCLE_1)
	s_and_b32 vcc_lo, exec_lo, s12
	s_cbranch_vccz .LBB103_2863
; %bb.2861:
	s_cmp_eq_u32 s6, 29
	s_mov_b32 s0, -1
	s_cbranch_scc0 .LBB103_2863
; %bb.2862:
	s_wait_xcnt 0x0
	s_delay_alu instid0(VALU_DEP_2) | instskip(SKIP_2) | instid1(VALU_DEP_1)
	v_trunc_f64_e32 v[2:3], v[0:1]
	s_mov_b32 s0, 0
	s_mov_b32 s11, -1
	v_ldexp_f64 v[24:25], v[2:3], 0xffffffe0
	s_delay_alu instid0(VALU_DEP_1) | instskip(NEXT) | instid1(VALU_DEP_1)
	v_floor_f64_e32 v[24:25], v[24:25]
	v_fmamk_f64 v[2:3], v[24:25], 0xc1f00000, v[2:3]
	v_cvt_u32_f64_e32 v25, v[24:25]
	s_delay_alu instid0(VALU_DEP_2)
	v_cvt_u32_f64_e32 v24, v[2:3]
	global_store_b64 v[12:13], v[24:25], off
.LBB103_2863:
	s_mov_b32 s12, 0
.LBB103_2864:
	s_delay_alu instid0(SALU_CYCLE_1)
	s_and_b32 vcc_lo, exec_lo, s12
	s_cbranch_vccz .LBB103_2880
; %bb.2865:
	s_cmp_lt_i32 s6, 27
	s_mov_b32 s11, -1
	s_cbranch_scc1 .LBB103_2871
; %bb.2866:
	s_wait_xcnt 0x0
	s_delay_alu instid0(VALU_DEP_2)
	v_cvt_u32_f64_e32 v2, v[0:1]
	s_cmp_gt_i32 s6, 27
	s_cbranch_scc0 .LBB103_2868
; %bb.2867:
	s_mov_b32 s11, 0
	global_store_b32 v[12:13], v2, off
.LBB103_2868:
	s_and_not1_b32 vcc_lo, exec_lo, s11
	s_cbranch_vccnz .LBB103_2870
; %bb.2869:
	global_store_b16 v[12:13], v2, off
.LBB103_2870:
	s_mov_b32 s11, 0
.LBB103_2871:
	s_delay_alu instid0(SALU_CYCLE_1)
	s_and_not1_b32 vcc_lo, exec_lo, s11
	s_cbranch_vccnz .LBB103_2879
; %bb.2872:
	s_wait_xcnt 0x0
	s_delay_alu instid0(VALU_DEP_2) | instskip(SKIP_2) | instid1(VALU_DEP_2)
	v_cvt_f32_f64_e32 v2, v[0:1]
	v_mov_b32_e32 v5, 0x80
	s_mov_b32 s11, exec_lo
	v_and_b32_e32 v3, 0x7fffffff, v2
	s_delay_alu instid0(VALU_DEP_1)
	v_cmpx_gt_u32_e32 0x43800000, v3
	s_cbranch_execz .LBB103_2878
; %bb.2873:
	v_cmp_lt_u32_e32 vcc_lo, 0x3bffffff, v3
	s_mov_b32 s12, 0
                                        ; implicit-def: $vgpr3
	s_and_saveexec_b32 s13, vcc_lo
	s_delay_alu instid0(SALU_CYCLE_1)
	s_xor_b32 s13, exec_lo, s13
	s_cbranch_execz .LBB103_3327
; %bb.2874:
	v_bfe_u32 v3, v2, 20, 1
	s_mov_b32 s12, exec_lo
	s_delay_alu instid0(VALU_DEP_1) | instskip(NEXT) | instid1(VALU_DEP_1)
	v_add3_u32 v3, v2, v3, 0x487ffff
	v_lshrrev_b32_e32 v3, 20, v3
	s_and_not1_saveexec_b32 s13, s13
	s_cbranch_execnz .LBB103_3328
.LBB103_2875:
	s_or_b32 exec_lo, exec_lo, s13
	v_mov_b32_e32 v5, 0
	s_and_saveexec_b32 s13, s12
.LBB103_2876:
	v_lshrrev_b32_e32 v2, 24, v2
	s_delay_alu instid0(VALU_DEP_1)
	v_and_or_b32 v5, 0x80, v2, v3
.LBB103_2877:
	s_or_b32 exec_lo, exec_lo, s13
.LBB103_2878:
	s_delay_alu instid0(SALU_CYCLE_1)
	s_or_b32 exec_lo, exec_lo, s11
	global_store_b8 v[12:13], v5, off
.LBB103_2879:
	s_mov_b32 s11, -1
.LBB103_2880:
	s_mov_b32 s12, 0
.LBB103_2881:
	s_delay_alu instid0(SALU_CYCLE_1)
	s_and_b32 vcc_lo, exec_lo, s12
	s_cbranch_vccz .LBB103_2921
; %bb.2882:
	s_cmp_gt_i32 s6, 22
	s_mov_b32 s10, -1
	s_cbranch_scc0 .LBB103_2914
; %bb.2883:
	s_cmp_lt_i32 s6, 24
	s_cbranch_scc1 .LBB103_2903
; %bb.2884:
	s_cmp_gt_i32 s6, 24
	s_cbranch_scc0 .LBB103_2892
; %bb.2885:
	s_wait_xcnt 0x0
	s_delay_alu instid0(VALU_DEP_2) | instskip(SKIP_2) | instid1(VALU_DEP_2)
	v_cvt_f32_f64_e32 v2, v[0:1]
	v_mov_b32_e32 v5, 0x80
	s_mov_b32 s10, exec_lo
	v_and_b32_e32 v3, 0x7fffffff, v2
	s_delay_alu instid0(VALU_DEP_1)
	v_cmpx_gt_u32_e32 0x47800000, v3
	s_cbranch_execz .LBB103_2891
; %bb.2886:
	v_cmp_lt_u32_e32 vcc_lo, 0x37ffffff, v3
	s_mov_b32 s11, 0
                                        ; implicit-def: $vgpr3
	s_and_saveexec_b32 s12, vcc_lo
	s_delay_alu instid0(SALU_CYCLE_1)
	s_xor_b32 s12, exec_lo, s12
	s_cbranch_execz .LBB103_3330
; %bb.2887:
	v_bfe_u32 v3, v2, 21, 1
	s_mov_b32 s11, exec_lo
	s_delay_alu instid0(VALU_DEP_1) | instskip(NEXT) | instid1(VALU_DEP_1)
	v_add3_u32 v3, v2, v3, 0x88fffff
	v_lshrrev_b32_e32 v3, 21, v3
	s_and_not1_saveexec_b32 s12, s12
	s_cbranch_execnz .LBB103_3331
.LBB103_2888:
	s_or_b32 exec_lo, exec_lo, s12
	v_mov_b32_e32 v5, 0
	s_and_saveexec_b32 s12, s11
.LBB103_2889:
	v_lshrrev_b32_e32 v2, 24, v2
	s_delay_alu instid0(VALU_DEP_1)
	v_and_or_b32 v5, 0x80, v2, v3
.LBB103_2890:
	s_or_b32 exec_lo, exec_lo, s12
.LBB103_2891:
	s_delay_alu instid0(SALU_CYCLE_1)
	s_or_b32 exec_lo, exec_lo, s10
	s_mov_b32 s10, 0
	global_store_b8 v[12:13], v5, off
.LBB103_2892:
	s_and_b32 vcc_lo, exec_lo, s10
	s_cbranch_vccz .LBB103_2902
; %bb.2893:
	s_wait_xcnt 0x0
	s_delay_alu instid0(VALU_DEP_2) | instskip(SKIP_1) | instid1(VALU_DEP_1)
	v_cvt_f32_f64_e32 v2, v[0:1]
	s_mov_b32 s10, exec_lo
                                        ; implicit-def: $vgpr3
	v_and_b32_e32 v5, 0x7fffffff, v2
	s_delay_alu instid0(VALU_DEP_1)
	v_cmpx_gt_u32_e32 0x43f00000, v5
	s_xor_b32 s10, exec_lo, s10
	s_cbranch_execz .LBB103_2899
; %bb.2894:
	s_mov_b32 s11, exec_lo
                                        ; implicit-def: $vgpr3
	v_cmpx_lt_u32_e32 0x3c7fffff, v5
	s_xor_b32 s11, exec_lo, s11
; %bb.2895:
	v_bfe_u32 v3, v2, 20, 1
	s_delay_alu instid0(VALU_DEP_1) | instskip(NEXT) | instid1(VALU_DEP_1)
	v_add3_u32 v3, v2, v3, 0x407ffff
	v_and_b32_e32 v5, 0xff00000, v3
	v_lshrrev_b32_e32 v3, 20, v3
	s_delay_alu instid0(VALU_DEP_2) | instskip(NEXT) | instid1(VALU_DEP_2)
	v_cmp_ne_u32_e32 vcc_lo, 0x7f00000, v5
	v_cndmask_b32_e32 v3, 0x7e, v3, vcc_lo
; %bb.2896:
	s_and_not1_saveexec_b32 s11, s11
; %bb.2897:
	v_add_f32_e64 v3, 0x46800000, |v2|
; %bb.2898:
	s_or_b32 exec_lo, exec_lo, s11
                                        ; implicit-def: $vgpr5
.LBB103_2899:
	s_and_not1_saveexec_b32 s10, s10
; %bb.2900:
	v_mov_b32_e32 v3, 0x7f
	v_cmp_lt_u32_e32 vcc_lo, 0x7f800000, v5
	s_delay_alu instid0(VALU_DEP_2)
	v_cndmask_b32_e32 v3, 0x7e, v3, vcc_lo
; %bb.2901:
	s_or_b32 exec_lo, exec_lo, s10
	v_lshrrev_b32_e32 v2, 24, v2
	s_delay_alu instid0(VALU_DEP_1)
	v_and_or_b32 v2, 0x80, v2, v3
	global_store_b8 v[12:13], v2, off
.LBB103_2902:
	s_mov_b32 s10, 0
.LBB103_2903:
	s_delay_alu instid0(SALU_CYCLE_1)
	s_and_not1_b32 vcc_lo, exec_lo, s10
	s_cbranch_vccnz .LBB103_2913
; %bb.2904:
	s_wait_xcnt 0x0
	s_delay_alu instid0(VALU_DEP_2) | instskip(SKIP_1) | instid1(VALU_DEP_1)
	v_cvt_f32_f64_e32 v2, v[0:1]
	s_mov_b32 s10, exec_lo
                                        ; implicit-def: $vgpr3
	v_and_b32_e32 v5, 0x7fffffff, v2
	s_delay_alu instid0(VALU_DEP_1)
	v_cmpx_gt_u32_e32 0x47800000, v5
	s_xor_b32 s10, exec_lo, s10
	s_cbranch_execz .LBB103_2910
; %bb.2905:
	s_mov_b32 s11, exec_lo
                                        ; implicit-def: $vgpr3
	v_cmpx_lt_u32_e32 0x387fffff, v5
	s_xor_b32 s11, exec_lo, s11
; %bb.2906:
	v_bfe_u32 v3, v2, 21, 1
	s_delay_alu instid0(VALU_DEP_1) | instskip(NEXT) | instid1(VALU_DEP_1)
	v_add3_u32 v3, v2, v3, 0x80fffff
	v_lshrrev_b32_e32 v3, 21, v3
; %bb.2907:
	s_and_not1_saveexec_b32 s11, s11
; %bb.2908:
	v_add_f32_e64 v3, 0x43000000, |v2|
; %bb.2909:
	s_or_b32 exec_lo, exec_lo, s11
                                        ; implicit-def: $vgpr5
.LBB103_2910:
	s_and_not1_saveexec_b32 s10, s10
; %bb.2911:
	v_mov_b32_e32 v3, 0x7f
	v_cmp_lt_u32_e32 vcc_lo, 0x7f800000, v5
	s_delay_alu instid0(VALU_DEP_2)
	v_cndmask_b32_e32 v3, 0x7c, v3, vcc_lo
; %bb.2912:
	s_or_b32 exec_lo, exec_lo, s10
	v_lshrrev_b32_e32 v2, 24, v2
	s_delay_alu instid0(VALU_DEP_1)
	v_and_or_b32 v2, 0x80, v2, v3
	global_store_b8 v[12:13], v2, off
.LBB103_2913:
	s_mov_b32 s10, 0
	s_mov_b32 s11, -1
.LBB103_2914:
	s_and_not1_b32 vcc_lo, exec_lo, s10
	s_mov_b32 s10, 0
	s_cbranch_vccnz .LBB103_2921
; %bb.2915:
	s_cmp_gt_i32 s6, 14
	s_mov_b32 s10, -1
	s_cbranch_scc0 .LBB103_2919
; %bb.2916:
	s_cmp_eq_u32 s6, 15
	s_mov_b32 s0, -1
	s_cbranch_scc0 .LBB103_2918
; %bb.2917:
	s_wait_xcnt 0x0
	s_delay_alu instid0(VALU_DEP_2) | instskip(SKIP_2) | instid1(VALU_DEP_1)
	v_cvt_f32_f64_e32 v2, v[0:1]
	s_mov_b32 s0, 0
	s_mov_b32 s11, -1
	v_bfe_u32 v3, v2, 16, 1
	v_cmp_o_f32_e32 vcc_lo, v2, v2
	s_delay_alu instid0(VALU_DEP_2) | instskip(NEXT) | instid1(VALU_DEP_1)
	v_add3_u32 v3, v2, v3, 0x7fff
	v_lshrrev_b32_e32 v3, 16, v3
	s_delay_alu instid0(VALU_DEP_1)
	v_cndmask_b32_e32 v2, 0x7fc0, v3, vcc_lo
	global_store_b16 v[12:13], v2, off
.LBB103_2918:
	s_mov_b32 s10, 0
.LBB103_2919:
	s_delay_alu instid0(SALU_CYCLE_1)
	s_and_b32 vcc_lo, exec_lo, s10
	s_mov_b32 s10, 0
	s_cbranch_vccz .LBB103_2921
; %bb.2920:
	s_cmp_lg_u32 s6, 11
	s_mov_b32 s10, -1
	s_cselect_b32 s0, -1, 0
.LBB103_2921:
	s_delay_alu instid0(SALU_CYCLE_1)
	s_and_b32 vcc_lo, exec_lo, s0
	s_cbranch_vccnz .LBB103_3329
; %bb.2922:
	s_and_not1_b32 vcc_lo, exec_lo, s10
	s_cbranch_vccnz .LBB103_2924
.LBB103_2923:
	s_delay_alu instid0(VALU_DEP_2)
	v_cmp_neq_f64_e32 vcc_lo, 0, v[0:1]
	s_mov_b32 s11, -1
	s_wait_xcnt 0x0
	v_cndmask_b32_e64 v2, 0, 1, vcc_lo
	global_store_b8 v[12:13], v2, off
.LBB103_2924:
	s_mov_b32 s0, 0
	s_branch .LBB103_2926
.LBB103_2925:
	s_mov_b32 s0, -1
	s_mov_b32 s11, 0
.LBB103_2926:
	s_and_b32 vcc_lo, exec_lo, s0
	s_cbranch_vccz .LBB103_2965
; %bb.2927:
	s_and_b32 s0, 0xffff, s1
	s_mov_b32 s6, -1
	s_cmp_lt_i32 s0, 5
	s_cbranch_scc1 .LBB103_2948
; %bb.2928:
	s_cmp_lt_i32 s0, 8
	s_cbranch_scc1 .LBB103_2938
; %bb.2929:
	;; [unrolled: 3-line block ×3, first 2 shown]
	s_cmp_gt_i32 s0, 9
	s_cbranch_scc0 .LBB103_2932
; %bb.2931:
	s_wait_xcnt 0x0
	v_mov_b32_e32 v2, 0
	s_mov_b32 s6, 0
	s_delay_alu instid0(VALU_DEP_1)
	v_mov_b32_e32 v3, v2
	global_store_b128 v[12:13], v[0:3], off
.LBB103_2932:
	s_and_not1_b32 vcc_lo, exec_lo, s6
	s_cbranch_vccnz .LBB103_2934
; %bb.2933:
	s_wait_xcnt 0x0
	s_delay_alu instid0(VALU_DEP_2)
	v_cvt_f32_f64_e32 v2, v[0:1]
	v_mov_b32_e32 v3, 0
	global_store_b64 v[12:13], v[2:3], off
.LBB103_2934:
	s_mov_b32 s6, 0
.LBB103_2935:
	s_delay_alu instid0(SALU_CYCLE_1)
	s_and_not1_b32 vcc_lo, exec_lo, s6
	s_cbranch_vccnz .LBB103_2937
; %bb.2936:
	s_wait_xcnt 0x0
	s_delay_alu instid0(VALU_DEP_2) | instskip(SKIP_2) | instid1(VALU_DEP_3)
	v_and_or_b32 v2, 0x1ff, v1, v0
	v_lshrrev_b32_e32 v3, 8, v1
	v_bfe_u32 v5, v1, 20, 11
	v_cmp_ne_u32_e32 vcc_lo, 0, v2
	s_delay_alu instid0(VALU_DEP_2) | instskip(SKIP_2) | instid1(VALU_DEP_1)
	v_sub_nc_u32_e32 v7, 0x3f1, v5
	v_add_nc_u32_e32 v5, 0xfffffc10, v5
	v_cndmask_b32_e64 v2, 0, 1, vcc_lo
	v_and_or_b32 v2, 0xffe, v3, v2
	s_delay_alu instid0(VALU_DEP_4) | instskip(NEXT) | instid1(VALU_DEP_2)
	v_med3_i32 v3, v7, 0, 13
	v_or_b32_e32 v7, 0x1000, v2
	s_delay_alu instid0(VALU_DEP_1) | instskip(NEXT) | instid1(VALU_DEP_1)
	v_lshrrev_b32_e32 v9, v3, v7
	v_lshlrev_b32_e32 v3, v3, v9
	s_delay_alu instid0(VALU_DEP_1) | instskip(SKIP_3) | instid1(VALU_DEP_2)
	v_cmp_ne_u32_e32 vcc_lo, v3, v7
	v_lshl_or_b32 v7, v5, 12, v2
	v_cndmask_b32_e64 v3, 0, 1, vcc_lo
	v_cmp_gt_i32_e32 vcc_lo, 1, v5
	v_or_b32_e32 v3, v9, v3
	s_delay_alu instid0(VALU_DEP_1) | instskip(NEXT) | instid1(VALU_DEP_1)
	v_cndmask_b32_e32 v3, v7, v3, vcc_lo
	v_and_b32_e32 v7, 7, v3
	s_delay_alu instid0(VALU_DEP_1) | instskip(SKIP_4) | instid1(VALU_DEP_2)
	v_cmp_lt_i32_e32 vcc_lo, 5, v7
	v_cndmask_b32_e64 v9, 0, 1, vcc_lo
	v_cmp_eq_u32_e32 vcc_lo, 3, v7
	v_cndmask_b32_e64 v7, 0, 1, vcc_lo
	v_cmp_ne_u32_e32 vcc_lo, 0, v2
	v_dual_lshrrev_b32 v3, 2, v3 :: v_dual_bitop2_b32 v7, v7, v9 bitop3:0x54
	v_mov_b32_e32 v9, 0x7e00
	s_delay_alu instid0(VALU_DEP_1) | instskip(SKIP_2) | instid1(VALU_DEP_3)
	v_dual_cndmask_b32 v2, 0x7c00, v9 :: v_dual_add_nc_u32 v3, v3, v7
	v_cmp_gt_i32_e32 vcc_lo, 31, v5
	v_lshrrev_b32_e32 v7, 16, v1
	v_cndmask_b32_e32 v3, 0x7c00, v3, vcc_lo
	v_cmp_eq_u32_e32 vcc_lo, 0x40f, v5
	s_delay_alu instid0(VALU_DEP_2) | instskip(NEXT) | instid1(VALU_DEP_4)
	v_cndmask_b32_e32 v2, v3, v2, vcc_lo
	v_and_b32_e32 v3, 0x8000, v7
	s_delay_alu instid0(VALU_DEP_1)
	v_bitop3_b32 v2, v3, 0xffff, v2 bitop3:0xc8
	global_store_b32 v[12:13], v2, off
.LBB103_2937:
	s_mov_b32 s6, 0
.LBB103_2938:
	s_delay_alu instid0(SALU_CYCLE_1)
	s_and_not1_b32 vcc_lo, exec_lo, s6
	s_cbranch_vccnz .LBB103_2947
; %bb.2939:
	s_cmp_lt_i32 s0, 6
	s_mov_b32 s6, -1
	s_cbranch_scc1 .LBB103_2945
; %bb.2940:
	s_cmp_gt_i32 s0, 6
	s_cbranch_scc0 .LBB103_2942
; %bb.2941:
	s_mov_b32 s6, 0
	global_store_b64 v[12:13], v[0:1], off
.LBB103_2942:
	s_and_not1_b32 vcc_lo, exec_lo, s6
	s_cbranch_vccnz .LBB103_2944
; %bb.2943:
	s_wait_xcnt 0x0
	s_delay_alu instid0(VALU_DEP_2)
	v_cvt_f32_f64_e32 v2, v[0:1]
	global_store_b32 v[12:13], v2, off
.LBB103_2944:
	s_mov_b32 s6, 0
.LBB103_2945:
	s_delay_alu instid0(SALU_CYCLE_1)
	s_and_not1_b32 vcc_lo, exec_lo, s6
	s_cbranch_vccnz .LBB103_2947
; %bb.2946:
	s_wait_xcnt 0x0
	s_delay_alu instid0(VALU_DEP_2) | instskip(SKIP_2) | instid1(VALU_DEP_3)
	v_and_or_b32 v2, 0x1ff, v1, v0
	v_lshrrev_b32_e32 v3, 8, v1
	v_bfe_u32 v5, v1, 20, 11
	v_cmp_ne_u32_e32 vcc_lo, 0, v2
	s_delay_alu instid0(VALU_DEP_2) | instskip(SKIP_2) | instid1(VALU_DEP_1)
	v_sub_nc_u32_e32 v7, 0x3f1, v5
	v_add_nc_u32_e32 v5, 0xfffffc10, v5
	v_cndmask_b32_e64 v2, 0, 1, vcc_lo
	v_and_or_b32 v2, 0xffe, v3, v2
	s_delay_alu instid0(VALU_DEP_4) | instskip(NEXT) | instid1(VALU_DEP_2)
	v_med3_i32 v3, v7, 0, 13
	v_or_b32_e32 v7, 0x1000, v2
	s_delay_alu instid0(VALU_DEP_1) | instskip(NEXT) | instid1(VALU_DEP_1)
	v_lshrrev_b32_e32 v9, v3, v7
	v_lshlrev_b32_e32 v3, v3, v9
	s_delay_alu instid0(VALU_DEP_1) | instskip(SKIP_3) | instid1(VALU_DEP_2)
	v_cmp_ne_u32_e32 vcc_lo, v3, v7
	v_lshl_or_b32 v7, v5, 12, v2
	v_cndmask_b32_e64 v3, 0, 1, vcc_lo
	v_cmp_gt_i32_e32 vcc_lo, 1, v5
	v_or_b32_e32 v3, v9, v3
	s_delay_alu instid0(VALU_DEP_1) | instskip(NEXT) | instid1(VALU_DEP_1)
	v_cndmask_b32_e32 v3, v7, v3, vcc_lo
	v_and_b32_e32 v7, 7, v3
	s_delay_alu instid0(VALU_DEP_1) | instskip(SKIP_4) | instid1(VALU_DEP_2)
	v_cmp_lt_i32_e32 vcc_lo, 5, v7
	v_cndmask_b32_e64 v9, 0, 1, vcc_lo
	v_cmp_eq_u32_e32 vcc_lo, 3, v7
	v_cndmask_b32_e64 v7, 0, 1, vcc_lo
	v_cmp_ne_u32_e32 vcc_lo, 0, v2
	v_dual_lshrrev_b32 v3, 2, v3 :: v_dual_bitop2_b32 v7, v7, v9 bitop3:0x54
	v_mov_b32_e32 v9, 0x7e00
	s_delay_alu instid0(VALU_DEP_1) | instskip(SKIP_1) | instid1(VALU_DEP_2)
	v_dual_cndmask_b32 v2, 0x7c00, v9 :: v_dual_add_nc_u32 v3, v3, v7
	v_cmp_gt_i32_e32 vcc_lo, 31, v5
	v_cndmask_b32_e32 v3, 0x7c00, v3, vcc_lo
	v_cmp_eq_u32_e32 vcc_lo, 0x40f, v5
	s_delay_alu instid0(VALU_DEP_2) | instskip(NEXT) | instid1(VALU_DEP_1)
	v_dual_cndmask_b32 v2, v3, v2 :: v_dual_lshrrev_b32 v3, 16, v1
	v_and_or_b32 v2, 0x8000, v3, v2
	global_store_b16 v[12:13], v2, off
.LBB103_2947:
	s_mov_b32 s6, 0
.LBB103_2948:
	s_delay_alu instid0(SALU_CYCLE_1)
	s_and_not1_b32 vcc_lo, exec_lo, s6
	s_cbranch_vccnz .LBB103_2964
; %bb.2949:
	s_cmp_lt_i32 s0, 2
	s_mov_b32 s6, -1
	s_cbranch_scc1 .LBB103_2959
; %bb.2950:
	s_cmp_lt_i32 s0, 3
	s_cbranch_scc1 .LBB103_2956
; %bb.2951:
	s_cmp_gt_i32 s0, 3
	s_cbranch_scc0 .LBB103_2953
; %bb.2952:
	s_wait_xcnt 0x0
	s_delay_alu instid0(VALU_DEP_2) | instskip(SKIP_1) | instid1(VALU_DEP_1)
	v_trunc_f64_e32 v[2:3], v[0:1]
	s_mov_b32 s6, 0
	v_ldexp_f64 v[24:25], v[2:3], 0xffffffe0
	s_delay_alu instid0(VALU_DEP_1) | instskip(NEXT) | instid1(VALU_DEP_1)
	v_floor_f64_e32 v[24:25], v[24:25]
	v_fmamk_f64 v[2:3], v[24:25], 0xc1f00000, v[2:3]
	v_cvt_i32_f64_e32 v25, v[24:25]
	s_delay_alu instid0(VALU_DEP_2)
	v_cvt_u32_f64_e32 v24, v[2:3]
	global_store_b64 v[12:13], v[24:25], off
.LBB103_2953:
	s_and_not1_b32 vcc_lo, exec_lo, s6
	s_cbranch_vccnz .LBB103_2955
; %bb.2954:
	s_wait_xcnt 0x0
	s_delay_alu instid0(VALU_DEP_2)
	v_cvt_i32_f64_e32 v2, v[0:1]
	global_store_b32 v[12:13], v2, off
.LBB103_2955:
	s_mov_b32 s6, 0
.LBB103_2956:
	s_delay_alu instid0(SALU_CYCLE_1)
	s_and_not1_b32 vcc_lo, exec_lo, s6
	s_cbranch_vccnz .LBB103_2958
; %bb.2957:
	s_wait_xcnt 0x0
	s_delay_alu instid0(VALU_DEP_2)
	v_cvt_i32_f64_e32 v2, v[0:1]
	global_store_b16 v[12:13], v2, off
.LBB103_2958:
	s_mov_b32 s6, 0
.LBB103_2959:
	s_delay_alu instid0(SALU_CYCLE_1)
	s_and_not1_b32 vcc_lo, exec_lo, s6
	s_cbranch_vccnz .LBB103_2964
; %bb.2960:
	s_cmp_gt_i32 s0, 0
	s_mov_b32 s0, -1
	s_cbranch_scc0 .LBB103_2962
; %bb.2961:
	s_wait_xcnt 0x0
	s_delay_alu instid0(VALU_DEP_2)
	v_cvt_i32_f64_e32 v2, v[0:1]
	s_mov_b32 s0, 0
	global_store_b8 v[12:13], v2, off
.LBB103_2962:
	s_and_not1_b32 vcc_lo, exec_lo, s0
	s_cbranch_vccnz .LBB103_2964
; %bb.2963:
	s_wait_xcnt 0x0
	s_delay_alu instid0(VALU_DEP_2) | instskip(NEXT) | instid1(VALU_DEP_1)
	v_trunc_f64_e32 v[0:1], v[0:1]
	v_ldexp_f64 v[2:3], v[0:1], 0xffffffe0
	s_delay_alu instid0(VALU_DEP_1) | instskip(NEXT) | instid1(VALU_DEP_1)
	v_floor_f64_e32 v[2:3], v[2:3]
	v_fmamk_f64 v[0:1], v[2:3], 0xc1f00000, v[0:1]
	s_delay_alu instid0(VALU_DEP_1)
	v_cvt_u32_f64_e32 v0, v[0:1]
	global_store_b8 v[12:13], v0, off
.LBB103_2964:
	s_mov_b32 s11, -1
.LBB103_2965:
	s_delay_alu instid0(SALU_CYCLE_1)
	s_and_not1_b32 vcc_lo, exec_lo, s11
	s_cbranch_vccnz .LBB103_3280
; %bb.2966:
	s_wait_xcnt 0x0
	v_dual_mul_f64 v[0:1], s[4:5], v[14:15] :: v_dual_mov_b32 v9, 0
	s_and_b32 s6, 0xffff, s1
	s_delay_alu instid0(SALU_CYCLE_1) | instskip(NEXT) | instid1(VALU_DEP_1)
	s_cmp_lt_i32 s6, 11
	v_add_nc_u64_e32 v[8:9], s[2:3], v[8:9]
	s_delay_alu instid0(VALU_DEP_2)
	v_mul_f64_e32 v[0:1], v[0:1], v[18:19]
	s_cbranch_scc1 .LBB103_3044
; %bb.2967:
	s_mov_b32 s12, -1
	s_mov_b32 s10, 0
	s_cmp_gt_i32 s6, 25
	s_mov_b32 s11, 0
	s_mov_b32 s0, 0
	s_cbranch_scc0 .LBB103_3000
; %bb.2968:
	s_cmp_gt_i32 s6, 28
	s_cbranch_scc0 .LBB103_2983
; %bb.2969:
	s_cmp_gt_i32 s6, 43
	;; [unrolled: 3-line block ×3, first 2 shown]
	s_cbranch_scc0 .LBB103_2973
; %bb.2971:
	s_mov_b32 s0, -1
	s_mov_b32 s12, 0
	s_cmp_eq_u32 s6, 46
	s_cbranch_scc0 .LBB103_2973
; %bb.2972:
	s_delay_alu instid0(VALU_DEP_1) | instskip(SKIP_2) | instid1(VALU_DEP_1)
	v_cvt_f32_f64_e32 v2, v[0:1]
	s_mov_b32 s0, 0
	s_mov_b32 s11, -1
	v_bfe_u32 v3, v2, 16, 1
	v_cmp_o_f32_e32 vcc_lo, v2, v2
	s_delay_alu instid0(VALU_DEP_2) | instskip(NEXT) | instid1(VALU_DEP_1)
	v_add3_u32 v3, v2, v3, 0x7fff
	v_lshrrev_b32_e32 v3, 16, v3
	s_delay_alu instid0(VALU_DEP_1)
	v_cndmask_b32_e32 v2, 0x7fc0, v3, vcc_lo
	global_store_b32 v[8:9], v2, off
.LBB103_2973:
	s_and_b32 vcc_lo, exec_lo, s12
	s_cbranch_vccz .LBB103_2978
; %bb.2974:
	s_cmp_eq_u32 s6, 44
	s_mov_b32 s0, -1
	s_cbranch_scc0 .LBB103_2978
; %bb.2975:
	s_wait_xcnt 0x0
	s_delay_alu instid0(VALU_DEP_1) | instskip(SKIP_2) | instid1(VALU_DEP_2)
	v_cvt_f32_f64_e32 v2, v[0:1]
	v_mov_b32_e32 v3, 0xff
	s_mov_b32 s11, exec_lo
	v_bfe_u32 v5, v2, 23, 8
	s_delay_alu instid0(VALU_DEP_1)
	v_cmpx_ne_u32_e32 0xff, v5
	s_cbranch_execz .LBB103_2977
; %bb.2976:
	v_and_b32_e32 v3, 0x400000, v2
	v_and_or_b32 v5, 0x3fffff, v2, v5
	v_lshrrev_b32_e32 v2, 23, v2
	s_delay_alu instid0(VALU_DEP_3) | instskip(NEXT) | instid1(VALU_DEP_3)
	v_cmp_ne_u32_e32 vcc_lo, 0, v3
	v_cmp_ne_u32_e64 s0, 0, v5
	s_and_b32 s0, vcc_lo, s0
	s_delay_alu instid0(SALU_CYCLE_1) | instskip(NEXT) | instid1(VALU_DEP_1)
	v_cndmask_b32_e64 v3, 0, 1, s0
	v_add_nc_u32_e32 v3, v2, v3
.LBB103_2977:
	s_or_b32 exec_lo, exec_lo, s11
	s_mov_b32 s0, 0
	s_mov_b32 s11, -1
	global_store_b8 v[8:9], v3, off
.LBB103_2978:
	s_mov_b32 s12, 0
.LBB103_2979:
	s_delay_alu instid0(SALU_CYCLE_1)
	s_and_b32 vcc_lo, exec_lo, s12
	s_cbranch_vccz .LBB103_2982
; %bb.2980:
	s_cmp_eq_u32 s6, 29
	s_mov_b32 s0, -1
	s_cbranch_scc0 .LBB103_2982
; %bb.2981:
	s_wait_xcnt 0x0
	s_delay_alu instid0(VALU_DEP_1) | instskip(SKIP_2) | instid1(VALU_DEP_1)
	v_trunc_f64_e32 v[2:3], v[0:1]
	s_mov_b32 s0, 0
	s_mov_b32 s11, -1
	v_ldexp_f64 v[12:13], v[2:3], 0xffffffe0
	s_delay_alu instid0(VALU_DEP_1) | instskip(NEXT) | instid1(VALU_DEP_1)
	v_floor_f64_e32 v[12:13], v[12:13]
	v_fmamk_f64 v[2:3], v[12:13], 0xc1f00000, v[2:3]
	v_cvt_u32_f64_e32 v13, v[12:13]
	s_delay_alu instid0(VALU_DEP_2)
	v_cvt_u32_f64_e32 v12, v[2:3]
	global_store_b64 v[8:9], v[12:13], off
.LBB103_2982:
	s_mov_b32 s12, 0
.LBB103_2983:
	s_delay_alu instid0(SALU_CYCLE_1)
	s_and_b32 vcc_lo, exec_lo, s12
	s_cbranch_vccz .LBB103_2999
; %bb.2984:
	s_cmp_lt_i32 s6, 27
	s_mov_b32 s11, -1
	s_cbranch_scc1 .LBB103_2990
; %bb.2985:
	s_cmp_gt_i32 s6, 27
	s_cbranch_scc0 .LBB103_2987
; %bb.2986:
	s_wait_xcnt 0x0
	s_delay_alu instid0(VALU_DEP_1)
	v_cvt_u32_f64_e32 v2, v[0:1]
	s_mov_b32 s11, 0
	global_store_b32 v[8:9], v2, off
.LBB103_2987:
	s_and_not1_b32 vcc_lo, exec_lo, s11
	s_cbranch_vccnz .LBB103_2989
; %bb.2988:
	s_wait_xcnt 0x0
	s_delay_alu instid0(VALU_DEP_1)
	v_cvt_u32_f64_e32 v2, v[0:1]
	global_store_b16 v[8:9], v2, off
.LBB103_2989:
	s_mov_b32 s11, 0
.LBB103_2990:
	s_delay_alu instid0(SALU_CYCLE_1)
	s_and_not1_b32 vcc_lo, exec_lo, s11
	s_cbranch_vccnz .LBB103_2998
; %bb.2991:
	s_wait_xcnt 0x0
	s_delay_alu instid0(VALU_DEP_1) | instskip(SKIP_2) | instid1(VALU_DEP_2)
	v_cvt_f32_f64_e32 v2, v[0:1]
	v_mov_b32_e32 v5, 0x80
	s_mov_b32 s11, exec_lo
	v_and_b32_e32 v3, 0x7fffffff, v2
	s_delay_alu instid0(VALU_DEP_1)
	v_cmpx_gt_u32_e32 0x43800000, v3
	s_cbranch_execz .LBB103_2997
; %bb.2992:
	v_cmp_lt_u32_e32 vcc_lo, 0x3bffffff, v3
	s_mov_b32 s12, 0
                                        ; implicit-def: $vgpr3
	s_and_saveexec_b32 s13, vcc_lo
	s_delay_alu instid0(SALU_CYCLE_1)
	s_xor_b32 s13, exec_lo, s13
	s_cbranch_execz .LBB103_3332
; %bb.2993:
	v_bfe_u32 v3, v2, 20, 1
	s_mov_b32 s12, exec_lo
	s_delay_alu instid0(VALU_DEP_1) | instskip(NEXT) | instid1(VALU_DEP_1)
	v_add3_u32 v3, v2, v3, 0x487ffff
	v_lshrrev_b32_e32 v3, 20, v3
	s_and_not1_saveexec_b32 s13, s13
	s_cbranch_execnz .LBB103_3333
.LBB103_2994:
	s_or_b32 exec_lo, exec_lo, s13
	v_mov_b32_e32 v5, 0
	s_and_saveexec_b32 s13, s12
.LBB103_2995:
	v_lshrrev_b32_e32 v2, 24, v2
	s_delay_alu instid0(VALU_DEP_1)
	v_and_or_b32 v5, 0x80, v2, v3
.LBB103_2996:
	s_or_b32 exec_lo, exec_lo, s13
.LBB103_2997:
	s_delay_alu instid0(SALU_CYCLE_1)
	s_or_b32 exec_lo, exec_lo, s11
	global_store_b8 v[8:9], v5, off
.LBB103_2998:
	s_mov_b32 s11, -1
.LBB103_2999:
	s_mov_b32 s12, 0
.LBB103_3000:
	s_delay_alu instid0(SALU_CYCLE_1)
	s_and_b32 vcc_lo, exec_lo, s12
	s_cbranch_vccz .LBB103_3040
; %bb.3001:
	s_cmp_gt_i32 s6, 22
	s_mov_b32 s10, -1
	s_cbranch_scc0 .LBB103_3033
; %bb.3002:
	s_cmp_lt_i32 s6, 24
	s_cbranch_scc1 .LBB103_3022
; %bb.3003:
	s_cmp_gt_i32 s6, 24
	s_cbranch_scc0 .LBB103_3011
; %bb.3004:
	s_wait_xcnt 0x0
	s_delay_alu instid0(VALU_DEP_1) | instskip(SKIP_2) | instid1(VALU_DEP_2)
	v_cvt_f32_f64_e32 v2, v[0:1]
	v_mov_b32_e32 v5, 0x80
	s_mov_b32 s10, exec_lo
	v_and_b32_e32 v3, 0x7fffffff, v2
	s_delay_alu instid0(VALU_DEP_1)
	v_cmpx_gt_u32_e32 0x47800000, v3
	s_cbranch_execz .LBB103_3010
; %bb.3005:
	v_cmp_lt_u32_e32 vcc_lo, 0x37ffffff, v3
	s_mov_b32 s11, 0
                                        ; implicit-def: $vgpr3
	s_and_saveexec_b32 s12, vcc_lo
	s_delay_alu instid0(SALU_CYCLE_1)
	s_xor_b32 s12, exec_lo, s12
	s_cbranch_execz .LBB103_3335
; %bb.3006:
	v_bfe_u32 v3, v2, 21, 1
	s_mov_b32 s11, exec_lo
	s_delay_alu instid0(VALU_DEP_1) | instskip(NEXT) | instid1(VALU_DEP_1)
	v_add3_u32 v3, v2, v3, 0x88fffff
	v_lshrrev_b32_e32 v3, 21, v3
	s_and_not1_saveexec_b32 s12, s12
	s_cbranch_execnz .LBB103_3336
.LBB103_3007:
	s_or_b32 exec_lo, exec_lo, s12
	v_mov_b32_e32 v5, 0
	s_and_saveexec_b32 s12, s11
.LBB103_3008:
	v_lshrrev_b32_e32 v2, 24, v2
	s_delay_alu instid0(VALU_DEP_1)
	v_and_or_b32 v5, 0x80, v2, v3
.LBB103_3009:
	s_or_b32 exec_lo, exec_lo, s12
.LBB103_3010:
	s_delay_alu instid0(SALU_CYCLE_1)
	s_or_b32 exec_lo, exec_lo, s10
	s_mov_b32 s10, 0
	global_store_b8 v[8:9], v5, off
.LBB103_3011:
	s_and_b32 vcc_lo, exec_lo, s10
	s_cbranch_vccz .LBB103_3021
; %bb.3012:
	s_wait_xcnt 0x0
	s_delay_alu instid0(VALU_DEP_1) | instskip(SKIP_1) | instid1(VALU_DEP_1)
	v_cvt_f32_f64_e32 v2, v[0:1]
	s_mov_b32 s10, exec_lo
                                        ; implicit-def: $vgpr3
	v_and_b32_e32 v5, 0x7fffffff, v2
	s_delay_alu instid0(VALU_DEP_1)
	v_cmpx_gt_u32_e32 0x43f00000, v5
	s_xor_b32 s10, exec_lo, s10
	s_cbranch_execz .LBB103_3018
; %bb.3013:
	s_mov_b32 s11, exec_lo
                                        ; implicit-def: $vgpr3
	v_cmpx_lt_u32_e32 0x3c7fffff, v5
	s_xor_b32 s11, exec_lo, s11
; %bb.3014:
	v_bfe_u32 v3, v2, 20, 1
	s_delay_alu instid0(VALU_DEP_1) | instskip(NEXT) | instid1(VALU_DEP_1)
	v_add3_u32 v3, v2, v3, 0x407ffff
	v_and_b32_e32 v5, 0xff00000, v3
	v_lshrrev_b32_e32 v3, 20, v3
	s_delay_alu instid0(VALU_DEP_2) | instskip(NEXT) | instid1(VALU_DEP_2)
	v_cmp_ne_u32_e32 vcc_lo, 0x7f00000, v5
	v_cndmask_b32_e32 v3, 0x7e, v3, vcc_lo
; %bb.3015:
	s_and_not1_saveexec_b32 s11, s11
; %bb.3016:
	v_add_f32_e64 v3, 0x46800000, |v2|
; %bb.3017:
	s_or_b32 exec_lo, exec_lo, s11
                                        ; implicit-def: $vgpr5
.LBB103_3018:
	s_and_not1_saveexec_b32 s10, s10
; %bb.3019:
	v_mov_b32_e32 v3, 0x7f
	v_cmp_lt_u32_e32 vcc_lo, 0x7f800000, v5
	s_delay_alu instid0(VALU_DEP_2)
	v_cndmask_b32_e32 v3, 0x7e, v3, vcc_lo
; %bb.3020:
	s_or_b32 exec_lo, exec_lo, s10
	v_lshrrev_b32_e32 v2, 24, v2
	s_delay_alu instid0(VALU_DEP_1)
	v_and_or_b32 v2, 0x80, v2, v3
	global_store_b8 v[8:9], v2, off
.LBB103_3021:
	s_mov_b32 s10, 0
.LBB103_3022:
	s_delay_alu instid0(SALU_CYCLE_1)
	s_and_not1_b32 vcc_lo, exec_lo, s10
	s_cbranch_vccnz .LBB103_3032
; %bb.3023:
	s_wait_xcnt 0x0
	s_delay_alu instid0(VALU_DEP_1) | instskip(SKIP_1) | instid1(VALU_DEP_1)
	v_cvt_f32_f64_e32 v2, v[0:1]
	s_mov_b32 s10, exec_lo
                                        ; implicit-def: $vgpr3
	v_and_b32_e32 v5, 0x7fffffff, v2
	s_delay_alu instid0(VALU_DEP_1)
	v_cmpx_gt_u32_e32 0x47800000, v5
	s_xor_b32 s10, exec_lo, s10
	s_cbranch_execz .LBB103_3029
; %bb.3024:
	s_mov_b32 s11, exec_lo
                                        ; implicit-def: $vgpr3
	v_cmpx_lt_u32_e32 0x387fffff, v5
	s_xor_b32 s11, exec_lo, s11
; %bb.3025:
	v_bfe_u32 v3, v2, 21, 1
	s_delay_alu instid0(VALU_DEP_1) | instskip(NEXT) | instid1(VALU_DEP_1)
	v_add3_u32 v3, v2, v3, 0x80fffff
	v_lshrrev_b32_e32 v3, 21, v3
; %bb.3026:
	s_and_not1_saveexec_b32 s11, s11
; %bb.3027:
	v_add_f32_e64 v3, 0x43000000, |v2|
; %bb.3028:
	s_or_b32 exec_lo, exec_lo, s11
                                        ; implicit-def: $vgpr5
.LBB103_3029:
	s_and_not1_saveexec_b32 s10, s10
; %bb.3030:
	v_mov_b32_e32 v3, 0x7f
	v_cmp_lt_u32_e32 vcc_lo, 0x7f800000, v5
	s_delay_alu instid0(VALU_DEP_2)
	v_cndmask_b32_e32 v3, 0x7c, v3, vcc_lo
; %bb.3031:
	s_or_b32 exec_lo, exec_lo, s10
	v_lshrrev_b32_e32 v2, 24, v2
	s_delay_alu instid0(VALU_DEP_1)
	v_and_or_b32 v2, 0x80, v2, v3
	global_store_b8 v[8:9], v2, off
.LBB103_3032:
	s_mov_b32 s10, 0
	s_mov_b32 s11, -1
.LBB103_3033:
	s_and_not1_b32 vcc_lo, exec_lo, s10
	s_mov_b32 s10, 0
	s_cbranch_vccnz .LBB103_3040
; %bb.3034:
	s_cmp_gt_i32 s6, 14
	s_mov_b32 s10, -1
	s_cbranch_scc0 .LBB103_3038
; %bb.3035:
	s_cmp_eq_u32 s6, 15
	s_mov_b32 s0, -1
	s_cbranch_scc0 .LBB103_3037
; %bb.3036:
	s_wait_xcnt 0x0
	s_delay_alu instid0(VALU_DEP_1) | instskip(SKIP_2) | instid1(VALU_DEP_1)
	v_cvt_f32_f64_e32 v2, v[0:1]
	s_mov_b32 s0, 0
	s_mov_b32 s11, -1
	v_bfe_u32 v3, v2, 16, 1
	v_cmp_o_f32_e32 vcc_lo, v2, v2
	s_delay_alu instid0(VALU_DEP_2) | instskip(NEXT) | instid1(VALU_DEP_1)
	v_add3_u32 v3, v2, v3, 0x7fff
	v_lshrrev_b32_e32 v3, 16, v3
	s_delay_alu instid0(VALU_DEP_1)
	v_cndmask_b32_e32 v2, 0x7fc0, v3, vcc_lo
	global_store_b16 v[8:9], v2, off
.LBB103_3037:
	s_mov_b32 s10, 0
.LBB103_3038:
	s_delay_alu instid0(SALU_CYCLE_1)
	s_and_b32 vcc_lo, exec_lo, s10
	s_mov_b32 s10, 0
	s_cbranch_vccz .LBB103_3040
; %bb.3039:
	s_cmp_lg_u32 s6, 11
	s_mov_b32 s10, -1
	s_cselect_b32 s0, -1, 0
.LBB103_3040:
	s_delay_alu instid0(SALU_CYCLE_1)
	s_and_b32 vcc_lo, exec_lo, s0
	s_cbranch_vccnz .LBB103_3334
; %bb.3041:
	s_and_not1_b32 vcc_lo, exec_lo, s10
	s_cbranch_vccnz .LBB103_3043
.LBB103_3042:
	s_delay_alu instid0(VALU_DEP_1)
	v_cmp_neq_f64_e32 vcc_lo, 0, v[0:1]
	s_mov_b32 s11, -1
	s_wait_xcnt 0x0
	v_cndmask_b32_e64 v2, 0, 1, vcc_lo
	global_store_b8 v[8:9], v2, off
.LBB103_3043:
	s_mov_b32 s0, 0
	s_branch .LBB103_3045
.LBB103_3044:
	s_mov_b32 s0, -1
	s_mov_b32 s11, 0
.LBB103_3045:
	s_and_b32 vcc_lo, exec_lo, s0
	s_cbranch_vccz .LBB103_3084
; %bb.3046:
	s_cmp_lt_i32 s6, 5
	s_mov_b32 s0, -1
	s_cbranch_scc1 .LBB103_3067
; %bb.3047:
	s_cmp_lt_i32 s6, 8
	s_cbranch_scc1 .LBB103_3057
; %bb.3048:
	s_cmp_lt_i32 s6, 9
	s_cbranch_scc1 .LBB103_3054
; %bb.3049:
	s_cmp_gt_i32 s6, 9
	s_cbranch_scc0 .LBB103_3051
; %bb.3050:
	s_wait_xcnt 0x0
	v_mov_b32_e32 v2, 0
	s_mov_b32 s0, 0
	s_delay_alu instid0(VALU_DEP_1)
	v_mov_b32_e32 v3, v2
	global_store_b128 v[8:9], v[0:3], off
.LBB103_3051:
	s_and_not1_b32 vcc_lo, exec_lo, s0
	s_cbranch_vccnz .LBB103_3053
; %bb.3052:
	s_wait_xcnt 0x0
	s_delay_alu instid0(VALU_DEP_1)
	v_cvt_f32_f64_e32 v2, v[0:1]
	v_mov_b32_e32 v3, 0
	global_store_b64 v[8:9], v[2:3], off
.LBB103_3053:
	s_mov_b32 s0, 0
.LBB103_3054:
	s_delay_alu instid0(SALU_CYCLE_1)
	s_and_not1_b32 vcc_lo, exec_lo, s0
	s_cbranch_vccnz .LBB103_3056
; %bb.3055:
	s_wait_xcnt 0x0
	s_delay_alu instid0(VALU_DEP_1) | instskip(SKIP_2) | instid1(VALU_DEP_3)
	v_and_or_b32 v2, 0x1ff, v1, v0
	v_lshrrev_b32_e32 v3, 8, v1
	v_bfe_u32 v5, v1, 20, 11
	v_cmp_ne_u32_e32 vcc_lo, 0, v2
	s_delay_alu instid0(VALU_DEP_2) | instskip(SKIP_2) | instid1(VALU_DEP_1)
	v_sub_nc_u32_e32 v7, 0x3f1, v5
	v_add_nc_u32_e32 v5, 0xfffffc10, v5
	v_cndmask_b32_e64 v2, 0, 1, vcc_lo
	v_and_or_b32 v2, 0xffe, v3, v2
	s_delay_alu instid0(VALU_DEP_4) | instskip(NEXT) | instid1(VALU_DEP_2)
	v_med3_i32 v3, v7, 0, 13
	v_or_b32_e32 v7, 0x1000, v2
	s_delay_alu instid0(VALU_DEP_1) | instskip(NEXT) | instid1(VALU_DEP_1)
	v_lshrrev_b32_e32 v12, v3, v7
	v_lshlrev_b32_e32 v3, v3, v12
	s_delay_alu instid0(VALU_DEP_1) | instskip(SKIP_3) | instid1(VALU_DEP_2)
	v_cmp_ne_u32_e32 vcc_lo, v3, v7
	v_lshl_or_b32 v7, v5, 12, v2
	v_cndmask_b32_e64 v3, 0, 1, vcc_lo
	v_cmp_gt_i32_e32 vcc_lo, 1, v5
	v_or_b32_e32 v3, v12, v3
	s_delay_alu instid0(VALU_DEP_1) | instskip(NEXT) | instid1(VALU_DEP_1)
	v_cndmask_b32_e32 v3, v7, v3, vcc_lo
	v_dual_lshrrev_b32 v3, 2, v3 :: v_dual_bitop2_b32 v7, 7, v3 bitop3:0x40
	s_delay_alu instid0(VALU_DEP_1) | instskip(SKIP_4) | instid1(VALU_DEP_2)
	v_cmp_lt_i32_e32 vcc_lo, 5, v7
	v_cndmask_b32_e64 v12, 0, 1, vcc_lo
	v_cmp_eq_u32_e32 vcc_lo, 3, v7
	v_cndmask_b32_e64 v7, 0, 1, vcc_lo
	v_cmp_ne_u32_e32 vcc_lo, 0, v2
	v_or_b32_e32 v7, v7, v12
	s_delay_alu instid0(VALU_DEP_1) | instskip(NEXT) | instid1(VALU_DEP_1)
	v_dual_mov_b32 v12, 0x7e00 :: v_dual_add_nc_u32 v3, v3, v7
	v_cndmask_b32_e32 v2, 0x7c00, v12, vcc_lo
	v_cmp_gt_i32_e32 vcc_lo, 31, v5
	v_lshrrev_b32_e32 v7, 16, v1
	s_delay_alu instid0(VALU_DEP_4) | instskip(SKIP_1) | instid1(VALU_DEP_2)
	v_cndmask_b32_e32 v3, 0x7c00, v3, vcc_lo
	v_cmp_eq_u32_e32 vcc_lo, 0x40f, v5
	v_cndmask_b32_e32 v2, v3, v2, vcc_lo
	s_delay_alu instid0(VALU_DEP_4) | instskip(NEXT) | instid1(VALU_DEP_1)
	v_and_b32_e32 v3, 0x8000, v7
	v_bitop3_b32 v2, v3, 0xffff, v2 bitop3:0xc8
	global_store_b32 v[8:9], v2, off
.LBB103_3056:
	s_mov_b32 s0, 0
.LBB103_3057:
	s_delay_alu instid0(SALU_CYCLE_1)
	s_and_not1_b32 vcc_lo, exec_lo, s0
	s_cbranch_vccnz .LBB103_3066
; %bb.3058:
	s_cmp_lt_i32 s6, 6
	s_mov_b32 s0, -1
	s_cbranch_scc1 .LBB103_3064
; %bb.3059:
	s_cmp_gt_i32 s6, 6
	s_cbranch_scc0 .LBB103_3061
; %bb.3060:
	s_mov_b32 s0, 0
	global_store_b64 v[8:9], v[0:1], off
.LBB103_3061:
	s_and_not1_b32 vcc_lo, exec_lo, s0
	s_cbranch_vccnz .LBB103_3063
; %bb.3062:
	s_wait_xcnt 0x0
	s_delay_alu instid0(VALU_DEP_1)
	v_cvt_f32_f64_e32 v2, v[0:1]
	global_store_b32 v[8:9], v2, off
.LBB103_3063:
	s_mov_b32 s0, 0
.LBB103_3064:
	s_delay_alu instid0(SALU_CYCLE_1)
	s_and_not1_b32 vcc_lo, exec_lo, s0
	s_cbranch_vccnz .LBB103_3066
; %bb.3065:
	s_wait_xcnt 0x0
	s_delay_alu instid0(VALU_DEP_1) | instskip(SKIP_2) | instid1(VALU_DEP_3)
	v_and_or_b32 v2, 0x1ff, v1, v0
	v_lshrrev_b32_e32 v3, 8, v1
	v_bfe_u32 v5, v1, 20, 11
	v_cmp_ne_u32_e32 vcc_lo, 0, v2
	s_delay_alu instid0(VALU_DEP_2) | instskip(SKIP_2) | instid1(VALU_DEP_1)
	v_sub_nc_u32_e32 v7, 0x3f1, v5
	v_add_nc_u32_e32 v5, 0xfffffc10, v5
	v_cndmask_b32_e64 v2, 0, 1, vcc_lo
	v_and_or_b32 v2, 0xffe, v3, v2
	s_delay_alu instid0(VALU_DEP_4) | instskip(NEXT) | instid1(VALU_DEP_2)
	v_med3_i32 v3, v7, 0, 13
	v_or_b32_e32 v7, 0x1000, v2
	s_delay_alu instid0(VALU_DEP_1) | instskip(NEXT) | instid1(VALU_DEP_1)
	v_lshrrev_b32_e32 v12, v3, v7
	v_lshlrev_b32_e32 v3, v3, v12
	s_delay_alu instid0(VALU_DEP_1) | instskip(SKIP_3) | instid1(VALU_DEP_2)
	v_cmp_ne_u32_e32 vcc_lo, v3, v7
	v_lshl_or_b32 v7, v5, 12, v2
	v_cndmask_b32_e64 v3, 0, 1, vcc_lo
	v_cmp_gt_i32_e32 vcc_lo, 1, v5
	v_or_b32_e32 v3, v12, v3
	s_delay_alu instid0(VALU_DEP_1) | instskip(NEXT) | instid1(VALU_DEP_1)
	v_cndmask_b32_e32 v3, v7, v3, vcc_lo
	v_dual_lshrrev_b32 v3, 2, v3 :: v_dual_bitop2_b32 v7, 7, v3 bitop3:0x40
	s_delay_alu instid0(VALU_DEP_1) | instskip(SKIP_4) | instid1(VALU_DEP_2)
	v_cmp_lt_i32_e32 vcc_lo, 5, v7
	v_cndmask_b32_e64 v12, 0, 1, vcc_lo
	v_cmp_eq_u32_e32 vcc_lo, 3, v7
	v_cndmask_b32_e64 v7, 0, 1, vcc_lo
	v_cmp_ne_u32_e32 vcc_lo, 0, v2
	v_or_b32_e32 v7, v7, v12
	s_delay_alu instid0(VALU_DEP_1) | instskip(NEXT) | instid1(VALU_DEP_1)
	v_dual_mov_b32 v12, 0x7e00 :: v_dual_add_nc_u32 v3, v3, v7
	v_cndmask_b32_e32 v2, 0x7c00, v12, vcc_lo
	v_cmp_gt_i32_e32 vcc_lo, 31, v5
	s_delay_alu instid0(VALU_DEP_3) | instskip(SKIP_1) | instid1(VALU_DEP_2)
	v_cndmask_b32_e32 v3, 0x7c00, v3, vcc_lo
	v_cmp_eq_u32_e32 vcc_lo, 0x40f, v5
	v_dual_cndmask_b32 v2, v3, v2 :: v_dual_lshrrev_b32 v3, 16, v1
	s_delay_alu instid0(VALU_DEP_1)
	v_and_or_b32 v2, 0x8000, v3, v2
	global_store_b16 v[8:9], v2, off
.LBB103_3066:
	s_mov_b32 s0, 0
.LBB103_3067:
	s_delay_alu instid0(SALU_CYCLE_1)
	s_and_not1_b32 vcc_lo, exec_lo, s0
	s_cbranch_vccnz .LBB103_3083
; %bb.3068:
	s_cmp_lt_i32 s6, 2
	s_mov_b32 s0, -1
	s_cbranch_scc1 .LBB103_3078
; %bb.3069:
	s_cmp_lt_i32 s6, 3
	s_cbranch_scc1 .LBB103_3075
; %bb.3070:
	s_cmp_gt_i32 s6, 3
	s_cbranch_scc0 .LBB103_3072
; %bb.3071:
	s_wait_xcnt 0x0
	s_delay_alu instid0(VALU_DEP_1) | instskip(SKIP_1) | instid1(VALU_DEP_1)
	v_trunc_f64_e32 v[2:3], v[0:1]
	s_mov_b32 s0, 0
	v_ldexp_f64 v[12:13], v[2:3], 0xffffffe0
	s_delay_alu instid0(VALU_DEP_1) | instskip(NEXT) | instid1(VALU_DEP_1)
	v_floor_f64_e32 v[12:13], v[12:13]
	v_fmamk_f64 v[2:3], v[12:13], 0xc1f00000, v[2:3]
	v_cvt_i32_f64_e32 v13, v[12:13]
	s_delay_alu instid0(VALU_DEP_2)
	v_cvt_u32_f64_e32 v12, v[2:3]
	global_store_b64 v[8:9], v[12:13], off
.LBB103_3072:
	s_and_not1_b32 vcc_lo, exec_lo, s0
	s_cbranch_vccnz .LBB103_3074
; %bb.3073:
	s_wait_xcnt 0x0
	s_delay_alu instid0(VALU_DEP_1)
	v_cvt_i32_f64_e32 v2, v[0:1]
	global_store_b32 v[8:9], v2, off
.LBB103_3074:
	s_mov_b32 s0, 0
.LBB103_3075:
	s_delay_alu instid0(SALU_CYCLE_1)
	s_and_not1_b32 vcc_lo, exec_lo, s0
	s_cbranch_vccnz .LBB103_3077
; %bb.3076:
	s_wait_xcnt 0x0
	s_delay_alu instid0(VALU_DEP_1)
	v_cvt_i32_f64_e32 v2, v[0:1]
	global_store_b16 v[8:9], v2, off
.LBB103_3077:
	s_mov_b32 s0, 0
.LBB103_3078:
	s_delay_alu instid0(SALU_CYCLE_1)
	s_and_not1_b32 vcc_lo, exec_lo, s0
	s_cbranch_vccnz .LBB103_3083
; %bb.3079:
	s_cmp_gt_i32 s6, 0
	s_mov_b32 s0, -1
	s_cbranch_scc0 .LBB103_3081
; %bb.3080:
	s_wait_xcnt 0x0
	s_delay_alu instid0(VALU_DEP_1)
	v_cvt_i32_f64_e32 v2, v[0:1]
	s_mov_b32 s0, 0
	global_store_b8 v[8:9], v2, off
.LBB103_3081:
	s_and_not1_b32 vcc_lo, exec_lo, s0
	s_cbranch_vccnz .LBB103_3083
; %bb.3082:
	s_wait_xcnt 0x0
	s_delay_alu instid0(VALU_DEP_1) | instskip(NEXT) | instid1(VALU_DEP_1)
	v_trunc_f64_e32 v[0:1], v[0:1]
	v_ldexp_f64 v[2:3], v[0:1], 0xffffffe0
	s_delay_alu instid0(VALU_DEP_1) | instskip(NEXT) | instid1(VALU_DEP_1)
	v_floor_f64_e32 v[2:3], v[2:3]
	v_fmamk_f64 v[0:1], v[2:3], 0xc1f00000, v[0:1]
	s_delay_alu instid0(VALU_DEP_1)
	v_cvt_u32_f64_e32 v0, v[0:1]
	global_store_b8 v[8:9], v0, off
.LBB103_3083:
	s_mov_b32 s11, -1
.LBB103_3084:
	s_delay_alu instid0(SALU_CYCLE_1)
	s_and_not1_b32 vcc_lo, exec_lo, s11
	s_cbranch_vccnz .LBB103_3280
; %bb.3085:
	s_wait_xcnt 0x0
	v_dual_mul_f64 v[0:1], s[4:5], v[20:21] :: v_dual_mov_b32 v7, 0
	s_cmp_lt_i32 s6, 11
	s_delay_alu instid0(VALU_DEP_1) | instskip(NEXT) | instid1(VALU_DEP_2)
	v_add_nc_u64_e32 v[6:7], s[2:3], v[6:7]
	v_mul_f64_e32 v[0:1], v[0:1], v[22:23]
	s_cbranch_scc1 .LBB103_3163
; %bb.3086:
	s_mov_b32 s12, -1
	s_mov_b32 s10, 0
	s_cmp_gt_i32 s6, 25
	s_mov_b32 s11, 0
	s_mov_b32 s0, 0
	s_cbranch_scc0 .LBB103_3119
; %bb.3087:
	s_cmp_gt_i32 s6, 28
	s_cbranch_scc0 .LBB103_3102
; %bb.3088:
	s_cmp_gt_i32 s6, 43
	;; [unrolled: 3-line block ×3, first 2 shown]
	s_cbranch_scc0 .LBB103_3092
; %bb.3090:
	s_mov_b32 s0, -1
	s_mov_b32 s12, 0
	s_cmp_eq_u32 s6, 46
	s_cbranch_scc0 .LBB103_3092
; %bb.3091:
	s_delay_alu instid0(VALU_DEP_1) | instskip(SKIP_2) | instid1(VALU_DEP_1)
	v_cvt_f32_f64_e32 v2, v[0:1]
	s_mov_b32 s0, 0
	s_mov_b32 s11, -1
	v_bfe_u32 v3, v2, 16, 1
	v_cmp_o_f32_e32 vcc_lo, v2, v2
	s_delay_alu instid0(VALU_DEP_2) | instskip(NEXT) | instid1(VALU_DEP_1)
	v_add3_u32 v3, v2, v3, 0x7fff
	v_lshrrev_b32_e32 v3, 16, v3
	s_delay_alu instid0(VALU_DEP_1)
	v_cndmask_b32_e32 v2, 0x7fc0, v3, vcc_lo
	global_store_b32 v[6:7], v2, off
.LBB103_3092:
	s_and_b32 vcc_lo, exec_lo, s12
	s_cbranch_vccz .LBB103_3097
; %bb.3093:
	s_cmp_eq_u32 s6, 44
	s_mov_b32 s0, -1
	s_cbranch_scc0 .LBB103_3097
; %bb.3094:
	s_wait_xcnt 0x0
	s_delay_alu instid0(VALU_DEP_1) | instskip(SKIP_2) | instid1(VALU_DEP_2)
	v_cvt_f32_f64_e32 v2, v[0:1]
	v_mov_b32_e32 v3, 0xff
	s_mov_b32 s11, exec_lo
	v_bfe_u32 v5, v2, 23, 8
	s_delay_alu instid0(VALU_DEP_1)
	v_cmpx_ne_u32_e32 0xff, v5
	s_cbranch_execz .LBB103_3096
; %bb.3095:
	v_and_b32_e32 v3, 0x400000, v2
	v_and_or_b32 v5, 0x3fffff, v2, v5
	v_lshrrev_b32_e32 v2, 23, v2
	s_delay_alu instid0(VALU_DEP_3) | instskip(NEXT) | instid1(VALU_DEP_3)
	v_cmp_ne_u32_e32 vcc_lo, 0, v3
	v_cmp_ne_u32_e64 s0, 0, v5
	s_and_b32 s0, vcc_lo, s0
	s_delay_alu instid0(SALU_CYCLE_1) | instskip(NEXT) | instid1(VALU_DEP_1)
	v_cndmask_b32_e64 v3, 0, 1, s0
	v_add_nc_u32_e32 v3, v2, v3
.LBB103_3096:
	s_or_b32 exec_lo, exec_lo, s11
	s_mov_b32 s0, 0
	s_mov_b32 s11, -1
	global_store_b8 v[6:7], v3, off
.LBB103_3097:
	s_mov_b32 s12, 0
.LBB103_3098:
	s_delay_alu instid0(SALU_CYCLE_1)
	s_and_b32 vcc_lo, exec_lo, s12
	s_cbranch_vccz .LBB103_3101
; %bb.3099:
	s_cmp_eq_u32 s6, 29
	s_mov_b32 s0, -1
	s_cbranch_scc0 .LBB103_3101
; %bb.3100:
	s_wait_xcnt 0x0
	s_delay_alu instid0(VALU_DEP_1) | instskip(SKIP_2) | instid1(VALU_DEP_1)
	v_trunc_f64_e32 v[2:3], v[0:1]
	s_mov_b32 s0, 0
	s_mov_b32 s11, -1
	v_ldexp_f64 v[8:9], v[2:3], 0xffffffe0
	s_delay_alu instid0(VALU_DEP_1) | instskip(NEXT) | instid1(VALU_DEP_1)
	v_floor_f64_e32 v[8:9], v[8:9]
	v_fmamk_f64 v[2:3], v[8:9], 0xc1f00000, v[2:3]
	v_cvt_u32_f64_e32 v9, v[8:9]
	s_delay_alu instid0(VALU_DEP_2)
	v_cvt_u32_f64_e32 v8, v[2:3]
	global_store_b64 v[6:7], v[8:9], off
.LBB103_3101:
	s_mov_b32 s12, 0
.LBB103_3102:
	s_delay_alu instid0(SALU_CYCLE_1)
	s_and_b32 vcc_lo, exec_lo, s12
	s_cbranch_vccz .LBB103_3118
; %bb.3103:
	s_cmp_lt_i32 s6, 27
	s_mov_b32 s11, -1
	s_cbranch_scc1 .LBB103_3109
; %bb.3104:
	s_cmp_gt_i32 s6, 27
	s_cbranch_scc0 .LBB103_3106
; %bb.3105:
	s_wait_xcnt 0x0
	s_delay_alu instid0(VALU_DEP_1)
	v_cvt_u32_f64_e32 v2, v[0:1]
	s_mov_b32 s11, 0
	global_store_b32 v[6:7], v2, off
.LBB103_3106:
	s_and_not1_b32 vcc_lo, exec_lo, s11
	s_cbranch_vccnz .LBB103_3108
; %bb.3107:
	s_wait_xcnt 0x0
	s_delay_alu instid0(VALU_DEP_1)
	v_cvt_u32_f64_e32 v2, v[0:1]
	global_store_b16 v[6:7], v2, off
.LBB103_3108:
	s_mov_b32 s11, 0
.LBB103_3109:
	s_delay_alu instid0(SALU_CYCLE_1)
	s_and_not1_b32 vcc_lo, exec_lo, s11
	s_cbranch_vccnz .LBB103_3117
; %bb.3110:
	s_wait_xcnt 0x0
	s_delay_alu instid0(VALU_DEP_1) | instskip(SKIP_2) | instid1(VALU_DEP_2)
	v_cvt_f32_f64_e32 v2, v[0:1]
	v_mov_b32_e32 v5, 0x80
	s_mov_b32 s11, exec_lo
	v_and_b32_e32 v3, 0x7fffffff, v2
	s_delay_alu instid0(VALU_DEP_1)
	v_cmpx_gt_u32_e32 0x43800000, v3
	s_cbranch_execz .LBB103_3116
; %bb.3111:
	v_cmp_lt_u32_e32 vcc_lo, 0x3bffffff, v3
	s_mov_b32 s12, 0
                                        ; implicit-def: $vgpr3
	s_and_saveexec_b32 s13, vcc_lo
	s_delay_alu instid0(SALU_CYCLE_1)
	s_xor_b32 s13, exec_lo, s13
	s_cbranch_execz .LBB103_3337
; %bb.3112:
	v_bfe_u32 v3, v2, 20, 1
	s_mov_b32 s12, exec_lo
	s_delay_alu instid0(VALU_DEP_1) | instskip(NEXT) | instid1(VALU_DEP_1)
	v_add3_u32 v3, v2, v3, 0x487ffff
	v_lshrrev_b32_e32 v3, 20, v3
	s_and_not1_saveexec_b32 s13, s13
	s_cbranch_execnz .LBB103_3338
.LBB103_3113:
	s_or_b32 exec_lo, exec_lo, s13
	v_mov_b32_e32 v5, 0
	s_and_saveexec_b32 s13, s12
.LBB103_3114:
	v_lshrrev_b32_e32 v2, 24, v2
	s_delay_alu instid0(VALU_DEP_1)
	v_and_or_b32 v5, 0x80, v2, v3
.LBB103_3115:
	s_or_b32 exec_lo, exec_lo, s13
.LBB103_3116:
	s_delay_alu instid0(SALU_CYCLE_1)
	s_or_b32 exec_lo, exec_lo, s11
	global_store_b8 v[6:7], v5, off
.LBB103_3117:
	s_mov_b32 s11, -1
.LBB103_3118:
	s_mov_b32 s12, 0
.LBB103_3119:
	s_delay_alu instid0(SALU_CYCLE_1)
	s_and_b32 vcc_lo, exec_lo, s12
	s_cbranch_vccz .LBB103_3159
; %bb.3120:
	s_cmp_gt_i32 s6, 22
	s_mov_b32 s10, -1
	s_cbranch_scc0 .LBB103_3152
; %bb.3121:
	s_cmp_lt_i32 s6, 24
	s_cbranch_scc1 .LBB103_3141
; %bb.3122:
	s_cmp_gt_i32 s6, 24
	s_cbranch_scc0 .LBB103_3130
; %bb.3123:
	s_wait_xcnt 0x0
	s_delay_alu instid0(VALU_DEP_1) | instskip(SKIP_2) | instid1(VALU_DEP_2)
	v_cvt_f32_f64_e32 v2, v[0:1]
	v_mov_b32_e32 v5, 0x80
	s_mov_b32 s10, exec_lo
	v_and_b32_e32 v3, 0x7fffffff, v2
	s_delay_alu instid0(VALU_DEP_1)
	v_cmpx_gt_u32_e32 0x47800000, v3
	s_cbranch_execz .LBB103_3129
; %bb.3124:
	v_cmp_lt_u32_e32 vcc_lo, 0x37ffffff, v3
	s_mov_b32 s11, 0
                                        ; implicit-def: $vgpr3
	s_and_saveexec_b32 s12, vcc_lo
	s_delay_alu instid0(SALU_CYCLE_1)
	s_xor_b32 s12, exec_lo, s12
	s_cbranch_execz .LBB103_3340
; %bb.3125:
	v_bfe_u32 v3, v2, 21, 1
	s_mov_b32 s11, exec_lo
	s_delay_alu instid0(VALU_DEP_1) | instskip(NEXT) | instid1(VALU_DEP_1)
	v_add3_u32 v3, v2, v3, 0x88fffff
	v_lshrrev_b32_e32 v3, 21, v3
	s_and_not1_saveexec_b32 s12, s12
	s_cbranch_execnz .LBB103_3341
.LBB103_3126:
	s_or_b32 exec_lo, exec_lo, s12
	v_mov_b32_e32 v5, 0
	s_and_saveexec_b32 s12, s11
.LBB103_3127:
	v_lshrrev_b32_e32 v2, 24, v2
	s_delay_alu instid0(VALU_DEP_1)
	v_and_or_b32 v5, 0x80, v2, v3
.LBB103_3128:
	s_or_b32 exec_lo, exec_lo, s12
.LBB103_3129:
	s_delay_alu instid0(SALU_CYCLE_1)
	s_or_b32 exec_lo, exec_lo, s10
	s_mov_b32 s10, 0
	global_store_b8 v[6:7], v5, off
.LBB103_3130:
	s_and_b32 vcc_lo, exec_lo, s10
	s_cbranch_vccz .LBB103_3140
; %bb.3131:
	s_wait_xcnt 0x0
	s_delay_alu instid0(VALU_DEP_1) | instskip(SKIP_1) | instid1(VALU_DEP_1)
	v_cvt_f32_f64_e32 v2, v[0:1]
	s_mov_b32 s10, exec_lo
                                        ; implicit-def: $vgpr3
	v_and_b32_e32 v5, 0x7fffffff, v2
	s_delay_alu instid0(VALU_DEP_1)
	v_cmpx_gt_u32_e32 0x43f00000, v5
	s_xor_b32 s10, exec_lo, s10
	s_cbranch_execz .LBB103_3137
; %bb.3132:
	s_mov_b32 s11, exec_lo
                                        ; implicit-def: $vgpr3
	v_cmpx_lt_u32_e32 0x3c7fffff, v5
	s_xor_b32 s11, exec_lo, s11
; %bb.3133:
	v_bfe_u32 v3, v2, 20, 1
	s_delay_alu instid0(VALU_DEP_1) | instskip(NEXT) | instid1(VALU_DEP_1)
	v_add3_u32 v3, v2, v3, 0x407ffff
	v_and_b32_e32 v5, 0xff00000, v3
	v_lshrrev_b32_e32 v3, 20, v3
	s_delay_alu instid0(VALU_DEP_2) | instskip(NEXT) | instid1(VALU_DEP_2)
	v_cmp_ne_u32_e32 vcc_lo, 0x7f00000, v5
	v_cndmask_b32_e32 v3, 0x7e, v3, vcc_lo
; %bb.3134:
	s_and_not1_saveexec_b32 s11, s11
; %bb.3135:
	v_add_f32_e64 v3, 0x46800000, |v2|
; %bb.3136:
	s_or_b32 exec_lo, exec_lo, s11
                                        ; implicit-def: $vgpr5
.LBB103_3137:
	s_and_not1_saveexec_b32 s10, s10
; %bb.3138:
	v_mov_b32_e32 v3, 0x7f
	v_cmp_lt_u32_e32 vcc_lo, 0x7f800000, v5
	s_delay_alu instid0(VALU_DEP_2)
	v_cndmask_b32_e32 v3, 0x7e, v3, vcc_lo
; %bb.3139:
	s_or_b32 exec_lo, exec_lo, s10
	v_lshrrev_b32_e32 v2, 24, v2
	s_delay_alu instid0(VALU_DEP_1)
	v_and_or_b32 v2, 0x80, v2, v3
	global_store_b8 v[6:7], v2, off
.LBB103_3140:
	s_mov_b32 s10, 0
.LBB103_3141:
	s_delay_alu instid0(SALU_CYCLE_1)
	s_and_not1_b32 vcc_lo, exec_lo, s10
	s_cbranch_vccnz .LBB103_3151
; %bb.3142:
	s_wait_xcnt 0x0
	s_delay_alu instid0(VALU_DEP_1) | instskip(SKIP_1) | instid1(VALU_DEP_1)
	v_cvt_f32_f64_e32 v2, v[0:1]
	s_mov_b32 s10, exec_lo
                                        ; implicit-def: $vgpr3
	v_and_b32_e32 v5, 0x7fffffff, v2
	s_delay_alu instid0(VALU_DEP_1)
	v_cmpx_gt_u32_e32 0x47800000, v5
	s_xor_b32 s10, exec_lo, s10
	s_cbranch_execz .LBB103_3148
; %bb.3143:
	s_mov_b32 s11, exec_lo
                                        ; implicit-def: $vgpr3
	v_cmpx_lt_u32_e32 0x387fffff, v5
	s_xor_b32 s11, exec_lo, s11
; %bb.3144:
	v_bfe_u32 v3, v2, 21, 1
	s_delay_alu instid0(VALU_DEP_1) | instskip(NEXT) | instid1(VALU_DEP_1)
	v_add3_u32 v3, v2, v3, 0x80fffff
	v_lshrrev_b32_e32 v3, 21, v3
; %bb.3145:
	s_and_not1_saveexec_b32 s11, s11
; %bb.3146:
	v_add_f32_e64 v3, 0x43000000, |v2|
; %bb.3147:
	s_or_b32 exec_lo, exec_lo, s11
                                        ; implicit-def: $vgpr5
.LBB103_3148:
	s_and_not1_saveexec_b32 s10, s10
; %bb.3149:
	v_mov_b32_e32 v3, 0x7f
	v_cmp_lt_u32_e32 vcc_lo, 0x7f800000, v5
	s_delay_alu instid0(VALU_DEP_2)
	v_cndmask_b32_e32 v3, 0x7c, v3, vcc_lo
; %bb.3150:
	s_or_b32 exec_lo, exec_lo, s10
	v_lshrrev_b32_e32 v2, 24, v2
	s_delay_alu instid0(VALU_DEP_1)
	v_and_or_b32 v2, 0x80, v2, v3
	global_store_b8 v[6:7], v2, off
.LBB103_3151:
	s_mov_b32 s10, 0
	s_mov_b32 s11, -1
.LBB103_3152:
	s_and_not1_b32 vcc_lo, exec_lo, s10
	s_mov_b32 s10, 0
	s_cbranch_vccnz .LBB103_3159
; %bb.3153:
	s_cmp_gt_i32 s6, 14
	s_mov_b32 s10, -1
	s_cbranch_scc0 .LBB103_3157
; %bb.3154:
	s_cmp_eq_u32 s6, 15
	s_mov_b32 s0, -1
	s_cbranch_scc0 .LBB103_3156
; %bb.3155:
	s_wait_xcnt 0x0
	s_delay_alu instid0(VALU_DEP_1) | instskip(SKIP_2) | instid1(VALU_DEP_1)
	v_cvt_f32_f64_e32 v2, v[0:1]
	s_mov_b32 s0, 0
	s_mov_b32 s11, -1
	v_bfe_u32 v3, v2, 16, 1
	v_cmp_o_f32_e32 vcc_lo, v2, v2
	s_delay_alu instid0(VALU_DEP_2) | instskip(NEXT) | instid1(VALU_DEP_1)
	v_add3_u32 v3, v2, v3, 0x7fff
	v_lshrrev_b32_e32 v3, 16, v3
	s_delay_alu instid0(VALU_DEP_1)
	v_cndmask_b32_e32 v2, 0x7fc0, v3, vcc_lo
	global_store_b16 v[6:7], v2, off
.LBB103_3156:
	s_mov_b32 s10, 0
.LBB103_3157:
	s_delay_alu instid0(SALU_CYCLE_1)
	s_and_b32 vcc_lo, exec_lo, s10
	s_mov_b32 s10, 0
	s_cbranch_vccz .LBB103_3159
; %bb.3158:
	s_cmp_lg_u32 s6, 11
	s_mov_b32 s10, -1
	s_cselect_b32 s0, -1, 0
.LBB103_3159:
	s_delay_alu instid0(SALU_CYCLE_1)
	s_and_b32 vcc_lo, exec_lo, s0
	s_cbranch_vccnz .LBB103_3339
; %bb.3160:
	s_and_not1_b32 vcc_lo, exec_lo, s10
	s_cbranch_vccnz .LBB103_3162
.LBB103_3161:
	s_delay_alu instid0(VALU_DEP_1)
	v_cmp_neq_f64_e32 vcc_lo, 0, v[0:1]
	s_mov_b32 s11, -1
	s_wait_xcnt 0x0
	v_cndmask_b32_e64 v2, 0, 1, vcc_lo
	global_store_b8 v[6:7], v2, off
.LBB103_3162:
	s_mov_b32 s0, 0
	s_branch .LBB103_3164
.LBB103_3163:
	s_mov_b32 s0, -1
	s_mov_b32 s11, 0
.LBB103_3164:
	s_and_b32 vcc_lo, exec_lo, s0
	s_cbranch_vccz .LBB103_3203
; %bb.3165:
	s_cmp_lt_i32 s6, 5
	s_mov_b32 s0, -1
	s_cbranch_scc1 .LBB103_3186
; %bb.3166:
	s_cmp_lt_i32 s6, 8
	s_cbranch_scc1 .LBB103_3176
; %bb.3167:
	s_cmp_lt_i32 s6, 9
	s_cbranch_scc1 .LBB103_3173
; %bb.3168:
	s_cmp_gt_i32 s6, 9
	s_cbranch_scc0 .LBB103_3170
; %bb.3169:
	s_wait_xcnt 0x0
	v_mov_b32_e32 v2, 0
	s_mov_b32 s0, 0
	s_delay_alu instid0(VALU_DEP_1)
	v_mov_b32_e32 v3, v2
	global_store_b128 v[6:7], v[0:3], off
.LBB103_3170:
	s_and_not1_b32 vcc_lo, exec_lo, s0
	s_cbranch_vccnz .LBB103_3172
; %bb.3171:
	s_wait_xcnt 0x0
	s_delay_alu instid0(VALU_DEP_1)
	v_cvt_f32_f64_e32 v2, v[0:1]
	v_mov_b32_e32 v3, 0
	global_store_b64 v[6:7], v[2:3], off
.LBB103_3172:
	s_mov_b32 s0, 0
.LBB103_3173:
	s_delay_alu instid0(SALU_CYCLE_1)
	s_and_not1_b32 vcc_lo, exec_lo, s0
	s_cbranch_vccnz .LBB103_3175
; %bb.3174:
	s_wait_xcnt 0x0
	s_delay_alu instid0(VALU_DEP_1) | instskip(SKIP_2) | instid1(VALU_DEP_3)
	v_and_or_b32 v2, 0x1ff, v1, v0
	v_lshrrev_b32_e32 v3, 8, v1
	v_bfe_u32 v5, v1, 20, 11
	v_cmp_ne_u32_e32 vcc_lo, 0, v2
	s_delay_alu instid0(VALU_DEP_2) | instskip(SKIP_2) | instid1(VALU_DEP_1)
	v_sub_nc_u32_e32 v8, 0x3f1, v5
	v_add_nc_u32_e32 v5, 0xfffffc10, v5
	v_cndmask_b32_e64 v2, 0, 1, vcc_lo
	v_and_or_b32 v2, 0xffe, v3, v2
	s_delay_alu instid0(VALU_DEP_4) | instskip(NEXT) | instid1(VALU_DEP_2)
	v_med3_i32 v3, v8, 0, 13
	v_or_b32_e32 v8, 0x1000, v2
	s_delay_alu instid0(VALU_DEP_1) | instskip(NEXT) | instid1(VALU_DEP_1)
	v_lshrrev_b32_e32 v9, v3, v8
	v_lshlrev_b32_e32 v3, v3, v9
	s_delay_alu instid0(VALU_DEP_1) | instskip(SKIP_3) | instid1(VALU_DEP_2)
	v_cmp_ne_u32_e32 vcc_lo, v3, v8
	v_lshl_or_b32 v8, v5, 12, v2
	v_cndmask_b32_e64 v3, 0, 1, vcc_lo
	v_cmp_gt_i32_e32 vcc_lo, 1, v5
	v_or_b32_e32 v3, v9, v3
	s_delay_alu instid0(VALU_DEP_1) | instskip(NEXT) | instid1(VALU_DEP_1)
	v_cndmask_b32_e32 v3, v8, v3, vcc_lo
	v_dual_lshrrev_b32 v3, 2, v3 :: v_dual_bitop2_b32 v8, 7, v3 bitop3:0x40
	s_delay_alu instid0(VALU_DEP_1) | instskip(SKIP_4) | instid1(VALU_DEP_2)
	v_cmp_lt_i32_e32 vcc_lo, 5, v8
	v_cndmask_b32_e64 v9, 0, 1, vcc_lo
	v_cmp_eq_u32_e32 vcc_lo, 3, v8
	v_cndmask_b32_e64 v8, 0, 1, vcc_lo
	v_cmp_ne_u32_e32 vcc_lo, 0, v2
	v_or_b32_e32 v8, v8, v9
	v_mov_b32_e32 v9, 0x7e00
	s_delay_alu instid0(VALU_DEP_1) | instskip(SKIP_1) | instid1(VALU_DEP_2)
	v_dual_cndmask_b32 v2, 0x7c00, v9 :: v_dual_add_nc_u32 v3, v3, v8
	v_cmp_gt_i32_e32 vcc_lo, 31, v5
	v_dual_cndmask_b32 v3, 0x7c00, v3 :: v_dual_lshrrev_b32 v8, 16, v1
	v_cmp_eq_u32_e32 vcc_lo, 0x40f, v5
	s_delay_alu instid0(VALU_DEP_2) | instskip(NEXT) | instid1(VALU_DEP_3)
	v_cndmask_b32_e32 v2, v3, v2, vcc_lo
	v_and_b32_e32 v3, 0x8000, v8
	s_delay_alu instid0(VALU_DEP_1)
	v_bitop3_b32 v2, v3, 0xffff, v2 bitop3:0xc8
	global_store_b32 v[6:7], v2, off
.LBB103_3175:
	s_mov_b32 s0, 0
.LBB103_3176:
	s_delay_alu instid0(SALU_CYCLE_1)
	s_and_not1_b32 vcc_lo, exec_lo, s0
	s_cbranch_vccnz .LBB103_3185
; %bb.3177:
	s_cmp_lt_i32 s6, 6
	s_mov_b32 s0, -1
	s_cbranch_scc1 .LBB103_3183
; %bb.3178:
	s_cmp_gt_i32 s6, 6
	s_cbranch_scc0 .LBB103_3180
; %bb.3179:
	s_mov_b32 s0, 0
	global_store_b64 v[6:7], v[0:1], off
.LBB103_3180:
	s_and_not1_b32 vcc_lo, exec_lo, s0
	s_cbranch_vccnz .LBB103_3182
; %bb.3181:
	s_wait_xcnt 0x0
	s_delay_alu instid0(VALU_DEP_1)
	v_cvt_f32_f64_e32 v2, v[0:1]
	global_store_b32 v[6:7], v2, off
.LBB103_3182:
	s_mov_b32 s0, 0
.LBB103_3183:
	s_delay_alu instid0(SALU_CYCLE_1)
	s_and_not1_b32 vcc_lo, exec_lo, s0
	s_cbranch_vccnz .LBB103_3185
; %bb.3184:
	s_wait_xcnt 0x0
	s_delay_alu instid0(VALU_DEP_1) | instskip(SKIP_2) | instid1(VALU_DEP_3)
	v_and_or_b32 v2, 0x1ff, v1, v0
	v_lshrrev_b32_e32 v3, 8, v1
	v_bfe_u32 v5, v1, 20, 11
	v_cmp_ne_u32_e32 vcc_lo, 0, v2
	s_delay_alu instid0(VALU_DEP_2) | instskip(SKIP_2) | instid1(VALU_DEP_1)
	v_sub_nc_u32_e32 v8, 0x3f1, v5
	v_add_nc_u32_e32 v5, 0xfffffc10, v5
	v_cndmask_b32_e64 v2, 0, 1, vcc_lo
	v_and_or_b32 v2, 0xffe, v3, v2
	s_delay_alu instid0(VALU_DEP_4) | instskip(NEXT) | instid1(VALU_DEP_2)
	v_med3_i32 v3, v8, 0, 13
	v_or_b32_e32 v8, 0x1000, v2
	s_delay_alu instid0(VALU_DEP_1) | instskip(NEXT) | instid1(VALU_DEP_1)
	v_lshrrev_b32_e32 v9, v3, v8
	v_lshlrev_b32_e32 v3, v3, v9
	s_delay_alu instid0(VALU_DEP_1) | instskip(SKIP_3) | instid1(VALU_DEP_2)
	v_cmp_ne_u32_e32 vcc_lo, v3, v8
	v_lshl_or_b32 v8, v5, 12, v2
	v_cndmask_b32_e64 v3, 0, 1, vcc_lo
	v_cmp_gt_i32_e32 vcc_lo, 1, v5
	v_or_b32_e32 v3, v9, v3
	s_delay_alu instid0(VALU_DEP_1) | instskip(NEXT) | instid1(VALU_DEP_1)
	v_cndmask_b32_e32 v3, v8, v3, vcc_lo
	v_dual_lshrrev_b32 v3, 2, v3 :: v_dual_bitop2_b32 v8, 7, v3 bitop3:0x40
	s_delay_alu instid0(VALU_DEP_1) | instskip(SKIP_4) | instid1(VALU_DEP_2)
	v_cmp_lt_i32_e32 vcc_lo, 5, v8
	v_cndmask_b32_e64 v9, 0, 1, vcc_lo
	v_cmp_eq_u32_e32 vcc_lo, 3, v8
	v_cndmask_b32_e64 v8, 0, 1, vcc_lo
	v_cmp_ne_u32_e32 vcc_lo, 0, v2
	v_or_b32_e32 v8, v8, v9
	v_mov_b32_e32 v9, 0x7e00
	s_delay_alu instid0(VALU_DEP_1) | instskip(SKIP_1) | instid1(VALU_DEP_2)
	v_dual_cndmask_b32 v2, 0x7c00, v9 :: v_dual_add_nc_u32 v3, v3, v8
	v_cmp_gt_i32_e32 vcc_lo, 31, v5
	v_cndmask_b32_e32 v3, 0x7c00, v3, vcc_lo
	v_cmp_eq_u32_e32 vcc_lo, 0x40f, v5
	s_delay_alu instid0(VALU_DEP_2) | instskip(NEXT) | instid1(VALU_DEP_1)
	v_dual_cndmask_b32 v2, v3, v2 :: v_dual_lshrrev_b32 v3, 16, v1
	v_and_or_b32 v2, 0x8000, v3, v2
	global_store_b16 v[6:7], v2, off
.LBB103_3185:
	s_mov_b32 s0, 0
.LBB103_3186:
	s_delay_alu instid0(SALU_CYCLE_1)
	s_and_not1_b32 vcc_lo, exec_lo, s0
	s_cbranch_vccnz .LBB103_3202
; %bb.3187:
	s_cmp_lt_i32 s6, 2
	s_mov_b32 s0, -1
	s_cbranch_scc1 .LBB103_3197
; %bb.3188:
	s_cmp_lt_i32 s6, 3
	s_cbranch_scc1 .LBB103_3194
; %bb.3189:
	s_cmp_gt_i32 s6, 3
	s_cbranch_scc0 .LBB103_3191
; %bb.3190:
	s_wait_xcnt 0x0
	s_delay_alu instid0(VALU_DEP_1) | instskip(SKIP_1) | instid1(VALU_DEP_1)
	v_trunc_f64_e32 v[2:3], v[0:1]
	s_mov_b32 s0, 0
	v_ldexp_f64 v[8:9], v[2:3], 0xffffffe0
	s_delay_alu instid0(VALU_DEP_1) | instskip(NEXT) | instid1(VALU_DEP_1)
	v_floor_f64_e32 v[8:9], v[8:9]
	v_fmamk_f64 v[2:3], v[8:9], 0xc1f00000, v[2:3]
	v_cvt_i32_f64_e32 v9, v[8:9]
	s_delay_alu instid0(VALU_DEP_2)
	v_cvt_u32_f64_e32 v8, v[2:3]
	global_store_b64 v[6:7], v[8:9], off
.LBB103_3191:
	s_and_not1_b32 vcc_lo, exec_lo, s0
	s_cbranch_vccnz .LBB103_3193
; %bb.3192:
	s_wait_xcnt 0x0
	s_delay_alu instid0(VALU_DEP_1)
	v_cvt_i32_f64_e32 v2, v[0:1]
	global_store_b32 v[6:7], v2, off
.LBB103_3193:
	s_mov_b32 s0, 0
.LBB103_3194:
	s_delay_alu instid0(SALU_CYCLE_1)
	s_and_not1_b32 vcc_lo, exec_lo, s0
	s_cbranch_vccnz .LBB103_3196
; %bb.3195:
	s_wait_xcnt 0x0
	s_delay_alu instid0(VALU_DEP_1)
	v_cvt_i32_f64_e32 v2, v[0:1]
	global_store_b16 v[6:7], v2, off
.LBB103_3196:
	s_mov_b32 s0, 0
.LBB103_3197:
	s_delay_alu instid0(SALU_CYCLE_1)
	s_and_not1_b32 vcc_lo, exec_lo, s0
	s_cbranch_vccnz .LBB103_3202
; %bb.3198:
	s_cmp_gt_i32 s6, 0
	s_mov_b32 s0, -1
	s_cbranch_scc0 .LBB103_3200
; %bb.3199:
	s_wait_xcnt 0x0
	s_delay_alu instid0(VALU_DEP_1)
	v_cvt_i32_f64_e32 v2, v[0:1]
	s_mov_b32 s0, 0
	global_store_b8 v[6:7], v2, off
.LBB103_3200:
	s_and_not1_b32 vcc_lo, exec_lo, s0
	s_cbranch_vccnz .LBB103_3202
; %bb.3201:
	s_wait_xcnt 0x0
	s_delay_alu instid0(VALU_DEP_1) | instskip(NEXT) | instid1(VALU_DEP_1)
	v_trunc_f64_e32 v[0:1], v[0:1]
	v_ldexp_f64 v[2:3], v[0:1], 0xffffffe0
	s_delay_alu instid0(VALU_DEP_1) | instskip(NEXT) | instid1(VALU_DEP_1)
	v_floor_f64_e32 v[2:3], v[2:3]
	v_fmamk_f64 v[0:1], v[2:3], 0xc1f00000, v[0:1]
	s_delay_alu instid0(VALU_DEP_1)
	v_cvt_u32_f64_e32 v0, v[0:1]
	global_store_b8 v[6:7], v0, off
.LBB103_3202:
	s_mov_b32 s11, -1
.LBB103_3203:
	s_delay_alu instid0(SALU_CYCLE_1)
	s_and_not1_b32 vcc_lo, exec_lo, s11
	s_cbranch_vccnz .LBB103_3280
; %bb.3204:
	s_wait_xcnt 0x0
	v_dual_mul_f64 v[0:1], s[4:5], v[16:17] :: v_dual_mov_b32 v5, 0
	s_cmp_lt_i32 s6, 11
	s_delay_alu instid0(VALU_DEP_1) | instskip(NEXT) | instid1(VALU_DEP_2)
	v_add_nc_u64_e32 v[6:7], s[2:3], v[4:5]
	v_mul_f64_e32 v[0:1], v[0:1], v[10:11]
	s_cbranch_scc1 .LBB103_3325
; %bb.3205:
	s_mov_b32 s3, -1
	s_mov_b32 s2, 0
	s_cmp_gt_i32 s6, 25
	s_mov_b32 s0, 0
	s_cbranch_scc0 .LBB103_3238
; %bb.3206:
	s_cmp_gt_i32 s6, 28
	s_cbranch_scc0 .LBB103_3222
; %bb.3207:
	s_cmp_gt_i32 s6, 43
	;; [unrolled: 3-line block ×3, first 2 shown]
	s_cbranch_scc0 .LBB103_3212
; %bb.3209:
	s_cmp_eq_u32 s6, 46
	s_mov_b32 s0, -1
	s_cbranch_scc0 .LBB103_3211
; %bb.3210:
	s_delay_alu instid0(VALU_DEP_1) | instskip(SKIP_1) | instid1(VALU_DEP_1)
	v_cvt_f32_f64_e32 v2, v[0:1]
	s_mov_b32 s0, 0
	v_bfe_u32 v3, v2, 16, 1
	v_cmp_o_f32_e32 vcc_lo, v2, v2
	s_delay_alu instid0(VALU_DEP_2) | instskip(NEXT) | instid1(VALU_DEP_1)
	v_add3_u32 v3, v2, v3, 0x7fff
	v_lshrrev_b32_e32 v3, 16, v3
	s_delay_alu instid0(VALU_DEP_1)
	v_cndmask_b32_e32 v2, 0x7fc0, v3, vcc_lo
	global_store_b32 v[6:7], v2, off
.LBB103_3211:
	s_mov_b32 s3, 0
.LBB103_3212:
	s_delay_alu instid0(SALU_CYCLE_1)
	s_and_b32 vcc_lo, exec_lo, s3
	s_cbranch_vccz .LBB103_3217
; %bb.3213:
	s_cmp_eq_u32 s6, 44
	s_mov_b32 s0, -1
	s_cbranch_scc0 .LBB103_3217
; %bb.3214:
	s_wait_xcnt 0x0
	s_delay_alu instid0(VALU_DEP_1) | instskip(SKIP_2) | instid1(VALU_DEP_2)
	v_cvt_f32_f64_e32 v2, v[0:1]
	v_mov_b32_e32 v3, 0xff
	s_mov_b32 s3, exec_lo
	v_bfe_u32 v4, v2, 23, 8
	s_delay_alu instid0(VALU_DEP_1)
	v_cmpx_ne_u32_e32 0xff, v4
	s_cbranch_execz .LBB103_3216
; %bb.3215:
	v_and_b32_e32 v3, 0x400000, v2
	v_and_or_b32 v4, 0x3fffff, v2, v4
	v_lshrrev_b32_e32 v2, 23, v2
	s_delay_alu instid0(VALU_DEP_3) | instskip(NEXT) | instid1(VALU_DEP_3)
	v_cmp_ne_u32_e32 vcc_lo, 0, v3
	v_cmp_ne_u32_e64 s0, 0, v4
	s_and_b32 s0, vcc_lo, s0
	s_delay_alu instid0(SALU_CYCLE_1) | instskip(NEXT) | instid1(VALU_DEP_1)
	v_cndmask_b32_e64 v3, 0, 1, s0
	v_add_nc_u32_e32 v3, v2, v3
.LBB103_3216:
	s_or_b32 exec_lo, exec_lo, s3
	s_mov_b32 s0, 0
	global_store_b8 v[6:7], v3, off
.LBB103_3217:
	s_mov_b32 s3, 0
.LBB103_3218:
	s_delay_alu instid0(SALU_CYCLE_1)
	s_and_b32 vcc_lo, exec_lo, s3
	s_cbranch_vccz .LBB103_3221
; %bb.3219:
	s_cmp_eq_u32 s6, 29
	s_mov_b32 s0, -1
	s_cbranch_scc0 .LBB103_3221
; %bb.3220:
	s_wait_xcnt 0x0
	s_delay_alu instid0(VALU_DEP_1) | instskip(SKIP_1) | instid1(VALU_DEP_1)
	v_trunc_f64_e32 v[2:3], v[0:1]
	s_mov_b32 s0, 0
	v_ldexp_f64 v[4:5], v[2:3], 0xffffffe0
	s_delay_alu instid0(VALU_DEP_1) | instskip(NEXT) | instid1(VALU_DEP_1)
	v_floor_f64_e32 v[4:5], v[4:5]
	v_fmamk_f64 v[2:3], v[4:5], 0xc1f00000, v[2:3]
	v_cvt_u32_f64_e32 v5, v[4:5]
	s_delay_alu instid0(VALU_DEP_2)
	v_cvt_u32_f64_e32 v4, v[2:3]
	global_store_b64 v[6:7], v[4:5], off
.LBB103_3221:
	s_mov_b32 s3, 0
.LBB103_3222:
	s_delay_alu instid0(SALU_CYCLE_1)
	s_and_b32 vcc_lo, exec_lo, s3
	s_cbranch_vccz .LBB103_3237
; %bb.3223:
	s_cmp_lt_i32 s6, 27
	s_mov_b32 s3, -1
	s_cbranch_scc1 .LBB103_3229
; %bb.3224:
	s_wait_xcnt 0x0
	s_delay_alu instid0(VALU_DEP_1)
	v_cvt_u32_f64_e32 v2, v[0:1]
	s_cmp_gt_i32 s6, 27
	s_cbranch_scc0 .LBB103_3226
; %bb.3225:
	s_mov_b32 s3, 0
	global_store_b32 v[6:7], v2, off
.LBB103_3226:
	s_and_not1_b32 vcc_lo, exec_lo, s3
	s_cbranch_vccnz .LBB103_3228
; %bb.3227:
	global_store_b16 v[6:7], v2, off
.LBB103_3228:
	s_mov_b32 s3, 0
.LBB103_3229:
	s_delay_alu instid0(SALU_CYCLE_1)
	s_and_not1_b32 vcc_lo, exec_lo, s3
	s_cbranch_vccnz .LBB103_3237
; %bb.3230:
	s_wait_xcnt 0x0
	s_delay_alu instid0(VALU_DEP_1) | instskip(SKIP_2) | instid1(VALU_DEP_2)
	v_cvt_f32_f64_e32 v2, v[0:1]
	v_mov_b32_e32 v4, 0x80
	s_mov_b32 s3, exec_lo
	v_and_b32_e32 v3, 0x7fffffff, v2
	s_delay_alu instid0(VALU_DEP_1)
	v_cmpx_gt_u32_e32 0x43800000, v3
	s_cbranch_execz .LBB103_3236
; %bb.3231:
	v_cmp_lt_u32_e32 vcc_lo, 0x3bffffff, v3
	s_mov_b32 s4, 0
                                        ; implicit-def: $vgpr3
	s_and_saveexec_b32 s5, vcc_lo
	s_delay_alu instid0(SALU_CYCLE_1)
	s_xor_b32 s5, exec_lo, s5
	s_cbranch_execz .LBB103_3342
; %bb.3232:
	v_bfe_u32 v3, v2, 20, 1
	s_mov_b32 s4, exec_lo
	s_delay_alu instid0(VALU_DEP_1) | instskip(NEXT) | instid1(VALU_DEP_1)
	v_add3_u32 v3, v2, v3, 0x487ffff
	v_lshrrev_b32_e32 v3, 20, v3
	s_and_not1_saveexec_b32 s5, s5
	s_cbranch_execnz .LBB103_3343
.LBB103_3233:
	s_or_b32 exec_lo, exec_lo, s5
	v_mov_b32_e32 v4, 0
	s_and_saveexec_b32 s5, s4
.LBB103_3234:
	v_lshrrev_b32_e32 v2, 24, v2
	s_delay_alu instid0(VALU_DEP_1)
	v_and_or_b32 v4, 0x80, v2, v3
.LBB103_3235:
	s_or_b32 exec_lo, exec_lo, s5
.LBB103_3236:
	s_delay_alu instid0(SALU_CYCLE_1)
	s_or_b32 exec_lo, exec_lo, s3
	global_store_b8 v[6:7], v4, off
.LBB103_3237:
	s_mov_b32 s3, 0
.LBB103_3238:
	s_delay_alu instid0(SALU_CYCLE_1)
	s_and_b32 vcc_lo, exec_lo, s3
	s_cbranch_vccz .LBB103_3278
; %bb.3239:
	s_cmp_gt_i32 s6, 22
	s_mov_b32 s2, -1
	s_cbranch_scc0 .LBB103_3271
; %bb.3240:
	s_cmp_lt_i32 s6, 24
	s_cbranch_scc1 .LBB103_3260
; %bb.3241:
	s_cmp_gt_i32 s6, 24
	s_cbranch_scc0 .LBB103_3249
; %bb.3242:
	s_wait_xcnt 0x0
	s_delay_alu instid0(VALU_DEP_1) | instskip(SKIP_2) | instid1(VALU_DEP_2)
	v_cvt_f32_f64_e32 v2, v[0:1]
	v_mov_b32_e32 v4, 0x80
	s_mov_b32 s2, exec_lo
	v_and_b32_e32 v3, 0x7fffffff, v2
	s_delay_alu instid0(VALU_DEP_1)
	v_cmpx_gt_u32_e32 0x47800000, v3
	s_cbranch_execz .LBB103_3248
; %bb.3243:
	v_cmp_lt_u32_e32 vcc_lo, 0x37ffffff, v3
	s_mov_b32 s3, 0
                                        ; implicit-def: $vgpr3
	s_and_saveexec_b32 s4, vcc_lo
	s_delay_alu instid0(SALU_CYCLE_1)
	s_xor_b32 s4, exec_lo, s4
	s_cbranch_execz .LBB103_3345
; %bb.3244:
	v_bfe_u32 v3, v2, 21, 1
	s_mov_b32 s3, exec_lo
	s_delay_alu instid0(VALU_DEP_1) | instskip(NEXT) | instid1(VALU_DEP_1)
	v_add3_u32 v3, v2, v3, 0x88fffff
	v_lshrrev_b32_e32 v3, 21, v3
	s_and_not1_saveexec_b32 s4, s4
	s_cbranch_execnz .LBB103_3346
.LBB103_3245:
	s_or_b32 exec_lo, exec_lo, s4
	v_mov_b32_e32 v4, 0
	s_and_saveexec_b32 s4, s3
.LBB103_3246:
	v_lshrrev_b32_e32 v2, 24, v2
	s_delay_alu instid0(VALU_DEP_1)
	v_and_or_b32 v4, 0x80, v2, v3
.LBB103_3247:
	s_or_b32 exec_lo, exec_lo, s4
.LBB103_3248:
	s_delay_alu instid0(SALU_CYCLE_1)
	s_or_b32 exec_lo, exec_lo, s2
	s_mov_b32 s2, 0
	global_store_b8 v[6:7], v4, off
.LBB103_3249:
	s_and_b32 vcc_lo, exec_lo, s2
	s_cbranch_vccz .LBB103_3259
; %bb.3250:
	s_wait_xcnt 0x0
	s_delay_alu instid0(VALU_DEP_1) | instskip(SKIP_1) | instid1(VALU_DEP_1)
	v_cvt_f32_f64_e32 v2, v[0:1]
	s_mov_b32 s2, exec_lo
                                        ; implicit-def: $vgpr3
	v_and_b32_e32 v4, 0x7fffffff, v2
	s_delay_alu instid0(VALU_DEP_1)
	v_cmpx_gt_u32_e32 0x43f00000, v4
	s_xor_b32 s2, exec_lo, s2
	s_cbranch_execz .LBB103_3256
; %bb.3251:
	s_mov_b32 s3, exec_lo
                                        ; implicit-def: $vgpr3
	v_cmpx_lt_u32_e32 0x3c7fffff, v4
	s_xor_b32 s3, exec_lo, s3
; %bb.3252:
	v_bfe_u32 v3, v2, 20, 1
	s_delay_alu instid0(VALU_DEP_1) | instskip(NEXT) | instid1(VALU_DEP_1)
	v_add3_u32 v3, v2, v3, 0x407ffff
	v_and_b32_e32 v4, 0xff00000, v3
	v_lshrrev_b32_e32 v3, 20, v3
	s_delay_alu instid0(VALU_DEP_2) | instskip(NEXT) | instid1(VALU_DEP_2)
	v_cmp_ne_u32_e32 vcc_lo, 0x7f00000, v4
	v_cndmask_b32_e32 v3, 0x7e, v3, vcc_lo
; %bb.3253:
	s_and_not1_saveexec_b32 s3, s3
; %bb.3254:
	v_add_f32_e64 v3, 0x46800000, |v2|
; %bb.3255:
	s_or_b32 exec_lo, exec_lo, s3
                                        ; implicit-def: $vgpr4
.LBB103_3256:
	s_and_not1_saveexec_b32 s2, s2
; %bb.3257:
	v_mov_b32_e32 v3, 0x7f
	v_cmp_lt_u32_e32 vcc_lo, 0x7f800000, v4
	s_delay_alu instid0(VALU_DEP_2)
	v_cndmask_b32_e32 v3, 0x7e, v3, vcc_lo
; %bb.3258:
	s_or_b32 exec_lo, exec_lo, s2
	v_lshrrev_b32_e32 v2, 24, v2
	s_delay_alu instid0(VALU_DEP_1)
	v_and_or_b32 v2, 0x80, v2, v3
	global_store_b8 v[6:7], v2, off
.LBB103_3259:
	s_mov_b32 s2, 0
.LBB103_3260:
	s_delay_alu instid0(SALU_CYCLE_1)
	s_and_not1_b32 vcc_lo, exec_lo, s2
	s_cbranch_vccnz .LBB103_3270
; %bb.3261:
	s_wait_xcnt 0x0
	s_delay_alu instid0(VALU_DEP_1) | instskip(SKIP_1) | instid1(VALU_DEP_1)
	v_cvt_f32_f64_e32 v2, v[0:1]
	s_mov_b32 s2, exec_lo
                                        ; implicit-def: $vgpr3
	v_and_b32_e32 v4, 0x7fffffff, v2
	s_delay_alu instid0(VALU_DEP_1)
	v_cmpx_gt_u32_e32 0x47800000, v4
	s_xor_b32 s2, exec_lo, s2
	s_cbranch_execz .LBB103_3267
; %bb.3262:
	s_mov_b32 s3, exec_lo
                                        ; implicit-def: $vgpr3
	v_cmpx_lt_u32_e32 0x387fffff, v4
	s_xor_b32 s3, exec_lo, s3
; %bb.3263:
	v_bfe_u32 v3, v2, 21, 1
	s_delay_alu instid0(VALU_DEP_1) | instskip(NEXT) | instid1(VALU_DEP_1)
	v_add3_u32 v3, v2, v3, 0x80fffff
	v_lshrrev_b32_e32 v3, 21, v3
; %bb.3264:
	s_and_not1_saveexec_b32 s3, s3
; %bb.3265:
	v_add_f32_e64 v3, 0x43000000, |v2|
; %bb.3266:
	s_or_b32 exec_lo, exec_lo, s3
                                        ; implicit-def: $vgpr4
.LBB103_3267:
	s_and_not1_saveexec_b32 s2, s2
; %bb.3268:
	v_mov_b32_e32 v3, 0x7f
	v_cmp_lt_u32_e32 vcc_lo, 0x7f800000, v4
	s_delay_alu instid0(VALU_DEP_2)
	v_cndmask_b32_e32 v3, 0x7c, v3, vcc_lo
; %bb.3269:
	s_or_b32 exec_lo, exec_lo, s2
	v_lshrrev_b32_e32 v2, 24, v2
	s_delay_alu instid0(VALU_DEP_1)
	v_and_or_b32 v2, 0x80, v2, v3
	global_store_b8 v[6:7], v2, off
.LBB103_3270:
	s_mov_b32 s2, 0
.LBB103_3271:
	s_delay_alu instid0(SALU_CYCLE_1)
	s_and_not1_b32 vcc_lo, exec_lo, s2
	s_mov_b32 s2, 0
	s_cbranch_vccnz .LBB103_3278
; %bb.3272:
	s_cmp_gt_i32 s6, 14
	s_mov_b32 s2, -1
	s_cbranch_scc0 .LBB103_3276
; %bb.3273:
	s_cmp_eq_u32 s6, 15
	s_mov_b32 s0, -1
	s_cbranch_scc0 .LBB103_3275
; %bb.3274:
	s_wait_xcnt 0x0
	s_delay_alu instid0(VALU_DEP_1) | instskip(SKIP_1) | instid1(VALU_DEP_1)
	v_cvt_f32_f64_e32 v2, v[0:1]
	s_mov_b32 s0, 0
	v_bfe_u32 v3, v2, 16, 1
	v_cmp_o_f32_e32 vcc_lo, v2, v2
	s_delay_alu instid0(VALU_DEP_2) | instskip(NEXT) | instid1(VALU_DEP_1)
	v_add3_u32 v3, v2, v3, 0x7fff
	v_lshrrev_b32_e32 v3, 16, v3
	s_delay_alu instid0(VALU_DEP_1)
	v_cndmask_b32_e32 v2, 0x7fc0, v3, vcc_lo
	global_store_b16 v[6:7], v2, off
.LBB103_3275:
	s_mov_b32 s2, 0
.LBB103_3276:
	s_delay_alu instid0(SALU_CYCLE_1)
	s_and_b32 vcc_lo, exec_lo, s2
	s_mov_b32 s2, 0
	s_cbranch_vccz .LBB103_3278
; %bb.3277:
	s_cmp_lg_u32 s6, 11
	s_mov_b32 s2, -1
	s_cselect_b32 s0, -1, 0
.LBB103_3278:
	s_delay_alu instid0(SALU_CYCLE_1)
	s_and_b32 vcc_lo, exec_lo, s0
	s_cbranch_vccnz .LBB103_3344
.LBB103_3279:
	s_mov_b32 s0, 0
	s_branch .LBB103_3281
.LBB103_3280:
	s_mov_b32 s0, 0
	s_wait_xcnt 0x0
	s_mov_b32 s2, 0
                                        ; implicit-def: $vgpr6_vgpr7
                                        ; implicit-def: $sgpr1
                                        ; implicit-def: $vgpr0_vgpr1
.LBB103_3281:
	s_and_not1_b32 s3, s7, exec_lo
	s_and_b32 s4, s9, exec_lo
	s_and_b32 s0, s0, exec_lo
	;; [unrolled: 1-line block ×3, first 2 shown]
	s_or_b32 s7, s3, s4
.LBB103_3282:
	s_wait_xcnt 0x0
	s_or_b32 exec_lo, exec_lo, s8
	s_and_saveexec_b32 s2, s7
	s_cbranch_execz .LBB103_3285
; %bb.3283:
	; divergent unreachable
	s_or_b32 exec_lo, exec_lo, s2
	s_and_saveexec_b32 s2, s33
	s_delay_alu instid0(SALU_CYCLE_1)
	s_xor_b32 s2, exec_lo, s2
	s_cbranch_execnz .LBB103_3286
.LBB103_3284:
	s_or_b32 exec_lo, exec_lo, s2
	s_and_saveexec_b32 s2, s0
	s_cbranch_execnz .LBB103_3287
	s_branch .LBB103_3324
.LBB103_3285:
	s_or_b32 exec_lo, exec_lo, s2
	s_and_saveexec_b32 s2, s33
	s_delay_alu instid0(SALU_CYCLE_1)
	s_xor_b32 s2, exec_lo, s2
	s_cbranch_execz .LBB103_3284
.LBB103_3286:
	s_wait_loadcnt 0x0
	s_delay_alu instid0(VALU_DEP_1)
	v_cmp_neq_f64_e32 vcc_lo, 0, v[0:1]
	v_cndmask_b32_e64 v2, 0, 1, vcc_lo
	global_store_b8 v[6:7], v2, off
	s_wait_xcnt 0x0
	s_or_b32 exec_lo, exec_lo, s2
	s_and_saveexec_b32 s2, s0
	s_cbranch_execz .LBB103_3324
.LBB103_3287:
	s_sext_i32_i16 s2, s1
	s_mov_b32 s0, -1
	s_cmp_lt_i32 s2, 5
	s_cbranch_scc1 .LBB103_3308
; %bb.3288:
	s_cmp_lt_i32 s2, 8
	s_cbranch_scc1 .LBB103_3298
; %bb.3289:
	;; [unrolled: 3-line block ×3, first 2 shown]
	s_cmp_gt_i32 s2, 9
	s_cbranch_scc0 .LBB103_3292
; %bb.3291:
	v_mov_b32_e32 v2, 0
	s_mov_b32 s0, 0
	s_delay_alu instid0(VALU_DEP_1)
	v_mov_b32_e32 v3, v2
	s_wait_loadcnt 0x0
	global_store_b128 v[6:7], v[0:3], off
.LBB103_3292:
	s_and_not1_b32 vcc_lo, exec_lo, s0
	s_cbranch_vccnz .LBB103_3294
; %bb.3293:
	s_wait_loadcnt 0x0
	v_cvt_f32_f64_e32 v2, v[0:1]
	v_mov_b32_e32 v3, 0
	global_store_b64 v[6:7], v[2:3], off
.LBB103_3294:
	s_mov_b32 s0, 0
.LBB103_3295:
	s_delay_alu instid0(SALU_CYCLE_1)
	s_and_not1_b32 vcc_lo, exec_lo, s0
	s_cbranch_vccnz .LBB103_3297
; %bb.3296:
	s_wait_loadcnt 0x0
	v_and_or_b32 v2, 0x1ff, v1, v0
	v_lshrrev_b32_e32 v3, 8, v1
	v_bfe_u32 v4, v1, 20, 11
	s_delay_alu instid0(VALU_DEP_3) | instskip(NEXT) | instid1(VALU_DEP_2)
	v_cmp_ne_u32_e32 vcc_lo, 0, v2
	v_sub_nc_u32_e32 v5, 0x3f1, v4
	v_add_nc_u32_e32 v4, 0xfffffc10, v4
	v_cndmask_b32_e64 v2, 0, 1, vcc_lo
	s_delay_alu instid0(VALU_DEP_1) | instskip(NEXT) | instid1(VALU_DEP_4)
	v_and_or_b32 v2, 0xffe, v3, v2
	v_med3_i32 v3, v5, 0, 13
	s_delay_alu instid0(VALU_DEP_2) | instskip(NEXT) | instid1(VALU_DEP_1)
	v_or_b32_e32 v5, 0x1000, v2
	v_lshrrev_b32_e32 v8, v3, v5
	s_delay_alu instid0(VALU_DEP_1) | instskip(NEXT) | instid1(VALU_DEP_1)
	v_lshlrev_b32_e32 v3, v3, v8
	v_cmp_ne_u32_e32 vcc_lo, v3, v5
	v_lshl_or_b32 v5, v4, 12, v2
	v_cndmask_b32_e64 v3, 0, 1, vcc_lo
	v_cmp_gt_i32_e32 vcc_lo, 1, v4
	s_delay_alu instid0(VALU_DEP_2) | instskip(NEXT) | instid1(VALU_DEP_1)
	v_or_b32_e32 v3, v8, v3
	v_cndmask_b32_e32 v3, v5, v3, vcc_lo
	s_delay_alu instid0(VALU_DEP_1) | instskip(NEXT) | instid1(VALU_DEP_1)
	v_dual_lshrrev_b32 v3, 2, v3 :: v_dual_bitop2_b32 v5, 7, v3 bitop3:0x40
	v_cmp_lt_i32_e32 vcc_lo, 5, v5
	v_cndmask_b32_e64 v8, 0, 1, vcc_lo
	v_cmp_eq_u32_e32 vcc_lo, 3, v5
	v_cndmask_b32_e64 v5, 0, 1, vcc_lo
	v_cmp_ne_u32_e32 vcc_lo, 0, v2
	s_delay_alu instid0(VALU_DEP_2) | instskip(NEXT) | instid1(VALU_DEP_1)
	v_or_b32_e32 v5, v5, v8
	v_dual_mov_b32 v8, 0x7e00 :: v_dual_add_nc_u32 v3, v3, v5
	s_delay_alu instid0(VALU_DEP_1) | instskip(SKIP_2) | instid1(VALU_DEP_4)
	v_cndmask_b32_e32 v2, 0x7c00, v8, vcc_lo
	v_cmp_gt_i32_e32 vcc_lo, 31, v4
	v_lshrrev_b32_e32 v5, 16, v1
	v_cndmask_b32_e32 v3, 0x7c00, v3, vcc_lo
	v_cmp_eq_u32_e32 vcc_lo, 0x40f, v4
	s_delay_alu instid0(VALU_DEP_2) | instskip(NEXT) | instid1(VALU_DEP_4)
	v_cndmask_b32_e32 v2, v3, v2, vcc_lo
	v_and_b32_e32 v3, 0x8000, v5
	s_delay_alu instid0(VALU_DEP_1)
	v_bitop3_b32 v2, v3, 0xffff, v2 bitop3:0xc8
	global_store_b32 v[6:7], v2, off
.LBB103_3297:
	s_mov_b32 s0, 0
.LBB103_3298:
	s_delay_alu instid0(SALU_CYCLE_1)
	s_and_not1_b32 vcc_lo, exec_lo, s0
	s_cbranch_vccnz .LBB103_3307
; %bb.3299:
	s_sext_i32_i16 s2, s1
	s_mov_b32 s0, -1
	s_cmp_lt_i32 s2, 6
	s_cbranch_scc1 .LBB103_3305
; %bb.3300:
	s_cmp_gt_i32 s2, 6
	s_cbranch_scc0 .LBB103_3302
; %bb.3301:
	s_mov_b32 s0, 0
	s_wait_loadcnt 0x0
	global_store_b64 v[6:7], v[0:1], off
.LBB103_3302:
	s_and_not1_b32 vcc_lo, exec_lo, s0
	s_cbranch_vccnz .LBB103_3304
; %bb.3303:
	s_wait_loadcnt 0x0
	v_cvt_f32_f64_e32 v2, v[0:1]
	global_store_b32 v[6:7], v2, off
.LBB103_3304:
	s_mov_b32 s0, 0
.LBB103_3305:
	s_delay_alu instid0(SALU_CYCLE_1)
	s_and_not1_b32 vcc_lo, exec_lo, s0
	s_cbranch_vccnz .LBB103_3307
; %bb.3306:
	s_wait_loadcnt 0x0
	v_and_or_b32 v2, 0x1ff, v1, v0
	v_lshrrev_b32_e32 v3, 8, v1
	v_bfe_u32 v4, v1, 20, 11
	s_delay_alu instid0(VALU_DEP_3) | instskip(NEXT) | instid1(VALU_DEP_2)
	v_cmp_ne_u32_e32 vcc_lo, 0, v2
	v_sub_nc_u32_e32 v5, 0x3f1, v4
	v_add_nc_u32_e32 v4, 0xfffffc10, v4
	v_cndmask_b32_e64 v2, 0, 1, vcc_lo
	s_delay_alu instid0(VALU_DEP_1) | instskip(NEXT) | instid1(VALU_DEP_4)
	v_and_or_b32 v2, 0xffe, v3, v2
	v_med3_i32 v3, v5, 0, 13
	s_delay_alu instid0(VALU_DEP_2) | instskip(NEXT) | instid1(VALU_DEP_1)
	v_or_b32_e32 v5, 0x1000, v2
	v_lshrrev_b32_e32 v8, v3, v5
	s_delay_alu instid0(VALU_DEP_1) | instskip(NEXT) | instid1(VALU_DEP_1)
	v_lshlrev_b32_e32 v3, v3, v8
	v_cmp_ne_u32_e32 vcc_lo, v3, v5
	v_lshl_or_b32 v5, v4, 12, v2
	v_cndmask_b32_e64 v3, 0, 1, vcc_lo
	v_cmp_gt_i32_e32 vcc_lo, 1, v4
	s_delay_alu instid0(VALU_DEP_2) | instskip(NEXT) | instid1(VALU_DEP_1)
	v_or_b32_e32 v3, v8, v3
	v_cndmask_b32_e32 v3, v5, v3, vcc_lo
	s_delay_alu instid0(VALU_DEP_1) | instskip(NEXT) | instid1(VALU_DEP_1)
	v_dual_lshrrev_b32 v3, 2, v3 :: v_dual_bitop2_b32 v5, 7, v3 bitop3:0x40
	v_cmp_lt_i32_e32 vcc_lo, 5, v5
	v_cndmask_b32_e64 v8, 0, 1, vcc_lo
	v_cmp_eq_u32_e32 vcc_lo, 3, v5
	v_cndmask_b32_e64 v5, 0, 1, vcc_lo
	v_cmp_ne_u32_e32 vcc_lo, 0, v2
	s_delay_alu instid0(VALU_DEP_2) | instskip(NEXT) | instid1(VALU_DEP_1)
	v_or_b32_e32 v5, v5, v8
	v_dual_mov_b32 v8, 0x7e00 :: v_dual_add_nc_u32 v3, v3, v5
	s_delay_alu instid0(VALU_DEP_1) | instskip(SKIP_1) | instid1(VALU_DEP_3)
	v_cndmask_b32_e32 v2, 0x7c00, v8, vcc_lo
	v_cmp_gt_i32_e32 vcc_lo, 31, v4
	v_cndmask_b32_e32 v3, 0x7c00, v3, vcc_lo
	v_cmp_eq_u32_e32 vcc_lo, 0x40f, v4
	s_delay_alu instid0(VALU_DEP_2) | instskip(NEXT) | instid1(VALU_DEP_1)
	v_dual_cndmask_b32 v2, v3, v2 :: v_dual_lshrrev_b32 v3, 16, v1
	v_and_or_b32 v2, 0x8000, v3, v2
	global_store_b16 v[6:7], v2, off
.LBB103_3307:
	s_mov_b32 s0, 0
.LBB103_3308:
	s_delay_alu instid0(SALU_CYCLE_1)
	s_and_not1_b32 vcc_lo, exec_lo, s0
	s_cbranch_vccnz .LBB103_3324
; %bb.3309:
	s_sext_i32_i16 s2, s1
	s_mov_b32 s0, -1
	s_cmp_lt_i32 s2, 2
	s_cbranch_scc1 .LBB103_3319
; %bb.3310:
	s_cmp_lt_i32 s2, 3
	s_cbranch_scc1 .LBB103_3316
; %bb.3311:
	s_cmp_gt_i32 s2, 3
	s_cbranch_scc0 .LBB103_3313
; %bb.3312:
	s_wait_loadcnt 0x0
	v_trunc_f64_e32 v[2:3], v[0:1]
	s_mov_b32 s0, 0
	s_delay_alu instid0(VALU_DEP_1) | instskip(NEXT) | instid1(VALU_DEP_1)
	v_ldexp_f64 v[4:5], v[2:3], 0xffffffe0
	v_floor_f64_e32 v[4:5], v[4:5]
	s_delay_alu instid0(VALU_DEP_1) | instskip(SKIP_1) | instid1(VALU_DEP_2)
	v_fmamk_f64 v[2:3], v[4:5], 0xc1f00000, v[2:3]
	v_cvt_i32_f64_e32 v5, v[4:5]
	v_cvt_u32_f64_e32 v4, v[2:3]
	global_store_b64 v[6:7], v[4:5], off
.LBB103_3313:
	s_and_not1_b32 vcc_lo, exec_lo, s0
	s_cbranch_vccnz .LBB103_3315
; %bb.3314:
	s_wait_loadcnt 0x0
	v_cvt_i32_f64_e32 v2, v[0:1]
	global_store_b32 v[6:7], v2, off
.LBB103_3315:
	s_mov_b32 s0, 0
.LBB103_3316:
	s_delay_alu instid0(SALU_CYCLE_1)
	s_and_not1_b32 vcc_lo, exec_lo, s0
	s_cbranch_vccnz .LBB103_3318
; %bb.3317:
	s_wait_loadcnt 0x0
	v_cvt_i32_f64_e32 v2, v[0:1]
	global_store_b16 v[6:7], v2, off
.LBB103_3318:
	s_mov_b32 s0, 0
.LBB103_3319:
	s_delay_alu instid0(SALU_CYCLE_1)
	s_and_not1_b32 vcc_lo, exec_lo, s0
	s_cbranch_vccnz .LBB103_3324
; %bb.3320:
	s_sext_i32_i16 s0, s1
	s_delay_alu instid0(SALU_CYCLE_1)
	s_cmp_gt_i32 s0, 0
	s_mov_b32 s0, -1
	s_cbranch_scc0 .LBB103_3322
; %bb.3321:
	s_wait_loadcnt 0x0
	v_cvt_i32_f64_e32 v2, v[0:1]
	s_mov_b32 s0, 0
	global_store_b8 v[6:7], v2, off
.LBB103_3322:
	s_and_not1_b32 vcc_lo, exec_lo, s0
	s_cbranch_vccnz .LBB103_3324
; %bb.3323:
	s_wait_loadcnt 0x0
	v_trunc_f64_e32 v[0:1], v[0:1]
	s_delay_alu instid0(VALU_DEP_1) | instskip(NEXT) | instid1(VALU_DEP_1)
	v_ldexp_f64 v[2:3], v[0:1], 0xffffffe0
	v_floor_f64_e32 v[2:3], v[2:3]
	s_delay_alu instid0(VALU_DEP_1) | instskip(NEXT) | instid1(VALU_DEP_1)
	v_fmamk_f64 v[0:1], v[2:3], 0xc1f00000, v[0:1]
	v_cvt_u32_f64_e32 v0, v[0:1]
	global_store_b8 v[6:7], v0, off
	s_endpgm
.LBB103_3324:
	s_endpgm
.LBB103_3325:
	s_mov_b32 s2, 0
	s_mov_b32 s0, -1
	s_branch .LBB103_3281
.LBB103_3326:
	s_or_b32 s9, s9, exec_lo
	s_trap 2
	s_cbranch_execz .LBB103_2795
	s_branch .LBB103_2796
.LBB103_3327:
	s_and_not1_saveexec_b32 s13, s13
	s_cbranch_execz .LBB103_2875
.LBB103_3328:
	v_add_f32_e64 v3, 0x46000000, |v2|
	s_and_not1_b32 s12, s12, exec_lo
	s_delay_alu instid0(VALU_DEP_1) | instskip(NEXT) | instid1(VALU_DEP_1)
	v_and_b32_e32 v3, 0xff, v3
	v_cmp_ne_u32_e32 vcc_lo, 0, v3
	s_and_b32 s14, vcc_lo, exec_lo
	s_delay_alu instid0(SALU_CYCLE_1)
	s_or_b32 s12, s12, s14
	s_or_b32 exec_lo, exec_lo, s13
	v_mov_b32_e32 v5, 0
	s_and_saveexec_b32 s13, s12
	s_cbranch_execnz .LBB103_2876
	s_branch .LBB103_2877
.LBB103_3329:
	s_or_b32 s9, s9, exec_lo
	s_trap 2
	s_cbranch_execz .LBB103_2923
	s_branch .LBB103_2924
.LBB103_3330:
	s_and_not1_saveexec_b32 s12, s12
	s_cbranch_execz .LBB103_2888
.LBB103_3331:
	v_add_f32_e64 v3, 0x42800000, |v2|
	s_and_not1_b32 s11, s11, exec_lo
	s_delay_alu instid0(VALU_DEP_1) | instskip(NEXT) | instid1(VALU_DEP_1)
	v_and_b32_e32 v3, 0xff, v3
	v_cmp_ne_u32_e32 vcc_lo, 0, v3
	s_and_b32 s13, vcc_lo, exec_lo
	s_delay_alu instid0(SALU_CYCLE_1)
	s_or_b32 s11, s11, s13
	s_or_b32 exec_lo, exec_lo, s12
	v_mov_b32_e32 v5, 0
	s_and_saveexec_b32 s12, s11
	s_cbranch_execnz .LBB103_2889
	s_branch .LBB103_2890
.LBB103_3332:
	s_and_not1_saveexec_b32 s13, s13
	s_cbranch_execz .LBB103_2994
.LBB103_3333:
	v_add_f32_e64 v3, 0x46000000, |v2|
	s_and_not1_b32 s12, s12, exec_lo
	s_delay_alu instid0(VALU_DEP_1) | instskip(NEXT) | instid1(VALU_DEP_1)
	v_and_b32_e32 v3, 0xff, v3
	v_cmp_ne_u32_e32 vcc_lo, 0, v3
	s_and_b32 s14, vcc_lo, exec_lo
	s_delay_alu instid0(SALU_CYCLE_1)
	s_or_b32 s12, s12, s14
	s_or_b32 exec_lo, exec_lo, s13
	v_mov_b32_e32 v5, 0
	s_and_saveexec_b32 s13, s12
	s_cbranch_execnz .LBB103_2995
	s_branch .LBB103_2996
.LBB103_3334:
	s_or_b32 s9, s9, exec_lo
	s_trap 2
	s_cbranch_execz .LBB103_3042
	s_branch .LBB103_3043
.LBB103_3335:
	s_and_not1_saveexec_b32 s12, s12
	s_cbranch_execz .LBB103_3007
.LBB103_3336:
	v_add_f32_e64 v3, 0x42800000, |v2|
	s_and_not1_b32 s11, s11, exec_lo
	s_delay_alu instid0(VALU_DEP_1) | instskip(NEXT) | instid1(VALU_DEP_1)
	v_and_b32_e32 v3, 0xff, v3
	v_cmp_ne_u32_e32 vcc_lo, 0, v3
	s_and_b32 s13, vcc_lo, exec_lo
	s_delay_alu instid0(SALU_CYCLE_1)
	s_or_b32 s11, s11, s13
	s_or_b32 exec_lo, exec_lo, s12
	v_mov_b32_e32 v5, 0
	s_and_saveexec_b32 s12, s11
	s_cbranch_execnz .LBB103_3008
	s_branch .LBB103_3009
.LBB103_3337:
	s_and_not1_saveexec_b32 s13, s13
	s_cbranch_execz .LBB103_3113
.LBB103_3338:
	v_add_f32_e64 v3, 0x46000000, |v2|
	s_and_not1_b32 s12, s12, exec_lo
	s_delay_alu instid0(VALU_DEP_1) | instskip(NEXT) | instid1(VALU_DEP_1)
	v_and_b32_e32 v3, 0xff, v3
	v_cmp_ne_u32_e32 vcc_lo, 0, v3
	s_and_b32 s14, vcc_lo, exec_lo
	s_delay_alu instid0(SALU_CYCLE_1)
	s_or_b32 s12, s12, s14
	s_or_b32 exec_lo, exec_lo, s13
	v_mov_b32_e32 v5, 0
	s_and_saveexec_b32 s13, s12
	s_cbranch_execnz .LBB103_3114
	s_branch .LBB103_3115
.LBB103_3339:
	s_or_b32 s9, s9, exec_lo
	s_trap 2
	s_cbranch_execz .LBB103_3161
	s_branch .LBB103_3162
.LBB103_3340:
	s_and_not1_saveexec_b32 s12, s12
	s_cbranch_execz .LBB103_3126
.LBB103_3341:
	v_add_f32_e64 v3, 0x42800000, |v2|
	s_and_not1_b32 s11, s11, exec_lo
	s_delay_alu instid0(VALU_DEP_1) | instskip(NEXT) | instid1(VALU_DEP_1)
	v_and_b32_e32 v3, 0xff, v3
	v_cmp_ne_u32_e32 vcc_lo, 0, v3
	s_and_b32 s13, vcc_lo, exec_lo
	s_delay_alu instid0(SALU_CYCLE_1)
	s_or_b32 s11, s11, s13
	s_or_b32 exec_lo, exec_lo, s12
	v_mov_b32_e32 v5, 0
	s_and_saveexec_b32 s12, s11
	s_cbranch_execnz .LBB103_3127
	s_branch .LBB103_3128
.LBB103_3342:
	s_and_not1_saveexec_b32 s5, s5
	s_cbranch_execz .LBB103_3233
.LBB103_3343:
	v_add_f32_e64 v3, 0x46000000, |v2|
	s_and_not1_b32 s4, s4, exec_lo
	s_delay_alu instid0(VALU_DEP_1) | instskip(NEXT) | instid1(VALU_DEP_1)
	v_and_b32_e32 v3, 0xff, v3
	v_cmp_ne_u32_e32 vcc_lo, 0, v3
	s_and_b32 s10, vcc_lo, exec_lo
	s_delay_alu instid0(SALU_CYCLE_1)
	s_or_b32 s4, s4, s10
	s_or_b32 exec_lo, exec_lo, s5
	v_mov_b32_e32 v4, 0
	s_and_saveexec_b32 s5, s4
	s_cbranch_execnz .LBB103_3234
	s_branch .LBB103_3235
.LBB103_3344:
	s_mov_b32 s2, 0
	s_or_b32 s9, s9, exec_lo
	s_trap 2
	s_branch .LBB103_3279
.LBB103_3345:
	s_and_not1_saveexec_b32 s4, s4
	s_cbranch_execz .LBB103_3245
.LBB103_3346:
	v_add_f32_e64 v3, 0x42800000, |v2|
	s_and_not1_b32 s3, s3, exec_lo
	s_delay_alu instid0(VALU_DEP_1) | instskip(NEXT) | instid1(VALU_DEP_1)
	v_and_b32_e32 v3, 0xff, v3
	v_cmp_ne_u32_e32 vcc_lo, 0, v3
	s_and_b32 s5, vcc_lo, exec_lo
	s_delay_alu instid0(SALU_CYCLE_1)
	s_or_b32 s3, s3, s5
	s_or_b32 exec_lo, exec_lo, s4
	v_mov_b32_e32 v4, 0
	s_and_saveexec_b32 s4, s3
	s_cbranch_execnz .LBB103_3246
	s_branch .LBB103_3247
	.section	.rodata,"a",@progbits
	.p2align	6, 0x0
	.amdhsa_kernel _ZN2at6native32elementwise_kernel_manual_unrollILi128ELi4EZNS0_15gpu_kernel_implIZZZNS0_12_GLOBAL__N_116addr_kernel_cudaERNS_14TensorIteratorERKN3c106ScalarES9_ENKUlvE_clEvENKUlvE4_clEvEUldddE_EEvRNS_18TensorIteratorBaseERKT_EUlibE0_EEviT1_
		.amdhsa_group_segment_fixed_size 0
		.amdhsa_private_segment_fixed_size 0
		.amdhsa_kernarg_size 512
		.amdhsa_user_sgpr_count 2
		.amdhsa_user_sgpr_dispatch_ptr 0
		.amdhsa_user_sgpr_queue_ptr 0
		.amdhsa_user_sgpr_kernarg_segment_ptr 1
		.amdhsa_user_sgpr_dispatch_id 0
		.amdhsa_user_sgpr_kernarg_preload_length 0
		.amdhsa_user_sgpr_kernarg_preload_offset 0
		.amdhsa_user_sgpr_private_segment_size 0
		.amdhsa_wavefront_size32 1
		.amdhsa_uses_dynamic_stack 0
		.amdhsa_enable_private_segment 0
		.amdhsa_system_sgpr_workgroup_id_x 1
		.amdhsa_system_sgpr_workgroup_id_y 0
		.amdhsa_system_sgpr_workgroup_id_z 0
		.amdhsa_system_sgpr_workgroup_info 0
		.amdhsa_system_vgpr_workitem_id 0
		.amdhsa_next_free_vgpr 28
		.amdhsa_next_free_sgpr 64
		.amdhsa_named_barrier_count 0
		.amdhsa_reserve_vcc 1
		.amdhsa_float_round_mode_32 0
		.amdhsa_float_round_mode_16_64 0
		.amdhsa_float_denorm_mode_32 3
		.amdhsa_float_denorm_mode_16_64 3
		.amdhsa_fp16_overflow 0
		.amdhsa_memory_ordered 1
		.amdhsa_forward_progress 1
		.amdhsa_inst_pref_size 255
		.amdhsa_round_robin_scheduling 0
		.amdhsa_exception_fp_ieee_invalid_op 0
		.amdhsa_exception_fp_denorm_src 0
		.amdhsa_exception_fp_ieee_div_zero 0
		.amdhsa_exception_fp_ieee_overflow 0
		.amdhsa_exception_fp_ieee_underflow 0
		.amdhsa_exception_fp_ieee_inexact 0
		.amdhsa_exception_int_div_zero 0
	.end_amdhsa_kernel
	.section	.text._ZN2at6native32elementwise_kernel_manual_unrollILi128ELi4EZNS0_15gpu_kernel_implIZZZNS0_12_GLOBAL__N_116addr_kernel_cudaERNS_14TensorIteratorERKN3c106ScalarES9_ENKUlvE_clEvENKUlvE4_clEvEUldddE_EEvRNS_18TensorIteratorBaseERKT_EUlibE0_EEviT1_,"axG",@progbits,_ZN2at6native32elementwise_kernel_manual_unrollILi128ELi4EZNS0_15gpu_kernel_implIZZZNS0_12_GLOBAL__N_116addr_kernel_cudaERNS_14TensorIteratorERKN3c106ScalarES9_ENKUlvE_clEvENKUlvE4_clEvEUldddE_EEvRNS_18TensorIteratorBaseERKT_EUlibE0_EEviT1_,comdat
.Lfunc_end103:
	.size	_ZN2at6native32elementwise_kernel_manual_unrollILi128ELi4EZNS0_15gpu_kernel_implIZZZNS0_12_GLOBAL__N_116addr_kernel_cudaERNS_14TensorIteratorERKN3c106ScalarES9_ENKUlvE_clEvENKUlvE4_clEvEUldddE_EEvRNS_18TensorIteratorBaseERKT_EUlibE0_EEviT1_, .Lfunc_end103-_ZN2at6native32elementwise_kernel_manual_unrollILi128ELi4EZNS0_15gpu_kernel_implIZZZNS0_12_GLOBAL__N_116addr_kernel_cudaERNS_14TensorIteratorERKN3c106ScalarES9_ENKUlvE_clEvENKUlvE4_clEvEUldddE_EEvRNS_18TensorIteratorBaseERKT_EUlibE0_EEviT1_
                                        ; -- End function
	.set _ZN2at6native32elementwise_kernel_manual_unrollILi128ELi4EZNS0_15gpu_kernel_implIZZZNS0_12_GLOBAL__N_116addr_kernel_cudaERNS_14TensorIteratorERKN3c106ScalarES9_ENKUlvE_clEvENKUlvE4_clEvEUldddE_EEvRNS_18TensorIteratorBaseERKT_EUlibE0_EEviT1_.num_vgpr, 28
	.set _ZN2at6native32elementwise_kernel_manual_unrollILi128ELi4EZNS0_15gpu_kernel_implIZZZNS0_12_GLOBAL__N_116addr_kernel_cudaERNS_14TensorIteratorERKN3c106ScalarES9_ENKUlvE_clEvENKUlvE4_clEvEUldddE_EEvRNS_18TensorIteratorBaseERKT_EUlibE0_EEviT1_.num_agpr, 0
	.set _ZN2at6native32elementwise_kernel_manual_unrollILi128ELi4EZNS0_15gpu_kernel_implIZZZNS0_12_GLOBAL__N_116addr_kernel_cudaERNS_14TensorIteratorERKN3c106ScalarES9_ENKUlvE_clEvENKUlvE4_clEvEUldddE_EEvRNS_18TensorIteratorBaseERKT_EUlibE0_EEviT1_.numbered_sgpr, 64
	.set _ZN2at6native32elementwise_kernel_manual_unrollILi128ELi4EZNS0_15gpu_kernel_implIZZZNS0_12_GLOBAL__N_116addr_kernel_cudaERNS_14TensorIteratorERKN3c106ScalarES9_ENKUlvE_clEvENKUlvE4_clEvEUldddE_EEvRNS_18TensorIteratorBaseERKT_EUlibE0_EEviT1_.num_named_barrier, 0
	.set _ZN2at6native32elementwise_kernel_manual_unrollILi128ELi4EZNS0_15gpu_kernel_implIZZZNS0_12_GLOBAL__N_116addr_kernel_cudaERNS_14TensorIteratorERKN3c106ScalarES9_ENKUlvE_clEvENKUlvE4_clEvEUldddE_EEvRNS_18TensorIteratorBaseERKT_EUlibE0_EEviT1_.private_seg_size, 0
	.set _ZN2at6native32elementwise_kernel_manual_unrollILi128ELi4EZNS0_15gpu_kernel_implIZZZNS0_12_GLOBAL__N_116addr_kernel_cudaERNS_14TensorIteratorERKN3c106ScalarES9_ENKUlvE_clEvENKUlvE4_clEvEUldddE_EEvRNS_18TensorIteratorBaseERKT_EUlibE0_EEviT1_.uses_vcc, 1
	.set _ZN2at6native32elementwise_kernel_manual_unrollILi128ELi4EZNS0_15gpu_kernel_implIZZZNS0_12_GLOBAL__N_116addr_kernel_cudaERNS_14TensorIteratorERKN3c106ScalarES9_ENKUlvE_clEvENKUlvE4_clEvEUldddE_EEvRNS_18TensorIteratorBaseERKT_EUlibE0_EEviT1_.uses_flat_scratch, 0
	.set _ZN2at6native32elementwise_kernel_manual_unrollILi128ELi4EZNS0_15gpu_kernel_implIZZZNS0_12_GLOBAL__N_116addr_kernel_cudaERNS_14TensorIteratorERKN3c106ScalarES9_ENKUlvE_clEvENKUlvE4_clEvEUldddE_EEvRNS_18TensorIteratorBaseERKT_EUlibE0_EEviT1_.has_dyn_sized_stack, 0
	.set _ZN2at6native32elementwise_kernel_manual_unrollILi128ELi4EZNS0_15gpu_kernel_implIZZZNS0_12_GLOBAL__N_116addr_kernel_cudaERNS_14TensorIteratorERKN3c106ScalarES9_ENKUlvE_clEvENKUlvE4_clEvEUldddE_EEvRNS_18TensorIteratorBaseERKT_EUlibE0_EEviT1_.has_recursion, 0
	.set _ZN2at6native32elementwise_kernel_manual_unrollILi128ELi4EZNS0_15gpu_kernel_implIZZZNS0_12_GLOBAL__N_116addr_kernel_cudaERNS_14TensorIteratorERKN3c106ScalarES9_ENKUlvE_clEvENKUlvE4_clEvEUldddE_EEvRNS_18TensorIteratorBaseERKT_EUlibE0_EEviT1_.has_indirect_call, 0
	.section	.AMDGPU.csdata,"",@progbits
; Kernel info:
; codeLenInByte = 68100
; TotalNumSgprs: 66
; NumVgprs: 28
; ScratchSize: 0
; MemoryBound: 1
; FloatMode: 240
; IeeeMode: 1
; LDSByteSize: 0 bytes/workgroup (compile time only)
; SGPRBlocks: 0
; VGPRBlocks: 1
; NumSGPRsForWavesPerEU: 66
; NumVGPRsForWavesPerEU: 28
; NamedBarCnt: 0
; Occupancy: 16
; WaveLimiterHint : 1
; COMPUTE_PGM_RSRC2:SCRATCH_EN: 0
; COMPUTE_PGM_RSRC2:USER_SGPR: 2
; COMPUTE_PGM_RSRC2:TRAP_HANDLER: 0
; COMPUTE_PGM_RSRC2:TGID_X_EN: 1
; COMPUTE_PGM_RSRC2:TGID_Y_EN: 0
; COMPUTE_PGM_RSRC2:TGID_Z_EN: 0
; COMPUTE_PGM_RSRC2:TIDIG_COMP_CNT: 0
	.section	.text._ZN2at6native29vectorized_elementwise_kernelILi16EZZZNS0_12_GLOBAL__N_116addr_kernel_cudaERNS_14TensorIteratorERKN3c106ScalarES8_ENKUlvE_clEvENKUlvE4_clEvEUldddE0_St5arrayIPcLm4EEEEviT0_T1_,"axG",@progbits,_ZN2at6native29vectorized_elementwise_kernelILi16EZZZNS0_12_GLOBAL__N_116addr_kernel_cudaERNS_14TensorIteratorERKN3c106ScalarES8_ENKUlvE_clEvENKUlvE4_clEvEUldddE0_St5arrayIPcLm4EEEEviT0_T1_,comdat
	.globl	_ZN2at6native29vectorized_elementwise_kernelILi16EZZZNS0_12_GLOBAL__N_116addr_kernel_cudaERNS_14TensorIteratorERKN3c106ScalarES8_ENKUlvE_clEvENKUlvE4_clEvEUldddE0_St5arrayIPcLm4EEEEviT0_T1_ ; -- Begin function _ZN2at6native29vectorized_elementwise_kernelILi16EZZZNS0_12_GLOBAL__N_116addr_kernel_cudaERNS_14TensorIteratorERKN3c106ScalarES8_ENKUlvE_clEvENKUlvE4_clEvEUldddE0_St5arrayIPcLm4EEEEviT0_T1_
	.p2align	8
	.type	_ZN2at6native29vectorized_elementwise_kernelILi16EZZZNS0_12_GLOBAL__N_116addr_kernel_cudaERNS_14TensorIteratorERKN3c106ScalarES8_ENKUlvE_clEvENKUlvE4_clEvEUldddE0_St5arrayIPcLm4EEEEviT0_T1_,@function
_ZN2at6native29vectorized_elementwise_kernelILi16EZZZNS0_12_GLOBAL__N_116addr_kernel_cudaERNS_14TensorIteratorERKN3c106ScalarES8_ENKUlvE_clEvENKUlvE4_clEvEUldddE0_St5arrayIPcLm4EEEEviT0_T1_: ; @_ZN2at6native29vectorized_elementwise_kernelILi16EZZZNS0_12_GLOBAL__N_116addr_kernel_cudaERNS_14TensorIteratorERKN3c106ScalarES8_ENKUlvE_clEvENKUlvE4_clEvEUldddE0_St5arrayIPcLm4EEEEviT0_T1_
; %bb.0:
	s_clause 0x2
	s_load_b32 s3, s[0:1], 0x0
	s_load_b256 s[4:11], s[0:1], 0x8
	s_load_b128 s[12:15], s[0:1], 0x28
	s_wait_xcnt 0x0
	s_bfe_u32 s0, ttmp6, 0x4000c
	s_and_b32 s1, ttmp6, 15
	s_add_co_i32 s0, s0, 1
	s_getreg_b32 s2, hwreg(HW_REG_IB_STS2, 6, 4)
	s_mul_i32 s0, ttmp9, s0
	s_delay_alu instid0(SALU_CYCLE_1) | instskip(SKIP_2) | instid1(SALU_CYCLE_1)
	s_add_co_i32 s1, s1, s0
	s_cmp_eq_u32 s2, 0
	s_cselect_b32 s0, ttmp9, s1
	s_lshl_b32 s2, s0, 10
	s_mov_b32 s0, -1
	s_wait_kmcnt 0x0
	s_sub_co_i32 s1, s3, s2
	s_delay_alu instid0(SALU_CYCLE_1)
	s_cmp_gt_i32 s1, 0x3ff
	s_cbranch_scc0 .LBB104_2
; %bb.1:
	s_ashr_i32 s3, s2, 31
	v_lshlrev_b32_e32 v1, 5, v0
	s_lshl_b64 s[16:17], s[2:3], 3
	s_mov_b32 s0, 0
	s_add_nc_u64 s[18:19], s[12:13], s[16:17]
	s_clause 0x1
	global_load_b128 v[2:5], v1, s[18:19]
	global_load_b128 v[6:9], v1, s[18:19] offset:16
	s_wait_xcnt 0x0
	s_add_nc_u64 s[18:19], s[14:15], s[16:17]
	s_wait_loadcnt 0x1
	v_mul_f64_e32 v[2:3], s[6:7], v[2:3]
	s_clause 0x1
	global_load_b128 v[10:13], v1, s[18:19]
	global_load_b128 v[14:17], v1, s[18:19] offset:16
	s_wait_xcnt 0x0
	s_add_nc_u64 s[18:19], s[10:11], s[16:17]
	s_clause 0x1
	global_load_b128 v[18:21], v1, s[18:19]
	global_load_b128 v[22:25], v1, s[18:19] offset:16
	v_mul_f64_e32 v[4:5], s[6:7], v[4:5]
	s_wait_loadcnt 0x4
	v_mul_f64_e32 v[6:7], s[6:7], v[6:7]
	v_mul_f64_e32 v[8:9], s[6:7], v[8:9]
	s_add_nc_u64 s[16:17], s[8:9], s[16:17]
	s_wait_loadcnt 0x3
	v_mul_f64_e32 v[2:3], v[2:3], v[10:11]
	s_delay_alu instid0(VALU_DEP_4) | instskip(SKIP_1) | instid1(VALU_DEP_4)
	v_mul_f64_e32 v[4:5], v[4:5], v[12:13]
	s_wait_loadcnt 0x2
	v_mul_f64_e32 v[6:7], v[6:7], v[14:15]
	s_delay_alu instid0(VALU_DEP_4) | instskip(SKIP_1) | instid1(VALU_DEP_4)
	v_mul_f64_e32 v[8:9], v[8:9], v[16:17]
	s_wait_loadcnt 0x1
	v_fmac_f64_e32 v[2:3], s[4:5], v[18:19]
	s_delay_alu instid0(VALU_DEP_4) | instskip(SKIP_1) | instid1(VALU_DEP_4)
	v_fmac_f64_e32 v[4:5], s[4:5], v[20:21]
	s_wait_loadcnt 0x0
	v_fmac_f64_e32 v[6:7], s[4:5], v[22:23]
	s_delay_alu instid0(VALU_DEP_4)
	v_fmac_f64_e32 v[8:9], s[4:5], v[24:25]
	s_clause 0x1
	global_store_b128 v1, v[2:5], s[16:17]
	global_store_b128 v1, v[6:9], s[16:17] offset:16
.LBB104_2:
	s_and_not1_b32 vcc_lo, exec_lo, s0
	s_cbranch_vccnz .LBB104_23
; %bb.3:
	s_wait_xcnt 0x1
	v_mov_b64_e32 v[2:3], 0
	v_mov_b64_e32 v[4:5], 0
	s_wait_xcnt 0x0
	v_mov_b64_e32 v[6:7], 0
	v_mov_b64_e32 v[8:9], 0
	v_cmp_gt_i32_e32 vcc_lo, s1, v0
	v_dual_mov_b32 v26, v0 :: v_dual_bitop2_b32 v1, s2, v0 bitop3:0x54
	v_or_b32_e32 v28, 0x100, v0
	s_and_saveexec_b32 s0, vcc_lo
	s_cbranch_execz .LBB104_5
; %bb.4:
	s_clause 0x2
	global_load_b64 v[4:5], v1, s[10:11] scale_offset
	global_load_b64 v[6:7], v1, s[12:13] scale_offset
	;; [unrolled: 1-line block ×3, first 2 shown]
	v_or_b32_e32 v26, 0x100, v0
.LBB104_5:
	s_wait_xcnt 0x0
	s_or_b32 exec_lo, exec_lo, s0
	v_mov_b64_e32 v[12:13], 0
	v_mov_b64_e32 v[14:15], 0
	s_mov_b32 s3, exec_lo
	v_cmpx_gt_i32_e64 s1, v26
	s_cbranch_execz .LBB104_7
; %bb.6:
	v_add_nc_u32_e32 v10, s2, v26
	v_add_nc_u32_e32 v26, 0x100, v26
	s_clause 0x2
	global_load_b64 v[2:3], v10, s[10:11] scale_offset
	global_load_b64 v[12:13], v10, s[12:13] scale_offset
	;; [unrolled: 1-line block ×3, first 2 shown]
.LBB104_7:
	s_wait_xcnt 0x0
	s_or_b32 exec_lo, exec_lo, s3
	v_mov_b64_e32 v[10:11], 0
	v_mov_b64_e32 v[16:17], 0
	;; [unrolled: 1-line block ×4, first 2 shown]
	s_mov_b32 s3, exec_lo
	v_cmpx_gt_i32_e64 s1, v26
	s_cbranch_execz .LBB104_9
; %bb.8:
	v_add_nc_u32_e32 v22, s2, v26
	v_add_nc_u32_e32 v26, 0x100, v26
	s_clause 0x2
	global_load_b64 v[16:17], v22, s[10:11] scale_offset
	global_load_b64 v[18:19], v22, s[12:13] scale_offset
	global_load_b64 v[20:21], v22, s[14:15] scale_offset
.LBB104_9:
	s_wait_xcnt 0x0
	s_or_b32 exec_lo, exec_lo, s3
	v_mov_b64_e32 v[22:23], 0
	v_mov_b64_e32 v[24:25], 0
	s_mov_b32 s3, exec_lo
	v_cmpx_gt_i32_e64 s1, v26
	s_cbranch_execz .LBB104_11
; %bb.10:
	v_add_nc_u32_e32 v26, s2, v26
	s_clause 0x2
	global_load_b64 v[10:11], v26, s[10:11] scale_offset
	global_load_b64 v[22:23], v26, s[12:13] scale_offset
	;; [unrolled: 1-line block ×3, first 2 shown]
	s_wait_xcnt 0x0
	s_or_b32 exec_lo, exec_lo, s3
                                        ; implicit-def: $vgpr26_vgpr27
	s_and_saveexec_b32 s0, vcc_lo
	s_cbranch_execz .LBB104_13
	s_branch .LBB104_12
.LBB104_11:
	s_or_b32 exec_lo, exec_lo, s3
                                        ; implicit-def: $vgpr26_vgpr27
	s_and_saveexec_b32 s0, vcc_lo
	s_cbranch_execz .LBB104_13
.LBB104_12:
	s_wait_loadcnt 0x1
	v_mul_f64_e32 v[6:7], s[6:7], v[6:7]
	s_wait_loadcnt 0x0
	s_delay_alu instid0(VALU_DEP_1) | instskip(NEXT) | instid1(VALU_DEP_1)
	v_mul_f64_e32 v[26:27], v[6:7], v[8:9]
	v_fmac_f64_e32 v[26:27], s[4:5], v[4:5]
.LBB104_13:
	s_or_b32 exec_lo, exec_lo, s0
	s_delay_alu instid0(SALU_CYCLE_1)
	s_mov_b32 s3, exec_lo
                                        ; implicit-def: $vgpr4_vgpr5
	v_cmpx_gt_i32_e64 s1, v28
	s_cbranch_execz .LBB104_15
; %bb.14:
	s_wait_loadcnt 0x1
	v_mul_f64_e32 v[4:5], s[6:7], v[12:13]
	s_wait_loadcnt 0x0
	s_delay_alu instid0(VALU_DEP_1) | instskip(NEXT) | instid1(VALU_DEP_1)
	v_mul_f64_e32 v[4:5], v[4:5], v[14:15]
	v_fmac_f64_e32 v[4:5], s[4:5], v[2:3]
.LBB104_15:
	s_or_b32 exec_lo, exec_lo, s3
	s_wait_loadcnt 0x2
	v_or_b32_e32 v2, 0x200, v0
	s_delay_alu instid0(VALU_DEP_1)
	v_cmp_gt_i32_e64 s0, s1, v2
                                        ; implicit-def: $vgpr2_vgpr3
	s_and_saveexec_b32 s3, s0
	s_cbranch_execz .LBB104_17
; %bb.16:
	s_wait_loadcnt 0x1
	v_mul_f64_e32 v[2:3], s[6:7], v[18:19]
	s_wait_loadcnt 0x0
	s_delay_alu instid0(VALU_DEP_1) | instskip(NEXT) | instid1(VALU_DEP_1)
	v_mul_f64_e32 v[2:3], v[2:3], v[20:21]
	v_fmac_f64_e32 v[2:3], s[4:5], v[16:17]
.LBB104_17:
	s_or_b32 exec_lo, exec_lo, s3
	s_wait_loadcnt 0x1
	v_or_b32_e32 v6, 0x300, v0
	s_delay_alu instid0(VALU_DEP_1)
	v_cmp_gt_i32_e64 s0, s1, v6
                                        ; implicit-def: $vgpr6_vgpr7
	s_and_saveexec_b32 s3, s0
	s_cbranch_execz .LBB104_24
; %bb.18:
	v_mul_f64_e32 v[6:7], s[6:7], v[22:23]
	s_wait_loadcnt 0x0
	s_delay_alu instid0(VALU_DEP_1) | instskip(NEXT) | instid1(VALU_DEP_1)
	v_mul_f64_e32 v[6:7], v[6:7], v[24:25]
	v_fmac_f64_e32 v[6:7], s[4:5], v[10:11]
	s_or_b32 exec_lo, exec_lo, s3
	s_and_saveexec_b32 s0, vcc_lo
	s_delay_alu instid0(SALU_CYCLE_1)
	s_xor_b32 s0, exec_lo, s0
	s_cbranch_execnz .LBB104_25
.LBB104_19:
	s_or_b32 exec_lo, exec_lo, s0
	s_delay_alu instid0(SALU_CYCLE_1)
	s_mov_b32 s0, exec_lo
	v_cmpx_gt_i32_e64 s1, v0
	s_cbranch_execz .LBB104_26
.LBB104_20:
	v_add_nc_u32_e32 v1, s2, v0
	v_add_nc_u32_e32 v0, 0x100, v0
	global_store_b64 v1, v[4:5], s[8:9] scale_offset
	s_wait_xcnt 0x0
	s_or_b32 exec_lo, exec_lo, s0
	s_delay_alu instid0(SALU_CYCLE_1)
	s_mov_b32 s0, exec_lo
	v_cmpx_gt_i32_e64 s1, v0
	s_cbranch_execnz .LBB104_27
.LBB104_21:
	s_or_b32 exec_lo, exec_lo, s0
	s_delay_alu instid0(SALU_CYCLE_1)
	s_mov_b32 s0, exec_lo
	v_cmpx_gt_i32_e64 s1, v0
	s_cbranch_execz .LBB104_23
.LBB104_22:
	v_add_nc_u32_e32 v0, s2, v0
	global_store_b64 v0, v[6:7], s[8:9] scale_offset
.LBB104_23:
	s_endpgm
.LBB104_24:
	s_or_b32 exec_lo, exec_lo, s3
	s_and_saveexec_b32 s0, vcc_lo
	s_delay_alu instid0(SALU_CYCLE_1)
	s_xor_b32 s0, exec_lo, s0
	s_cbranch_execz .LBB104_19
.LBB104_25:
	v_mov_b32_e32 v0, v28
	global_store_b64 v1, v[26:27], s[8:9] scale_offset
	s_wait_xcnt 0x0
	s_or_b32 exec_lo, exec_lo, s0
	s_delay_alu instid0(SALU_CYCLE_1)
	s_mov_b32 s0, exec_lo
	v_cmpx_gt_i32_e64 s1, v0
	s_cbranch_execnz .LBB104_20
.LBB104_26:
	s_or_b32 exec_lo, exec_lo, s0
	s_delay_alu instid0(SALU_CYCLE_1)
	s_mov_b32 s0, exec_lo
	v_cmpx_gt_i32_e64 s1, v0
	s_cbranch_execz .LBB104_21
.LBB104_27:
	v_add_nc_u32_e32 v1, s2, v0
	v_add_nc_u32_e32 v0, 0x100, v0
	global_store_b64 v1, v[2:3], s[8:9] scale_offset
	s_wait_xcnt 0x0
	s_or_b32 exec_lo, exec_lo, s0
	s_delay_alu instid0(SALU_CYCLE_1)
	s_mov_b32 s0, exec_lo
	v_cmpx_gt_i32_e64 s1, v0
	s_cbranch_execnz .LBB104_22
	s_branch .LBB104_23
	.section	.rodata,"a",@progbits
	.p2align	6, 0x0
	.amdhsa_kernel _ZN2at6native29vectorized_elementwise_kernelILi16EZZZNS0_12_GLOBAL__N_116addr_kernel_cudaERNS_14TensorIteratorERKN3c106ScalarES8_ENKUlvE_clEvENKUlvE4_clEvEUldddE0_St5arrayIPcLm4EEEEviT0_T1_
		.amdhsa_group_segment_fixed_size 0
		.amdhsa_private_segment_fixed_size 0
		.amdhsa_kernarg_size 56
		.amdhsa_user_sgpr_count 2
		.amdhsa_user_sgpr_dispatch_ptr 0
		.amdhsa_user_sgpr_queue_ptr 0
		.amdhsa_user_sgpr_kernarg_segment_ptr 1
		.amdhsa_user_sgpr_dispatch_id 0
		.amdhsa_user_sgpr_kernarg_preload_length 0
		.amdhsa_user_sgpr_kernarg_preload_offset 0
		.amdhsa_user_sgpr_private_segment_size 0
		.amdhsa_wavefront_size32 1
		.amdhsa_uses_dynamic_stack 0
		.amdhsa_enable_private_segment 0
		.amdhsa_system_sgpr_workgroup_id_x 1
		.amdhsa_system_sgpr_workgroup_id_y 0
		.amdhsa_system_sgpr_workgroup_id_z 0
		.amdhsa_system_sgpr_workgroup_info 0
		.amdhsa_system_vgpr_workitem_id 0
		.amdhsa_next_free_vgpr 29
		.amdhsa_next_free_sgpr 20
		.amdhsa_named_barrier_count 0
		.amdhsa_reserve_vcc 1
		.amdhsa_float_round_mode_32 0
		.amdhsa_float_round_mode_16_64 0
		.amdhsa_float_denorm_mode_32 3
		.amdhsa_float_denorm_mode_16_64 3
		.amdhsa_fp16_overflow 0
		.amdhsa_memory_ordered 1
		.amdhsa_forward_progress 1
		.amdhsa_inst_pref_size 10
		.amdhsa_round_robin_scheduling 0
		.amdhsa_exception_fp_ieee_invalid_op 0
		.amdhsa_exception_fp_denorm_src 0
		.amdhsa_exception_fp_ieee_div_zero 0
		.amdhsa_exception_fp_ieee_overflow 0
		.amdhsa_exception_fp_ieee_underflow 0
		.amdhsa_exception_fp_ieee_inexact 0
		.amdhsa_exception_int_div_zero 0
	.end_amdhsa_kernel
	.section	.text._ZN2at6native29vectorized_elementwise_kernelILi16EZZZNS0_12_GLOBAL__N_116addr_kernel_cudaERNS_14TensorIteratorERKN3c106ScalarES8_ENKUlvE_clEvENKUlvE4_clEvEUldddE0_St5arrayIPcLm4EEEEviT0_T1_,"axG",@progbits,_ZN2at6native29vectorized_elementwise_kernelILi16EZZZNS0_12_GLOBAL__N_116addr_kernel_cudaERNS_14TensorIteratorERKN3c106ScalarES8_ENKUlvE_clEvENKUlvE4_clEvEUldddE0_St5arrayIPcLm4EEEEviT0_T1_,comdat
.Lfunc_end104:
	.size	_ZN2at6native29vectorized_elementwise_kernelILi16EZZZNS0_12_GLOBAL__N_116addr_kernel_cudaERNS_14TensorIteratorERKN3c106ScalarES8_ENKUlvE_clEvENKUlvE4_clEvEUldddE0_St5arrayIPcLm4EEEEviT0_T1_, .Lfunc_end104-_ZN2at6native29vectorized_elementwise_kernelILi16EZZZNS0_12_GLOBAL__N_116addr_kernel_cudaERNS_14TensorIteratorERKN3c106ScalarES8_ENKUlvE_clEvENKUlvE4_clEvEUldddE0_St5arrayIPcLm4EEEEviT0_T1_
                                        ; -- End function
	.set _ZN2at6native29vectorized_elementwise_kernelILi16EZZZNS0_12_GLOBAL__N_116addr_kernel_cudaERNS_14TensorIteratorERKN3c106ScalarES8_ENKUlvE_clEvENKUlvE4_clEvEUldddE0_St5arrayIPcLm4EEEEviT0_T1_.num_vgpr, 29
	.set _ZN2at6native29vectorized_elementwise_kernelILi16EZZZNS0_12_GLOBAL__N_116addr_kernel_cudaERNS_14TensorIteratorERKN3c106ScalarES8_ENKUlvE_clEvENKUlvE4_clEvEUldddE0_St5arrayIPcLm4EEEEviT0_T1_.num_agpr, 0
	.set _ZN2at6native29vectorized_elementwise_kernelILi16EZZZNS0_12_GLOBAL__N_116addr_kernel_cudaERNS_14TensorIteratorERKN3c106ScalarES8_ENKUlvE_clEvENKUlvE4_clEvEUldddE0_St5arrayIPcLm4EEEEviT0_T1_.numbered_sgpr, 20
	.set _ZN2at6native29vectorized_elementwise_kernelILi16EZZZNS0_12_GLOBAL__N_116addr_kernel_cudaERNS_14TensorIteratorERKN3c106ScalarES8_ENKUlvE_clEvENKUlvE4_clEvEUldddE0_St5arrayIPcLm4EEEEviT0_T1_.num_named_barrier, 0
	.set _ZN2at6native29vectorized_elementwise_kernelILi16EZZZNS0_12_GLOBAL__N_116addr_kernel_cudaERNS_14TensorIteratorERKN3c106ScalarES8_ENKUlvE_clEvENKUlvE4_clEvEUldddE0_St5arrayIPcLm4EEEEviT0_T1_.private_seg_size, 0
	.set _ZN2at6native29vectorized_elementwise_kernelILi16EZZZNS0_12_GLOBAL__N_116addr_kernel_cudaERNS_14TensorIteratorERKN3c106ScalarES8_ENKUlvE_clEvENKUlvE4_clEvEUldddE0_St5arrayIPcLm4EEEEviT0_T1_.uses_vcc, 1
	.set _ZN2at6native29vectorized_elementwise_kernelILi16EZZZNS0_12_GLOBAL__N_116addr_kernel_cudaERNS_14TensorIteratorERKN3c106ScalarES8_ENKUlvE_clEvENKUlvE4_clEvEUldddE0_St5arrayIPcLm4EEEEviT0_T1_.uses_flat_scratch, 0
	.set _ZN2at6native29vectorized_elementwise_kernelILi16EZZZNS0_12_GLOBAL__N_116addr_kernel_cudaERNS_14TensorIteratorERKN3c106ScalarES8_ENKUlvE_clEvENKUlvE4_clEvEUldddE0_St5arrayIPcLm4EEEEviT0_T1_.has_dyn_sized_stack, 0
	.set _ZN2at6native29vectorized_elementwise_kernelILi16EZZZNS0_12_GLOBAL__N_116addr_kernel_cudaERNS_14TensorIteratorERKN3c106ScalarES8_ENKUlvE_clEvENKUlvE4_clEvEUldddE0_St5arrayIPcLm4EEEEviT0_T1_.has_recursion, 0
	.set _ZN2at6native29vectorized_elementwise_kernelILi16EZZZNS0_12_GLOBAL__N_116addr_kernel_cudaERNS_14TensorIteratorERKN3c106ScalarES8_ENKUlvE_clEvENKUlvE4_clEvEUldddE0_St5arrayIPcLm4EEEEviT0_T1_.has_indirect_call, 0
	.section	.AMDGPU.csdata,"",@progbits
; Kernel info:
; codeLenInByte = 1212
; TotalNumSgprs: 22
; NumVgprs: 29
; ScratchSize: 0
; MemoryBound: 0
; FloatMode: 240
; IeeeMode: 1
; LDSByteSize: 0 bytes/workgroup (compile time only)
; SGPRBlocks: 0
; VGPRBlocks: 1
; NumSGPRsForWavesPerEU: 22
; NumVGPRsForWavesPerEU: 29
; NamedBarCnt: 0
; Occupancy: 16
; WaveLimiterHint : 0
; COMPUTE_PGM_RSRC2:SCRATCH_EN: 0
; COMPUTE_PGM_RSRC2:USER_SGPR: 2
; COMPUTE_PGM_RSRC2:TRAP_HANDLER: 0
; COMPUTE_PGM_RSRC2:TGID_X_EN: 1
; COMPUTE_PGM_RSRC2:TGID_Y_EN: 0
; COMPUTE_PGM_RSRC2:TGID_Z_EN: 0
; COMPUTE_PGM_RSRC2:TIDIG_COMP_CNT: 0
	.section	.text._ZN2at6native29vectorized_elementwise_kernelILi8EZZZNS0_12_GLOBAL__N_116addr_kernel_cudaERNS_14TensorIteratorERKN3c106ScalarES8_ENKUlvE_clEvENKUlvE4_clEvEUldddE0_St5arrayIPcLm4EEEEviT0_T1_,"axG",@progbits,_ZN2at6native29vectorized_elementwise_kernelILi8EZZZNS0_12_GLOBAL__N_116addr_kernel_cudaERNS_14TensorIteratorERKN3c106ScalarES8_ENKUlvE_clEvENKUlvE4_clEvEUldddE0_St5arrayIPcLm4EEEEviT0_T1_,comdat
	.globl	_ZN2at6native29vectorized_elementwise_kernelILi8EZZZNS0_12_GLOBAL__N_116addr_kernel_cudaERNS_14TensorIteratorERKN3c106ScalarES8_ENKUlvE_clEvENKUlvE4_clEvEUldddE0_St5arrayIPcLm4EEEEviT0_T1_ ; -- Begin function _ZN2at6native29vectorized_elementwise_kernelILi8EZZZNS0_12_GLOBAL__N_116addr_kernel_cudaERNS_14TensorIteratorERKN3c106ScalarES8_ENKUlvE_clEvENKUlvE4_clEvEUldddE0_St5arrayIPcLm4EEEEviT0_T1_
	.p2align	8
	.type	_ZN2at6native29vectorized_elementwise_kernelILi8EZZZNS0_12_GLOBAL__N_116addr_kernel_cudaERNS_14TensorIteratorERKN3c106ScalarES8_ENKUlvE_clEvENKUlvE4_clEvEUldddE0_St5arrayIPcLm4EEEEviT0_T1_,@function
_ZN2at6native29vectorized_elementwise_kernelILi8EZZZNS0_12_GLOBAL__N_116addr_kernel_cudaERNS_14TensorIteratorERKN3c106ScalarES8_ENKUlvE_clEvENKUlvE4_clEvEUldddE0_St5arrayIPcLm4EEEEviT0_T1_: ; @_ZN2at6native29vectorized_elementwise_kernelILi8EZZZNS0_12_GLOBAL__N_116addr_kernel_cudaERNS_14TensorIteratorERKN3c106ScalarES8_ENKUlvE_clEvENKUlvE4_clEvEUldddE0_St5arrayIPcLm4EEEEviT0_T1_
; %bb.0:
	s_clause 0x2
	s_load_b32 s3, s[0:1], 0x0
	s_load_b256 s[4:11], s[0:1], 0x8
	s_load_b128 s[12:15], s[0:1], 0x28
	s_wait_xcnt 0x0
	s_bfe_u32 s0, ttmp6, 0x4000c
	s_and_b32 s1, ttmp6, 15
	s_add_co_i32 s0, s0, 1
	s_getreg_b32 s2, hwreg(HW_REG_IB_STS2, 6, 4)
	s_mul_i32 s0, ttmp9, s0
	s_delay_alu instid0(SALU_CYCLE_1) | instskip(SKIP_2) | instid1(SALU_CYCLE_1)
	s_add_co_i32 s1, s1, s0
	s_cmp_eq_u32 s2, 0
	s_cselect_b32 s0, ttmp9, s1
	s_lshl_b32 s2, s0, 10
	s_mov_b32 s0, -1
	s_wait_kmcnt 0x0
	s_sub_co_i32 s1, s3, s2
	s_delay_alu instid0(SALU_CYCLE_1)
	s_cmp_gt_i32 s1, 0x3ff
	s_cbranch_scc0 .LBB105_2
; %bb.1:
	s_ashr_i32 s3, s2, 31
	v_lshlrev_b32_e32 v1, 5, v0
	s_lshl_b64 s[16:17], s[2:3], 3
	s_mov_b32 s0, 0
	s_add_nc_u64 s[18:19], s[12:13], s[16:17]
	s_clause 0x1
	global_load_b128 v[2:5], v1, s[18:19]
	global_load_b128 v[6:9], v1, s[18:19] offset:16
	s_wait_xcnt 0x0
	s_add_nc_u64 s[18:19], s[14:15], s[16:17]
	s_wait_loadcnt 0x1
	v_mul_f64_e32 v[2:3], s[6:7], v[2:3]
	s_clause 0x1
	global_load_b128 v[10:13], v1, s[18:19]
	global_load_b128 v[14:17], v1, s[18:19] offset:16
	s_wait_xcnt 0x0
	s_add_nc_u64 s[18:19], s[10:11], s[16:17]
	s_clause 0x1
	global_load_b128 v[18:21], v1, s[18:19]
	global_load_b128 v[22:25], v1, s[18:19] offset:16
	v_mul_f64_e32 v[4:5], s[6:7], v[4:5]
	s_wait_loadcnt 0x4
	v_mul_f64_e32 v[6:7], s[6:7], v[6:7]
	v_mul_f64_e32 v[8:9], s[6:7], v[8:9]
	s_add_nc_u64 s[16:17], s[8:9], s[16:17]
	s_wait_loadcnt 0x3
	v_mul_f64_e32 v[2:3], v[2:3], v[10:11]
	s_delay_alu instid0(VALU_DEP_4) | instskip(SKIP_1) | instid1(VALU_DEP_4)
	v_mul_f64_e32 v[4:5], v[4:5], v[12:13]
	s_wait_loadcnt 0x2
	v_mul_f64_e32 v[6:7], v[6:7], v[14:15]
	s_delay_alu instid0(VALU_DEP_4) | instskip(SKIP_1) | instid1(VALU_DEP_4)
	v_mul_f64_e32 v[8:9], v[8:9], v[16:17]
	s_wait_loadcnt 0x1
	v_fmac_f64_e32 v[2:3], s[4:5], v[18:19]
	s_delay_alu instid0(VALU_DEP_4) | instskip(SKIP_1) | instid1(VALU_DEP_4)
	v_fmac_f64_e32 v[4:5], s[4:5], v[20:21]
	s_wait_loadcnt 0x0
	v_fmac_f64_e32 v[6:7], s[4:5], v[22:23]
	s_delay_alu instid0(VALU_DEP_4)
	v_fmac_f64_e32 v[8:9], s[4:5], v[24:25]
	s_clause 0x1
	global_store_b128 v1, v[2:5], s[16:17]
	global_store_b128 v1, v[6:9], s[16:17] offset:16
.LBB105_2:
	s_and_not1_b32 vcc_lo, exec_lo, s0
	s_cbranch_vccnz .LBB105_23
; %bb.3:
	s_wait_xcnt 0x1
	v_mov_b64_e32 v[2:3], 0
	v_mov_b64_e32 v[4:5], 0
	s_wait_xcnt 0x0
	v_mov_b64_e32 v[6:7], 0
	v_mov_b64_e32 v[8:9], 0
	v_cmp_gt_i32_e32 vcc_lo, s1, v0
	v_dual_mov_b32 v26, v0 :: v_dual_bitop2_b32 v1, s2, v0 bitop3:0x54
	v_or_b32_e32 v28, 0x100, v0
	s_and_saveexec_b32 s0, vcc_lo
	s_cbranch_execz .LBB105_5
; %bb.4:
	s_clause 0x2
	global_load_b64 v[4:5], v1, s[10:11] scale_offset
	global_load_b64 v[6:7], v1, s[12:13] scale_offset
	;; [unrolled: 1-line block ×3, first 2 shown]
	v_or_b32_e32 v26, 0x100, v0
.LBB105_5:
	s_wait_xcnt 0x0
	s_or_b32 exec_lo, exec_lo, s0
	v_mov_b64_e32 v[12:13], 0
	v_mov_b64_e32 v[14:15], 0
	s_mov_b32 s3, exec_lo
	v_cmpx_gt_i32_e64 s1, v26
	s_cbranch_execz .LBB105_7
; %bb.6:
	v_add_nc_u32_e32 v10, s2, v26
	v_add_nc_u32_e32 v26, 0x100, v26
	s_clause 0x2
	global_load_b64 v[2:3], v10, s[10:11] scale_offset
	global_load_b64 v[12:13], v10, s[12:13] scale_offset
	;; [unrolled: 1-line block ×3, first 2 shown]
.LBB105_7:
	s_wait_xcnt 0x0
	s_or_b32 exec_lo, exec_lo, s3
	v_mov_b64_e32 v[10:11], 0
	v_mov_b64_e32 v[16:17], 0
	;; [unrolled: 1-line block ×4, first 2 shown]
	s_mov_b32 s3, exec_lo
	v_cmpx_gt_i32_e64 s1, v26
	s_cbranch_execz .LBB105_9
; %bb.8:
	v_add_nc_u32_e32 v22, s2, v26
	v_add_nc_u32_e32 v26, 0x100, v26
	s_clause 0x2
	global_load_b64 v[16:17], v22, s[10:11] scale_offset
	global_load_b64 v[18:19], v22, s[12:13] scale_offset
	;; [unrolled: 1-line block ×3, first 2 shown]
.LBB105_9:
	s_wait_xcnt 0x0
	s_or_b32 exec_lo, exec_lo, s3
	v_mov_b64_e32 v[22:23], 0
	v_mov_b64_e32 v[24:25], 0
	s_mov_b32 s3, exec_lo
	v_cmpx_gt_i32_e64 s1, v26
	s_cbranch_execz .LBB105_11
; %bb.10:
	v_add_nc_u32_e32 v26, s2, v26
	s_clause 0x2
	global_load_b64 v[10:11], v26, s[10:11] scale_offset
	global_load_b64 v[22:23], v26, s[12:13] scale_offset
	;; [unrolled: 1-line block ×3, first 2 shown]
	s_wait_xcnt 0x0
	s_or_b32 exec_lo, exec_lo, s3
                                        ; implicit-def: $vgpr26_vgpr27
	s_and_saveexec_b32 s0, vcc_lo
	s_cbranch_execz .LBB105_13
	s_branch .LBB105_12
.LBB105_11:
	s_or_b32 exec_lo, exec_lo, s3
                                        ; implicit-def: $vgpr26_vgpr27
	s_and_saveexec_b32 s0, vcc_lo
	s_cbranch_execz .LBB105_13
.LBB105_12:
	s_wait_loadcnt 0x1
	v_mul_f64_e32 v[6:7], s[6:7], v[6:7]
	s_wait_loadcnt 0x0
	s_delay_alu instid0(VALU_DEP_1) | instskip(NEXT) | instid1(VALU_DEP_1)
	v_mul_f64_e32 v[26:27], v[6:7], v[8:9]
	v_fmac_f64_e32 v[26:27], s[4:5], v[4:5]
.LBB105_13:
	s_or_b32 exec_lo, exec_lo, s0
	s_delay_alu instid0(SALU_CYCLE_1)
	s_mov_b32 s3, exec_lo
                                        ; implicit-def: $vgpr4_vgpr5
	v_cmpx_gt_i32_e64 s1, v28
	s_cbranch_execz .LBB105_15
; %bb.14:
	s_wait_loadcnt 0x1
	v_mul_f64_e32 v[4:5], s[6:7], v[12:13]
	s_wait_loadcnt 0x0
	s_delay_alu instid0(VALU_DEP_1) | instskip(NEXT) | instid1(VALU_DEP_1)
	v_mul_f64_e32 v[4:5], v[4:5], v[14:15]
	v_fmac_f64_e32 v[4:5], s[4:5], v[2:3]
.LBB105_15:
	s_or_b32 exec_lo, exec_lo, s3
	s_wait_loadcnt 0x2
	v_or_b32_e32 v2, 0x200, v0
	s_delay_alu instid0(VALU_DEP_1)
	v_cmp_gt_i32_e64 s0, s1, v2
                                        ; implicit-def: $vgpr2_vgpr3
	s_and_saveexec_b32 s3, s0
	s_cbranch_execz .LBB105_17
; %bb.16:
	s_wait_loadcnt 0x1
	v_mul_f64_e32 v[2:3], s[6:7], v[18:19]
	s_wait_loadcnt 0x0
	s_delay_alu instid0(VALU_DEP_1) | instskip(NEXT) | instid1(VALU_DEP_1)
	v_mul_f64_e32 v[2:3], v[2:3], v[20:21]
	v_fmac_f64_e32 v[2:3], s[4:5], v[16:17]
.LBB105_17:
	s_or_b32 exec_lo, exec_lo, s3
	s_wait_loadcnt 0x1
	v_or_b32_e32 v6, 0x300, v0
	s_delay_alu instid0(VALU_DEP_1)
	v_cmp_gt_i32_e64 s0, s1, v6
                                        ; implicit-def: $vgpr6_vgpr7
	s_and_saveexec_b32 s3, s0
	s_cbranch_execz .LBB105_24
; %bb.18:
	v_mul_f64_e32 v[6:7], s[6:7], v[22:23]
	s_wait_loadcnt 0x0
	s_delay_alu instid0(VALU_DEP_1) | instskip(NEXT) | instid1(VALU_DEP_1)
	v_mul_f64_e32 v[6:7], v[6:7], v[24:25]
	v_fmac_f64_e32 v[6:7], s[4:5], v[10:11]
	s_or_b32 exec_lo, exec_lo, s3
	s_and_saveexec_b32 s0, vcc_lo
	s_delay_alu instid0(SALU_CYCLE_1)
	s_xor_b32 s0, exec_lo, s0
	s_cbranch_execnz .LBB105_25
.LBB105_19:
	s_or_b32 exec_lo, exec_lo, s0
	s_delay_alu instid0(SALU_CYCLE_1)
	s_mov_b32 s0, exec_lo
	v_cmpx_gt_i32_e64 s1, v0
	s_cbranch_execz .LBB105_26
.LBB105_20:
	v_add_nc_u32_e32 v1, s2, v0
	v_add_nc_u32_e32 v0, 0x100, v0
	global_store_b64 v1, v[4:5], s[8:9] scale_offset
	s_wait_xcnt 0x0
	s_or_b32 exec_lo, exec_lo, s0
	s_delay_alu instid0(SALU_CYCLE_1)
	s_mov_b32 s0, exec_lo
	v_cmpx_gt_i32_e64 s1, v0
	s_cbranch_execnz .LBB105_27
.LBB105_21:
	s_or_b32 exec_lo, exec_lo, s0
	s_delay_alu instid0(SALU_CYCLE_1)
	s_mov_b32 s0, exec_lo
	v_cmpx_gt_i32_e64 s1, v0
	s_cbranch_execz .LBB105_23
.LBB105_22:
	v_add_nc_u32_e32 v0, s2, v0
	global_store_b64 v0, v[6:7], s[8:9] scale_offset
.LBB105_23:
	s_endpgm
.LBB105_24:
	s_or_b32 exec_lo, exec_lo, s3
	s_and_saveexec_b32 s0, vcc_lo
	s_delay_alu instid0(SALU_CYCLE_1)
	s_xor_b32 s0, exec_lo, s0
	s_cbranch_execz .LBB105_19
.LBB105_25:
	v_mov_b32_e32 v0, v28
	global_store_b64 v1, v[26:27], s[8:9] scale_offset
	s_wait_xcnt 0x0
	s_or_b32 exec_lo, exec_lo, s0
	s_delay_alu instid0(SALU_CYCLE_1)
	s_mov_b32 s0, exec_lo
	v_cmpx_gt_i32_e64 s1, v0
	s_cbranch_execnz .LBB105_20
.LBB105_26:
	s_or_b32 exec_lo, exec_lo, s0
	s_delay_alu instid0(SALU_CYCLE_1)
	s_mov_b32 s0, exec_lo
	v_cmpx_gt_i32_e64 s1, v0
	s_cbranch_execz .LBB105_21
.LBB105_27:
	v_add_nc_u32_e32 v1, s2, v0
	v_add_nc_u32_e32 v0, 0x100, v0
	global_store_b64 v1, v[2:3], s[8:9] scale_offset
	s_wait_xcnt 0x0
	s_or_b32 exec_lo, exec_lo, s0
	s_delay_alu instid0(SALU_CYCLE_1)
	s_mov_b32 s0, exec_lo
	v_cmpx_gt_i32_e64 s1, v0
	s_cbranch_execnz .LBB105_22
	s_branch .LBB105_23
	.section	.rodata,"a",@progbits
	.p2align	6, 0x0
	.amdhsa_kernel _ZN2at6native29vectorized_elementwise_kernelILi8EZZZNS0_12_GLOBAL__N_116addr_kernel_cudaERNS_14TensorIteratorERKN3c106ScalarES8_ENKUlvE_clEvENKUlvE4_clEvEUldddE0_St5arrayIPcLm4EEEEviT0_T1_
		.amdhsa_group_segment_fixed_size 0
		.amdhsa_private_segment_fixed_size 0
		.amdhsa_kernarg_size 56
		.amdhsa_user_sgpr_count 2
		.amdhsa_user_sgpr_dispatch_ptr 0
		.amdhsa_user_sgpr_queue_ptr 0
		.amdhsa_user_sgpr_kernarg_segment_ptr 1
		.amdhsa_user_sgpr_dispatch_id 0
		.amdhsa_user_sgpr_kernarg_preload_length 0
		.amdhsa_user_sgpr_kernarg_preload_offset 0
		.amdhsa_user_sgpr_private_segment_size 0
		.amdhsa_wavefront_size32 1
		.amdhsa_uses_dynamic_stack 0
		.amdhsa_enable_private_segment 0
		.amdhsa_system_sgpr_workgroup_id_x 1
		.amdhsa_system_sgpr_workgroup_id_y 0
		.amdhsa_system_sgpr_workgroup_id_z 0
		.amdhsa_system_sgpr_workgroup_info 0
		.amdhsa_system_vgpr_workitem_id 0
		.amdhsa_next_free_vgpr 29
		.amdhsa_next_free_sgpr 20
		.amdhsa_named_barrier_count 0
		.amdhsa_reserve_vcc 1
		.amdhsa_float_round_mode_32 0
		.amdhsa_float_round_mode_16_64 0
		.amdhsa_float_denorm_mode_32 3
		.amdhsa_float_denorm_mode_16_64 3
		.amdhsa_fp16_overflow 0
		.amdhsa_memory_ordered 1
		.amdhsa_forward_progress 1
		.amdhsa_inst_pref_size 10
		.amdhsa_round_robin_scheduling 0
		.amdhsa_exception_fp_ieee_invalid_op 0
		.amdhsa_exception_fp_denorm_src 0
		.amdhsa_exception_fp_ieee_div_zero 0
		.amdhsa_exception_fp_ieee_overflow 0
		.amdhsa_exception_fp_ieee_underflow 0
		.amdhsa_exception_fp_ieee_inexact 0
		.amdhsa_exception_int_div_zero 0
	.end_amdhsa_kernel
	.section	.text._ZN2at6native29vectorized_elementwise_kernelILi8EZZZNS0_12_GLOBAL__N_116addr_kernel_cudaERNS_14TensorIteratorERKN3c106ScalarES8_ENKUlvE_clEvENKUlvE4_clEvEUldddE0_St5arrayIPcLm4EEEEviT0_T1_,"axG",@progbits,_ZN2at6native29vectorized_elementwise_kernelILi8EZZZNS0_12_GLOBAL__N_116addr_kernel_cudaERNS_14TensorIteratorERKN3c106ScalarES8_ENKUlvE_clEvENKUlvE4_clEvEUldddE0_St5arrayIPcLm4EEEEviT0_T1_,comdat
.Lfunc_end105:
	.size	_ZN2at6native29vectorized_elementwise_kernelILi8EZZZNS0_12_GLOBAL__N_116addr_kernel_cudaERNS_14TensorIteratorERKN3c106ScalarES8_ENKUlvE_clEvENKUlvE4_clEvEUldddE0_St5arrayIPcLm4EEEEviT0_T1_, .Lfunc_end105-_ZN2at6native29vectorized_elementwise_kernelILi8EZZZNS0_12_GLOBAL__N_116addr_kernel_cudaERNS_14TensorIteratorERKN3c106ScalarES8_ENKUlvE_clEvENKUlvE4_clEvEUldddE0_St5arrayIPcLm4EEEEviT0_T1_
                                        ; -- End function
	.set _ZN2at6native29vectorized_elementwise_kernelILi8EZZZNS0_12_GLOBAL__N_116addr_kernel_cudaERNS_14TensorIteratorERKN3c106ScalarES8_ENKUlvE_clEvENKUlvE4_clEvEUldddE0_St5arrayIPcLm4EEEEviT0_T1_.num_vgpr, 29
	.set _ZN2at6native29vectorized_elementwise_kernelILi8EZZZNS0_12_GLOBAL__N_116addr_kernel_cudaERNS_14TensorIteratorERKN3c106ScalarES8_ENKUlvE_clEvENKUlvE4_clEvEUldddE0_St5arrayIPcLm4EEEEviT0_T1_.num_agpr, 0
	.set _ZN2at6native29vectorized_elementwise_kernelILi8EZZZNS0_12_GLOBAL__N_116addr_kernel_cudaERNS_14TensorIteratorERKN3c106ScalarES8_ENKUlvE_clEvENKUlvE4_clEvEUldddE0_St5arrayIPcLm4EEEEviT0_T1_.numbered_sgpr, 20
	.set _ZN2at6native29vectorized_elementwise_kernelILi8EZZZNS0_12_GLOBAL__N_116addr_kernel_cudaERNS_14TensorIteratorERKN3c106ScalarES8_ENKUlvE_clEvENKUlvE4_clEvEUldddE0_St5arrayIPcLm4EEEEviT0_T1_.num_named_barrier, 0
	.set _ZN2at6native29vectorized_elementwise_kernelILi8EZZZNS0_12_GLOBAL__N_116addr_kernel_cudaERNS_14TensorIteratorERKN3c106ScalarES8_ENKUlvE_clEvENKUlvE4_clEvEUldddE0_St5arrayIPcLm4EEEEviT0_T1_.private_seg_size, 0
	.set _ZN2at6native29vectorized_elementwise_kernelILi8EZZZNS0_12_GLOBAL__N_116addr_kernel_cudaERNS_14TensorIteratorERKN3c106ScalarES8_ENKUlvE_clEvENKUlvE4_clEvEUldddE0_St5arrayIPcLm4EEEEviT0_T1_.uses_vcc, 1
	.set _ZN2at6native29vectorized_elementwise_kernelILi8EZZZNS0_12_GLOBAL__N_116addr_kernel_cudaERNS_14TensorIteratorERKN3c106ScalarES8_ENKUlvE_clEvENKUlvE4_clEvEUldddE0_St5arrayIPcLm4EEEEviT0_T1_.uses_flat_scratch, 0
	.set _ZN2at6native29vectorized_elementwise_kernelILi8EZZZNS0_12_GLOBAL__N_116addr_kernel_cudaERNS_14TensorIteratorERKN3c106ScalarES8_ENKUlvE_clEvENKUlvE4_clEvEUldddE0_St5arrayIPcLm4EEEEviT0_T1_.has_dyn_sized_stack, 0
	.set _ZN2at6native29vectorized_elementwise_kernelILi8EZZZNS0_12_GLOBAL__N_116addr_kernel_cudaERNS_14TensorIteratorERKN3c106ScalarES8_ENKUlvE_clEvENKUlvE4_clEvEUldddE0_St5arrayIPcLm4EEEEviT0_T1_.has_recursion, 0
	.set _ZN2at6native29vectorized_elementwise_kernelILi8EZZZNS0_12_GLOBAL__N_116addr_kernel_cudaERNS_14TensorIteratorERKN3c106ScalarES8_ENKUlvE_clEvENKUlvE4_clEvEUldddE0_St5arrayIPcLm4EEEEviT0_T1_.has_indirect_call, 0
	.section	.AMDGPU.csdata,"",@progbits
; Kernel info:
; codeLenInByte = 1212
; TotalNumSgprs: 22
; NumVgprs: 29
; ScratchSize: 0
; MemoryBound: 0
; FloatMode: 240
; IeeeMode: 1
; LDSByteSize: 0 bytes/workgroup (compile time only)
; SGPRBlocks: 0
; VGPRBlocks: 1
; NumSGPRsForWavesPerEU: 22
; NumVGPRsForWavesPerEU: 29
; NamedBarCnt: 0
; Occupancy: 16
; WaveLimiterHint : 0
; COMPUTE_PGM_RSRC2:SCRATCH_EN: 0
; COMPUTE_PGM_RSRC2:USER_SGPR: 2
; COMPUTE_PGM_RSRC2:TRAP_HANDLER: 0
; COMPUTE_PGM_RSRC2:TGID_X_EN: 1
; COMPUTE_PGM_RSRC2:TGID_Y_EN: 0
; COMPUTE_PGM_RSRC2:TGID_Z_EN: 0
; COMPUTE_PGM_RSRC2:TIDIG_COMP_CNT: 0
	.section	.text._ZN2at6native29vectorized_elementwise_kernelILi4EZZZNS0_12_GLOBAL__N_116addr_kernel_cudaERNS_14TensorIteratorERKN3c106ScalarES8_ENKUlvE_clEvENKUlvE4_clEvEUldddE0_St5arrayIPcLm4EEEEviT0_T1_,"axG",@progbits,_ZN2at6native29vectorized_elementwise_kernelILi4EZZZNS0_12_GLOBAL__N_116addr_kernel_cudaERNS_14TensorIteratorERKN3c106ScalarES8_ENKUlvE_clEvENKUlvE4_clEvEUldddE0_St5arrayIPcLm4EEEEviT0_T1_,comdat
	.globl	_ZN2at6native29vectorized_elementwise_kernelILi4EZZZNS0_12_GLOBAL__N_116addr_kernel_cudaERNS_14TensorIteratorERKN3c106ScalarES8_ENKUlvE_clEvENKUlvE4_clEvEUldddE0_St5arrayIPcLm4EEEEviT0_T1_ ; -- Begin function _ZN2at6native29vectorized_elementwise_kernelILi4EZZZNS0_12_GLOBAL__N_116addr_kernel_cudaERNS_14TensorIteratorERKN3c106ScalarES8_ENKUlvE_clEvENKUlvE4_clEvEUldddE0_St5arrayIPcLm4EEEEviT0_T1_
	.p2align	8
	.type	_ZN2at6native29vectorized_elementwise_kernelILi4EZZZNS0_12_GLOBAL__N_116addr_kernel_cudaERNS_14TensorIteratorERKN3c106ScalarES8_ENKUlvE_clEvENKUlvE4_clEvEUldddE0_St5arrayIPcLm4EEEEviT0_T1_,@function
_ZN2at6native29vectorized_elementwise_kernelILi4EZZZNS0_12_GLOBAL__N_116addr_kernel_cudaERNS_14TensorIteratorERKN3c106ScalarES8_ENKUlvE_clEvENKUlvE4_clEvEUldddE0_St5arrayIPcLm4EEEEviT0_T1_: ; @_ZN2at6native29vectorized_elementwise_kernelILi4EZZZNS0_12_GLOBAL__N_116addr_kernel_cudaERNS_14TensorIteratorERKN3c106ScalarES8_ENKUlvE_clEvENKUlvE4_clEvEUldddE0_St5arrayIPcLm4EEEEviT0_T1_
; %bb.0:
	s_clause 0x2
	s_load_b32 s3, s[0:1], 0x0
	s_load_b256 s[4:11], s[0:1], 0x8
	s_load_b128 s[12:15], s[0:1], 0x28
	s_wait_xcnt 0x0
	s_bfe_u32 s0, ttmp6, 0x4000c
	s_and_b32 s1, ttmp6, 15
	s_add_co_i32 s0, s0, 1
	s_getreg_b32 s2, hwreg(HW_REG_IB_STS2, 6, 4)
	s_mul_i32 s0, ttmp9, s0
	s_delay_alu instid0(SALU_CYCLE_1) | instskip(SKIP_2) | instid1(SALU_CYCLE_1)
	s_add_co_i32 s1, s1, s0
	s_cmp_eq_u32 s2, 0
	s_cselect_b32 s0, ttmp9, s1
	s_lshl_b32 s2, s0, 10
	s_mov_b32 s0, -1
	s_wait_kmcnt 0x0
	s_sub_co_i32 s1, s3, s2
	s_delay_alu instid0(SALU_CYCLE_1)
	s_cmp_gt_i32 s1, 0x3ff
	s_cbranch_scc0 .LBB106_2
; %bb.1:
	s_ashr_i32 s3, s2, 31
	v_lshlrev_b32_e32 v1, 5, v0
	s_lshl_b64 s[16:17], s[2:3], 3
	s_mov_b32 s0, 0
	s_add_nc_u64 s[18:19], s[12:13], s[16:17]
	s_clause 0x1
	global_load_b128 v[2:5], v1, s[18:19]
	global_load_b128 v[6:9], v1, s[18:19] offset:16
	s_wait_xcnt 0x0
	s_add_nc_u64 s[18:19], s[14:15], s[16:17]
	s_wait_loadcnt 0x1
	v_mul_f64_e32 v[2:3], s[6:7], v[2:3]
	s_clause 0x1
	global_load_b128 v[10:13], v1, s[18:19]
	global_load_b128 v[14:17], v1, s[18:19] offset:16
	s_wait_xcnt 0x0
	s_add_nc_u64 s[18:19], s[10:11], s[16:17]
	s_clause 0x1
	global_load_b128 v[18:21], v1, s[18:19]
	global_load_b128 v[22:25], v1, s[18:19] offset:16
	v_mul_f64_e32 v[4:5], s[6:7], v[4:5]
	s_wait_loadcnt 0x4
	v_mul_f64_e32 v[6:7], s[6:7], v[6:7]
	v_mul_f64_e32 v[8:9], s[6:7], v[8:9]
	s_add_nc_u64 s[16:17], s[8:9], s[16:17]
	s_wait_loadcnt 0x3
	v_mul_f64_e32 v[2:3], v[2:3], v[10:11]
	s_delay_alu instid0(VALU_DEP_4) | instskip(SKIP_1) | instid1(VALU_DEP_4)
	v_mul_f64_e32 v[4:5], v[4:5], v[12:13]
	s_wait_loadcnt 0x2
	v_mul_f64_e32 v[6:7], v[6:7], v[14:15]
	s_delay_alu instid0(VALU_DEP_4) | instskip(SKIP_1) | instid1(VALU_DEP_4)
	v_mul_f64_e32 v[8:9], v[8:9], v[16:17]
	s_wait_loadcnt 0x1
	v_fmac_f64_e32 v[2:3], s[4:5], v[18:19]
	s_delay_alu instid0(VALU_DEP_4) | instskip(SKIP_1) | instid1(VALU_DEP_4)
	v_fmac_f64_e32 v[4:5], s[4:5], v[20:21]
	s_wait_loadcnt 0x0
	v_fmac_f64_e32 v[6:7], s[4:5], v[22:23]
	s_delay_alu instid0(VALU_DEP_4)
	v_fmac_f64_e32 v[8:9], s[4:5], v[24:25]
	s_clause 0x1
	global_store_b128 v1, v[2:5], s[16:17]
	global_store_b128 v1, v[6:9], s[16:17] offset:16
.LBB106_2:
	s_and_not1_b32 vcc_lo, exec_lo, s0
	s_cbranch_vccnz .LBB106_23
; %bb.3:
	s_wait_xcnt 0x1
	v_mov_b64_e32 v[2:3], 0
	v_mov_b64_e32 v[4:5], 0
	s_wait_xcnt 0x0
	v_mov_b64_e32 v[6:7], 0
	v_mov_b64_e32 v[8:9], 0
	v_cmp_gt_i32_e32 vcc_lo, s1, v0
	v_dual_mov_b32 v26, v0 :: v_dual_bitop2_b32 v1, s2, v0 bitop3:0x54
	v_or_b32_e32 v28, 0x100, v0
	s_and_saveexec_b32 s0, vcc_lo
	s_cbranch_execz .LBB106_5
; %bb.4:
	s_clause 0x2
	global_load_b64 v[4:5], v1, s[10:11] scale_offset
	global_load_b64 v[6:7], v1, s[12:13] scale_offset
	;; [unrolled: 1-line block ×3, first 2 shown]
	v_or_b32_e32 v26, 0x100, v0
.LBB106_5:
	s_wait_xcnt 0x0
	s_or_b32 exec_lo, exec_lo, s0
	v_mov_b64_e32 v[12:13], 0
	v_mov_b64_e32 v[14:15], 0
	s_mov_b32 s3, exec_lo
	v_cmpx_gt_i32_e64 s1, v26
	s_cbranch_execz .LBB106_7
; %bb.6:
	v_add_nc_u32_e32 v10, s2, v26
	v_add_nc_u32_e32 v26, 0x100, v26
	s_clause 0x2
	global_load_b64 v[2:3], v10, s[10:11] scale_offset
	global_load_b64 v[12:13], v10, s[12:13] scale_offset
	;; [unrolled: 1-line block ×3, first 2 shown]
.LBB106_7:
	s_wait_xcnt 0x0
	s_or_b32 exec_lo, exec_lo, s3
	v_mov_b64_e32 v[10:11], 0
	v_mov_b64_e32 v[16:17], 0
	;; [unrolled: 1-line block ×4, first 2 shown]
	s_mov_b32 s3, exec_lo
	v_cmpx_gt_i32_e64 s1, v26
	s_cbranch_execz .LBB106_9
; %bb.8:
	v_add_nc_u32_e32 v22, s2, v26
	v_add_nc_u32_e32 v26, 0x100, v26
	s_clause 0x2
	global_load_b64 v[16:17], v22, s[10:11] scale_offset
	global_load_b64 v[18:19], v22, s[12:13] scale_offset
	;; [unrolled: 1-line block ×3, first 2 shown]
.LBB106_9:
	s_wait_xcnt 0x0
	s_or_b32 exec_lo, exec_lo, s3
	v_mov_b64_e32 v[22:23], 0
	v_mov_b64_e32 v[24:25], 0
	s_mov_b32 s3, exec_lo
	v_cmpx_gt_i32_e64 s1, v26
	s_cbranch_execz .LBB106_11
; %bb.10:
	v_add_nc_u32_e32 v26, s2, v26
	s_clause 0x2
	global_load_b64 v[10:11], v26, s[10:11] scale_offset
	global_load_b64 v[22:23], v26, s[12:13] scale_offset
	;; [unrolled: 1-line block ×3, first 2 shown]
	s_wait_xcnt 0x0
	s_or_b32 exec_lo, exec_lo, s3
                                        ; implicit-def: $vgpr26_vgpr27
	s_and_saveexec_b32 s0, vcc_lo
	s_cbranch_execz .LBB106_13
	s_branch .LBB106_12
.LBB106_11:
	s_or_b32 exec_lo, exec_lo, s3
                                        ; implicit-def: $vgpr26_vgpr27
	s_and_saveexec_b32 s0, vcc_lo
	s_cbranch_execz .LBB106_13
.LBB106_12:
	s_wait_loadcnt 0x1
	v_mul_f64_e32 v[6:7], s[6:7], v[6:7]
	s_wait_loadcnt 0x0
	s_delay_alu instid0(VALU_DEP_1) | instskip(NEXT) | instid1(VALU_DEP_1)
	v_mul_f64_e32 v[26:27], v[6:7], v[8:9]
	v_fmac_f64_e32 v[26:27], s[4:5], v[4:5]
.LBB106_13:
	s_or_b32 exec_lo, exec_lo, s0
	s_delay_alu instid0(SALU_CYCLE_1)
	s_mov_b32 s3, exec_lo
                                        ; implicit-def: $vgpr4_vgpr5
	v_cmpx_gt_i32_e64 s1, v28
	s_cbranch_execz .LBB106_15
; %bb.14:
	s_wait_loadcnt 0x1
	v_mul_f64_e32 v[4:5], s[6:7], v[12:13]
	s_wait_loadcnt 0x0
	s_delay_alu instid0(VALU_DEP_1) | instskip(NEXT) | instid1(VALU_DEP_1)
	v_mul_f64_e32 v[4:5], v[4:5], v[14:15]
	v_fmac_f64_e32 v[4:5], s[4:5], v[2:3]
.LBB106_15:
	s_or_b32 exec_lo, exec_lo, s3
	s_wait_loadcnt 0x2
	v_or_b32_e32 v2, 0x200, v0
	s_delay_alu instid0(VALU_DEP_1)
	v_cmp_gt_i32_e64 s0, s1, v2
                                        ; implicit-def: $vgpr2_vgpr3
	s_and_saveexec_b32 s3, s0
	s_cbranch_execz .LBB106_17
; %bb.16:
	s_wait_loadcnt 0x1
	v_mul_f64_e32 v[2:3], s[6:7], v[18:19]
	s_wait_loadcnt 0x0
	s_delay_alu instid0(VALU_DEP_1) | instskip(NEXT) | instid1(VALU_DEP_1)
	v_mul_f64_e32 v[2:3], v[2:3], v[20:21]
	v_fmac_f64_e32 v[2:3], s[4:5], v[16:17]
.LBB106_17:
	s_or_b32 exec_lo, exec_lo, s3
	s_wait_loadcnt 0x1
	v_or_b32_e32 v6, 0x300, v0
	s_delay_alu instid0(VALU_DEP_1)
	v_cmp_gt_i32_e64 s0, s1, v6
                                        ; implicit-def: $vgpr6_vgpr7
	s_and_saveexec_b32 s3, s0
	s_cbranch_execz .LBB106_24
; %bb.18:
	v_mul_f64_e32 v[6:7], s[6:7], v[22:23]
	s_wait_loadcnt 0x0
	s_delay_alu instid0(VALU_DEP_1) | instskip(NEXT) | instid1(VALU_DEP_1)
	v_mul_f64_e32 v[6:7], v[6:7], v[24:25]
	v_fmac_f64_e32 v[6:7], s[4:5], v[10:11]
	s_or_b32 exec_lo, exec_lo, s3
	s_and_saveexec_b32 s0, vcc_lo
	s_delay_alu instid0(SALU_CYCLE_1)
	s_xor_b32 s0, exec_lo, s0
	s_cbranch_execnz .LBB106_25
.LBB106_19:
	s_or_b32 exec_lo, exec_lo, s0
	s_delay_alu instid0(SALU_CYCLE_1)
	s_mov_b32 s0, exec_lo
	v_cmpx_gt_i32_e64 s1, v0
	s_cbranch_execz .LBB106_26
.LBB106_20:
	v_add_nc_u32_e32 v1, s2, v0
	v_add_nc_u32_e32 v0, 0x100, v0
	global_store_b64 v1, v[4:5], s[8:9] scale_offset
	s_wait_xcnt 0x0
	s_or_b32 exec_lo, exec_lo, s0
	s_delay_alu instid0(SALU_CYCLE_1)
	s_mov_b32 s0, exec_lo
	v_cmpx_gt_i32_e64 s1, v0
	s_cbranch_execnz .LBB106_27
.LBB106_21:
	s_or_b32 exec_lo, exec_lo, s0
	s_delay_alu instid0(SALU_CYCLE_1)
	s_mov_b32 s0, exec_lo
	v_cmpx_gt_i32_e64 s1, v0
	s_cbranch_execz .LBB106_23
.LBB106_22:
	v_add_nc_u32_e32 v0, s2, v0
	global_store_b64 v0, v[6:7], s[8:9] scale_offset
.LBB106_23:
	s_endpgm
.LBB106_24:
	s_or_b32 exec_lo, exec_lo, s3
	s_and_saveexec_b32 s0, vcc_lo
	s_delay_alu instid0(SALU_CYCLE_1)
	s_xor_b32 s0, exec_lo, s0
	s_cbranch_execz .LBB106_19
.LBB106_25:
	v_mov_b32_e32 v0, v28
	global_store_b64 v1, v[26:27], s[8:9] scale_offset
	s_wait_xcnt 0x0
	s_or_b32 exec_lo, exec_lo, s0
	s_delay_alu instid0(SALU_CYCLE_1)
	s_mov_b32 s0, exec_lo
	v_cmpx_gt_i32_e64 s1, v0
	s_cbranch_execnz .LBB106_20
.LBB106_26:
	s_or_b32 exec_lo, exec_lo, s0
	s_delay_alu instid0(SALU_CYCLE_1)
	s_mov_b32 s0, exec_lo
	v_cmpx_gt_i32_e64 s1, v0
	s_cbranch_execz .LBB106_21
.LBB106_27:
	v_add_nc_u32_e32 v1, s2, v0
	v_add_nc_u32_e32 v0, 0x100, v0
	global_store_b64 v1, v[2:3], s[8:9] scale_offset
	s_wait_xcnt 0x0
	s_or_b32 exec_lo, exec_lo, s0
	s_delay_alu instid0(SALU_CYCLE_1)
	s_mov_b32 s0, exec_lo
	v_cmpx_gt_i32_e64 s1, v0
	s_cbranch_execnz .LBB106_22
	s_branch .LBB106_23
	.section	.rodata,"a",@progbits
	.p2align	6, 0x0
	.amdhsa_kernel _ZN2at6native29vectorized_elementwise_kernelILi4EZZZNS0_12_GLOBAL__N_116addr_kernel_cudaERNS_14TensorIteratorERKN3c106ScalarES8_ENKUlvE_clEvENKUlvE4_clEvEUldddE0_St5arrayIPcLm4EEEEviT0_T1_
		.amdhsa_group_segment_fixed_size 0
		.amdhsa_private_segment_fixed_size 0
		.amdhsa_kernarg_size 56
		.amdhsa_user_sgpr_count 2
		.amdhsa_user_sgpr_dispatch_ptr 0
		.amdhsa_user_sgpr_queue_ptr 0
		.amdhsa_user_sgpr_kernarg_segment_ptr 1
		.amdhsa_user_sgpr_dispatch_id 0
		.amdhsa_user_sgpr_kernarg_preload_length 0
		.amdhsa_user_sgpr_kernarg_preload_offset 0
		.amdhsa_user_sgpr_private_segment_size 0
		.amdhsa_wavefront_size32 1
		.amdhsa_uses_dynamic_stack 0
		.amdhsa_enable_private_segment 0
		.amdhsa_system_sgpr_workgroup_id_x 1
		.amdhsa_system_sgpr_workgroup_id_y 0
		.amdhsa_system_sgpr_workgroup_id_z 0
		.amdhsa_system_sgpr_workgroup_info 0
		.amdhsa_system_vgpr_workitem_id 0
		.amdhsa_next_free_vgpr 29
		.amdhsa_next_free_sgpr 20
		.amdhsa_named_barrier_count 0
		.amdhsa_reserve_vcc 1
		.amdhsa_float_round_mode_32 0
		.amdhsa_float_round_mode_16_64 0
		.amdhsa_float_denorm_mode_32 3
		.amdhsa_float_denorm_mode_16_64 3
		.amdhsa_fp16_overflow 0
		.amdhsa_memory_ordered 1
		.amdhsa_forward_progress 1
		.amdhsa_inst_pref_size 10
		.amdhsa_round_robin_scheduling 0
		.amdhsa_exception_fp_ieee_invalid_op 0
		.amdhsa_exception_fp_denorm_src 0
		.amdhsa_exception_fp_ieee_div_zero 0
		.amdhsa_exception_fp_ieee_overflow 0
		.amdhsa_exception_fp_ieee_underflow 0
		.amdhsa_exception_fp_ieee_inexact 0
		.amdhsa_exception_int_div_zero 0
	.end_amdhsa_kernel
	.section	.text._ZN2at6native29vectorized_elementwise_kernelILi4EZZZNS0_12_GLOBAL__N_116addr_kernel_cudaERNS_14TensorIteratorERKN3c106ScalarES8_ENKUlvE_clEvENKUlvE4_clEvEUldddE0_St5arrayIPcLm4EEEEviT0_T1_,"axG",@progbits,_ZN2at6native29vectorized_elementwise_kernelILi4EZZZNS0_12_GLOBAL__N_116addr_kernel_cudaERNS_14TensorIteratorERKN3c106ScalarES8_ENKUlvE_clEvENKUlvE4_clEvEUldddE0_St5arrayIPcLm4EEEEviT0_T1_,comdat
.Lfunc_end106:
	.size	_ZN2at6native29vectorized_elementwise_kernelILi4EZZZNS0_12_GLOBAL__N_116addr_kernel_cudaERNS_14TensorIteratorERKN3c106ScalarES8_ENKUlvE_clEvENKUlvE4_clEvEUldddE0_St5arrayIPcLm4EEEEviT0_T1_, .Lfunc_end106-_ZN2at6native29vectorized_elementwise_kernelILi4EZZZNS0_12_GLOBAL__N_116addr_kernel_cudaERNS_14TensorIteratorERKN3c106ScalarES8_ENKUlvE_clEvENKUlvE4_clEvEUldddE0_St5arrayIPcLm4EEEEviT0_T1_
                                        ; -- End function
	.set _ZN2at6native29vectorized_elementwise_kernelILi4EZZZNS0_12_GLOBAL__N_116addr_kernel_cudaERNS_14TensorIteratorERKN3c106ScalarES8_ENKUlvE_clEvENKUlvE4_clEvEUldddE0_St5arrayIPcLm4EEEEviT0_T1_.num_vgpr, 29
	.set _ZN2at6native29vectorized_elementwise_kernelILi4EZZZNS0_12_GLOBAL__N_116addr_kernel_cudaERNS_14TensorIteratorERKN3c106ScalarES8_ENKUlvE_clEvENKUlvE4_clEvEUldddE0_St5arrayIPcLm4EEEEviT0_T1_.num_agpr, 0
	.set _ZN2at6native29vectorized_elementwise_kernelILi4EZZZNS0_12_GLOBAL__N_116addr_kernel_cudaERNS_14TensorIteratorERKN3c106ScalarES8_ENKUlvE_clEvENKUlvE4_clEvEUldddE0_St5arrayIPcLm4EEEEviT0_T1_.numbered_sgpr, 20
	.set _ZN2at6native29vectorized_elementwise_kernelILi4EZZZNS0_12_GLOBAL__N_116addr_kernel_cudaERNS_14TensorIteratorERKN3c106ScalarES8_ENKUlvE_clEvENKUlvE4_clEvEUldddE0_St5arrayIPcLm4EEEEviT0_T1_.num_named_barrier, 0
	.set _ZN2at6native29vectorized_elementwise_kernelILi4EZZZNS0_12_GLOBAL__N_116addr_kernel_cudaERNS_14TensorIteratorERKN3c106ScalarES8_ENKUlvE_clEvENKUlvE4_clEvEUldddE0_St5arrayIPcLm4EEEEviT0_T1_.private_seg_size, 0
	.set _ZN2at6native29vectorized_elementwise_kernelILi4EZZZNS0_12_GLOBAL__N_116addr_kernel_cudaERNS_14TensorIteratorERKN3c106ScalarES8_ENKUlvE_clEvENKUlvE4_clEvEUldddE0_St5arrayIPcLm4EEEEviT0_T1_.uses_vcc, 1
	.set _ZN2at6native29vectorized_elementwise_kernelILi4EZZZNS0_12_GLOBAL__N_116addr_kernel_cudaERNS_14TensorIteratorERKN3c106ScalarES8_ENKUlvE_clEvENKUlvE4_clEvEUldddE0_St5arrayIPcLm4EEEEviT0_T1_.uses_flat_scratch, 0
	.set _ZN2at6native29vectorized_elementwise_kernelILi4EZZZNS0_12_GLOBAL__N_116addr_kernel_cudaERNS_14TensorIteratorERKN3c106ScalarES8_ENKUlvE_clEvENKUlvE4_clEvEUldddE0_St5arrayIPcLm4EEEEviT0_T1_.has_dyn_sized_stack, 0
	.set _ZN2at6native29vectorized_elementwise_kernelILi4EZZZNS0_12_GLOBAL__N_116addr_kernel_cudaERNS_14TensorIteratorERKN3c106ScalarES8_ENKUlvE_clEvENKUlvE4_clEvEUldddE0_St5arrayIPcLm4EEEEviT0_T1_.has_recursion, 0
	.set _ZN2at6native29vectorized_elementwise_kernelILi4EZZZNS0_12_GLOBAL__N_116addr_kernel_cudaERNS_14TensorIteratorERKN3c106ScalarES8_ENKUlvE_clEvENKUlvE4_clEvEUldddE0_St5arrayIPcLm4EEEEviT0_T1_.has_indirect_call, 0
	.section	.AMDGPU.csdata,"",@progbits
; Kernel info:
; codeLenInByte = 1212
; TotalNumSgprs: 22
; NumVgprs: 29
; ScratchSize: 0
; MemoryBound: 0
; FloatMode: 240
; IeeeMode: 1
; LDSByteSize: 0 bytes/workgroup (compile time only)
; SGPRBlocks: 0
; VGPRBlocks: 1
; NumSGPRsForWavesPerEU: 22
; NumVGPRsForWavesPerEU: 29
; NamedBarCnt: 0
; Occupancy: 16
; WaveLimiterHint : 0
; COMPUTE_PGM_RSRC2:SCRATCH_EN: 0
; COMPUTE_PGM_RSRC2:USER_SGPR: 2
; COMPUTE_PGM_RSRC2:TRAP_HANDLER: 0
; COMPUTE_PGM_RSRC2:TGID_X_EN: 1
; COMPUTE_PGM_RSRC2:TGID_Y_EN: 0
; COMPUTE_PGM_RSRC2:TGID_Z_EN: 0
; COMPUTE_PGM_RSRC2:TIDIG_COMP_CNT: 0
	.section	.text._ZN2at6native29vectorized_elementwise_kernelILi2EZZZNS0_12_GLOBAL__N_116addr_kernel_cudaERNS_14TensorIteratorERKN3c106ScalarES8_ENKUlvE_clEvENKUlvE4_clEvEUldddE0_St5arrayIPcLm4EEEEviT0_T1_,"axG",@progbits,_ZN2at6native29vectorized_elementwise_kernelILi2EZZZNS0_12_GLOBAL__N_116addr_kernel_cudaERNS_14TensorIteratorERKN3c106ScalarES8_ENKUlvE_clEvENKUlvE4_clEvEUldddE0_St5arrayIPcLm4EEEEviT0_T1_,comdat
	.globl	_ZN2at6native29vectorized_elementwise_kernelILi2EZZZNS0_12_GLOBAL__N_116addr_kernel_cudaERNS_14TensorIteratorERKN3c106ScalarES8_ENKUlvE_clEvENKUlvE4_clEvEUldddE0_St5arrayIPcLm4EEEEviT0_T1_ ; -- Begin function _ZN2at6native29vectorized_elementwise_kernelILi2EZZZNS0_12_GLOBAL__N_116addr_kernel_cudaERNS_14TensorIteratorERKN3c106ScalarES8_ENKUlvE_clEvENKUlvE4_clEvEUldddE0_St5arrayIPcLm4EEEEviT0_T1_
	.p2align	8
	.type	_ZN2at6native29vectorized_elementwise_kernelILi2EZZZNS0_12_GLOBAL__N_116addr_kernel_cudaERNS_14TensorIteratorERKN3c106ScalarES8_ENKUlvE_clEvENKUlvE4_clEvEUldddE0_St5arrayIPcLm4EEEEviT0_T1_,@function
_ZN2at6native29vectorized_elementwise_kernelILi2EZZZNS0_12_GLOBAL__N_116addr_kernel_cudaERNS_14TensorIteratorERKN3c106ScalarES8_ENKUlvE_clEvENKUlvE4_clEvEUldddE0_St5arrayIPcLm4EEEEviT0_T1_: ; @_ZN2at6native29vectorized_elementwise_kernelILi2EZZZNS0_12_GLOBAL__N_116addr_kernel_cudaERNS_14TensorIteratorERKN3c106ScalarES8_ENKUlvE_clEvENKUlvE4_clEvEUldddE0_St5arrayIPcLm4EEEEviT0_T1_
; %bb.0:
	s_clause 0x2
	s_load_b32 s3, s[0:1], 0x0
	s_load_b256 s[4:11], s[0:1], 0x8
	s_load_b128 s[12:15], s[0:1], 0x28
	s_wait_xcnt 0x0
	s_bfe_u32 s0, ttmp6, 0x4000c
	s_and_b32 s1, ttmp6, 15
	s_add_co_i32 s0, s0, 1
	s_getreg_b32 s2, hwreg(HW_REG_IB_STS2, 6, 4)
	s_mul_i32 s0, ttmp9, s0
	s_delay_alu instid0(SALU_CYCLE_1) | instskip(SKIP_2) | instid1(SALU_CYCLE_1)
	s_add_co_i32 s1, s1, s0
	s_cmp_eq_u32 s2, 0
	s_cselect_b32 s0, ttmp9, s1
	s_lshl_b32 s2, s0, 10
	s_mov_b32 s0, -1
	s_wait_kmcnt 0x0
	s_sub_co_i32 s1, s3, s2
	s_delay_alu instid0(SALU_CYCLE_1)
	s_cmp_gt_i32 s1, 0x3ff
	s_cbranch_scc0 .LBB107_2
; %bb.1:
	s_ashr_i32 s3, s2, 31
	s_mov_b32 s0, 0
	s_lshl_b64 s[16:17], s[2:3], 3
	s_delay_alu instid0(SALU_CYCLE_1)
	s_add_nc_u64 s[18:19], s[12:13], s[16:17]
	s_clause 0x1
	global_load_b128 v[2:5], v0, s[18:19] scale_offset
	global_load_b128 v[6:9], v0, s[18:19] offset:4096 scale_offset
	s_wait_xcnt 0x0
	s_add_nc_u64 s[18:19], s[14:15], s[16:17]
	s_clause 0x1
	global_load_b128 v[10:13], v0, s[18:19] scale_offset
	global_load_b128 v[14:17], v0, s[18:19] offset:4096 scale_offset
	s_wait_xcnt 0x0
	s_add_nc_u64 s[18:19], s[10:11], s[16:17]
	s_clause 0x1
	global_load_b128 v[18:21], v0, s[18:19] scale_offset
	global_load_b128 v[22:25], v0, s[18:19] offset:4096 scale_offset
	s_add_nc_u64 s[16:17], s[8:9], s[16:17]
	s_wait_loadcnt 0x5
	v_mul_f64_e32 v[2:3], s[6:7], v[2:3]
	v_mul_f64_e32 v[4:5], s[6:7], v[4:5]
	s_wait_loadcnt 0x4
	v_mul_f64_e32 v[6:7], s[6:7], v[6:7]
	v_mul_f64_e32 v[8:9], s[6:7], v[8:9]
	s_wait_loadcnt 0x3
	s_delay_alu instid0(VALU_DEP_4) | instskip(NEXT) | instid1(VALU_DEP_4)
	v_mul_f64_e32 v[2:3], v[2:3], v[10:11]
	v_mul_f64_e32 v[4:5], v[4:5], v[12:13]
	s_wait_loadcnt 0x2
	s_delay_alu instid0(VALU_DEP_4) | instskip(NEXT) | instid1(VALU_DEP_4)
	;; [unrolled: 4-line block ×3, first 2 shown]
	v_fmac_f64_e32 v[2:3], s[4:5], v[18:19]
	v_fmac_f64_e32 v[4:5], s[4:5], v[20:21]
	s_wait_loadcnt 0x0
	s_delay_alu instid0(VALU_DEP_4) | instskip(NEXT) | instid1(VALU_DEP_4)
	v_fmac_f64_e32 v[6:7], s[4:5], v[22:23]
	v_fmac_f64_e32 v[8:9], s[4:5], v[24:25]
	s_clause 0x1
	global_store_b128 v0, v[2:5], s[16:17] scale_offset
	global_store_b128 v0, v[6:9], s[16:17] offset:4096 scale_offset
.LBB107_2:
	s_and_not1_b32 vcc_lo, exec_lo, s0
	s_cbranch_vccnz .LBB107_23
; %bb.3:
	s_wait_xcnt 0x1
	v_mov_b64_e32 v[2:3], 0
	v_mov_b64_e32 v[4:5], 0
	s_wait_xcnt 0x0
	v_mov_b64_e32 v[6:7], 0
	v_mov_b64_e32 v[8:9], 0
	v_cmp_gt_i32_e32 vcc_lo, s1, v0
	v_dual_mov_b32 v26, v0 :: v_dual_bitop2_b32 v1, s2, v0 bitop3:0x54
	v_or_b32_e32 v28, 0x100, v0
	s_and_saveexec_b32 s0, vcc_lo
	s_cbranch_execz .LBB107_5
; %bb.4:
	s_clause 0x2
	global_load_b64 v[4:5], v1, s[10:11] scale_offset
	global_load_b64 v[6:7], v1, s[12:13] scale_offset
	;; [unrolled: 1-line block ×3, first 2 shown]
	v_or_b32_e32 v26, 0x100, v0
.LBB107_5:
	s_wait_xcnt 0x0
	s_or_b32 exec_lo, exec_lo, s0
	v_mov_b64_e32 v[12:13], 0
	v_mov_b64_e32 v[14:15], 0
	s_mov_b32 s3, exec_lo
	v_cmpx_gt_i32_e64 s1, v26
	s_cbranch_execz .LBB107_7
; %bb.6:
	v_add_nc_u32_e32 v10, s2, v26
	v_add_nc_u32_e32 v26, 0x100, v26
	s_clause 0x2
	global_load_b64 v[2:3], v10, s[10:11] scale_offset
	global_load_b64 v[12:13], v10, s[12:13] scale_offset
	;; [unrolled: 1-line block ×3, first 2 shown]
.LBB107_7:
	s_wait_xcnt 0x0
	s_or_b32 exec_lo, exec_lo, s3
	v_mov_b64_e32 v[10:11], 0
	v_mov_b64_e32 v[16:17], 0
	;; [unrolled: 1-line block ×4, first 2 shown]
	s_mov_b32 s3, exec_lo
	v_cmpx_gt_i32_e64 s1, v26
	s_cbranch_execz .LBB107_9
; %bb.8:
	v_add_nc_u32_e32 v22, s2, v26
	v_add_nc_u32_e32 v26, 0x100, v26
	s_clause 0x2
	global_load_b64 v[16:17], v22, s[10:11] scale_offset
	global_load_b64 v[18:19], v22, s[12:13] scale_offset
	;; [unrolled: 1-line block ×3, first 2 shown]
.LBB107_9:
	s_wait_xcnt 0x0
	s_or_b32 exec_lo, exec_lo, s3
	v_mov_b64_e32 v[22:23], 0
	v_mov_b64_e32 v[24:25], 0
	s_mov_b32 s3, exec_lo
	v_cmpx_gt_i32_e64 s1, v26
	s_cbranch_execz .LBB107_11
; %bb.10:
	v_add_nc_u32_e32 v26, s2, v26
	s_clause 0x2
	global_load_b64 v[10:11], v26, s[10:11] scale_offset
	global_load_b64 v[22:23], v26, s[12:13] scale_offset
	;; [unrolled: 1-line block ×3, first 2 shown]
	s_wait_xcnt 0x0
	s_or_b32 exec_lo, exec_lo, s3
                                        ; implicit-def: $vgpr26_vgpr27
	s_and_saveexec_b32 s0, vcc_lo
	s_cbranch_execz .LBB107_13
	s_branch .LBB107_12
.LBB107_11:
	s_or_b32 exec_lo, exec_lo, s3
                                        ; implicit-def: $vgpr26_vgpr27
	s_and_saveexec_b32 s0, vcc_lo
	s_cbranch_execz .LBB107_13
.LBB107_12:
	s_wait_loadcnt 0x1
	v_mul_f64_e32 v[6:7], s[6:7], v[6:7]
	s_wait_loadcnt 0x0
	s_delay_alu instid0(VALU_DEP_1) | instskip(NEXT) | instid1(VALU_DEP_1)
	v_mul_f64_e32 v[26:27], v[6:7], v[8:9]
	v_fmac_f64_e32 v[26:27], s[4:5], v[4:5]
.LBB107_13:
	s_or_b32 exec_lo, exec_lo, s0
	s_delay_alu instid0(SALU_CYCLE_1)
	s_mov_b32 s3, exec_lo
                                        ; implicit-def: $vgpr4_vgpr5
	v_cmpx_gt_i32_e64 s1, v28
	s_cbranch_execz .LBB107_15
; %bb.14:
	s_wait_loadcnt 0x1
	v_mul_f64_e32 v[4:5], s[6:7], v[12:13]
	s_wait_loadcnt 0x0
	s_delay_alu instid0(VALU_DEP_1) | instskip(NEXT) | instid1(VALU_DEP_1)
	v_mul_f64_e32 v[4:5], v[4:5], v[14:15]
	v_fmac_f64_e32 v[4:5], s[4:5], v[2:3]
.LBB107_15:
	s_or_b32 exec_lo, exec_lo, s3
	s_wait_loadcnt 0x2
	v_or_b32_e32 v2, 0x200, v0
	s_delay_alu instid0(VALU_DEP_1)
	v_cmp_gt_i32_e64 s0, s1, v2
                                        ; implicit-def: $vgpr2_vgpr3
	s_and_saveexec_b32 s3, s0
	s_cbranch_execz .LBB107_17
; %bb.16:
	s_wait_loadcnt 0x1
	v_mul_f64_e32 v[2:3], s[6:7], v[18:19]
	s_wait_loadcnt 0x0
	s_delay_alu instid0(VALU_DEP_1) | instskip(NEXT) | instid1(VALU_DEP_1)
	v_mul_f64_e32 v[2:3], v[2:3], v[20:21]
	v_fmac_f64_e32 v[2:3], s[4:5], v[16:17]
.LBB107_17:
	s_or_b32 exec_lo, exec_lo, s3
	s_wait_loadcnt 0x1
	v_or_b32_e32 v6, 0x300, v0
	s_delay_alu instid0(VALU_DEP_1)
	v_cmp_gt_i32_e64 s0, s1, v6
                                        ; implicit-def: $vgpr6_vgpr7
	s_and_saveexec_b32 s3, s0
	s_cbranch_execz .LBB107_24
; %bb.18:
	v_mul_f64_e32 v[6:7], s[6:7], v[22:23]
	s_wait_loadcnt 0x0
	s_delay_alu instid0(VALU_DEP_1) | instskip(NEXT) | instid1(VALU_DEP_1)
	v_mul_f64_e32 v[6:7], v[6:7], v[24:25]
	v_fmac_f64_e32 v[6:7], s[4:5], v[10:11]
	s_or_b32 exec_lo, exec_lo, s3
	s_and_saveexec_b32 s0, vcc_lo
	s_delay_alu instid0(SALU_CYCLE_1)
	s_xor_b32 s0, exec_lo, s0
	s_cbranch_execnz .LBB107_25
.LBB107_19:
	s_or_b32 exec_lo, exec_lo, s0
	s_delay_alu instid0(SALU_CYCLE_1)
	s_mov_b32 s0, exec_lo
	v_cmpx_gt_i32_e64 s1, v0
	s_cbranch_execz .LBB107_26
.LBB107_20:
	v_add_nc_u32_e32 v1, s2, v0
	v_add_nc_u32_e32 v0, 0x100, v0
	global_store_b64 v1, v[4:5], s[8:9] scale_offset
	s_wait_xcnt 0x0
	s_or_b32 exec_lo, exec_lo, s0
	s_delay_alu instid0(SALU_CYCLE_1)
	s_mov_b32 s0, exec_lo
	v_cmpx_gt_i32_e64 s1, v0
	s_cbranch_execnz .LBB107_27
.LBB107_21:
	s_or_b32 exec_lo, exec_lo, s0
	s_delay_alu instid0(SALU_CYCLE_1)
	s_mov_b32 s0, exec_lo
	v_cmpx_gt_i32_e64 s1, v0
	s_cbranch_execz .LBB107_23
.LBB107_22:
	v_add_nc_u32_e32 v0, s2, v0
	global_store_b64 v0, v[6:7], s[8:9] scale_offset
.LBB107_23:
	s_endpgm
.LBB107_24:
	s_or_b32 exec_lo, exec_lo, s3
	s_and_saveexec_b32 s0, vcc_lo
	s_delay_alu instid0(SALU_CYCLE_1)
	s_xor_b32 s0, exec_lo, s0
	s_cbranch_execz .LBB107_19
.LBB107_25:
	v_mov_b32_e32 v0, v28
	global_store_b64 v1, v[26:27], s[8:9] scale_offset
	s_wait_xcnt 0x0
	s_or_b32 exec_lo, exec_lo, s0
	s_delay_alu instid0(SALU_CYCLE_1)
	s_mov_b32 s0, exec_lo
	v_cmpx_gt_i32_e64 s1, v0
	s_cbranch_execnz .LBB107_20
.LBB107_26:
	s_or_b32 exec_lo, exec_lo, s0
	s_delay_alu instid0(SALU_CYCLE_1)
	s_mov_b32 s0, exec_lo
	v_cmpx_gt_i32_e64 s1, v0
	s_cbranch_execz .LBB107_21
.LBB107_27:
	v_add_nc_u32_e32 v1, s2, v0
	v_add_nc_u32_e32 v0, 0x100, v0
	global_store_b64 v1, v[2:3], s[8:9] scale_offset
	s_wait_xcnt 0x0
	s_or_b32 exec_lo, exec_lo, s0
	s_delay_alu instid0(SALU_CYCLE_1)
	s_mov_b32 s0, exec_lo
	v_cmpx_gt_i32_e64 s1, v0
	s_cbranch_execnz .LBB107_22
	s_branch .LBB107_23
	.section	.rodata,"a",@progbits
	.p2align	6, 0x0
	.amdhsa_kernel _ZN2at6native29vectorized_elementwise_kernelILi2EZZZNS0_12_GLOBAL__N_116addr_kernel_cudaERNS_14TensorIteratorERKN3c106ScalarES8_ENKUlvE_clEvENKUlvE4_clEvEUldddE0_St5arrayIPcLm4EEEEviT0_T1_
		.amdhsa_group_segment_fixed_size 0
		.amdhsa_private_segment_fixed_size 0
		.amdhsa_kernarg_size 56
		.amdhsa_user_sgpr_count 2
		.amdhsa_user_sgpr_dispatch_ptr 0
		.amdhsa_user_sgpr_queue_ptr 0
		.amdhsa_user_sgpr_kernarg_segment_ptr 1
		.amdhsa_user_sgpr_dispatch_id 0
		.amdhsa_user_sgpr_kernarg_preload_length 0
		.amdhsa_user_sgpr_kernarg_preload_offset 0
		.amdhsa_user_sgpr_private_segment_size 0
		.amdhsa_wavefront_size32 1
		.amdhsa_uses_dynamic_stack 0
		.amdhsa_enable_private_segment 0
		.amdhsa_system_sgpr_workgroup_id_x 1
		.amdhsa_system_sgpr_workgroup_id_y 0
		.amdhsa_system_sgpr_workgroup_id_z 0
		.amdhsa_system_sgpr_workgroup_info 0
		.amdhsa_system_vgpr_workitem_id 0
		.amdhsa_next_free_vgpr 29
		.amdhsa_next_free_sgpr 20
		.amdhsa_named_barrier_count 0
		.amdhsa_reserve_vcc 1
		.amdhsa_float_round_mode_32 0
		.amdhsa_float_round_mode_16_64 0
		.amdhsa_float_denorm_mode_32 3
		.amdhsa_float_denorm_mode_16_64 3
		.amdhsa_fp16_overflow 0
		.amdhsa_memory_ordered 1
		.amdhsa_forward_progress 1
		.amdhsa_inst_pref_size 10
		.amdhsa_round_robin_scheduling 0
		.amdhsa_exception_fp_ieee_invalid_op 0
		.amdhsa_exception_fp_denorm_src 0
		.amdhsa_exception_fp_ieee_div_zero 0
		.amdhsa_exception_fp_ieee_overflow 0
		.amdhsa_exception_fp_ieee_underflow 0
		.amdhsa_exception_fp_ieee_inexact 0
		.amdhsa_exception_int_div_zero 0
	.end_amdhsa_kernel
	.section	.text._ZN2at6native29vectorized_elementwise_kernelILi2EZZZNS0_12_GLOBAL__N_116addr_kernel_cudaERNS_14TensorIteratorERKN3c106ScalarES8_ENKUlvE_clEvENKUlvE4_clEvEUldddE0_St5arrayIPcLm4EEEEviT0_T1_,"axG",@progbits,_ZN2at6native29vectorized_elementwise_kernelILi2EZZZNS0_12_GLOBAL__N_116addr_kernel_cudaERNS_14TensorIteratorERKN3c106ScalarES8_ENKUlvE_clEvENKUlvE4_clEvEUldddE0_St5arrayIPcLm4EEEEviT0_T1_,comdat
.Lfunc_end107:
	.size	_ZN2at6native29vectorized_elementwise_kernelILi2EZZZNS0_12_GLOBAL__N_116addr_kernel_cudaERNS_14TensorIteratorERKN3c106ScalarES8_ENKUlvE_clEvENKUlvE4_clEvEUldddE0_St5arrayIPcLm4EEEEviT0_T1_, .Lfunc_end107-_ZN2at6native29vectorized_elementwise_kernelILi2EZZZNS0_12_GLOBAL__N_116addr_kernel_cudaERNS_14TensorIteratorERKN3c106ScalarES8_ENKUlvE_clEvENKUlvE4_clEvEUldddE0_St5arrayIPcLm4EEEEviT0_T1_
                                        ; -- End function
	.set _ZN2at6native29vectorized_elementwise_kernelILi2EZZZNS0_12_GLOBAL__N_116addr_kernel_cudaERNS_14TensorIteratorERKN3c106ScalarES8_ENKUlvE_clEvENKUlvE4_clEvEUldddE0_St5arrayIPcLm4EEEEviT0_T1_.num_vgpr, 29
	.set _ZN2at6native29vectorized_elementwise_kernelILi2EZZZNS0_12_GLOBAL__N_116addr_kernel_cudaERNS_14TensorIteratorERKN3c106ScalarES8_ENKUlvE_clEvENKUlvE4_clEvEUldddE0_St5arrayIPcLm4EEEEviT0_T1_.num_agpr, 0
	.set _ZN2at6native29vectorized_elementwise_kernelILi2EZZZNS0_12_GLOBAL__N_116addr_kernel_cudaERNS_14TensorIteratorERKN3c106ScalarES8_ENKUlvE_clEvENKUlvE4_clEvEUldddE0_St5arrayIPcLm4EEEEviT0_T1_.numbered_sgpr, 20
	.set _ZN2at6native29vectorized_elementwise_kernelILi2EZZZNS0_12_GLOBAL__N_116addr_kernel_cudaERNS_14TensorIteratorERKN3c106ScalarES8_ENKUlvE_clEvENKUlvE4_clEvEUldddE0_St5arrayIPcLm4EEEEviT0_T1_.num_named_barrier, 0
	.set _ZN2at6native29vectorized_elementwise_kernelILi2EZZZNS0_12_GLOBAL__N_116addr_kernel_cudaERNS_14TensorIteratorERKN3c106ScalarES8_ENKUlvE_clEvENKUlvE4_clEvEUldddE0_St5arrayIPcLm4EEEEviT0_T1_.private_seg_size, 0
	.set _ZN2at6native29vectorized_elementwise_kernelILi2EZZZNS0_12_GLOBAL__N_116addr_kernel_cudaERNS_14TensorIteratorERKN3c106ScalarES8_ENKUlvE_clEvENKUlvE4_clEvEUldddE0_St5arrayIPcLm4EEEEviT0_T1_.uses_vcc, 1
	.set _ZN2at6native29vectorized_elementwise_kernelILi2EZZZNS0_12_GLOBAL__N_116addr_kernel_cudaERNS_14TensorIteratorERKN3c106ScalarES8_ENKUlvE_clEvENKUlvE4_clEvEUldddE0_St5arrayIPcLm4EEEEviT0_T1_.uses_flat_scratch, 0
	.set _ZN2at6native29vectorized_elementwise_kernelILi2EZZZNS0_12_GLOBAL__N_116addr_kernel_cudaERNS_14TensorIteratorERKN3c106ScalarES8_ENKUlvE_clEvENKUlvE4_clEvEUldddE0_St5arrayIPcLm4EEEEviT0_T1_.has_dyn_sized_stack, 0
	.set _ZN2at6native29vectorized_elementwise_kernelILi2EZZZNS0_12_GLOBAL__N_116addr_kernel_cudaERNS_14TensorIteratorERKN3c106ScalarES8_ENKUlvE_clEvENKUlvE4_clEvEUldddE0_St5arrayIPcLm4EEEEviT0_T1_.has_recursion, 0
	.set _ZN2at6native29vectorized_elementwise_kernelILi2EZZZNS0_12_GLOBAL__N_116addr_kernel_cudaERNS_14TensorIteratorERKN3c106ScalarES8_ENKUlvE_clEvENKUlvE4_clEvEUldddE0_St5arrayIPcLm4EEEEviT0_T1_.has_indirect_call, 0
	.section	.AMDGPU.csdata,"",@progbits
; Kernel info:
; codeLenInByte = 1212
; TotalNumSgprs: 22
; NumVgprs: 29
; ScratchSize: 0
; MemoryBound: 0
; FloatMode: 240
; IeeeMode: 1
; LDSByteSize: 0 bytes/workgroup (compile time only)
; SGPRBlocks: 0
; VGPRBlocks: 1
; NumSGPRsForWavesPerEU: 22
; NumVGPRsForWavesPerEU: 29
; NamedBarCnt: 0
; Occupancy: 16
; WaveLimiterHint : 1
; COMPUTE_PGM_RSRC2:SCRATCH_EN: 0
; COMPUTE_PGM_RSRC2:USER_SGPR: 2
; COMPUTE_PGM_RSRC2:TRAP_HANDLER: 0
; COMPUTE_PGM_RSRC2:TGID_X_EN: 1
; COMPUTE_PGM_RSRC2:TGID_Y_EN: 0
; COMPUTE_PGM_RSRC2:TGID_Z_EN: 0
; COMPUTE_PGM_RSRC2:TIDIG_COMP_CNT: 0
	.section	.text._ZN2at6native27unrolled_elementwise_kernelIZZZNS0_12_GLOBAL__N_116addr_kernel_cudaERNS_14TensorIteratorERKN3c106ScalarES8_ENKUlvE_clEvENKUlvE4_clEvEUldddE0_St5arrayIPcLm4EELi4E23TrivialOffsetCalculatorILi3EjESF_ILi1EjENS0_6memory15LoadWithoutCastENSI_16StoreWithoutCastEEEviT_T0_T2_T3_T4_T5_,"axG",@progbits,_ZN2at6native27unrolled_elementwise_kernelIZZZNS0_12_GLOBAL__N_116addr_kernel_cudaERNS_14TensorIteratorERKN3c106ScalarES8_ENKUlvE_clEvENKUlvE4_clEvEUldddE0_St5arrayIPcLm4EELi4E23TrivialOffsetCalculatorILi3EjESF_ILi1EjENS0_6memory15LoadWithoutCastENSI_16StoreWithoutCastEEEviT_T0_T2_T3_T4_T5_,comdat
	.globl	_ZN2at6native27unrolled_elementwise_kernelIZZZNS0_12_GLOBAL__N_116addr_kernel_cudaERNS_14TensorIteratorERKN3c106ScalarES8_ENKUlvE_clEvENKUlvE4_clEvEUldddE0_St5arrayIPcLm4EELi4E23TrivialOffsetCalculatorILi3EjESF_ILi1EjENS0_6memory15LoadWithoutCastENSI_16StoreWithoutCastEEEviT_T0_T2_T3_T4_T5_ ; -- Begin function _ZN2at6native27unrolled_elementwise_kernelIZZZNS0_12_GLOBAL__N_116addr_kernel_cudaERNS_14TensorIteratorERKN3c106ScalarES8_ENKUlvE_clEvENKUlvE4_clEvEUldddE0_St5arrayIPcLm4EELi4E23TrivialOffsetCalculatorILi3EjESF_ILi1EjENS0_6memory15LoadWithoutCastENSI_16StoreWithoutCastEEEviT_T0_T2_T3_T4_T5_
	.p2align	8
	.type	_ZN2at6native27unrolled_elementwise_kernelIZZZNS0_12_GLOBAL__N_116addr_kernel_cudaERNS_14TensorIteratorERKN3c106ScalarES8_ENKUlvE_clEvENKUlvE4_clEvEUldddE0_St5arrayIPcLm4EELi4E23TrivialOffsetCalculatorILi3EjESF_ILi1EjENS0_6memory15LoadWithoutCastENSI_16StoreWithoutCastEEEviT_T0_T2_T3_T4_T5_,@function
_ZN2at6native27unrolled_elementwise_kernelIZZZNS0_12_GLOBAL__N_116addr_kernel_cudaERNS_14TensorIteratorERKN3c106ScalarES8_ENKUlvE_clEvENKUlvE4_clEvEUldddE0_St5arrayIPcLm4EELi4E23TrivialOffsetCalculatorILi3EjESF_ILi1EjENS0_6memory15LoadWithoutCastENSI_16StoreWithoutCastEEEviT_T0_T2_T3_T4_T5_: ; @_ZN2at6native27unrolled_elementwise_kernelIZZZNS0_12_GLOBAL__N_116addr_kernel_cudaERNS_14TensorIteratorERKN3c106ScalarES8_ENKUlvE_clEvENKUlvE4_clEvEUldddE0_St5arrayIPcLm4EELi4E23TrivialOffsetCalculatorILi3EjESF_ILi1EjENS0_6memory15LoadWithoutCastENSI_16StoreWithoutCastEEEviT_T0_T2_T3_T4_T5_
; %bb.0:
	s_load_b32 s2, s[0:1], 0x0
	s_bfe_u32 s16, ttmp6, 0x4000c
	s_clause 0x1
	s_load_b256 s[4:11], s[0:1], 0x8
	s_load_b128 s[12:15], s[0:1], 0x28
	s_add_co_i32 s16, s16, 1
	s_and_b32 s3, ttmp6, 15
	s_wait_xcnt 0x0
	s_mul_i32 s0, ttmp9, s16
	s_getreg_b32 s17, hwreg(HW_REG_IB_STS2, 6, 4)
	s_add_co_i32 s3, s3, s0
	s_cmp_eq_u32 s17, 0
	v_mov_b64_e32 v[2:3], 0
	s_cselect_b32 s0, ttmp9, s3
	v_mov_b64_e32 v[4:5], 0
	s_lshl_b32 s1, s0, 10
	v_mov_b64_e32 v[6:7], 0
	v_mov_b64_e32 v[8:9], 0
	v_or_b32_e32 v1, 0x100, v0
	v_dual_mov_b32 v26, v0 :: v_dual_bitop2_b32 v28, s1, v0 bitop3:0x54
	s_wait_kmcnt 0x0
	s_sub_co_i32 s2, s2, s1
	s_delay_alu instid0(SALU_CYCLE_1)
	v_cmp_gt_i32_e32 vcc_lo, s2, v0
	s_and_saveexec_b32 s0, vcc_lo
	s_cbranch_execz .LBB108_2
; %bb.1:
	s_clause 0x2
	global_load_b64 v[4:5], v28, s[10:11] scale_offset
	global_load_b64 v[6:7], v28, s[12:13] scale_offset
	;; [unrolled: 1-line block ×3, first 2 shown]
	v_or_b32_e32 v26, 0x100, v0
.LBB108_2:
	s_wait_xcnt 0x0
	s_or_b32 exec_lo, exec_lo, s0
	v_mov_b64_e32 v[12:13], 0
	v_mov_b64_e32 v[14:15], 0
	s_mov_b32 s3, exec_lo
	v_cmpx_gt_i32_e64 s2, v26
	s_cbranch_execz .LBB108_4
; %bb.3:
	v_add_nc_u32_e32 v10, s1, v26
	v_add_nc_u32_e32 v26, 0x100, v26
	s_clause 0x2
	global_load_b64 v[2:3], v10, s[10:11] scale_offset
	global_load_b64 v[12:13], v10, s[12:13] scale_offset
	;; [unrolled: 1-line block ×3, first 2 shown]
.LBB108_4:
	s_wait_xcnt 0x0
	s_or_b32 exec_lo, exec_lo, s3
	v_mov_b64_e32 v[10:11], 0
	v_mov_b64_e32 v[16:17], 0
	;; [unrolled: 1-line block ×4, first 2 shown]
	s_mov_b32 s3, exec_lo
	v_cmpx_gt_i32_e64 s2, v26
	s_cbranch_execz .LBB108_6
; %bb.5:
	v_add_nc_u32_e32 v22, s1, v26
	v_add_nc_u32_e32 v26, 0x100, v26
	s_clause 0x2
	global_load_b64 v[16:17], v22, s[10:11] scale_offset
	global_load_b64 v[18:19], v22, s[12:13] scale_offset
	;; [unrolled: 1-line block ×3, first 2 shown]
.LBB108_6:
	s_wait_xcnt 0x0
	s_or_b32 exec_lo, exec_lo, s3
	v_mov_b64_e32 v[22:23], 0
	v_mov_b64_e32 v[24:25], 0
	s_mov_b32 s3, exec_lo
	v_cmpx_gt_i32_e64 s2, v26
	s_cbranch_execz .LBB108_8
; %bb.7:
	v_add_nc_u32_e32 v26, s1, v26
	s_clause 0x2
	global_load_b64 v[10:11], v26, s[10:11] scale_offset
	global_load_b64 v[22:23], v26, s[12:13] scale_offset
	;; [unrolled: 1-line block ×3, first 2 shown]
	s_wait_xcnt 0x0
	s_or_b32 exec_lo, exec_lo, s3
                                        ; implicit-def: $vgpr26_vgpr27
	s_and_saveexec_b32 s0, vcc_lo
	s_cbranch_execz .LBB108_10
	s_branch .LBB108_9
.LBB108_8:
	s_or_b32 exec_lo, exec_lo, s3
                                        ; implicit-def: $vgpr26_vgpr27
	s_and_saveexec_b32 s0, vcc_lo
	s_cbranch_execz .LBB108_10
.LBB108_9:
	s_wait_loadcnt 0x1
	v_mul_f64_e32 v[6:7], s[6:7], v[6:7]
	s_wait_loadcnt 0x0
	s_delay_alu instid0(VALU_DEP_1) | instskip(NEXT) | instid1(VALU_DEP_1)
	v_mul_f64_e32 v[26:27], v[6:7], v[8:9]
	v_fmac_f64_e32 v[26:27], s[4:5], v[4:5]
.LBB108_10:
	s_or_b32 exec_lo, exec_lo, s0
	s_delay_alu instid0(SALU_CYCLE_1)
	s_mov_b32 s3, exec_lo
                                        ; implicit-def: $vgpr4_vgpr5
	v_cmpx_gt_i32_e64 s2, v1
	s_cbranch_execz .LBB108_12
; %bb.11:
	s_wait_loadcnt 0x1
	v_mul_f64_e32 v[4:5], s[6:7], v[12:13]
	s_wait_loadcnt 0x0
	s_delay_alu instid0(VALU_DEP_1) | instskip(NEXT) | instid1(VALU_DEP_1)
	v_mul_f64_e32 v[4:5], v[4:5], v[14:15]
	v_fmac_f64_e32 v[4:5], s[4:5], v[2:3]
.LBB108_12:
	s_or_b32 exec_lo, exec_lo, s3
	s_wait_loadcnt 0x2
	v_or_b32_e32 v2, 0x200, v0
	s_delay_alu instid0(VALU_DEP_1)
	v_cmp_gt_i32_e64 s0, s2, v2
                                        ; implicit-def: $vgpr2_vgpr3
	s_and_saveexec_b32 s3, s0
	s_cbranch_execz .LBB108_14
; %bb.13:
	s_wait_loadcnt 0x1
	v_mul_f64_e32 v[2:3], s[6:7], v[18:19]
	s_wait_loadcnt 0x0
	s_delay_alu instid0(VALU_DEP_1) | instskip(NEXT) | instid1(VALU_DEP_1)
	v_mul_f64_e32 v[2:3], v[2:3], v[20:21]
	v_fmac_f64_e32 v[2:3], s[4:5], v[16:17]
.LBB108_14:
	s_or_b32 exec_lo, exec_lo, s3
	s_wait_loadcnt 0x1
	v_or_b32_e32 v6, 0x300, v0
	s_delay_alu instid0(VALU_DEP_1)
	v_cmp_gt_i32_e64 s0, s2, v6
                                        ; implicit-def: $vgpr6_vgpr7
	s_and_saveexec_b32 s3, s0
	s_cbranch_execz .LBB108_20
; %bb.15:
	v_mul_f64_e32 v[6:7], s[6:7], v[22:23]
	s_wait_loadcnt 0x0
	s_delay_alu instid0(VALU_DEP_1) | instskip(NEXT) | instid1(VALU_DEP_1)
	v_mul_f64_e32 v[6:7], v[6:7], v[24:25]
	v_fmac_f64_e32 v[6:7], s[4:5], v[10:11]
	s_or_b32 exec_lo, exec_lo, s3
	s_and_saveexec_b32 s0, vcc_lo
	s_delay_alu instid0(SALU_CYCLE_1)
	s_xor_b32 s0, exec_lo, s0
	s_cbranch_execnz .LBB108_21
.LBB108_16:
	s_or_b32 exec_lo, exec_lo, s0
	s_delay_alu instid0(SALU_CYCLE_1)
	s_mov_b32 s0, exec_lo
	v_cmpx_gt_i32_e64 s2, v0
	s_cbranch_execz .LBB108_22
.LBB108_17:
	v_add_nc_u32_e32 v1, 0x100, v0
	s_wait_loadcnt 0x0
	s_delay_alu instid0(VALU_DEP_1) | instskip(SKIP_3) | instid1(SALU_CYCLE_1)
	v_dual_add_nc_u32 v8, s1, v0 :: v_dual_mov_b32 v0, v1
	global_store_b64 v8, v[4:5], s[8:9] scale_offset
	s_wait_xcnt 0x0
	s_or_b32 exec_lo, exec_lo, s0
	s_mov_b32 s0, exec_lo
	v_cmpx_gt_i32_e64 s2, v0
	s_cbranch_execnz .LBB108_23
.LBB108_18:
	s_or_b32 exec_lo, exec_lo, s0
	s_delay_alu instid0(SALU_CYCLE_1)
	s_mov_b32 s0, exec_lo
	v_cmpx_gt_i32_e64 s2, v0
	s_cbranch_execz .LBB108_24
.LBB108_19:
	v_add_nc_u32_e32 v0, s1, v0
	global_store_b64 v0, v[6:7], s[8:9] scale_offset
	s_endpgm
.LBB108_20:
	s_or_b32 exec_lo, exec_lo, s3
	s_and_saveexec_b32 s0, vcc_lo
	s_delay_alu instid0(SALU_CYCLE_1)
	s_xor_b32 s0, exec_lo, s0
	s_cbranch_execz .LBB108_16
.LBB108_21:
	v_mov_b32_e32 v0, v1
	global_store_b64 v28, v[26:27], s[8:9] scale_offset
	s_wait_xcnt 0x0
	s_or_b32 exec_lo, exec_lo, s0
	s_delay_alu instid0(SALU_CYCLE_1)
	s_mov_b32 s0, exec_lo
	v_cmpx_gt_i32_e64 s2, v0
	s_cbranch_execnz .LBB108_17
.LBB108_22:
	s_or_b32 exec_lo, exec_lo, s0
	s_delay_alu instid0(SALU_CYCLE_1)
	s_mov_b32 s0, exec_lo
	v_cmpx_gt_i32_e64 s2, v0
	s_cbranch_execz .LBB108_18
.LBB108_23:
	v_add_nc_u32_e32 v1, 0x100, v0
	s_delay_alu instid0(VALU_DEP_1) | instskip(SKIP_3) | instid1(SALU_CYCLE_1)
	v_dual_add_nc_u32 v4, s1, v0 :: v_dual_mov_b32 v0, v1
	global_store_b64 v4, v[2:3], s[8:9] scale_offset
	s_wait_xcnt 0x0
	s_or_b32 exec_lo, exec_lo, s0
	s_mov_b32 s0, exec_lo
	v_cmpx_gt_i32_e64 s2, v0
	s_cbranch_execnz .LBB108_19
.LBB108_24:
	s_endpgm
	.section	.rodata,"a",@progbits
	.p2align	6, 0x0
	.amdhsa_kernel _ZN2at6native27unrolled_elementwise_kernelIZZZNS0_12_GLOBAL__N_116addr_kernel_cudaERNS_14TensorIteratorERKN3c106ScalarES8_ENKUlvE_clEvENKUlvE4_clEvEUldddE0_St5arrayIPcLm4EELi4E23TrivialOffsetCalculatorILi3EjESF_ILi1EjENS0_6memory15LoadWithoutCastENSI_16StoreWithoutCastEEEviT_T0_T2_T3_T4_T5_
		.amdhsa_group_segment_fixed_size 0
		.amdhsa_private_segment_fixed_size 0
		.amdhsa_kernarg_size 60
		.amdhsa_user_sgpr_count 2
		.amdhsa_user_sgpr_dispatch_ptr 0
		.amdhsa_user_sgpr_queue_ptr 0
		.amdhsa_user_sgpr_kernarg_segment_ptr 1
		.amdhsa_user_sgpr_dispatch_id 0
		.amdhsa_user_sgpr_kernarg_preload_length 0
		.amdhsa_user_sgpr_kernarg_preload_offset 0
		.amdhsa_user_sgpr_private_segment_size 0
		.amdhsa_wavefront_size32 1
		.amdhsa_uses_dynamic_stack 0
		.amdhsa_enable_private_segment 0
		.amdhsa_system_sgpr_workgroup_id_x 1
		.amdhsa_system_sgpr_workgroup_id_y 0
		.amdhsa_system_sgpr_workgroup_id_z 0
		.amdhsa_system_sgpr_workgroup_info 0
		.amdhsa_system_vgpr_workitem_id 0
		.amdhsa_next_free_vgpr 29
		.amdhsa_next_free_sgpr 18
		.amdhsa_named_barrier_count 0
		.amdhsa_reserve_vcc 1
		.amdhsa_float_round_mode_32 0
		.amdhsa_float_round_mode_16_64 0
		.amdhsa_float_denorm_mode_32 3
		.amdhsa_float_denorm_mode_16_64 3
		.amdhsa_fp16_overflow 0
		.amdhsa_memory_ordered 1
		.amdhsa_forward_progress 1
		.amdhsa_inst_pref_size 8
		.amdhsa_round_robin_scheduling 0
		.amdhsa_exception_fp_ieee_invalid_op 0
		.amdhsa_exception_fp_denorm_src 0
		.amdhsa_exception_fp_ieee_div_zero 0
		.amdhsa_exception_fp_ieee_overflow 0
		.amdhsa_exception_fp_ieee_underflow 0
		.amdhsa_exception_fp_ieee_inexact 0
		.amdhsa_exception_int_div_zero 0
	.end_amdhsa_kernel
	.section	.text._ZN2at6native27unrolled_elementwise_kernelIZZZNS0_12_GLOBAL__N_116addr_kernel_cudaERNS_14TensorIteratorERKN3c106ScalarES8_ENKUlvE_clEvENKUlvE4_clEvEUldddE0_St5arrayIPcLm4EELi4E23TrivialOffsetCalculatorILi3EjESF_ILi1EjENS0_6memory15LoadWithoutCastENSI_16StoreWithoutCastEEEviT_T0_T2_T3_T4_T5_,"axG",@progbits,_ZN2at6native27unrolled_elementwise_kernelIZZZNS0_12_GLOBAL__N_116addr_kernel_cudaERNS_14TensorIteratorERKN3c106ScalarES8_ENKUlvE_clEvENKUlvE4_clEvEUldddE0_St5arrayIPcLm4EELi4E23TrivialOffsetCalculatorILi3EjESF_ILi1EjENS0_6memory15LoadWithoutCastENSI_16StoreWithoutCastEEEviT_T0_T2_T3_T4_T5_,comdat
.Lfunc_end108:
	.size	_ZN2at6native27unrolled_elementwise_kernelIZZZNS0_12_GLOBAL__N_116addr_kernel_cudaERNS_14TensorIteratorERKN3c106ScalarES8_ENKUlvE_clEvENKUlvE4_clEvEUldddE0_St5arrayIPcLm4EELi4E23TrivialOffsetCalculatorILi3EjESF_ILi1EjENS0_6memory15LoadWithoutCastENSI_16StoreWithoutCastEEEviT_T0_T2_T3_T4_T5_, .Lfunc_end108-_ZN2at6native27unrolled_elementwise_kernelIZZZNS0_12_GLOBAL__N_116addr_kernel_cudaERNS_14TensorIteratorERKN3c106ScalarES8_ENKUlvE_clEvENKUlvE4_clEvEUldddE0_St5arrayIPcLm4EELi4E23TrivialOffsetCalculatorILi3EjESF_ILi1EjENS0_6memory15LoadWithoutCastENSI_16StoreWithoutCastEEEviT_T0_T2_T3_T4_T5_
                                        ; -- End function
	.set _ZN2at6native27unrolled_elementwise_kernelIZZZNS0_12_GLOBAL__N_116addr_kernel_cudaERNS_14TensorIteratorERKN3c106ScalarES8_ENKUlvE_clEvENKUlvE4_clEvEUldddE0_St5arrayIPcLm4EELi4E23TrivialOffsetCalculatorILi3EjESF_ILi1EjENS0_6memory15LoadWithoutCastENSI_16StoreWithoutCastEEEviT_T0_T2_T3_T4_T5_.num_vgpr, 29
	.set _ZN2at6native27unrolled_elementwise_kernelIZZZNS0_12_GLOBAL__N_116addr_kernel_cudaERNS_14TensorIteratorERKN3c106ScalarES8_ENKUlvE_clEvENKUlvE4_clEvEUldddE0_St5arrayIPcLm4EELi4E23TrivialOffsetCalculatorILi3EjESF_ILi1EjENS0_6memory15LoadWithoutCastENSI_16StoreWithoutCastEEEviT_T0_T2_T3_T4_T5_.num_agpr, 0
	.set _ZN2at6native27unrolled_elementwise_kernelIZZZNS0_12_GLOBAL__N_116addr_kernel_cudaERNS_14TensorIteratorERKN3c106ScalarES8_ENKUlvE_clEvENKUlvE4_clEvEUldddE0_St5arrayIPcLm4EELi4E23TrivialOffsetCalculatorILi3EjESF_ILi1EjENS0_6memory15LoadWithoutCastENSI_16StoreWithoutCastEEEviT_T0_T2_T3_T4_T5_.numbered_sgpr, 18
	.set _ZN2at6native27unrolled_elementwise_kernelIZZZNS0_12_GLOBAL__N_116addr_kernel_cudaERNS_14TensorIteratorERKN3c106ScalarES8_ENKUlvE_clEvENKUlvE4_clEvEUldddE0_St5arrayIPcLm4EELi4E23TrivialOffsetCalculatorILi3EjESF_ILi1EjENS0_6memory15LoadWithoutCastENSI_16StoreWithoutCastEEEviT_T0_T2_T3_T4_T5_.num_named_barrier, 0
	.set _ZN2at6native27unrolled_elementwise_kernelIZZZNS0_12_GLOBAL__N_116addr_kernel_cudaERNS_14TensorIteratorERKN3c106ScalarES8_ENKUlvE_clEvENKUlvE4_clEvEUldddE0_St5arrayIPcLm4EELi4E23TrivialOffsetCalculatorILi3EjESF_ILi1EjENS0_6memory15LoadWithoutCastENSI_16StoreWithoutCastEEEviT_T0_T2_T3_T4_T5_.private_seg_size, 0
	.set _ZN2at6native27unrolled_elementwise_kernelIZZZNS0_12_GLOBAL__N_116addr_kernel_cudaERNS_14TensorIteratorERKN3c106ScalarES8_ENKUlvE_clEvENKUlvE4_clEvEUldddE0_St5arrayIPcLm4EELi4E23TrivialOffsetCalculatorILi3EjESF_ILi1EjENS0_6memory15LoadWithoutCastENSI_16StoreWithoutCastEEEviT_T0_T2_T3_T4_T5_.uses_vcc, 1
	.set _ZN2at6native27unrolled_elementwise_kernelIZZZNS0_12_GLOBAL__N_116addr_kernel_cudaERNS_14TensorIteratorERKN3c106ScalarES8_ENKUlvE_clEvENKUlvE4_clEvEUldddE0_St5arrayIPcLm4EELi4E23TrivialOffsetCalculatorILi3EjESF_ILi1EjENS0_6memory15LoadWithoutCastENSI_16StoreWithoutCastEEEviT_T0_T2_T3_T4_T5_.uses_flat_scratch, 0
	.set _ZN2at6native27unrolled_elementwise_kernelIZZZNS0_12_GLOBAL__N_116addr_kernel_cudaERNS_14TensorIteratorERKN3c106ScalarES8_ENKUlvE_clEvENKUlvE4_clEvEUldddE0_St5arrayIPcLm4EELi4E23TrivialOffsetCalculatorILi3EjESF_ILi1EjENS0_6memory15LoadWithoutCastENSI_16StoreWithoutCastEEEviT_T0_T2_T3_T4_T5_.has_dyn_sized_stack, 0
	.set _ZN2at6native27unrolled_elementwise_kernelIZZZNS0_12_GLOBAL__N_116addr_kernel_cudaERNS_14TensorIteratorERKN3c106ScalarES8_ENKUlvE_clEvENKUlvE4_clEvEUldddE0_St5arrayIPcLm4EELi4E23TrivialOffsetCalculatorILi3EjESF_ILi1EjENS0_6memory15LoadWithoutCastENSI_16StoreWithoutCastEEEviT_T0_T2_T3_T4_T5_.has_recursion, 0
	.set _ZN2at6native27unrolled_elementwise_kernelIZZZNS0_12_GLOBAL__N_116addr_kernel_cudaERNS_14TensorIteratorERKN3c106ScalarES8_ENKUlvE_clEvENKUlvE4_clEvEUldddE0_St5arrayIPcLm4EELi4E23TrivialOffsetCalculatorILi3EjESF_ILi1EjENS0_6memory15LoadWithoutCastENSI_16StoreWithoutCastEEEviT_T0_T2_T3_T4_T5_.has_indirect_call, 0
	.section	.AMDGPU.csdata,"",@progbits
; Kernel info:
; codeLenInByte = 956
; TotalNumSgprs: 20
; NumVgprs: 29
; ScratchSize: 0
; MemoryBound: 0
; FloatMode: 240
; IeeeMode: 1
; LDSByteSize: 0 bytes/workgroup (compile time only)
; SGPRBlocks: 0
; VGPRBlocks: 1
; NumSGPRsForWavesPerEU: 20
; NumVGPRsForWavesPerEU: 29
; NamedBarCnt: 0
; Occupancy: 16
; WaveLimiterHint : 0
; COMPUTE_PGM_RSRC2:SCRATCH_EN: 0
; COMPUTE_PGM_RSRC2:USER_SGPR: 2
; COMPUTE_PGM_RSRC2:TRAP_HANDLER: 0
; COMPUTE_PGM_RSRC2:TGID_X_EN: 1
; COMPUTE_PGM_RSRC2:TGID_Y_EN: 0
; COMPUTE_PGM_RSRC2:TGID_Z_EN: 0
; COMPUTE_PGM_RSRC2:TIDIG_COMP_CNT: 0
	.section	.text._ZN2at6native32elementwise_kernel_manual_unrollILi128ELi4EZNS0_22gpu_kernel_impl_nocastIZZZNS0_12_GLOBAL__N_116addr_kernel_cudaERNS_14TensorIteratorERKN3c106ScalarES9_ENKUlvE_clEvENKUlvE4_clEvEUldddE0_EEvRNS_18TensorIteratorBaseERKT_EUlibE_EEviT1_,"axG",@progbits,_ZN2at6native32elementwise_kernel_manual_unrollILi128ELi4EZNS0_22gpu_kernel_impl_nocastIZZZNS0_12_GLOBAL__N_116addr_kernel_cudaERNS_14TensorIteratorERKN3c106ScalarES9_ENKUlvE_clEvENKUlvE4_clEvEUldddE0_EEvRNS_18TensorIteratorBaseERKT_EUlibE_EEviT1_,comdat
	.globl	_ZN2at6native32elementwise_kernel_manual_unrollILi128ELi4EZNS0_22gpu_kernel_impl_nocastIZZZNS0_12_GLOBAL__N_116addr_kernel_cudaERNS_14TensorIteratorERKN3c106ScalarES9_ENKUlvE_clEvENKUlvE4_clEvEUldddE0_EEvRNS_18TensorIteratorBaseERKT_EUlibE_EEviT1_ ; -- Begin function _ZN2at6native32elementwise_kernel_manual_unrollILi128ELi4EZNS0_22gpu_kernel_impl_nocastIZZZNS0_12_GLOBAL__N_116addr_kernel_cudaERNS_14TensorIteratorERKN3c106ScalarES9_ENKUlvE_clEvENKUlvE4_clEvEUldddE0_EEvRNS_18TensorIteratorBaseERKT_EUlibE_EEviT1_
	.p2align	8
	.type	_ZN2at6native32elementwise_kernel_manual_unrollILi128ELi4EZNS0_22gpu_kernel_impl_nocastIZZZNS0_12_GLOBAL__N_116addr_kernel_cudaERNS_14TensorIteratorERKN3c106ScalarES9_ENKUlvE_clEvENKUlvE4_clEvEUldddE0_EEvRNS_18TensorIteratorBaseERKT_EUlibE_EEviT1_,@function
_ZN2at6native32elementwise_kernel_manual_unrollILi128ELi4EZNS0_22gpu_kernel_impl_nocastIZZZNS0_12_GLOBAL__N_116addr_kernel_cudaERNS_14TensorIteratorERKN3c106ScalarES9_ENKUlvE_clEvENKUlvE4_clEvEUldddE0_EEvRNS_18TensorIteratorBaseERKT_EUlibE_EEviT1_: ; @_ZN2at6native32elementwise_kernel_manual_unrollILi128ELi4EZNS0_22gpu_kernel_impl_nocastIZZZNS0_12_GLOBAL__N_116addr_kernel_cudaERNS_14TensorIteratorERKN3c106ScalarES9_ENKUlvE_clEvENKUlvE4_clEvEUldddE0_EEvRNS_18TensorIteratorBaseERKT_EUlibE_EEviT1_
; %bb.0:
	s_clause 0x1
	s_load_b32 s33, s[0:1], 0x8
	s_load_b32 s43, s[0:1], 0x0
	s_bfe_u32 s2, ttmp6, 0x4000c
	s_and_b32 s3, ttmp6, 15
	s_add_co_i32 s2, s2, 1
	s_getreg_b32 s4, hwreg(HW_REG_IB_STS2, 6, 4)
	s_mul_i32 s2, ttmp9, s2
	s_add_nc_u64 s[24:25], s[0:1], 8
	s_add_co_i32 s3, s3, s2
	s_cmp_eq_u32 s4, 0
	s_mov_b32 s29, 0
	s_cselect_b32 s2, ttmp9, s3
	s_wait_xcnt 0x0
	s_mov_b32 s0, exec_lo
	v_lshl_or_b32 v0, s2, 9, v0
	s_delay_alu instid0(VALU_DEP_1) | instskip(SKIP_2) | instid1(SALU_CYCLE_1)
	v_or_b32_e32 v5, 0x180, v0
	s_wait_kmcnt 0x0
	s_add_co_i32 s38, s33, -1
	s_cmp_gt_u32 s38, 1
	s_cselect_b32 s39, -1, 0
	v_cmpx_le_i32_e64 s43, v5
	s_xor_b32 s40, exec_lo, s0
	s_cbranch_execz .LBB109_54
; %bb.1:
	s_clause 0x4
	s_load_b128 s[20:23], s[24:25], 0x4
	s_load_b64 s[26:27], s[24:25], 0x14
	s_load_b256 s[8:15], s[24:25], 0xc4
	s_load_b128 s[16:19], s[24:25], 0x1e8
	s_load_b256 s[0:7], s[24:25], 0x1c8
	s_cmp_lg_u32 s33, 0
	s_mov_b32 s31, s29
	s_cselect_b32 s44, -1, 0
	s_min_u32 s42, s38, 15
	s_cmp_gt_u32 s33, 1
	s_cselect_b32 s41, -1, 0
	s_wait_kmcnt 0x0
	s_mov_b32 s28, s21
	s_mov_b32 s30, s26
	s_mov_b32 s21, exec_lo
	v_cmpx_gt_i32_e64 s43, v0
	s_cbranch_execnz .LBB109_5
; %bb.2:
	s_or_b32 exec_lo, exec_lo, s21
	s_delay_alu instid0(SALU_CYCLE_1)
	s_mov_b32 s21, exec_lo
	v_cmpx_gt_i32_e64 s43, v0
	s_cbranch_execnz .LBB109_17
.LBB109_3:
	s_or_b32 exec_lo, exec_lo, s21
	s_delay_alu instid0(SALU_CYCLE_1)
	s_mov_b32 s21, exec_lo
	v_cmpx_gt_i32_e64 s43, v0
	s_cbranch_execnz .LBB109_29
.LBB109_4:
	s_or_b32 exec_lo, exec_lo, s21
	s_delay_alu instid0(SALU_CYCLE_1)
	s_mov_b32 s21, exec_lo
	v_cmpx_gt_i32_e64 s43, v0
	s_cbranch_execnz .LBB109_41
	s_branch .LBB109_53
.LBB109_5:
	s_and_not1_b32 vcc_lo, exec_lo, s39
	s_cbranch_vccnz .LBB109_11
; %bb.6:
	s_and_not1_b32 vcc_lo, exec_lo, s44
	s_cbranch_vccnz .LBB109_12
; %bb.7:
	v_dual_mov_b32 v6, 0 :: v_dual_mov_b32 v1, v0
	v_dual_mov_b32 v7, 0 :: v_dual_mov_b32 v4, 0
	v_mov_b32_e32 v5, 0
	s_add_co_i32 s26, s42, 1
	s_mov_b64 s[34:35], 0xffffffffffffffe0
	s_and_b32 s26, s26, 30
	s_add_nc_u64 s[34:35], s[24:25], s[34:35]
	s_mov_b64 s[36:37], s[24:25]
.LBB109_8:                              ; =>This Inner Loop Header: Depth=1
	s_clause 0x1
	s_load_b128 s[56:59], s[36:37], 0x4
	s_load_b64 s[46:47], s[36:37], 0x14
	s_load_b256 s[48:55], s[34:35], 0xe4
	s_add_co_i32 s26, s26, -2
	s_wait_xcnt 0x0
	s_add_nc_u64 s[36:37], s[36:37], 24
	s_cmp_lg_u32 s26, 0
	s_add_nc_u64 s[34:35], s[34:35], 32
	s_wait_kmcnt 0x0
	v_mul_hi_u32 v2, s57, v1
	s_delay_alu instid0(VALU_DEP_1) | instskip(NEXT) | instid1(VALU_DEP_1)
	v_add_nc_u32_e32 v2, v1, v2
	v_lshrrev_b32_e32 v2, s58, v2
	s_delay_alu instid0(VALU_DEP_1) | instskip(SKIP_1) | instid1(VALU_DEP_1)
	v_mul_hi_u32 v3, s46, v2
	v_mul_lo_u32 v8, v2, s56
	v_dual_add_nc_u32 v3, v2, v3 :: v_dual_sub_nc_u32 v8, v1, v8
	s_delay_alu instid0(VALU_DEP_1) | instskip(NEXT) | instid1(VALU_DEP_2)
	v_lshrrev_b32_e32 v1, s47, v3
	v_mad_u32 v5, v8, s49, v5
	v_mad_u32 v4, v8, s48, v4
	;; [unrolled: 1-line block ×4, first 2 shown]
	v_mul_lo_u32 v3, v1, s59
	s_delay_alu instid0(VALU_DEP_1) | instskip(NEXT) | instid1(VALU_DEP_1)
	v_sub_nc_u32_e32 v2, v2, v3
	v_mad_u32 v5, v2, s53, v5
	v_mad_u32 v4, v2, s52, v4
	v_mad_u32 v7, v2, s55, v7
	v_mad_u32 v6, v2, s54, v6
	s_cbranch_scc1 .LBB109_8
; %bb.9:
	s_bitcmp1_b32 s42, 0
	s_cselect_b32 s26, -1, 0
	s_delay_alu instid0(SALU_CYCLE_1)
	s_and_b32 vcc_lo, exec_lo, s26
	s_cbranch_vccnz .LBB109_13
; %bb.10:
	s_load_b96 s[52:54], s[36:37], 0x4
	s_load_b128 s[48:51], s[34:35], 0xe4
	s_wait_kmcnt 0x0
	v_mul_hi_u32 v2, s53, v1
	s_delay_alu instid0(VALU_DEP_1) | instskip(NEXT) | instid1(VALU_DEP_1)
	v_add_nc_u32_e32 v2, v1, v2
	v_lshrrev_b32_e32 v2, s54, v2
	s_delay_alu instid0(VALU_DEP_1) | instskip(NEXT) | instid1(VALU_DEP_1)
	v_mul_lo_u32 v2, v2, s52
	v_sub_nc_u32_e32 v1, v1, v2
	s_delay_alu instid0(VALU_DEP_1)
	v_mad_u32 v4, v1, s48, v4
	v_mad_u32 v5, v1, s49, v5
	;; [unrolled: 1-line block ×4, first 2 shown]
	s_cbranch_execz .LBB109_14
	s_branch .LBB109_16
.LBB109_11:
                                        ; implicit-def: $vgpr5
                                        ; implicit-def: $vgpr4
                                        ; implicit-def: $vgpr7
                                        ; implicit-def: $vgpr6
	s_branch .LBB109_14
.LBB109_12:
	v_dual_mov_b32 v5, 0 :: v_dual_mov_b32 v4, 0
	v_dual_mov_b32 v7, 0 :: v_dual_mov_b32 v6, 0
.LBB109_13:
	s_cbranch_execnz .LBB109_16
.LBB109_14:
	v_mov_b32_e32 v1, 0
	s_and_not1_b32 vcc_lo, exec_lo, s41
	s_delay_alu instid0(VALU_DEP_1) | instskip(NEXT) | instid1(VALU_DEP_1)
	v_mul_u64_e32 v[2:3], s[28:29], v[0:1]
	v_add_nc_u32_e32 v2, v0, v3
	s_delay_alu instid0(VALU_DEP_1) | instskip(NEXT) | instid1(VALU_DEP_1)
	v_lshrrev_b32_e32 v2, s22, v2
	v_mul_lo_u32 v3, v2, s20
	s_delay_alu instid0(VALU_DEP_1) | instskip(NEXT) | instid1(VALU_DEP_1)
	v_sub_nc_u32_e32 v3, v0, v3
	v_mul_lo_u32 v5, v3, s9
	v_mul_lo_u32 v4, v3, s8
	;; [unrolled: 1-line block ×4, first 2 shown]
	s_cbranch_vccnz .LBB109_16
; %bb.15:
	v_mov_b32_e32 v3, v1
	s_delay_alu instid0(VALU_DEP_1) | instskip(NEXT) | instid1(VALU_DEP_1)
	v_mul_u64_e32 v[8:9], s[30:31], v[2:3]
	v_add_nc_u32_e32 v1, v2, v9
	s_delay_alu instid0(VALU_DEP_1) | instskip(NEXT) | instid1(VALU_DEP_1)
	v_lshrrev_b32_e32 v1, s27, v1
	v_mul_lo_u32 v1, v1, s23
	s_delay_alu instid0(VALU_DEP_1) | instskip(NEXT) | instid1(VALU_DEP_1)
	v_sub_nc_u32_e32 v1, v2, v1
	v_mad_u32 v4, v1, s12, v4
	v_mad_u32 v5, v1, s13, v5
	;; [unrolled: 1-line block ×4, first 2 shown]
.LBB109_16:
	global_load_b64 v[2:3], v6, s[4:5]
	global_load_b64 v[8:9], v7, s[6:7]
	;; [unrolled: 1-line block ×3, first 2 shown]
	v_add_nc_u32_e32 v0, 0x80, v0
	s_wait_loadcnt 0x2
	v_mul_f64_e32 v[2:3], s[18:19], v[2:3]
	s_wait_loadcnt 0x1
	s_delay_alu instid0(VALU_DEP_1) | instskip(SKIP_1) | instid1(VALU_DEP_1)
	v_mul_f64_e32 v[2:3], v[2:3], v[8:9]
	s_wait_loadcnt 0x0
	v_fmac_f64_e32 v[2:3], s[16:17], v[10:11]
	global_store_b64 v4, v[2:3], s[0:1]
	s_wait_xcnt 0x0
	s_or_b32 exec_lo, exec_lo, s21
	s_delay_alu instid0(SALU_CYCLE_1)
	s_mov_b32 s21, exec_lo
	v_cmpx_gt_i32_e64 s43, v0
	s_cbranch_execz .LBB109_3
.LBB109_17:
	s_and_not1_b32 vcc_lo, exec_lo, s39
	s_cbranch_vccnz .LBB109_23
; %bb.18:
	s_and_not1_b32 vcc_lo, exec_lo, s44
	s_cbranch_vccnz .LBB109_24
; %bb.19:
	v_dual_mov_b32 v5, 0 :: v_dual_mov_b32 v1, v0
	v_dual_mov_b32 v7, 0 :: v_dual_mov_b32 v4, 0
	v_mov_b32_e32 v6, 0
	s_add_co_i32 s26, s42, 1
	s_mov_b64 s[34:35], 0xffffffffffffffe0
	s_and_b32 s26, s26, 30
	s_add_nc_u64 s[34:35], s[24:25], s[34:35]
	s_mov_b64 s[36:37], s[24:25]
.LBB109_20:                             ; =>This Inner Loop Header: Depth=1
	s_clause 0x1
	s_load_b128 s[56:59], s[36:37], 0x4
	s_load_b64 s[46:47], s[36:37], 0x14
	s_load_b256 s[48:55], s[34:35], 0xe4
	s_add_co_i32 s26, s26, -2
	s_wait_xcnt 0x0
	s_add_nc_u64 s[36:37], s[36:37], 24
	s_cmp_eq_u32 s26, 0
	s_add_nc_u64 s[34:35], s[34:35], 32
	s_wait_kmcnt 0x0
	v_mul_hi_u32 v2, s57, v1
	s_delay_alu instid0(VALU_DEP_1) | instskip(NEXT) | instid1(VALU_DEP_1)
	v_add_nc_u32_e32 v2, v1, v2
	v_lshrrev_b32_e32 v2, s58, v2
	s_delay_alu instid0(VALU_DEP_1) | instskip(SKIP_1) | instid1(VALU_DEP_1)
	v_mul_hi_u32 v3, s46, v2
	v_mul_lo_u32 v8, v2, s56
	v_dual_add_nc_u32 v3, v2, v3 :: v_dual_sub_nc_u32 v8, v1, v8
	s_delay_alu instid0(VALU_DEP_1) | instskip(NEXT) | instid1(VALU_DEP_2)
	v_lshrrev_b32_e32 v1, s47, v3
	v_mad_u32 v6, v8, s49, v6
	v_mad_u32 v4, v8, s48, v4
	;; [unrolled: 1-line block ×4, first 2 shown]
	v_mul_lo_u32 v3, v1, s59
	s_delay_alu instid0(VALU_DEP_1) | instskip(NEXT) | instid1(VALU_DEP_1)
	v_sub_nc_u32_e32 v2, v2, v3
	v_mad_u32 v6, v2, s53, v6
	v_mad_u32 v4, v2, s52, v4
	;; [unrolled: 1-line block ×4, first 2 shown]
	s_cbranch_scc0 .LBB109_20
; %bb.21:
	s_bitcmp1_b32 s42, 0
	s_cselect_b32 s26, -1, 0
	s_delay_alu instid0(SALU_CYCLE_1)
	s_and_b32 vcc_lo, exec_lo, s26
	s_cbranch_vccnz .LBB109_25
; %bb.22:
	s_load_b96 s[52:54], s[36:37], 0x4
	s_load_b128 s[48:51], s[34:35], 0xe4
	s_wait_kmcnt 0x0
	v_mul_hi_u32 v2, s53, v1
	s_delay_alu instid0(VALU_DEP_1) | instskip(NEXT) | instid1(VALU_DEP_1)
	v_add_nc_u32_e32 v2, v1, v2
	v_lshrrev_b32_e32 v2, s54, v2
	s_delay_alu instid0(VALU_DEP_1) | instskip(NEXT) | instid1(VALU_DEP_1)
	v_mul_lo_u32 v2, v2, s52
	v_sub_nc_u32_e32 v1, v1, v2
	s_delay_alu instid0(VALU_DEP_1)
	v_mad_u32 v4, v1, s48, v4
	v_mad_u32 v6, v1, s49, v6
	;; [unrolled: 1-line block ×4, first 2 shown]
	s_branch .LBB109_25
.LBB109_23:
                                        ; implicit-def: $vgpr6
                                        ; implicit-def: $vgpr4
                                        ; implicit-def: $vgpr7
                                        ; implicit-def: $vgpr5
	s_branch .LBB109_26
.LBB109_24:
	v_dual_mov_b32 v6, 0 :: v_dual_mov_b32 v4, 0
	v_dual_mov_b32 v7, 0 :: v_dual_mov_b32 v5, 0
.LBB109_25:
	s_cbranch_execnz .LBB109_28
.LBB109_26:
	v_mov_b32_e32 v1, 0
	s_and_not1_b32 vcc_lo, exec_lo, s41
	s_delay_alu instid0(VALU_DEP_1) | instskip(NEXT) | instid1(VALU_DEP_1)
	v_mul_u64_e32 v[2:3], s[28:29], v[0:1]
	v_add_nc_u32_e32 v2, v0, v3
	s_delay_alu instid0(VALU_DEP_1) | instskip(NEXT) | instid1(VALU_DEP_1)
	v_lshrrev_b32_e32 v2, s22, v2
	v_mul_lo_u32 v3, v2, s20
	s_delay_alu instid0(VALU_DEP_1) | instskip(NEXT) | instid1(VALU_DEP_1)
	v_sub_nc_u32_e32 v3, v0, v3
	v_mul_lo_u32 v6, v3, s9
	v_mul_lo_u32 v4, v3, s8
	;; [unrolled: 1-line block ×4, first 2 shown]
	s_cbranch_vccnz .LBB109_28
; %bb.27:
	v_mov_b32_e32 v3, v1
	s_delay_alu instid0(VALU_DEP_1) | instskip(NEXT) | instid1(VALU_DEP_1)
	v_mul_u64_e32 v[8:9], s[30:31], v[2:3]
	v_add_nc_u32_e32 v1, v2, v9
	s_delay_alu instid0(VALU_DEP_1) | instskip(NEXT) | instid1(VALU_DEP_1)
	v_lshrrev_b32_e32 v1, s27, v1
	v_mul_lo_u32 v1, v1, s23
	s_delay_alu instid0(VALU_DEP_1) | instskip(NEXT) | instid1(VALU_DEP_1)
	v_sub_nc_u32_e32 v1, v2, v1
	v_mad_u32 v4, v1, s12, v4
	v_mad_u32 v6, v1, s13, v6
	;; [unrolled: 1-line block ×4, first 2 shown]
.LBB109_28:
	global_load_b64 v[2:3], v5, s[4:5]
	global_load_b64 v[8:9], v7, s[6:7]
	;; [unrolled: 1-line block ×3, first 2 shown]
	v_add_nc_u32_e32 v0, 0x80, v0
	s_wait_loadcnt 0x2
	v_mul_f64_e32 v[2:3], s[18:19], v[2:3]
	s_wait_loadcnt 0x1
	s_delay_alu instid0(VALU_DEP_1) | instskip(SKIP_1) | instid1(VALU_DEP_1)
	v_mul_f64_e32 v[2:3], v[2:3], v[8:9]
	s_wait_loadcnt 0x0
	v_fmac_f64_e32 v[2:3], s[16:17], v[10:11]
	global_store_b64 v4, v[2:3], s[0:1]
	s_wait_xcnt 0x0
	s_or_b32 exec_lo, exec_lo, s21
	s_delay_alu instid0(SALU_CYCLE_1)
	s_mov_b32 s21, exec_lo
	v_cmpx_gt_i32_e64 s43, v0
	s_cbranch_execz .LBB109_4
.LBB109_29:
	s_and_not1_b32 vcc_lo, exec_lo, s39
	s_cbranch_vccnz .LBB109_35
; %bb.30:
	s_and_not1_b32 vcc_lo, exec_lo, s44
	s_cbranch_vccnz .LBB109_36
; %bb.31:
	v_dual_mov_b32 v6, 0 :: v_dual_mov_b32 v1, v0
	v_dual_mov_b32 v7, 0 :: v_dual_mov_b32 v4, 0
	v_mov_b32_e32 v5, 0
	s_add_co_i32 s26, s42, 1
	s_mov_b64 s[34:35], 0xffffffffffffffe0
	s_and_b32 s26, s26, 30
	s_add_nc_u64 s[34:35], s[24:25], s[34:35]
	s_mov_b64 s[36:37], s[24:25]
.LBB109_32:                             ; =>This Inner Loop Header: Depth=1
	s_clause 0x1
	s_load_b128 s[56:59], s[36:37], 0x4
	s_load_b64 s[46:47], s[36:37], 0x14
	s_load_b256 s[48:55], s[34:35], 0xe4
	s_add_co_i32 s26, s26, -2
	s_wait_xcnt 0x0
	s_add_nc_u64 s[36:37], s[36:37], 24
	s_cmp_eq_u32 s26, 0
	s_add_nc_u64 s[34:35], s[34:35], 32
	s_wait_kmcnt 0x0
	v_mul_hi_u32 v2, s57, v1
	s_delay_alu instid0(VALU_DEP_1) | instskip(NEXT) | instid1(VALU_DEP_1)
	v_add_nc_u32_e32 v2, v1, v2
	v_lshrrev_b32_e32 v2, s58, v2
	s_delay_alu instid0(VALU_DEP_1) | instskip(SKIP_1) | instid1(VALU_DEP_1)
	v_mul_hi_u32 v3, s46, v2
	v_mul_lo_u32 v8, v2, s56
	v_dual_add_nc_u32 v3, v2, v3 :: v_dual_sub_nc_u32 v8, v1, v8
	s_delay_alu instid0(VALU_DEP_1) | instskip(NEXT) | instid1(VALU_DEP_2)
	v_lshrrev_b32_e32 v1, s47, v3
	v_mad_u32 v5, v8, s49, v5
	v_mad_u32 v4, v8, s48, v4
	;; [unrolled: 1-line block ×4, first 2 shown]
	v_mul_lo_u32 v3, v1, s59
	s_delay_alu instid0(VALU_DEP_1) | instskip(NEXT) | instid1(VALU_DEP_1)
	v_sub_nc_u32_e32 v2, v2, v3
	v_mad_u32 v5, v2, s53, v5
	v_mad_u32 v4, v2, s52, v4
	;; [unrolled: 1-line block ×4, first 2 shown]
	s_cbranch_scc0 .LBB109_32
; %bb.33:
	s_bitcmp1_b32 s42, 0
	s_cselect_b32 s26, -1, 0
	s_delay_alu instid0(SALU_CYCLE_1)
	s_and_b32 vcc_lo, exec_lo, s26
	s_cbranch_vccnz .LBB109_37
; %bb.34:
	s_load_b96 s[52:54], s[36:37], 0x4
	s_load_b128 s[48:51], s[34:35], 0xe4
	s_wait_kmcnt 0x0
	v_mul_hi_u32 v2, s53, v1
	s_delay_alu instid0(VALU_DEP_1) | instskip(NEXT) | instid1(VALU_DEP_1)
	v_add_nc_u32_e32 v2, v1, v2
	v_lshrrev_b32_e32 v2, s54, v2
	s_delay_alu instid0(VALU_DEP_1) | instskip(NEXT) | instid1(VALU_DEP_1)
	v_mul_lo_u32 v2, v2, s52
	v_sub_nc_u32_e32 v1, v1, v2
	s_delay_alu instid0(VALU_DEP_1)
	v_mad_u32 v4, v1, s48, v4
	v_mad_u32 v5, v1, s49, v5
	;; [unrolled: 1-line block ×4, first 2 shown]
	s_branch .LBB109_37
.LBB109_35:
                                        ; implicit-def: $vgpr5
                                        ; implicit-def: $vgpr4
                                        ; implicit-def: $vgpr7
                                        ; implicit-def: $vgpr6
	s_branch .LBB109_38
.LBB109_36:
	v_dual_mov_b32 v5, 0 :: v_dual_mov_b32 v4, 0
	v_dual_mov_b32 v7, 0 :: v_dual_mov_b32 v6, 0
.LBB109_37:
	s_cbranch_execnz .LBB109_40
.LBB109_38:
	v_mov_b32_e32 v1, 0
	s_and_not1_b32 vcc_lo, exec_lo, s41
	s_delay_alu instid0(VALU_DEP_1) | instskip(NEXT) | instid1(VALU_DEP_1)
	v_mul_u64_e32 v[2:3], s[28:29], v[0:1]
	v_add_nc_u32_e32 v2, v0, v3
	s_delay_alu instid0(VALU_DEP_1) | instskip(NEXT) | instid1(VALU_DEP_1)
	v_lshrrev_b32_e32 v2, s22, v2
	v_mul_lo_u32 v3, v2, s20
	s_delay_alu instid0(VALU_DEP_1) | instskip(NEXT) | instid1(VALU_DEP_1)
	v_sub_nc_u32_e32 v3, v0, v3
	v_mul_lo_u32 v5, v3, s9
	v_mul_lo_u32 v4, v3, s8
	;; [unrolled: 1-line block ×4, first 2 shown]
	s_cbranch_vccnz .LBB109_40
; %bb.39:
	v_mov_b32_e32 v3, v1
	s_delay_alu instid0(VALU_DEP_1) | instskip(NEXT) | instid1(VALU_DEP_1)
	v_mul_u64_e32 v[8:9], s[30:31], v[2:3]
	v_add_nc_u32_e32 v1, v2, v9
	s_delay_alu instid0(VALU_DEP_1) | instskip(NEXT) | instid1(VALU_DEP_1)
	v_lshrrev_b32_e32 v1, s27, v1
	v_mul_lo_u32 v1, v1, s23
	s_delay_alu instid0(VALU_DEP_1) | instskip(NEXT) | instid1(VALU_DEP_1)
	v_sub_nc_u32_e32 v1, v2, v1
	v_mad_u32 v4, v1, s12, v4
	v_mad_u32 v5, v1, s13, v5
	;; [unrolled: 1-line block ×4, first 2 shown]
.LBB109_40:
	global_load_b64 v[2:3], v6, s[4:5]
	global_load_b64 v[8:9], v7, s[6:7]
	;; [unrolled: 1-line block ×3, first 2 shown]
	v_add_nc_u32_e32 v0, 0x80, v0
	s_wait_loadcnt 0x2
	v_mul_f64_e32 v[2:3], s[18:19], v[2:3]
	s_wait_loadcnt 0x1
	s_delay_alu instid0(VALU_DEP_1) | instskip(SKIP_1) | instid1(VALU_DEP_1)
	v_mul_f64_e32 v[2:3], v[2:3], v[8:9]
	s_wait_loadcnt 0x0
	v_fmac_f64_e32 v[2:3], s[16:17], v[10:11]
	global_store_b64 v4, v[2:3], s[0:1]
	s_wait_xcnt 0x0
	s_or_b32 exec_lo, exec_lo, s21
	s_delay_alu instid0(SALU_CYCLE_1)
	s_mov_b32 s21, exec_lo
	v_cmpx_gt_i32_e64 s43, v0
	s_cbranch_execz .LBB109_53
.LBB109_41:
	s_and_not1_b32 vcc_lo, exec_lo, s39
	s_cbranch_vccnz .LBB109_47
; %bb.42:
	s_and_not1_b32 vcc_lo, exec_lo, s44
	s_cbranch_vccnz .LBB109_48
; %bb.43:
	v_dual_mov_b32 v5, 0 :: v_dual_mov_b32 v1, v0
	v_dual_mov_b32 v7, 0 :: v_dual_mov_b32 v4, 0
	v_mov_b32_e32 v6, 0
	s_add_co_i32 s26, s42, 1
	s_mov_b64 s[34:35], 0xffffffffffffffe0
	s_and_b32 s26, s26, 30
	s_add_nc_u64 s[34:35], s[24:25], s[34:35]
	s_mov_b64 s[36:37], s[24:25]
.LBB109_44:                             ; =>This Inner Loop Header: Depth=1
	s_clause 0x1
	s_load_b128 s[52:55], s[36:37], 0x4
	s_load_b64 s[56:57], s[36:37], 0x14
	s_load_b256 s[44:51], s[34:35], 0xe4
	s_add_co_i32 s26, s26, -2
	s_wait_xcnt 0x0
	s_add_nc_u64 s[36:37], s[36:37], 24
	s_cmp_eq_u32 s26, 0
	s_add_nc_u64 s[34:35], s[34:35], 32
	s_wait_kmcnt 0x0
	v_mul_hi_u32 v2, s53, v1
	s_delay_alu instid0(VALU_DEP_1) | instskip(NEXT) | instid1(VALU_DEP_1)
	v_add_nc_u32_e32 v2, v1, v2
	v_lshrrev_b32_e32 v2, s54, v2
	s_delay_alu instid0(VALU_DEP_1) | instskip(SKIP_1) | instid1(VALU_DEP_1)
	v_mul_hi_u32 v3, s56, v2
	v_mul_lo_u32 v8, v2, s52
	v_dual_add_nc_u32 v3, v2, v3 :: v_dual_sub_nc_u32 v8, v1, v8
	s_delay_alu instid0(VALU_DEP_1) | instskip(NEXT) | instid1(VALU_DEP_2)
	v_lshrrev_b32_e32 v1, s57, v3
	v_mad_u32 v6, v8, s45, v6
	v_mad_u32 v4, v8, s44, v4
	;; [unrolled: 1-line block ×4, first 2 shown]
	v_mul_lo_u32 v3, v1, s55
	s_delay_alu instid0(VALU_DEP_1) | instskip(NEXT) | instid1(VALU_DEP_1)
	v_sub_nc_u32_e32 v2, v2, v3
	v_mad_u32 v6, v2, s49, v6
	v_mad_u32 v4, v2, s48, v4
	;; [unrolled: 1-line block ×4, first 2 shown]
	s_cbranch_scc0 .LBB109_44
; %bb.45:
	s_bitcmp1_b32 s42, 0
	s_cselect_b32 s26, -1, 0
	s_delay_alu instid0(SALU_CYCLE_1)
	s_and_b32 vcc_lo, exec_lo, s26
	s_cbranch_vccnz .LBB109_49
; %bb.46:
	s_load_b96 s[48:50], s[36:37], 0x4
	s_load_b128 s[44:47], s[34:35], 0xe4
	s_wait_kmcnt 0x0
	v_mul_hi_u32 v2, s49, v1
	s_delay_alu instid0(VALU_DEP_1) | instskip(NEXT) | instid1(VALU_DEP_1)
	v_add_nc_u32_e32 v2, v1, v2
	v_lshrrev_b32_e32 v2, s50, v2
	s_delay_alu instid0(VALU_DEP_1) | instskip(NEXT) | instid1(VALU_DEP_1)
	v_mul_lo_u32 v2, v2, s48
	v_sub_nc_u32_e32 v1, v1, v2
	s_delay_alu instid0(VALU_DEP_1)
	v_mad_u32 v4, v1, s44, v4
	v_mad_u32 v6, v1, s45, v6
	;; [unrolled: 1-line block ×4, first 2 shown]
	s_branch .LBB109_49
.LBB109_47:
                                        ; implicit-def: $vgpr6
                                        ; implicit-def: $vgpr4
                                        ; implicit-def: $vgpr7
                                        ; implicit-def: $vgpr5
	s_branch .LBB109_50
.LBB109_48:
	v_dual_mov_b32 v6, 0 :: v_dual_mov_b32 v4, 0
	v_dual_mov_b32 v7, 0 :: v_dual_mov_b32 v5, 0
.LBB109_49:
	s_cbranch_execnz .LBB109_52
.LBB109_50:
	v_mov_b32_e32 v1, 0
	s_and_not1_b32 vcc_lo, exec_lo, s41
	s_delay_alu instid0(VALU_DEP_1) | instskip(NEXT) | instid1(VALU_DEP_1)
	v_mul_u64_e32 v[2:3], s[28:29], v[0:1]
	v_add_nc_u32_e32 v2, v0, v3
	s_delay_alu instid0(VALU_DEP_1) | instskip(NEXT) | instid1(VALU_DEP_1)
	v_lshrrev_b32_e32 v2, s22, v2
	v_mul_lo_u32 v3, v2, s20
	s_delay_alu instid0(VALU_DEP_1) | instskip(NEXT) | instid1(VALU_DEP_1)
	v_sub_nc_u32_e32 v0, v0, v3
	v_mul_lo_u32 v6, v0, s9
	v_mul_lo_u32 v4, v0, s8
	;; [unrolled: 1-line block ×4, first 2 shown]
	s_cbranch_vccnz .LBB109_52
; %bb.51:
	v_mov_b32_e32 v3, v1
	s_delay_alu instid0(VALU_DEP_1) | instskip(NEXT) | instid1(VALU_DEP_1)
	v_mul_u64_e32 v[0:1], s[30:31], v[2:3]
	v_add_nc_u32_e32 v0, v2, v1
	s_delay_alu instid0(VALU_DEP_1) | instskip(NEXT) | instid1(VALU_DEP_1)
	v_lshrrev_b32_e32 v0, s27, v0
	v_mul_lo_u32 v0, v0, s23
	s_delay_alu instid0(VALU_DEP_1) | instskip(NEXT) | instid1(VALU_DEP_1)
	v_sub_nc_u32_e32 v0, v2, v0
	v_mad_u32 v4, v0, s12, v4
	v_mad_u32 v6, v0, s13, v6
	;; [unrolled: 1-line block ×4, first 2 shown]
.LBB109_52:
	global_load_b64 v[0:1], v5, s[4:5]
	global_load_b64 v[2:3], v7, s[6:7]
	;; [unrolled: 1-line block ×3, first 2 shown]
	s_wait_loadcnt 0x2
	v_mul_f64_e32 v[0:1], s[18:19], v[0:1]
	s_wait_loadcnt 0x1
	s_delay_alu instid0(VALU_DEP_1) | instskip(SKIP_1) | instid1(VALU_DEP_1)
	v_mul_f64_e32 v[0:1], v[0:1], v[2:3]
	s_wait_loadcnt 0x0
	v_fmac_f64_e32 v[0:1], s[16:17], v[8:9]
	global_store_b64 v4, v[0:1], s[0:1]
.LBB109_53:
	s_wait_xcnt 0x0
	s_or_b32 exec_lo, exec_lo, s21
                                        ; implicit-def: $vgpr5
                                        ; implicit-def: $vgpr0
.LBB109_54:
	s_and_not1_saveexec_b32 s0, s40
	s_cbranch_execz .LBB109_61
; %bb.55:
	v_cndmask_b32_e64 v9, 0, 1, s39
	s_and_not1_b32 vcc_lo, exec_lo, s39
	s_cbranch_vccnz .LBB109_62
; %bb.56:
	s_cmp_lg_u32 s33, 0
	s_mov_b32 s4, 0
	s_cbranch_scc0 .LBB109_66
; %bb.57:
	s_min_u32 s5, s38, 15
	v_dual_mov_b32 v4, 0 :: v_dual_mov_b32 v6, v0
	v_dual_mov_b32 v3, 0 :: v_dual_mov_b32 v1, 0
	v_mov_b32_e32 v2, 0
	s_add_co_i32 s2, s5, 1
	s_mov_b64 s[0:1], 0xffffffffffffffe0
	s_and_b32 s6, s2, 30
	s_add_nc_u64 s[0:1], s[24:25], s[0:1]
	s_mov_b64 s[2:3], s[24:25]
.LBB109_58:                             ; =>This Inner Loop Header: Depth=1
	s_clause 0x1
	s_load_b128 s[16:19], s[2:3], 0x4
	s_load_b64 s[20:21], s[2:3], 0x14
	s_load_b256 s[8:15], s[0:1], 0xe4
	s_add_co_i32 s6, s6, -2
	s_wait_xcnt 0x0
	s_add_nc_u64 s[2:3], s[2:3], 24
	s_cmp_lg_u32 s6, 0
	s_add_nc_u64 s[0:1], s[0:1], 32
	s_wait_kmcnt 0x0
	v_mul_hi_u32 v7, s17, v6
	s_delay_alu instid0(VALU_DEP_1) | instskip(NEXT) | instid1(VALU_DEP_1)
	v_add_nc_u32_e32 v7, v6, v7
	v_lshrrev_b32_e32 v7, s18, v7
	s_delay_alu instid0(VALU_DEP_1) | instskip(SKIP_1) | instid1(VALU_DEP_1)
	v_mul_hi_u32 v8, s20, v7
	v_mul_lo_u32 v10, v7, s16
	v_dual_add_nc_u32 v8, v7, v8 :: v_dual_sub_nc_u32 v10, v6, v10
	s_delay_alu instid0(VALU_DEP_1) | instskip(NEXT) | instid1(VALU_DEP_2)
	v_lshrrev_b32_e32 v6, s21, v8
	v_mad_u32 v2, v10, s9, v2
	v_mad_u32 v1, v10, s8, v1
	v_mad_u32 v3, v10, s11, v3
	v_mad_u32 v4, v10, s10, v4
	v_mul_lo_u32 v8, v6, s19
	s_delay_alu instid0(VALU_DEP_1) | instskip(NEXT) | instid1(VALU_DEP_1)
	v_sub_nc_u32_e32 v7, v7, v8
	v_mad_u32 v2, v7, s13, v2
	v_mad_u32 v1, v7, s12, v1
	;; [unrolled: 1-line block ×4, first 2 shown]
	s_cbranch_scc1 .LBB109_58
; %bb.59:
	s_bitcmp1_b32 s5, 0
	s_cselect_b32 s5, -1, 0
	s_delay_alu instid0(SALU_CYCLE_1)
	s_and_b32 vcc_lo, exec_lo, s5
	s_cbranch_vccnz .LBB109_63
; %bb.60:
	s_load_b96 s[12:14], s[2:3], 0x4
	s_load_b128 s[8:11], s[0:1], 0xe4
	s_wait_kmcnt 0x0
	v_mul_hi_u32 v7, s13, v6
	s_delay_alu instid0(VALU_DEP_1) | instskip(NEXT) | instid1(VALU_DEP_1)
	v_add_nc_u32_e32 v7, v6, v7
	v_lshrrev_b32_e32 v7, s14, v7
	s_delay_alu instid0(VALU_DEP_1) | instskip(NEXT) | instid1(VALU_DEP_1)
	v_mul_lo_u32 v7, v7, s12
	v_sub_nc_u32_e32 v6, v6, v7
	s_delay_alu instid0(VALU_DEP_1)
	v_mad_u32 v1, v6, s8, v1
	v_mad_u32 v2, v6, s9, v2
	;; [unrolled: 1-line block ×4, first 2 shown]
	s_and_not1_b32 vcc_lo, exec_lo, s4
	s_cbranch_vccz .LBB109_64
	s_branch .LBB109_67
.LBB109_61:
	s_endpgm
.LBB109_62:
	s_mov_b32 s4, -1
                                        ; implicit-def: $vgpr2
                                        ; implicit-def: $vgpr1
                                        ; implicit-def: $vgpr3
                                        ; implicit-def: $vgpr4
.LBB109_63:
	s_delay_alu instid0(SALU_CYCLE_1)
	s_and_not1_b32 vcc_lo, exec_lo, s4
	s_cbranch_vccnz .LBB109_67
.LBB109_64:
	s_clause 0x1
	s_load_b96 s[4:6], s[24:25], 0x4
	s_load_b128 s[0:3], s[24:25], 0xc4
	s_cmp_lt_u32 s33, 2
	s_wait_kmcnt 0x0
	v_mul_hi_u32 v1, s5, v0
	s_delay_alu instid0(VALU_DEP_1) | instskip(NEXT) | instid1(VALU_DEP_1)
	v_add_nc_u32_e32 v1, v0, v1
	v_lshrrev_b32_e32 v6, s6, v1
	s_delay_alu instid0(VALU_DEP_1) | instskip(NEXT) | instid1(VALU_DEP_1)
	v_mul_lo_u32 v1, v6, s4
	v_sub_nc_u32_e32 v4, v0, v1
	s_delay_alu instid0(VALU_DEP_1)
	v_mul_lo_u32 v2, v4, s1
	v_mul_lo_u32 v1, v4, s0
	;; [unrolled: 1-line block ×4, first 2 shown]
	s_cbranch_scc1 .LBB109_67
; %bb.65:
	s_clause 0x1
	s_load_b96 s[4:6], s[24:25], 0x10
	s_load_b128 s[0:3], s[24:25], 0xd4
	s_wait_kmcnt 0x0
	v_mul_hi_u32 v7, s5, v6
	s_delay_alu instid0(VALU_DEP_1) | instskip(NEXT) | instid1(VALU_DEP_1)
	v_add_nc_u32_e32 v7, v6, v7
	v_lshrrev_b32_e32 v7, s6, v7
	s_delay_alu instid0(VALU_DEP_1) | instskip(NEXT) | instid1(VALU_DEP_1)
	v_mul_lo_u32 v7, v7, s4
	v_sub_nc_u32_e32 v6, v6, v7
	s_delay_alu instid0(VALU_DEP_1)
	v_mad_u32 v1, v6, s0, v1
	v_mad_u32 v2, v6, s1, v2
	;; [unrolled: 1-line block ×4, first 2 shown]
	s_branch .LBB109_67
.LBB109_66:
	v_dual_mov_b32 v2, 0 :: v_dual_mov_b32 v1, 0
	v_dual_mov_b32 v3, 0 :: v_dual_mov_b32 v4, 0
	s_and_not1_b32 vcc_lo, exec_lo, s4
	s_cbranch_vccz .LBB109_64
.LBB109_67:
	v_cmp_ne_u32_e32 vcc_lo, 1, v9
	v_add_nc_u32_e32 v11, 0x80, v0
	s_cbranch_vccnz .LBB109_73
; %bb.68:
	s_cmp_lg_u32 s33, 0
	s_mov_b32 s4, 0
	s_cbranch_scc0 .LBB109_77
; %bb.69:
	s_min_u32 s5, s38, 15
	v_dual_mov_b32 v10, 0 :: v_dual_mov_b32 v12, v11
	v_dual_mov_b32 v8, 0 :: v_dual_mov_b32 v6, 0
	v_mov_b32_e32 v7, 0
	s_add_co_i32 s2, s5, 1
	s_mov_b64 s[0:1], 0xffffffffffffffe0
	s_and_b32 s6, s2, 30
	s_add_nc_u64 s[0:1], s[24:25], s[0:1]
	s_mov_b64 s[2:3], s[24:25]
.LBB109_70:                             ; =>This Inner Loop Header: Depth=1
	s_clause 0x1
	s_load_b128 s[16:19], s[2:3], 0x4
	s_load_b64 s[20:21], s[2:3], 0x14
	s_load_b256 s[8:15], s[0:1], 0xe4
	s_add_co_i32 s6, s6, -2
	s_wait_xcnt 0x0
	s_add_nc_u64 s[2:3], s[2:3], 24
	s_cmp_lg_u32 s6, 0
	s_add_nc_u64 s[0:1], s[0:1], 32
	s_wait_kmcnt 0x0
	v_mul_hi_u32 v13, s17, v12
	s_delay_alu instid0(VALU_DEP_1) | instskip(NEXT) | instid1(VALU_DEP_1)
	v_add_nc_u32_e32 v13, v12, v13
	v_lshrrev_b32_e32 v13, s18, v13
	s_delay_alu instid0(VALU_DEP_1) | instskip(SKIP_1) | instid1(VALU_DEP_1)
	v_mul_hi_u32 v14, s20, v13
	v_mul_lo_u32 v15, v13, s16
	v_dual_add_nc_u32 v14, v13, v14 :: v_dual_sub_nc_u32 v15, v12, v15
	s_delay_alu instid0(VALU_DEP_1) | instskip(NEXT) | instid1(VALU_DEP_2)
	v_lshrrev_b32_e32 v12, s21, v14
	v_mad_u32 v7, v15, s9, v7
	v_mad_u32 v6, v15, s8, v6
	;; [unrolled: 1-line block ×4, first 2 shown]
	v_mul_lo_u32 v14, v12, s19
	s_delay_alu instid0(VALU_DEP_1) | instskip(NEXT) | instid1(VALU_DEP_1)
	v_sub_nc_u32_e32 v13, v13, v14
	v_mad_u32 v7, v13, s13, v7
	v_mad_u32 v6, v13, s12, v6
	;; [unrolled: 1-line block ×4, first 2 shown]
	s_cbranch_scc1 .LBB109_70
; %bb.71:
	s_bitcmp1_b32 s5, 0
	s_cselect_b32 s5, -1, 0
	s_delay_alu instid0(SALU_CYCLE_1)
	s_and_b32 vcc_lo, exec_lo, s5
	s_cbranch_vccnz .LBB109_74
; %bb.72:
	s_load_b96 s[12:14], s[2:3], 0x4
	s_load_b128 s[8:11], s[0:1], 0xe4
	s_wait_kmcnt 0x0
	v_mul_hi_u32 v13, s13, v12
	s_delay_alu instid0(VALU_DEP_1) | instskip(NEXT) | instid1(VALU_DEP_1)
	v_add_nc_u32_e32 v13, v12, v13
	v_lshrrev_b32_e32 v13, s14, v13
	s_delay_alu instid0(VALU_DEP_1) | instskip(NEXT) | instid1(VALU_DEP_1)
	v_mul_lo_u32 v13, v13, s12
	v_sub_nc_u32_e32 v12, v12, v13
	s_delay_alu instid0(VALU_DEP_1)
	v_mad_u32 v6, v12, s8, v6
	v_mad_u32 v7, v12, s9, v7
	v_mad_u32 v10, v12, s10, v10
	v_mad_u32 v8, v12, s11, v8
	s_and_not1_b32 vcc_lo, exec_lo, s4
	s_cbranch_vccz .LBB109_75
	s_branch .LBB109_78
.LBB109_73:
	s_mov_b32 s4, -1
                                        ; implicit-def: $vgpr7
                                        ; implicit-def: $vgpr6
                                        ; implicit-def: $vgpr8
                                        ; implicit-def: $vgpr10
.LBB109_74:
	s_delay_alu instid0(SALU_CYCLE_1)
	s_and_not1_b32 vcc_lo, exec_lo, s4
	s_cbranch_vccnz .LBB109_78
.LBB109_75:
	s_clause 0x1
	s_load_b96 s[4:6], s[24:25], 0x4
	s_load_b128 s[0:3], s[24:25], 0xc4
	s_cmp_lt_u32 s33, 2
	s_wait_kmcnt 0x0
	v_mul_hi_u32 v6, s5, v11
	s_delay_alu instid0(VALU_DEP_1) | instskip(NEXT) | instid1(VALU_DEP_1)
	v_add_nc_u32_e32 v6, v11, v6
	v_lshrrev_b32_e32 v12, s6, v6
	s_delay_alu instid0(VALU_DEP_1) | instskip(NEXT) | instid1(VALU_DEP_1)
	v_mul_lo_u32 v6, v12, s4
	v_sub_nc_u32_e32 v10, v11, v6
	s_delay_alu instid0(VALU_DEP_1)
	v_mul_lo_u32 v7, v10, s1
	v_mul_lo_u32 v6, v10, s0
	;; [unrolled: 1-line block ×4, first 2 shown]
	s_cbranch_scc1 .LBB109_78
; %bb.76:
	s_clause 0x1
	s_load_b96 s[4:6], s[24:25], 0x10
	s_load_b128 s[0:3], s[24:25], 0xd4
	s_wait_kmcnt 0x0
	v_mul_hi_u32 v11, s5, v12
	s_delay_alu instid0(VALU_DEP_1) | instskip(NEXT) | instid1(VALU_DEP_1)
	v_add_nc_u32_e32 v11, v12, v11
	v_lshrrev_b32_e32 v11, s6, v11
	s_delay_alu instid0(VALU_DEP_1) | instskip(NEXT) | instid1(VALU_DEP_1)
	v_mul_lo_u32 v11, v11, s4
	v_sub_nc_u32_e32 v11, v12, v11
	s_delay_alu instid0(VALU_DEP_1)
	v_mad_u32 v6, v11, s0, v6
	v_mad_u32 v7, v11, s1, v7
	;; [unrolled: 1-line block ×4, first 2 shown]
	s_branch .LBB109_78
.LBB109_77:
	v_dual_mov_b32 v7, 0 :: v_dual_mov_b32 v6, 0
	v_dual_mov_b32 v8, 0 :: v_dual_mov_b32 v10, 0
	s_and_not1_b32 vcc_lo, exec_lo, s4
	s_cbranch_vccz .LBB109_75
.LBB109_78:
	v_cmp_ne_u32_e32 vcc_lo, 1, v9
	v_add_nc_u32_e32 v14, 0x100, v0
	s_cbranch_vccnz .LBB109_84
; %bb.79:
	s_cmp_lg_u32 s33, 0
	s_mov_b32 s4, 0
	s_cbranch_scc0 .LBB109_88
; %bb.80:
	s_min_u32 s5, s38, 15
	v_dual_mov_b32 v12, 0 :: v_dual_mov_b32 v15, v14
	v_dual_mov_b32 v13, 0 :: v_dual_mov_b32 v0, 0
	v_mov_b32_e32 v11, 0
	s_add_co_i32 s2, s5, 1
	s_mov_b64 s[0:1], 0xffffffffffffffe0
	s_and_b32 s6, s2, 30
	s_add_nc_u64 s[0:1], s[24:25], s[0:1]
	s_mov_b64 s[2:3], s[24:25]
.LBB109_81:                             ; =>This Inner Loop Header: Depth=1
	s_clause 0x1
	s_load_b128 s[16:19], s[2:3], 0x4
	s_load_b64 s[20:21], s[2:3], 0x14
	s_load_b256 s[8:15], s[0:1], 0xe4
	s_add_co_i32 s6, s6, -2
	s_wait_xcnt 0x0
	s_add_nc_u64 s[2:3], s[2:3], 24
	s_cmp_lg_u32 s6, 0
	s_add_nc_u64 s[0:1], s[0:1], 32
	s_wait_kmcnt 0x0
	v_mul_hi_u32 v16, s17, v15
	s_delay_alu instid0(VALU_DEP_1) | instskip(NEXT) | instid1(VALU_DEP_1)
	v_add_nc_u32_e32 v16, v15, v16
	v_lshrrev_b32_e32 v16, s18, v16
	s_delay_alu instid0(VALU_DEP_1) | instskip(SKIP_1) | instid1(VALU_DEP_1)
	v_mul_hi_u32 v17, s20, v16
	v_mul_lo_u32 v18, v16, s16
	v_dual_add_nc_u32 v17, v16, v17 :: v_dual_sub_nc_u32 v18, v15, v18
	s_delay_alu instid0(VALU_DEP_1) | instskip(NEXT) | instid1(VALU_DEP_2)
	v_lshrrev_b32_e32 v15, s21, v17
	v_mad_u32 v11, v18, s9, v11
	v_mad_u32 v0, v18, s8, v0
	;; [unrolled: 1-line block ×4, first 2 shown]
	v_mul_lo_u32 v17, v15, s19
	s_delay_alu instid0(VALU_DEP_1) | instskip(NEXT) | instid1(VALU_DEP_1)
	v_sub_nc_u32_e32 v16, v16, v17
	v_mad_u32 v11, v16, s13, v11
	v_mad_u32 v0, v16, s12, v0
	;; [unrolled: 1-line block ×4, first 2 shown]
	s_cbranch_scc1 .LBB109_81
; %bb.82:
	s_bitcmp1_b32 s5, 0
	s_cselect_b32 s5, -1, 0
	s_delay_alu instid0(SALU_CYCLE_1)
	s_and_b32 vcc_lo, exec_lo, s5
	s_cbranch_vccnz .LBB109_85
; %bb.83:
	s_load_b96 s[12:14], s[2:3], 0x4
	s_load_b128 s[8:11], s[0:1], 0xe4
	s_wait_kmcnt 0x0
	v_mul_hi_u32 v16, s13, v15
	s_delay_alu instid0(VALU_DEP_1) | instskip(NEXT) | instid1(VALU_DEP_1)
	v_add_nc_u32_e32 v16, v15, v16
	v_lshrrev_b32_e32 v16, s14, v16
	s_delay_alu instid0(VALU_DEP_1) | instskip(NEXT) | instid1(VALU_DEP_1)
	v_mul_lo_u32 v16, v16, s12
	v_sub_nc_u32_e32 v15, v15, v16
	s_delay_alu instid0(VALU_DEP_1)
	v_mad_u32 v0, v15, s8, v0
	v_mad_u32 v11, v15, s9, v11
	;; [unrolled: 1-line block ×4, first 2 shown]
	s_and_not1_b32 vcc_lo, exec_lo, s4
	s_cbranch_vccz .LBB109_86
	s_branch .LBB109_89
.LBB109_84:
	s_mov_b32 s4, -1
                                        ; implicit-def: $vgpr11
                                        ; implicit-def: $vgpr0
                                        ; implicit-def: $vgpr13
                                        ; implicit-def: $vgpr12
.LBB109_85:
	s_delay_alu instid0(SALU_CYCLE_1)
	s_and_not1_b32 vcc_lo, exec_lo, s4
	s_cbranch_vccnz .LBB109_89
.LBB109_86:
	s_clause 0x1
	s_load_b96 s[4:6], s[24:25], 0x4
	s_load_b128 s[0:3], s[24:25], 0xc4
	s_cmp_lt_u32 s33, 2
	s_wait_kmcnt 0x0
	v_mul_hi_u32 v0, s5, v14
	s_delay_alu instid0(VALU_DEP_1) | instskip(NEXT) | instid1(VALU_DEP_1)
	v_add_nc_u32_e32 v0, v14, v0
	v_lshrrev_b32_e32 v15, s6, v0
	s_delay_alu instid0(VALU_DEP_1) | instskip(NEXT) | instid1(VALU_DEP_1)
	v_mul_lo_u32 v0, v15, s4
	v_sub_nc_u32_e32 v12, v14, v0
	s_delay_alu instid0(VALU_DEP_1)
	v_mul_lo_u32 v11, v12, s1
	v_mul_lo_u32 v0, v12, s0
	;; [unrolled: 1-line block ×4, first 2 shown]
	s_cbranch_scc1 .LBB109_89
; %bb.87:
	s_clause 0x1
	s_load_b96 s[4:6], s[24:25], 0x10
	s_load_b128 s[0:3], s[24:25], 0xd4
	s_wait_kmcnt 0x0
	v_mul_hi_u32 v14, s5, v15
	s_delay_alu instid0(VALU_DEP_1) | instskip(NEXT) | instid1(VALU_DEP_1)
	v_add_nc_u32_e32 v14, v15, v14
	v_lshrrev_b32_e32 v14, s6, v14
	s_delay_alu instid0(VALU_DEP_1) | instskip(NEXT) | instid1(VALU_DEP_1)
	v_mul_lo_u32 v14, v14, s4
	v_sub_nc_u32_e32 v14, v15, v14
	s_delay_alu instid0(VALU_DEP_1)
	v_mad_u32 v0, v14, s0, v0
	v_mad_u32 v11, v14, s1, v11
	;; [unrolled: 1-line block ×4, first 2 shown]
	s_branch .LBB109_89
.LBB109_88:
	v_dual_mov_b32 v11, 0 :: v_dual_mov_b32 v0, 0
	v_dual_mov_b32 v13, 0 :: v_dual_mov_b32 v12, 0
	s_and_not1_b32 vcc_lo, exec_lo, s4
	s_cbranch_vccz .LBB109_86
.LBB109_89:
	v_cmp_ne_u32_e32 vcc_lo, 1, v9
	s_cbranch_vccnz .LBB109_95
; %bb.90:
	s_cmp_lg_u32 s33, 0
	s_mov_b32 s4, 0
	s_cbranch_scc0 .LBB109_99
; %bb.91:
	s_min_u32 s5, s38, 15
	v_dual_mov_b32 v14, 0 :: v_dual_mov_b32 v17, v5
	v_dual_mov_b32 v16, 0 :: v_dual_mov_b32 v9, 0
	v_mov_b32_e32 v15, 0
	s_add_co_i32 s2, s5, 1
	s_mov_b64 s[0:1], 0xffffffffffffffe0
	s_and_b32 s6, s2, 30
	s_add_nc_u64 s[0:1], s[24:25], s[0:1]
	s_mov_b64 s[2:3], s[24:25]
.LBB109_92:                             ; =>This Inner Loop Header: Depth=1
	s_clause 0x1
	s_load_b128 s[16:19], s[2:3], 0x4
	s_load_b64 s[20:21], s[2:3], 0x14
	s_load_b256 s[8:15], s[0:1], 0xe4
	s_add_co_i32 s6, s6, -2
	s_wait_xcnt 0x0
	s_add_nc_u64 s[2:3], s[2:3], 24
	s_cmp_lg_u32 s6, 0
	s_add_nc_u64 s[0:1], s[0:1], 32
	s_wait_kmcnt 0x0
	v_mul_hi_u32 v18, s17, v17
	s_delay_alu instid0(VALU_DEP_1) | instskip(NEXT) | instid1(VALU_DEP_1)
	v_add_nc_u32_e32 v18, v17, v18
	v_lshrrev_b32_e32 v18, s18, v18
	s_delay_alu instid0(VALU_DEP_1) | instskip(SKIP_1) | instid1(VALU_DEP_1)
	v_mul_hi_u32 v19, s20, v18
	v_mul_lo_u32 v20, v18, s16
	v_dual_add_nc_u32 v19, v18, v19 :: v_dual_sub_nc_u32 v20, v17, v20
	s_delay_alu instid0(VALU_DEP_1) | instskip(NEXT) | instid1(VALU_DEP_2)
	v_lshrrev_b32_e32 v17, s21, v19
	v_mad_u32 v15, v20, s9, v15
	v_mad_u32 v9, v20, s8, v9
	;; [unrolled: 1-line block ×4, first 2 shown]
	v_mul_lo_u32 v19, v17, s19
	s_delay_alu instid0(VALU_DEP_1) | instskip(NEXT) | instid1(VALU_DEP_1)
	v_sub_nc_u32_e32 v18, v18, v19
	v_mad_u32 v15, v18, s13, v15
	v_mad_u32 v9, v18, s12, v9
	v_mad_u32 v16, v18, s15, v16
	v_mad_u32 v14, v18, s14, v14
	s_cbranch_scc1 .LBB109_92
; %bb.93:
	s_bitcmp1_b32 s5, 0
	s_cselect_b32 s5, -1, 0
	s_delay_alu instid0(SALU_CYCLE_1)
	s_and_b32 vcc_lo, exec_lo, s5
	s_cbranch_vccnz .LBB109_96
; %bb.94:
	s_load_b96 s[12:14], s[2:3], 0x4
	s_load_b128 s[8:11], s[0:1], 0xe4
	s_wait_kmcnt 0x0
	v_mul_hi_u32 v18, s13, v17
	s_delay_alu instid0(VALU_DEP_1) | instskip(NEXT) | instid1(VALU_DEP_1)
	v_add_nc_u32_e32 v18, v17, v18
	v_lshrrev_b32_e32 v18, s14, v18
	s_delay_alu instid0(VALU_DEP_1) | instskip(NEXT) | instid1(VALU_DEP_1)
	v_mul_lo_u32 v18, v18, s12
	v_sub_nc_u32_e32 v17, v17, v18
	s_delay_alu instid0(VALU_DEP_1)
	v_mad_u32 v9, v17, s8, v9
	v_mad_u32 v15, v17, s9, v15
	;; [unrolled: 1-line block ×4, first 2 shown]
	s_and_not1_b32 vcc_lo, exec_lo, s4
	s_cbranch_vccz .LBB109_97
	s_branch .LBB109_100
.LBB109_95:
	s_mov_b32 s4, -1
                                        ; implicit-def: $vgpr15
                                        ; implicit-def: $vgpr9
                                        ; implicit-def: $vgpr16
                                        ; implicit-def: $vgpr14
.LBB109_96:
	s_delay_alu instid0(SALU_CYCLE_1)
	s_and_not1_b32 vcc_lo, exec_lo, s4
	s_cbranch_vccnz .LBB109_100
.LBB109_97:
	s_clause 0x1
	s_load_b96 s[4:6], s[24:25], 0x4
	s_load_b128 s[0:3], s[24:25], 0xc4
	s_cmp_lt_u32 s33, 2
	s_wait_kmcnt 0x0
	v_mul_hi_u32 v9, s5, v5
	s_delay_alu instid0(VALU_DEP_1) | instskip(NEXT) | instid1(VALU_DEP_1)
	v_add_nc_u32_e32 v9, v5, v9
	v_lshrrev_b32_e32 v17, s6, v9
	s_delay_alu instid0(VALU_DEP_1) | instskip(NEXT) | instid1(VALU_DEP_1)
	v_mul_lo_u32 v9, v17, s4
	v_sub_nc_u32_e32 v5, v5, v9
	s_delay_alu instid0(VALU_DEP_1)
	v_mul_lo_u32 v15, v5, s1
	v_mul_lo_u32 v9, v5, s0
	;; [unrolled: 1-line block ×4, first 2 shown]
	s_cbranch_scc1 .LBB109_100
; %bb.98:
	s_clause 0x1
	s_load_b96 s[4:6], s[24:25], 0x10
	s_load_b128 s[0:3], s[24:25], 0xd4
	s_wait_kmcnt 0x0
	v_mul_hi_u32 v5, s5, v17
	s_delay_alu instid0(VALU_DEP_1) | instskip(NEXT) | instid1(VALU_DEP_1)
	v_add_nc_u32_e32 v5, v17, v5
	v_lshrrev_b32_e32 v5, s6, v5
	s_delay_alu instid0(VALU_DEP_1) | instskip(NEXT) | instid1(VALU_DEP_1)
	v_mul_lo_u32 v5, v5, s4
	v_sub_nc_u32_e32 v5, v17, v5
	s_delay_alu instid0(VALU_DEP_1)
	v_mad_u32 v9, v5, s0, v9
	v_mad_u32 v15, v5, s1, v15
	;; [unrolled: 1-line block ×4, first 2 shown]
	s_branch .LBB109_100
.LBB109_99:
	v_dual_mov_b32 v15, 0 :: v_dual_mov_b32 v9, 0
	v_dual_mov_b32 v16, 0 :: v_dual_mov_b32 v14, 0
	s_and_not1_b32 vcc_lo, exec_lo, s4
	s_cbranch_vccz .LBB109_97
.LBB109_100:
	s_load_b256 s[0:7], s[24:25], 0x1c8
	s_wait_kmcnt 0x0
	s_clause 0x3
	global_load_b64 v[18:19], v4, s[4:5]
	global_load_b64 v[20:21], v10, s[4:5]
	global_load_b64 v[22:23], v12, s[4:5]
	global_load_b64 v[24:25], v14, s[4:5]
	s_clause 0x3
	global_load_b64 v[26:27], v3, s[6:7]
	global_load_b64 v[28:29], v8, s[6:7]
	global_load_b64 v[30:31], v13, s[6:7]
	global_load_b64 v[32:33], v16, s[6:7]
	;; [unrolled: 5-line block ×3, first 2 shown]
	s_wait_xcnt 0x4
	s_load_b128 s[4:7], s[24:25], 0x1e8
	s_wait_loadcnt 0xb
	s_wait_kmcnt 0x0
	v_mul_f64_e32 v[2:3], s[6:7], v[18:19]
	s_wait_loadcnt 0xa
	v_mul_f64_e32 v[4:5], s[6:7], v[20:21]
	s_wait_loadcnt 0x9
	;; [unrolled: 2-line block ×4, first 2 shown]
	s_delay_alu instid0(VALU_DEP_4) | instskip(SKIP_1) | instid1(VALU_DEP_4)
	v_mul_f64_e32 v[2:3], v[2:3], v[26:27]
	s_wait_loadcnt 0x6
	v_mul_f64_e32 v[4:5], v[4:5], v[28:29]
	s_wait_loadcnt 0x5
	s_delay_alu instid0(VALU_DEP_4) | instskip(SKIP_1) | instid1(VALU_DEP_4)
	v_mul_f64_e32 v[10:11], v[10:11], v[30:31]
	s_wait_loadcnt 0x4
	v_mul_f64_e32 v[12:13], v[12:13], v[32:33]
	s_wait_loadcnt 0x3
	s_delay_alu instid0(VALU_DEP_4) | instskip(SKIP_1) | instid1(VALU_DEP_4)
	v_fmac_f64_e32 v[2:3], s[4:5], v[34:35]
	s_wait_loadcnt 0x2
	v_fmac_f64_e32 v[4:5], s[4:5], v[36:37]
	s_wait_loadcnt 0x1
	s_delay_alu instid0(VALU_DEP_4) | instskip(SKIP_1) | instid1(VALU_DEP_4)
	v_fmac_f64_e32 v[10:11], s[4:5], v[38:39]
	s_wait_loadcnt 0x0
	v_fmac_f64_e32 v[12:13], s[4:5], v[40:41]
	s_clause 0x3
	global_store_b64 v1, v[2:3], s[0:1]
	global_store_b64 v6, v[4:5], s[0:1]
	;; [unrolled: 1-line block ×4, first 2 shown]
	s_endpgm
	.section	.rodata,"a",@progbits
	.p2align	6, 0x0
	.amdhsa_kernel _ZN2at6native32elementwise_kernel_manual_unrollILi128ELi4EZNS0_22gpu_kernel_impl_nocastIZZZNS0_12_GLOBAL__N_116addr_kernel_cudaERNS_14TensorIteratorERKN3c106ScalarES9_ENKUlvE_clEvENKUlvE4_clEvEUldddE0_EEvRNS_18TensorIteratorBaseERKT_EUlibE_EEviT1_
		.amdhsa_group_segment_fixed_size 0
		.amdhsa_private_segment_fixed_size 0
		.amdhsa_kernarg_size 512
		.amdhsa_user_sgpr_count 2
		.amdhsa_user_sgpr_dispatch_ptr 0
		.amdhsa_user_sgpr_queue_ptr 0
		.amdhsa_user_sgpr_kernarg_segment_ptr 1
		.amdhsa_user_sgpr_dispatch_id 0
		.amdhsa_user_sgpr_kernarg_preload_length 0
		.amdhsa_user_sgpr_kernarg_preload_offset 0
		.amdhsa_user_sgpr_private_segment_size 0
		.amdhsa_wavefront_size32 1
		.amdhsa_uses_dynamic_stack 0
		.amdhsa_enable_private_segment 0
		.amdhsa_system_sgpr_workgroup_id_x 1
		.amdhsa_system_sgpr_workgroup_id_y 0
		.amdhsa_system_sgpr_workgroup_id_z 0
		.amdhsa_system_sgpr_workgroup_info 0
		.amdhsa_system_vgpr_workitem_id 0
		.amdhsa_next_free_vgpr 42
		.amdhsa_next_free_sgpr 60
		.amdhsa_named_barrier_count 0
		.amdhsa_reserve_vcc 1
		.amdhsa_float_round_mode_32 0
		.amdhsa_float_round_mode_16_64 0
		.amdhsa_float_denorm_mode_32 3
		.amdhsa_float_denorm_mode_16_64 3
		.amdhsa_fp16_overflow 0
		.amdhsa_memory_ordered 1
		.amdhsa_forward_progress 1
		.amdhsa_inst_pref_size 46
		.amdhsa_round_robin_scheduling 0
		.amdhsa_exception_fp_ieee_invalid_op 0
		.amdhsa_exception_fp_denorm_src 0
		.amdhsa_exception_fp_ieee_div_zero 0
		.amdhsa_exception_fp_ieee_overflow 0
		.amdhsa_exception_fp_ieee_underflow 0
		.amdhsa_exception_fp_ieee_inexact 0
		.amdhsa_exception_int_div_zero 0
	.end_amdhsa_kernel
	.section	.text._ZN2at6native32elementwise_kernel_manual_unrollILi128ELi4EZNS0_22gpu_kernel_impl_nocastIZZZNS0_12_GLOBAL__N_116addr_kernel_cudaERNS_14TensorIteratorERKN3c106ScalarES9_ENKUlvE_clEvENKUlvE4_clEvEUldddE0_EEvRNS_18TensorIteratorBaseERKT_EUlibE_EEviT1_,"axG",@progbits,_ZN2at6native32elementwise_kernel_manual_unrollILi128ELi4EZNS0_22gpu_kernel_impl_nocastIZZZNS0_12_GLOBAL__N_116addr_kernel_cudaERNS_14TensorIteratorERKN3c106ScalarES9_ENKUlvE_clEvENKUlvE4_clEvEUldddE0_EEvRNS_18TensorIteratorBaseERKT_EUlibE_EEviT1_,comdat
.Lfunc_end109:
	.size	_ZN2at6native32elementwise_kernel_manual_unrollILi128ELi4EZNS0_22gpu_kernel_impl_nocastIZZZNS0_12_GLOBAL__N_116addr_kernel_cudaERNS_14TensorIteratorERKN3c106ScalarES9_ENKUlvE_clEvENKUlvE4_clEvEUldddE0_EEvRNS_18TensorIteratorBaseERKT_EUlibE_EEviT1_, .Lfunc_end109-_ZN2at6native32elementwise_kernel_manual_unrollILi128ELi4EZNS0_22gpu_kernel_impl_nocastIZZZNS0_12_GLOBAL__N_116addr_kernel_cudaERNS_14TensorIteratorERKN3c106ScalarES9_ENKUlvE_clEvENKUlvE4_clEvEUldddE0_EEvRNS_18TensorIteratorBaseERKT_EUlibE_EEviT1_
                                        ; -- End function
	.set _ZN2at6native32elementwise_kernel_manual_unrollILi128ELi4EZNS0_22gpu_kernel_impl_nocastIZZZNS0_12_GLOBAL__N_116addr_kernel_cudaERNS_14TensorIteratorERKN3c106ScalarES9_ENKUlvE_clEvENKUlvE4_clEvEUldddE0_EEvRNS_18TensorIteratorBaseERKT_EUlibE_EEviT1_.num_vgpr, 42
	.set _ZN2at6native32elementwise_kernel_manual_unrollILi128ELi4EZNS0_22gpu_kernel_impl_nocastIZZZNS0_12_GLOBAL__N_116addr_kernel_cudaERNS_14TensorIteratorERKN3c106ScalarES9_ENKUlvE_clEvENKUlvE4_clEvEUldddE0_EEvRNS_18TensorIteratorBaseERKT_EUlibE_EEviT1_.num_agpr, 0
	.set _ZN2at6native32elementwise_kernel_manual_unrollILi128ELi4EZNS0_22gpu_kernel_impl_nocastIZZZNS0_12_GLOBAL__N_116addr_kernel_cudaERNS_14TensorIteratorERKN3c106ScalarES9_ENKUlvE_clEvENKUlvE4_clEvEUldddE0_EEvRNS_18TensorIteratorBaseERKT_EUlibE_EEviT1_.numbered_sgpr, 60
	.set _ZN2at6native32elementwise_kernel_manual_unrollILi128ELi4EZNS0_22gpu_kernel_impl_nocastIZZZNS0_12_GLOBAL__N_116addr_kernel_cudaERNS_14TensorIteratorERKN3c106ScalarES9_ENKUlvE_clEvENKUlvE4_clEvEUldddE0_EEvRNS_18TensorIteratorBaseERKT_EUlibE_EEviT1_.num_named_barrier, 0
	.set _ZN2at6native32elementwise_kernel_manual_unrollILi128ELi4EZNS0_22gpu_kernel_impl_nocastIZZZNS0_12_GLOBAL__N_116addr_kernel_cudaERNS_14TensorIteratorERKN3c106ScalarES9_ENKUlvE_clEvENKUlvE4_clEvEUldddE0_EEvRNS_18TensorIteratorBaseERKT_EUlibE_EEviT1_.private_seg_size, 0
	.set _ZN2at6native32elementwise_kernel_manual_unrollILi128ELi4EZNS0_22gpu_kernel_impl_nocastIZZZNS0_12_GLOBAL__N_116addr_kernel_cudaERNS_14TensorIteratorERKN3c106ScalarES9_ENKUlvE_clEvENKUlvE4_clEvEUldddE0_EEvRNS_18TensorIteratorBaseERKT_EUlibE_EEviT1_.uses_vcc, 1
	.set _ZN2at6native32elementwise_kernel_manual_unrollILi128ELi4EZNS0_22gpu_kernel_impl_nocastIZZZNS0_12_GLOBAL__N_116addr_kernel_cudaERNS_14TensorIteratorERKN3c106ScalarES9_ENKUlvE_clEvENKUlvE4_clEvEUldddE0_EEvRNS_18TensorIteratorBaseERKT_EUlibE_EEviT1_.uses_flat_scratch, 0
	.set _ZN2at6native32elementwise_kernel_manual_unrollILi128ELi4EZNS0_22gpu_kernel_impl_nocastIZZZNS0_12_GLOBAL__N_116addr_kernel_cudaERNS_14TensorIteratorERKN3c106ScalarES9_ENKUlvE_clEvENKUlvE4_clEvEUldddE0_EEvRNS_18TensorIteratorBaseERKT_EUlibE_EEviT1_.has_dyn_sized_stack, 0
	.set _ZN2at6native32elementwise_kernel_manual_unrollILi128ELi4EZNS0_22gpu_kernel_impl_nocastIZZZNS0_12_GLOBAL__N_116addr_kernel_cudaERNS_14TensorIteratorERKN3c106ScalarES9_ENKUlvE_clEvENKUlvE4_clEvEUldddE0_EEvRNS_18TensorIteratorBaseERKT_EUlibE_EEviT1_.has_recursion, 0
	.set _ZN2at6native32elementwise_kernel_manual_unrollILi128ELi4EZNS0_22gpu_kernel_impl_nocastIZZZNS0_12_GLOBAL__N_116addr_kernel_cudaERNS_14TensorIteratorERKN3c106ScalarES9_ENKUlvE_clEvENKUlvE4_clEvEUldddE0_EEvRNS_18TensorIteratorBaseERKT_EUlibE_EEviT1_.has_indirect_call, 0
	.section	.AMDGPU.csdata,"",@progbits
; Kernel info:
; codeLenInByte = 5880
; TotalNumSgprs: 62
; NumVgprs: 42
; ScratchSize: 0
; MemoryBound: 0
; FloatMode: 240
; IeeeMode: 1
; LDSByteSize: 0 bytes/workgroup (compile time only)
; SGPRBlocks: 0
; VGPRBlocks: 2
; NumSGPRsForWavesPerEU: 62
; NumVGPRsForWavesPerEU: 42
; NamedBarCnt: 0
; Occupancy: 16
; WaveLimiterHint : 1
; COMPUTE_PGM_RSRC2:SCRATCH_EN: 0
; COMPUTE_PGM_RSRC2:USER_SGPR: 2
; COMPUTE_PGM_RSRC2:TRAP_HANDLER: 0
; COMPUTE_PGM_RSRC2:TGID_X_EN: 1
; COMPUTE_PGM_RSRC2:TGID_Y_EN: 0
; COMPUTE_PGM_RSRC2:TGID_Z_EN: 0
; COMPUTE_PGM_RSRC2:TIDIG_COMP_CNT: 0
	.section	.text._ZN2at6native32elementwise_kernel_manual_unrollILi128ELi4EZNS0_15gpu_kernel_implIZZZNS0_12_GLOBAL__N_116addr_kernel_cudaERNS_14TensorIteratorERKN3c106ScalarES9_ENKUlvE_clEvENKUlvE4_clEvEUldddE0_EEvRNS_18TensorIteratorBaseERKT_EUlibE_EEviT1_,"axG",@progbits,_ZN2at6native32elementwise_kernel_manual_unrollILi128ELi4EZNS0_15gpu_kernel_implIZZZNS0_12_GLOBAL__N_116addr_kernel_cudaERNS_14TensorIteratorERKN3c106ScalarES9_ENKUlvE_clEvENKUlvE4_clEvEUldddE0_EEvRNS_18TensorIteratorBaseERKT_EUlibE_EEviT1_,comdat
	.globl	_ZN2at6native32elementwise_kernel_manual_unrollILi128ELi4EZNS0_15gpu_kernel_implIZZZNS0_12_GLOBAL__N_116addr_kernel_cudaERNS_14TensorIteratorERKN3c106ScalarES9_ENKUlvE_clEvENKUlvE4_clEvEUldddE0_EEvRNS_18TensorIteratorBaseERKT_EUlibE_EEviT1_ ; -- Begin function _ZN2at6native32elementwise_kernel_manual_unrollILi128ELi4EZNS0_15gpu_kernel_implIZZZNS0_12_GLOBAL__N_116addr_kernel_cudaERNS_14TensorIteratorERKN3c106ScalarES9_ENKUlvE_clEvENKUlvE4_clEvEUldddE0_EEvRNS_18TensorIteratorBaseERKT_EUlibE_EEviT1_
	.p2align	8
	.type	_ZN2at6native32elementwise_kernel_manual_unrollILi128ELi4EZNS0_15gpu_kernel_implIZZZNS0_12_GLOBAL__N_116addr_kernel_cudaERNS_14TensorIteratorERKN3c106ScalarES9_ENKUlvE_clEvENKUlvE4_clEvEUldddE0_EEvRNS_18TensorIteratorBaseERKT_EUlibE_EEviT1_,@function
_ZN2at6native32elementwise_kernel_manual_unrollILi128ELi4EZNS0_15gpu_kernel_implIZZZNS0_12_GLOBAL__N_116addr_kernel_cudaERNS_14TensorIteratorERKN3c106ScalarES9_ENKUlvE_clEvENKUlvE4_clEvEUldddE0_EEvRNS_18TensorIteratorBaseERKT_EUlibE_EEviT1_: ; @_ZN2at6native32elementwise_kernel_manual_unrollILi128ELi4EZNS0_15gpu_kernel_implIZZZNS0_12_GLOBAL__N_116addr_kernel_cudaERNS_14TensorIteratorERKN3c106ScalarES9_ENKUlvE_clEvENKUlvE4_clEvEUldddE0_EEvRNS_18TensorIteratorBaseERKT_EUlibE_EEviT1_
; %bb.0:
	s_load_b32 s2, s[0:1], 0x48
	s_bfe_u32 s3, ttmp6, 0x4000c
	s_clause 0x2
	s_load_b256 s[12:19], s[0:1], 0x28
	s_load_b32 s24, s[0:1], 0x0
	s_load_b256 s[4:11], s[0:1], 0x8
	s_add_co_i32 s3, s3, 1
	s_and_b32 s20, ttmp6, 15
	s_wait_xcnt 0x0
	s_mul_i32 s0, ttmp9, s3
	s_getreg_b32 s22, hwreg(HW_REG_IB_STS2, 6, 4)
	s_add_co_i32 s20, s20, s0
	s_mov_b32 s23, 0
	s_wait_kmcnt 0x0
	s_lshr_b32 s3, s2, 16
	s_lshr_b32 s21, s2, 8
	;; [unrolled: 1-line block ×3, first 2 shown]
	s_cmp_eq_u32 s22, 0
	s_cselect_b32 s0, ttmp9, s20
	s_mov_b32 s20, 0
	v_lshl_or_b32 v26, s0, 9, v0
	s_mov_b32 s0, exec_lo
	s_delay_alu instid0(VALU_DEP_1) | instskip(NEXT) | instid1(VALU_DEP_1)
	v_or_b32_e32 v0, 0x180, v26
	v_cmpx_le_i32_e64 s24, v0
	s_xor_b32 s22, exec_lo, s0
	s_cbranch_execz .LBB110_2063
; %bb.1:
	s_mov_b32 s33, -1
	s_mov_b32 s29, 0
	s_mov_b32 s27, 0
	;; [unrolled: 1-line block ×4, first 2 shown]
	s_mov_b32 s28, exec_lo
	v_cmpx_gt_i32_e64 s24, v26
	s_cbranch_execz .LBB110_512
; %bb.2:
	v_mul_lo_u32 v0, v26, s13
	s_and_b32 s0, s21, 0xff
	s_delay_alu instid0(SALU_CYCLE_1) | instskip(NEXT) | instid1(VALU_DEP_1)
	s_cmp_lt_i32 s0, 11
	v_ashrrev_i32_e32 v1, 31, v0
	s_delay_alu instid0(VALU_DEP_1)
	v_add_nc_u64_e32 v[0:1], s[6:7], v[0:1]
	s_cbranch_scc1 .LBB110_9
; %bb.3:
	s_and_b32 s23, 0xffff, s0
	s_delay_alu instid0(SALU_CYCLE_1)
	s_cmp_gt_i32 s23, 25
	s_cbranch_scc0 .LBB110_18
; %bb.4:
	s_cmp_gt_i32 s23, 28
	s_cbranch_scc0 .LBB110_28
; %bb.5:
	;; [unrolled: 3-line block ×4, first 2 shown]
	s_cmp_eq_u32 s23, 46
	s_cbranch_scc0 .LBB110_37
; %bb.8:
	global_load_b32 v2, v[0:1], off
	s_mov_b32 s25, -1
	s_wait_loadcnt 0x0
	v_lshlrev_b32_e32 v2, 16, v2
	s_delay_alu instid0(VALU_DEP_1)
	v_cvt_f64_f32_e32 v[2:3], v2
	s_branch .LBB110_39
.LBB110_9:
                                        ; implicit-def: $vgpr2_vgpr3
	s_cbranch_execnz .LBB110_105
.LBB110_10:
	s_and_not1_b32 vcc_lo, exec_lo, s25
	s_cbranch_vccnz .LBB110_152
.LBB110_11:
	s_wait_xcnt 0x0
	v_mul_lo_u32 v0, v26, s14
	s_and_b32 s0, s3, 0xff
	s_delay_alu instid0(SALU_CYCLE_1) | instskip(NEXT) | instid1(VALU_DEP_1)
	s_cmp_lt_i32 s0, 11
	v_ashrrev_i32_e32 v1, 31, v0
	s_delay_alu instid0(VALU_DEP_1)
	v_add_nc_u64_e32 v[4:5], s[8:9], v[0:1]
	s_cbranch_scc1 .LBB110_19
; %bb.12:
	s_and_b32 s23, 0xffff, s0
	s_delay_alu instid0(SALU_CYCLE_1)
	s_cmp_gt_i32 s23, 25
	s_cbranch_scc0 .LBB110_29
; %bb.13:
	s_cmp_gt_i32 s23, 28
	s_cbranch_scc0 .LBB110_32
; %bb.14:
	;; [unrolled: 3-line block ×4, first 2 shown]
	s_cmp_eq_u32 s23, 46
	s_mov_b32 s30, 0
	s_cbranch_scc0 .LBB110_153
; %bb.17:
	global_load_b32 v0, v[4:5], off
	s_mov_b32 s25, -1
	s_mov_b32 s26, 0
	s_wait_loadcnt 0x0
	v_lshlrev_b32_e32 v0, 16, v0
	s_delay_alu instid0(VALU_DEP_1)
	v_cvt_f64_f32_e32 v[0:1], v0
	s_branch .LBB110_155
.LBB110_18:
                                        ; implicit-def: $vgpr2_vgpr3
	s_cbranch_execnz .LBB110_70
	s_branch .LBB110_104
.LBB110_19:
	s_mov_b32 s26, 0
	s_mov_b32 s25, 0
                                        ; implicit-def: $vgpr0_vgpr1
	s_cbranch_execnz .LBB110_221
.LBB110_20:
	s_and_not1_b32 vcc_lo, exec_lo, s25
	s_cbranch_vccnz .LBB110_269
.LBB110_21:
	s_wait_xcnt 0x0
	v_mul_lo_u32 v4, v26, s15
	s_and_b32 s0, 0xffff, s1
	s_delay_alu instid0(SALU_CYCLE_1) | instskip(NEXT) | instid1(VALU_DEP_1)
	s_cmp_lt_i32 s0, 11
	v_ashrrev_i32_e32 v5, 31, v4
	s_delay_alu instid0(VALU_DEP_1)
	v_add_nc_u64_e32 v[4:5], s[10:11], v[4:5]
	s_cbranch_scc1 .LBB110_30
; %bb.22:
	s_cmp_gt_i32 s0, 25
	s_cbranch_scc0 .LBB110_33
; %bb.23:
	s_cmp_gt_i32 s0, 28
	s_cbranch_scc0 .LBB110_36
	;; [unrolled: 3-line block ×4, first 2 shown]
; %bb.26:
	s_cmp_eq_u32 s0, 46
	s_mov_b32 s30, 0
	s_cbranch_scc0 .LBB110_270
; %bb.27:
	global_load_b32 v6, v[4:5], off
	s_mov_b32 s23, -1
	s_mov_b32 s25, 0
	s_wait_loadcnt 0x0
	v_lshlrev_b32_e32 v6, 16, v6
	s_delay_alu instid0(VALU_DEP_1)
	v_cvt_f64_f32_e32 v[6:7], v6
	s_branch .LBB110_272
.LBB110_28:
	s_mov_b32 s26, -1
                                        ; implicit-def: $vgpr2_vgpr3
	s_branch .LBB110_51
.LBB110_29:
	s_mov_b32 s30, -1
	s_mov_b32 s26, 0
	s_mov_b32 s25, 0
                                        ; implicit-def: $vgpr0_vgpr1
	s_branch .LBB110_185
.LBB110_30:
	s_mov_b32 s30, -1
	s_mov_b32 s25, 0
	s_mov_b32 s23, 0
                                        ; implicit-def: $vgpr6_vgpr7
	s_branch .LBB110_337
.LBB110_31:
	s_mov_b32 s26, -1
                                        ; implicit-def: $vgpr2_vgpr3
	s_branch .LBB110_46
.LBB110_32:
	s_mov_b32 s30, -1
	s_mov_b32 s26, 0
	s_mov_b32 s25, 0
                                        ; implicit-def: $vgpr0_vgpr1
	s_branch .LBB110_166
.LBB110_33:
	s_mov_b32 s30, -1
	s_mov_b32 s25, 0
	s_mov_b32 s23, 0
                                        ; implicit-def: $vgpr6_vgpr7
	s_branch .LBB110_301
.LBB110_34:
	s_mov_b32 s26, -1
	s_branch .LBB110_38
.LBB110_35:
	s_mov_b32 s30, -1
	s_mov_b32 s26, 0
	s_mov_b32 s25, 0
                                        ; implicit-def: $vgpr0_vgpr1
	s_branch .LBB110_161
.LBB110_36:
	s_mov_b32 s30, -1
	s_mov_b32 s25, 0
	s_mov_b32 s23, 0
                                        ; implicit-def: $vgpr6_vgpr7
	s_branch .LBB110_282
.LBB110_37:
	s_mov_b32 s27, -1
.LBB110_38:
                                        ; implicit-def: $vgpr2_vgpr3
.LBB110_39:
	s_and_b32 vcc_lo, exec_lo, s26
	s_cbranch_vccz .LBB110_45
; %bb.40:
	s_cmp_eq_u32 s23, 44
	s_cbranch_scc0 .LBB110_44
; %bb.41:
	global_load_u8 v4, v[0:1], off
	s_mov_b32 s27, 0
	s_mov_b32 s25, -1
	s_wait_loadcnt 0x0
	v_cmp_ne_u32_e32 vcc_lo, 0xff, v4
	v_lshlrev_b32_e32 v2, 23, v4
	s_delay_alu instid0(VALU_DEP_1) | instskip(NEXT) | instid1(VALU_DEP_1)
	v_cvt_f64_f32_e32 v[2:3], v2
	v_cndmask_b32_e32 v2, 0x20000000, v2, vcc_lo
	s_delay_alu instid0(VALU_DEP_2) | instskip(SKIP_1) | instid1(VALU_DEP_2)
	v_cndmask_b32_e32 v3, 0x7ff80000, v3, vcc_lo
	v_cmp_ne_u32_e32 vcc_lo, 0, v4
	v_cndmask_b32_e32 v3, 0x38000000, v3, vcc_lo
	s_delay_alu instid0(VALU_DEP_4)
	v_cndmask_b32_e32 v2, 0, v2, vcc_lo
	s_branch .LBB110_45
.LBB110_42:
	s_mov_b32 s30, -1
	s_mov_b32 s26, 0
	s_branch .LBB110_154
.LBB110_43:
	s_mov_b32 s30, -1
	s_mov_b32 s25, 0
	s_mov_b32 s23, 0
                                        ; implicit-def: $vgpr6_vgpr7
	s_branch .LBB110_277
.LBB110_44:
	s_mov_b32 s27, -1
                                        ; implicit-def: $vgpr2_vgpr3
.LBB110_45:
	s_mov_b32 s26, 0
.LBB110_46:
	s_delay_alu instid0(SALU_CYCLE_1)
	s_and_b32 vcc_lo, exec_lo, s26
	s_cbranch_vccz .LBB110_50
; %bb.47:
	s_cmp_eq_u32 s23, 29
	s_cbranch_scc0 .LBB110_49
; %bb.48:
	global_load_b64 v[2:3], v[0:1], off
	s_mov_b32 s25, -1
	s_mov_b32 s27, 0
	s_mov_b32 s26, 0
	s_wait_loadcnt 0x0
	v_cvt_f64_u32_e32 v[4:5], v3
	v_cvt_f64_u32_e32 v[2:3], v2
	s_delay_alu instid0(VALU_DEP_2) | instskip(NEXT) | instid1(VALU_DEP_1)
	v_ldexp_f64 v[4:5], v[4:5], 32
	v_add_f64_e32 v[2:3], v[4:5], v[2:3]
	s_branch .LBB110_51
.LBB110_49:
	s_mov_b32 s27, -1
                                        ; implicit-def: $vgpr2_vgpr3
.LBB110_50:
	s_mov_b32 s26, 0
.LBB110_51:
	s_delay_alu instid0(SALU_CYCLE_1)
	s_and_b32 vcc_lo, exec_lo, s26
	s_cbranch_vccz .LBB110_69
; %bb.52:
	s_cmp_lt_i32 s23, 27
	s_cbranch_scc1 .LBB110_55
; %bb.53:
	s_cmp_gt_i32 s23, 27
	s_cbranch_scc0 .LBB110_56
; %bb.54:
	global_load_b32 v2, v[0:1], off
	s_mov_b32 s25, 0
	s_wait_loadcnt 0x0
	v_cvt_f64_u32_e32 v[2:3], v2
	s_branch .LBB110_57
.LBB110_55:
	s_mov_b32 s25, -1
                                        ; implicit-def: $vgpr2_vgpr3
	s_branch .LBB110_60
.LBB110_56:
	s_mov_b32 s25, -1
                                        ; implicit-def: $vgpr2_vgpr3
.LBB110_57:
	s_delay_alu instid0(SALU_CYCLE_1)
	s_and_not1_b32 vcc_lo, exec_lo, s25
	s_cbranch_vccnz .LBB110_59
; %bb.58:
	global_load_u16 v2, v[0:1], off
	s_wait_loadcnt 0x0
	v_cvt_f64_u32_e32 v[2:3], v2
.LBB110_59:
	s_mov_b32 s25, 0
.LBB110_60:
	s_delay_alu instid0(SALU_CYCLE_1)
	s_and_not1_b32 vcc_lo, exec_lo, s25
	s_cbranch_vccnz .LBB110_68
; %bb.61:
	global_load_u8 v4, v[0:1], off
	s_mov_b32 s25, 0
	s_mov_b32 s26, exec_lo
	s_wait_loadcnt 0x0
	v_cmpx_lt_i16_e32 0x7f, v4
	s_xor_b32 s26, exec_lo, s26
	s_cbranch_execz .LBB110_81
; %bb.62:
	s_mov_b32 s25, -1
	s_mov_b32 s30, exec_lo
	v_cmpx_eq_u16_e32 0x80, v4
; %bb.63:
	s_xor_b32 s25, exec_lo, -1
; %bb.64:
	s_or_b32 exec_lo, exec_lo, s30
	s_delay_alu instid0(SALU_CYCLE_1)
	s_and_b32 s25, s25, exec_lo
	s_or_saveexec_b32 s26, s26
	v_mov_b64_e32 v[2:3], 0x7ff8000020000000
	s_xor_b32 exec_lo, exec_lo, s26
	s_cbranch_execnz .LBB110_82
.LBB110_65:
	s_or_b32 exec_lo, exec_lo, s26
	s_and_saveexec_b32 s26, s25
	s_cbranch_execz .LBB110_67
.LBB110_66:
	v_and_b32_e32 v2, 0xffff, v4
	s_delay_alu instid0(VALU_DEP_1) | instskip(SKIP_1) | instid1(VALU_DEP_2)
	v_and_b32_e32 v3, 7, v2
	v_bfe_u32 v7, v2, 3, 4
	v_clz_i32_u32_e32 v5, v3
	s_delay_alu instid0(VALU_DEP_2) | instskip(NEXT) | instid1(VALU_DEP_2)
	v_cmp_eq_u32_e32 vcc_lo, 0, v7
	v_min_u32_e32 v5, 32, v5
	s_delay_alu instid0(VALU_DEP_1) | instskip(NEXT) | instid1(VALU_DEP_1)
	v_subrev_nc_u32_e32 v6, 28, v5
	v_dual_lshlrev_b32 v2, v6, v2 :: v_dual_sub_nc_u32 v5, 29, v5
	s_delay_alu instid0(VALU_DEP_1) | instskip(NEXT) | instid1(VALU_DEP_2)
	v_dual_lshlrev_b32 v4, 24, v4 :: v_dual_bitop2_b32 v2, 7, v2 bitop3:0x40
	v_cndmask_b32_e32 v5, v7, v5, vcc_lo
	s_delay_alu instid0(VALU_DEP_2) | instskip(NEXT) | instid1(VALU_DEP_3)
	v_cndmask_b32_e32 v2, v3, v2, vcc_lo
	v_and_b32_e32 v3, 0x80000000, v4
	s_delay_alu instid0(VALU_DEP_3) | instskip(NEXT) | instid1(VALU_DEP_3)
	v_lshl_add_u32 v4, v5, 23, 0x3b800000
	v_lshlrev_b32_e32 v2, 20, v2
	s_delay_alu instid0(VALU_DEP_1) | instskip(NEXT) | instid1(VALU_DEP_1)
	v_or3_b32 v2, v3, v4, v2
	v_cvt_f64_f32_e32 v[2:3], v2
.LBB110_67:
	s_or_b32 exec_lo, exec_lo, s26
.LBB110_68:
	s_mov_b32 s25, -1
.LBB110_69:
	s_branch .LBB110_104
.LBB110_70:
	s_cmp_gt_i32 s23, 22
	s_cbranch_scc0 .LBB110_80
; %bb.71:
	s_cmp_lt_i32 s23, 24
	s_cbranch_scc1 .LBB110_83
; %bb.72:
	s_cmp_gt_i32 s23, 24
	s_cbranch_scc0 .LBB110_84
; %bb.73:
	global_load_u8 v4, v[0:1], off
	s_mov_b32 s25, 0
	s_mov_b32 s26, exec_lo
	s_wait_loadcnt 0x0
	v_cmpx_lt_i16_e32 0x7f, v4
	s_xor_b32 s26, exec_lo, s26
	s_cbranch_execz .LBB110_96
; %bb.74:
	s_mov_b32 s25, -1
	s_mov_b32 s30, exec_lo
	v_cmpx_eq_u16_e32 0x80, v4
; %bb.75:
	s_xor_b32 s25, exec_lo, -1
; %bb.76:
	s_or_b32 exec_lo, exec_lo, s30
	s_delay_alu instid0(SALU_CYCLE_1)
	s_and_b32 s25, s25, exec_lo
	s_or_saveexec_b32 s26, s26
	v_mov_b64_e32 v[2:3], 0x7ff8000020000000
	s_xor_b32 exec_lo, exec_lo, s26
	s_cbranch_execnz .LBB110_97
.LBB110_77:
	s_or_b32 exec_lo, exec_lo, s26
	s_and_saveexec_b32 s26, s25
	s_cbranch_execz .LBB110_79
.LBB110_78:
	v_and_b32_e32 v2, 0xffff, v4
	s_delay_alu instid0(VALU_DEP_1) | instskip(SKIP_1) | instid1(VALU_DEP_2)
	v_and_b32_e32 v3, 3, v2
	v_bfe_u32 v7, v2, 2, 5
	v_clz_i32_u32_e32 v5, v3
	s_delay_alu instid0(VALU_DEP_2) | instskip(NEXT) | instid1(VALU_DEP_2)
	v_cmp_eq_u32_e32 vcc_lo, 0, v7
	v_min_u32_e32 v5, 32, v5
	s_delay_alu instid0(VALU_DEP_1) | instskip(NEXT) | instid1(VALU_DEP_1)
	v_subrev_nc_u32_e32 v6, 29, v5
	v_dual_lshlrev_b32 v2, v6, v2 :: v_dual_sub_nc_u32 v5, 30, v5
	s_delay_alu instid0(VALU_DEP_1) | instskip(NEXT) | instid1(VALU_DEP_2)
	v_dual_lshlrev_b32 v4, 24, v4 :: v_dual_bitop2_b32 v2, 3, v2 bitop3:0x40
	v_cndmask_b32_e32 v5, v7, v5, vcc_lo
	s_delay_alu instid0(VALU_DEP_2) | instskip(NEXT) | instid1(VALU_DEP_3)
	v_cndmask_b32_e32 v2, v3, v2, vcc_lo
	v_and_b32_e32 v3, 0x80000000, v4
	s_delay_alu instid0(VALU_DEP_3) | instskip(NEXT) | instid1(VALU_DEP_3)
	v_lshl_add_u32 v4, v5, 23, 0x37800000
	v_lshlrev_b32_e32 v2, 21, v2
	s_delay_alu instid0(VALU_DEP_1) | instskip(NEXT) | instid1(VALU_DEP_1)
	v_or3_b32 v2, v3, v4, v2
	v_cvt_f64_f32_e32 v[2:3], v2
.LBB110_79:
	s_or_b32 exec_lo, exec_lo, s26
	s_mov_b32 s25, 0
	s_branch .LBB110_85
.LBB110_80:
	s_mov_b32 s26, -1
                                        ; implicit-def: $vgpr2_vgpr3
	s_branch .LBB110_91
.LBB110_81:
	s_or_saveexec_b32 s26, s26
	v_mov_b64_e32 v[2:3], 0x7ff8000020000000
	s_xor_b32 exec_lo, exec_lo, s26
	s_cbranch_execz .LBB110_65
.LBB110_82:
	v_cmp_ne_u16_e32 vcc_lo, 0, v4
	v_mov_b64_e32 v[2:3], 0
	s_and_not1_b32 s25, s25, exec_lo
	s_and_b32 s30, vcc_lo, exec_lo
	s_delay_alu instid0(SALU_CYCLE_1)
	s_or_b32 s25, s25, s30
	s_or_b32 exec_lo, exec_lo, s26
	s_and_saveexec_b32 s26, s25
	s_cbranch_execnz .LBB110_66
	s_branch .LBB110_67
.LBB110_83:
	s_mov_b32 s25, -1
                                        ; implicit-def: $vgpr2_vgpr3
	s_branch .LBB110_88
.LBB110_84:
	s_mov_b32 s25, -1
                                        ; implicit-def: $vgpr2_vgpr3
.LBB110_85:
	s_delay_alu instid0(SALU_CYCLE_1)
	s_and_b32 vcc_lo, exec_lo, s25
	s_cbranch_vccz .LBB110_87
; %bb.86:
	global_load_u8 v2, v[0:1], off
	s_wait_loadcnt 0x0
	v_lshlrev_b32_e32 v2, 24, v2
	s_delay_alu instid0(VALU_DEP_1) | instskip(NEXT) | instid1(VALU_DEP_1)
	v_and_b32_e32 v3, 0x7f000000, v2
	v_clz_i32_u32_e32 v4, v3
	v_cmp_ne_u32_e32 vcc_lo, 0, v3
	v_add_nc_u32_e32 v6, 0x1000000, v3
	s_delay_alu instid0(VALU_DEP_3) | instskip(NEXT) | instid1(VALU_DEP_1)
	v_min_u32_e32 v4, 32, v4
	v_sub_nc_u32_e64 v4, v4, 4 clamp
	s_delay_alu instid0(VALU_DEP_1) | instskip(NEXT) | instid1(VALU_DEP_1)
	v_dual_lshlrev_b32 v5, v4, v3 :: v_dual_lshlrev_b32 v4, 23, v4
	v_lshrrev_b32_e32 v5, 4, v5
	s_delay_alu instid0(VALU_DEP_1) | instskip(NEXT) | instid1(VALU_DEP_1)
	v_dual_sub_nc_u32 v4, v5, v4 :: v_dual_ashrrev_i32 v5, 8, v6
	v_add_nc_u32_e32 v4, 0x3c000000, v4
	s_delay_alu instid0(VALU_DEP_1) | instskip(NEXT) | instid1(VALU_DEP_1)
	v_and_or_b32 v4, 0x7f800000, v5, v4
	v_cndmask_b32_e32 v3, 0, v4, vcc_lo
	s_delay_alu instid0(VALU_DEP_1) | instskip(NEXT) | instid1(VALU_DEP_1)
	v_and_or_b32 v2, 0x80000000, v2, v3
	v_cvt_f64_f32_e32 v[2:3], v2
.LBB110_87:
	s_mov_b32 s25, 0
.LBB110_88:
	s_delay_alu instid0(SALU_CYCLE_1)
	s_and_not1_b32 vcc_lo, exec_lo, s25
	s_cbranch_vccnz .LBB110_90
; %bb.89:
	global_load_u8 v2, v[0:1], off
	s_wait_loadcnt 0x0
	v_lshlrev_b32_e32 v3, 25, v2
	v_lshlrev_b16 v2, 8, v2
	s_delay_alu instid0(VALU_DEP_1) | instskip(SKIP_1) | instid1(VALU_DEP_2)
	v_and_or_b32 v5, 0x7f00, v2, 0.5
	v_bfe_i32 v2, v2, 0, 16
	v_dual_add_f32 v5, -0.5, v5 :: v_dual_lshrrev_b32 v4, 4, v3
	v_cmp_gt_u32_e32 vcc_lo, 0x8000000, v3
	s_delay_alu instid0(VALU_DEP_2) | instskip(NEXT) | instid1(VALU_DEP_1)
	v_or_b32_e32 v4, 0x70000000, v4
	v_mul_f32_e32 v4, 0x7800000, v4
	s_delay_alu instid0(VALU_DEP_1) | instskip(NEXT) | instid1(VALU_DEP_1)
	v_cndmask_b32_e32 v3, v4, v5, vcc_lo
	v_and_or_b32 v2, 0x80000000, v2, v3
	s_delay_alu instid0(VALU_DEP_1)
	v_cvt_f64_f32_e32 v[2:3], v2
.LBB110_90:
	s_mov_b32 s26, 0
	s_mov_b32 s25, -1
.LBB110_91:
	s_and_not1_b32 vcc_lo, exec_lo, s26
	s_cbranch_vccnz .LBB110_104
; %bb.92:
	s_cmp_gt_i32 s23, 14
	s_cbranch_scc0 .LBB110_95
; %bb.93:
	s_cmp_eq_u32 s23, 15
	s_cbranch_scc0 .LBB110_98
; %bb.94:
	global_load_u16 v2, v[0:1], off
	s_mov_b32 s25, -1
	s_mov_b32 s27, 0
	s_wait_loadcnt 0x0
	v_lshlrev_b32_e32 v2, 16, v2
	s_delay_alu instid0(VALU_DEP_1)
	v_cvt_f64_f32_e32 v[2:3], v2
	s_branch .LBB110_99
.LBB110_95:
	s_mov_b32 s26, -1
                                        ; implicit-def: $vgpr2_vgpr3
	s_branch .LBB110_100
.LBB110_96:
	s_or_saveexec_b32 s26, s26
	v_mov_b64_e32 v[2:3], 0x7ff8000020000000
	s_xor_b32 exec_lo, exec_lo, s26
	s_cbranch_execz .LBB110_77
.LBB110_97:
	v_cmp_ne_u16_e32 vcc_lo, 0, v4
	v_mov_b64_e32 v[2:3], 0
	s_and_not1_b32 s25, s25, exec_lo
	s_and_b32 s30, vcc_lo, exec_lo
	s_delay_alu instid0(SALU_CYCLE_1)
	s_or_b32 s25, s25, s30
	s_or_b32 exec_lo, exec_lo, s26
	s_and_saveexec_b32 s26, s25
	s_cbranch_execnz .LBB110_78
	s_branch .LBB110_79
.LBB110_98:
	s_mov_b32 s27, -1
                                        ; implicit-def: $vgpr2_vgpr3
.LBB110_99:
	s_mov_b32 s26, 0
.LBB110_100:
	s_delay_alu instid0(SALU_CYCLE_1)
	s_and_b32 vcc_lo, exec_lo, s26
	s_cbranch_vccz .LBB110_104
; %bb.101:
	s_cmp_eq_u32 s23, 11
	s_cbranch_scc0 .LBB110_103
; %bb.102:
	global_load_u8 v2, v[0:1], off
	s_mov_b32 s27, 0
	s_mov_b32 s25, -1
	s_wait_loadcnt 0x0
	v_cmp_ne_u16_e32 vcc_lo, 0, v2
	v_mov_b32_e32 v2, 0
	v_cndmask_b32_e64 v3, 0, 0x3ff00000, vcc_lo
	s_branch .LBB110_104
.LBB110_103:
	s_mov_b32 s27, -1
                                        ; implicit-def: $vgpr2_vgpr3
.LBB110_104:
	s_branch .LBB110_10
.LBB110_105:
	s_and_b32 s0, 0xffff, s0
	s_delay_alu instid0(SALU_CYCLE_1)
	s_cmp_lt_i32 s0, 5
	s_cbranch_scc1 .LBB110_110
; %bb.106:
	s_cmp_lt_i32 s0, 8
	s_cbranch_scc1 .LBB110_111
; %bb.107:
	;; [unrolled: 3-line block ×3, first 2 shown]
	s_cmp_gt_i32 s0, 9
	s_cbranch_scc0 .LBB110_113
; %bb.109:
	global_load_b64 v[2:3], v[0:1], off
	s_mov_b32 s23, 0
	s_branch .LBB110_114
.LBB110_110:
                                        ; implicit-def: $vgpr2_vgpr3
	s_branch .LBB110_132
.LBB110_111:
	s_mov_b32 s23, -1
                                        ; implicit-def: $vgpr2_vgpr3
	s_branch .LBB110_120
.LBB110_112:
	s_mov_b32 s23, -1
                                        ; implicit-def: $vgpr2_vgpr3
	s_branch .LBB110_117
.LBB110_113:
	s_mov_b32 s23, -1
                                        ; implicit-def: $vgpr2_vgpr3
.LBB110_114:
	s_delay_alu instid0(SALU_CYCLE_1)
	s_and_not1_b32 vcc_lo, exec_lo, s23
	s_cbranch_vccnz .LBB110_116
; %bb.115:
	s_wait_loadcnt 0x0
	global_load_b32 v2, v[0:1], off
	s_wait_loadcnt 0x0
	v_cvt_f64_f32_e32 v[2:3], v2
.LBB110_116:
	s_mov_b32 s23, 0
.LBB110_117:
	s_delay_alu instid0(SALU_CYCLE_1)
	s_and_not1_b32 vcc_lo, exec_lo, s23
	s_cbranch_vccnz .LBB110_119
; %bb.118:
	s_wait_loadcnt 0x0
	global_load_b32 v2, v[0:1], off
	s_wait_loadcnt 0x0
	v_cvt_f32_f16_e32 v2, v2
	s_delay_alu instid0(VALU_DEP_1)
	v_cvt_f64_f32_e32 v[2:3], v2
.LBB110_119:
	s_mov_b32 s23, 0
.LBB110_120:
	s_delay_alu instid0(SALU_CYCLE_1)
	s_and_not1_b32 vcc_lo, exec_lo, s23
	s_cbranch_vccnz .LBB110_131
; %bb.121:
	s_cmp_lt_i32 s0, 6
	s_cbranch_scc1 .LBB110_124
; %bb.122:
	s_cmp_gt_i32 s0, 6
	s_cbranch_scc0 .LBB110_125
; %bb.123:
	s_wait_loadcnt 0x0
	global_load_b64 v[2:3], v[0:1], off
	s_mov_b32 s23, 0
	s_branch .LBB110_126
.LBB110_124:
	s_mov_b32 s23, -1
                                        ; implicit-def: $vgpr2_vgpr3
	s_branch .LBB110_129
.LBB110_125:
	s_mov_b32 s23, -1
                                        ; implicit-def: $vgpr2_vgpr3
.LBB110_126:
	s_delay_alu instid0(SALU_CYCLE_1)
	s_and_not1_b32 vcc_lo, exec_lo, s23
	s_cbranch_vccnz .LBB110_128
; %bb.127:
	s_wait_loadcnt 0x0
	global_load_b32 v2, v[0:1], off
	s_wait_loadcnt 0x0
	v_cvt_f64_f32_e32 v[2:3], v2
.LBB110_128:
	s_mov_b32 s23, 0
.LBB110_129:
	s_delay_alu instid0(SALU_CYCLE_1)
	s_and_not1_b32 vcc_lo, exec_lo, s23
	s_cbranch_vccnz .LBB110_131
; %bb.130:
	s_wait_loadcnt 0x0
	global_load_u16 v2, v[0:1], off
	s_wait_loadcnt 0x0
	v_cvt_f32_f16_e32 v2, v2
	s_delay_alu instid0(VALU_DEP_1)
	v_cvt_f64_f32_e32 v[2:3], v2
.LBB110_131:
	s_cbranch_execnz .LBB110_151
.LBB110_132:
	s_cmp_lt_i32 s0, 2
	s_cbranch_scc1 .LBB110_136
; %bb.133:
	s_cmp_lt_i32 s0, 3
	s_cbranch_scc1 .LBB110_137
; %bb.134:
	s_cmp_gt_i32 s0, 3
	s_cbranch_scc0 .LBB110_138
; %bb.135:
	s_wait_loadcnt 0x0
	global_load_b64 v[2:3], v[0:1], off
	s_mov_b32 s23, 0
	s_wait_loadcnt 0x0
	v_cvt_f64_i32_e32 v[4:5], v3
	v_cvt_f64_u32_e32 v[2:3], v2
	s_delay_alu instid0(VALU_DEP_2) | instskip(NEXT) | instid1(VALU_DEP_1)
	v_ldexp_f64 v[4:5], v[4:5], 32
	v_add_f64_e32 v[2:3], v[4:5], v[2:3]
	s_branch .LBB110_139
.LBB110_136:
	s_mov_b32 s23, -1
                                        ; implicit-def: $vgpr2_vgpr3
	s_branch .LBB110_145
.LBB110_137:
	s_mov_b32 s23, -1
                                        ; implicit-def: $vgpr2_vgpr3
	s_branch .LBB110_142
.LBB110_138:
	s_mov_b32 s23, -1
                                        ; implicit-def: $vgpr2_vgpr3
.LBB110_139:
	s_delay_alu instid0(SALU_CYCLE_1)
	s_and_not1_b32 vcc_lo, exec_lo, s23
	s_cbranch_vccnz .LBB110_141
; %bb.140:
	s_wait_loadcnt 0x0
	global_load_b32 v2, v[0:1], off
	s_wait_loadcnt 0x0
	v_cvt_f64_i32_e32 v[2:3], v2
.LBB110_141:
	s_mov_b32 s23, 0
.LBB110_142:
	s_delay_alu instid0(SALU_CYCLE_1)
	s_and_not1_b32 vcc_lo, exec_lo, s23
	s_cbranch_vccnz .LBB110_144
; %bb.143:
	s_wait_loadcnt 0x0
	global_load_i16 v2, v[0:1], off
	s_wait_loadcnt 0x0
	v_cvt_f64_i32_e32 v[2:3], v2
.LBB110_144:
	s_mov_b32 s23, 0
.LBB110_145:
	s_delay_alu instid0(SALU_CYCLE_1)
	s_and_not1_b32 vcc_lo, exec_lo, s23
	s_cbranch_vccnz .LBB110_151
; %bb.146:
	s_cmp_gt_i32 s0, 0
	s_mov_b32 s0, 0
	s_cbranch_scc0 .LBB110_148
; %bb.147:
	s_wait_loadcnt 0x0
	global_load_i8 v2, v[0:1], off
	s_wait_loadcnt 0x0
	v_cvt_f64_i32_e32 v[2:3], v2
	s_branch .LBB110_149
.LBB110_148:
	s_mov_b32 s0, -1
                                        ; implicit-def: $vgpr2_vgpr3
.LBB110_149:
	s_delay_alu instid0(SALU_CYCLE_1)
	s_and_not1_b32 vcc_lo, exec_lo, s0
	s_cbranch_vccnz .LBB110_151
; %bb.150:
	global_load_u8 v0, v[0:1], off
	s_wait_loadcnt 0x0
	v_cvt_f64_u32_e32 v[2:3], v0
.LBB110_151:
	s_branch .LBB110_11
.LBB110_152:
	s_mov_b32 s0, 0
	s_mov_b32 s25, 0
	;; [unrolled: 1-line block ×3, first 2 shown]
	s_branch .LBB110_510
.LBB110_153:
	s_mov_b32 s26, -1
.LBB110_154:
	s_mov_b32 s25, 0
                                        ; implicit-def: $vgpr0_vgpr1
.LBB110_155:
	s_and_b32 vcc_lo, exec_lo, s30
	s_cbranch_vccz .LBB110_160
; %bb.156:
	s_cmp_eq_u32 s23, 44
	s_cbranch_scc0 .LBB110_159
; %bb.157:
	global_load_u8 v6, v[4:5], off
	s_mov_b32 s26, 0
	s_mov_b32 s25, -1
	s_wait_loadcnt 0x0
	v_cmp_ne_u32_e32 vcc_lo, 0xff, v6
	v_lshlrev_b32_e32 v0, 23, v6
	s_delay_alu instid0(VALU_DEP_1) | instskip(NEXT) | instid1(VALU_DEP_1)
	v_cvt_f64_f32_e32 v[0:1], v0
	v_cndmask_b32_e32 v0, 0x20000000, v0, vcc_lo
	s_delay_alu instid0(VALU_DEP_2) | instskip(SKIP_1) | instid1(VALU_DEP_2)
	v_cndmask_b32_e32 v1, 0x7ff80000, v1, vcc_lo
	v_cmp_ne_u32_e32 vcc_lo, 0, v6
	v_cndmask_b32_e32 v1, 0x38000000, v1, vcc_lo
	s_delay_alu instid0(VALU_DEP_4)
	v_cndmask_b32_e32 v0, 0, v0, vcc_lo
	s_branch .LBB110_160
.LBB110_158:
	s_mov_b32 s30, -1
	s_mov_b32 s25, 0
	s_branch .LBB110_271
.LBB110_159:
	s_mov_b32 s26, -1
                                        ; implicit-def: $vgpr0_vgpr1
.LBB110_160:
	s_mov_b32 s30, 0
.LBB110_161:
	s_delay_alu instid0(SALU_CYCLE_1)
	s_and_b32 vcc_lo, exec_lo, s30
	s_cbranch_vccz .LBB110_165
; %bb.162:
	s_cmp_eq_u32 s23, 29
	s_cbranch_scc0 .LBB110_164
; %bb.163:
	global_load_b64 v[0:1], v[4:5], off
	s_mov_b32 s25, -1
	s_mov_b32 s26, 0
	s_mov_b32 s30, 0
	s_wait_loadcnt 0x0
	v_cvt_f64_u32_e32 v[6:7], v1
	v_cvt_f64_u32_e32 v[0:1], v0
	s_delay_alu instid0(VALU_DEP_2) | instskip(NEXT) | instid1(VALU_DEP_1)
	v_ldexp_f64 v[6:7], v[6:7], 32
	v_add_f64_e32 v[0:1], v[6:7], v[0:1]
	s_branch .LBB110_166
.LBB110_164:
	s_mov_b32 s26, -1
                                        ; implicit-def: $vgpr0_vgpr1
.LBB110_165:
	s_mov_b32 s30, 0
.LBB110_166:
	s_delay_alu instid0(SALU_CYCLE_1)
	s_and_b32 vcc_lo, exec_lo, s30
	s_cbranch_vccz .LBB110_184
; %bb.167:
	s_cmp_lt_i32 s23, 27
	s_cbranch_scc1 .LBB110_170
; %bb.168:
	s_cmp_gt_i32 s23, 27
	s_cbranch_scc0 .LBB110_171
; %bb.169:
	global_load_b32 v0, v[4:5], off
	s_mov_b32 s25, 0
	s_wait_loadcnt 0x0
	v_cvt_f64_u32_e32 v[0:1], v0
	s_branch .LBB110_172
.LBB110_170:
	s_mov_b32 s25, -1
                                        ; implicit-def: $vgpr0_vgpr1
	s_branch .LBB110_175
.LBB110_171:
	s_mov_b32 s25, -1
                                        ; implicit-def: $vgpr0_vgpr1
.LBB110_172:
	s_delay_alu instid0(SALU_CYCLE_1)
	s_and_not1_b32 vcc_lo, exec_lo, s25
	s_cbranch_vccnz .LBB110_174
; %bb.173:
	global_load_u16 v0, v[4:5], off
	s_wait_loadcnt 0x0
	v_cvt_f64_u32_e32 v[0:1], v0
.LBB110_174:
	s_mov_b32 s25, 0
.LBB110_175:
	s_delay_alu instid0(SALU_CYCLE_1)
	s_and_not1_b32 vcc_lo, exec_lo, s25
	s_cbranch_vccnz .LBB110_183
; %bb.176:
	global_load_u8 v6, v[4:5], off
	s_mov_b32 s25, 0
	s_mov_b32 s30, exec_lo
	s_wait_loadcnt 0x0
	v_cmpx_lt_i16_e32 0x7f, v6
	s_xor_b32 s30, exec_lo, s30
	s_cbranch_execz .LBB110_197
; %bb.177:
	s_mov_b32 s25, -1
	s_mov_b32 s31, exec_lo
	v_cmpx_eq_u16_e32 0x80, v6
; %bb.178:
	s_xor_b32 s25, exec_lo, -1
; %bb.179:
	s_or_b32 exec_lo, exec_lo, s31
	s_delay_alu instid0(SALU_CYCLE_1)
	s_and_b32 s25, s25, exec_lo
	s_or_saveexec_b32 s30, s30
	v_mov_b64_e32 v[0:1], 0x7ff8000020000000
	s_xor_b32 exec_lo, exec_lo, s30
	s_cbranch_execnz .LBB110_198
.LBB110_180:
	s_or_b32 exec_lo, exec_lo, s30
	s_and_saveexec_b32 s30, s25
	s_cbranch_execz .LBB110_182
.LBB110_181:
	v_and_b32_e32 v0, 0xffff, v6
	s_delay_alu instid0(VALU_DEP_1) | instskip(SKIP_1) | instid1(VALU_DEP_2)
	v_and_b32_e32 v1, 7, v0
	v_bfe_u32 v9, v0, 3, 4
	v_clz_i32_u32_e32 v7, v1
	s_delay_alu instid0(VALU_DEP_2) | instskip(NEXT) | instid1(VALU_DEP_2)
	v_cmp_eq_u32_e32 vcc_lo, 0, v9
	v_min_u32_e32 v7, 32, v7
	s_delay_alu instid0(VALU_DEP_1) | instskip(NEXT) | instid1(VALU_DEP_1)
	v_subrev_nc_u32_e32 v8, 28, v7
	v_dual_lshlrev_b32 v0, v8, v0 :: v_dual_sub_nc_u32 v7, 29, v7
	s_delay_alu instid0(VALU_DEP_1) | instskip(NEXT) | instid1(VALU_DEP_2)
	v_dual_lshlrev_b32 v6, 24, v6 :: v_dual_bitop2_b32 v0, 7, v0 bitop3:0x40
	v_cndmask_b32_e32 v7, v9, v7, vcc_lo
	s_delay_alu instid0(VALU_DEP_2) | instskip(NEXT) | instid1(VALU_DEP_3)
	v_cndmask_b32_e32 v0, v1, v0, vcc_lo
	v_and_b32_e32 v1, 0x80000000, v6
	s_delay_alu instid0(VALU_DEP_3) | instskip(NEXT) | instid1(VALU_DEP_3)
	v_lshl_add_u32 v6, v7, 23, 0x3b800000
	v_lshlrev_b32_e32 v0, 20, v0
	s_delay_alu instid0(VALU_DEP_1) | instskip(NEXT) | instid1(VALU_DEP_1)
	v_or3_b32 v0, v1, v6, v0
	v_cvt_f64_f32_e32 v[0:1], v0
.LBB110_182:
	s_or_b32 exec_lo, exec_lo, s30
.LBB110_183:
	s_mov_b32 s25, -1
.LBB110_184:
	s_mov_b32 s30, 0
.LBB110_185:
	s_delay_alu instid0(SALU_CYCLE_1)
	s_and_b32 vcc_lo, exec_lo, s30
	s_cbranch_vccz .LBB110_220
; %bb.186:
	s_cmp_gt_i32 s23, 22
	s_cbranch_scc0 .LBB110_196
; %bb.187:
	s_cmp_lt_i32 s23, 24
	s_cbranch_scc1 .LBB110_199
; %bb.188:
	s_cmp_gt_i32 s23, 24
	s_cbranch_scc0 .LBB110_200
; %bb.189:
	global_load_u8 v6, v[4:5], off
	s_mov_b32 s25, 0
	s_mov_b32 s30, exec_lo
	s_wait_loadcnt 0x0
	v_cmpx_lt_i16_e32 0x7f, v6
	s_xor_b32 s30, exec_lo, s30
	s_cbranch_execz .LBB110_212
; %bb.190:
	s_mov_b32 s25, -1
	s_mov_b32 s31, exec_lo
	v_cmpx_eq_u16_e32 0x80, v6
; %bb.191:
	s_xor_b32 s25, exec_lo, -1
; %bb.192:
	s_or_b32 exec_lo, exec_lo, s31
	s_delay_alu instid0(SALU_CYCLE_1)
	s_and_b32 s25, s25, exec_lo
	s_or_saveexec_b32 s30, s30
	v_mov_b64_e32 v[0:1], 0x7ff8000020000000
	s_xor_b32 exec_lo, exec_lo, s30
	s_cbranch_execnz .LBB110_213
.LBB110_193:
	s_or_b32 exec_lo, exec_lo, s30
	s_and_saveexec_b32 s30, s25
	s_cbranch_execz .LBB110_195
.LBB110_194:
	v_and_b32_e32 v0, 0xffff, v6
	s_delay_alu instid0(VALU_DEP_1) | instskip(SKIP_1) | instid1(VALU_DEP_2)
	v_and_b32_e32 v1, 3, v0
	v_bfe_u32 v9, v0, 2, 5
	v_clz_i32_u32_e32 v7, v1
	s_delay_alu instid0(VALU_DEP_2) | instskip(NEXT) | instid1(VALU_DEP_2)
	v_cmp_eq_u32_e32 vcc_lo, 0, v9
	v_min_u32_e32 v7, 32, v7
	s_delay_alu instid0(VALU_DEP_1) | instskip(NEXT) | instid1(VALU_DEP_1)
	v_subrev_nc_u32_e32 v8, 29, v7
	v_dual_lshlrev_b32 v0, v8, v0 :: v_dual_sub_nc_u32 v7, 30, v7
	s_delay_alu instid0(VALU_DEP_1) | instskip(NEXT) | instid1(VALU_DEP_2)
	v_dual_lshlrev_b32 v6, 24, v6 :: v_dual_bitop2_b32 v0, 3, v0 bitop3:0x40
	v_cndmask_b32_e32 v7, v9, v7, vcc_lo
	s_delay_alu instid0(VALU_DEP_2) | instskip(NEXT) | instid1(VALU_DEP_3)
	v_cndmask_b32_e32 v0, v1, v0, vcc_lo
	v_and_b32_e32 v1, 0x80000000, v6
	s_delay_alu instid0(VALU_DEP_3) | instskip(NEXT) | instid1(VALU_DEP_3)
	v_lshl_add_u32 v6, v7, 23, 0x37800000
	v_lshlrev_b32_e32 v0, 21, v0
	s_delay_alu instid0(VALU_DEP_1) | instskip(NEXT) | instid1(VALU_DEP_1)
	v_or3_b32 v0, v1, v6, v0
	v_cvt_f64_f32_e32 v[0:1], v0
.LBB110_195:
	s_or_b32 exec_lo, exec_lo, s30
	s_mov_b32 s25, 0
	s_branch .LBB110_201
.LBB110_196:
	s_mov_b32 s30, -1
                                        ; implicit-def: $vgpr0_vgpr1
	s_branch .LBB110_207
.LBB110_197:
	s_or_saveexec_b32 s30, s30
	v_mov_b64_e32 v[0:1], 0x7ff8000020000000
	s_xor_b32 exec_lo, exec_lo, s30
	s_cbranch_execz .LBB110_180
.LBB110_198:
	v_cmp_ne_u16_e32 vcc_lo, 0, v6
	v_mov_b64_e32 v[0:1], 0
	s_and_not1_b32 s25, s25, exec_lo
	s_and_b32 s31, vcc_lo, exec_lo
	s_delay_alu instid0(SALU_CYCLE_1)
	s_or_b32 s25, s25, s31
	s_or_b32 exec_lo, exec_lo, s30
	s_and_saveexec_b32 s30, s25
	s_cbranch_execnz .LBB110_181
	s_branch .LBB110_182
.LBB110_199:
	s_mov_b32 s25, -1
                                        ; implicit-def: $vgpr0_vgpr1
	s_branch .LBB110_204
.LBB110_200:
	s_mov_b32 s25, -1
                                        ; implicit-def: $vgpr0_vgpr1
.LBB110_201:
	s_delay_alu instid0(SALU_CYCLE_1)
	s_and_b32 vcc_lo, exec_lo, s25
	s_cbranch_vccz .LBB110_203
; %bb.202:
	global_load_u8 v0, v[4:5], off
	s_wait_loadcnt 0x0
	v_lshlrev_b32_e32 v0, 24, v0
	s_delay_alu instid0(VALU_DEP_1) | instskip(NEXT) | instid1(VALU_DEP_1)
	v_and_b32_e32 v1, 0x7f000000, v0
	v_clz_i32_u32_e32 v6, v1
	v_cmp_ne_u32_e32 vcc_lo, 0, v1
	v_add_nc_u32_e32 v8, 0x1000000, v1
	s_delay_alu instid0(VALU_DEP_3) | instskip(NEXT) | instid1(VALU_DEP_1)
	v_min_u32_e32 v6, 32, v6
	v_sub_nc_u32_e64 v6, v6, 4 clamp
	s_delay_alu instid0(VALU_DEP_1) | instskip(NEXT) | instid1(VALU_DEP_1)
	v_dual_lshlrev_b32 v7, v6, v1 :: v_dual_lshlrev_b32 v6, 23, v6
	v_lshrrev_b32_e32 v7, 4, v7
	s_delay_alu instid0(VALU_DEP_1) | instskip(NEXT) | instid1(VALU_DEP_1)
	v_dual_sub_nc_u32 v6, v7, v6 :: v_dual_ashrrev_i32 v7, 8, v8
	v_add_nc_u32_e32 v6, 0x3c000000, v6
	s_delay_alu instid0(VALU_DEP_1) | instskip(NEXT) | instid1(VALU_DEP_1)
	v_and_or_b32 v6, 0x7f800000, v7, v6
	v_cndmask_b32_e32 v1, 0, v6, vcc_lo
	s_delay_alu instid0(VALU_DEP_1) | instskip(NEXT) | instid1(VALU_DEP_1)
	v_and_or_b32 v0, 0x80000000, v0, v1
	v_cvt_f64_f32_e32 v[0:1], v0
.LBB110_203:
	s_mov_b32 s25, 0
.LBB110_204:
	s_delay_alu instid0(SALU_CYCLE_1)
	s_and_not1_b32 vcc_lo, exec_lo, s25
	s_cbranch_vccnz .LBB110_206
; %bb.205:
	global_load_u8 v0, v[4:5], off
	s_wait_loadcnt 0x0
	v_lshlrev_b32_e32 v1, 25, v0
	v_lshlrev_b16 v0, 8, v0
	s_delay_alu instid0(VALU_DEP_1) | instskip(SKIP_1) | instid1(VALU_DEP_2)
	v_and_or_b32 v7, 0x7f00, v0, 0.5
	v_bfe_i32 v0, v0, 0, 16
	v_dual_add_f32 v7, -0.5, v7 :: v_dual_lshrrev_b32 v6, 4, v1
	v_cmp_gt_u32_e32 vcc_lo, 0x8000000, v1
	s_delay_alu instid0(VALU_DEP_2) | instskip(NEXT) | instid1(VALU_DEP_1)
	v_or_b32_e32 v6, 0x70000000, v6
	v_mul_f32_e32 v6, 0x7800000, v6
	s_delay_alu instid0(VALU_DEP_1) | instskip(NEXT) | instid1(VALU_DEP_1)
	v_cndmask_b32_e32 v1, v6, v7, vcc_lo
	v_and_or_b32 v0, 0x80000000, v0, v1
	s_delay_alu instid0(VALU_DEP_1)
	v_cvt_f64_f32_e32 v[0:1], v0
.LBB110_206:
	s_mov_b32 s30, 0
	s_mov_b32 s25, -1
.LBB110_207:
	s_and_not1_b32 vcc_lo, exec_lo, s30
	s_cbranch_vccnz .LBB110_220
; %bb.208:
	s_cmp_gt_i32 s23, 14
	s_cbranch_scc0 .LBB110_211
; %bb.209:
	s_cmp_eq_u32 s23, 15
	s_cbranch_scc0 .LBB110_214
; %bb.210:
	global_load_u16 v0, v[4:5], off
	s_mov_b32 s25, -1
	s_mov_b32 s26, 0
	s_wait_loadcnt 0x0
	v_lshlrev_b32_e32 v0, 16, v0
	s_delay_alu instid0(VALU_DEP_1)
	v_cvt_f64_f32_e32 v[0:1], v0
	s_branch .LBB110_215
.LBB110_211:
	s_mov_b32 s30, -1
                                        ; implicit-def: $vgpr0_vgpr1
	s_branch .LBB110_216
.LBB110_212:
	s_or_saveexec_b32 s30, s30
	v_mov_b64_e32 v[0:1], 0x7ff8000020000000
	s_xor_b32 exec_lo, exec_lo, s30
	s_cbranch_execz .LBB110_193
.LBB110_213:
	v_cmp_ne_u16_e32 vcc_lo, 0, v6
	v_mov_b64_e32 v[0:1], 0
	s_and_not1_b32 s25, s25, exec_lo
	s_and_b32 s31, vcc_lo, exec_lo
	s_delay_alu instid0(SALU_CYCLE_1)
	s_or_b32 s25, s25, s31
	s_or_b32 exec_lo, exec_lo, s30
	s_and_saveexec_b32 s30, s25
	s_cbranch_execnz .LBB110_194
	s_branch .LBB110_195
.LBB110_214:
	s_mov_b32 s26, -1
                                        ; implicit-def: $vgpr0_vgpr1
.LBB110_215:
	s_mov_b32 s30, 0
.LBB110_216:
	s_delay_alu instid0(SALU_CYCLE_1)
	s_and_b32 vcc_lo, exec_lo, s30
	s_cbranch_vccz .LBB110_220
; %bb.217:
	s_cmp_eq_u32 s23, 11
	s_cbranch_scc0 .LBB110_219
; %bb.218:
	global_load_u8 v0, v[4:5], off
	s_mov_b32 s26, 0
	s_mov_b32 s25, -1
	s_wait_loadcnt 0x0
	v_cmp_ne_u16_e32 vcc_lo, 0, v0
	v_mov_b32_e32 v0, 0
	v_cndmask_b32_e64 v1, 0, 0x3ff00000, vcc_lo
	s_branch .LBB110_220
.LBB110_219:
	s_mov_b32 s26, -1
                                        ; implicit-def: $vgpr0_vgpr1
.LBB110_220:
	s_branch .LBB110_20
.LBB110_221:
	s_and_b32 s0, 0xffff, s0
	s_delay_alu instid0(SALU_CYCLE_1)
	s_cmp_lt_i32 s0, 5
	s_cbranch_scc1 .LBB110_226
; %bb.222:
	s_cmp_lt_i32 s0, 8
	s_cbranch_scc1 .LBB110_227
; %bb.223:
	s_cmp_lt_i32 s0, 9
	s_cbranch_scc1 .LBB110_228
; %bb.224:
	s_cmp_gt_i32 s0, 9
	s_cbranch_scc0 .LBB110_229
; %bb.225:
	global_load_b64 v[0:1], v[4:5], off
	s_mov_b32 s23, 0
	s_branch .LBB110_230
.LBB110_226:
	s_mov_b32 s23, -1
                                        ; implicit-def: $vgpr0_vgpr1
	s_branch .LBB110_248
.LBB110_227:
	s_mov_b32 s23, -1
                                        ; implicit-def: $vgpr0_vgpr1
	s_branch .LBB110_236
.LBB110_228:
	s_mov_b32 s23, -1
                                        ; implicit-def: $vgpr0_vgpr1
	s_branch .LBB110_233
.LBB110_229:
	s_mov_b32 s23, -1
                                        ; implicit-def: $vgpr0_vgpr1
.LBB110_230:
	s_delay_alu instid0(SALU_CYCLE_1)
	s_and_not1_b32 vcc_lo, exec_lo, s23
	s_cbranch_vccnz .LBB110_232
; %bb.231:
	s_wait_loadcnt 0x0
	global_load_b32 v0, v[4:5], off
	s_wait_loadcnt 0x0
	v_cvt_f64_f32_e32 v[0:1], v0
.LBB110_232:
	s_mov_b32 s23, 0
.LBB110_233:
	s_delay_alu instid0(SALU_CYCLE_1)
	s_and_not1_b32 vcc_lo, exec_lo, s23
	s_cbranch_vccnz .LBB110_235
; %bb.234:
	s_wait_loadcnt 0x0
	global_load_b32 v0, v[4:5], off
	s_wait_loadcnt 0x0
	v_cvt_f32_f16_e32 v0, v0
	s_delay_alu instid0(VALU_DEP_1)
	v_cvt_f64_f32_e32 v[0:1], v0
.LBB110_235:
	s_mov_b32 s23, 0
.LBB110_236:
	s_delay_alu instid0(SALU_CYCLE_1)
	s_and_not1_b32 vcc_lo, exec_lo, s23
	s_cbranch_vccnz .LBB110_247
; %bb.237:
	s_cmp_lt_i32 s0, 6
	s_cbranch_scc1 .LBB110_240
; %bb.238:
	s_cmp_gt_i32 s0, 6
	s_cbranch_scc0 .LBB110_241
; %bb.239:
	s_wait_loadcnt 0x0
	global_load_b64 v[0:1], v[4:5], off
	s_mov_b32 s23, 0
	s_branch .LBB110_242
.LBB110_240:
	s_mov_b32 s23, -1
                                        ; implicit-def: $vgpr0_vgpr1
	s_branch .LBB110_245
.LBB110_241:
	s_mov_b32 s23, -1
                                        ; implicit-def: $vgpr0_vgpr1
.LBB110_242:
	s_delay_alu instid0(SALU_CYCLE_1)
	s_and_not1_b32 vcc_lo, exec_lo, s23
	s_cbranch_vccnz .LBB110_244
; %bb.243:
	s_wait_loadcnt 0x0
	global_load_b32 v0, v[4:5], off
	s_wait_loadcnt 0x0
	v_cvt_f64_f32_e32 v[0:1], v0
.LBB110_244:
	s_mov_b32 s23, 0
.LBB110_245:
	s_delay_alu instid0(SALU_CYCLE_1)
	s_and_not1_b32 vcc_lo, exec_lo, s23
	s_cbranch_vccnz .LBB110_247
; %bb.246:
	s_wait_loadcnt 0x0
	global_load_u16 v0, v[4:5], off
	s_wait_loadcnt 0x0
	v_cvt_f32_f16_e32 v0, v0
	s_delay_alu instid0(VALU_DEP_1)
	v_cvt_f64_f32_e32 v[0:1], v0
.LBB110_247:
	s_mov_b32 s23, 0
.LBB110_248:
	s_delay_alu instid0(SALU_CYCLE_1)
	s_and_not1_b32 vcc_lo, exec_lo, s23
	s_cbranch_vccnz .LBB110_268
; %bb.249:
	s_cmp_lt_i32 s0, 2
	s_cbranch_scc1 .LBB110_253
; %bb.250:
	s_cmp_lt_i32 s0, 3
	s_cbranch_scc1 .LBB110_254
; %bb.251:
	s_cmp_gt_i32 s0, 3
	s_cbranch_scc0 .LBB110_255
; %bb.252:
	s_wait_loadcnt 0x0
	global_load_b64 v[0:1], v[4:5], off
	s_mov_b32 s23, 0
	s_wait_loadcnt 0x0
	v_cvt_f64_i32_e32 v[6:7], v1
	v_cvt_f64_u32_e32 v[0:1], v0
	s_delay_alu instid0(VALU_DEP_2) | instskip(NEXT) | instid1(VALU_DEP_1)
	v_ldexp_f64 v[6:7], v[6:7], 32
	v_add_f64_e32 v[0:1], v[6:7], v[0:1]
	s_branch .LBB110_256
.LBB110_253:
	s_mov_b32 s23, -1
                                        ; implicit-def: $vgpr0_vgpr1
	s_branch .LBB110_262
.LBB110_254:
	s_mov_b32 s23, -1
                                        ; implicit-def: $vgpr0_vgpr1
	s_branch .LBB110_259
.LBB110_255:
	s_mov_b32 s23, -1
                                        ; implicit-def: $vgpr0_vgpr1
.LBB110_256:
	s_delay_alu instid0(SALU_CYCLE_1)
	s_and_not1_b32 vcc_lo, exec_lo, s23
	s_cbranch_vccnz .LBB110_258
; %bb.257:
	s_wait_loadcnt 0x0
	global_load_b32 v0, v[4:5], off
	s_wait_loadcnt 0x0
	v_cvt_f64_i32_e32 v[0:1], v0
.LBB110_258:
	s_mov_b32 s23, 0
.LBB110_259:
	s_delay_alu instid0(SALU_CYCLE_1)
	s_and_not1_b32 vcc_lo, exec_lo, s23
	s_cbranch_vccnz .LBB110_261
; %bb.260:
	s_wait_loadcnt 0x0
	global_load_i16 v0, v[4:5], off
	s_wait_loadcnt 0x0
	v_cvt_f64_i32_e32 v[0:1], v0
.LBB110_261:
	s_mov_b32 s23, 0
.LBB110_262:
	s_delay_alu instid0(SALU_CYCLE_1)
	s_and_not1_b32 vcc_lo, exec_lo, s23
	s_cbranch_vccnz .LBB110_268
; %bb.263:
	s_cmp_gt_i32 s0, 0
	s_mov_b32 s0, 0
	s_cbranch_scc0 .LBB110_265
; %bb.264:
	s_wait_loadcnt 0x0
	global_load_i8 v0, v[4:5], off
	s_wait_loadcnt 0x0
	v_cvt_f64_i32_e32 v[0:1], v0
	s_branch .LBB110_266
.LBB110_265:
	s_mov_b32 s0, -1
                                        ; implicit-def: $vgpr0_vgpr1
.LBB110_266:
	s_delay_alu instid0(SALU_CYCLE_1)
	s_and_not1_b32 vcc_lo, exec_lo, s0
	s_cbranch_vccnz .LBB110_268
; %bb.267:
	s_wait_loadcnt 0x0
	global_load_u8 v0, v[4:5], off
	s_wait_loadcnt 0x0
	v_cvt_f64_u32_e32 v[0:1], v0
.LBB110_268:
	s_branch .LBB110_21
.LBB110_269:
	s_mov_b32 s0, 0
	s_mov_b32 s25, 0
	s_branch .LBB110_510
.LBB110_270:
	s_mov_b32 s25, -1
.LBB110_271:
	s_mov_b32 s23, 0
                                        ; implicit-def: $vgpr6_vgpr7
.LBB110_272:
	s_and_b32 vcc_lo, exec_lo, s30
	s_cbranch_vccz .LBB110_276
; %bb.273:
	s_cmp_eq_u32 s0, 44
	s_cbranch_scc0 .LBB110_275
; %bb.274:
	global_load_u8 v8, v[4:5], off
	s_mov_b32 s25, 0
	s_mov_b32 s23, -1
	s_wait_loadcnt 0x0
	v_cmp_ne_u32_e32 vcc_lo, 0xff, v8
	v_lshlrev_b32_e32 v6, 23, v8
	s_delay_alu instid0(VALU_DEP_1) | instskip(NEXT) | instid1(VALU_DEP_1)
	v_cvt_f64_f32_e32 v[6:7], v6
	v_cndmask_b32_e32 v6, 0x20000000, v6, vcc_lo
	s_delay_alu instid0(VALU_DEP_2) | instskip(SKIP_1) | instid1(VALU_DEP_2)
	v_cndmask_b32_e32 v7, 0x7ff80000, v7, vcc_lo
	v_cmp_ne_u32_e32 vcc_lo, 0, v8
	v_cndmask_b32_e32 v7, 0x38000000, v7, vcc_lo
	s_delay_alu instid0(VALU_DEP_4)
	v_cndmask_b32_e32 v6, 0, v6, vcc_lo
	s_branch .LBB110_276
.LBB110_275:
	s_mov_b32 s25, -1
                                        ; implicit-def: $vgpr6_vgpr7
.LBB110_276:
	s_mov_b32 s30, 0
.LBB110_277:
	s_delay_alu instid0(SALU_CYCLE_1)
	s_and_b32 vcc_lo, exec_lo, s30
	s_cbranch_vccz .LBB110_281
; %bb.278:
	s_cmp_eq_u32 s0, 29
	s_cbranch_scc0 .LBB110_280
; %bb.279:
	global_load_b64 v[6:7], v[4:5], off
	s_mov_b32 s23, -1
	s_mov_b32 s25, 0
	s_mov_b32 s30, 0
	s_wait_loadcnt 0x0
	v_cvt_f64_u32_e32 v[8:9], v7
	v_cvt_f64_u32_e32 v[6:7], v6
	s_delay_alu instid0(VALU_DEP_2) | instskip(NEXT) | instid1(VALU_DEP_1)
	v_ldexp_f64 v[8:9], v[8:9], 32
	v_add_f64_e32 v[6:7], v[8:9], v[6:7]
	s_branch .LBB110_282
.LBB110_280:
	s_mov_b32 s25, -1
                                        ; implicit-def: $vgpr6_vgpr7
.LBB110_281:
	s_mov_b32 s30, 0
.LBB110_282:
	s_delay_alu instid0(SALU_CYCLE_1)
	s_and_b32 vcc_lo, exec_lo, s30
	s_cbranch_vccz .LBB110_300
; %bb.283:
	s_cmp_lt_i32 s0, 27
	s_cbranch_scc1 .LBB110_286
; %bb.284:
	s_cmp_gt_i32 s0, 27
	s_cbranch_scc0 .LBB110_287
; %bb.285:
	global_load_b32 v6, v[4:5], off
	s_mov_b32 s23, 0
	s_wait_loadcnt 0x0
	v_cvt_f64_u32_e32 v[6:7], v6
	s_branch .LBB110_288
.LBB110_286:
	s_mov_b32 s23, -1
                                        ; implicit-def: $vgpr6_vgpr7
	s_branch .LBB110_291
.LBB110_287:
	s_mov_b32 s23, -1
                                        ; implicit-def: $vgpr6_vgpr7
.LBB110_288:
	s_delay_alu instid0(SALU_CYCLE_1)
	s_and_not1_b32 vcc_lo, exec_lo, s23
	s_cbranch_vccnz .LBB110_290
; %bb.289:
	global_load_u16 v6, v[4:5], off
	s_wait_loadcnt 0x0
	v_cvt_f64_u32_e32 v[6:7], v6
.LBB110_290:
	s_mov_b32 s23, 0
.LBB110_291:
	s_delay_alu instid0(SALU_CYCLE_1)
	s_and_not1_b32 vcc_lo, exec_lo, s23
	s_cbranch_vccnz .LBB110_299
; %bb.292:
	global_load_u8 v8, v[4:5], off
	s_mov_b32 s23, 0
	s_mov_b32 s30, exec_lo
	s_wait_loadcnt 0x0
	v_cmpx_lt_i16_e32 0x7f, v8
	s_xor_b32 s30, exec_lo, s30
	s_cbranch_execz .LBB110_313
; %bb.293:
	s_mov_b32 s23, -1
	s_mov_b32 s31, exec_lo
	v_cmpx_eq_u16_e32 0x80, v8
; %bb.294:
	s_xor_b32 s23, exec_lo, -1
; %bb.295:
	s_or_b32 exec_lo, exec_lo, s31
	s_delay_alu instid0(SALU_CYCLE_1)
	s_and_b32 s23, s23, exec_lo
	s_or_saveexec_b32 s30, s30
	v_mov_b64_e32 v[6:7], 0x7ff8000020000000
	s_xor_b32 exec_lo, exec_lo, s30
	s_cbranch_execnz .LBB110_314
.LBB110_296:
	s_or_b32 exec_lo, exec_lo, s30
	s_and_saveexec_b32 s30, s23
	s_cbranch_execz .LBB110_298
.LBB110_297:
	v_and_b32_e32 v6, 0xffff, v8
	s_delay_alu instid0(VALU_DEP_1) | instskip(SKIP_1) | instid1(VALU_DEP_2)
	v_and_b32_e32 v7, 7, v6
	v_bfe_u32 v11, v6, 3, 4
	v_clz_i32_u32_e32 v9, v7
	s_delay_alu instid0(VALU_DEP_2) | instskip(NEXT) | instid1(VALU_DEP_2)
	v_cmp_eq_u32_e32 vcc_lo, 0, v11
	v_min_u32_e32 v9, 32, v9
	s_delay_alu instid0(VALU_DEP_1) | instskip(NEXT) | instid1(VALU_DEP_1)
	v_subrev_nc_u32_e32 v10, 28, v9
	v_dual_lshlrev_b32 v6, v10, v6 :: v_dual_sub_nc_u32 v9, 29, v9
	s_delay_alu instid0(VALU_DEP_1) | instskip(NEXT) | instid1(VALU_DEP_2)
	v_dual_lshlrev_b32 v8, 24, v8 :: v_dual_bitop2_b32 v6, 7, v6 bitop3:0x40
	v_cndmask_b32_e32 v9, v11, v9, vcc_lo
	s_delay_alu instid0(VALU_DEP_2) | instskip(NEXT) | instid1(VALU_DEP_3)
	v_cndmask_b32_e32 v6, v7, v6, vcc_lo
	v_and_b32_e32 v7, 0x80000000, v8
	s_delay_alu instid0(VALU_DEP_3) | instskip(NEXT) | instid1(VALU_DEP_3)
	v_lshl_add_u32 v8, v9, 23, 0x3b800000
	v_lshlrev_b32_e32 v6, 20, v6
	s_delay_alu instid0(VALU_DEP_1) | instskip(NEXT) | instid1(VALU_DEP_1)
	v_or3_b32 v6, v7, v8, v6
	v_cvt_f64_f32_e32 v[6:7], v6
.LBB110_298:
	s_or_b32 exec_lo, exec_lo, s30
.LBB110_299:
	s_mov_b32 s23, -1
.LBB110_300:
	s_mov_b32 s30, 0
.LBB110_301:
	s_delay_alu instid0(SALU_CYCLE_1)
	s_and_b32 vcc_lo, exec_lo, s30
	s_cbranch_vccz .LBB110_336
; %bb.302:
	s_cmp_gt_i32 s0, 22
	s_cbranch_scc0 .LBB110_312
; %bb.303:
	s_cmp_lt_i32 s0, 24
	s_cbranch_scc1 .LBB110_315
; %bb.304:
	s_cmp_gt_i32 s0, 24
	s_cbranch_scc0 .LBB110_316
; %bb.305:
	global_load_u8 v8, v[4:5], off
	s_mov_b32 s23, 0
	s_mov_b32 s30, exec_lo
	s_wait_loadcnt 0x0
	v_cmpx_lt_i16_e32 0x7f, v8
	s_xor_b32 s30, exec_lo, s30
	s_cbranch_execz .LBB110_328
; %bb.306:
	s_mov_b32 s23, -1
	s_mov_b32 s31, exec_lo
	v_cmpx_eq_u16_e32 0x80, v8
; %bb.307:
	s_xor_b32 s23, exec_lo, -1
; %bb.308:
	s_or_b32 exec_lo, exec_lo, s31
	s_delay_alu instid0(SALU_CYCLE_1)
	s_and_b32 s23, s23, exec_lo
	s_or_saveexec_b32 s30, s30
	v_mov_b64_e32 v[6:7], 0x7ff8000020000000
	s_xor_b32 exec_lo, exec_lo, s30
	s_cbranch_execnz .LBB110_329
.LBB110_309:
	s_or_b32 exec_lo, exec_lo, s30
	s_and_saveexec_b32 s30, s23
	s_cbranch_execz .LBB110_311
.LBB110_310:
	v_and_b32_e32 v6, 0xffff, v8
	s_delay_alu instid0(VALU_DEP_1) | instskip(SKIP_1) | instid1(VALU_DEP_2)
	v_and_b32_e32 v7, 3, v6
	v_bfe_u32 v11, v6, 2, 5
	v_clz_i32_u32_e32 v9, v7
	s_delay_alu instid0(VALU_DEP_2) | instskip(NEXT) | instid1(VALU_DEP_2)
	v_cmp_eq_u32_e32 vcc_lo, 0, v11
	v_min_u32_e32 v9, 32, v9
	s_delay_alu instid0(VALU_DEP_1) | instskip(NEXT) | instid1(VALU_DEP_1)
	v_subrev_nc_u32_e32 v10, 29, v9
	v_dual_lshlrev_b32 v6, v10, v6 :: v_dual_sub_nc_u32 v9, 30, v9
	s_delay_alu instid0(VALU_DEP_1) | instskip(NEXT) | instid1(VALU_DEP_2)
	v_dual_lshlrev_b32 v8, 24, v8 :: v_dual_bitop2_b32 v6, 3, v6 bitop3:0x40
	v_cndmask_b32_e32 v9, v11, v9, vcc_lo
	s_delay_alu instid0(VALU_DEP_2) | instskip(NEXT) | instid1(VALU_DEP_3)
	v_cndmask_b32_e32 v6, v7, v6, vcc_lo
	v_and_b32_e32 v7, 0x80000000, v8
	s_delay_alu instid0(VALU_DEP_3) | instskip(NEXT) | instid1(VALU_DEP_3)
	v_lshl_add_u32 v8, v9, 23, 0x37800000
	v_lshlrev_b32_e32 v6, 21, v6
	s_delay_alu instid0(VALU_DEP_1) | instskip(NEXT) | instid1(VALU_DEP_1)
	v_or3_b32 v6, v7, v8, v6
	v_cvt_f64_f32_e32 v[6:7], v6
.LBB110_311:
	s_or_b32 exec_lo, exec_lo, s30
	s_mov_b32 s23, 0
	s_branch .LBB110_317
.LBB110_312:
	s_mov_b32 s30, -1
                                        ; implicit-def: $vgpr6_vgpr7
	s_branch .LBB110_323
.LBB110_313:
	s_or_saveexec_b32 s30, s30
	v_mov_b64_e32 v[6:7], 0x7ff8000020000000
	s_xor_b32 exec_lo, exec_lo, s30
	s_cbranch_execz .LBB110_296
.LBB110_314:
	v_cmp_ne_u16_e32 vcc_lo, 0, v8
	v_mov_b64_e32 v[6:7], 0
	s_and_not1_b32 s23, s23, exec_lo
	s_and_b32 s31, vcc_lo, exec_lo
	s_delay_alu instid0(SALU_CYCLE_1)
	s_or_b32 s23, s23, s31
	s_or_b32 exec_lo, exec_lo, s30
	s_and_saveexec_b32 s30, s23
	s_cbranch_execnz .LBB110_297
	s_branch .LBB110_298
.LBB110_315:
	s_mov_b32 s23, -1
                                        ; implicit-def: $vgpr6_vgpr7
	s_branch .LBB110_320
.LBB110_316:
	s_mov_b32 s23, -1
                                        ; implicit-def: $vgpr6_vgpr7
.LBB110_317:
	s_delay_alu instid0(SALU_CYCLE_1)
	s_and_b32 vcc_lo, exec_lo, s23
	s_cbranch_vccz .LBB110_319
; %bb.318:
	global_load_u8 v6, v[4:5], off
	s_wait_loadcnt 0x0
	v_lshlrev_b32_e32 v6, 24, v6
	s_delay_alu instid0(VALU_DEP_1) | instskip(NEXT) | instid1(VALU_DEP_1)
	v_and_b32_e32 v7, 0x7f000000, v6
	v_clz_i32_u32_e32 v8, v7
	v_cmp_ne_u32_e32 vcc_lo, 0, v7
	v_add_nc_u32_e32 v10, 0x1000000, v7
	s_delay_alu instid0(VALU_DEP_3) | instskip(NEXT) | instid1(VALU_DEP_1)
	v_min_u32_e32 v8, 32, v8
	v_sub_nc_u32_e64 v8, v8, 4 clamp
	s_delay_alu instid0(VALU_DEP_1) | instskip(NEXT) | instid1(VALU_DEP_1)
	v_dual_lshlrev_b32 v9, v8, v7 :: v_dual_lshlrev_b32 v8, 23, v8
	v_lshrrev_b32_e32 v9, 4, v9
	s_delay_alu instid0(VALU_DEP_1) | instskip(NEXT) | instid1(VALU_DEP_1)
	v_dual_sub_nc_u32 v8, v9, v8 :: v_dual_ashrrev_i32 v9, 8, v10
	v_add_nc_u32_e32 v8, 0x3c000000, v8
	s_delay_alu instid0(VALU_DEP_1) | instskip(NEXT) | instid1(VALU_DEP_1)
	v_and_or_b32 v8, 0x7f800000, v9, v8
	v_cndmask_b32_e32 v7, 0, v8, vcc_lo
	s_delay_alu instid0(VALU_DEP_1) | instskip(NEXT) | instid1(VALU_DEP_1)
	v_and_or_b32 v6, 0x80000000, v6, v7
	v_cvt_f64_f32_e32 v[6:7], v6
.LBB110_319:
	s_mov_b32 s23, 0
.LBB110_320:
	s_delay_alu instid0(SALU_CYCLE_1)
	s_and_not1_b32 vcc_lo, exec_lo, s23
	s_cbranch_vccnz .LBB110_322
; %bb.321:
	global_load_u8 v6, v[4:5], off
	s_wait_loadcnt 0x0
	v_lshlrev_b32_e32 v7, 25, v6
	v_lshlrev_b16 v6, 8, v6
	s_delay_alu instid0(VALU_DEP_1) | instskip(SKIP_1) | instid1(VALU_DEP_2)
	v_and_or_b32 v9, 0x7f00, v6, 0.5
	v_bfe_i32 v6, v6, 0, 16
	v_dual_add_f32 v9, -0.5, v9 :: v_dual_lshrrev_b32 v8, 4, v7
	v_cmp_gt_u32_e32 vcc_lo, 0x8000000, v7
	s_delay_alu instid0(VALU_DEP_2) | instskip(NEXT) | instid1(VALU_DEP_1)
	v_or_b32_e32 v8, 0x70000000, v8
	v_mul_f32_e32 v8, 0x7800000, v8
	s_delay_alu instid0(VALU_DEP_1) | instskip(NEXT) | instid1(VALU_DEP_1)
	v_cndmask_b32_e32 v7, v8, v9, vcc_lo
	v_and_or_b32 v6, 0x80000000, v6, v7
	s_delay_alu instid0(VALU_DEP_1)
	v_cvt_f64_f32_e32 v[6:7], v6
.LBB110_322:
	s_mov_b32 s30, 0
	s_mov_b32 s23, -1
.LBB110_323:
	s_and_not1_b32 vcc_lo, exec_lo, s30
	s_cbranch_vccnz .LBB110_336
; %bb.324:
	s_cmp_gt_i32 s0, 14
	s_cbranch_scc0 .LBB110_327
; %bb.325:
	s_cmp_eq_u32 s0, 15
	s_cbranch_scc0 .LBB110_330
; %bb.326:
	global_load_u16 v6, v[4:5], off
	s_mov_b32 s23, -1
	s_mov_b32 s25, 0
	s_wait_loadcnt 0x0
	v_lshlrev_b32_e32 v6, 16, v6
	s_delay_alu instid0(VALU_DEP_1)
	v_cvt_f64_f32_e32 v[6:7], v6
	s_branch .LBB110_331
.LBB110_327:
	s_mov_b32 s30, -1
                                        ; implicit-def: $vgpr6_vgpr7
	s_branch .LBB110_332
.LBB110_328:
	s_or_saveexec_b32 s30, s30
	v_mov_b64_e32 v[6:7], 0x7ff8000020000000
	s_xor_b32 exec_lo, exec_lo, s30
	s_cbranch_execz .LBB110_309
.LBB110_329:
	v_cmp_ne_u16_e32 vcc_lo, 0, v8
	v_mov_b64_e32 v[6:7], 0
	s_and_not1_b32 s23, s23, exec_lo
	s_and_b32 s31, vcc_lo, exec_lo
	s_delay_alu instid0(SALU_CYCLE_1)
	s_or_b32 s23, s23, s31
	s_or_b32 exec_lo, exec_lo, s30
	s_and_saveexec_b32 s30, s23
	s_cbranch_execnz .LBB110_310
	s_branch .LBB110_311
.LBB110_330:
	s_mov_b32 s25, -1
                                        ; implicit-def: $vgpr6_vgpr7
.LBB110_331:
	s_mov_b32 s30, 0
.LBB110_332:
	s_delay_alu instid0(SALU_CYCLE_1)
	s_and_b32 vcc_lo, exec_lo, s30
	s_cbranch_vccz .LBB110_336
; %bb.333:
	s_cmp_eq_u32 s0, 11
	s_cbranch_scc0 .LBB110_335
; %bb.334:
	global_load_u8 v6, v[4:5], off
	s_mov_b32 s25, 0
	s_mov_b32 s23, -1
	s_wait_loadcnt 0x0
	v_cmp_ne_u16_e32 vcc_lo, 0, v6
	v_mov_b32_e32 v6, 0
	v_cndmask_b32_e64 v7, 0, 0x3ff00000, vcc_lo
	s_branch .LBB110_336
.LBB110_335:
	s_mov_b32 s25, -1
                                        ; implicit-def: $vgpr6_vgpr7
.LBB110_336:
	s_mov_b32 s30, 0
.LBB110_337:
	s_delay_alu instid0(SALU_CYCLE_1)
	s_and_b32 vcc_lo, exec_lo, s30
	s_cbranch_vccz .LBB110_386
; %bb.338:
	s_cmp_lt_i32 s0, 5
	s_cbranch_scc1 .LBB110_343
; %bb.339:
	s_cmp_lt_i32 s0, 8
	s_cbranch_scc1 .LBB110_344
	;; [unrolled: 3-line block ×3, first 2 shown]
; %bb.341:
	s_cmp_gt_i32 s0, 9
	s_cbranch_scc0 .LBB110_346
; %bb.342:
	global_load_b64 v[6:7], v[4:5], off
	s_mov_b32 s23, 0
	s_branch .LBB110_347
.LBB110_343:
	s_mov_b32 s23, -1
                                        ; implicit-def: $vgpr6_vgpr7
	s_branch .LBB110_365
.LBB110_344:
	s_mov_b32 s23, -1
                                        ; implicit-def: $vgpr6_vgpr7
	s_branch .LBB110_353
.LBB110_345:
	s_mov_b32 s23, -1
                                        ; implicit-def: $vgpr6_vgpr7
	s_branch .LBB110_350
.LBB110_346:
	s_mov_b32 s23, -1
                                        ; implicit-def: $vgpr6_vgpr7
.LBB110_347:
	s_delay_alu instid0(SALU_CYCLE_1)
	s_and_not1_b32 vcc_lo, exec_lo, s23
	s_cbranch_vccnz .LBB110_349
; %bb.348:
	s_wait_loadcnt 0x0
	global_load_b32 v6, v[4:5], off
	s_wait_loadcnt 0x0
	v_cvt_f64_f32_e32 v[6:7], v6
.LBB110_349:
	s_mov_b32 s23, 0
.LBB110_350:
	s_delay_alu instid0(SALU_CYCLE_1)
	s_and_not1_b32 vcc_lo, exec_lo, s23
	s_cbranch_vccnz .LBB110_352
; %bb.351:
	s_wait_loadcnt 0x0
	global_load_b32 v6, v[4:5], off
	s_wait_loadcnt 0x0
	v_cvt_f32_f16_e32 v6, v6
	s_delay_alu instid0(VALU_DEP_1)
	v_cvt_f64_f32_e32 v[6:7], v6
.LBB110_352:
	s_mov_b32 s23, 0
.LBB110_353:
	s_delay_alu instid0(SALU_CYCLE_1)
	s_and_not1_b32 vcc_lo, exec_lo, s23
	s_cbranch_vccnz .LBB110_364
; %bb.354:
	s_cmp_lt_i32 s0, 6
	s_cbranch_scc1 .LBB110_357
; %bb.355:
	s_cmp_gt_i32 s0, 6
	s_cbranch_scc0 .LBB110_358
; %bb.356:
	s_wait_loadcnt 0x0
	global_load_b64 v[6:7], v[4:5], off
	s_mov_b32 s23, 0
	s_branch .LBB110_359
.LBB110_357:
	s_mov_b32 s23, -1
                                        ; implicit-def: $vgpr6_vgpr7
	s_branch .LBB110_362
.LBB110_358:
	s_mov_b32 s23, -1
                                        ; implicit-def: $vgpr6_vgpr7
.LBB110_359:
	s_delay_alu instid0(SALU_CYCLE_1)
	s_and_not1_b32 vcc_lo, exec_lo, s23
	s_cbranch_vccnz .LBB110_361
; %bb.360:
	s_wait_loadcnt 0x0
	global_load_b32 v6, v[4:5], off
	s_wait_loadcnt 0x0
	v_cvt_f64_f32_e32 v[6:7], v6
.LBB110_361:
	s_mov_b32 s23, 0
.LBB110_362:
	s_delay_alu instid0(SALU_CYCLE_1)
	s_and_not1_b32 vcc_lo, exec_lo, s23
	s_cbranch_vccnz .LBB110_364
; %bb.363:
	s_wait_loadcnt 0x0
	global_load_u16 v6, v[4:5], off
	s_wait_loadcnt 0x0
	v_cvt_f32_f16_e32 v6, v6
	s_delay_alu instid0(VALU_DEP_1)
	v_cvt_f64_f32_e32 v[6:7], v6
.LBB110_364:
	s_mov_b32 s23, 0
.LBB110_365:
	s_delay_alu instid0(SALU_CYCLE_1)
	s_and_not1_b32 vcc_lo, exec_lo, s23
	s_cbranch_vccnz .LBB110_385
; %bb.366:
	s_cmp_lt_i32 s0, 2
	s_cbranch_scc1 .LBB110_370
; %bb.367:
	s_cmp_lt_i32 s0, 3
	s_cbranch_scc1 .LBB110_371
; %bb.368:
	s_cmp_gt_i32 s0, 3
	s_cbranch_scc0 .LBB110_372
; %bb.369:
	s_wait_loadcnt 0x0
	global_load_b64 v[6:7], v[4:5], off
	s_mov_b32 s23, 0
	s_wait_loadcnt 0x0
	v_cvt_f64_i32_e32 v[8:9], v7
	v_cvt_f64_u32_e32 v[6:7], v6
	s_delay_alu instid0(VALU_DEP_2) | instskip(NEXT) | instid1(VALU_DEP_1)
	v_ldexp_f64 v[8:9], v[8:9], 32
	v_add_f64_e32 v[6:7], v[8:9], v[6:7]
	s_branch .LBB110_373
.LBB110_370:
	s_mov_b32 s23, -1
                                        ; implicit-def: $vgpr6_vgpr7
	s_branch .LBB110_379
.LBB110_371:
	s_mov_b32 s23, -1
                                        ; implicit-def: $vgpr6_vgpr7
	s_branch .LBB110_376
.LBB110_372:
	s_mov_b32 s23, -1
                                        ; implicit-def: $vgpr6_vgpr7
.LBB110_373:
	s_delay_alu instid0(SALU_CYCLE_1)
	s_and_not1_b32 vcc_lo, exec_lo, s23
	s_cbranch_vccnz .LBB110_375
; %bb.374:
	s_wait_loadcnt 0x0
	global_load_b32 v6, v[4:5], off
	s_wait_loadcnt 0x0
	v_cvt_f64_i32_e32 v[6:7], v6
.LBB110_375:
	s_mov_b32 s23, 0
.LBB110_376:
	s_delay_alu instid0(SALU_CYCLE_1)
	s_and_not1_b32 vcc_lo, exec_lo, s23
	s_cbranch_vccnz .LBB110_378
; %bb.377:
	s_wait_loadcnt 0x0
	global_load_i16 v6, v[4:5], off
	s_wait_loadcnt 0x0
	v_cvt_f64_i32_e32 v[6:7], v6
.LBB110_378:
	s_mov_b32 s23, 0
.LBB110_379:
	s_delay_alu instid0(SALU_CYCLE_1)
	s_and_not1_b32 vcc_lo, exec_lo, s23
	s_cbranch_vccnz .LBB110_385
; %bb.380:
	s_cmp_gt_i32 s0, 0
	s_mov_b32 s0, 0
	s_cbranch_scc0 .LBB110_382
; %bb.381:
	s_wait_loadcnt 0x0
	global_load_i8 v6, v[4:5], off
	s_wait_loadcnt 0x0
	v_cvt_f64_i32_e32 v[6:7], v6
	s_branch .LBB110_383
.LBB110_382:
	s_mov_b32 s0, -1
                                        ; implicit-def: $vgpr6_vgpr7
.LBB110_383:
	s_delay_alu instid0(SALU_CYCLE_1)
	s_and_not1_b32 vcc_lo, exec_lo, s0
	s_cbranch_vccnz .LBB110_385
; %bb.384:
	global_load_u8 v4, v[4:5], off
	s_wait_loadcnt 0x0
	v_cvt_f64_u32_e32 v[6:7], v4
.LBB110_385:
	s_mov_b32 s23, -1
.LBB110_386:
	s_delay_alu instid0(SALU_CYCLE_1)
	s_and_not1_b32 vcc_lo, exec_lo, s23
	s_cbranch_vccnz .LBB110_394
; %bb.387:
	s_wait_loadcnt 0x0
	s_delay_alu instid0(VALU_DEP_4) | instskip(SKIP_1) | instid1(SALU_CYCLE_1)
	v_mul_f64_e32 v[0:1], s[18:19], v[0:1]
	s_and_b32 s23, s2, 0xff
	s_cmp_lt_i32 s23, 11
	s_delay_alu instid0(VALU_DEP_1) | instskip(NEXT) | instid1(VALU_DEP_1)
	v_mul_f64_e32 v[0:1], v[0:1], v[6:7]
	v_fmac_f64_e32 v[0:1], s[16:17], v[2:3]
	v_mul_lo_u32 v2, v26, s12
	s_delay_alu instid0(VALU_DEP_1) | instskip(NEXT) | instid1(VALU_DEP_1)
	v_ashrrev_i32_e32 v3, 31, v2
	v_add_nc_u64_e32 v[4:5], s[4:5], v[2:3]
	s_cbranch_scc1 .LBB110_395
; %bb.388:
	s_and_b32 s30, 0xffff, s23
	s_delay_alu instid0(SALU_CYCLE_1)
	s_cmp_gt_i32 s30, 25
	s_cbranch_scc0 .LBB110_396
; %bb.389:
	s_cmp_gt_i32 s30, 28
	s_cbranch_scc0 .LBB110_397
; %bb.390:
	;; [unrolled: 3-line block ×4, first 2 shown]
	s_mov_b32 s33, 0
	s_mov_b32 s0, -1
	s_cmp_eq_u32 s30, 46
	s_mov_b32 s31, 0
	s_cbranch_scc0 .LBB110_400
; %bb.393:
	s_delay_alu instid0(VALU_DEP_4) | instskip(SKIP_2) | instid1(VALU_DEP_1)
	v_cvt_f32_f64_e32 v2, v[0:1]
	s_mov_b32 s31, -1
	s_mov_b32 s0, 0
	v_bfe_u32 v3, v2, 16, 1
	v_cmp_o_f32_e32 vcc_lo, v2, v2
	s_delay_alu instid0(VALU_DEP_2) | instskip(NEXT) | instid1(VALU_DEP_1)
	v_add3_u32 v3, v2, v3, 0x7fff
	v_lshrrev_b32_e32 v3, 16, v3
	s_delay_alu instid0(VALU_DEP_1)
	v_cndmask_b32_e32 v2, 0x7fc0, v3, vcc_lo
	global_store_b32 v[4:5], v2, off
	s_branch .LBB110_400
.LBB110_394:
	s_mov_b32 s0, 0
	s_branch .LBB110_510
.LBB110_395:
	s_mov_b32 s30, -1
	s_mov_b32 s0, 0
	s_mov_b32 s31, 0
	s_branch .LBB110_469
.LBB110_396:
	s_mov_b32 s0, 0
	s_mov_b32 s31, 0
	s_branch .LBB110_427
.LBB110_397:
	s_mov_b32 s0, 0
	s_mov_b32 s31, 0
	s_branch .LBB110_410
.LBB110_398:
	s_mov_b32 s0, 0
	s_mov_b32 s31, 0
	s_branch .LBB110_406
.LBB110_399:
	s_mov_b32 s0, 0
	s_mov_b32 s31, 0
.LBB110_400:
	s_and_b32 vcc_lo, exec_lo, s33
	s_cbranch_vccz .LBB110_405
; %bb.401:
	s_cmp_eq_u32 s30, 44
	s_mov_b32 s0, -1
	s_cbranch_scc0 .LBB110_405
; %bb.402:
	s_wait_xcnt 0x0
	s_delay_alu instid0(VALU_DEP_4) | instskip(SKIP_2) | instid1(VALU_DEP_2)
	v_cvt_f32_f64_e32 v2, v[0:1]
	v_mov_b32_e32 v3, 0xff
	s_mov_b32 s31, exec_lo
	v_bfe_u32 v6, v2, 23, 8
	s_delay_alu instid0(VALU_DEP_1)
	v_cmpx_ne_u32_e32 0xff, v6
	s_cbranch_execz .LBB110_404
; %bb.403:
	v_and_b32_e32 v3, 0x400000, v2
	v_and_or_b32 v6, 0x3fffff, v2, v6
	v_lshrrev_b32_e32 v2, 23, v2
	s_delay_alu instid0(VALU_DEP_3) | instskip(NEXT) | instid1(VALU_DEP_3)
	v_cmp_ne_u32_e32 vcc_lo, 0, v3
	v_cmp_ne_u32_e64 s0, 0, v6
	s_and_b32 s0, vcc_lo, s0
	s_delay_alu instid0(SALU_CYCLE_1) | instskip(NEXT) | instid1(VALU_DEP_1)
	v_cndmask_b32_e64 v3, 0, 1, s0
	v_add_nc_u32_e32 v3, v2, v3
.LBB110_404:
	s_or_b32 exec_lo, exec_lo, s31
	s_mov_b32 s31, -1
	s_mov_b32 s0, 0
	global_store_b8 v[4:5], v3, off
.LBB110_405:
	s_mov_b32 s33, 0
.LBB110_406:
	s_delay_alu instid0(SALU_CYCLE_1)
	s_and_b32 vcc_lo, exec_lo, s33
	s_cbranch_vccz .LBB110_409
; %bb.407:
	s_cmp_eq_u32 s30, 29
	s_mov_b32 s0, -1
	s_cbranch_scc0 .LBB110_409
; %bb.408:
	s_wait_xcnt 0x0
	s_delay_alu instid0(VALU_DEP_4) | instskip(SKIP_3) | instid1(VALU_DEP_1)
	v_trunc_f64_e32 v[2:3], v[0:1]
	s_mov_b32 s31, -1
	s_mov_b32 s0, 0
	s_mov_b32 s33, 0
	v_ldexp_f64 v[6:7], v[2:3], 0xffffffe0
	s_delay_alu instid0(VALU_DEP_1) | instskip(NEXT) | instid1(VALU_DEP_1)
	v_floor_f64_e32 v[6:7], v[6:7]
	v_fmamk_f64 v[2:3], v[6:7], 0xc1f00000, v[2:3]
	v_cvt_u32_f64_e32 v7, v[6:7]
	s_delay_alu instid0(VALU_DEP_2)
	v_cvt_u32_f64_e32 v6, v[2:3]
	global_store_b64 v[4:5], v[6:7], off
	s_branch .LBB110_410
.LBB110_409:
	s_mov_b32 s33, 0
.LBB110_410:
	s_delay_alu instid0(SALU_CYCLE_1)
	s_and_b32 vcc_lo, exec_lo, s33
	s_cbranch_vccz .LBB110_426
; %bb.411:
	s_cmp_lt_i32 s30, 27
	s_mov_b32 s31, -1
	s_cbranch_scc1 .LBB110_417
; %bb.412:
	s_wait_xcnt 0x0
	s_delay_alu instid0(VALU_DEP_4)
	v_cvt_u32_f64_e32 v2, v[0:1]
	s_cmp_gt_i32 s30, 27
	s_cbranch_scc0 .LBB110_414
; %bb.413:
	s_mov_b32 s31, 0
	global_store_b32 v[4:5], v2, off
.LBB110_414:
	s_and_not1_b32 vcc_lo, exec_lo, s31
	s_cbranch_vccnz .LBB110_416
; %bb.415:
	global_store_b16 v[4:5], v2, off
.LBB110_416:
	s_mov_b32 s31, 0
.LBB110_417:
	s_delay_alu instid0(SALU_CYCLE_1)
	s_and_not1_b32 vcc_lo, exec_lo, s31
	s_cbranch_vccnz .LBB110_425
; %bb.418:
	s_wait_xcnt 0x0
	s_delay_alu instid0(VALU_DEP_4) | instskip(SKIP_2) | instid1(VALU_DEP_2)
	v_cvt_f32_f64_e32 v2, v[0:1]
	v_mov_b32_e32 v6, 0x80
	s_mov_b32 s31, exec_lo
	v_and_b32_e32 v3, 0x7fffffff, v2
	s_delay_alu instid0(VALU_DEP_1)
	v_cmpx_gt_u32_e32 0x43800000, v3
	s_cbranch_execz .LBB110_424
; %bb.419:
	v_cmp_lt_u32_e32 vcc_lo, 0x3bffffff, v3
	s_mov_b32 s33, 0
                                        ; implicit-def: $vgpr3
	s_and_saveexec_b32 s34, vcc_lo
	s_delay_alu instid0(SALU_CYCLE_1)
	s_xor_b32 s34, exec_lo, s34
	s_cbranch_execz .LBB110_658
; %bb.420:
	v_bfe_u32 v3, v2, 20, 1
	s_mov_b32 s33, exec_lo
	s_delay_alu instid0(VALU_DEP_1) | instskip(NEXT) | instid1(VALU_DEP_1)
	v_add3_u32 v3, v2, v3, 0x487ffff
	v_lshrrev_b32_e32 v3, 20, v3
	s_and_not1_saveexec_b32 s34, s34
	s_cbranch_execnz .LBB110_659
.LBB110_421:
	s_or_b32 exec_lo, exec_lo, s34
	v_mov_b32_e32 v6, 0
	s_and_saveexec_b32 s34, s33
.LBB110_422:
	v_lshrrev_b32_e32 v2, 24, v2
	s_delay_alu instid0(VALU_DEP_1)
	v_and_or_b32 v6, 0x80, v2, v3
.LBB110_423:
	s_or_b32 exec_lo, exec_lo, s34
.LBB110_424:
	s_delay_alu instid0(SALU_CYCLE_1)
	s_or_b32 exec_lo, exec_lo, s31
	global_store_b8 v[4:5], v6, off
.LBB110_425:
	s_mov_b32 s31, -1
.LBB110_426:
	s_mov_b32 s33, 0
.LBB110_427:
	s_delay_alu instid0(SALU_CYCLE_1)
	s_and_b32 vcc_lo, exec_lo, s33
	s_cbranch_vccz .LBB110_468
; %bb.428:
	s_cmp_gt_i32 s30, 22
	s_mov_b32 s33, -1
	s_cbranch_scc0 .LBB110_460
; %bb.429:
	s_cmp_lt_i32 s30, 24
	s_mov_b32 s31, -1
	s_cbranch_scc1 .LBB110_449
; %bb.430:
	s_cmp_gt_i32 s30, 24
	s_cbranch_scc0 .LBB110_438
; %bb.431:
	s_wait_xcnt 0x0
	s_delay_alu instid0(VALU_DEP_4) | instskip(SKIP_2) | instid1(VALU_DEP_2)
	v_cvt_f32_f64_e32 v2, v[0:1]
	v_mov_b32_e32 v6, 0x80
	s_mov_b32 s31, exec_lo
	v_and_b32_e32 v3, 0x7fffffff, v2
	s_delay_alu instid0(VALU_DEP_1)
	v_cmpx_gt_u32_e32 0x47800000, v3
	s_cbranch_execz .LBB110_437
; %bb.432:
	v_cmp_lt_u32_e32 vcc_lo, 0x37ffffff, v3
	s_mov_b32 s33, 0
                                        ; implicit-def: $vgpr3
	s_and_saveexec_b32 s34, vcc_lo
	s_delay_alu instid0(SALU_CYCLE_1)
	s_xor_b32 s34, exec_lo, s34
	s_cbranch_execz .LBB110_790
; %bb.433:
	v_bfe_u32 v3, v2, 21, 1
	s_mov_b32 s33, exec_lo
	s_delay_alu instid0(VALU_DEP_1) | instskip(NEXT) | instid1(VALU_DEP_1)
	v_add3_u32 v3, v2, v3, 0x88fffff
	v_lshrrev_b32_e32 v3, 21, v3
	s_and_not1_saveexec_b32 s34, s34
	s_cbranch_execnz .LBB110_791
.LBB110_434:
	s_or_b32 exec_lo, exec_lo, s34
	v_mov_b32_e32 v6, 0
	s_and_saveexec_b32 s34, s33
.LBB110_435:
	v_lshrrev_b32_e32 v2, 24, v2
	s_delay_alu instid0(VALU_DEP_1)
	v_and_or_b32 v6, 0x80, v2, v3
.LBB110_436:
	s_or_b32 exec_lo, exec_lo, s34
.LBB110_437:
	s_delay_alu instid0(SALU_CYCLE_1)
	s_or_b32 exec_lo, exec_lo, s31
	s_mov_b32 s31, 0
	global_store_b8 v[4:5], v6, off
.LBB110_438:
	s_and_b32 vcc_lo, exec_lo, s31
	s_cbranch_vccz .LBB110_448
; %bb.439:
	s_wait_xcnt 0x0
	s_delay_alu instid0(VALU_DEP_4) | instskip(SKIP_1) | instid1(VALU_DEP_1)
	v_cvt_f32_f64_e32 v2, v[0:1]
	s_mov_b32 s31, exec_lo
                                        ; implicit-def: $vgpr3
	v_and_b32_e32 v6, 0x7fffffff, v2
	s_delay_alu instid0(VALU_DEP_1)
	v_cmpx_gt_u32_e32 0x43f00000, v6
	s_xor_b32 s31, exec_lo, s31
	s_cbranch_execz .LBB110_445
; %bb.440:
	s_mov_b32 s33, exec_lo
                                        ; implicit-def: $vgpr3
	v_cmpx_lt_u32_e32 0x3c7fffff, v6
	s_xor_b32 s33, exec_lo, s33
; %bb.441:
	v_bfe_u32 v3, v2, 20, 1
	s_delay_alu instid0(VALU_DEP_1) | instskip(NEXT) | instid1(VALU_DEP_1)
	v_add3_u32 v3, v2, v3, 0x407ffff
	v_and_b32_e32 v6, 0xff00000, v3
	v_lshrrev_b32_e32 v3, 20, v3
	s_delay_alu instid0(VALU_DEP_2) | instskip(NEXT) | instid1(VALU_DEP_2)
	v_cmp_ne_u32_e32 vcc_lo, 0x7f00000, v6
	v_cndmask_b32_e32 v3, 0x7e, v3, vcc_lo
; %bb.442:
	s_and_not1_saveexec_b32 s33, s33
; %bb.443:
	v_add_f32_e64 v3, 0x46800000, |v2|
; %bb.444:
	s_or_b32 exec_lo, exec_lo, s33
                                        ; implicit-def: $vgpr6
.LBB110_445:
	s_and_not1_saveexec_b32 s31, s31
; %bb.446:
	v_mov_b32_e32 v3, 0x7f
	v_cmp_lt_u32_e32 vcc_lo, 0x7f800000, v6
	s_delay_alu instid0(VALU_DEP_2)
	v_cndmask_b32_e32 v3, 0x7e, v3, vcc_lo
; %bb.447:
	s_or_b32 exec_lo, exec_lo, s31
	v_lshrrev_b32_e32 v2, 24, v2
	s_delay_alu instid0(VALU_DEP_1)
	v_and_or_b32 v2, 0x80, v2, v3
	global_store_b8 v[4:5], v2, off
.LBB110_448:
	s_mov_b32 s31, 0
.LBB110_449:
	s_delay_alu instid0(SALU_CYCLE_1)
	s_and_not1_b32 vcc_lo, exec_lo, s31
	s_cbranch_vccnz .LBB110_459
; %bb.450:
	s_wait_xcnt 0x0
	s_delay_alu instid0(VALU_DEP_4) | instskip(SKIP_1) | instid1(VALU_DEP_1)
	v_cvt_f32_f64_e32 v2, v[0:1]
	s_mov_b32 s31, exec_lo
                                        ; implicit-def: $vgpr3
	v_and_b32_e32 v6, 0x7fffffff, v2
	s_delay_alu instid0(VALU_DEP_1)
	v_cmpx_gt_u32_e32 0x47800000, v6
	s_xor_b32 s31, exec_lo, s31
	s_cbranch_execz .LBB110_456
; %bb.451:
	s_mov_b32 s33, exec_lo
                                        ; implicit-def: $vgpr3
	v_cmpx_lt_u32_e32 0x387fffff, v6
	s_xor_b32 s33, exec_lo, s33
; %bb.452:
	v_bfe_u32 v3, v2, 21, 1
	s_delay_alu instid0(VALU_DEP_1) | instskip(NEXT) | instid1(VALU_DEP_1)
	v_add3_u32 v3, v2, v3, 0x80fffff
	v_lshrrev_b32_e32 v3, 21, v3
; %bb.453:
	s_and_not1_saveexec_b32 s33, s33
; %bb.454:
	v_add_f32_e64 v3, 0x43000000, |v2|
; %bb.455:
	s_or_b32 exec_lo, exec_lo, s33
                                        ; implicit-def: $vgpr6
.LBB110_456:
	s_and_not1_saveexec_b32 s31, s31
; %bb.457:
	v_mov_b32_e32 v3, 0x7f
	v_cmp_lt_u32_e32 vcc_lo, 0x7f800000, v6
	s_delay_alu instid0(VALU_DEP_2)
	v_cndmask_b32_e32 v3, 0x7c, v3, vcc_lo
; %bb.458:
	s_or_b32 exec_lo, exec_lo, s31
	v_lshrrev_b32_e32 v2, 24, v2
	s_delay_alu instid0(VALU_DEP_1)
	v_and_or_b32 v2, 0x80, v2, v3
	global_store_b8 v[4:5], v2, off
.LBB110_459:
	s_mov_b32 s33, 0
	s_mov_b32 s31, -1
.LBB110_460:
	s_and_not1_b32 vcc_lo, exec_lo, s33
	s_cbranch_vccnz .LBB110_468
; %bb.461:
	s_cmp_gt_i32 s30, 14
	s_mov_b32 s33, -1
	s_cbranch_scc0 .LBB110_465
; %bb.462:
	s_cmp_eq_u32 s30, 15
	s_mov_b32 s0, -1
	s_cbranch_scc0 .LBB110_464
; %bb.463:
	s_wait_xcnt 0x0
	s_delay_alu instid0(VALU_DEP_4) | instskip(SKIP_2) | instid1(VALU_DEP_1)
	v_cvt_f32_f64_e32 v2, v[0:1]
	s_mov_b32 s31, -1
	s_mov_b32 s0, 0
	v_bfe_u32 v3, v2, 16, 1
	v_cmp_o_f32_e32 vcc_lo, v2, v2
	s_delay_alu instid0(VALU_DEP_2) | instskip(NEXT) | instid1(VALU_DEP_1)
	v_add3_u32 v3, v2, v3, 0x7fff
	v_lshrrev_b32_e32 v3, 16, v3
	s_delay_alu instid0(VALU_DEP_1)
	v_cndmask_b32_e32 v2, 0x7fc0, v3, vcc_lo
	global_store_b16 v[4:5], v2, off
.LBB110_464:
	s_mov_b32 s33, 0
.LBB110_465:
	s_delay_alu instid0(SALU_CYCLE_1)
	s_and_b32 vcc_lo, exec_lo, s33
	s_cbranch_vccz .LBB110_468
; %bb.466:
	s_cmp_eq_u32 s30, 11
	s_mov_b32 s0, -1
	s_cbranch_scc0 .LBB110_468
; %bb.467:
	s_delay_alu instid0(VALU_DEP_4)
	v_cmp_neq_f64_e32 vcc_lo, 0, v[0:1]
	s_mov_b32 s31, -1
	s_mov_b32 s0, 0
	s_wait_xcnt 0x0
	v_cndmask_b32_e64 v2, 0, 1, vcc_lo
	global_store_b8 v[4:5], v2, off
.LBB110_468:
	s_mov_b32 s30, 0
.LBB110_469:
	s_delay_alu instid0(SALU_CYCLE_1)
	s_and_b32 vcc_lo, exec_lo, s30
	s_cbranch_vccz .LBB110_508
; %bb.470:
	s_and_b32 s23, 0xffff, s23
	s_mov_b32 s30, -1
	s_cmp_lt_i32 s23, 5
	s_cbranch_scc1 .LBB110_491
; %bb.471:
	s_cmp_lt_i32 s23, 8
	s_cbranch_scc1 .LBB110_481
; %bb.472:
	;; [unrolled: 3-line block ×3, first 2 shown]
	s_cmp_gt_i32 s23, 9
	s_cbranch_scc0 .LBB110_475
; %bb.474:
	s_wait_xcnt 0x0
	v_mov_b32_e32 v2, 0
	s_mov_b32 s30, 0
	s_delay_alu instid0(VALU_DEP_1)
	v_mov_b32_e32 v3, v2
	global_store_b128 v[4:5], v[0:3], off
.LBB110_475:
	s_and_not1_b32 vcc_lo, exec_lo, s30
	s_cbranch_vccnz .LBB110_477
; %bb.476:
	s_wait_xcnt 0x0
	s_delay_alu instid0(VALU_DEP_4)
	v_cvt_f32_f64_e32 v2, v[0:1]
	v_mov_b32_e32 v3, 0
	global_store_b64 v[4:5], v[2:3], off
.LBB110_477:
	s_mov_b32 s30, 0
.LBB110_478:
	s_delay_alu instid0(SALU_CYCLE_1)
	s_and_not1_b32 vcc_lo, exec_lo, s30
	s_cbranch_vccnz .LBB110_480
; %bb.479:
	s_wait_xcnt 0x0
	s_delay_alu instid0(VALU_DEP_4) | instskip(SKIP_2) | instid1(VALU_DEP_3)
	v_and_or_b32 v2, 0x1ff, v1, v0
	v_lshrrev_b32_e32 v3, 8, v1
	v_bfe_u32 v6, v1, 20, 11
	v_cmp_ne_u32_e32 vcc_lo, 0, v2
	s_delay_alu instid0(VALU_DEP_2) | instskip(SKIP_1) | instid1(VALU_DEP_1)
	v_sub_nc_u32_e32 v7, 0x3f1, v6
	v_cndmask_b32_e64 v2, 0, 1, vcc_lo
	v_and_or_b32 v2, 0xffe, v3, v2
	s_delay_alu instid0(VALU_DEP_3) | instskip(NEXT) | instid1(VALU_DEP_2)
	v_med3_i32 v3, v7, 0, 13
	v_or_b32_e32 v7, 0x1000, v2
	s_delay_alu instid0(VALU_DEP_1) | instskip(NEXT) | instid1(VALU_DEP_1)
	v_lshrrev_b32_e32 v8, v3, v7
	v_lshlrev_b32_e32 v3, v3, v8
	s_delay_alu instid0(VALU_DEP_1) | instskip(SKIP_1) | instid1(VALU_DEP_1)
	v_cmp_ne_u32_e32 vcc_lo, v3, v7
	v_cndmask_b32_e64 v3, 0, 1, vcc_lo
	v_or_b32_e32 v3, v8, v3
	v_add_nc_u32_e32 v6, 0xfffffc10, v6
	s_delay_alu instid0(VALU_DEP_1) | instskip(SKIP_1) | instid1(VALU_DEP_2)
	v_lshl_or_b32 v7, v6, 12, v2
	v_cmp_gt_i32_e32 vcc_lo, 1, v6
	v_cndmask_b32_e32 v3, v7, v3, vcc_lo
	s_delay_alu instid0(VALU_DEP_1) | instskip(NEXT) | instid1(VALU_DEP_1)
	v_dual_lshrrev_b32 v3, 2, v3 :: v_dual_bitop2_b32 v7, 7, v3 bitop3:0x40
	v_cmp_lt_i32_e32 vcc_lo, 5, v7
	v_cndmask_b32_e64 v8, 0, 1, vcc_lo
	v_cmp_eq_u32_e32 vcc_lo, 3, v7
	v_cndmask_b32_e64 v7, 0, 1, vcc_lo
	v_cmp_ne_u32_e32 vcc_lo, 0, v2
	s_delay_alu instid0(VALU_DEP_2) | instskip(NEXT) | instid1(VALU_DEP_1)
	v_or_b32_e32 v7, v7, v8
	v_dual_mov_b32 v8, 0x7e00 :: v_dual_add_nc_u32 v3, v3, v7
	s_delay_alu instid0(VALU_DEP_1) | instskip(SKIP_2) | instid1(VALU_DEP_4)
	v_cndmask_b32_e32 v2, 0x7c00, v8, vcc_lo
	v_cmp_gt_i32_e32 vcc_lo, 31, v6
	v_lshrrev_b32_e32 v7, 16, v1
	v_cndmask_b32_e32 v3, 0x7c00, v3, vcc_lo
	v_cmp_eq_u32_e32 vcc_lo, 0x40f, v6
	s_delay_alu instid0(VALU_DEP_2) | instskip(NEXT) | instid1(VALU_DEP_4)
	v_cndmask_b32_e32 v2, v3, v2, vcc_lo
	v_and_b32_e32 v3, 0x8000, v7
	s_delay_alu instid0(VALU_DEP_1)
	v_bitop3_b32 v2, v3, 0xffff, v2 bitop3:0xc8
	global_store_b32 v[4:5], v2, off
.LBB110_480:
	s_mov_b32 s30, 0
.LBB110_481:
	s_delay_alu instid0(SALU_CYCLE_1)
	s_and_not1_b32 vcc_lo, exec_lo, s30
	s_cbranch_vccnz .LBB110_490
; %bb.482:
	s_cmp_lt_i32 s23, 6
	s_mov_b32 s30, -1
	s_cbranch_scc1 .LBB110_488
; %bb.483:
	s_cmp_gt_i32 s23, 6
	s_cbranch_scc0 .LBB110_485
; %bb.484:
	s_mov_b32 s30, 0
	global_store_b64 v[4:5], v[0:1], off
.LBB110_485:
	s_and_not1_b32 vcc_lo, exec_lo, s30
	s_cbranch_vccnz .LBB110_487
; %bb.486:
	s_wait_xcnt 0x0
	s_delay_alu instid0(VALU_DEP_4)
	v_cvt_f32_f64_e32 v2, v[0:1]
	global_store_b32 v[4:5], v2, off
.LBB110_487:
	s_mov_b32 s30, 0
.LBB110_488:
	s_delay_alu instid0(SALU_CYCLE_1)
	s_and_not1_b32 vcc_lo, exec_lo, s30
	s_cbranch_vccnz .LBB110_490
; %bb.489:
	s_wait_xcnt 0x0
	s_delay_alu instid0(VALU_DEP_4) | instskip(SKIP_2) | instid1(VALU_DEP_3)
	v_and_or_b32 v2, 0x1ff, v1, v0
	v_lshrrev_b32_e32 v3, 8, v1
	v_bfe_u32 v6, v1, 20, 11
	v_cmp_ne_u32_e32 vcc_lo, 0, v2
	s_delay_alu instid0(VALU_DEP_2) | instskip(SKIP_1) | instid1(VALU_DEP_1)
	v_sub_nc_u32_e32 v7, 0x3f1, v6
	v_cndmask_b32_e64 v2, 0, 1, vcc_lo
	v_and_or_b32 v2, 0xffe, v3, v2
	s_delay_alu instid0(VALU_DEP_3) | instskip(NEXT) | instid1(VALU_DEP_2)
	v_med3_i32 v3, v7, 0, 13
	v_or_b32_e32 v7, 0x1000, v2
	s_delay_alu instid0(VALU_DEP_1) | instskip(NEXT) | instid1(VALU_DEP_1)
	v_lshrrev_b32_e32 v8, v3, v7
	v_lshlrev_b32_e32 v3, v3, v8
	s_delay_alu instid0(VALU_DEP_1) | instskip(SKIP_1) | instid1(VALU_DEP_1)
	v_cmp_ne_u32_e32 vcc_lo, v3, v7
	v_cndmask_b32_e64 v3, 0, 1, vcc_lo
	v_or_b32_e32 v3, v8, v3
	v_add_nc_u32_e32 v6, 0xfffffc10, v6
	s_delay_alu instid0(VALU_DEP_1) | instskip(SKIP_1) | instid1(VALU_DEP_2)
	v_lshl_or_b32 v7, v6, 12, v2
	v_cmp_gt_i32_e32 vcc_lo, 1, v6
	v_cndmask_b32_e32 v3, v7, v3, vcc_lo
	s_delay_alu instid0(VALU_DEP_1) | instskip(NEXT) | instid1(VALU_DEP_1)
	v_dual_lshrrev_b32 v3, 2, v3 :: v_dual_bitop2_b32 v7, 7, v3 bitop3:0x40
	v_cmp_lt_i32_e32 vcc_lo, 5, v7
	v_cndmask_b32_e64 v8, 0, 1, vcc_lo
	v_cmp_eq_u32_e32 vcc_lo, 3, v7
	v_cndmask_b32_e64 v7, 0, 1, vcc_lo
	v_cmp_ne_u32_e32 vcc_lo, 0, v2
	s_delay_alu instid0(VALU_DEP_2) | instskip(NEXT) | instid1(VALU_DEP_1)
	v_or_b32_e32 v7, v7, v8
	v_dual_mov_b32 v8, 0x7e00 :: v_dual_add_nc_u32 v3, v3, v7
	s_delay_alu instid0(VALU_DEP_1) | instskip(SKIP_1) | instid1(VALU_DEP_3)
	v_cndmask_b32_e32 v2, 0x7c00, v8, vcc_lo
	v_cmp_gt_i32_e32 vcc_lo, 31, v6
	v_cndmask_b32_e32 v3, 0x7c00, v3, vcc_lo
	v_cmp_eq_u32_e32 vcc_lo, 0x40f, v6
	s_delay_alu instid0(VALU_DEP_2) | instskip(NEXT) | instid1(VALU_DEP_1)
	v_dual_cndmask_b32 v2, v3, v2 :: v_dual_lshrrev_b32 v3, 16, v1
	v_and_or_b32 v2, 0x8000, v3, v2
	global_store_b16 v[4:5], v2, off
.LBB110_490:
	s_mov_b32 s30, 0
.LBB110_491:
	s_delay_alu instid0(SALU_CYCLE_1)
	s_and_not1_b32 vcc_lo, exec_lo, s30
	s_cbranch_vccnz .LBB110_507
; %bb.492:
	s_cmp_lt_i32 s23, 2
	s_mov_b32 s30, -1
	s_cbranch_scc1 .LBB110_502
; %bb.493:
	s_cmp_lt_i32 s23, 3
	s_cbranch_scc1 .LBB110_499
; %bb.494:
	s_cmp_gt_i32 s23, 3
	s_cbranch_scc0 .LBB110_496
; %bb.495:
	s_wait_xcnt 0x0
	s_delay_alu instid0(VALU_DEP_4) | instskip(SKIP_1) | instid1(VALU_DEP_1)
	v_trunc_f64_e32 v[2:3], v[0:1]
	s_mov_b32 s30, 0
	v_ldexp_f64 v[6:7], v[2:3], 0xffffffe0
	s_delay_alu instid0(VALU_DEP_1) | instskip(NEXT) | instid1(VALU_DEP_1)
	v_floor_f64_e32 v[6:7], v[6:7]
	v_fmamk_f64 v[2:3], v[6:7], 0xc1f00000, v[2:3]
	v_cvt_i32_f64_e32 v7, v[6:7]
	s_delay_alu instid0(VALU_DEP_2)
	v_cvt_u32_f64_e32 v6, v[2:3]
	global_store_b64 v[4:5], v[6:7], off
.LBB110_496:
	s_and_not1_b32 vcc_lo, exec_lo, s30
	s_cbranch_vccnz .LBB110_498
; %bb.497:
	s_wait_xcnt 0x0
	s_delay_alu instid0(VALU_DEP_4)
	v_cvt_i32_f64_e32 v2, v[0:1]
	global_store_b32 v[4:5], v2, off
.LBB110_498:
	s_mov_b32 s30, 0
.LBB110_499:
	s_delay_alu instid0(SALU_CYCLE_1)
	s_and_not1_b32 vcc_lo, exec_lo, s30
	s_cbranch_vccnz .LBB110_501
; %bb.500:
	s_wait_xcnt 0x0
	s_delay_alu instid0(VALU_DEP_4)
	v_cvt_i32_f64_e32 v2, v[0:1]
	global_store_b16 v[4:5], v2, off
.LBB110_501:
	s_mov_b32 s30, 0
.LBB110_502:
	s_delay_alu instid0(SALU_CYCLE_1)
	s_and_not1_b32 vcc_lo, exec_lo, s30
	s_cbranch_vccnz .LBB110_507
; %bb.503:
	s_cmp_gt_i32 s23, 0
	s_mov_b32 s23, -1
	s_cbranch_scc0 .LBB110_505
; %bb.504:
	s_wait_xcnt 0x0
	s_delay_alu instid0(VALU_DEP_4)
	v_cvt_i32_f64_e32 v2, v[0:1]
	s_mov_b32 s23, 0
	global_store_b8 v[4:5], v2, off
.LBB110_505:
	s_and_not1_b32 vcc_lo, exec_lo, s23
	s_cbranch_vccnz .LBB110_507
; %bb.506:
	s_wait_xcnt 0x0
	s_delay_alu instid0(VALU_DEP_4) | instskip(NEXT) | instid1(VALU_DEP_1)
	v_trunc_f64_e32 v[0:1], v[0:1]
	v_ldexp_f64 v[2:3], v[0:1], 0xffffffe0
	s_delay_alu instid0(VALU_DEP_1) | instskip(NEXT) | instid1(VALU_DEP_1)
	v_floor_f64_e32 v[2:3], v[2:3]
	v_fmamk_f64 v[0:1], v[2:3], 0xc1f00000, v[0:1]
	s_delay_alu instid0(VALU_DEP_1)
	v_cvt_u32_f64_e32 v0, v[0:1]
	global_store_b8 v[4:5], v0, off
.LBB110_507:
	s_mov_b32 s31, -1
.LBB110_508:
	s_delay_alu instid0(SALU_CYCLE_1)
	s_and_not1_b32 vcc_lo, exec_lo, s31
	s_cbranch_vccnz .LBB110_510
; %bb.509:
	v_add_nc_u32_e32 v26, 0x80, v26
	s_mov_b32 s30, -1
	s_branch .LBB110_511
.LBB110_510:
	s_mov_b32 s30, 0
                                        ; implicit-def: $vgpr26
.LBB110_511:
	s_and_b32 s23, s0, exec_lo
	s_and_b32 s25, s25, exec_lo
	;; [unrolled: 1-line block ×4, first 2 shown]
	s_or_not1_b32 s33, s30, exec_lo
.LBB110_512:
	s_wait_xcnt 0x0
	s_or_b32 exec_lo, exec_lo, s28
	s_mov_b32 s31, 0
	s_mov_b32 s30, 0
                                        ; implicit-def: $sgpr0
                                        ; implicit-def: $vgpr0_vgpr1
                                        ; implicit-def: $vgpr2_vgpr3
	s_and_saveexec_b32 s28, s33
	s_cbranch_execz .LBB110_521
; %bb.513:
	s_mov_b32 s36, -1
	s_mov_b32 s29, s27
	s_mov_b32 s33, s26
	s_mov_b32 s31, s25
	s_mov_b32 s30, s23
	s_mov_b32 s34, exec_lo
	v_cmpx_gt_i32_e64 s24, v26
	s_cbranch_execz .LBB110_1035
; %bb.514:
	s_wait_loadcnt 0x0
	v_mul_lo_u32 v0, v26, s13
	s_and_b32 s0, s21, 0xff
	s_delay_alu instid0(SALU_CYCLE_1) | instskip(NEXT) | instid1(VALU_DEP_1)
	s_cmp_lt_i32 s0, 11
	v_ashrrev_i32_e32 v1, 31, v0
	s_delay_alu instid0(VALU_DEP_1)
	v_add_nc_u64_e32 v[0:1], s[6:7], v[0:1]
	s_cbranch_scc1 .LBB110_524
; %bb.515:
	s_and_b32 s30, 0xffff, s0
	s_delay_alu instid0(SALU_CYCLE_1)
	s_cmp_gt_i32 s30, 25
	s_cbranch_scc0 .LBB110_533
; %bb.516:
	s_cmp_gt_i32 s30, 28
	s_cbranch_scc0 .LBB110_535
; %bb.517:
	;; [unrolled: 3-line block ×4, first 2 shown]
	s_cmp_eq_u32 s30, 46
	s_mov_b32 s33, 0
	s_cbranch_scc0 .LBB110_541
; %bb.520:
	global_load_b32 v2, v[0:1], off
	s_mov_b32 s31, -1
	s_mov_b32 s29, 0
	s_wait_loadcnt 0x0
	v_lshlrev_b32_e32 v2, 16, v2
	s_delay_alu instid0(VALU_DEP_1)
	v_cvt_f64_f32_e32 v[2:3], v2
	s_branch .LBB110_543
.LBB110_521:
	s_or_b32 exec_lo, exec_lo, s28
	s_mov_b32 s24, 0
	s_and_saveexec_b32 s28, s27
	s_cbranch_execnz .LBB110_1639
.LBB110_522:
	s_or_b32 exec_lo, exec_lo, s28
	s_and_saveexec_b32 s27, s29
	s_delay_alu instid0(SALU_CYCLE_1)
	s_xor_b32 s27, exec_lo, s27
	s_cbranch_execz .LBB110_1640
.LBB110_523:
	s_wait_loadcnt 0x0
	global_load_u8 v2, v[0:1], off
	s_or_b32 s30, s30, exec_lo
	s_wait_loadcnt 0x0
	v_cmp_ne_u16_e32 vcc_lo, 0, v2
	v_mov_b32_e32 v2, 0
	v_cndmask_b32_e64 v3, 0, 0x3ff00000, vcc_lo
	s_wait_xcnt 0x0
	s_or_b32 exec_lo, exec_lo, s27
	s_and_saveexec_b32 s27, s31
	s_cbranch_execz .LBB110_1686
	s_branch .LBB110_1641
.LBB110_524:
	s_mov_b32 s31, 0
	s_mov_b32 s29, s27
                                        ; implicit-def: $vgpr2_vgpr3
	s_cbranch_execnz .LBB110_609
.LBB110_525:
	s_and_not1_b32 vcc_lo, exec_lo, s31
	s_cbranch_vccnz .LBB110_657
.LBB110_526:
	s_wait_xcnt 0x0
	v_mul_lo_u32 v0, v26, s14
	s_and_b32 s0, s3, 0xff
	s_delay_alu instid0(SALU_CYCLE_1) | instskip(NEXT) | instid1(VALU_DEP_1)
	s_cmp_lt_i32 s0, 11
	v_ashrrev_i32_e32 v1, 31, v0
	s_delay_alu instid0(VALU_DEP_1)
	v_add_nc_u64_e32 v[4:5], s[8:9], v[0:1]
	s_cbranch_scc1 .LBB110_534
; %bb.527:
	s_and_b32 s30, 0xffff, s0
	s_delay_alu instid0(SALU_CYCLE_1)
	s_cmp_gt_i32 s30, 25
	s_cbranch_scc0 .LBB110_536
; %bb.528:
	s_cmp_gt_i32 s30, 28
	s_cbranch_scc0 .LBB110_538
; %bb.529:
	;; [unrolled: 3-line block ×4, first 2 shown]
	s_cmp_eq_u32 s30, 46
	s_mov_b32 s35, 0
	s_cbranch_scc0 .LBB110_660
; %bb.532:
	global_load_b32 v0, v[4:5], off
	s_mov_b32 s31, -1
	s_mov_b32 s33, 0
	s_wait_loadcnt 0x0
	v_lshlrev_b32_e32 v0, 16, v0
	s_delay_alu instid0(VALU_DEP_1)
	v_cvt_f64_f32_e32 v[0:1], v0
	s_branch .LBB110_662
.LBB110_533:
	s_mov_b32 s33, -1
	s_mov_b32 s31, 0
	s_mov_b32 s29, s27
                                        ; implicit-def: $vgpr2_vgpr3
	s_branch .LBB110_573
.LBB110_534:
	s_mov_b32 s30, -1
	s_mov_b32 s31, 0
	s_mov_b32 s33, s26
                                        ; implicit-def: $vgpr0_vgpr1
	s_branch .LBB110_727
.LBB110_535:
	s_mov_b32 s33, -1
	s_mov_b32 s31, 0
	s_mov_b32 s29, s27
                                        ; implicit-def: $vgpr2_vgpr3
	s_branch .LBB110_554
.LBB110_536:
	s_mov_b32 s35, -1
	s_mov_b32 s31, 0
	s_mov_b32 s33, s26
                                        ; implicit-def: $vgpr0_vgpr1
	s_branch .LBB110_691
.LBB110_537:
	s_mov_b32 s33, -1
	s_mov_b32 s31, 0
	s_mov_b32 s29, s27
                                        ; implicit-def: $vgpr2_vgpr3
	s_branch .LBB110_549
.LBB110_538:
	s_mov_b32 s35, -1
	s_mov_b32 s31, 0
	s_mov_b32 s33, s26
                                        ; implicit-def: $vgpr0_vgpr1
	s_branch .LBB110_672
.LBB110_539:
	s_mov_b32 s33, -1
	s_mov_b32 s31, 0
	s_mov_b32 s29, s27
	s_branch .LBB110_542
.LBB110_540:
	s_mov_b32 s35, -1
	s_mov_b32 s31, 0
	s_mov_b32 s33, s26
                                        ; implicit-def: $vgpr0_vgpr1
	s_branch .LBB110_667
.LBB110_541:
	s_mov_b32 s29, -1
	s_mov_b32 s31, 0
.LBB110_542:
                                        ; implicit-def: $vgpr2_vgpr3
.LBB110_543:
	s_and_b32 vcc_lo, exec_lo, s33
	s_cbranch_vccz .LBB110_548
; %bb.544:
	s_cmp_eq_u32 s30, 44
	s_cbranch_scc0 .LBB110_547
; %bb.545:
	global_load_u8 v4, v[0:1], off
	s_mov_b32 s29, 0
	s_mov_b32 s31, -1
	s_wait_loadcnt 0x0
	v_cmp_ne_u32_e32 vcc_lo, 0xff, v4
	v_lshlrev_b32_e32 v2, 23, v4
	s_delay_alu instid0(VALU_DEP_1) | instskip(NEXT) | instid1(VALU_DEP_1)
	v_cvt_f64_f32_e32 v[2:3], v2
	v_cndmask_b32_e32 v2, 0x20000000, v2, vcc_lo
	s_delay_alu instid0(VALU_DEP_2) | instskip(SKIP_1) | instid1(VALU_DEP_2)
	v_cndmask_b32_e32 v3, 0x7ff80000, v3, vcc_lo
	v_cmp_ne_u32_e32 vcc_lo, 0, v4
	v_cndmask_b32_e32 v3, 0x38000000, v3, vcc_lo
	s_delay_alu instid0(VALU_DEP_4)
	v_cndmask_b32_e32 v2, 0, v2, vcc_lo
	s_branch .LBB110_548
.LBB110_546:
	s_mov_b32 s35, -1
	s_mov_b32 s31, 0
	s_mov_b32 s33, s26
	s_branch .LBB110_661
.LBB110_547:
	s_mov_b32 s29, -1
                                        ; implicit-def: $vgpr2_vgpr3
.LBB110_548:
	s_mov_b32 s33, 0
.LBB110_549:
	s_delay_alu instid0(SALU_CYCLE_1)
	s_and_b32 vcc_lo, exec_lo, s33
	s_cbranch_vccz .LBB110_553
; %bb.550:
	s_cmp_eq_u32 s30, 29
	s_cbranch_scc0 .LBB110_552
; %bb.551:
	global_load_b64 v[2:3], v[0:1], off
	s_mov_b32 s31, -1
	s_mov_b32 s29, 0
	s_mov_b32 s33, 0
	s_wait_loadcnt 0x0
	v_cvt_f64_u32_e32 v[4:5], v3
	v_cvt_f64_u32_e32 v[2:3], v2
	s_delay_alu instid0(VALU_DEP_2) | instskip(NEXT) | instid1(VALU_DEP_1)
	v_ldexp_f64 v[4:5], v[4:5], 32
	v_add_f64_e32 v[2:3], v[4:5], v[2:3]
	s_branch .LBB110_554
.LBB110_552:
	s_mov_b32 s29, -1
                                        ; implicit-def: $vgpr2_vgpr3
.LBB110_553:
	s_mov_b32 s33, 0
.LBB110_554:
	s_delay_alu instid0(SALU_CYCLE_1)
	s_and_b32 vcc_lo, exec_lo, s33
	s_cbranch_vccz .LBB110_572
; %bb.555:
	s_cmp_lt_i32 s30, 27
	s_cbranch_scc1 .LBB110_558
; %bb.556:
	s_cmp_gt_i32 s30, 27
	s_cbranch_scc0 .LBB110_559
; %bb.557:
	global_load_b32 v2, v[0:1], off
	s_mov_b32 s31, 0
	s_wait_loadcnt 0x0
	v_cvt_f64_u32_e32 v[2:3], v2
	s_branch .LBB110_560
.LBB110_558:
	s_mov_b32 s31, -1
                                        ; implicit-def: $vgpr2_vgpr3
	s_branch .LBB110_563
.LBB110_559:
	s_mov_b32 s31, -1
                                        ; implicit-def: $vgpr2_vgpr3
.LBB110_560:
	s_delay_alu instid0(SALU_CYCLE_1)
	s_and_not1_b32 vcc_lo, exec_lo, s31
	s_cbranch_vccnz .LBB110_562
; %bb.561:
	global_load_u16 v2, v[0:1], off
	s_wait_loadcnt 0x0
	v_cvt_f64_u32_e32 v[2:3], v2
.LBB110_562:
	s_mov_b32 s31, 0
.LBB110_563:
	s_delay_alu instid0(SALU_CYCLE_1)
	s_and_not1_b32 vcc_lo, exec_lo, s31
	s_cbranch_vccnz .LBB110_571
; %bb.564:
	global_load_u8 v4, v[0:1], off
	s_mov_b32 s31, 0
	s_mov_b32 s33, exec_lo
	s_wait_loadcnt 0x0
	v_cmpx_lt_i16_e32 0x7f, v4
	s_xor_b32 s33, exec_lo, s33
	s_cbranch_execz .LBB110_585
; %bb.565:
	s_mov_b32 s31, -1
	s_mov_b32 s35, exec_lo
	v_cmpx_eq_u16_e32 0x80, v4
; %bb.566:
	s_xor_b32 s31, exec_lo, -1
; %bb.567:
	s_or_b32 exec_lo, exec_lo, s35
	s_delay_alu instid0(SALU_CYCLE_1)
	s_and_b32 s31, s31, exec_lo
	s_or_saveexec_b32 s33, s33
	v_mov_b64_e32 v[2:3], 0x7ff8000020000000
	s_xor_b32 exec_lo, exec_lo, s33
	s_cbranch_execnz .LBB110_586
.LBB110_568:
	s_or_b32 exec_lo, exec_lo, s33
	s_and_saveexec_b32 s33, s31
	s_cbranch_execz .LBB110_570
.LBB110_569:
	v_and_b32_e32 v2, 0xffff, v4
	s_delay_alu instid0(VALU_DEP_1) | instskip(SKIP_1) | instid1(VALU_DEP_2)
	v_and_b32_e32 v3, 7, v2
	v_bfe_u32 v7, v2, 3, 4
	v_clz_i32_u32_e32 v5, v3
	s_delay_alu instid0(VALU_DEP_2) | instskip(NEXT) | instid1(VALU_DEP_2)
	v_cmp_eq_u32_e32 vcc_lo, 0, v7
	v_min_u32_e32 v5, 32, v5
	s_delay_alu instid0(VALU_DEP_1) | instskip(NEXT) | instid1(VALU_DEP_1)
	v_subrev_nc_u32_e32 v6, 28, v5
	v_dual_lshlrev_b32 v2, v6, v2 :: v_dual_sub_nc_u32 v5, 29, v5
	s_delay_alu instid0(VALU_DEP_1) | instskip(NEXT) | instid1(VALU_DEP_2)
	v_dual_lshlrev_b32 v4, 24, v4 :: v_dual_bitop2_b32 v2, 7, v2 bitop3:0x40
	v_cndmask_b32_e32 v5, v7, v5, vcc_lo
	s_delay_alu instid0(VALU_DEP_2) | instskip(NEXT) | instid1(VALU_DEP_3)
	v_cndmask_b32_e32 v2, v3, v2, vcc_lo
	v_and_b32_e32 v3, 0x80000000, v4
	s_delay_alu instid0(VALU_DEP_3) | instskip(NEXT) | instid1(VALU_DEP_3)
	v_lshl_add_u32 v4, v5, 23, 0x3b800000
	v_lshlrev_b32_e32 v2, 20, v2
	s_delay_alu instid0(VALU_DEP_1) | instskip(NEXT) | instid1(VALU_DEP_1)
	v_or3_b32 v2, v3, v4, v2
	v_cvt_f64_f32_e32 v[2:3], v2
.LBB110_570:
	s_or_b32 exec_lo, exec_lo, s33
.LBB110_571:
	s_mov_b32 s31, -1
.LBB110_572:
	s_mov_b32 s33, 0
.LBB110_573:
	s_delay_alu instid0(SALU_CYCLE_1)
	s_and_b32 vcc_lo, exec_lo, s33
	s_cbranch_vccz .LBB110_608
; %bb.574:
	s_cmp_gt_i32 s30, 22
	s_cbranch_scc0 .LBB110_584
; %bb.575:
	s_cmp_lt_i32 s30, 24
	s_cbranch_scc1 .LBB110_587
; %bb.576:
	s_cmp_gt_i32 s30, 24
	s_cbranch_scc0 .LBB110_588
; %bb.577:
	global_load_u8 v4, v[0:1], off
	s_mov_b32 s31, 0
	s_mov_b32 s33, exec_lo
	s_wait_loadcnt 0x0
	v_cmpx_lt_i16_e32 0x7f, v4
	s_xor_b32 s33, exec_lo, s33
	s_cbranch_execz .LBB110_600
; %bb.578:
	s_mov_b32 s31, -1
	s_mov_b32 s35, exec_lo
	v_cmpx_eq_u16_e32 0x80, v4
; %bb.579:
	s_xor_b32 s31, exec_lo, -1
; %bb.580:
	s_or_b32 exec_lo, exec_lo, s35
	s_delay_alu instid0(SALU_CYCLE_1)
	s_and_b32 s31, s31, exec_lo
	s_or_saveexec_b32 s33, s33
	v_mov_b64_e32 v[2:3], 0x7ff8000020000000
	s_xor_b32 exec_lo, exec_lo, s33
	s_cbranch_execnz .LBB110_601
.LBB110_581:
	s_or_b32 exec_lo, exec_lo, s33
	s_and_saveexec_b32 s33, s31
	s_cbranch_execz .LBB110_583
.LBB110_582:
	v_and_b32_e32 v2, 0xffff, v4
	s_delay_alu instid0(VALU_DEP_1) | instskip(SKIP_1) | instid1(VALU_DEP_2)
	v_and_b32_e32 v3, 3, v2
	v_bfe_u32 v7, v2, 2, 5
	v_clz_i32_u32_e32 v5, v3
	s_delay_alu instid0(VALU_DEP_2) | instskip(NEXT) | instid1(VALU_DEP_2)
	v_cmp_eq_u32_e32 vcc_lo, 0, v7
	v_min_u32_e32 v5, 32, v5
	s_delay_alu instid0(VALU_DEP_1) | instskip(NEXT) | instid1(VALU_DEP_1)
	v_subrev_nc_u32_e32 v6, 29, v5
	v_dual_lshlrev_b32 v2, v6, v2 :: v_dual_sub_nc_u32 v5, 30, v5
	s_delay_alu instid0(VALU_DEP_1) | instskip(NEXT) | instid1(VALU_DEP_2)
	v_dual_lshlrev_b32 v4, 24, v4 :: v_dual_bitop2_b32 v2, 3, v2 bitop3:0x40
	v_cndmask_b32_e32 v5, v7, v5, vcc_lo
	s_delay_alu instid0(VALU_DEP_2) | instskip(NEXT) | instid1(VALU_DEP_3)
	v_cndmask_b32_e32 v2, v3, v2, vcc_lo
	v_and_b32_e32 v3, 0x80000000, v4
	s_delay_alu instid0(VALU_DEP_3) | instskip(NEXT) | instid1(VALU_DEP_3)
	v_lshl_add_u32 v4, v5, 23, 0x37800000
	v_lshlrev_b32_e32 v2, 21, v2
	s_delay_alu instid0(VALU_DEP_1) | instskip(NEXT) | instid1(VALU_DEP_1)
	v_or3_b32 v2, v3, v4, v2
	v_cvt_f64_f32_e32 v[2:3], v2
.LBB110_583:
	s_or_b32 exec_lo, exec_lo, s33
	s_mov_b32 s31, 0
	s_branch .LBB110_589
.LBB110_584:
	s_mov_b32 s33, -1
                                        ; implicit-def: $vgpr2_vgpr3
	s_branch .LBB110_595
.LBB110_585:
	s_or_saveexec_b32 s33, s33
	v_mov_b64_e32 v[2:3], 0x7ff8000020000000
	s_xor_b32 exec_lo, exec_lo, s33
	s_cbranch_execz .LBB110_568
.LBB110_586:
	v_cmp_ne_u16_e32 vcc_lo, 0, v4
	v_mov_b64_e32 v[2:3], 0
	s_and_not1_b32 s31, s31, exec_lo
	s_and_b32 s35, vcc_lo, exec_lo
	s_delay_alu instid0(SALU_CYCLE_1)
	s_or_b32 s31, s31, s35
	s_or_b32 exec_lo, exec_lo, s33
	s_and_saveexec_b32 s33, s31
	s_cbranch_execnz .LBB110_569
	s_branch .LBB110_570
.LBB110_587:
	s_mov_b32 s31, -1
                                        ; implicit-def: $vgpr2_vgpr3
	s_branch .LBB110_592
.LBB110_588:
	s_mov_b32 s31, -1
                                        ; implicit-def: $vgpr2_vgpr3
.LBB110_589:
	s_delay_alu instid0(SALU_CYCLE_1)
	s_and_b32 vcc_lo, exec_lo, s31
	s_cbranch_vccz .LBB110_591
; %bb.590:
	global_load_u8 v2, v[0:1], off
	s_wait_loadcnt 0x0
	v_lshlrev_b32_e32 v2, 24, v2
	s_delay_alu instid0(VALU_DEP_1) | instskip(NEXT) | instid1(VALU_DEP_1)
	v_and_b32_e32 v3, 0x7f000000, v2
	v_clz_i32_u32_e32 v4, v3
	v_cmp_ne_u32_e32 vcc_lo, 0, v3
	v_add_nc_u32_e32 v6, 0x1000000, v3
	s_delay_alu instid0(VALU_DEP_3) | instskip(NEXT) | instid1(VALU_DEP_1)
	v_min_u32_e32 v4, 32, v4
	v_sub_nc_u32_e64 v4, v4, 4 clamp
	s_delay_alu instid0(VALU_DEP_1) | instskip(NEXT) | instid1(VALU_DEP_1)
	v_dual_lshlrev_b32 v5, v4, v3 :: v_dual_lshlrev_b32 v4, 23, v4
	v_lshrrev_b32_e32 v5, 4, v5
	s_delay_alu instid0(VALU_DEP_1) | instskip(NEXT) | instid1(VALU_DEP_1)
	v_dual_sub_nc_u32 v4, v5, v4 :: v_dual_ashrrev_i32 v5, 8, v6
	v_add_nc_u32_e32 v4, 0x3c000000, v4
	s_delay_alu instid0(VALU_DEP_1) | instskip(NEXT) | instid1(VALU_DEP_1)
	v_and_or_b32 v4, 0x7f800000, v5, v4
	v_cndmask_b32_e32 v3, 0, v4, vcc_lo
	s_delay_alu instid0(VALU_DEP_1) | instskip(NEXT) | instid1(VALU_DEP_1)
	v_and_or_b32 v2, 0x80000000, v2, v3
	v_cvt_f64_f32_e32 v[2:3], v2
.LBB110_591:
	s_mov_b32 s31, 0
.LBB110_592:
	s_delay_alu instid0(SALU_CYCLE_1)
	s_and_not1_b32 vcc_lo, exec_lo, s31
	s_cbranch_vccnz .LBB110_594
; %bb.593:
	global_load_u8 v2, v[0:1], off
	s_wait_loadcnt 0x0
	v_lshlrev_b32_e32 v3, 25, v2
	v_lshlrev_b16 v2, 8, v2
	s_delay_alu instid0(VALU_DEP_1) | instskip(SKIP_1) | instid1(VALU_DEP_2)
	v_and_or_b32 v5, 0x7f00, v2, 0.5
	v_bfe_i32 v2, v2, 0, 16
	v_dual_add_f32 v5, -0.5, v5 :: v_dual_lshrrev_b32 v4, 4, v3
	v_cmp_gt_u32_e32 vcc_lo, 0x8000000, v3
	s_delay_alu instid0(VALU_DEP_2) | instskip(NEXT) | instid1(VALU_DEP_1)
	v_or_b32_e32 v4, 0x70000000, v4
	v_mul_f32_e32 v4, 0x7800000, v4
	s_delay_alu instid0(VALU_DEP_1) | instskip(NEXT) | instid1(VALU_DEP_1)
	v_cndmask_b32_e32 v3, v4, v5, vcc_lo
	v_and_or_b32 v2, 0x80000000, v2, v3
	s_delay_alu instid0(VALU_DEP_1)
	v_cvt_f64_f32_e32 v[2:3], v2
.LBB110_594:
	s_mov_b32 s33, 0
	s_mov_b32 s31, -1
.LBB110_595:
	s_and_not1_b32 vcc_lo, exec_lo, s33
	s_cbranch_vccnz .LBB110_608
; %bb.596:
	s_cmp_gt_i32 s30, 14
	s_cbranch_scc0 .LBB110_599
; %bb.597:
	s_cmp_eq_u32 s30, 15
	s_cbranch_scc0 .LBB110_602
; %bb.598:
	global_load_u16 v2, v[0:1], off
	s_mov_b32 s31, -1
	s_mov_b32 s29, 0
	s_wait_loadcnt 0x0
	v_lshlrev_b32_e32 v2, 16, v2
	s_delay_alu instid0(VALU_DEP_1)
	v_cvt_f64_f32_e32 v[2:3], v2
	s_branch .LBB110_603
.LBB110_599:
	s_mov_b32 s33, -1
                                        ; implicit-def: $vgpr2_vgpr3
	s_branch .LBB110_604
.LBB110_600:
	s_or_saveexec_b32 s33, s33
	v_mov_b64_e32 v[2:3], 0x7ff8000020000000
	s_xor_b32 exec_lo, exec_lo, s33
	s_cbranch_execz .LBB110_581
.LBB110_601:
	v_cmp_ne_u16_e32 vcc_lo, 0, v4
	v_mov_b64_e32 v[2:3], 0
	s_and_not1_b32 s31, s31, exec_lo
	s_and_b32 s35, vcc_lo, exec_lo
	s_delay_alu instid0(SALU_CYCLE_1)
	s_or_b32 s31, s31, s35
	s_or_b32 exec_lo, exec_lo, s33
	s_and_saveexec_b32 s33, s31
	s_cbranch_execnz .LBB110_582
	s_branch .LBB110_583
.LBB110_602:
	s_mov_b32 s29, -1
                                        ; implicit-def: $vgpr2_vgpr3
.LBB110_603:
	s_mov_b32 s33, 0
.LBB110_604:
	s_delay_alu instid0(SALU_CYCLE_1)
	s_and_b32 vcc_lo, exec_lo, s33
	s_cbranch_vccz .LBB110_608
; %bb.605:
	s_cmp_eq_u32 s30, 11
	s_cbranch_scc0 .LBB110_607
; %bb.606:
	global_load_u8 v2, v[0:1], off
	s_mov_b32 s29, 0
	s_mov_b32 s31, -1
	s_wait_loadcnt 0x0
	v_cmp_ne_u16_e32 vcc_lo, 0, v2
	v_mov_b32_e32 v2, 0
	v_cndmask_b32_e64 v3, 0, 0x3ff00000, vcc_lo
	s_branch .LBB110_608
.LBB110_607:
	s_mov_b32 s29, -1
                                        ; implicit-def: $vgpr2_vgpr3
.LBB110_608:
	s_branch .LBB110_525
.LBB110_609:
	s_and_b32 s0, 0xffff, s0
	s_delay_alu instid0(SALU_CYCLE_1)
	s_cmp_lt_i32 s0, 5
	s_cbranch_scc1 .LBB110_614
; %bb.610:
	s_cmp_lt_i32 s0, 8
	s_cbranch_scc1 .LBB110_615
; %bb.611:
	;; [unrolled: 3-line block ×3, first 2 shown]
	s_cmp_gt_i32 s0, 9
	s_cbranch_scc0 .LBB110_617
; %bb.613:
	global_load_b64 v[2:3], v[0:1], off
	s_mov_b32 s30, 0
	s_branch .LBB110_618
.LBB110_614:
	s_mov_b32 s30, -1
                                        ; implicit-def: $vgpr2_vgpr3
	s_branch .LBB110_636
.LBB110_615:
	s_mov_b32 s30, -1
                                        ; implicit-def: $vgpr2_vgpr3
	s_branch .LBB110_624
.LBB110_616:
	s_mov_b32 s30, -1
                                        ; implicit-def: $vgpr2_vgpr3
	s_branch .LBB110_621
.LBB110_617:
	s_mov_b32 s30, -1
                                        ; implicit-def: $vgpr2_vgpr3
.LBB110_618:
	s_delay_alu instid0(SALU_CYCLE_1)
	s_and_not1_b32 vcc_lo, exec_lo, s30
	s_cbranch_vccnz .LBB110_620
; %bb.619:
	s_wait_loadcnt 0x0
	global_load_b32 v2, v[0:1], off
	s_wait_loadcnt 0x0
	v_cvt_f64_f32_e32 v[2:3], v2
.LBB110_620:
	s_mov_b32 s30, 0
.LBB110_621:
	s_delay_alu instid0(SALU_CYCLE_1)
	s_and_not1_b32 vcc_lo, exec_lo, s30
	s_cbranch_vccnz .LBB110_623
; %bb.622:
	s_wait_loadcnt 0x0
	global_load_b32 v2, v[0:1], off
	s_wait_loadcnt 0x0
	v_cvt_f32_f16_e32 v2, v2
	s_delay_alu instid0(VALU_DEP_1)
	v_cvt_f64_f32_e32 v[2:3], v2
.LBB110_623:
	s_mov_b32 s30, 0
.LBB110_624:
	s_delay_alu instid0(SALU_CYCLE_1)
	s_and_not1_b32 vcc_lo, exec_lo, s30
	s_cbranch_vccnz .LBB110_635
; %bb.625:
	s_cmp_lt_i32 s0, 6
	s_cbranch_scc1 .LBB110_628
; %bb.626:
	s_cmp_gt_i32 s0, 6
	s_cbranch_scc0 .LBB110_629
; %bb.627:
	s_wait_loadcnt 0x0
	global_load_b64 v[2:3], v[0:1], off
	s_mov_b32 s30, 0
	s_branch .LBB110_630
.LBB110_628:
	s_mov_b32 s30, -1
                                        ; implicit-def: $vgpr2_vgpr3
	s_branch .LBB110_633
.LBB110_629:
	s_mov_b32 s30, -1
                                        ; implicit-def: $vgpr2_vgpr3
.LBB110_630:
	s_delay_alu instid0(SALU_CYCLE_1)
	s_and_not1_b32 vcc_lo, exec_lo, s30
	s_cbranch_vccnz .LBB110_632
; %bb.631:
	s_wait_loadcnt 0x0
	global_load_b32 v2, v[0:1], off
	s_wait_loadcnt 0x0
	v_cvt_f64_f32_e32 v[2:3], v2
.LBB110_632:
	s_mov_b32 s30, 0
.LBB110_633:
	s_delay_alu instid0(SALU_CYCLE_1)
	s_and_not1_b32 vcc_lo, exec_lo, s30
	s_cbranch_vccnz .LBB110_635
; %bb.634:
	s_wait_loadcnt 0x0
	global_load_u16 v2, v[0:1], off
	s_wait_loadcnt 0x0
	v_cvt_f32_f16_e32 v2, v2
	s_delay_alu instid0(VALU_DEP_1)
	v_cvt_f64_f32_e32 v[2:3], v2
.LBB110_635:
	s_mov_b32 s30, 0
.LBB110_636:
	s_delay_alu instid0(SALU_CYCLE_1)
	s_and_not1_b32 vcc_lo, exec_lo, s30
	s_cbranch_vccnz .LBB110_656
; %bb.637:
	s_cmp_lt_i32 s0, 2
	s_cbranch_scc1 .LBB110_641
; %bb.638:
	s_cmp_lt_i32 s0, 3
	s_cbranch_scc1 .LBB110_642
; %bb.639:
	s_cmp_gt_i32 s0, 3
	s_cbranch_scc0 .LBB110_643
; %bb.640:
	s_wait_loadcnt 0x0
	global_load_b64 v[2:3], v[0:1], off
	s_mov_b32 s30, 0
	s_wait_loadcnt 0x0
	v_cvt_f64_i32_e32 v[4:5], v3
	v_cvt_f64_u32_e32 v[2:3], v2
	s_delay_alu instid0(VALU_DEP_2) | instskip(NEXT) | instid1(VALU_DEP_1)
	v_ldexp_f64 v[4:5], v[4:5], 32
	v_add_f64_e32 v[2:3], v[4:5], v[2:3]
	s_branch .LBB110_644
.LBB110_641:
	s_mov_b32 s30, -1
                                        ; implicit-def: $vgpr2_vgpr3
	s_branch .LBB110_650
.LBB110_642:
	s_mov_b32 s30, -1
                                        ; implicit-def: $vgpr2_vgpr3
	s_branch .LBB110_647
.LBB110_643:
	s_mov_b32 s30, -1
                                        ; implicit-def: $vgpr2_vgpr3
.LBB110_644:
	s_delay_alu instid0(SALU_CYCLE_1)
	s_and_not1_b32 vcc_lo, exec_lo, s30
	s_cbranch_vccnz .LBB110_646
; %bb.645:
	s_wait_loadcnt 0x0
	global_load_b32 v2, v[0:1], off
	s_wait_loadcnt 0x0
	v_cvt_f64_i32_e32 v[2:3], v2
.LBB110_646:
	s_mov_b32 s30, 0
.LBB110_647:
	s_delay_alu instid0(SALU_CYCLE_1)
	s_and_not1_b32 vcc_lo, exec_lo, s30
	s_cbranch_vccnz .LBB110_649
; %bb.648:
	s_wait_loadcnt 0x0
	global_load_i16 v2, v[0:1], off
	s_wait_loadcnt 0x0
	v_cvt_f64_i32_e32 v[2:3], v2
.LBB110_649:
	s_mov_b32 s30, 0
.LBB110_650:
	s_delay_alu instid0(SALU_CYCLE_1)
	s_and_not1_b32 vcc_lo, exec_lo, s30
	s_cbranch_vccnz .LBB110_656
; %bb.651:
	s_cmp_gt_i32 s0, 0
	s_mov_b32 s0, 0
	s_cbranch_scc0 .LBB110_653
; %bb.652:
	s_wait_loadcnt 0x0
	global_load_i8 v2, v[0:1], off
	s_wait_loadcnt 0x0
	v_cvt_f64_i32_e32 v[2:3], v2
	s_branch .LBB110_654
.LBB110_653:
	s_mov_b32 s0, -1
                                        ; implicit-def: $vgpr2_vgpr3
.LBB110_654:
	s_delay_alu instid0(SALU_CYCLE_1)
	s_and_not1_b32 vcc_lo, exec_lo, s0
	s_cbranch_vccnz .LBB110_656
; %bb.655:
	global_load_u8 v0, v[0:1], off
	s_wait_loadcnt 0x0
	v_cvt_f64_u32_e32 v[2:3], v0
.LBB110_656:
	s_branch .LBB110_526
.LBB110_657:
	s_mov_b32 s35, 0
	s_mov_b32 s0, s23
	;; [unrolled: 1-line block ×4, first 2 shown]
	s_branch .LBB110_1033
.LBB110_658:
	s_and_not1_saveexec_b32 s34, s34
	s_cbranch_execz .LBB110_421
.LBB110_659:
	v_add_f32_e64 v3, 0x46000000, |v2|
	s_and_not1_b32 s33, s33, exec_lo
	s_delay_alu instid0(VALU_DEP_1) | instskip(NEXT) | instid1(VALU_DEP_1)
	v_and_b32_e32 v3, 0xff, v3
	v_cmp_ne_u32_e32 vcc_lo, 0, v3
	s_and_b32 s35, vcc_lo, exec_lo
	s_delay_alu instid0(SALU_CYCLE_1)
	s_or_b32 s33, s33, s35
	s_or_b32 exec_lo, exec_lo, s34
	v_mov_b32_e32 v6, 0
	s_and_saveexec_b32 s34, s33
	s_cbranch_execnz .LBB110_422
	s_branch .LBB110_423
.LBB110_660:
	s_mov_b32 s33, -1
	s_mov_b32 s31, 0
.LBB110_661:
                                        ; implicit-def: $vgpr0_vgpr1
.LBB110_662:
	s_and_b32 vcc_lo, exec_lo, s35
	s_cbranch_vccz .LBB110_666
; %bb.663:
	s_cmp_eq_u32 s30, 44
	s_cbranch_scc0 .LBB110_665
; %bb.664:
	global_load_u8 v6, v[4:5], off
	s_mov_b32 s33, 0
	s_mov_b32 s31, -1
	s_wait_loadcnt 0x0
	v_cmp_ne_u32_e32 vcc_lo, 0xff, v6
	v_lshlrev_b32_e32 v0, 23, v6
	s_delay_alu instid0(VALU_DEP_1) | instskip(NEXT) | instid1(VALU_DEP_1)
	v_cvt_f64_f32_e32 v[0:1], v0
	v_cndmask_b32_e32 v0, 0x20000000, v0, vcc_lo
	s_delay_alu instid0(VALU_DEP_2) | instskip(SKIP_1) | instid1(VALU_DEP_2)
	v_cndmask_b32_e32 v1, 0x7ff80000, v1, vcc_lo
	v_cmp_ne_u32_e32 vcc_lo, 0, v6
	v_cndmask_b32_e32 v1, 0x38000000, v1, vcc_lo
	s_delay_alu instid0(VALU_DEP_4)
	v_cndmask_b32_e32 v0, 0, v0, vcc_lo
	s_branch .LBB110_666
.LBB110_665:
	s_mov_b32 s33, -1
                                        ; implicit-def: $vgpr0_vgpr1
.LBB110_666:
	s_mov_b32 s35, 0
.LBB110_667:
	s_delay_alu instid0(SALU_CYCLE_1)
	s_and_b32 vcc_lo, exec_lo, s35
	s_cbranch_vccz .LBB110_671
; %bb.668:
	s_cmp_eq_u32 s30, 29
	s_cbranch_scc0 .LBB110_670
; %bb.669:
	global_load_b64 v[0:1], v[4:5], off
	s_mov_b32 s31, -1
	s_mov_b32 s33, 0
	s_mov_b32 s35, 0
	s_wait_loadcnt 0x0
	v_cvt_f64_u32_e32 v[6:7], v1
	v_cvt_f64_u32_e32 v[0:1], v0
	s_delay_alu instid0(VALU_DEP_2) | instskip(NEXT) | instid1(VALU_DEP_1)
	v_ldexp_f64 v[6:7], v[6:7], 32
	v_add_f64_e32 v[0:1], v[6:7], v[0:1]
	s_branch .LBB110_672
.LBB110_670:
	s_mov_b32 s33, -1
                                        ; implicit-def: $vgpr0_vgpr1
.LBB110_671:
	s_mov_b32 s35, 0
.LBB110_672:
	s_delay_alu instid0(SALU_CYCLE_1)
	s_and_b32 vcc_lo, exec_lo, s35
	s_cbranch_vccz .LBB110_690
; %bb.673:
	s_cmp_lt_i32 s30, 27
	s_cbranch_scc1 .LBB110_676
; %bb.674:
	s_cmp_gt_i32 s30, 27
	s_cbranch_scc0 .LBB110_677
; %bb.675:
	global_load_b32 v0, v[4:5], off
	s_mov_b32 s31, 0
	s_wait_loadcnt 0x0
	v_cvt_f64_u32_e32 v[0:1], v0
	s_branch .LBB110_678
.LBB110_676:
	s_mov_b32 s31, -1
                                        ; implicit-def: $vgpr0_vgpr1
	s_branch .LBB110_681
.LBB110_677:
	s_mov_b32 s31, -1
                                        ; implicit-def: $vgpr0_vgpr1
.LBB110_678:
	s_delay_alu instid0(SALU_CYCLE_1)
	s_and_not1_b32 vcc_lo, exec_lo, s31
	s_cbranch_vccnz .LBB110_680
; %bb.679:
	global_load_u16 v0, v[4:5], off
	s_wait_loadcnt 0x0
	v_cvt_f64_u32_e32 v[0:1], v0
.LBB110_680:
	s_mov_b32 s31, 0
.LBB110_681:
	s_delay_alu instid0(SALU_CYCLE_1)
	s_and_not1_b32 vcc_lo, exec_lo, s31
	s_cbranch_vccnz .LBB110_689
; %bb.682:
	global_load_u8 v6, v[4:5], off
	s_mov_b32 s31, 0
	s_mov_b32 s35, exec_lo
	s_wait_loadcnt 0x0
	v_cmpx_lt_i16_e32 0x7f, v6
	s_xor_b32 s35, exec_lo, s35
	s_cbranch_execz .LBB110_703
; %bb.683:
	s_mov_b32 s31, -1
	s_mov_b32 s36, exec_lo
	v_cmpx_eq_u16_e32 0x80, v6
; %bb.684:
	s_xor_b32 s31, exec_lo, -1
; %bb.685:
	s_or_b32 exec_lo, exec_lo, s36
	s_delay_alu instid0(SALU_CYCLE_1)
	s_and_b32 s31, s31, exec_lo
	s_or_saveexec_b32 s35, s35
	v_mov_b64_e32 v[0:1], 0x7ff8000020000000
	s_xor_b32 exec_lo, exec_lo, s35
	s_cbranch_execnz .LBB110_704
.LBB110_686:
	s_or_b32 exec_lo, exec_lo, s35
	s_and_saveexec_b32 s35, s31
	s_cbranch_execz .LBB110_688
.LBB110_687:
	v_and_b32_e32 v0, 0xffff, v6
	s_delay_alu instid0(VALU_DEP_1) | instskip(SKIP_1) | instid1(VALU_DEP_2)
	v_and_b32_e32 v1, 7, v0
	v_bfe_u32 v9, v0, 3, 4
	v_clz_i32_u32_e32 v7, v1
	s_delay_alu instid0(VALU_DEP_2) | instskip(NEXT) | instid1(VALU_DEP_2)
	v_cmp_eq_u32_e32 vcc_lo, 0, v9
	v_min_u32_e32 v7, 32, v7
	s_delay_alu instid0(VALU_DEP_1) | instskip(NEXT) | instid1(VALU_DEP_1)
	v_subrev_nc_u32_e32 v8, 28, v7
	v_dual_lshlrev_b32 v0, v8, v0 :: v_dual_sub_nc_u32 v7, 29, v7
	s_delay_alu instid0(VALU_DEP_1) | instskip(NEXT) | instid1(VALU_DEP_2)
	v_dual_lshlrev_b32 v6, 24, v6 :: v_dual_bitop2_b32 v0, 7, v0 bitop3:0x40
	v_cndmask_b32_e32 v7, v9, v7, vcc_lo
	s_delay_alu instid0(VALU_DEP_2) | instskip(NEXT) | instid1(VALU_DEP_3)
	v_cndmask_b32_e32 v0, v1, v0, vcc_lo
	v_and_b32_e32 v1, 0x80000000, v6
	s_delay_alu instid0(VALU_DEP_3) | instskip(NEXT) | instid1(VALU_DEP_3)
	v_lshl_add_u32 v6, v7, 23, 0x3b800000
	v_lshlrev_b32_e32 v0, 20, v0
	s_delay_alu instid0(VALU_DEP_1) | instskip(NEXT) | instid1(VALU_DEP_1)
	v_or3_b32 v0, v1, v6, v0
	v_cvt_f64_f32_e32 v[0:1], v0
.LBB110_688:
	s_or_b32 exec_lo, exec_lo, s35
.LBB110_689:
	s_mov_b32 s31, -1
.LBB110_690:
	s_mov_b32 s35, 0
.LBB110_691:
	s_delay_alu instid0(SALU_CYCLE_1)
	s_and_b32 vcc_lo, exec_lo, s35
	s_cbranch_vccz .LBB110_726
; %bb.692:
	s_cmp_gt_i32 s30, 22
	s_cbranch_scc0 .LBB110_702
; %bb.693:
	s_cmp_lt_i32 s30, 24
	s_cbranch_scc1 .LBB110_705
; %bb.694:
	s_cmp_gt_i32 s30, 24
	s_cbranch_scc0 .LBB110_706
; %bb.695:
	global_load_u8 v6, v[4:5], off
	s_mov_b32 s31, 0
	s_mov_b32 s35, exec_lo
	s_wait_loadcnt 0x0
	v_cmpx_lt_i16_e32 0x7f, v6
	s_xor_b32 s35, exec_lo, s35
	s_cbranch_execz .LBB110_718
; %bb.696:
	s_mov_b32 s31, -1
	s_mov_b32 s36, exec_lo
	v_cmpx_eq_u16_e32 0x80, v6
; %bb.697:
	s_xor_b32 s31, exec_lo, -1
; %bb.698:
	s_or_b32 exec_lo, exec_lo, s36
	s_delay_alu instid0(SALU_CYCLE_1)
	s_and_b32 s31, s31, exec_lo
	s_or_saveexec_b32 s35, s35
	v_mov_b64_e32 v[0:1], 0x7ff8000020000000
	s_xor_b32 exec_lo, exec_lo, s35
	s_cbranch_execnz .LBB110_719
.LBB110_699:
	s_or_b32 exec_lo, exec_lo, s35
	s_and_saveexec_b32 s35, s31
	s_cbranch_execz .LBB110_701
.LBB110_700:
	v_and_b32_e32 v0, 0xffff, v6
	s_delay_alu instid0(VALU_DEP_1) | instskip(SKIP_1) | instid1(VALU_DEP_2)
	v_and_b32_e32 v1, 3, v0
	v_bfe_u32 v9, v0, 2, 5
	v_clz_i32_u32_e32 v7, v1
	s_delay_alu instid0(VALU_DEP_2) | instskip(NEXT) | instid1(VALU_DEP_2)
	v_cmp_eq_u32_e32 vcc_lo, 0, v9
	v_min_u32_e32 v7, 32, v7
	s_delay_alu instid0(VALU_DEP_1) | instskip(NEXT) | instid1(VALU_DEP_1)
	v_subrev_nc_u32_e32 v8, 29, v7
	v_dual_lshlrev_b32 v0, v8, v0 :: v_dual_sub_nc_u32 v7, 30, v7
	s_delay_alu instid0(VALU_DEP_1) | instskip(NEXT) | instid1(VALU_DEP_2)
	v_dual_lshlrev_b32 v6, 24, v6 :: v_dual_bitop2_b32 v0, 3, v0 bitop3:0x40
	v_cndmask_b32_e32 v7, v9, v7, vcc_lo
	s_delay_alu instid0(VALU_DEP_2) | instskip(NEXT) | instid1(VALU_DEP_3)
	v_cndmask_b32_e32 v0, v1, v0, vcc_lo
	v_and_b32_e32 v1, 0x80000000, v6
	s_delay_alu instid0(VALU_DEP_3) | instskip(NEXT) | instid1(VALU_DEP_3)
	v_lshl_add_u32 v6, v7, 23, 0x37800000
	v_lshlrev_b32_e32 v0, 21, v0
	s_delay_alu instid0(VALU_DEP_1) | instskip(NEXT) | instid1(VALU_DEP_1)
	v_or3_b32 v0, v1, v6, v0
	v_cvt_f64_f32_e32 v[0:1], v0
.LBB110_701:
	s_or_b32 exec_lo, exec_lo, s35
	s_mov_b32 s31, 0
	s_branch .LBB110_707
.LBB110_702:
	s_mov_b32 s35, -1
                                        ; implicit-def: $vgpr0_vgpr1
	s_branch .LBB110_713
.LBB110_703:
	s_or_saveexec_b32 s35, s35
	v_mov_b64_e32 v[0:1], 0x7ff8000020000000
	s_xor_b32 exec_lo, exec_lo, s35
	s_cbranch_execz .LBB110_686
.LBB110_704:
	v_cmp_ne_u16_e32 vcc_lo, 0, v6
	v_mov_b64_e32 v[0:1], 0
	s_and_not1_b32 s31, s31, exec_lo
	s_and_b32 s36, vcc_lo, exec_lo
	s_delay_alu instid0(SALU_CYCLE_1)
	s_or_b32 s31, s31, s36
	s_or_b32 exec_lo, exec_lo, s35
	s_and_saveexec_b32 s35, s31
	s_cbranch_execnz .LBB110_687
	s_branch .LBB110_688
.LBB110_705:
	s_mov_b32 s31, -1
                                        ; implicit-def: $vgpr0_vgpr1
	s_branch .LBB110_710
.LBB110_706:
	s_mov_b32 s31, -1
                                        ; implicit-def: $vgpr0_vgpr1
.LBB110_707:
	s_delay_alu instid0(SALU_CYCLE_1)
	s_and_b32 vcc_lo, exec_lo, s31
	s_cbranch_vccz .LBB110_709
; %bb.708:
	global_load_u8 v0, v[4:5], off
	s_wait_loadcnt 0x0
	v_lshlrev_b32_e32 v0, 24, v0
	s_delay_alu instid0(VALU_DEP_1) | instskip(NEXT) | instid1(VALU_DEP_1)
	v_and_b32_e32 v1, 0x7f000000, v0
	v_clz_i32_u32_e32 v6, v1
	v_cmp_ne_u32_e32 vcc_lo, 0, v1
	v_add_nc_u32_e32 v8, 0x1000000, v1
	s_delay_alu instid0(VALU_DEP_3) | instskip(NEXT) | instid1(VALU_DEP_1)
	v_min_u32_e32 v6, 32, v6
	v_sub_nc_u32_e64 v6, v6, 4 clamp
	s_delay_alu instid0(VALU_DEP_1) | instskip(NEXT) | instid1(VALU_DEP_1)
	v_dual_lshlrev_b32 v7, v6, v1 :: v_dual_lshlrev_b32 v6, 23, v6
	v_lshrrev_b32_e32 v7, 4, v7
	s_delay_alu instid0(VALU_DEP_1) | instskip(NEXT) | instid1(VALU_DEP_1)
	v_dual_sub_nc_u32 v6, v7, v6 :: v_dual_ashrrev_i32 v7, 8, v8
	v_add_nc_u32_e32 v6, 0x3c000000, v6
	s_delay_alu instid0(VALU_DEP_1) | instskip(NEXT) | instid1(VALU_DEP_1)
	v_and_or_b32 v6, 0x7f800000, v7, v6
	v_cndmask_b32_e32 v1, 0, v6, vcc_lo
	s_delay_alu instid0(VALU_DEP_1) | instskip(NEXT) | instid1(VALU_DEP_1)
	v_and_or_b32 v0, 0x80000000, v0, v1
	v_cvt_f64_f32_e32 v[0:1], v0
.LBB110_709:
	s_mov_b32 s31, 0
.LBB110_710:
	s_delay_alu instid0(SALU_CYCLE_1)
	s_and_not1_b32 vcc_lo, exec_lo, s31
	s_cbranch_vccnz .LBB110_712
; %bb.711:
	global_load_u8 v0, v[4:5], off
	s_wait_loadcnt 0x0
	v_lshlrev_b32_e32 v1, 25, v0
	v_lshlrev_b16 v0, 8, v0
	s_delay_alu instid0(VALU_DEP_1) | instskip(SKIP_1) | instid1(VALU_DEP_2)
	v_and_or_b32 v7, 0x7f00, v0, 0.5
	v_bfe_i32 v0, v0, 0, 16
	v_dual_add_f32 v7, -0.5, v7 :: v_dual_lshrrev_b32 v6, 4, v1
	v_cmp_gt_u32_e32 vcc_lo, 0x8000000, v1
	s_delay_alu instid0(VALU_DEP_2) | instskip(NEXT) | instid1(VALU_DEP_1)
	v_or_b32_e32 v6, 0x70000000, v6
	v_mul_f32_e32 v6, 0x7800000, v6
	s_delay_alu instid0(VALU_DEP_1) | instskip(NEXT) | instid1(VALU_DEP_1)
	v_cndmask_b32_e32 v1, v6, v7, vcc_lo
	v_and_or_b32 v0, 0x80000000, v0, v1
	s_delay_alu instid0(VALU_DEP_1)
	v_cvt_f64_f32_e32 v[0:1], v0
.LBB110_712:
	s_mov_b32 s35, 0
	s_mov_b32 s31, -1
.LBB110_713:
	s_and_not1_b32 vcc_lo, exec_lo, s35
	s_cbranch_vccnz .LBB110_726
; %bb.714:
	s_cmp_gt_i32 s30, 14
	s_cbranch_scc0 .LBB110_717
; %bb.715:
	s_cmp_eq_u32 s30, 15
	s_cbranch_scc0 .LBB110_720
; %bb.716:
	global_load_u16 v0, v[4:5], off
	s_mov_b32 s31, -1
	s_mov_b32 s33, 0
	s_wait_loadcnt 0x0
	v_lshlrev_b32_e32 v0, 16, v0
	s_delay_alu instid0(VALU_DEP_1)
	v_cvt_f64_f32_e32 v[0:1], v0
	s_branch .LBB110_721
.LBB110_717:
	s_mov_b32 s35, -1
                                        ; implicit-def: $vgpr0_vgpr1
	s_branch .LBB110_722
.LBB110_718:
	s_or_saveexec_b32 s35, s35
	v_mov_b64_e32 v[0:1], 0x7ff8000020000000
	s_xor_b32 exec_lo, exec_lo, s35
	s_cbranch_execz .LBB110_699
.LBB110_719:
	v_cmp_ne_u16_e32 vcc_lo, 0, v6
	v_mov_b64_e32 v[0:1], 0
	s_and_not1_b32 s31, s31, exec_lo
	s_and_b32 s36, vcc_lo, exec_lo
	s_delay_alu instid0(SALU_CYCLE_1)
	s_or_b32 s31, s31, s36
	s_or_b32 exec_lo, exec_lo, s35
	s_and_saveexec_b32 s35, s31
	s_cbranch_execnz .LBB110_700
	s_branch .LBB110_701
.LBB110_720:
	s_mov_b32 s33, -1
                                        ; implicit-def: $vgpr0_vgpr1
.LBB110_721:
	s_mov_b32 s35, 0
.LBB110_722:
	s_delay_alu instid0(SALU_CYCLE_1)
	s_and_b32 vcc_lo, exec_lo, s35
	s_cbranch_vccz .LBB110_726
; %bb.723:
	s_cmp_eq_u32 s30, 11
	s_cbranch_scc0 .LBB110_725
; %bb.724:
	global_load_u8 v0, v[4:5], off
	s_mov_b32 s33, 0
	s_mov_b32 s31, -1
	s_wait_loadcnt 0x0
	v_cmp_ne_u16_e32 vcc_lo, 0, v0
	v_mov_b32_e32 v0, 0
	v_cndmask_b32_e64 v1, 0, 0x3ff00000, vcc_lo
	s_branch .LBB110_726
.LBB110_725:
	s_mov_b32 s33, -1
                                        ; implicit-def: $vgpr0_vgpr1
.LBB110_726:
	s_mov_b32 s30, 0
.LBB110_727:
	s_delay_alu instid0(SALU_CYCLE_1)
	s_and_b32 vcc_lo, exec_lo, s30
	s_cbranch_vccz .LBB110_776
; %bb.728:
	s_and_b32 s0, 0xffff, s0
	s_delay_alu instid0(SALU_CYCLE_1)
	s_cmp_lt_i32 s0, 5
	s_cbranch_scc1 .LBB110_733
; %bb.729:
	s_cmp_lt_i32 s0, 8
	s_cbranch_scc1 .LBB110_734
; %bb.730:
	;; [unrolled: 3-line block ×3, first 2 shown]
	s_cmp_gt_i32 s0, 9
	s_cbranch_scc0 .LBB110_736
; %bb.732:
	global_load_b64 v[0:1], v[4:5], off
	s_mov_b32 s30, 0
	s_branch .LBB110_737
.LBB110_733:
	s_mov_b32 s30, -1
                                        ; implicit-def: $vgpr0_vgpr1
	s_branch .LBB110_755
.LBB110_734:
	s_mov_b32 s30, -1
                                        ; implicit-def: $vgpr0_vgpr1
	s_branch .LBB110_743
.LBB110_735:
	s_mov_b32 s30, -1
                                        ; implicit-def: $vgpr0_vgpr1
	s_branch .LBB110_740
.LBB110_736:
	s_mov_b32 s30, -1
                                        ; implicit-def: $vgpr0_vgpr1
.LBB110_737:
	s_delay_alu instid0(SALU_CYCLE_1)
	s_and_not1_b32 vcc_lo, exec_lo, s30
	s_cbranch_vccnz .LBB110_739
; %bb.738:
	s_wait_loadcnt 0x0
	global_load_b32 v0, v[4:5], off
	s_wait_loadcnt 0x0
	v_cvt_f64_f32_e32 v[0:1], v0
.LBB110_739:
	s_mov_b32 s30, 0
.LBB110_740:
	s_delay_alu instid0(SALU_CYCLE_1)
	s_and_not1_b32 vcc_lo, exec_lo, s30
	s_cbranch_vccnz .LBB110_742
; %bb.741:
	s_wait_loadcnt 0x0
	global_load_b32 v0, v[4:5], off
	s_wait_loadcnt 0x0
	v_cvt_f32_f16_e32 v0, v0
	s_delay_alu instid0(VALU_DEP_1)
	v_cvt_f64_f32_e32 v[0:1], v0
.LBB110_742:
	s_mov_b32 s30, 0
.LBB110_743:
	s_delay_alu instid0(SALU_CYCLE_1)
	s_and_not1_b32 vcc_lo, exec_lo, s30
	s_cbranch_vccnz .LBB110_754
; %bb.744:
	s_cmp_lt_i32 s0, 6
	s_cbranch_scc1 .LBB110_747
; %bb.745:
	s_cmp_gt_i32 s0, 6
	s_cbranch_scc0 .LBB110_748
; %bb.746:
	s_wait_loadcnt 0x0
	global_load_b64 v[0:1], v[4:5], off
	s_mov_b32 s30, 0
	s_branch .LBB110_749
.LBB110_747:
	s_mov_b32 s30, -1
                                        ; implicit-def: $vgpr0_vgpr1
	s_branch .LBB110_752
.LBB110_748:
	s_mov_b32 s30, -1
                                        ; implicit-def: $vgpr0_vgpr1
.LBB110_749:
	s_delay_alu instid0(SALU_CYCLE_1)
	s_and_not1_b32 vcc_lo, exec_lo, s30
	s_cbranch_vccnz .LBB110_751
; %bb.750:
	s_wait_loadcnt 0x0
	global_load_b32 v0, v[4:5], off
	s_wait_loadcnt 0x0
	v_cvt_f64_f32_e32 v[0:1], v0
.LBB110_751:
	s_mov_b32 s30, 0
.LBB110_752:
	s_delay_alu instid0(SALU_CYCLE_1)
	s_and_not1_b32 vcc_lo, exec_lo, s30
	s_cbranch_vccnz .LBB110_754
; %bb.753:
	s_wait_loadcnt 0x0
	global_load_u16 v0, v[4:5], off
	s_wait_loadcnt 0x0
	v_cvt_f32_f16_e32 v0, v0
	s_delay_alu instid0(VALU_DEP_1)
	v_cvt_f64_f32_e32 v[0:1], v0
.LBB110_754:
	s_mov_b32 s30, 0
.LBB110_755:
	s_delay_alu instid0(SALU_CYCLE_1)
	s_and_not1_b32 vcc_lo, exec_lo, s30
	s_cbranch_vccnz .LBB110_775
; %bb.756:
	s_cmp_lt_i32 s0, 2
	s_cbranch_scc1 .LBB110_760
; %bb.757:
	s_cmp_lt_i32 s0, 3
	s_cbranch_scc1 .LBB110_761
; %bb.758:
	s_cmp_gt_i32 s0, 3
	s_cbranch_scc0 .LBB110_762
; %bb.759:
	s_wait_loadcnt 0x0
	global_load_b64 v[0:1], v[4:5], off
	s_mov_b32 s30, 0
	s_wait_loadcnt 0x0
	v_cvt_f64_i32_e32 v[6:7], v1
	v_cvt_f64_u32_e32 v[0:1], v0
	s_delay_alu instid0(VALU_DEP_2) | instskip(NEXT) | instid1(VALU_DEP_1)
	v_ldexp_f64 v[6:7], v[6:7], 32
	v_add_f64_e32 v[0:1], v[6:7], v[0:1]
	s_branch .LBB110_763
.LBB110_760:
	s_mov_b32 s30, -1
                                        ; implicit-def: $vgpr0_vgpr1
	s_branch .LBB110_769
.LBB110_761:
	s_mov_b32 s30, -1
                                        ; implicit-def: $vgpr0_vgpr1
	s_branch .LBB110_766
.LBB110_762:
	s_mov_b32 s30, -1
                                        ; implicit-def: $vgpr0_vgpr1
.LBB110_763:
	s_delay_alu instid0(SALU_CYCLE_1)
	s_and_not1_b32 vcc_lo, exec_lo, s30
	s_cbranch_vccnz .LBB110_765
; %bb.764:
	s_wait_loadcnt 0x0
	global_load_b32 v0, v[4:5], off
	s_wait_loadcnt 0x0
	v_cvt_f64_i32_e32 v[0:1], v0
.LBB110_765:
	s_mov_b32 s30, 0
.LBB110_766:
	s_delay_alu instid0(SALU_CYCLE_1)
	s_and_not1_b32 vcc_lo, exec_lo, s30
	s_cbranch_vccnz .LBB110_768
; %bb.767:
	s_wait_loadcnt 0x0
	global_load_i16 v0, v[4:5], off
	s_wait_loadcnt 0x0
	v_cvt_f64_i32_e32 v[0:1], v0
.LBB110_768:
	s_mov_b32 s30, 0
.LBB110_769:
	s_delay_alu instid0(SALU_CYCLE_1)
	s_and_not1_b32 vcc_lo, exec_lo, s30
	s_cbranch_vccnz .LBB110_775
; %bb.770:
	s_cmp_gt_i32 s0, 0
	s_mov_b32 s0, 0
	s_cbranch_scc0 .LBB110_772
; %bb.771:
	s_wait_loadcnt 0x0
	global_load_i8 v0, v[4:5], off
	s_wait_loadcnt 0x0
	v_cvt_f64_i32_e32 v[0:1], v0
	s_branch .LBB110_773
.LBB110_772:
	s_mov_b32 s0, -1
                                        ; implicit-def: $vgpr0_vgpr1
.LBB110_773:
	s_delay_alu instid0(SALU_CYCLE_1)
	s_and_not1_b32 vcc_lo, exec_lo, s0
	s_cbranch_vccnz .LBB110_775
; %bb.774:
	s_wait_loadcnt 0x0
	global_load_u8 v0, v[4:5], off
	s_wait_loadcnt 0x0
	v_cvt_f64_u32_e32 v[0:1], v0
.LBB110_775:
	s_mov_b32 s31, -1
.LBB110_776:
	s_delay_alu instid0(SALU_CYCLE_1)
	s_and_not1_b32 vcc_lo, exec_lo, s31
	s_cbranch_vccnz .LBB110_784
; %bb.777:
	s_wait_xcnt 0x0
	v_mul_lo_u32 v4, v26, s15
	s_and_b32 s0, 0xffff, s1
	s_delay_alu instid0(SALU_CYCLE_1) | instskip(NEXT) | instid1(VALU_DEP_1)
	s_cmp_lt_i32 s0, 11
	v_ashrrev_i32_e32 v5, 31, v4
	s_delay_alu instid0(VALU_DEP_1)
	v_add_nc_u64_e32 v[4:5], s[10:11], v[4:5]
	s_cbranch_scc1 .LBB110_785
; %bb.778:
	s_cmp_gt_i32 s0, 25
	s_cbranch_scc0 .LBB110_786
; %bb.779:
	s_cmp_gt_i32 s0, 28
	s_cbranch_scc0 .LBB110_787
	;; [unrolled: 3-line block ×4, first 2 shown]
; %bb.782:
	s_cmp_eq_u32 s0, 46
	s_mov_b32 s35, 0
	s_cbranch_scc0 .LBB110_792
; %bb.783:
	global_load_b32 v6, v[4:5], off
	s_mov_b32 s31, -1
	s_mov_b32 s30, 0
	s_wait_loadcnt 0x0
	v_lshlrev_b32_e32 v6, 16, v6
	s_delay_alu instid0(VALU_DEP_1)
	v_cvt_f64_f32_e32 v[6:7], v6
	s_branch .LBB110_794
.LBB110_784:
	s_mov_b32 s35, 0
	s_mov_b32 s0, s23
	;; [unrolled: 1-line block ×3, first 2 shown]
	s_branch .LBB110_1033
.LBB110_785:
	s_mov_b32 s35, -1
	s_mov_b32 s31, 0
	s_mov_b32 s30, s25
                                        ; implicit-def: $vgpr6_vgpr7
	s_branch .LBB110_859
.LBB110_786:
	s_mov_b32 s35, -1
	s_mov_b32 s31, 0
	s_mov_b32 s30, s25
                                        ; implicit-def: $vgpr6_vgpr7
	s_branch .LBB110_823
.LBB110_787:
	s_mov_b32 s35, -1
	s_mov_b32 s31, 0
	s_mov_b32 s30, s25
                                        ; implicit-def: $vgpr6_vgpr7
	s_branch .LBB110_804
.LBB110_788:
	s_mov_b32 s35, -1
	s_mov_b32 s31, 0
	s_mov_b32 s30, s25
                                        ; implicit-def: $vgpr6_vgpr7
	s_branch .LBB110_799
.LBB110_789:
	s_mov_b32 s35, -1
	s_mov_b32 s31, 0
	s_mov_b32 s30, s25
	s_branch .LBB110_793
.LBB110_790:
	s_and_not1_saveexec_b32 s34, s34
	s_cbranch_execz .LBB110_434
.LBB110_791:
	v_add_f32_e64 v3, 0x42800000, |v2|
	s_and_not1_b32 s33, s33, exec_lo
	s_delay_alu instid0(VALU_DEP_1) | instskip(NEXT) | instid1(VALU_DEP_1)
	v_and_b32_e32 v3, 0xff, v3
	v_cmp_ne_u32_e32 vcc_lo, 0, v3
	s_and_b32 s35, vcc_lo, exec_lo
	s_delay_alu instid0(SALU_CYCLE_1)
	s_or_b32 s33, s33, s35
	s_or_b32 exec_lo, exec_lo, s34
	v_mov_b32_e32 v6, 0
	s_and_saveexec_b32 s34, s33
	s_cbranch_execnz .LBB110_435
	s_branch .LBB110_436
.LBB110_792:
	s_mov_b32 s30, -1
	s_mov_b32 s31, 0
.LBB110_793:
                                        ; implicit-def: $vgpr6_vgpr7
.LBB110_794:
	s_and_b32 vcc_lo, exec_lo, s35
	s_cbranch_vccz .LBB110_798
; %bb.795:
	s_cmp_eq_u32 s0, 44
	s_cbranch_scc0 .LBB110_797
; %bb.796:
	global_load_u8 v8, v[4:5], off
	s_mov_b32 s30, 0
	s_mov_b32 s31, -1
	s_wait_loadcnt 0x0
	v_cmp_ne_u32_e32 vcc_lo, 0xff, v8
	v_lshlrev_b32_e32 v6, 23, v8
	s_delay_alu instid0(VALU_DEP_1) | instskip(NEXT) | instid1(VALU_DEP_1)
	v_cvt_f64_f32_e32 v[6:7], v6
	v_cndmask_b32_e32 v6, 0x20000000, v6, vcc_lo
	s_delay_alu instid0(VALU_DEP_2) | instskip(SKIP_1) | instid1(VALU_DEP_2)
	v_cndmask_b32_e32 v7, 0x7ff80000, v7, vcc_lo
	v_cmp_ne_u32_e32 vcc_lo, 0, v8
	v_cndmask_b32_e32 v7, 0x38000000, v7, vcc_lo
	s_delay_alu instid0(VALU_DEP_4)
	v_cndmask_b32_e32 v6, 0, v6, vcc_lo
	s_branch .LBB110_798
.LBB110_797:
	s_mov_b32 s30, -1
                                        ; implicit-def: $vgpr6_vgpr7
.LBB110_798:
	s_mov_b32 s35, 0
.LBB110_799:
	s_delay_alu instid0(SALU_CYCLE_1)
	s_and_b32 vcc_lo, exec_lo, s35
	s_cbranch_vccz .LBB110_803
; %bb.800:
	s_cmp_eq_u32 s0, 29
	s_cbranch_scc0 .LBB110_802
; %bb.801:
	global_load_b64 v[6:7], v[4:5], off
	s_mov_b32 s31, -1
	s_mov_b32 s30, 0
	s_mov_b32 s35, 0
	s_wait_loadcnt 0x0
	v_cvt_f64_u32_e32 v[8:9], v7
	v_cvt_f64_u32_e32 v[6:7], v6
	s_delay_alu instid0(VALU_DEP_2) | instskip(NEXT) | instid1(VALU_DEP_1)
	v_ldexp_f64 v[8:9], v[8:9], 32
	v_add_f64_e32 v[6:7], v[8:9], v[6:7]
	s_branch .LBB110_804
.LBB110_802:
	s_mov_b32 s30, -1
                                        ; implicit-def: $vgpr6_vgpr7
.LBB110_803:
	s_mov_b32 s35, 0
.LBB110_804:
	s_delay_alu instid0(SALU_CYCLE_1)
	s_and_b32 vcc_lo, exec_lo, s35
	s_cbranch_vccz .LBB110_822
; %bb.805:
	s_cmp_lt_i32 s0, 27
	s_cbranch_scc1 .LBB110_808
; %bb.806:
	s_cmp_gt_i32 s0, 27
	s_cbranch_scc0 .LBB110_809
; %bb.807:
	global_load_b32 v6, v[4:5], off
	s_mov_b32 s31, 0
	s_wait_loadcnt 0x0
	v_cvt_f64_u32_e32 v[6:7], v6
	s_branch .LBB110_810
.LBB110_808:
	s_mov_b32 s31, -1
                                        ; implicit-def: $vgpr6_vgpr7
	s_branch .LBB110_813
.LBB110_809:
	s_mov_b32 s31, -1
                                        ; implicit-def: $vgpr6_vgpr7
.LBB110_810:
	s_delay_alu instid0(SALU_CYCLE_1)
	s_and_not1_b32 vcc_lo, exec_lo, s31
	s_cbranch_vccnz .LBB110_812
; %bb.811:
	global_load_u16 v6, v[4:5], off
	s_wait_loadcnt 0x0
	v_cvt_f64_u32_e32 v[6:7], v6
.LBB110_812:
	s_mov_b32 s31, 0
.LBB110_813:
	s_delay_alu instid0(SALU_CYCLE_1)
	s_and_not1_b32 vcc_lo, exec_lo, s31
	s_cbranch_vccnz .LBB110_821
; %bb.814:
	global_load_u8 v8, v[4:5], off
	s_mov_b32 s31, 0
	s_mov_b32 s35, exec_lo
	s_wait_loadcnt 0x0
	v_cmpx_lt_i16_e32 0x7f, v8
	s_xor_b32 s35, exec_lo, s35
	s_cbranch_execz .LBB110_835
; %bb.815:
	s_mov_b32 s31, -1
	s_mov_b32 s36, exec_lo
	v_cmpx_eq_u16_e32 0x80, v8
; %bb.816:
	s_xor_b32 s31, exec_lo, -1
; %bb.817:
	s_or_b32 exec_lo, exec_lo, s36
	s_delay_alu instid0(SALU_CYCLE_1)
	s_and_b32 s31, s31, exec_lo
	s_or_saveexec_b32 s35, s35
	v_mov_b64_e32 v[6:7], 0x7ff8000020000000
	s_xor_b32 exec_lo, exec_lo, s35
	s_cbranch_execnz .LBB110_836
.LBB110_818:
	s_or_b32 exec_lo, exec_lo, s35
	s_and_saveexec_b32 s35, s31
	s_cbranch_execz .LBB110_820
.LBB110_819:
	v_and_b32_e32 v6, 0xffff, v8
	s_delay_alu instid0(VALU_DEP_1) | instskip(SKIP_1) | instid1(VALU_DEP_2)
	v_and_b32_e32 v7, 7, v6
	v_bfe_u32 v11, v6, 3, 4
	v_clz_i32_u32_e32 v9, v7
	s_delay_alu instid0(VALU_DEP_2) | instskip(NEXT) | instid1(VALU_DEP_2)
	v_cmp_eq_u32_e32 vcc_lo, 0, v11
	v_min_u32_e32 v9, 32, v9
	s_delay_alu instid0(VALU_DEP_1) | instskip(NEXT) | instid1(VALU_DEP_1)
	v_subrev_nc_u32_e32 v10, 28, v9
	v_dual_lshlrev_b32 v6, v10, v6 :: v_dual_sub_nc_u32 v9, 29, v9
	s_delay_alu instid0(VALU_DEP_1) | instskip(NEXT) | instid1(VALU_DEP_2)
	v_dual_lshlrev_b32 v8, 24, v8 :: v_dual_bitop2_b32 v6, 7, v6 bitop3:0x40
	v_cndmask_b32_e32 v9, v11, v9, vcc_lo
	s_delay_alu instid0(VALU_DEP_2) | instskip(NEXT) | instid1(VALU_DEP_3)
	v_cndmask_b32_e32 v6, v7, v6, vcc_lo
	v_and_b32_e32 v7, 0x80000000, v8
	s_delay_alu instid0(VALU_DEP_3) | instskip(NEXT) | instid1(VALU_DEP_3)
	v_lshl_add_u32 v8, v9, 23, 0x3b800000
	v_lshlrev_b32_e32 v6, 20, v6
	s_delay_alu instid0(VALU_DEP_1) | instskip(NEXT) | instid1(VALU_DEP_1)
	v_or3_b32 v6, v7, v8, v6
	v_cvt_f64_f32_e32 v[6:7], v6
.LBB110_820:
	s_or_b32 exec_lo, exec_lo, s35
.LBB110_821:
	s_mov_b32 s31, -1
.LBB110_822:
	s_mov_b32 s35, 0
.LBB110_823:
	s_delay_alu instid0(SALU_CYCLE_1)
	s_and_b32 vcc_lo, exec_lo, s35
	s_cbranch_vccz .LBB110_858
; %bb.824:
	s_cmp_gt_i32 s0, 22
	s_cbranch_scc0 .LBB110_834
; %bb.825:
	s_cmp_lt_i32 s0, 24
	s_cbranch_scc1 .LBB110_837
; %bb.826:
	s_cmp_gt_i32 s0, 24
	s_cbranch_scc0 .LBB110_838
; %bb.827:
	global_load_u8 v8, v[4:5], off
	s_mov_b32 s31, 0
	s_mov_b32 s35, exec_lo
	s_wait_loadcnt 0x0
	v_cmpx_lt_i16_e32 0x7f, v8
	s_xor_b32 s35, exec_lo, s35
	s_cbranch_execz .LBB110_850
; %bb.828:
	s_mov_b32 s31, -1
	s_mov_b32 s36, exec_lo
	v_cmpx_eq_u16_e32 0x80, v8
; %bb.829:
	s_xor_b32 s31, exec_lo, -1
; %bb.830:
	s_or_b32 exec_lo, exec_lo, s36
	s_delay_alu instid0(SALU_CYCLE_1)
	s_and_b32 s31, s31, exec_lo
	s_or_saveexec_b32 s35, s35
	v_mov_b64_e32 v[6:7], 0x7ff8000020000000
	s_xor_b32 exec_lo, exec_lo, s35
	s_cbranch_execnz .LBB110_851
.LBB110_831:
	s_or_b32 exec_lo, exec_lo, s35
	s_and_saveexec_b32 s35, s31
	s_cbranch_execz .LBB110_833
.LBB110_832:
	v_and_b32_e32 v6, 0xffff, v8
	s_delay_alu instid0(VALU_DEP_1) | instskip(SKIP_1) | instid1(VALU_DEP_2)
	v_and_b32_e32 v7, 3, v6
	v_bfe_u32 v11, v6, 2, 5
	v_clz_i32_u32_e32 v9, v7
	s_delay_alu instid0(VALU_DEP_2) | instskip(NEXT) | instid1(VALU_DEP_2)
	v_cmp_eq_u32_e32 vcc_lo, 0, v11
	v_min_u32_e32 v9, 32, v9
	s_delay_alu instid0(VALU_DEP_1) | instskip(NEXT) | instid1(VALU_DEP_1)
	v_subrev_nc_u32_e32 v10, 29, v9
	v_dual_lshlrev_b32 v6, v10, v6 :: v_dual_sub_nc_u32 v9, 30, v9
	s_delay_alu instid0(VALU_DEP_1) | instskip(NEXT) | instid1(VALU_DEP_2)
	v_dual_lshlrev_b32 v8, 24, v8 :: v_dual_bitop2_b32 v6, 3, v6 bitop3:0x40
	v_cndmask_b32_e32 v9, v11, v9, vcc_lo
	s_delay_alu instid0(VALU_DEP_2) | instskip(NEXT) | instid1(VALU_DEP_3)
	v_cndmask_b32_e32 v6, v7, v6, vcc_lo
	v_and_b32_e32 v7, 0x80000000, v8
	s_delay_alu instid0(VALU_DEP_3) | instskip(NEXT) | instid1(VALU_DEP_3)
	v_lshl_add_u32 v8, v9, 23, 0x37800000
	v_lshlrev_b32_e32 v6, 21, v6
	s_delay_alu instid0(VALU_DEP_1) | instskip(NEXT) | instid1(VALU_DEP_1)
	v_or3_b32 v6, v7, v8, v6
	v_cvt_f64_f32_e32 v[6:7], v6
.LBB110_833:
	s_or_b32 exec_lo, exec_lo, s35
	s_mov_b32 s31, 0
	s_branch .LBB110_839
.LBB110_834:
	s_mov_b32 s35, -1
                                        ; implicit-def: $vgpr6_vgpr7
	s_branch .LBB110_845
.LBB110_835:
	s_or_saveexec_b32 s35, s35
	v_mov_b64_e32 v[6:7], 0x7ff8000020000000
	s_xor_b32 exec_lo, exec_lo, s35
	s_cbranch_execz .LBB110_818
.LBB110_836:
	v_cmp_ne_u16_e32 vcc_lo, 0, v8
	v_mov_b64_e32 v[6:7], 0
	s_and_not1_b32 s31, s31, exec_lo
	s_and_b32 s36, vcc_lo, exec_lo
	s_delay_alu instid0(SALU_CYCLE_1)
	s_or_b32 s31, s31, s36
	s_or_b32 exec_lo, exec_lo, s35
	s_and_saveexec_b32 s35, s31
	s_cbranch_execnz .LBB110_819
	s_branch .LBB110_820
.LBB110_837:
	s_mov_b32 s31, -1
                                        ; implicit-def: $vgpr6_vgpr7
	s_branch .LBB110_842
.LBB110_838:
	s_mov_b32 s31, -1
                                        ; implicit-def: $vgpr6_vgpr7
.LBB110_839:
	s_delay_alu instid0(SALU_CYCLE_1)
	s_and_b32 vcc_lo, exec_lo, s31
	s_cbranch_vccz .LBB110_841
; %bb.840:
	global_load_u8 v6, v[4:5], off
	s_wait_loadcnt 0x0
	v_lshlrev_b32_e32 v6, 24, v6
	s_delay_alu instid0(VALU_DEP_1) | instskip(NEXT) | instid1(VALU_DEP_1)
	v_and_b32_e32 v7, 0x7f000000, v6
	v_clz_i32_u32_e32 v8, v7
	v_cmp_ne_u32_e32 vcc_lo, 0, v7
	v_add_nc_u32_e32 v10, 0x1000000, v7
	s_delay_alu instid0(VALU_DEP_3) | instskip(NEXT) | instid1(VALU_DEP_1)
	v_min_u32_e32 v8, 32, v8
	v_sub_nc_u32_e64 v8, v8, 4 clamp
	s_delay_alu instid0(VALU_DEP_1) | instskip(NEXT) | instid1(VALU_DEP_1)
	v_dual_lshlrev_b32 v9, v8, v7 :: v_dual_lshlrev_b32 v8, 23, v8
	v_lshrrev_b32_e32 v9, 4, v9
	s_delay_alu instid0(VALU_DEP_1) | instskip(NEXT) | instid1(VALU_DEP_1)
	v_dual_sub_nc_u32 v8, v9, v8 :: v_dual_ashrrev_i32 v9, 8, v10
	v_add_nc_u32_e32 v8, 0x3c000000, v8
	s_delay_alu instid0(VALU_DEP_1) | instskip(NEXT) | instid1(VALU_DEP_1)
	v_and_or_b32 v8, 0x7f800000, v9, v8
	v_cndmask_b32_e32 v7, 0, v8, vcc_lo
	s_delay_alu instid0(VALU_DEP_1) | instskip(NEXT) | instid1(VALU_DEP_1)
	v_and_or_b32 v6, 0x80000000, v6, v7
	v_cvt_f64_f32_e32 v[6:7], v6
.LBB110_841:
	s_mov_b32 s31, 0
.LBB110_842:
	s_delay_alu instid0(SALU_CYCLE_1)
	s_and_not1_b32 vcc_lo, exec_lo, s31
	s_cbranch_vccnz .LBB110_844
; %bb.843:
	global_load_u8 v6, v[4:5], off
	s_wait_loadcnt 0x0
	v_lshlrev_b32_e32 v7, 25, v6
	v_lshlrev_b16 v6, 8, v6
	s_delay_alu instid0(VALU_DEP_1) | instskip(SKIP_1) | instid1(VALU_DEP_2)
	v_and_or_b32 v9, 0x7f00, v6, 0.5
	v_bfe_i32 v6, v6, 0, 16
	v_dual_add_f32 v9, -0.5, v9 :: v_dual_lshrrev_b32 v8, 4, v7
	v_cmp_gt_u32_e32 vcc_lo, 0x8000000, v7
	s_delay_alu instid0(VALU_DEP_2) | instskip(NEXT) | instid1(VALU_DEP_1)
	v_or_b32_e32 v8, 0x70000000, v8
	v_mul_f32_e32 v8, 0x7800000, v8
	s_delay_alu instid0(VALU_DEP_1) | instskip(NEXT) | instid1(VALU_DEP_1)
	v_cndmask_b32_e32 v7, v8, v9, vcc_lo
	v_and_or_b32 v6, 0x80000000, v6, v7
	s_delay_alu instid0(VALU_DEP_1)
	v_cvt_f64_f32_e32 v[6:7], v6
.LBB110_844:
	s_mov_b32 s35, 0
	s_mov_b32 s31, -1
.LBB110_845:
	s_and_not1_b32 vcc_lo, exec_lo, s35
	s_cbranch_vccnz .LBB110_858
; %bb.846:
	s_cmp_gt_i32 s0, 14
	s_cbranch_scc0 .LBB110_849
; %bb.847:
	s_cmp_eq_u32 s0, 15
	s_cbranch_scc0 .LBB110_852
; %bb.848:
	global_load_u16 v6, v[4:5], off
	s_mov_b32 s31, -1
	s_mov_b32 s30, 0
	s_wait_loadcnt 0x0
	v_lshlrev_b32_e32 v6, 16, v6
	s_delay_alu instid0(VALU_DEP_1)
	v_cvt_f64_f32_e32 v[6:7], v6
	s_branch .LBB110_853
.LBB110_849:
	s_mov_b32 s35, -1
                                        ; implicit-def: $vgpr6_vgpr7
	s_branch .LBB110_854
.LBB110_850:
	s_or_saveexec_b32 s35, s35
	v_mov_b64_e32 v[6:7], 0x7ff8000020000000
	s_xor_b32 exec_lo, exec_lo, s35
	s_cbranch_execz .LBB110_831
.LBB110_851:
	v_cmp_ne_u16_e32 vcc_lo, 0, v8
	v_mov_b64_e32 v[6:7], 0
	s_and_not1_b32 s31, s31, exec_lo
	s_and_b32 s36, vcc_lo, exec_lo
	s_delay_alu instid0(SALU_CYCLE_1)
	s_or_b32 s31, s31, s36
	s_or_b32 exec_lo, exec_lo, s35
	s_and_saveexec_b32 s35, s31
	s_cbranch_execnz .LBB110_832
	s_branch .LBB110_833
.LBB110_852:
	s_mov_b32 s30, -1
                                        ; implicit-def: $vgpr6_vgpr7
.LBB110_853:
	s_mov_b32 s35, 0
.LBB110_854:
	s_delay_alu instid0(SALU_CYCLE_1)
	s_and_b32 vcc_lo, exec_lo, s35
	s_cbranch_vccz .LBB110_858
; %bb.855:
	s_cmp_eq_u32 s0, 11
	s_cbranch_scc0 .LBB110_857
; %bb.856:
	global_load_u8 v6, v[4:5], off
	s_mov_b32 s30, 0
	s_mov_b32 s31, -1
	s_wait_loadcnt 0x0
	v_cmp_ne_u16_e32 vcc_lo, 0, v6
	v_mov_b32_e32 v6, 0
	v_cndmask_b32_e64 v7, 0, 0x3ff00000, vcc_lo
	s_branch .LBB110_858
.LBB110_857:
	s_mov_b32 s30, -1
                                        ; implicit-def: $vgpr6_vgpr7
.LBB110_858:
	s_mov_b32 s35, 0
.LBB110_859:
	s_delay_alu instid0(SALU_CYCLE_1)
	s_and_b32 vcc_lo, exec_lo, s35
	s_cbranch_vccz .LBB110_908
; %bb.860:
	s_cmp_lt_i32 s0, 5
	s_cbranch_scc1 .LBB110_865
; %bb.861:
	s_cmp_lt_i32 s0, 8
	s_cbranch_scc1 .LBB110_866
	;; [unrolled: 3-line block ×3, first 2 shown]
; %bb.863:
	s_cmp_gt_i32 s0, 9
	s_cbranch_scc0 .LBB110_868
; %bb.864:
	global_load_b64 v[6:7], v[4:5], off
	s_mov_b32 s31, 0
	s_branch .LBB110_869
.LBB110_865:
	s_mov_b32 s31, -1
                                        ; implicit-def: $vgpr6_vgpr7
	s_branch .LBB110_887
.LBB110_866:
	s_mov_b32 s31, -1
                                        ; implicit-def: $vgpr6_vgpr7
	s_branch .LBB110_875
.LBB110_867:
	s_mov_b32 s31, -1
                                        ; implicit-def: $vgpr6_vgpr7
	s_branch .LBB110_872
.LBB110_868:
	s_mov_b32 s31, -1
                                        ; implicit-def: $vgpr6_vgpr7
.LBB110_869:
	s_delay_alu instid0(SALU_CYCLE_1)
	s_and_not1_b32 vcc_lo, exec_lo, s31
	s_cbranch_vccnz .LBB110_871
; %bb.870:
	s_wait_loadcnt 0x0
	global_load_b32 v6, v[4:5], off
	s_wait_loadcnt 0x0
	v_cvt_f64_f32_e32 v[6:7], v6
.LBB110_871:
	s_mov_b32 s31, 0
.LBB110_872:
	s_delay_alu instid0(SALU_CYCLE_1)
	s_and_not1_b32 vcc_lo, exec_lo, s31
	s_cbranch_vccnz .LBB110_874
; %bb.873:
	s_wait_loadcnt 0x0
	global_load_b32 v6, v[4:5], off
	s_wait_loadcnt 0x0
	v_cvt_f32_f16_e32 v6, v6
	s_delay_alu instid0(VALU_DEP_1)
	v_cvt_f64_f32_e32 v[6:7], v6
.LBB110_874:
	s_mov_b32 s31, 0
.LBB110_875:
	s_delay_alu instid0(SALU_CYCLE_1)
	s_and_not1_b32 vcc_lo, exec_lo, s31
	s_cbranch_vccnz .LBB110_886
; %bb.876:
	s_cmp_lt_i32 s0, 6
	s_cbranch_scc1 .LBB110_879
; %bb.877:
	s_cmp_gt_i32 s0, 6
	s_cbranch_scc0 .LBB110_880
; %bb.878:
	s_wait_loadcnt 0x0
	global_load_b64 v[6:7], v[4:5], off
	s_mov_b32 s31, 0
	s_branch .LBB110_881
.LBB110_879:
	s_mov_b32 s31, -1
                                        ; implicit-def: $vgpr6_vgpr7
	s_branch .LBB110_884
.LBB110_880:
	s_mov_b32 s31, -1
                                        ; implicit-def: $vgpr6_vgpr7
.LBB110_881:
	s_delay_alu instid0(SALU_CYCLE_1)
	s_and_not1_b32 vcc_lo, exec_lo, s31
	s_cbranch_vccnz .LBB110_883
; %bb.882:
	s_wait_loadcnt 0x0
	global_load_b32 v6, v[4:5], off
	s_wait_loadcnt 0x0
	v_cvt_f64_f32_e32 v[6:7], v6
.LBB110_883:
	s_mov_b32 s31, 0
.LBB110_884:
	s_delay_alu instid0(SALU_CYCLE_1)
	s_and_not1_b32 vcc_lo, exec_lo, s31
	s_cbranch_vccnz .LBB110_886
; %bb.885:
	s_wait_loadcnt 0x0
	global_load_u16 v6, v[4:5], off
	s_wait_loadcnt 0x0
	v_cvt_f32_f16_e32 v6, v6
	s_delay_alu instid0(VALU_DEP_1)
	v_cvt_f64_f32_e32 v[6:7], v6
.LBB110_886:
	s_mov_b32 s31, 0
.LBB110_887:
	s_delay_alu instid0(SALU_CYCLE_1)
	s_and_not1_b32 vcc_lo, exec_lo, s31
	s_cbranch_vccnz .LBB110_907
; %bb.888:
	s_cmp_lt_i32 s0, 2
	s_cbranch_scc1 .LBB110_892
; %bb.889:
	s_cmp_lt_i32 s0, 3
	s_cbranch_scc1 .LBB110_893
; %bb.890:
	s_cmp_gt_i32 s0, 3
	s_cbranch_scc0 .LBB110_894
; %bb.891:
	s_wait_loadcnt 0x0
	global_load_b64 v[6:7], v[4:5], off
	s_mov_b32 s31, 0
	s_wait_loadcnt 0x0
	v_cvt_f64_i32_e32 v[8:9], v7
	v_cvt_f64_u32_e32 v[6:7], v6
	s_delay_alu instid0(VALU_DEP_2) | instskip(NEXT) | instid1(VALU_DEP_1)
	v_ldexp_f64 v[8:9], v[8:9], 32
	v_add_f64_e32 v[6:7], v[8:9], v[6:7]
	s_branch .LBB110_895
.LBB110_892:
	s_mov_b32 s31, -1
                                        ; implicit-def: $vgpr6_vgpr7
	s_branch .LBB110_901
.LBB110_893:
	s_mov_b32 s31, -1
                                        ; implicit-def: $vgpr6_vgpr7
	s_branch .LBB110_898
.LBB110_894:
	s_mov_b32 s31, -1
                                        ; implicit-def: $vgpr6_vgpr7
.LBB110_895:
	s_delay_alu instid0(SALU_CYCLE_1)
	s_and_not1_b32 vcc_lo, exec_lo, s31
	s_cbranch_vccnz .LBB110_897
; %bb.896:
	s_wait_loadcnt 0x0
	global_load_b32 v6, v[4:5], off
	s_wait_loadcnt 0x0
	v_cvt_f64_i32_e32 v[6:7], v6
.LBB110_897:
	s_mov_b32 s31, 0
.LBB110_898:
	s_delay_alu instid0(SALU_CYCLE_1)
	s_and_not1_b32 vcc_lo, exec_lo, s31
	s_cbranch_vccnz .LBB110_900
; %bb.899:
	s_wait_loadcnt 0x0
	global_load_i16 v6, v[4:5], off
	s_wait_loadcnt 0x0
	v_cvt_f64_i32_e32 v[6:7], v6
.LBB110_900:
	s_mov_b32 s31, 0
.LBB110_901:
	s_delay_alu instid0(SALU_CYCLE_1)
	s_and_not1_b32 vcc_lo, exec_lo, s31
	s_cbranch_vccnz .LBB110_907
; %bb.902:
	s_cmp_gt_i32 s0, 0
	s_mov_b32 s0, 0
	s_cbranch_scc0 .LBB110_904
; %bb.903:
	s_wait_loadcnt 0x0
	global_load_i8 v6, v[4:5], off
	s_wait_loadcnt 0x0
	v_cvt_f64_i32_e32 v[6:7], v6
	s_branch .LBB110_905
.LBB110_904:
	s_mov_b32 s0, -1
                                        ; implicit-def: $vgpr6_vgpr7
.LBB110_905:
	s_delay_alu instid0(SALU_CYCLE_1)
	s_and_not1_b32 vcc_lo, exec_lo, s0
	s_cbranch_vccnz .LBB110_907
; %bb.906:
	global_load_u8 v4, v[4:5], off
	s_wait_loadcnt 0x0
	v_cvt_f64_u32_e32 v[6:7], v4
.LBB110_907:
	s_mov_b32 s31, -1
.LBB110_908:
	s_delay_alu instid0(SALU_CYCLE_1)
	s_and_not1_b32 vcc_lo, exec_lo, s31
	s_cbranch_vccnz .LBB110_916
; %bb.909:
	s_wait_loadcnt 0x0
	s_delay_alu instid0(VALU_DEP_4) | instskip(SKIP_1) | instid1(SALU_CYCLE_1)
	v_mul_f64_e32 v[0:1], s[18:19], v[0:1]
	s_and_b32 s31, s2, 0xff
	s_cmp_lt_i32 s31, 11
	s_delay_alu instid0(VALU_DEP_1) | instskip(NEXT) | instid1(VALU_DEP_1)
	v_mul_f64_e32 v[0:1], v[0:1], v[6:7]
	v_fmac_f64_e32 v[0:1], s[16:17], v[2:3]
	v_mul_lo_u32 v2, v26, s12
	s_delay_alu instid0(VALU_DEP_1) | instskip(SKIP_1) | instid1(VALU_DEP_1)
	v_ashrrev_i32_e32 v3, 31, v2
	s_wait_xcnt 0x0
	v_add_nc_u64_e32 v[4:5], s[4:5], v[2:3]
	s_cbranch_scc1 .LBB110_917
; %bb.910:
	s_and_b32 s35, 0xffff, s31
	s_delay_alu instid0(SALU_CYCLE_1)
	s_cmp_gt_i32 s35, 25
	s_cbranch_scc0 .LBB110_918
; %bb.911:
	s_cmp_gt_i32 s35, 28
	s_cbranch_scc0 .LBB110_919
; %bb.912:
	;; [unrolled: 3-line block ×4, first 2 shown]
	s_mov_b32 s37, 0
	s_mov_b32 s0, -1
	s_cmp_eq_u32 s35, 46
	s_mov_b32 s36, 0
	s_cbranch_scc0 .LBB110_922
; %bb.915:
	s_delay_alu instid0(VALU_DEP_4) | instskip(SKIP_2) | instid1(VALU_DEP_1)
	v_cvt_f32_f64_e32 v2, v[0:1]
	s_mov_b32 s36, -1
	s_mov_b32 s0, 0
	v_bfe_u32 v3, v2, 16, 1
	v_cmp_o_f32_e32 vcc_lo, v2, v2
	s_delay_alu instid0(VALU_DEP_2) | instskip(NEXT) | instid1(VALU_DEP_1)
	v_add3_u32 v3, v2, v3, 0x7fff
	v_lshrrev_b32_e32 v3, 16, v3
	s_delay_alu instid0(VALU_DEP_1)
	v_cndmask_b32_e32 v2, 0x7fc0, v3, vcc_lo
	global_store_b32 v[4:5], v2, off
	s_branch .LBB110_922
.LBB110_916:
	s_mov_b32 s35, 0
	s_mov_b32 s0, s23
	s_branch .LBB110_1033
.LBB110_917:
	s_mov_b32 s35, -1
	s_mov_b32 s36, 0
	s_mov_b32 s0, s23
	s_branch .LBB110_991
.LBB110_918:
	s_mov_b32 s37, -1
	s_mov_b32 s36, 0
	s_mov_b32 s0, s23
	s_branch .LBB110_949
.LBB110_919:
	s_mov_b32 s37, -1
	s_mov_b32 s36, 0
	s_mov_b32 s0, s23
	s_branch .LBB110_932
.LBB110_920:
	s_mov_b32 s37, -1
	s_mov_b32 s36, 0
	s_mov_b32 s0, s23
	s_branch .LBB110_928
.LBB110_921:
	s_mov_b32 s37, -1
	s_mov_b32 s36, 0
	s_mov_b32 s0, s23
.LBB110_922:
	s_and_b32 vcc_lo, exec_lo, s37
	s_cbranch_vccz .LBB110_927
; %bb.923:
	s_cmp_eq_u32 s35, 44
	s_mov_b32 s0, -1
	s_cbranch_scc0 .LBB110_927
; %bb.924:
	s_wait_xcnt 0x0
	s_delay_alu instid0(VALU_DEP_4) | instskip(SKIP_2) | instid1(VALU_DEP_2)
	v_cvt_f32_f64_e32 v2, v[0:1]
	v_mov_b32_e32 v3, 0xff
	s_mov_b32 s36, exec_lo
	v_bfe_u32 v6, v2, 23, 8
	s_delay_alu instid0(VALU_DEP_1)
	v_cmpx_ne_u32_e32 0xff, v6
	s_cbranch_execz .LBB110_926
; %bb.925:
	v_and_b32_e32 v3, 0x400000, v2
	v_and_or_b32 v6, 0x3fffff, v2, v6
	v_lshrrev_b32_e32 v2, 23, v2
	s_delay_alu instid0(VALU_DEP_3) | instskip(NEXT) | instid1(VALU_DEP_3)
	v_cmp_ne_u32_e32 vcc_lo, 0, v3
	v_cmp_ne_u32_e64 s0, 0, v6
	s_and_b32 s0, vcc_lo, s0
	s_delay_alu instid0(SALU_CYCLE_1) | instskip(NEXT) | instid1(VALU_DEP_1)
	v_cndmask_b32_e64 v3, 0, 1, s0
	v_add_nc_u32_e32 v3, v2, v3
.LBB110_926:
	s_or_b32 exec_lo, exec_lo, s36
	s_mov_b32 s36, -1
	s_mov_b32 s0, 0
	global_store_b8 v[4:5], v3, off
.LBB110_927:
	s_mov_b32 s37, 0
.LBB110_928:
	s_delay_alu instid0(SALU_CYCLE_1)
	s_and_b32 vcc_lo, exec_lo, s37
	s_cbranch_vccz .LBB110_931
; %bb.929:
	s_cmp_eq_u32 s35, 29
	s_mov_b32 s0, -1
	s_cbranch_scc0 .LBB110_931
; %bb.930:
	s_wait_xcnt 0x0
	s_delay_alu instid0(VALU_DEP_4) | instskip(SKIP_3) | instid1(VALU_DEP_1)
	v_trunc_f64_e32 v[2:3], v[0:1]
	s_mov_b32 s36, -1
	s_mov_b32 s0, 0
	s_mov_b32 s37, 0
	v_ldexp_f64 v[6:7], v[2:3], 0xffffffe0
	s_delay_alu instid0(VALU_DEP_1) | instskip(NEXT) | instid1(VALU_DEP_1)
	v_floor_f64_e32 v[6:7], v[6:7]
	v_fmamk_f64 v[2:3], v[6:7], 0xc1f00000, v[2:3]
	v_cvt_u32_f64_e32 v7, v[6:7]
	s_delay_alu instid0(VALU_DEP_2)
	v_cvt_u32_f64_e32 v6, v[2:3]
	global_store_b64 v[4:5], v[6:7], off
	s_branch .LBB110_932
.LBB110_931:
	s_mov_b32 s37, 0
.LBB110_932:
	s_delay_alu instid0(SALU_CYCLE_1)
	s_and_b32 vcc_lo, exec_lo, s37
	s_cbranch_vccz .LBB110_948
; %bb.933:
	s_cmp_lt_i32 s35, 27
	s_mov_b32 s36, -1
	s_cbranch_scc1 .LBB110_939
; %bb.934:
	s_wait_xcnt 0x0
	s_delay_alu instid0(VALU_DEP_4)
	v_cvt_u32_f64_e32 v2, v[0:1]
	s_cmp_gt_i32 s35, 27
	s_cbranch_scc0 .LBB110_936
; %bb.935:
	s_mov_b32 s36, 0
	global_store_b32 v[4:5], v2, off
.LBB110_936:
	s_and_not1_b32 vcc_lo, exec_lo, s36
	s_cbranch_vccnz .LBB110_938
; %bb.937:
	global_store_b16 v[4:5], v2, off
.LBB110_938:
	s_mov_b32 s36, 0
.LBB110_939:
	s_delay_alu instid0(SALU_CYCLE_1)
	s_and_not1_b32 vcc_lo, exec_lo, s36
	s_cbranch_vccnz .LBB110_947
; %bb.940:
	s_wait_xcnt 0x0
	s_delay_alu instid0(VALU_DEP_4) | instskip(SKIP_2) | instid1(VALU_DEP_2)
	v_cvt_f32_f64_e32 v2, v[0:1]
	v_mov_b32_e32 v6, 0x80
	s_mov_b32 s36, exec_lo
	v_and_b32_e32 v3, 0x7fffffff, v2
	s_delay_alu instid0(VALU_DEP_1)
	v_cmpx_gt_u32_e32 0x43800000, v3
	s_cbranch_execz .LBB110_946
; %bb.941:
	v_cmp_lt_u32_e32 vcc_lo, 0x3bffffff, v3
	s_mov_b32 s37, 0
                                        ; implicit-def: $vgpr3
	s_and_saveexec_b32 s38, vcc_lo
	s_delay_alu instid0(SALU_CYCLE_1)
	s_xor_b32 s38, exec_lo, s38
	s_cbranch_execz .LBB110_1179
; %bb.942:
	v_bfe_u32 v3, v2, 20, 1
	s_mov_b32 s37, exec_lo
	s_delay_alu instid0(VALU_DEP_1) | instskip(NEXT) | instid1(VALU_DEP_1)
	v_add3_u32 v3, v2, v3, 0x487ffff
	v_lshrrev_b32_e32 v3, 20, v3
	s_and_not1_saveexec_b32 s38, s38
	s_cbranch_execnz .LBB110_1180
.LBB110_943:
	s_or_b32 exec_lo, exec_lo, s38
	v_mov_b32_e32 v6, 0
	s_and_saveexec_b32 s38, s37
.LBB110_944:
	v_lshrrev_b32_e32 v2, 24, v2
	s_delay_alu instid0(VALU_DEP_1)
	v_and_or_b32 v6, 0x80, v2, v3
.LBB110_945:
	s_or_b32 exec_lo, exec_lo, s38
.LBB110_946:
	s_delay_alu instid0(SALU_CYCLE_1)
	s_or_b32 exec_lo, exec_lo, s36
	global_store_b8 v[4:5], v6, off
.LBB110_947:
	s_mov_b32 s36, -1
.LBB110_948:
	s_mov_b32 s37, 0
.LBB110_949:
	s_delay_alu instid0(SALU_CYCLE_1)
	s_and_b32 vcc_lo, exec_lo, s37
	s_cbranch_vccz .LBB110_990
; %bb.950:
	s_cmp_gt_i32 s35, 22
	s_mov_b32 s37, -1
	s_cbranch_scc0 .LBB110_982
; %bb.951:
	s_cmp_lt_i32 s35, 24
	s_mov_b32 s36, -1
	s_cbranch_scc1 .LBB110_971
; %bb.952:
	s_cmp_gt_i32 s35, 24
	s_cbranch_scc0 .LBB110_960
; %bb.953:
	s_wait_xcnt 0x0
	s_delay_alu instid0(VALU_DEP_4) | instskip(SKIP_2) | instid1(VALU_DEP_2)
	v_cvt_f32_f64_e32 v2, v[0:1]
	v_mov_b32_e32 v6, 0x80
	s_mov_b32 s36, exec_lo
	v_and_b32_e32 v3, 0x7fffffff, v2
	s_delay_alu instid0(VALU_DEP_1)
	v_cmpx_gt_u32_e32 0x47800000, v3
	s_cbranch_execz .LBB110_959
; %bb.954:
	v_cmp_lt_u32_e32 vcc_lo, 0x37ffffff, v3
	s_mov_b32 s37, 0
                                        ; implicit-def: $vgpr3
	s_and_saveexec_b32 s38, vcc_lo
	s_delay_alu instid0(SALU_CYCLE_1)
	s_xor_b32 s38, exec_lo, s38
	s_cbranch_execz .LBB110_1311
; %bb.955:
	v_bfe_u32 v3, v2, 21, 1
	s_mov_b32 s37, exec_lo
	s_delay_alu instid0(VALU_DEP_1) | instskip(NEXT) | instid1(VALU_DEP_1)
	v_add3_u32 v3, v2, v3, 0x88fffff
	v_lshrrev_b32_e32 v3, 21, v3
	s_and_not1_saveexec_b32 s38, s38
	s_cbranch_execnz .LBB110_1312
.LBB110_956:
	s_or_b32 exec_lo, exec_lo, s38
	v_mov_b32_e32 v6, 0
	s_and_saveexec_b32 s38, s37
.LBB110_957:
	v_lshrrev_b32_e32 v2, 24, v2
	s_delay_alu instid0(VALU_DEP_1)
	v_and_or_b32 v6, 0x80, v2, v3
.LBB110_958:
	s_or_b32 exec_lo, exec_lo, s38
.LBB110_959:
	s_delay_alu instid0(SALU_CYCLE_1)
	s_or_b32 exec_lo, exec_lo, s36
	s_mov_b32 s36, 0
	global_store_b8 v[4:5], v6, off
.LBB110_960:
	s_and_b32 vcc_lo, exec_lo, s36
	s_cbranch_vccz .LBB110_970
; %bb.961:
	s_wait_xcnt 0x0
	s_delay_alu instid0(VALU_DEP_4) | instskip(SKIP_1) | instid1(VALU_DEP_1)
	v_cvt_f32_f64_e32 v2, v[0:1]
	s_mov_b32 s36, exec_lo
                                        ; implicit-def: $vgpr3
	v_and_b32_e32 v6, 0x7fffffff, v2
	s_delay_alu instid0(VALU_DEP_1)
	v_cmpx_gt_u32_e32 0x43f00000, v6
	s_xor_b32 s36, exec_lo, s36
	s_cbranch_execz .LBB110_967
; %bb.962:
	s_mov_b32 s37, exec_lo
                                        ; implicit-def: $vgpr3
	v_cmpx_lt_u32_e32 0x3c7fffff, v6
	s_xor_b32 s37, exec_lo, s37
; %bb.963:
	v_bfe_u32 v3, v2, 20, 1
	s_delay_alu instid0(VALU_DEP_1) | instskip(NEXT) | instid1(VALU_DEP_1)
	v_add3_u32 v3, v2, v3, 0x407ffff
	v_and_b32_e32 v6, 0xff00000, v3
	v_lshrrev_b32_e32 v3, 20, v3
	s_delay_alu instid0(VALU_DEP_2) | instskip(NEXT) | instid1(VALU_DEP_2)
	v_cmp_ne_u32_e32 vcc_lo, 0x7f00000, v6
	v_cndmask_b32_e32 v3, 0x7e, v3, vcc_lo
; %bb.964:
	s_and_not1_saveexec_b32 s37, s37
; %bb.965:
	v_add_f32_e64 v3, 0x46800000, |v2|
; %bb.966:
	s_or_b32 exec_lo, exec_lo, s37
                                        ; implicit-def: $vgpr6
.LBB110_967:
	s_and_not1_saveexec_b32 s36, s36
; %bb.968:
	v_mov_b32_e32 v3, 0x7f
	v_cmp_lt_u32_e32 vcc_lo, 0x7f800000, v6
	s_delay_alu instid0(VALU_DEP_2)
	v_cndmask_b32_e32 v3, 0x7e, v3, vcc_lo
; %bb.969:
	s_or_b32 exec_lo, exec_lo, s36
	v_lshrrev_b32_e32 v2, 24, v2
	s_delay_alu instid0(VALU_DEP_1)
	v_and_or_b32 v2, 0x80, v2, v3
	global_store_b8 v[4:5], v2, off
.LBB110_970:
	s_mov_b32 s36, 0
.LBB110_971:
	s_delay_alu instid0(SALU_CYCLE_1)
	s_and_not1_b32 vcc_lo, exec_lo, s36
	s_cbranch_vccnz .LBB110_981
; %bb.972:
	s_wait_xcnt 0x0
	s_delay_alu instid0(VALU_DEP_4) | instskip(SKIP_1) | instid1(VALU_DEP_1)
	v_cvt_f32_f64_e32 v2, v[0:1]
	s_mov_b32 s36, exec_lo
                                        ; implicit-def: $vgpr3
	v_and_b32_e32 v6, 0x7fffffff, v2
	s_delay_alu instid0(VALU_DEP_1)
	v_cmpx_gt_u32_e32 0x47800000, v6
	s_xor_b32 s36, exec_lo, s36
	s_cbranch_execz .LBB110_978
; %bb.973:
	s_mov_b32 s37, exec_lo
                                        ; implicit-def: $vgpr3
	v_cmpx_lt_u32_e32 0x387fffff, v6
	s_xor_b32 s37, exec_lo, s37
; %bb.974:
	v_bfe_u32 v3, v2, 21, 1
	s_delay_alu instid0(VALU_DEP_1) | instskip(NEXT) | instid1(VALU_DEP_1)
	v_add3_u32 v3, v2, v3, 0x80fffff
	v_lshrrev_b32_e32 v3, 21, v3
; %bb.975:
	s_and_not1_saveexec_b32 s37, s37
; %bb.976:
	v_add_f32_e64 v3, 0x43000000, |v2|
; %bb.977:
	s_or_b32 exec_lo, exec_lo, s37
                                        ; implicit-def: $vgpr6
.LBB110_978:
	s_and_not1_saveexec_b32 s36, s36
; %bb.979:
	v_mov_b32_e32 v3, 0x7f
	v_cmp_lt_u32_e32 vcc_lo, 0x7f800000, v6
	s_delay_alu instid0(VALU_DEP_2)
	v_cndmask_b32_e32 v3, 0x7c, v3, vcc_lo
; %bb.980:
	s_or_b32 exec_lo, exec_lo, s36
	v_lshrrev_b32_e32 v2, 24, v2
	s_delay_alu instid0(VALU_DEP_1)
	v_and_or_b32 v2, 0x80, v2, v3
	global_store_b8 v[4:5], v2, off
.LBB110_981:
	s_mov_b32 s37, 0
	s_mov_b32 s36, -1
.LBB110_982:
	s_and_not1_b32 vcc_lo, exec_lo, s37
	s_cbranch_vccnz .LBB110_990
; %bb.983:
	s_cmp_gt_i32 s35, 14
	s_mov_b32 s37, -1
	s_cbranch_scc0 .LBB110_987
; %bb.984:
	s_cmp_eq_u32 s35, 15
	s_mov_b32 s0, -1
	s_cbranch_scc0 .LBB110_986
; %bb.985:
	s_wait_xcnt 0x0
	s_delay_alu instid0(VALU_DEP_4) | instskip(SKIP_2) | instid1(VALU_DEP_1)
	v_cvt_f32_f64_e32 v2, v[0:1]
	s_mov_b32 s36, -1
	s_mov_b32 s0, 0
	v_bfe_u32 v3, v2, 16, 1
	v_cmp_o_f32_e32 vcc_lo, v2, v2
	s_delay_alu instid0(VALU_DEP_2) | instskip(NEXT) | instid1(VALU_DEP_1)
	v_add3_u32 v3, v2, v3, 0x7fff
	v_lshrrev_b32_e32 v3, 16, v3
	s_delay_alu instid0(VALU_DEP_1)
	v_cndmask_b32_e32 v2, 0x7fc0, v3, vcc_lo
	global_store_b16 v[4:5], v2, off
.LBB110_986:
	s_mov_b32 s37, 0
.LBB110_987:
	s_delay_alu instid0(SALU_CYCLE_1)
	s_and_b32 vcc_lo, exec_lo, s37
	s_cbranch_vccz .LBB110_990
; %bb.988:
	s_cmp_eq_u32 s35, 11
	s_mov_b32 s0, -1
	s_cbranch_scc0 .LBB110_990
; %bb.989:
	s_delay_alu instid0(VALU_DEP_4)
	v_cmp_neq_f64_e32 vcc_lo, 0, v[0:1]
	s_mov_b32 s36, -1
	s_mov_b32 s0, 0
	s_wait_xcnt 0x0
	v_cndmask_b32_e64 v2, 0, 1, vcc_lo
	global_store_b8 v[4:5], v2, off
.LBB110_990:
	s_mov_b32 s35, 0
.LBB110_991:
	s_delay_alu instid0(SALU_CYCLE_1)
	s_and_b32 vcc_lo, exec_lo, s35
	s_cbranch_vccz .LBB110_1030
; %bb.992:
	s_and_b32 s31, 0xffff, s31
	s_mov_b32 s35, -1
	s_cmp_lt_i32 s31, 5
	s_cbranch_scc1 .LBB110_1013
; %bb.993:
	s_cmp_lt_i32 s31, 8
	s_cbranch_scc1 .LBB110_1003
; %bb.994:
	;; [unrolled: 3-line block ×3, first 2 shown]
	s_cmp_gt_i32 s31, 9
	s_cbranch_scc0 .LBB110_997
; %bb.996:
	s_wait_xcnt 0x0
	v_mov_b32_e32 v2, 0
	s_mov_b32 s35, 0
	s_delay_alu instid0(VALU_DEP_1)
	v_mov_b32_e32 v3, v2
	global_store_b128 v[4:5], v[0:3], off
.LBB110_997:
	s_and_not1_b32 vcc_lo, exec_lo, s35
	s_cbranch_vccnz .LBB110_999
; %bb.998:
	s_wait_xcnt 0x0
	s_delay_alu instid0(VALU_DEP_4)
	v_cvt_f32_f64_e32 v2, v[0:1]
	v_mov_b32_e32 v3, 0
	global_store_b64 v[4:5], v[2:3], off
.LBB110_999:
	s_mov_b32 s35, 0
.LBB110_1000:
	s_delay_alu instid0(SALU_CYCLE_1)
	s_and_not1_b32 vcc_lo, exec_lo, s35
	s_cbranch_vccnz .LBB110_1002
; %bb.1001:
	s_wait_xcnt 0x0
	s_delay_alu instid0(VALU_DEP_4) | instskip(SKIP_2) | instid1(VALU_DEP_3)
	v_and_or_b32 v2, 0x1ff, v1, v0
	v_lshrrev_b32_e32 v3, 8, v1
	v_bfe_u32 v6, v1, 20, 11
	v_cmp_ne_u32_e32 vcc_lo, 0, v2
	s_delay_alu instid0(VALU_DEP_2) | instskip(SKIP_1) | instid1(VALU_DEP_1)
	v_sub_nc_u32_e32 v7, 0x3f1, v6
	v_cndmask_b32_e64 v2, 0, 1, vcc_lo
	v_and_or_b32 v2, 0xffe, v3, v2
	s_delay_alu instid0(VALU_DEP_3) | instskip(NEXT) | instid1(VALU_DEP_2)
	v_med3_i32 v3, v7, 0, 13
	v_or_b32_e32 v7, 0x1000, v2
	s_delay_alu instid0(VALU_DEP_1) | instskip(NEXT) | instid1(VALU_DEP_1)
	v_lshrrev_b32_e32 v8, v3, v7
	v_lshlrev_b32_e32 v3, v3, v8
	s_delay_alu instid0(VALU_DEP_1) | instskip(SKIP_1) | instid1(VALU_DEP_1)
	v_cmp_ne_u32_e32 vcc_lo, v3, v7
	v_cndmask_b32_e64 v3, 0, 1, vcc_lo
	v_or_b32_e32 v3, v8, v3
	v_add_nc_u32_e32 v6, 0xfffffc10, v6
	s_delay_alu instid0(VALU_DEP_1) | instskip(SKIP_1) | instid1(VALU_DEP_2)
	v_lshl_or_b32 v7, v6, 12, v2
	v_cmp_gt_i32_e32 vcc_lo, 1, v6
	v_cndmask_b32_e32 v3, v7, v3, vcc_lo
	s_delay_alu instid0(VALU_DEP_1) | instskip(NEXT) | instid1(VALU_DEP_1)
	v_dual_lshrrev_b32 v3, 2, v3 :: v_dual_bitop2_b32 v7, 7, v3 bitop3:0x40
	v_cmp_lt_i32_e32 vcc_lo, 5, v7
	v_cndmask_b32_e64 v8, 0, 1, vcc_lo
	v_cmp_eq_u32_e32 vcc_lo, 3, v7
	v_cndmask_b32_e64 v7, 0, 1, vcc_lo
	v_cmp_ne_u32_e32 vcc_lo, 0, v2
	s_delay_alu instid0(VALU_DEP_2) | instskip(NEXT) | instid1(VALU_DEP_1)
	v_or_b32_e32 v7, v7, v8
	v_dual_mov_b32 v8, 0x7e00 :: v_dual_add_nc_u32 v3, v3, v7
	s_delay_alu instid0(VALU_DEP_1) | instskip(SKIP_2) | instid1(VALU_DEP_4)
	v_cndmask_b32_e32 v2, 0x7c00, v8, vcc_lo
	v_cmp_gt_i32_e32 vcc_lo, 31, v6
	v_lshrrev_b32_e32 v7, 16, v1
	v_cndmask_b32_e32 v3, 0x7c00, v3, vcc_lo
	v_cmp_eq_u32_e32 vcc_lo, 0x40f, v6
	s_delay_alu instid0(VALU_DEP_2) | instskip(NEXT) | instid1(VALU_DEP_4)
	v_cndmask_b32_e32 v2, v3, v2, vcc_lo
	v_and_b32_e32 v3, 0x8000, v7
	s_delay_alu instid0(VALU_DEP_1)
	v_bitop3_b32 v2, v3, 0xffff, v2 bitop3:0xc8
	global_store_b32 v[4:5], v2, off
.LBB110_1002:
	s_mov_b32 s35, 0
.LBB110_1003:
	s_delay_alu instid0(SALU_CYCLE_1)
	s_and_not1_b32 vcc_lo, exec_lo, s35
	s_cbranch_vccnz .LBB110_1012
; %bb.1004:
	s_cmp_lt_i32 s31, 6
	s_mov_b32 s35, -1
	s_cbranch_scc1 .LBB110_1010
; %bb.1005:
	s_cmp_gt_i32 s31, 6
	s_cbranch_scc0 .LBB110_1007
; %bb.1006:
	s_mov_b32 s35, 0
	global_store_b64 v[4:5], v[0:1], off
.LBB110_1007:
	s_and_not1_b32 vcc_lo, exec_lo, s35
	s_cbranch_vccnz .LBB110_1009
; %bb.1008:
	s_wait_xcnt 0x0
	s_delay_alu instid0(VALU_DEP_4)
	v_cvt_f32_f64_e32 v2, v[0:1]
	global_store_b32 v[4:5], v2, off
.LBB110_1009:
	s_mov_b32 s35, 0
.LBB110_1010:
	s_delay_alu instid0(SALU_CYCLE_1)
	s_and_not1_b32 vcc_lo, exec_lo, s35
	s_cbranch_vccnz .LBB110_1012
; %bb.1011:
	s_wait_xcnt 0x0
	s_delay_alu instid0(VALU_DEP_4) | instskip(SKIP_2) | instid1(VALU_DEP_3)
	v_and_or_b32 v2, 0x1ff, v1, v0
	v_lshrrev_b32_e32 v3, 8, v1
	v_bfe_u32 v6, v1, 20, 11
	v_cmp_ne_u32_e32 vcc_lo, 0, v2
	s_delay_alu instid0(VALU_DEP_2) | instskip(SKIP_1) | instid1(VALU_DEP_1)
	v_sub_nc_u32_e32 v7, 0x3f1, v6
	v_cndmask_b32_e64 v2, 0, 1, vcc_lo
	v_and_or_b32 v2, 0xffe, v3, v2
	s_delay_alu instid0(VALU_DEP_3) | instskip(NEXT) | instid1(VALU_DEP_2)
	v_med3_i32 v3, v7, 0, 13
	v_or_b32_e32 v7, 0x1000, v2
	s_delay_alu instid0(VALU_DEP_1) | instskip(NEXT) | instid1(VALU_DEP_1)
	v_lshrrev_b32_e32 v8, v3, v7
	v_lshlrev_b32_e32 v3, v3, v8
	s_delay_alu instid0(VALU_DEP_1) | instskip(SKIP_1) | instid1(VALU_DEP_1)
	v_cmp_ne_u32_e32 vcc_lo, v3, v7
	v_cndmask_b32_e64 v3, 0, 1, vcc_lo
	v_or_b32_e32 v3, v8, v3
	v_add_nc_u32_e32 v6, 0xfffffc10, v6
	s_delay_alu instid0(VALU_DEP_1) | instskip(SKIP_1) | instid1(VALU_DEP_2)
	v_lshl_or_b32 v7, v6, 12, v2
	v_cmp_gt_i32_e32 vcc_lo, 1, v6
	v_cndmask_b32_e32 v3, v7, v3, vcc_lo
	s_delay_alu instid0(VALU_DEP_1) | instskip(NEXT) | instid1(VALU_DEP_1)
	v_dual_lshrrev_b32 v3, 2, v3 :: v_dual_bitop2_b32 v7, 7, v3 bitop3:0x40
	v_cmp_lt_i32_e32 vcc_lo, 5, v7
	v_cndmask_b32_e64 v8, 0, 1, vcc_lo
	v_cmp_eq_u32_e32 vcc_lo, 3, v7
	v_cndmask_b32_e64 v7, 0, 1, vcc_lo
	v_cmp_ne_u32_e32 vcc_lo, 0, v2
	s_delay_alu instid0(VALU_DEP_2) | instskip(NEXT) | instid1(VALU_DEP_1)
	v_or_b32_e32 v7, v7, v8
	v_dual_mov_b32 v8, 0x7e00 :: v_dual_add_nc_u32 v3, v3, v7
	s_delay_alu instid0(VALU_DEP_1) | instskip(SKIP_1) | instid1(VALU_DEP_3)
	v_cndmask_b32_e32 v2, 0x7c00, v8, vcc_lo
	v_cmp_gt_i32_e32 vcc_lo, 31, v6
	v_cndmask_b32_e32 v3, 0x7c00, v3, vcc_lo
	v_cmp_eq_u32_e32 vcc_lo, 0x40f, v6
	s_delay_alu instid0(VALU_DEP_2) | instskip(NEXT) | instid1(VALU_DEP_1)
	v_dual_cndmask_b32 v2, v3, v2 :: v_dual_lshrrev_b32 v3, 16, v1
	v_and_or_b32 v2, 0x8000, v3, v2
	global_store_b16 v[4:5], v2, off
.LBB110_1012:
	s_mov_b32 s35, 0
.LBB110_1013:
	s_delay_alu instid0(SALU_CYCLE_1)
	s_and_not1_b32 vcc_lo, exec_lo, s35
	s_cbranch_vccnz .LBB110_1029
; %bb.1014:
	s_cmp_lt_i32 s31, 2
	s_mov_b32 s35, -1
	s_cbranch_scc1 .LBB110_1024
; %bb.1015:
	s_cmp_lt_i32 s31, 3
	s_cbranch_scc1 .LBB110_1021
; %bb.1016:
	s_cmp_gt_i32 s31, 3
	s_cbranch_scc0 .LBB110_1018
; %bb.1017:
	s_wait_xcnt 0x0
	s_delay_alu instid0(VALU_DEP_4) | instskip(SKIP_1) | instid1(VALU_DEP_1)
	v_trunc_f64_e32 v[2:3], v[0:1]
	s_mov_b32 s35, 0
	v_ldexp_f64 v[6:7], v[2:3], 0xffffffe0
	s_delay_alu instid0(VALU_DEP_1) | instskip(NEXT) | instid1(VALU_DEP_1)
	v_floor_f64_e32 v[6:7], v[6:7]
	v_fmamk_f64 v[2:3], v[6:7], 0xc1f00000, v[2:3]
	v_cvt_i32_f64_e32 v7, v[6:7]
	s_delay_alu instid0(VALU_DEP_2)
	v_cvt_u32_f64_e32 v6, v[2:3]
	global_store_b64 v[4:5], v[6:7], off
.LBB110_1018:
	s_and_not1_b32 vcc_lo, exec_lo, s35
	s_cbranch_vccnz .LBB110_1020
; %bb.1019:
	s_wait_xcnt 0x0
	s_delay_alu instid0(VALU_DEP_4)
	v_cvt_i32_f64_e32 v2, v[0:1]
	global_store_b32 v[4:5], v2, off
.LBB110_1020:
	s_mov_b32 s35, 0
.LBB110_1021:
	s_delay_alu instid0(SALU_CYCLE_1)
	s_and_not1_b32 vcc_lo, exec_lo, s35
	s_cbranch_vccnz .LBB110_1023
; %bb.1022:
	s_wait_xcnt 0x0
	s_delay_alu instid0(VALU_DEP_4)
	v_cvt_i32_f64_e32 v2, v[0:1]
	global_store_b16 v[4:5], v2, off
.LBB110_1023:
	s_mov_b32 s35, 0
.LBB110_1024:
	s_delay_alu instid0(SALU_CYCLE_1)
	s_and_not1_b32 vcc_lo, exec_lo, s35
	s_cbranch_vccnz .LBB110_1029
; %bb.1025:
	s_cmp_gt_i32 s31, 0
	s_mov_b32 s31, -1
	s_cbranch_scc0 .LBB110_1027
; %bb.1026:
	s_wait_xcnt 0x0
	s_delay_alu instid0(VALU_DEP_4)
	v_cvt_i32_f64_e32 v2, v[0:1]
	s_mov_b32 s31, 0
	global_store_b8 v[4:5], v2, off
.LBB110_1027:
	s_and_not1_b32 vcc_lo, exec_lo, s31
	s_cbranch_vccnz .LBB110_1029
; %bb.1028:
	s_wait_xcnt 0x0
	s_delay_alu instid0(VALU_DEP_4) | instskip(NEXT) | instid1(VALU_DEP_1)
	v_trunc_f64_e32 v[0:1], v[0:1]
	v_ldexp_f64 v[2:3], v[0:1], 0xffffffe0
	s_delay_alu instid0(VALU_DEP_1) | instskip(NEXT) | instid1(VALU_DEP_1)
	v_floor_f64_e32 v[2:3], v[2:3]
	v_fmamk_f64 v[0:1], v[2:3], 0xc1f00000, v[0:1]
	s_delay_alu instid0(VALU_DEP_1)
	v_cvt_u32_f64_e32 v0, v[0:1]
	global_store_b8 v[4:5], v0, off
.LBB110_1029:
	s_mov_b32 s36, -1
.LBB110_1030:
	s_delay_alu instid0(SALU_CYCLE_1)
	s_and_not1_b32 vcc_lo, exec_lo, s36
	s_cbranch_vccnz .LBB110_1032
; %bb.1031:
	v_add_nc_u32_e32 v26, 0x80, v26
	s_mov_b32 s35, -1
	s_branch .LBB110_1034
.LBB110_1032:
	s_mov_b32 s35, 0
.LBB110_1033:
                                        ; implicit-def: $vgpr26
.LBB110_1034:
	s_and_not1_b32 s31, s23, exec_lo
	s_and_b32 s0, s0, exec_lo
	s_and_not1_b32 s36, s25, exec_lo
	s_and_b32 s37, s30, exec_lo
	s_or_b32 s30, s31, s0
	s_or_b32 s31, s36, s37
	s_and_not1_b32 s0, s26, exec_lo
	s_and_b32 s33, s33, exec_lo
	s_and_not1_b32 s36, s27, exec_lo
	s_and_b32 s29, s29, exec_lo
	s_or_b32 s33, s0, s33
	s_or_b32 s29, s36, s29
	s_or_not1_b32 s36, s35, exec_lo
.LBB110_1035:
	s_wait_xcnt 0x0
	s_or_b32 exec_lo, exec_lo, s34
	s_mov_b32 s35, 0
	s_mov_b32 s37, 0
	;; [unrolled: 1-line block ×3, first 2 shown]
                                        ; implicit-def: $sgpr0
                                        ; implicit-def: $vgpr0_vgpr1
                                        ; implicit-def: $vgpr2_vgpr3
	s_and_saveexec_b32 s34, s36
	s_cbranch_execz .LBB110_1638
; %bb.1036:
	s_mov_b32 s43, -1
	s_mov_b32 s36, s29
	s_mov_b32 s37, s33
	;; [unrolled: 1-line block ×4, first 2 shown]
	s_mov_b32 s35, exec_lo
	v_cmpx_gt_i32_e64 s24, v26
	s_cbranch_execz .LBB110_1556
; %bb.1037:
	s_wait_loadcnt 0x0
	v_mul_lo_u32 v0, v26, s13
	s_and_b32 s0, s21, 0xff
	s_delay_alu instid0(SALU_CYCLE_1) | instskip(NEXT) | instid1(VALU_DEP_1)
	s_cmp_lt_i32 s0, 11
	v_ashrrev_i32_e32 v1, 31, v0
	s_delay_alu instid0(VALU_DEP_1)
	v_add_nc_u64_e32 v[0:1], s[6:7], v[0:1]
	s_cbranch_scc1 .LBB110_1044
; %bb.1038:
	s_and_b32 s37, 0xffff, s0
	s_delay_alu instid0(SALU_CYCLE_1)
	s_cmp_gt_i32 s37, 25
	s_cbranch_scc0 .LBB110_1045
; %bb.1039:
	s_cmp_gt_i32 s37, 28
	s_cbranch_scc0 .LBB110_1046
; %bb.1040:
	;; [unrolled: 3-line block ×4, first 2 shown]
	s_cmp_eq_u32 s37, 46
	s_mov_b32 s39, 0
	s_cbranch_scc0 .LBB110_1049
; %bb.1043:
	global_load_b32 v2, v[0:1], off
	s_mov_b32 s38, -1
	s_mov_b32 s36, 0
	s_wait_loadcnt 0x0
	v_lshlrev_b32_e32 v2, 16, v2
	s_delay_alu instid0(VALU_DEP_1)
	v_cvt_f64_f32_e32 v[2:3], v2
	s_branch .LBB110_1051
.LBB110_1044:
	s_mov_b32 s37, -1
	s_mov_b32 s38, 0
	s_mov_b32 s36, s29
                                        ; implicit-def: $vgpr2_vgpr3
	s_branch .LBB110_1116
.LBB110_1045:
	s_mov_b32 s39, -1
	s_mov_b32 s38, 0
	s_mov_b32 s36, s29
                                        ; implicit-def: $vgpr2_vgpr3
	s_branch .LBB110_1080
.LBB110_1046:
	s_mov_b32 s39, -1
	s_mov_b32 s38, 0
	s_mov_b32 s36, s29
                                        ; implicit-def: $vgpr2_vgpr3
	s_branch .LBB110_1061
.LBB110_1047:
	s_mov_b32 s39, -1
	s_mov_b32 s38, 0
	s_mov_b32 s36, s29
                                        ; implicit-def: $vgpr2_vgpr3
	s_branch .LBB110_1056
.LBB110_1048:
	s_mov_b32 s39, -1
	s_mov_b32 s38, 0
	s_mov_b32 s36, s29
	s_branch .LBB110_1050
.LBB110_1049:
	s_mov_b32 s36, -1
	s_mov_b32 s38, 0
.LBB110_1050:
                                        ; implicit-def: $vgpr2_vgpr3
.LBB110_1051:
	s_and_b32 vcc_lo, exec_lo, s39
	s_cbranch_vccz .LBB110_1055
; %bb.1052:
	s_cmp_eq_u32 s37, 44
	s_cbranch_scc0 .LBB110_1054
; %bb.1053:
	global_load_u8 v4, v[0:1], off
	s_mov_b32 s36, 0
	s_mov_b32 s38, -1
	s_wait_loadcnt 0x0
	v_cmp_ne_u32_e32 vcc_lo, 0xff, v4
	v_lshlrev_b32_e32 v2, 23, v4
	s_delay_alu instid0(VALU_DEP_1) | instskip(NEXT) | instid1(VALU_DEP_1)
	v_cvt_f64_f32_e32 v[2:3], v2
	v_cndmask_b32_e32 v2, 0x20000000, v2, vcc_lo
	s_delay_alu instid0(VALU_DEP_2) | instskip(SKIP_1) | instid1(VALU_DEP_2)
	v_cndmask_b32_e32 v3, 0x7ff80000, v3, vcc_lo
	v_cmp_ne_u32_e32 vcc_lo, 0, v4
	v_cndmask_b32_e32 v3, 0x38000000, v3, vcc_lo
	s_delay_alu instid0(VALU_DEP_4)
	v_cndmask_b32_e32 v2, 0, v2, vcc_lo
	s_branch .LBB110_1055
.LBB110_1054:
	s_mov_b32 s36, -1
                                        ; implicit-def: $vgpr2_vgpr3
.LBB110_1055:
	s_mov_b32 s39, 0
.LBB110_1056:
	s_delay_alu instid0(SALU_CYCLE_1)
	s_and_b32 vcc_lo, exec_lo, s39
	s_cbranch_vccz .LBB110_1060
; %bb.1057:
	s_cmp_eq_u32 s37, 29
	s_cbranch_scc0 .LBB110_1059
; %bb.1058:
	global_load_b64 v[2:3], v[0:1], off
	s_mov_b32 s38, -1
	s_mov_b32 s36, 0
	s_mov_b32 s39, 0
	s_wait_loadcnt 0x0
	v_cvt_f64_u32_e32 v[4:5], v3
	v_cvt_f64_u32_e32 v[2:3], v2
	s_delay_alu instid0(VALU_DEP_2) | instskip(NEXT) | instid1(VALU_DEP_1)
	v_ldexp_f64 v[4:5], v[4:5], 32
	v_add_f64_e32 v[2:3], v[4:5], v[2:3]
	s_branch .LBB110_1061
.LBB110_1059:
	s_mov_b32 s36, -1
                                        ; implicit-def: $vgpr2_vgpr3
.LBB110_1060:
	s_mov_b32 s39, 0
.LBB110_1061:
	s_delay_alu instid0(SALU_CYCLE_1)
	s_and_b32 vcc_lo, exec_lo, s39
	s_cbranch_vccz .LBB110_1079
; %bb.1062:
	s_cmp_lt_i32 s37, 27
	s_cbranch_scc1 .LBB110_1065
; %bb.1063:
	s_cmp_gt_i32 s37, 27
	s_cbranch_scc0 .LBB110_1066
; %bb.1064:
	global_load_b32 v2, v[0:1], off
	s_mov_b32 s38, 0
	s_wait_loadcnt 0x0
	v_cvt_f64_u32_e32 v[2:3], v2
	s_branch .LBB110_1067
.LBB110_1065:
	s_mov_b32 s38, -1
                                        ; implicit-def: $vgpr2_vgpr3
	s_branch .LBB110_1070
.LBB110_1066:
	s_mov_b32 s38, -1
                                        ; implicit-def: $vgpr2_vgpr3
.LBB110_1067:
	s_delay_alu instid0(SALU_CYCLE_1)
	s_and_not1_b32 vcc_lo, exec_lo, s38
	s_cbranch_vccnz .LBB110_1069
; %bb.1068:
	global_load_u16 v2, v[0:1], off
	s_wait_loadcnt 0x0
	v_cvt_f64_u32_e32 v[2:3], v2
.LBB110_1069:
	s_mov_b32 s38, 0
.LBB110_1070:
	s_delay_alu instid0(SALU_CYCLE_1)
	s_and_not1_b32 vcc_lo, exec_lo, s38
	s_cbranch_vccnz .LBB110_1078
; %bb.1071:
	global_load_u8 v4, v[0:1], off
	s_mov_b32 s38, 0
	s_mov_b32 s39, exec_lo
	s_wait_loadcnt 0x0
	v_cmpx_lt_i16_e32 0x7f, v4
	s_xor_b32 s39, exec_lo, s39
	s_cbranch_execz .LBB110_1092
; %bb.1072:
	s_mov_b32 s38, -1
	s_mov_b32 s40, exec_lo
	v_cmpx_eq_u16_e32 0x80, v4
; %bb.1073:
	s_xor_b32 s38, exec_lo, -1
; %bb.1074:
	s_or_b32 exec_lo, exec_lo, s40
	s_delay_alu instid0(SALU_CYCLE_1)
	s_and_b32 s38, s38, exec_lo
	s_or_saveexec_b32 s39, s39
	v_mov_b64_e32 v[2:3], 0x7ff8000020000000
	s_xor_b32 exec_lo, exec_lo, s39
	s_cbranch_execnz .LBB110_1093
.LBB110_1075:
	s_or_b32 exec_lo, exec_lo, s39
	s_and_saveexec_b32 s39, s38
	s_cbranch_execz .LBB110_1077
.LBB110_1076:
	v_and_b32_e32 v2, 0xffff, v4
	s_delay_alu instid0(VALU_DEP_1) | instskip(SKIP_1) | instid1(VALU_DEP_2)
	v_and_b32_e32 v3, 7, v2
	v_bfe_u32 v7, v2, 3, 4
	v_clz_i32_u32_e32 v5, v3
	s_delay_alu instid0(VALU_DEP_2) | instskip(NEXT) | instid1(VALU_DEP_2)
	v_cmp_eq_u32_e32 vcc_lo, 0, v7
	v_min_u32_e32 v5, 32, v5
	s_delay_alu instid0(VALU_DEP_1) | instskip(NEXT) | instid1(VALU_DEP_1)
	v_subrev_nc_u32_e32 v6, 28, v5
	v_dual_lshlrev_b32 v2, v6, v2 :: v_dual_sub_nc_u32 v5, 29, v5
	s_delay_alu instid0(VALU_DEP_1) | instskip(NEXT) | instid1(VALU_DEP_2)
	v_dual_lshlrev_b32 v4, 24, v4 :: v_dual_bitop2_b32 v2, 7, v2 bitop3:0x40
	v_cndmask_b32_e32 v5, v7, v5, vcc_lo
	s_delay_alu instid0(VALU_DEP_2) | instskip(NEXT) | instid1(VALU_DEP_3)
	v_cndmask_b32_e32 v2, v3, v2, vcc_lo
	v_and_b32_e32 v3, 0x80000000, v4
	s_delay_alu instid0(VALU_DEP_3) | instskip(NEXT) | instid1(VALU_DEP_3)
	v_lshl_add_u32 v4, v5, 23, 0x3b800000
	v_lshlrev_b32_e32 v2, 20, v2
	s_delay_alu instid0(VALU_DEP_1) | instskip(NEXT) | instid1(VALU_DEP_1)
	v_or3_b32 v2, v3, v4, v2
	v_cvt_f64_f32_e32 v[2:3], v2
.LBB110_1077:
	s_or_b32 exec_lo, exec_lo, s39
.LBB110_1078:
	s_mov_b32 s38, -1
.LBB110_1079:
	s_mov_b32 s39, 0
.LBB110_1080:
	s_delay_alu instid0(SALU_CYCLE_1)
	s_and_b32 vcc_lo, exec_lo, s39
	s_cbranch_vccz .LBB110_1115
; %bb.1081:
	s_cmp_gt_i32 s37, 22
	s_cbranch_scc0 .LBB110_1091
; %bb.1082:
	s_cmp_lt_i32 s37, 24
	s_cbranch_scc1 .LBB110_1094
; %bb.1083:
	s_cmp_gt_i32 s37, 24
	s_cbranch_scc0 .LBB110_1095
; %bb.1084:
	global_load_u8 v4, v[0:1], off
	s_mov_b32 s38, 0
	s_mov_b32 s39, exec_lo
	s_wait_loadcnt 0x0
	v_cmpx_lt_i16_e32 0x7f, v4
	s_xor_b32 s39, exec_lo, s39
	s_cbranch_execz .LBB110_1107
; %bb.1085:
	s_mov_b32 s38, -1
	s_mov_b32 s40, exec_lo
	v_cmpx_eq_u16_e32 0x80, v4
; %bb.1086:
	s_xor_b32 s38, exec_lo, -1
; %bb.1087:
	s_or_b32 exec_lo, exec_lo, s40
	s_delay_alu instid0(SALU_CYCLE_1)
	s_and_b32 s38, s38, exec_lo
	s_or_saveexec_b32 s39, s39
	v_mov_b64_e32 v[2:3], 0x7ff8000020000000
	s_xor_b32 exec_lo, exec_lo, s39
	s_cbranch_execnz .LBB110_1108
.LBB110_1088:
	s_or_b32 exec_lo, exec_lo, s39
	s_and_saveexec_b32 s39, s38
	s_cbranch_execz .LBB110_1090
.LBB110_1089:
	v_and_b32_e32 v2, 0xffff, v4
	s_delay_alu instid0(VALU_DEP_1) | instskip(SKIP_1) | instid1(VALU_DEP_2)
	v_and_b32_e32 v3, 3, v2
	v_bfe_u32 v7, v2, 2, 5
	v_clz_i32_u32_e32 v5, v3
	s_delay_alu instid0(VALU_DEP_2) | instskip(NEXT) | instid1(VALU_DEP_2)
	v_cmp_eq_u32_e32 vcc_lo, 0, v7
	v_min_u32_e32 v5, 32, v5
	s_delay_alu instid0(VALU_DEP_1) | instskip(NEXT) | instid1(VALU_DEP_1)
	v_subrev_nc_u32_e32 v6, 29, v5
	v_dual_lshlrev_b32 v2, v6, v2 :: v_dual_sub_nc_u32 v5, 30, v5
	s_delay_alu instid0(VALU_DEP_1) | instskip(NEXT) | instid1(VALU_DEP_2)
	v_dual_lshlrev_b32 v4, 24, v4 :: v_dual_bitop2_b32 v2, 3, v2 bitop3:0x40
	v_cndmask_b32_e32 v5, v7, v5, vcc_lo
	s_delay_alu instid0(VALU_DEP_2) | instskip(NEXT) | instid1(VALU_DEP_3)
	v_cndmask_b32_e32 v2, v3, v2, vcc_lo
	v_and_b32_e32 v3, 0x80000000, v4
	s_delay_alu instid0(VALU_DEP_3) | instskip(NEXT) | instid1(VALU_DEP_3)
	v_lshl_add_u32 v4, v5, 23, 0x37800000
	v_lshlrev_b32_e32 v2, 21, v2
	s_delay_alu instid0(VALU_DEP_1) | instskip(NEXT) | instid1(VALU_DEP_1)
	v_or3_b32 v2, v3, v4, v2
	v_cvt_f64_f32_e32 v[2:3], v2
.LBB110_1090:
	s_or_b32 exec_lo, exec_lo, s39
	s_mov_b32 s38, 0
	s_branch .LBB110_1096
.LBB110_1091:
	s_mov_b32 s39, -1
                                        ; implicit-def: $vgpr2_vgpr3
	s_branch .LBB110_1102
.LBB110_1092:
	s_or_saveexec_b32 s39, s39
	v_mov_b64_e32 v[2:3], 0x7ff8000020000000
	s_xor_b32 exec_lo, exec_lo, s39
	s_cbranch_execz .LBB110_1075
.LBB110_1093:
	v_cmp_ne_u16_e32 vcc_lo, 0, v4
	v_mov_b64_e32 v[2:3], 0
	s_and_not1_b32 s38, s38, exec_lo
	s_and_b32 s40, vcc_lo, exec_lo
	s_delay_alu instid0(SALU_CYCLE_1)
	s_or_b32 s38, s38, s40
	s_or_b32 exec_lo, exec_lo, s39
	s_and_saveexec_b32 s39, s38
	s_cbranch_execnz .LBB110_1076
	s_branch .LBB110_1077
.LBB110_1094:
	s_mov_b32 s38, -1
                                        ; implicit-def: $vgpr2_vgpr3
	s_branch .LBB110_1099
.LBB110_1095:
	s_mov_b32 s38, -1
                                        ; implicit-def: $vgpr2_vgpr3
.LBB110_1096:
	s_delay_alu instid0(SALU_CYCLE_1)
	s_and_b32 vcc_lo, exec_lo, s38
	s_cbranch_vccz .LBB110_1098
; %bb.1097:
	global_load_u8 v2, v[0:1], off
	s_wait_loadcnt 0x0
	v_lshlrev_b32_e32 v2, 24, v2
	s_delay_alu instid0(VALU_DEP_1) | instskip(NEXT) | instid1(VALU_DEP_1)
	v_and_b32_e32 v3, 0x7f000000, v2
	v_clz_i32_u32_e32 v4, v3
	v_cmp_ne_u32_e32 vcc_lo, 0, v3
	v_add_nc_u32_e32 v6, 0x1000000, v3
	s_delay_alu instid0(VALU_DEP_3) | instskip(NEXT) | instid1(VALU_DEP_1)
	v_min_u32_e32 v4, 32, v4
	v_sub_nc_u32_e64 v4, v4, 4 clamp
	s_delay_alu instid0(VALU_DEP_1) | instskip(NEXT) | instid1(VALU_DEP_1)
	v_dual_lshlrev_b32 v5, v4, v3 :: v_dual_lshlrev_b32 v4, 23, v4
	v_lshrrev_b32_e32 v5, 4, v5
	s_delay_alu instid0(VALU_DEP_1) | instskip(NEXT) | instid1(VALU_DEP_1)
	v_dual_sub_nc_u32 v4, v5, v4 :: v_dual_ashrrev_i32 v5, 8, v6
	v_add_nc_u32_e32 v4, 0x3c000000, v4
	s_delay_alu instid0(VALU_DEP_1) | instskip(NEXT) | instid1(VALU_DEP_1)
	v_and_or_b32 v4, 0x7f800000, v5, v4
	v_cndmask_b32_e32 v3, 0, v4, vcc_lo
	s_delay_alu instid0(VALU_DEP_1) | instskip(NEXT) | instid1(VALU_DEP_1)
	v_and_or_b32 v2, 0x80000000, v2, v3
	v_cvt_f64_f32_e32 v[2:3], v2
.LBB110_1098:
	s_mov_b32 s38, 0
.LBB110_1099:
	s_delay_alu instid0(SALU_CYCLE_1)
	s_and_not1_b32 vcc_lo, exec_lo, s38
	s_cbranch_vccnz .LBB110_1101
; %bb.1100:
	global_load_u8 v2, v[0:1], off
	s_wait_loadcnt 0x0
	v_lshlrev_b32_e32 v3, 25, v2
	v_lshlrev_b16 v2, 8, v2
	s_delay_alu instid0(VALU_DEP_1) | instskip(SKIP_1) | instid1(VALU_DEP_2)
	v_and_or_b32 v5, 0x7f00, v2, 0.5
	v_bfe_i32 v2, v2, 0, 16
	v_dual_add_f32 v5, -0.5, v5 :: v_dual_lshrrev_b32 v4, 4, v3
	v_cmp_gt_u32_e32 vcc_lo, 0x8000000, v3
	s_delay_alu instid0(VALU_DEP_2) | instskip(NEXT) | instid1(VALU_DEP_1)
	v_or_b32_e32 v4, 0x70000000, v4
	v_mul_f32_e32 v4, 0x7800000, v4
	s_delay_alu instid0(VALU_DEP_1) | instskip(NEXT) | instid1(VALU_DEP_1)
	v_cndmask_b32_e32 v3, v4, v5, vcc_lo
	v_and_or_b32 v2, 0x80000000, v2, v3
	s_delay_alu instid0(VALU_DEP_1)
	v_cvt_f64_f32_e32 v[2:3], v2
.LBB110_1101:
	s_mov_b32 s39, 0
	s_mov_b32 s38, -1
.LBB110_1102:
	s_and_not1_b32 vcc_lo, exec_lo, s39
	s_cbranch_vccnz .LBB110_1115
; %bb.1103:
	s_cmp_gt_i32 s37, 14
	s_cbranch_scc0 .LBB110_1106
; %bb.1104:
	s_cmp_eq_u32 s37, 15
	s_cbranch_scc0 .LBB110_1109
; %bb.1105:
	global_load_u16 v2, v[0:1], off
	s_mov_b32 s38, -1
	s_mov_b32 s36, 0
	s_wait_loadcnt 0x0
	v_lshlrev_b32_e32 v2, 16, v2
	s_delay_alu instid0(VALU_DEP_1)
	v_cvt_f64_f32_e32 v[2:3], v2
	s_branch .LBB110_1110
.LBB110_1106:
	s_mov_b32 s39, -1
                                        ; implicit-def: $vgpr2_vgpr3
	s_branch .LBB110_1111
.LBB110_1107:
	s_or_saveexec_b32 s39, s39
	v_mov_b64_e32 v[2:3], 0x7ff8000020000000
	s_xor_b32 exec_lo, exec_lo, s39
	s_cbranch_execz .LBB110_1088
.LBB110_1108:
	v_cmp_ne_u16_e32 vcc_lo, 0, v4
	v_mov_b64_e32 v[2:3], 0
	s_and_not1_b32 s38, s38, exec_lo
	s_and_b32 s40, vcc_lo, exec_lo
	s_delay_alu instid0(SALU_CYCLE_1)
	s_or_b32 s38, s38, s40
	s_or_b32 exec_lo, exec_lo, s39
	s_and_saveexec_b32 s39, s38
	s_cbranch_execnz .LBB110_1089
	s_branch .LBB110_1090
.LBB110_1109:
	s_mov_b32 s36, -1
                                        ; implicit-def: $vgpr2_vgpr3
.LBB110_1110:
	s_mov_b32 s39, 0
.LBB110_1111:
	s_delay_alu instid0(SALU_CYCLE_1)
	s_and_b32 vcc_lo, exec_lo, s39
	s_cbranch_vccz .LBB110_1115
; %bb.1112:
	s_cmp_eq_u32 s37, 11
	s_cbranch_scc0 .LBB110_1114
; %bb.1113:
	global_load_u8 v2, v[0:1], off
	s_mov_b32 s36, 0
	s_mov_b32 s38, -1
	s_wait_loadcnt 0x0
	v_cmp_ne_u16_e32 vcc_lo, 0, v2
	v_mov_b32_e32 v2, 0
	v_cndmask_b32_e64 v3, 0, 0x3ff00000, vcc_lo
	s_branch .LBB110_1115
.LBB110_1114:
	s_mov_b32 s36, -1
                                        ; implicit-def: $vgpr2_vgpr3
.LBB110_1115:
	s_mov_b32 s37, 0
.LBB110_1116:
	s_delay_alu instid0(SALU_CYCLE_1)
	s_and_b32 vcc_lo, exec_lo, s37
	s_cbranch_vccz .LBB110_1165
; %bb.1117:
	s_and_b32 s0, 0xffff, s0
	s_delay_alu instid0(SALU_CYCLE_1)
	s_cmp_lt_i32 s0, 5
	s_cbranch_scc1 .LBB110_1122
; %bb.1118:
	s_cmp_lt_i32 s0, 8
	s_cbranch_scc1 .LBB110_1123
; %bb.1119:
	;; [unrolled: 3-line block ×3, first 2 shown]
	s_cmp_gt_i32 s0, 9
	s_cbranch_scc0 .LBB110_1125
; %bb.1121:
	global_load_b64 v[2:3], v[0:1], off
	s_mov_b32 s37, 0
	s_branch .LBB110_1126
.LBB110_1122:
	s_mov_b32 s37, -1
                                        ; implicit-def: $vgpr2_vgpr3
	s_branch .LBB110_1144
.LBB110_1123:
	s_mov_b32 s37, -1
                                        ; implicit-def: $vgpr2_vgpr3
	s_branch .LBB110_1132
.LBB110_1124:
	s_mov_b32 s37, -1
                                        ; implicit-def: $vgpr2_vgpr3
	s_branch .LBB110_1129
.LBB110_1125:
	s_mov_b32 s37, -1
                                        ; implicit-def: $vgpr2_vgpr3
.LBB110_1126:
	s_delay_alu instid0(SALU_CYCLE_1)
	s_and_not1_b32 vcc_lo, exec_lo, s37
	s_cbranch_vccnz .LBB110_1128
; %bb.1127:
	s_wait_loadcnt 0x0
	global_load_b32 v2, v[0:1], off
	s_wait_loadcnt 0x0
	v_cvt_f64_f32_e32 v[2:3], v2
.LBB110_1128:
	s_mov_b32 s37, 0
.LBB110_1129:
	s_delay_alu instid0(SALU_CYCLE_1)
	s_and_not1_b32 vcc_lo, exec_lo, s37
	s_cbranch_vccnz .LBB110_1131
; %bb.1130:
	s_wait_loadcnt 0x0
	global_load_b32 v2, v[0:1], off
	s_wait_loadcnt 0x0
	v_cvt_f32_f16_e32 v2, v2
	s_delay_alu instid0(VALU_DEP_1)
	v_cvt_f64_f32_e32 v[2:3], v2
.LBB110_1131:
	s_mov_b32 s37, 0
.LBB110_1132:
	s_delay_alu instid0(SALU_CYCLE_1)
	s_and_not1_b32 vcc_lo, exec_lo, s37
	s_cbranch_vccnz .LBB110_1143
; %bb.1133:
	s_cmp_lt_i32 s0, 6
	s_cbranch_scc1 .LBB110_1136
; %bb.1134:
	s_cmp_gt_i32 s0, 6
	s_cbranch_scc0 .LBB110_1137
; %bb.1135:
	s_wait_loadcnt 0x0
	global_load_b64 v[2:3], v[0:1], off
	s_mov_b32 s37, 0
	s_branch .LBB110_1138
.LBB110_1136:
	s_mov_b32 s37, -1
                                        ; implicit-def: $vgpr2_vgpr3
	s_branch .LBB110_1141
.LBB110_1137:
	s_mov_b32 s37, -1
                                        ; implicit-def: $vgpr2_vgpr3
.LBB110_1138:
	s_delay_alu instid0(SALU_CYCLE_1)
	s_and_not1_b32 vcc_lo, exec_lo, s37
	s_cbranch_vccnz .LBB110_1140
; %bb.1139:
	s_wait_loadcnt 0x0
	global_load_b32 v2, v[0:1], off
	s_wait_loadcnt 0x0
	v_cvt_f64_f32_e32 v[2:3], v2
.LBB110_1140:
	s_mov_b32 s37, 0
.LBB110_1141:
	s_delay_alu instid0(SALU_CYCLE_1)
	s_and_not1_b32 vcc_lo, exec_lo, s37
	s_cbranch_vccnz .LBB110_1143
; %bb.1142:
	s_wait_loadcnt 0x0
	global_load_u16 v2, v[0:1], off
	s_wait_loadcnt 0x0
	v_cvt_f32_f16_e32 v2, v2
	s_delay_alu instid0(VALU_DEP_1)
	v_cvt_f64_f32_e32 v[2:3], v2
.LBB110_1143:
	s_mov_b32 s37, 0
.LBB110_1144:
	s_delay_alu instid0(SALU_CYCLE_1)
	s_and_not1_b32 vcc_lo, exec_lo, s37
	s_cbranch_vccnz .LBB110_1164
; %bb.1145:
	s_cmp_lt_i32 s0, 2
	s_cbranch_scc1 .LBB110_1149
; %bb.1146:
	s_cmp_lt_i32 s0, 3
	s_cbranch_scc1 .LBB110_1150
; %bb.1147:
	s_cmp_gt_i32 s0, 3
	s_cbranch_scc0 .LBB110_1151
; %bb.1148:
	s_wait_loadcnt 0x0
	global_load_b64 v[2:3], v[0:1], off
	s_mov_b32 s37, 0
	s_wait_loadcnt 0x0
	v_cvt_f64_i32_e32 v[4:5], v3
	v_cvt_f64_u32_e32 v[2:3], v2
	s_delay_alu instid0(VALU_DEP_2) | instskip(NEXT) | instid1(VALU_DEP_1)
	v_ldexp_f64 v[4:5], v[4:5], 32
	v_add_f64_e32 v[2:3], v[4:5], v[2:3]
	s_branch .LBB110_1152
.LBB110_1149:
	s_mov_b32 s37, -1
                                        ; implicit-def: $vgpr2_vgpr3
	s_branch .LBB110_1158
.LBB110_1150:
	s_mov_b32 s37, -1
                                        ; implicit-def: $vgpr2_vgpr3
	s_branch .LBB110_1155
.LBB110_1151:
	s_mov_b32 s37, -1
                                        ; implicit-def: $vgpr2_vgpr3
.LBB110_1152:
	s_delay_alu instid0(SALU_CYCLE_1)
	s_and_not1_b32 vcc_lo, exec_lo, s37
	s_cbranch_vccnz .LBB110_1154
; %bb.1153:
	s_wait_loadcnt 0x0
	global_load_b32 v2, v[0:1], off
	s_wait_loadcnt 0x0
	v_cvt_f64_i32_e32 v[2:3], v2
.LBB110_1154:
	s_mov_b32 s37, 0
.LBB110_1155:
	s_delay_alu instid0(SALU_CYCLE_1)
	s_and_not1_b32 vcc_lo, exec_lo, s37
	s_cbranch_vccnz .LBB110_1157
; %bb.1156:
	s_wait_loadcnt 0x0
	global_load_i16 v2, v[0:1], off
	s_wait_loadcnt 0x0
	v_cvt_f64_i32_e32 v[2:3], v2
.LBB110_1157:
	s_mov_b32 s37, 0
.LBB110_1158:
	s_delay_alu instid0(SALU_CYCLE_1)
	s_and_not1_b32 vcc_lo, exec_lo, s37
	s_cbranch_vccnz .LBB110_1164
; %bb.1159:
	s_cmp_gt_i32 s0, 0
	s_mov_b32 s0, 0
	s_cbranch_scc0 .LBB110_1161
; %bb.1160:
	s_wait_loadcnt 0x0
	global_load_i8 v2, v[0:1], off
	s_wait_loadcnt 0x0
	v_cvt_f64_i32_e32 v[2:3], v2
	s_branch .LBB110_1162
.LBB110_1161:
	s_mov_b32 s0, -1
                                        ; implicit-def: $vgpr2_vgpr3
.LBB110_1162:
	s_delay_alu instid0(SALU_CYCLE_1)
	s_and_not1_b32 vcc_lo, exec_lo, s0
	s_cbranch_vccnz .LBB110_1164
; %bb.1163:
	global_load_u8 v0, v[0:1], off
	s_wait_loadcnt 0x0
	v_cvt_f64_u32_e32 v[2:3], v0
.LBB110_1164:
	s_mov_b32 s38, -1
.LBB110_1165:
	s_delay_alu instid0(SALU_CYCLE_1)
	s_and_not1_b32 vcc_lo, exec_lo, s38
	s_cbranch_vccnz .LBB110_1173
; %bb.1166:
	s_wait_xcnt 0x0
	v_mul_lo_u32 v0, v26, s14
	s_and_b32 s0, s3, 0xff
	s_delay_alu instid0(SALU_CYCLE_1) | instskip(NEXT) | instid1(VALU_DEP_1)
	s_cmp_lt_i32 s0, 11
	v_ashrrev_i32_e32 v1, 31, v0
	s_delay_alu instid0(VALU_DEP_1)
	v_add_nc_u64_e32 v[4:5], s[8:9], v[0:1]
	s_cbranch_scc1 .LBB110_1174
; %bb.1167:
	s_and_b32 s38, 0xffff, s0
	s_delay_alu instid0(SALU_CYCLE_1)
	s_cmp_gt_i32 s38, 25
	s_cbranch_scc0 .LBB110_1175
; %bb.1168:
	s_cmp_gt_i32 s38, 28
	s_cbranch_scc0 .LBB110_1176
; %bb.1169:
	;; [unrolled: 3-line block ×4, first 2 shown]
	s_cmp_eq_u32 s38, 46
	s_mov_b32 s40, 0
	s_cbranch_scc0 .LBB110_1181
; %bb.1172:
	global_load_b32 v0, v[4:5], off
	s_mov_b32 s39, -1
	s_mov_b32 s37, 0
	s_wait_loadcnt 0x0
	v_lshlrev_b32_e32 v0, 16, v0
	s_delay_alu instid0(VALU_DEP_1)
	v_cvt_f64_f32_e32 v[0:1], v0
	s_branch .LBB110_1183
.LBB110_1173:
	s_mov_b32 s40, 0
	s_mov_b32 s0, s30
	;; [unrolled: 1-line block ×4, first 2 shown]
	s_branch .LBB110_1554
.LBB110_1174:
	s_mov_b32 s38, -1
	s_mov_b32 s39, 0
	s_mov_b32 s37, s33
                                        ; implicit-def: $vgpr0_vgpr1
	s_branch .LBB110_1248
.LBB110_1175:
	s_mov_b32 s40, -1
	s_mov_b32 s39, 0
	s_mov_b32 s37, s33
                                        ; implicit-def: $vgpr0_vgpr1
	s_branch .LBB110_1212
.LBB110_1176:
	s_mov_b32 s40, -1
	s_mov_b32 s39, 0
	s_mov_b32 s37, s33
                                        ; implicit-def: $vgpr0_vgpr1
	s_branch .LBB110_1193
.LBB110_1177:
	s_mov_b32 s40, -1
	s_mov_b32 s39, 0
	s_mov_b32 s37, s33
                                        ; implicit-def: $vgpr0_vgpr1
	s_branch .LBB110_1188
.LBB110_1178:
	s_mov_b32 s40, -1
	s_mov_b32 s39, 0
	s_mov_b32 s37, s33
	s_branch .LBB110_1182
.LBB110_1179:
	s_and_not1_saveexec_b32 s38, s38
	s_cbranch_execz .LBB110_943
.LBB110_1180:
	v_add_f32_e64 v3, 0x46000000, |v2|
	s_and_not1_b32 s37, s37, exec_lo
	s_delay_alu instid0(VALU_DEP_1) | instskip(NEXT) | instid1(VALU_DEP_1)
	v_and_b32_e32 v3, 0xff, v3
	v_cmp_ne_u32_e32 vcc_lo, 0, v3
	s_and_b32 s39, vcc_lo, exec_lo
	s_delay_alu instid0(SALU_CYCLE_1)
	s_or_b32 s37, s37, s39
	s_or_b32 exec_lo, exec_lo, s38
	v_mov_b32_e32 v6, 0
	s_and_saveexec_b32 s38, s37
	s_cbranch_execnz .LBB110_944
	s_branch .LBB110_945
.LBB110_1181:
	s_mov_b32 s37, -1
	s_mov_b32 s39, 0
.LBB110_1182:
                                        ; implicit-def: $vgpr0_vgpr1
.LBB110_1183:
	s_and_b32 vcc_lo, exec_lo, s40
	s_cbranch_vccz .LBB110_1187
; %bb.1184:
	s_cmp_eq_u32 s38, 44
	s_cbranch_scc0 .LBB110_1186
; %bb.1185:
	global_load_u8 v6, v[4:5], off
	s_mov_b32 s37, 0
	s_mov_b32 s39, -1
	s_wait_loadcnt 0x0
	v_cmp_ne_u32_e32 vcc_lo, 0xff, v6
	v_lshlrev_b32_e32 v0, 23, v6
	s_delay_alu instid0(VALU_DEP_1) | instskip(NEXT) | instid1(VALU_DEP_1)
	v_cvt_f64_f32_e32 v[0:1], v0
	v_cndmask_b32_e32 v0, 0x20000000, v0, vcc_lo
	s_delay_alu instid0(VALU_DEP_2) | instskip(SKIP_1) | instid1(VALU_DEP_2)
	v_cndmask_b32_e32 v1, 0x7ff80000, v1, vcc_lo
	v_cmp_ne_u32_e32 vcc_lo, 0, v6
	v_cndmask_b32_e32 v1, 0x38000000, v1, vcc_lo
	s_delay_alu instid0(VALU_DEP_4)
	v_cndmask_b32_e32 v0, 0, v0, vcc_lo
	s_branch .LBB110_1187
.LBB110_1186:
	s_mov_b32 s37, -1
                                        ; implicit-def: $vgpr0_vgpr1
.LBB110_1187:
	s_mov_b32 s40, 0
.LBB110_1188:
	s_delay_alu instid0(SALU_CYCLE_1)
	s_and_b32 vcc_lo, exec_lo, s40
	s_cbranch_vccz .LBB110_1192
; %bb.1189:
	s_cmp_eq_u32 s38, 29
	s_cbranch_scc0 .LBB110_1191
; %bb.1190:
	global_load_b64 v[0:1], v[4:5], off
	s_mov_b32 s39, -1
	s_mov_b32 s37, 0
	s_mov_b32 s40, 0
	s_wait_loadcnt 0x0
	v_cvt_f64_u32_e32 v[6:7], v1
	v_cvt_f64_u32_e32 v[0:1], v0
	s_delay_alu instid0(VALU_DEP_2) | instskip(NEXT) | instid1(VALU_DEP_1)
	v_ldexp_f64 v[6:7], v[6:7], 32
	v_add_f64_e32 v[0:1], v[6:7], v[0:1]
	s_branch .LBB110_1193
.LBB110_1191:
	s_mov_b32 s37, -1
                                        ; implicit-def: $vgpr0_vgpr1
.LBB110_1192:
	s_mov_b32 s40, 0
.LBB110_1193:
	s_delay_alu instid0(SALU_CYCLE_1)
	s_and_b32 vcc_lo, exec_lo, s40
	s_cbranch_vccz .LBB110_1211
; %bb.1194:
	s_cmp_lt_i32 s38, 27
	s_cbranch_scc1 .LBB110_1197
; %bb.1195:
	s_cmp_gt_i32 s38, 27
	s_cbranch_scc0 .LBB110_1198
; %bb.1196:
	global_load_b32 v0, v[4:5], off
	s_mov_b32 s39, 0
	s_wait_loadcnt 0x0
	v_cvt_f64_u32_e32 v[0:1], v0
	s_branch .LBB110_1199
.LBB110_1197:
	s_mov_b32 s39, -1
                                        ; implicit-def: $vgpr0_vgpr1
	s_branch .LBB110_1202
.LBB110_1198:
	s_mov_b32 s39, -1
                                        ; implicit-def: $vgpr0_vgpr1
.LBB110_1199:
	s_delay_alu instid0(SALU_CYCLE_1)
	s_and_not1_b32 vcc_lo, exec_lo, s39
	s_cbranch_vccnz .LBB110_1201
; %bb.1200:
	global_load_u16 v0, v[4:5], off
	s_wait_loadcnt 0x0
	v_cvt_f64_u32_e32 v[0:1], v0
.LBB110_1201:
	s_mov_b32 s39, 0
.LBB110_1202:
	s_delay_alu instid0(SALU_CYCLE_1)
	s_and_not1_b32 vcc_lo, exec_lo, s39
	s_cbranch_vccnz .LBB110_1210
; %bb.1203:
	global_load_u8 v6, v[4:5], off
	s_mov_b32 s39, 0
	s_mov_b32 s40, exec_lo
	s_wait_loadcnt 0x0
	v_cmpx_lt_i16_e32 0x7f, v6
	s_xor_b32 s40, exec_lo, s40
	s_cbranch_execz .LBB110_1224
; %bb.1204:
	s_mov_b32 s39, -1
	s_mov_b32 s41, exec_lo
	v_cmpx_eq_u16_e32 0x80, v6
; %bb.1205:
	s_xor_b32 s39, exec_lo, -1
; %bb.1206:
	s_or_b32 exec_lo, exec_lo, s41
	s_delay_alu instid0(SALU_CYCLE_1)
	s_and_b32 s39, s39, exec_lo
	s_or_saveexec_b32 s40, s40
	v_mov_b64_e32 v[0:1], 0x7ff8000020000000
	s_xor_b32 exec_lo, exec_lo, s40
	s_cbranch_execnz .LBB110_1225
.LBB110_1207:
	s_or_b32 exec_lo, exec_lo, s40
	s_and_saveexec_b32 s40, s39
	s_cbranch_execz .LBB110_1209
.LBB110_1208:
	v_and_b32_e32 v0, 0xffff, v6
	s_delay_alu instid0(VALU_DEP_1) | instskip(SKIP_1) | instid1(VALU_DEP_2)
	v_and_b32_e32 v1, 7, v0
	v_bfe_u32 v9, v0, 3, 4
	v_clz_i32_u32_e32 v7, v1
	s_delay_alu instid0(VALU_DEP_2) | instskip(NEXT) | instid1(VALU_DEP_2)
	v_cmp_eq_u32_e32 vcc_lo, 0, v9
	v_min_u32_e32 v7, 32, v7
	s_delay_alu instid0(VALU_DEP_1) | instskip(NEXT) | instid1(VALU_DEP_1)
	v_subrev_nc_u32_e32 v8, 28, v7
	v_dual_lshlrev_b32 v0, v8, v0 :: v_dual_sub_nc_u32 v7, 29, v7
	s_delay_alu instid0(VALU_DEP_1) | instskip(NEXT) | instid1(VALU_DEP_2)
	v_dual_lshlrev_b32 v6, 24, v6 :: v_dual_bitop2_b32 v0, 7, v0 bitop3:0x40
	v_cndmask_b32_e32 v7, v9, v7, vcc_lo
	s_delay_alu instid0(VALU_DEP_2) | instskip(NEXT) | instid1(VALU_DEP_3)
	v_cndmask_b32_e32 v0, v1, v0, vcc_lo
	v_and_b32_e32 v1, 0x80000000, v6
	s_delay_alu instid0(VALU_DEP_3) | instskip(NEXT) | instid1(VALU_DEP_3)
	v_lshl_add_u32 v6, v7, 23, 0x3b800000
	v_lshlrev_b32_e32 v0, 20, v0
	s_delay_alu instid0(VALU_DEP_1) | instskip(NEXT) | instid1(VALU_DEP_1)
	v_or3_b32 v0, v1, v6, v0
	v_cvt_f64_f32_e32 v[0:1], v0
.LBB110_1209:
	s_or_b32 exec_lo, exec_lo, s40
.LBB110_1210:
	s_mov_b32 s39, -1
.LBB110_1211:
	s_mov_b32 s40, 0
.LBB110_1212:
	s_delay_alu instid0(SALU_CYCLE_1)
	s_and_b32 vcc_lo, exec_lo, s40
	s_cbranch_vccz .LBB110_1247
; %bb.1213:
	s_cmp_gt_i32 s38, 22
	s_cbranch_scc0 .LBB110_1223
; %bb.1214:
	s_cmp_lt_i32 s38, 24
	s_cbranch_scc1 .LBB110_1226
; %bb.1215:
	s_cmp_gt_i32 s38, 24
	s_cbranch_scc0 .LBB110_1227
; %bb.1216:
	global_load_u8 v6, v[4:5], off
	s_mov_b32 s39, 0
	s_mov_b32 s40, exec_lo
	s_wait_loadcnt 0x0
	v_cmpx_lt_i16_e32 0x7f, v6
	s_xor_b32 s40, exec_lo, s40
	s_cbranch_execz .LBB110_1239
; %bb.1217:
	s_mov_b32 s39, -1
	s_mov_b32 s41, exec_lo
	v_cmpx_eq_u16_e32 0x80, v6
; %bb.1218:
	s_xor_b32 s39, exec_lo, -1
; %bb.1219:
	s_or_b32 exec_lo, exec_lo, s41
	s_delay_alu instid0(SALU_CYCLE_1)
	s_and_b32 s39, s39, exec_lo
	s_or_saveexec_b32 s40, s40
	v_mov_b64_e32 v[0:1], 0x7ff8000020000000
	s_xor_b32 exec_lo, exec_lo, s40
	s_cbranch_execnz .LBB110_1240
.LBB110_1220:
	s_or_b32 exec_lo, exec_lo, s40
	s_and_saveexec_b32 s40, s39
	s_cbranch_execz .LBB110_1222
.LBB110_1221:
	v_and_b32_e32 v0, 0xffff, v6
	s_delay_alu instid0(VALU_DEP_1) | instskip(SKIP_1) | instid1(VALU_DEP_2)
	v_and_b32_e32 v1, 3, v0
	v_bfe_u32 v9, v0, 2, 5
	v_clz_i32_u32_e32 v7, v1
	s_delay_alu instid0(VALU_DEP_2) | instskip(NEXT) | instid1(VALU_DEP_2)
	v_cmp_eq_u32_e32 vcc_lo, 0, v9
	v_min_u32_e32 v7, 32, v7
	s_delay_alu instid0(VALU_DEP_1) | instskip(NEXT) | instid1(VALU_DEP_1)
	v_subrev_nc_u32_e32 v8, 29, v7
	v_dual_lshlrev_b32 v0, v8, v0 :: v_dual_sub_nc_u32 v7, 30, v7
	s_delay_alu instid0(VALU_DEP_1) | instskip(NEXT) | instid1(VALU_DEP_2)
	v_dual_lshlrev_b32 v6, 24, v6 :: v_dual_bitop2_b32 v0, 3, v0 bitop3:0x40
	v_cndmask_b32_e32 v7, v9, v7, vcc_lo
	s_delay_alu instid0(VALU_DEP_2) | instskip(NEXT) | instid1(VALU_DEP_3)
	v_cndmask_b32_e32 v0, v1, v0, vcc_lo
	v_and_b32_e32 v1, 0x80000000, v6
	s_delay_alu instid0(VALU_DEP_3) | instskip(NEXT) | instid1(VALU_DEP_3)
	v_lshl_add_u32 v6, v7, 23, 0x37800000
	v_lshlrev_b32_e32 v0, 21, v0
	s_delay_alu instid0(VALU_DEP_1) | instskip(NEXT) | instid1(VALU_DEP_1)
	v_or3_b32 v0, v1, v6, v0
	v_cvt_f64_f32_e32 v[0:1], v0
.LBB110_1222:
	s_or_b32 exec_lo, exec_lo, s40
	s_mov_b32 s39, 0
	s_branch .LBB110_1228
.LBB110_1223:
	s_mov_b32 s40, -1
                                        ; implicit-def: $vgpr0_vgpr1
	s_branch .LBB110_1234
.LBB110_1224:
	s_or_saveexec_b32 s40, s40
	v_mov_b64_e32 v[0:1], 0x7ff8000020000000
	s_xor_b32 exec_lo, exec_lo, s40
	s_cbranch_execz .LBB110_1207
.LBB110_1225:
	v_cmp_ne_u16_e32 vcc_lo, 0, v6
	v_mov_b64_e32 v[0:1], 0
	s_and_not1_b32 s39, s39, exec_lo
	s_and_b32 s41, vcc_lo, exec_lo
	s_delay_alu instid0(SALU_CYCLE_1)
	s_or_b32 s39, s39, s41
	s_or_b32 exec_lo, exec_lo, s40
	s_and_saveexec_b32 s40, s39
	s_cbranch_execnz .LBB110_1208
	s_branch .LBB110_1209
.LBB110_1226:
	s_mov_b32 s39, -1
                                        ; implicit-def: $vgpr0_vgpr1
	s_branch .LBB110_1231
.LBB110_1227:
	s_mov_b32 s39, -1
                                        ; implicit-def: $vgpr0_vgpr1
.LBB110_1228:
	s_delay_alu instid0(SALU_CYCLE_1)
	s_and_b32 vcc_lo, exec_lo, s39
	s_cbranch_vccz .LBB110_1230
; %bb.1229:
	global_load_u8 v0, v[4:5], off
	s_wait_loadcnt 0x0
	v_lshlrev_b32_e32 v0, 24, v0
	s_delay_alu instid0(VALU_DEP_1) | instskip(NEXT) | instid1(VALU_DEP_1)
	v_and_b32_e32 v1, 0x7f000000, v0
	v_clz_i32_u32_e32 v6, v1
	v_cmp_ne_u32_e32 vcc_lo, 0, v1
	v_add_nc_u32_e32 v8, 0x1000000, v1
	s_delay_alu instid0(VALU_DEP_3) | instskip(NEXT) | instid1(VALU_DEP_1)
	v_min_u32_e32 v6, 32, v6
	v_sub_nc_u32_e64 v6, v6, 4 clamp
	s_delay_alu instid0(VALU_DEP_1) | instskip(NEXT) | instid1(VALU_DEP_1)
	v_dual_lshlrev_b32 v7, v6, v1 :: v_dual_lshlrev_b32 v6, 23, v6
	v_lshrrev_b32_e32 v7, 4, v7
	s_delay_alu instid0(VALU_DEP_1) | instskip(NEXT) | instid1(VALU_DEP_1)
	v_dual_sub_nc_u32 v6, v7, v6 :: v_dual_ashrrev_i32 v7, 8, v8
	v_add_nc_u32_e32 v6, 0x3c000000, v6
	s_delay_alu instid0(VALU_DEP_1) | instskip(NEXT) | instid1(VALU_DEP_1)
	v_and_or_b32 v6, 0x7f800000, v7, v6
	v_cndmask_b32_e32 v1, 0, v6, vcc_lo
	s_delay_alu instid0(VALU_DEP_1) | instskip(NEXT) | instid1(VALU_DEP_1)
	v_and_or_b32 v0, 0x80000000, v0, v1
	v_cvt_f64_f32_e32 v[0:1], v0
.LBB110_1230:
	s_mov_b32 s39, 0
.LBB110_1231:
	s_delay_alu instid0(SALU_CYCLE_1)
	s_and_not1_b32 vcc_lo, exec_lo, s39
	s_cbranch_vccnz .LBB110_1233
; %bb.1232:
	global_load_u8 v0, v[4:5], off
	s_wait_loadcnt 0x0
	v_lshlrev_b32_e32 v1, 25, v0
	v_lshlrev_b16 v0, 8, v0
	s_delay_alu instid0(VALU_DEP_1) | instskip(SKIP_1) | instid1(VALU_DEP_2)
	v_and_or_b32 v7, 0x7f00, v0, 0.5
	v_bfe_i32 v0, v0, 0, 16
	v_dual_add_f32 v7, -0.5, v7 :: v_dual_lshrrev_b32 v6, 4, v1
	v_cmp_gt_u32_e32 vcc_lo, 0x8000000, v1
	s_delay_alu instid0(VALU_DEP_2) | instskip(NEXT) | instid1(VALU_DEP_1)
	v_or_b32_e32 v6, 0x70000000, v6
	v_mul_f32_e32 v6, 0x7800000, v6
	s_delay_alu instid0(VALU_DEP_1) | instskip(NEXT) | instid1(VALU_DEP_1)
	v_cndmask_b32_e32 v1, v6, v7, vcc_lo
	v_and_or_b32 v0, 0x80000000, v0, v1
	s_delay_alu instid0(VALU_DEP_1)
	v_cvt_f64_f32_e32 v[0:1], v0
.LBB110_1233:
	s_mov_b32 s40, 0
	s_mov_b32 s39, -1
.LBB110_1234:
	s_and_not1_b32 vcc_lo, exec_lo, s40
	s_cbranch_vccnz .LBB110_1247
; %bb.1235:
	s_cmp_gt_i32 s38, 14
	s_cbranch_scc0 .LBB110_1238
; %bb.1236:
	s_cmp_eq_u32 s38, 15
	s_cbranch_scc0 .LBB110_1241
; %bb.1237:
	global_load_u16 v0, v[4:5], off
	s_mov_b32 s39, -1
	s_mov_b32 s37, 0
	s_wait_loadcnt 0x0
	v_lshlrev_b32_e32 v0, 16, v0
	s_delay_alu instid0(VALU_DEP_1)
	v_cvt_f64_f32_e32 v[0:1], v0
	s_branch .LBB110_1242
.LBB110_1238:
	s_mov_b32 s40, -1
                                        ; implicit-def: $vgpr0_vgpr1
	s_branch .LBB110_1243
.LBB110_1239:
	s_or_saveexec_b32 s40, s40
	v_mov_b64_e32 v[0:1], 0x7ff8000020000000
	s_xor_b32 exec_lo, exec_lo, s40
	s_cbranch_execz .LBB110_1220
.LBB110_1240:
	v_cmp_ne_u16_e32 vcc_lo, 0, v6
	v_mov_b64_e32 v[0:1], 0
	s_and_not1_b32 s39, s39, exec_lo
	s_and_b32 s41, vcc_lo, exec_lo
	s_delay_alu instid0(SALU_CYCLE_1)
	s_or_b32 s39, s39, s41
	s_or_b32 exec_lo, exec_lo, s40
	s_and_saveexec_b32 s40, s39
	s_cbranch_execnz .LBB110_1221
	s_branch .LBB110_1222
.LBB110_1241:
	s_mov_b32 s37, -1
                                        ; implicit-def: $vgpr0_vgpr1
.LBB110_1242:
	s_mov_b32 s40, 0
.LBB110_1243:
	s_delay_alu instid0(SALU_CYCLE_1)
	s_and_b32 vcc_lo, exec_lo, s40
	s_cbranch_vccz .LBB110_1247
; %bb.1244:
	s_cmp_eq_u32 s38, 11
	s_cbranch_scc0 .LBB110_1246
; %bb.1245:
	global_load_u8 v0, v[4:5], off
	s_mov_b32 s37, 0
	s_mov_b32 s39, -1
	s_wait_loadcnt 0x0
	v_cmp_ne_u16_e32 vcc_lo, 0, v0
	v_mov_b32_e32 v0, 0
	v_cndmask_b32_e64 v1, 0, 0x3ff00000, vcc_lo
	s_branch .LBB110_1247
.LBB110_1246:
	s_mov_b32 s37, -1
                                        ; implicit-def: $vgpr0_vgpr1
.LBB110_1247:
	s_mov_b32 s38, 0
.LBB110_1248:
	s_delay_alu instid0(SALU_CYCLE_1)
	s_and_b32 vcc_lo, exec_lo, s38
	s_cbranch_vccz .LBB110_1297
; %bb.1249:
	s_and_b32 s0, 0xffff, s0
	s_delay_alu instid0(SALU_CYCLE_1)
	s_cmp_lt_i32 s0, 5
	s_cbranch_scc1 .LBB110_1254
; %bb.1250:
	s_cmp_lt_i32 s0, 8
	s_cbranch_scc1 .LBB110_1255
; %bb.1251:
	;; [unrolled: 3-line block ×3, first 2 shown]
	s_cmp_gt_i32 s0, 9
	s_cbranch_scc0 .LBB110_1257
; %bb.1253:
	global_load_b64 v[0:1], v[4:5], off
	s_mov_b32 s38, 0
	s_branch .LBB110_1258
.LBB110_1254:
	s_mov_b32 s38, -1
                                        ; implicit-def: $vgpr0_vgpr1
	s_branch .LBB110_1276
.LBB110_1255:
	s_mov_b32 s38, -1
                                        ; implicit-def: $vgpr0_vgpr1
	s_branch .LBB110_1264
.LBB110_1256:
	s_mov_b32 s38, -1
                                        ; implicit-def: $vgpr0_vgpr1
	s_branch .LBB110_1261
.LBB110_1257:
	s_mov_b32 s38, -1
                                        ; implicit-def: $vgpr0_vgpr1
.LBB110_1258:
	s_delay_alu instid0(SALU_CYCLE_1)
	s_and_not1_b32 vcc_lo, exec_lo, s38
	s_cbranch_vccnz .LBB110_1260
; %bb.1259:
	s_wait_loadcnt 0x0
	global_load_b32 v0, v[4:5], off
	s_wait_loadcnt 0x0
	v_cvt_f64_f32_e32 v[0:1], v0
.LBB110_1260:
	s_mov_b32 s38, 0
.LBB110_1261:
	s_delay_alu instid0(SALU_CYCLE_1)
	s_and_not1_b32 vcc_lo, exec_lo, s38
	s_cbranch_vccnz .LBB110_1263
; %bb.1262:
	s_wait_loadcnt 0x0
	global_load_b32 v0, v[4:5], off
	s_wait_loadcnt 0x0
	v_cvt_f32_f16_e32 v0, v0
	s_delay_alu instid0(VALU_DEP_1)
	v_cvt_f64_f32_e32 v[0:1], v0
.LBB110_1263:
	s_mov_b32 s38, 0
.LBB110_1264:
	s_delay_alu instid0(SALU_CYCLE_1)
	s_and_not1_b32 vcc_lo, exec_lo, s38
	s_cbranch_vccnz .LBB110_1275
; %bb.1265:
	s_cmp_lt_i32 s0, 6
	s_cbranch_scc1 .LBB110_1268
; %bb.1266:
	s_cmp_gt_i32 s0, 6
	s_cbranch_scc0 .LBB110_1269
; %bb.1267:
	s_wait_loadcnt 0x0
	global_load_b64 v[0:1], v[4:5], off
	s_mov_b32 s38, 0
	s_branch .LBB110_1270
.LBB110_1268:
	s_mov_b32 s38, -1
                                        ; implicit-def: $vgpr0_vgpr1
	s_branch .LBB110_1273
.LBB110_1269:
	s_mov_b32 s38, -1
                                        ; implicit-def: $vgpr0_vgpr1
.LBB110_1270:
	s_delay_alu instid0(SALU_CYCLE_1)
	s_and_not1_b32 vcc_lo, exec_lo, s38
	s_cbranch_vccnz .LBB110_1272
; %bb.1271:
	s_wait_loadcnt 0x0
	global_load_b32 v0, v[4:5], off
	s_wait_loadcnt 0x0
	v_cvt_f64_f32_e32 v[0:1], v0
.LBB110_1272:
	s_mov_b32 s38, 0
.LBB110_1273:
	s_delay_alu instid0(SALU_CYCLE_1)
	s_and_not1_b32 vcc_lo, exec_lo, s38
	s_cbranch_vccnz .LBB110_1275
; %bb.1274:
	s_wait_loadcnt 0x0
	global_load_u16 v0, v[4:5], off
	s_wait_loadcnt 0x0
	v_cvt_f32_f16_e32 v0, v0
	s_delay_alu instid0(VALU_DEP_1)
	v_cvt_f64_f32_e32 v[0:1], v0
.LBB110_1275:
	s_mov_b32 s38, 0
.LBB110_1276:
	s_delay_alu instid0(SALU_CYCLE_1)
	s_and_not1_b32 vcc_lo, exec_lo, s38
	s_cbranch_vccnz .LBB110_1296
; %bb.1277:
	s_cmp_lt_i32 s0, 2
	s_cbranch_scc1 .LBB110_1281
; %bb.1278:
	s_cmp_lt_i32 s0, 3
	s_cbranch_scc1 .LBB110_1282
; %bb.1279:
	s_cmp_gt_i32 s0, 3
	s_cbranch_scc0 .LBB110_1283
; %bb.1280:
	s_wait_loadcnt 0x0
	global_load_b64 v[0:1], v[4:5], off
	s_mov_b32 s38, 0
	s_wait_loadcnt 0x0
	v_cvt_f64_i32_e32 v[6:7], v1
	v_cvt_f64_u32_e32 v[0:1], v0
	s_delay_alu instid0(VALU_DEP_2) | instskip(NEXT) | instid1(VALU_DEP_1)
	v_ldexp_f64 v[6:7], v[6:7], 32
	v_add_f64_e32 v[0:1], v[6:7], v[0:1]
	s_branch .LBB110_1284
.LBB110_1281:
	s_mov_b32 s38, -1
                                        ; implicit-def: $vgpr0_vgpr1
	s_branch .LBB110_1290
.LBB110_1282:
	s_mov_b32 s38, -1
                                        ; implicit-def: $vgpr0_vgpr1
	s_branch .LBB110_1287
.LBB110_1283:
	s_mov_b32 s38, -1
                                        ; implicit-def: $vgpr0_vgpr1
.LBB110_1284:
	s_delay_alu instid0(SALU_CYCLE_1)
	s_and_not1_b32 vcc_lo, exec_lo, s38
	s_cbranch_vccnz .LBB110_1286
; %bb.1285:
	s_wait_loadcnt 0x0
	global_load_b32 v0, v[4:5], off
	s_wait_loadcnt 0x0
	v_cvt_f64_i32_e32 v[0:1], v0
.LBB110_1286:
	s_mov_b32 s38, 0
.LBB110_1287:
	s_delay_alu instid0(SALU_CYCLE_1)
	s_and_not1_b32 vcc_lo, exec_lo, s38
	s_cbranch_vccnz .LBB110_1289
; %bb.1288:
	s_wait_loadcnt 0x0
	global_load_i16 v0, v[4:5], off
	s_wait_loadcnt 0x0
	v_cvt_f64_i32_e32 v[0:1], v0
.LBB110_1289:
	s_mov_b32 s38, 0
.LBB110_1290:
	s_delay_alu instid0(SALU_CYCLE_1)
	s_and_not1_b32 vcc_lo, exec_lo, s38
	s_cbranch_vccnz .LBB110_1296
; %bb.1291:
	s_cmp_gt_i32 s0, 0
	s_mov_b32 s0, 0
	s_cbranch_scc0 .LBB110_1293
; %bb.1292:
	s_wait_loadcnt 0x0
	global_load_i8 v0, v[4:5], off
	s_wait_loadcnt 0x0
	v_cvt_f64_i32_e32 v[0:1], v0
	s_branch .LBB110_1294
.LBB110_1293:
	s_mov_b32 s0, -1
                                        ; implicit-def: $vgpr0_vgpr1
.LBB110_1294:
	s_delay_alu instid0(SALU_CYCLE_1)
	s_and_not1_b32 vcc_lo, exec_lo, s0
	s_cbranch_vccnz .LBB110_1296
; %bb.1295:
	s_wait_loadcnt 0x0
	global_load_u8 v0, v[4:5], off
	s_wait_loadcnt 0x0
	v_cvt_f64_u32_e32 v[0:1], v0
.LBB110_1296:
	s_mov_b32 s39, -1
.LBB110_1297:
	s_delay_alu instid0(SALU_CYCLE_1)
	s_and_not1_b32 vcc_lo, exec_lo, s39
	s_cbranch_vccnz .LBB110_1305
; %bb.1298:
	s_wait_xcnt 0x0
	v_mul_lo_u32 v4, v26, s15
	s_and_b32 s0, 0xffff, s1
	s_delay_alu instid0(SALU_CYCLE_1) | instskip(NEXT) | instid1(VALU_DEP_1)
	s_cmp_lt_i32 s0, 11
	v_ashrrev_i32_e32 v5, 31, v4
	s_delay_alu instid0(VALU_DEP_1)
	v_add_nc_u64_e32 v[4:5], s[10:11], v[4:5]
	s_cbranch_scc1 .LBB110_1306
; %bb.1299:
	s_cmp_gt_i32 s0, 25
	s_cbranch_scc0 .LBB110_1307
; %bb.1300:
	s_cmp_gt_i32 s0, 28
	s_cbranch_scc0 .LBB110_1308
; %bb.1301:
	s_cmp_gt_i32 s0, 43
	s_cbranch_scc0 .LBB110_1309
; %bb.1302:
	s_cmp_gt_i32 s0, 45
	s_cbranch_scc0 .LBB110_1310
; %bb.1303:
	s_cmp_eq_u32 s0, 46
	s_mov_b32 s40, 0
	s_cbranch_scc0 .LBB110_1313
; %bb.1304:
	global_load_b32 v6, v[4:5], off
	s_mov_b32 s39, -1
	s_mov_b32 s38, 0
	s_wait_loadcnt 0x0
	v_lshlrev_b32_e32 v6, 16, v6
	s_delay_alu instid0(VALU_DEP_1)
	v_cvt_f64_f32_e32 v[6:7], v6
	s_branch .LBB110_1315
.LBB110_1305:
	s_mov_b32 s40, 0
	s_mov_b32 s0, s30
	;; [unrolled: 1-line block ×3, first 2 shown]
	s_branch .LBB110_1554
.LBB110_1306:
	s_mov_b32 s40, -1
	s_mov_b32 s39, 0
	s_mov_b32 s38, s31
                                        ; implicit-def: $vgpr6_vgpr7
	s_branch .LBB110_1380
.LBB110_1307:
	s_mov_b32 s40, -1
	s_mov_b32 s39, 0
	s_mov_b32 s38, s31
                                        ; implicit-def: $vgpr6_vgpr7
	s_branch .LBB110_1344
.LBB110_1308:
	s_mov_b32 s40, -1
	s_mov_b32 s39, 0
	s_mov_b32 s38, s31
                                        ; implicit-def: $vgpr6_vgpr7
	s_branch .LBB110_1325
.LBB110_1309:
	s_mov_b32 s40, -1
	s_mov_b32 s39, 0
	s_mov_b32 s38, s31
                                        ; implicit-def: $vgpr6_vgpr7
	s_branch .LBB110_1320
.LBB110_1310:
	s_mov_b32 s40, -1
	s_mov_b32 s39, 0
	s_mov_b32 s38, s31
	s_branch .LBB110_1314
.LBB110_1311:
	s_and_not1_saveexec_b32 s38, s38
	s_cbranch_execz .LBB110_956
.LBB110_1312:
	v_add_f32_e64 v3, 0x42800000, |v2|
	s_and_not1_b32 s37, s37, exec_lo
	s_delay_alu instid0(VALU_DEP_1) | instskip(NEXT) | instid1(VALU_DEP_1)
	v_and_b32_e32 v3, 0xff, v3
	v_cmp_ne_u32_e32 vcc_lo, 0, v3
	s_and_b32 s39, vcc_lo, exec_lo
	s_delay_alu instid0(SALU_CYCLE_1)
	s_or_b32 s37, s37, s39
	s_or_b32 exec_lo, exec_lo, s38
	v_mov_b32_e32 v6, 0
	s_and_saveexec_b32 s38, s37
	s_cbranch_execnz .LBB110_957
	s_branch .LBB110_958
.LBB110_1313:
	s_mov_b32 s38, -1
	s_mov_b32 s39, 0
.LBB110_1314:
                                        ; implicit-def: $vgpr6_vgpr7
.LBB110_1315:
	s_and_b32 vcc_lo, exec_lo, s40
	s_cbranch_vccz .LBB110_1319
; %bb.1316:
	s_cmp_eq_u32 s0, 44
	s_cbranch_scc0 .LBB110_1318
; %bb.1317:
	global_load_u8 v8, v[4:5], off
	s_mov_b32 s38, 0
	s_mov_b32 s39, -1
	s_wait_loadcnt 0x0
	v_cmp_ne_u32_e32 vcc_lo, 0xff, v8
	v_lshlrev_b32_e32 v6, 23, v8
	s_delay_alu instid0(VALU_DEP_1) | instskip(NEXT) | instid1(VALU_DEP_1)
	v_cvt_f64_f32_e32 v[6:7], v6
	v_cndmask_b32_e32 v6, 0x20000000, v6, vcc_lo
	s_delay_alu instid0(VALU_DEP_2) | instskip(SKIP_1) | instid1(VALU_DEP_2)
	v_cndmask_b32_e32 v7, 0x7ff80000, v7, vcc_lo
	v_cmp_ne_u32_e32 vcc_lo, 0, v8
	v_cndmask_b32_e32 v7, 0x38000000, v7, vcc_lo
	s_delay_alu instid0(VALU_DEP_4)
	v_cndmask_b32_e32 v6, 0, v6, vcc_lo
	s_branch .LBB110_1319
.LBB110_1318:
	s_mov_b32 s38, -1
                                        ; implicit-def: $vgpr6_vgpr7
.LBB110_1319:
	s_mov_b32 s40, 0
.LBB110_1320:
	s_delay_alu instid0(SALU_CYCLE_1)
	s_and_b32 vcc_lo, exec_lo, s40
	s_cbranch_vccz .LBB110_1324
; %bb.1321:
	s_cmp_eq_u32 s0, 29
	s_cbranch_scc0 .LBB110_1323
; %bb.1322:
	global_load_b64 v[6:7], v[4:5], off
	s_mov_b32 s39, -1
	s_mov_b32 s38, 0
	s_mov_b32 s40, 0
	s_wait_loadcnt 0x0
	v_cvt_f64_u32_e32 v[8:9], v7
	v_cvt_f64_u32_e32 v[6:7], v6
	s_delay_alu instid0(VALU_DEP_2) | instskip(NEXT) | instid1(VALU_DEP_1)
	v_ldexp_f64 v[8:9], v[8:9], 32
	v_add_f64_e32 v[6:7], v[8:9], v[6:7]
	s_branch .LBB110_1325
.LBB110_1323:
	s_mov_b32 s38, -1
                                        ; implicit-def: $vgpr6_vgpr7
.LBB110_1324:
	s_mov_b32 s40, 0
.LBB110_1325:
	s_delay_alu instid0(SALU_CYCLE_1)
	s_and_b32 vcc_lo, exec_lo, s40
	s_cbranch_vccz .LBB110_1343
; %bb.1326:
	s_cmp_lt_i32 s0, 27
	s_cbranch_scc1 .LBB110_1329
; %bb.1327:
	s_cmp_gt_i32 s0, 27
	s_cbranch_scc0 .LBB110_1330
; %bb.1328:
	global_load_b32 v6, v[4:5], off
	s_mov_b32 s39, 0
	s_wait_loadcnt 0x0
	v_cvt_f64_u32_e32 v[6:7], v6
	s_branch .LBB110_1331
.LBB110_1329:
	s_mov_b32 s39, -1
                                        ; implicit-def: $vgpr6_vgpr7
	s_branch .LBB110_1334
.LBB110_1330:
	s_mov_b32 s39, -1
                                        ; implicit-def: $vgpr6_vgpr7
.LBB110_1331:
	s_delay_alu instid0(SALU_CYCLE_1)
	s_and_not1_b32 vcc_lo, exec_lo, s39
	s_cbranch_vccnz .LBB110_1333
; %bb.1332:
	global_load_u16 v6, v[4:5], off
	s_wait_loadcnt 0x0
	v_cvt_f64_u32_e32 v[6:7], v6
.LBB110_1333:
	s_mov_b32 s39, 0
.LBB110_1334:
	s_delay_alu instid0(SALU_CYCLE_1)
	s_and_not1_b32 vcc_lo, exec_lo, s39
	s_cbranch_vccnz .LBB110_1342
; %bb.1335:
	global_load_u8 v8, v[4:5], off
	s_mov_b32 s39, 0
	s_mov_b32 s40, exec_lo
	s_wait_loadcnt 0x0
	v_cmpx_lt_i16_e32 0x7f, v8
	s_xor_b32 s40, exec_lo, s40
	s_cbranch_execz .LBB110_1356
; %bb.1336:
	s_mov_b32 s39, -1
	s_mov_b32 s41, exec_lo
	v_cmpx_eq_u16_e32 0x80, v8
; %bb.1337:
	s_xor_b32 s39, exec_lo, -1
; %bb.1338:
	s_or_b32 exec_lo, exec_lo, s41
	s_delay_alu instid0(SALU_CYCLE_1)
	s_and_b32 s39, s39, exec_lo
	s_or_saveexec_b32 s40, s40
	v_mov_b64_e32 v[6:7], 0x7ff8000020000000
	s_xor_b32 exec_lo, exec_lo, s40
	s_cbranch_execnz .LBB110_1357
.LBB110_1339:
	s_or_b32 exec_lo, exec_lo, s40
	s_and_saveexec_b32 s40, s39
	s_cbranch_execz .LBB110_1341
.LBB110_1340:
	v_and_b32_e32 v6, 0xffff, v8
	s_delay_alu instid0(VALU_DEP_1) | instskip(SKIP_1) | instid1(VALU_DEP_2)
	v_and_b32_e32 v7, 7, v6
	v_bfe_u32 v11, v6, 3, 4
	v_clz_i32_u32_e32 v9, v7
	s_delay_alu instid0(VALU_DEP_2) | instskip(NEXT) | instid1(VALU_DEP_2)
	v_cmp_eq_u32_e32 vcc_lo, 0, v11
	v_min_u32_e32 v9, 32, v9
	s_delay_alu instid0(VALU_DEP_1) | instskip(NEXT) | instid1(VALU_DEP_1)
	v_subrev_nc_u32_e32 v10, 28, v9
	v_dual_lshlrev_b32 v6, v10, v6 :: v_dual_sub_nc_u32 v9, 29, v9
	s_delay_alu instid0(VALU_DEP_1) | instskip(NEXT) | instid1(VALU_DEP_2)
	v_dual_lshlrev_b32 v8, 24, v8 :: v_dual_bitop2_b32 v6, 7, v6 bitop3:0x40
	v_cndmask_b32_e32 v9, v11, v9, vcc_lo
	s_delay_alu instid0(VALU_DEP_2) | instskip(NEXT) | instid1(VALU_DEP_3)
	v_cndmask_b32_e32 v6, v7, v6, vcc_lo
	v_and_b32_e32 v7, 0x80000000, v8
	s_delay_alu instid0(VALU_DEP_3) | instskip(NEXT) | instid1(VALU_DEP_3)
	v_lshl_add_u32 v8, v9, 23, 0x3b800000
	v_lshlrev_b32_e32 v6, 20, v6
	s_delay_alu instid0(VALU_DEP_1) | instskip(NEXT) | instid1(VALU_DEP_1)
	v_or3_b32 v6, v7, v8, v6
	v_cvt_f64_f32_e32 v[6:7], v6
.LBB110_1341:
	s_or_b32 exec_lo, exec_lo, s40
.LBB110_1342:
	s_mov_b32 s39, -1
.LBB110_1343:
	s_mov_b32 s40, 0
.LBB110_1344:
	s_delay_alu instid0(SALU_CYCLE_1)
	s_and_b32 vcc_lo, exec_lo, s40
	s_cbranch_vccz .LBB110_1379
; %bb.1345:
	s_cmp_gt_i32 s0, 22
	s_cbranch_scc0 .LBB110_1355
; %bb.1346:
	s_cmp_lt_i32 s0, 24
	s_cbranch_scc1 .LBB110_1358
; %bb.1347:
	s_cmp_gt_i32 s0, 24
	s_cbranch_scc0 .LBB110_1359
; %bb.1348:
	global_load_u8 v8, v[4:5], off
	s_mov_b32 s39, 0
	s_mov_b32 s40, exec_lo
	s_wait_loadcnt 0x0
	v_cmpx_lt_i16_e32 0x7f, v8
	s_xor_b32 s40, exec_lo, s40
	s_cbranch_execz .LBB110_1371
; %bb.1349:
	s_mov_b32 s39, -1
	s_mov_b32 s41, exec_lo
	v_cmpx_eq_u16_e32 0x80, v8
; %bb.1350:
	s_xor_b32 s39, exec_lo, -1
; %bb.1351:
	s_or_b32 exec_lo, exec_lo, s41
	s_delay_alu instid0(SALU_CYCLE_1)
	s_and_b32 s39, s39, exec_lo
	s_or_saveexec_b32 s40, s40
	v_mov_b64_e32 v[6:7], 0x7ff8000020000000
	s_xor_b32 exec_lo, exec_lo, s40
	s_cbranch_execnz .LBB110_1372
.LBB110_1352:
	s_or_b32 exec_lo, exec_lo, s40
	s_and_saveexec_b32 s40, s39
	s_cbranch_execz .LBB110_1354
.LBB110_1353:
	v_and_b32_e32 v6, 0xffff, v8
	s_delay_alu instid0(VALU_DEP_1) | instskip(SKIP_1) | instid1(VALU_DEP_2)
	v_and_b32_e32 v7, 3, v6
	v_bfe_u32 v11, v6, 2, 5
	v_clz_i32_u32_e32 v9, v7
	s_delay_alu instid0(VALU_DEP_2) | instskip(NEXT) | instid1(VALU_DEP_2)
	v_cmp_eq_u32_e32 vcc_lo, 0, v11
	v_min_u32_e32 v9, 32, v9
	s_delay_alu instid0(VALU_DEP_1) | instskip(NEXT) | instid1(VALU_DEP_1)
	v_subrev_nc_u32_e32 v10, 29, v9
	v_dual_lshlrev_b32 v6, v10, v6 :: v_dual_sub_nc_u32 v9, 30, v9
	s_delay_alu instid0(VALU_DEP_1) | instskip(NEXT) | instid1(VALU_DEP_2)
	v_dual_lshlrev_b32 v8, 24, v8 :: v_dual_bitop2_b32 v6, 3, v6 bitop3:0x40
	v_cndmask_b32_e32 v9, v11, v9, vcc_lo
	s_delay_alu instid0(VALU_DEP_2) | instskip(NEXT) | instid1(VALU_DEP_3)
	v_cndmask_b32_e32 v6, v7, v6, vcc_lo
	v_and_b32_e32 v7, 0x80000000, v8
	s_delay_alu instid0(VALU_DEP_3) | instskip(NEXT) | instid1(VALU_DEP_3)
	v_lshl_add_u32 v8, v9, 23, 0x37800000
	v_lshlrev_b32_e32 v6, 21, v6
	s_delay_alu instid0(VALU_DEP_1) | instskip(NEXT) | instid1(VALU_DEP_1)
	v_or3_b32 v6, v7, v8, v6
	v_cvt_f64_f32_e32 v[6:7], v6
.LBB110_1354:
	s_or_b32 exec_lo, exec_lo, s40
	s_mov_b32 s39, 0
	s_branch .LBB110_1360
.LBB110_1355:
	s_mov_b32 s40, -1
                                        ; implicit-def: $vgpr6_vgpr7
	s_branch .LBB110_1366
.LBB110_1356:
	s_or_saveexec_b32 s40, s40
	v_mov_b64_e32 v[6:7], 0x7ff8000020000000
	s_xor_b32 exec_lo, exec_lo, s40
	s_cbranch_execz .LBB110_1339
.LBB110_1357:
	v_cmp_ne_u16_e32 vcc_lo, 0, v8
	v_mov_b64_e32 v[6:7], 0
	s_and_not1_b32 s39, s39, exec_lo
	s_and_b32 s41, vcc_lo, exec_lo
	s_delay_alu instid0(SALU_CYCLE_1)
	s_or_b32 s39, s39, s41
	s_or_b32 exec_lo, exec_lo, s40
	s_and_saveexec_b32 s40, s39
	s_cbranch_execnz .LBB110_1340
	s_branch .LBB110_1341
.LBB110_1358:
	s_mov_b32 s39, -1
                                        ; implicit-def: $vgpr6_vgpr7
	s_branch .LBB110_1363
.LBB110_1359:
	s_mov_b32 s39, -1
                                        ; implicit-def: $vgpr6_vgpr7
.LBB110_1360:
	s_delay_alu instid0(SALU_CYCLE_1)
	s_and_b32 vcc_lo, exec_lo, s39
	s_cbranch_vccz .LBB110_1362
; %bb.1361:
	global_load_u8 v6, v[4:5], off
	s_wait_loadcnt 0x0
	v_lshlrev_b32_e32 v6, 24, v6
	s_delay_alu instid0(VALU_DEP_1) | instskip(NEXT) | instid1(VALU_DEP_1)
	v_and_b32_e32 v7, 0x7f000000, v6
	v_clz_i32_u32_e32 v8, v7
	v_cmp_ne_u32_e32 vcc_lo, 0, v7
	v_add_nc_u32_e32 v10, 0x1000000, v7
	s_delay_alu instid0(VALU_DEP_3) | instskip(NEXT) | instid1(VALU_DEP_1)
	v_min_u32_e32 v8, 32, v8
	v_sub_nc_u32_e64 v8, v8, 4 clamp
	s_delay_alu instid0(VALU_DEP_1) | instskip(NEXT) | instid1(VALU_DEP_1)
	v_dual_lshlrev_b32 v9, v8, v7 :: v_dual_lshlrev_b32 v8, 23, v8
	v_lshrrev_b32_e32 v9, 4, v9
	s_delay_alu instid0(VALU_DEP_1) | instskip(NEXT) | instid1(VALU_DEP_1)
	v_dual_sub_nc_u32 v8, v9, v8 :: v_dual_ashrrev_i32 v9, 8, v10
	v_add_nc_u32_e32 v8, 0x3c000000, v8
	s_delay_alu instid0(VALU_DEP_1) | instskip(NEXT) | instid1(VALU_DEP_1)
	v_and_or_b32 v8, 0x7f800000, v9, v8
	v_cndmask_b32_e32 v7, 0, v8, vcc_lo
	s_delay_alu instid0(VALU_DEP_1) | instskip(NEXT) | instid1(VALU_DEP_1)
	v_and_or_b32 v6, 0x80000000, v6, v7
	v_cvt_f64_f32_e32 v[6:7], v6
.LBB110_1362:
	s_mov_b32 s39, 0
.LBB110_1363:
	s_delay_alu instid0(SALU_CYCLE_1)
	s_and_not1_b32 vcc_lo, exec_lo, s39
	s_cbranch_vccnz .LBB110_1365
; %bb.1364:
	global_load_u8 v6, v[4:5], off
	s_wait_loadcnt 0x0
	v_lshlrev_b32_e32 v7, 25, v6
	v_lshlrev_b16 v6, 8, v6
	s_delay_alu instid0(VALU_DEP_1) | instskip(SKIP_1) | instid1(VALU_DEP_2)
	v_and_or_b32 v9, 0x7f00, v6, 0.5
	v_bfe_i32 v6, v6, 0, 16
	v_dual_add_f32 v9, -0.5, v9 :: v_dual_lshrrev_b32 v8, 4, v7
	v_cmp_gt_u32_e32 vcc_lo, 0x8000000, v7
	s_delay_alu instid0(VALU_DEP_2) | instskip(NEXT) | instid1(VALU_DEP_1)
	v_or_b32_e32 v8, 0x70000000, v8
	v_mul_f32_e32 v8, 0x7800000, v8
	s_delay_alu instid0(VALU_DEP_1) | instskip(NEXT) | instid1(VALU_DEP_1)
	v_cndmask_b32_e32 v7, v8, v9, vcc_lo
	v_and_or_b32 v6, 0x80000000, v6, v7
	s_delay_alu instid0(VALU_DEP_1)
	v_cvt_f64_f32_e32 v[6:7], v6
.LBB110_1365:
	s_mov_b32 s40, 0
	s_mov_b32 s39, -1
.LBB110_1366:
	s_and_not1_b32 vcc_lo, exec_lo, s40
	s_cbranch_vccnz .LBB110_1379
; %bb.1367:
	s_cmp_gt_i32 s0, 14
	s_cbranch_scc0 .LBB110_1370
; %bb.1368:
	s_cmp_eq_u32 s0, 15
	s_cbranch_scc0 .LBB110_1373
; %bb.1369:
	global_load_u16 v6, v[4:5], off
	s_mov_b32 s39, -1
	s_mov_b32 s38, 0
	s_wait_loadcnt 0x0
	v_lshlrev_b32_e32 v6, 16, v6
	s_delay_alu instid0(VALU_DEP_1)
	v_cvt_f64_f32_e32 v[6:7], v6
	s_branch .LBB110_1374
.LBB110_1370:
	s_mov_b32 s40, -1
                                        ; implicit-def: $vgpr6_vgpr7
	s_branch .LBB110_1375
.LBB110_1371:
	s_or_saveexec_b32 s40, s40
	v_mov_b64_e32 v[6:7], 0x7ff8000020000000
	s_xor_b32 exec_lo, exec_lo, s40
	s_cbranch_execz .LBB110_1352
.LBB110_1372:
	v_cmp_ne_u16_e32 vcc_lo, 0, v8
	v_mov_b64_e32 v[6:7], 0
	s_and_not1_b32 s39, s39, exec_lo
	s_and_b32 s41, vcc_lo, exec_lo
	s_delay_alu instid0(SALU_CYCLE_1)
	s_or_b32 s39, s39, s41
	s_or_b32 exec_lo, exec_lo, s40
	s_and_saveexec_b32 s40, s39
	s_cbranch_execnz .LBB110_1353
	s_branch .LBB110_1354
.LBB110_1373:
	s_mov_b32 s38, -1
                                        ; implicit-def: $vgpr6_vgpr7
.LBB110_1374:
	s_mov_b32 s40, 0
.LBB110_1375:
	s_delay_alu instid0(SALU_CYCLE_1)
	s_and_b32 vcc_lo, exec_lo, s40
	s_cbranch_vccz .LBB110_1379
; %bb.1376:
	s_cmp_eq_u32 s0, 11
	s_cbranch_scc0 .LBB110_1378
; %bb.1377:
	global_load_u8 v6, v[4:5], off
	s_mov_b32 s38, 0
	s_mov_b32 s39, -1
	s_wait_loadcnt 0x0
	v_cmp_ne_u16_e32 vcc_lo, 0, v6
	v_mov_b32_e32 v6, 0
	v_cndmask_b32_e64 v7, 0, 0x3ff00000, vcc_lo
	s_branch .LBB110_1379
.LBB110_1378:
	s_mov_b32 s38, -1
                                        ; implicit-def: $vgpr6_vgpr7
.LBB110_1379:
	s_mov_b32 s40, 0
.LBB110_1380:
	s_delay_alu instid0(SALU_CYCLE_1)
	s_and_b32 vcc_lo, exec_lo, s40
	s_cbranch_vccz .LBB110_1429
; %bb.1381:
	s_cmp_lt_i32 s0, 5
	s_cbranch_scc1 .LBB110_1386
; %bb.1382:
	s_cmp_lt_i32 s0, 8
	s_cbranch_scc1 .LBB110_1387
	;; [unrolled: 3-line block ×3, first 2 shown]
; %bb.1384:
	s_cmp_gt_i32 s0, 9
	s_cbranch_scc0 .LBB110_1389
; %bb.1385:
	global_load_b64 v[6:7], v[4:5], off
	s_mov_b32 s39, 0
	s_branch .LBB110_1390
.LBB110_1386:
	s_mov_b32 s39, -1
                                        ; implicit-def: $vgpr6_vgpr7
	s_branch .LBB110_1408
.LBB110_1387:
	s_mov_b32 s39, -1
                                        ; implicit-def: $vgpr6_vgpr7
	s_branch .LBB110_1396
.LBB110_1388:
	s_mov_b32 s39, -1
                                        ; implicit-def: $vgpr6_vgpr7
	s_branch .LBB110_1393
.LBB110_1389:
	s_mov_b32 s39, -1
                                        ; implicit-def: $vgpr6_vgpr7
.LBB110_1390:
	s_delay_alu instid0(SALU_CYCLE_1)
	s_and_not1_b32 vcc_lo, exec_lo, s39
	s_cbranch_vccnz .LBB110_1392
; %bb.1391:
	s_wait_loadcnt 0x0
	global_load_b32 v6, v[4:5], off
	s_wait_loadcnt 0x0
	v_cvt_f64_f32_e32 v[6:7], v6
.LBB110_1392:
	s_mov_b32 s39, 0
.LBB110_1393:
	s_delay_alu instid0(SALU_CYCLE_1)
	s_and_not1_b32 vcc_lo, exec_lo, s39
	s_cbranch_vccnz .LBB110_1395
; %bb.1394:
	s_wait_loadcnt 0x0
	global_load_b32 v6, v[4:5], off
	s_wait_loadcnt 0x0
	v_cvt_f32_f16_e32 v6, v6
	s_delay_alu instid0(VALU_DEP_1)
	v_cvt_f64_f32_e32 v[6:7], v6
.LBB110_1395:
	s_mov_b32 s39, 0
.LBB110_1396:
	s_delay_alu instid0(SALU_CYCLE_1)
	s_and_not1_b32 vcc_lo, exec_lo, s39
	s_cbranch_vccnz .LBB110_1407
; %bb.1397:
	s_cmp_lt_i32 s0, 6
	s_cbranch_scc1 .LBB110_1400
; %bb.1398:
	s_cmp_gt_i32 s0, 6
	s_cbranch_scc0 .LBB110_1401
; %bb.1399:
	s_wait_loadcnt 0x0
	global_load_b64 v[6:7], v[4:5], off
	s_mov_b32 s39, 0
	s_branch .LBB110_1402
.LBB110_1400:
	s_mov_b32 s39, -1
                                        ; implicit-def: $vgpr6_vgpr7
	s_branch .LBB110_1405
.LBB110_1401:
	s_mov_b32 s39, -1
                                        ; implicit-def: $vgpr6_vgpr7
.LBB110_1402:
	s_delay_alu instid0(SALU_CYCLE_1)
	s_and_not1_b32 vcc_lo, exec_lo, s39
	s_cbranch_vccnz .LBB110_1404
; %bb.1403:
	s_wait_loadcnt 0x0
	global_load_b32 v6, v[4:5], off
	s_wait_loadcnt 0x0
	v_cvt_f64_f32_e32 v[6:7], v6
.LBB110_1404:
	s_mov_b32 s39, 0
.LBB110_1405:
	s_delay_alu instid0(SALU_CYCLE_1)
	s_and_not1_b32 vcc_lo, exec_lo, s39
	s_cbranch_vccnz .LBB110_1407
; %bb.1406:
	s_wait_loadcnt 0x0
	global_load_u16 v6, v[4:5], off
	s_wait_loadcnt 0x0
	v_cvt_f32_f16_e32 v6, v6
	s_delay_alu instid0(VALU_DEP_1)
	v_cvt_f64_f32_e32 v[6:7], v6
.LBB110_1407:
	s_mov_b32 s39, 0
.LBB110_1408:
	s_delay_alu instid0(SALU_CYCLE_1)
	s_and_not1_b32 vcc_lo, exec_lo, s39
	s_cbranch_vccnz .LBB110_1428
; %bb.1409:
	s_cmp_lt_i32 s0, 2
	s_cbranch_scc1 .LBB110_1413
; %bb.1410:
	s_cmp_lt_i32 s0, 3
	s_cbranch_scc1 .LBB110_1414
; %bb.1411:
	s_cmp_gt_i32 s0, 3
	s_cbranch_scc0 .LBB110_1415
; %bb.1412:
	s_wait_loadcnt 0x0
	global_load_b64 v[6:7], v[4:5], off
	s_mov_b32 s39, 0
	s_wait_loadcnt 0x0
	v_cvt_f64_i32_e32 v[8:9], v7
	v_cvt_f64_u32_e32 v[6:7], v6
	s_delay_alu instid0(VALU_DEP_2) | instskip(NEXT) | instid1(VALU_DEP_1)
	v_ldexp_f64 v[8:9], v[8:9], 32
	v_add_f64_e32 v[6:7], v[8:9], v[6:7]
	s_branch .LBB110_1416
.LBB110_1413:
	s_mov_b32 s39, -1
                                        ; implicit-def: $vgpr6_vgpr7
	s_branch .LBB110_1422
.LBB110_1414:
	s_mov_b32 s39, -1
                                        ; implicit-def: $vgpr6_vgpr7
	s_branch .LBB110_1419
.LBB110_1415:
	s_mov_b32 s39, -1
                                        ; implicit-def: $vgpr6_vgpr7
.LBB110_1416:
	s_delay_alu instid0(SALU_CYCLE_1)
	s_and_not1_b32 vcc_lo, exec_lo, s39
	s_cbranch_vccnz .LBB110_1418
; %bb.1417:
	s_wait_loadcnt 0x0
	global_load_b32 v6, v[4:5], off
	s_wait_loadcnt 0x0
	v_cvt_f64_i32_e32 v[6:7], v6
.LBB110_1418:
	s_mov_b32 s39, 0
.LBB110_1419:
	s_delay_alu instid0(SALU_CYCLE_1)
	s_and_not1_b32 vcc_lo, exec_lo, s39
	s_cbranch_vccnz .LBB110_1421
; %bb.1420:
	s_wait_loadcnt 0x0
	global_load_i16 v6, v[4:5], off
	s_wait_loadcnt 0x0
	v_cvt_f64_i32_e32 v[6:7], v6
.LBB110_1421:
	s_mov_b32 s39, 0
.LBB110_1422:
	s_delay_alu instid0(SALU_CYCLE_1)
	s_and_not1_b32 vcc_lo, exec_lo, s39
	s_cbranch_vccnz .LBB110_1428
; %bb.1423:
	s_cmp_gt_i32 s0, 0
	s_mov_b32 s0, 0
	s_cbranch_scc0 .LBB110_1425
; %bb.1424:
	s_wait_loadcnt 0x0
	global_load_i8 v6, v[4:5], off
	s_wait_loadcnt 0x0
	v_cvt_f64_i32_e32 v[6:7], v6
	s_branch .LBB110_1426
.LBB110_1425:
	s_mov_b32 s0, -1
                                        ; implicit-def: $vgpr6_vgpr7
.LBB110_1426:
	s_delay_alu instid0(SALU_CYCLE_1)
	s_and_not1_b32 vcc_lo, exec_lo, s0
	s_cbranch_vccnz .LBB110_1428
; %bb.1427:
	global_load_u8 v4, v[4:5], off
	s_wait_loadcnt 0x0
	v_cvt_f64_u32_e32 v[6:7], v4
.LBB110_1428:
	s_mov_b32 s39, -1
.LBB110_1429:
	s_delay_alu instid0(SALU_CYCLE_1)
	s_and_not1_b32 vcc_lo, exec_lo, s39
	s_cbranch_vccnz .LBB110_1437
; %bb.1430:
	s_wait_loadcnt 0x0
	s_delay_alu instid0(VALU_DEP_4) | instskip(SKIP_1) | instid1(SALU_CYCLE_1)
	v_mul_f64_e32 v[0:1], s[18:19], v[0:1]
	s_and_b32 s39, s2, 0xff
	s_cmp_lt_i32 s39, 11
	s_delay_alu instid0(VALU_DEP_1) | instskip(NEXT) | instid1(VALU_DEP_1)
	v_mul_f64_e32 v[0:1], v[0:1], v[6:7]
	v_fmac_f64_e32 v[0:1], s[16:17], v[2:3]
	v_mul_lo_u32 v2, v26, s12
	s_delay_alu instid0(VALU_DEP_1) | instskip(SKIP_1) | instid1(VALU_DEP_1)
	v_ashrrev_i32_e32 v3, 31, v2
	s_wait_xcnt 0x0
	v_add_nc_u64_e32 v[4:5], s[4:5], v[2:3]
	s_cbranch_scc1 .LBB110_1438
; %bb.1431:
	s_and_b32 s40, 0xffff, s39
	s_delay_alu instid0(SALU_CYCLE_1)
	s_cmp_gt_i32 s40, 25
	s_cbranch_scc0 .LBB110_1439
; %bb.1432:
	s_cmp_gt_i32 s40, 28
	s_cbranch_scc0 .LBB110_1440
; %bb.1433:
	;; [unrolled: 3-line block ×4, first 2 shown]
	s_mov_b32 s42, 0
	s_mov_b32 s0, -1
	s_cmp_eq_u32 s40, 46
	s_mov_b32 s41, 0
	s_cbranch_scc0 .LBB110_1443
; %bb.1436:
	s_delay_alu instid0(VALU_DEP_4) | instskip(SKIP_2) | instid1(VALU_DEP_1)
	v_cvt_f32_f64_e32 v2, v[0:1]
	s_mov_b32 s41, -1
	s_mov_b32 s0, 0
	v_bfe_u32 v3, v2, 16, 1
	v_cmp_o_f32_e32 vcc_lo, v2, v2
	s_delay_alu instid0(VALU_DEP_2) | instskip(NEXT) | instid1(VALU_DEP_1)
	v_add3_u32 v3, v2, v3, 0x7fff
	v_lshrrev_b32_e32 v3, 16, v3
	s_delay_alu instid0(VALU_DEP_1)
	v_cndmask_b32_e32 v2, 0x7fc0, v3, vcc_lo
	global_store_b32 v[4:5], v2, off
	s_branch .LBB110_1443
.LBB110_1437:
	s_mov_b32 s40, 0
	s_mov_b32 s0, s30
	s_branch .LBB110_1554
.LBB110_1438:
	s_mov_b32 s40, -1
	s_mov_b32 s41, 0
	s_mov_b32 s0, s30
	s_branch .LBB110_1512
.LBB110_1439:
	s_mov_b32 s42, -1
	s_mov_b32 s41, 0
	s_mov_b32 s0, s30
	s_branch .LBB110_1470
.LBB110_1440:
	s_mov_b32 s42, -1
	s_mov_b32 s41, 0
	s_mov_b32 s0, s30
	s_branch .LBB110_1453
.LBB110_1441:
	s_mov_b32 s42, -1
	s_mov_b32 s41, 0
	s_mov_b32 s0, s30
	s_branch .LBB110_1449
.LBB110_1442:
	s_mov_b32 s42, -1
	s_mov_b32 s41, 0
	s_mov_b32 s0, s30
.LBB110_1443:
	s_and_b32 vcc_lo, exec_lo, s42
	s_cbranch_vccz .LBB110_1448
; %bb.1444:
	s_cmp_eq_u32 s40, 44
	s_mov_b32 s0, -1
	s_cbranch_scc0 .LBB110_1448
; %bb.1445:
	s_wait_xcnt 0x0
	s_delay_alu instid0(VALU_DEP_4) | instskip(SKIP_2) | instid1(VALU_DEP_2)
	v_cvt_f32_f64_e32 v2, v[0:1]
	v_mov_b32_e32 v3, 0xff
	s_mov_b32 s41, exec_lo
	v_bfe_u32 v6, v2, 23, 8
	s_delay_alu instid0(VALU_DEP_1)
	v_cmpx_ne_u32_e32 0xff, v6
	s_cbranch_execz .LBB110_1447
; %bb.1446:
	v_and_b32_e32 v3, 0x400000, v2
	v_and_or_b32 v6, 0x3fffff, v2, v6
	v_lshrrev_b32_e32 v2, 23, v2
	s_delay_alu instid0(VALU_DEP_3) | instskip(NEXT) | instid1(VALU_DEP_3)
	v_cmp_ne_u32_e32 vcc_lo, 0, v3
	v_cmp_ne_u32_e64 s0, 0, v6
	s_and_b32 s0, vcc_lo, s0
	s_delay_alu instid0(SALU_CYCLE_1) | instskip(NEXT) | instid1(VALU_DEP_1)
	v_cndmask_b32_e64 v3, 0, 1, s0
	v_add_nc_u32_e32 v3, v2, v3
.LBB110_1447:
	s_or_b32 exec_lo, exec_lo, s41
	s_mov_b32 s41, -1
	s_mov_b32 s0, 0
	global_store_b8 v[4:5], v3, off
.LBB110_1448:
	s_mov_b32 s42, 0
.LBB110_1449:
	s_delay_alu instid0(SALU_CYCLE_1)
	s_and_b32 vcc_lo, exec_lo, s42
	s_cbranch_vccz .LBB110_1452
; %bb.1450:
	s_cmp_eq_u32 s40, 29
	s_mov_b32 s0, -1
	s_cbranch_scc0 .LBB110_1452
; %bb.1451:
	s_wait_xcnt 0x0
	s_delay_alu instid0(VALU_DEP_4) | instskip(SKIP_3) | instid1(VALU_DEP_1)
	v_trunc_f64_e32 v[2:3], v[0:1]
	s_mov_b32 s41, -1
	s_mov_b32 s0, 0
	s_mov_b32 s42, 0
	v_ldexp_f64 v[6:7], v[2:3], 0xffffffe0
	s_delay_alu instid0(VALU_DEP_1) | instskip(NEXT) | instid1(VALU_DEP_1)
	v_floor_f64_e32 v[6:7], v[6:7]
	v_fmamk_f64 v[2:3], v[6:7], 0xc1f00000, v[2:3]
	v_cvt_u32_f64_e32 v7, v[6:7]
	s_delay_alu instid0(VALU_DEP_2)
	v_cvt_u32_f64_e32 v6, v[2:3]
	global_store_b64 v[4:5], v[6:7], off
	s_branch .LBB110_1453
.LBB110_1452:
	s_mov_b32 s42, 0
.LBB110_1453:
	s_delay_alu instid0(SALU_CYCLE_1)
	s_and_b32 vcc_lo, exec_lo, s42
	s_cbranch_vccz .LBB110_1469
; %bb.1454:
	s_cmp_lt_i32 s40, 27
	s_mov_b32 s41, -1
	s_cbranch_scc1 .LBB110_1460
; %bb.1455:
	s_wait_xcnt 0x0
	s_delay_alu instid0(VALU_DEP_4)
	v_cvt_u32_f64_e32 v2, v[0:1]
	s_cmp_gt_i32 s40, 27
	s_cbranch_scc0 .LBB110_1457
; %bb.1456:
	s_mov_b32 s41, 0
	global_store_b32 v[4:5], v2, off
.LBB110_1457:
	s_and_not1_b32 vcc_lo, exec_lo, s41
	s_cbranch_vccnz .LBB110_1459
; %bb.1458:
	global_store_b16 v[4:5], v2, off
.LBB110_1459:
	s_mov_b32 s41, 0
.LBB110_1460:
	s_delay_alu instid0(SALU_CYCLE_1)
	s_and_not1_b32 vcc_lo, exec_lo, s41
	s_cbranch_vccnz .LBB110_1468
; %bb.1461:
	s_wait_xcnt 0x0
	s_delay_alu instid0(VALU_DEP_4) | instskip(SKIP_2) | instid1(VALU_DEP_2)
	v_cvt_f32_f64_e32 v2, v[0:1]
	v_mov_b32_e32 v6, 0x80
	s_mov_b32 s41, exec_lo
	v_and_b32_e32 v3, 0x7fffffff, v2
	s_delay_alu instid0(VALU_DEP_1)
	v_cmpx_gt_u32_e32 0x43800000, v3
	s_cbranch_execz .LBB110_1467
; %bb.1462:
	v_cmp_lt_u32_e32 vcc_lo, 0x3bffffff, v3
	s_mov_b32 s42, 0
                                        ; implicit-def: $vgpr3
	s_and_saveexec_b32 s43, vcc_lo
	s_delay_alu instid0(SALU_CYCLE_1)
	s_xor_b32 s43, exec_lo, s43
	s_cbranch_execz .LBB110_2724
; %bb.1463:
	v_bfe_u32 v3, v2, 20, 1
	s_mov_b32 s42, exec_lo
	s_delay_alu instid0(VALU_DEP_1) | instskip(NEXT) | instid1(VALU_DEP_1)
	v_add3_u32 v3, v2, v3, 0x487ffff
	v_lshrrev_b32_e32 v3, 20, v3
	s_and_not1_saveexec_b32 s43, s43
	s_cbranch_execnz .LBB110_2725
.LBB110_1464:
	s_or_b32 exec_lo, exec_lo, s43
	v_mov_b32_e32 v6, 0
	s_and_saveexec_b32 s43, s42
.LBB110_1465:
	v_lshrrev_b32_e32 v2, 24, v2
	s_delay_alu instid0(VALU_DEP_1)
	v_and_or_b32 v6, 0x80, v2, v3
.LBB110_1466:
	s_or_b32 exec_lo, exec_lo, s43
.LBB110_1467:
	s_delay_alu instid0(SALU_CYCLE_1)
	s_or_b32 exec_lo, exec_lo, s41
	global_store_b8 v[4:5], v6, off
.LBB110_1468:
	s_mov_b32 s41, -1
.LBB110_1469:
	s_mov_b32 s42, 0
.LBB110_1470:
	s_delay_alu instid0(SALU_CYCLE_1)
	s_and_b32 vcc_lo, exec_lo, s42
	s_cbranch_vccz .LBB110_1511
; %bb.1471:
	s_cmp_gt_i32 s40, 22
	s_mov_b32 s42, -1
	s_cbranch_scc0 .LBB110_1503
; %bb.1472:
	s_cmp_lt_i32 s40, 24
	s_mov_b32 s41, -1
	s_cbranch_scc1 .LBB110_1492
; %bb.1473:
	s_cmp_gt_i32 s40, 24
	s_cbranch_scc0 .LBB110_1481
; %bb.1474:
	s_wait_xcnt 0x0
	s_delay_alu instid0(VALU_DEP_4) | instskip(SKIP_2) | instid1(VALU_DEP_2)
	v_cvt_f32_f64_e32 v2, v[0:1]
	v_mov_b32_e32 v6, 0x80
	s_mov_b32 s41, exec_lo
	v_and_b32_e32 v3, 0x7fffffff, v2
	s_delay_alu instid0(VALU_DEP_1)
	v_cmpx_gt_u32_e32 0x47800000, v3
	s_cbranch_execz .LBB110_1480
; %bb.1475:
	v_cmp_lt_u32_e32 vcc_lo, 0x37ffffff, v3
	s_mov_b32 s42, 0
                                        ; implicit-def: $vgpr3
	s_and_saveexec_b32 s43, vcc_lo
	s_delay_alu instid0(SALU_CYCLE_1)
	s_xor_b32 s43, exec_lo, s43
	s_cbranch_execz .LBB110_2857
; %bb.1476:
	v_bfe_u32 v3, v2, 21, 1
	s_mov_b32 s42, exec_lo
	s_delay_alu instid0(VALU_DEP_1) | instskip(NEXT) | instid1(VALU_DEP_1)
	v_add3_u32 v3, v2, v3, 0x88fffff
	v_lshrrev_b32_e32 v3, 21, v3
	s_and_not1_saveexec_b32 s43, s43
	s_cbranch_execnz .LBB110_2858
.LBB110_1477:
	s_or_b32 exec_lo, exec_lo, s43
	v_mov_b32_e32 v6, 0
	s_and_saveexec_b32 s43, s42
.LBB110_1478:
	v_lshrrev_b32_e32 v2, 24, v2
	s_delay_alu instid0(VALU_DEP_1)
	v_and_or_b32 v6, 0x80, v2, v3
.LBB110_1479:
	s_or_b32 exec_lo, exec_lo, s43
.LBB110_1480:
	s_delay_alu instid0(SALU_CYCLE_1)
	s_or_b32 exec_lo, exec_lo, s41
	s_mov_b32 s41, 0
	global_store_b8 v[4:5], v6, off
.LBB110_1481:
	s_and_b32 vcc_lo, exec_lo, s41
	s_cbranch_vccz .LBB110_1491
; %bb.1482:
	s_wait_xcnt 0x0
	s_delay_alu instid0(VALU_DEP_4) | instskip(SKIP_1) | instid1(VALU_DEP_1)
	v_cvt_f32_f64_e32 v2, v[0:1]
	s_mov_b32 s41, exec_lo
                                        ; implicit-def: $vgpr3
	v_and_b32_e32 v6, 0x7fffffff, v2
	s_delay_alu instid0(VALU_DEP_1)
	v_cmpx_gt_u32_e32 0x43f00000, v6
	s_xor_b32 s41, exec_lo, s41
	s_cbranch_execz .LBB110_1488
; %bb.1483:
	s_mov_b32 s42, exec_lo
                                        ; implicit-def: $vgpr3
	v_cmpx_lt_u32_e32 0x3c7fffff, v6
	s_xor_b32 s42, exec_lo, s42
; %bb.1484:
	v_bfe_u32 v3, v2, 20, 1
	s_delay_alu instid0(VALU_DEP_1) | instskip(NEXT) | instid1(VALU_DEP_1)
	v_add3_u32 v3, v2, v3, 0x407ffff
	v_and_b32_e32 v6, 0xff00000, v3
	v_lshrrev_b32_e32 v3, 20, v3
	s_delay_alu instid0(VALU_DEP_2) | instskip(NEXT) | instid1(VALU_DEP_2)
	v_cmp_ne_u32_e32 vcc_lo, 0x7f00000, v6
	v_cndmask_b32_e32 v3, 0x7e, v3, vcc_lo
; %bb.1485:
	s_and_not1_saveexec_b32 s42, s42
; %bb.1486:
	v_add_f32_e64 v3, 0x46800000, |v2|
; %bb.1487:
	s_or_b32 exec_lo, exec_lo, s42
                                        ; implicit-def: $vgpr6
.LBB110_1488:
	s_and_not1_saveexec_b32 s41, s41
; %bb.1489:
	v_mov_b32_e32 v3, 0x7f
	v_cmp_lt_u32_e32 vcc_lo, 0x7f800000, v6
	s_delay_alu instid0(VALU_DEP_2)
	v_cndmask_b32_e32 v3, 0x7e, v3, vcc_lo
; %bb.1490:
	s_or_b32 exec_lo, exec_lo, s41
	v_lshrrev_b32_e32 v2, 24, v2
	s_delay_alu instid0(VALU_DEP_1)
	v_and_or_b32 v2, 0x80, v2, v3
	global_store_b8 v[4:5], v2, off
.LBB110_1491:
	s_mov_b32 s41, 0
.LBB110_1492:
	s_delay_alu instid0(SALU_CYCLE_1)
	s_and_not1_b32 vcc_lo, exec_lo, s41
	s_cbranch_vccnz .LBB110_1502
; %bb.1493:
	s_wait_xcnt 0x0
	s_delay_alu instid0(VALU_DEP_4) | instskip(SKIP_1) | instid1(VALU_DEP_1)
	v_cvt_f32_f64_e32 v2, v[0:1]
	s_mov_b32 s41, exec_lo
                                        ; implicit-def: $vgpr3
	v_and_b32_e32 v6, 0x7fffffff, v2
	s_delay_alu instid0(VALU_DEP_1)
	v_cmpx_gt_u32_e32 0x47800000, v6
	s_xor_b32 s41, exec_lo, s41
	s_cbranch_execz .LBB110_1499
; %bb.1494:
	s_mov_b32 s42, exec_lo
                                        ; implicit-def: $vgpr3
	v_cmpx_lt_u32_e32 0x387fffff, v6
	s_xor_b32 s42, exec_lo, s42
; %bb.1495:
	v_bfe_u32 v3, v2, 21, 1
	s_delay_alu instid0(VALU_DEP_1) | instskip(NEXT) | instid1(VALU_DEP_1)
	v_add3_u32 v3, v2, v3, 0x80fffff
	v_lshrrev_b32_e32 v3, 21, v3
; %bb.1496:
	s_and_not1_saveexec_b32 s42, s42
; %bb.1497:
	v_add_f32_e64 v3, 0x43000000, |v2|
; %bb.1498:
	s_or_b32 exec_lo, exec_lo, s42
                                        ; implicit-def: $vgpr6
.LBB110_1499:
	s_and_not1_saveexec_b32 s41, s41
; %bb.1500:
	v_mov_b32_e32 v3, 0x7f
	v_cmp_lt_u32_e32 vcc_lo, 0x7f800000, v6
	s_delay_alu instid0(VALU_DEP_2)
	v_cndmask_b32_e32 v3, 0x7c, v3, vcc_lo
; %bb.1501:
	s_or_b32 exec_lo, exec_lo, s41
	v_lshrrev_b32_e32 v2, 24, v2
	s_delay_alu instid0(VALU_DEP_1)
	v_and_or_b32 v2, 0x80, v2, v3
	global_store_b8 v[4:5], v2, off
.LBB110_1502:
	s_mov_b32 s42, 0
	s_mov_b32 s41, -1
.LBB110_1503:
	s_and_not1_b32 vcc_lo, exec_lo, s42
	s_cbranch_vccnz .LBB110_1511
; %bb.1504:
	s_cmp_gt_i32 s40, 14
	s_mov_b32 s42, -1
	s_cbranch_scc0 .LBB110_1508
; %bb.1505:
	s_cmp_eq_u32 s40, 15
	s_mov_b32 s0, -1
	s_cbranch_scc0 .LBB110_1507
; %bb.1506:
	s_wait_xcnt 0x0
	s_delay_alu instid0(VALU_DEP_4) | instskip(SKIP_2) | instid1(VALU_DEP_1)
	v_cvt_f32_f64_e32 v2, v[0:1]
	s_mov_b32 s41, -1
	s_mov_b32 s0, 0
	v_bfe_u32 v3, v2, 16, 1
	v_cmp_o_f32_e32 vcc_lo, v2, v2
	s_delay_alu instid0(VALU_DEP_2) | instskip(NEXT) | instid1(VALU_DEP_1)
	v_add3_u32 v3, v2, v3, 0x7fff
	v_lshrrev_b32_e32 v3, 16, v3
	s_delay_alu instid0(VALU_DEP_1)
	v_cndmask_b32_e32 v2, 0x7fc0, v3, vcc_lo
	global_store_b16 v[4:5], v2, off
.LBB110_1507:
	s_mov_b32 s42, 0
.LBB110_1508:
	s_delay_alu instid0(SALU_CYCLE_1)
	s_and_b32 vcc_lo, exec_lo, s42
	s_cbranch_vccz .LBB110_1511
; %bb.1509:
	s_cmp_eq_u32 s40, 11
	s_mov_b32 s0, -1
	s_cbranch_scc0 .LBB110_1511
; %bb.1510:
	s_delay_alu instid0(VALU_DEP_4)
	v_cmp_neq_f64_e32 vcc_lo, 0, v[0:1]
	s_mov_b32 s41, -1
	s_mov_b32 s0, 0
	s_wait_xcnt 0x0
	v_cndmask_b32_e64 v2, 0, 1, vcc_lo
	global_store_b8 v[4:5], v2, off
.LBB110_1511:
	s_mov_b32 s40, 0
.LBB110_1512:
	s_delay_alu instid0(SALU_CYCLE_1)
	s_and_b32 vcc_lo, exec_lo, s40
	s_cbranch_vccz .LBB110_1551
; %bb.1513:
	s_and_b32 s39, 0xffff, s39
	s_mov_b32 s40, -1
	s_cmp_lt_i32 s39, 5
	s_cbranch_scc1 .LBB110_1534
; %bb.1514:
	s_cmp_lt_i32 s39, 8
	s_cbranch_scc1 .LBB110_1524
; %bb.1515:
	;; [unrolled: 3-line block ×3, first 2 shown]
	s_cmp_gt_i32 s39, 9
	s_cbranch_scc0 .LBB110_1518
; %bb.1517:
	s_wait_xcnt 0x0
	v_mov_b32_e32 v2, 0
	s_mov_b32 s40, 0
	s_delay_alu instid0(VALU_DEP_1)
	v_mov_b32_e32 v3, v2
	global_store_b128 v[4:5], v[0:3], off
.LBB110_1518:
	s_and_not1_b32 vcc_lo, exec_lo, s40
	s_cbranch_vccnz .LBB110_1520
; %bb.1519:
	s_wait_xcnt 0x0
	s_delay_alu instid0(VALU_DEP_4)
	v_cvt_f32_f64_e32 v2, v[0:1]
	v_mov_b32_e32 v3, 0
	global_store_b64 v[4:5], v[2:3], off
.LBB110_1520:
	s_mov_b32 s40, 0
.LBB110_1521:
	s_delay_alu instid0(SALU_CYCLE_1)
	s_and_not1_b32 vcc_lo, exec_lo, s40
	s_cbranch_vccnz .LBB110_1523
; %bb.1522:
	s_wait_xcnt 0x0
	s_delay_alu instid0(VALU_DEP_4) | instskip(SKIP_2) | instid1(VALU_DEP_3)
	v_and_or_b32 v2, 0x1ff, v1, v0
	v_lshrrev_b32_e32 v3, 8, v1
	v_bfe_u32 v6, v1, 20, 11
	v_cmp_ne_u32_e32 vcc_lo, 0, v2
	s_delay_alu instid0(VALU_DEP_2) | instskip(SKIP_1) | instid1(VALU_DEP_1)
	v_sub_nc_u32_e32 v7, 0x3f1, v6
	v_cndmask_b32_e64 v2, 0, 1, vcc_lo
	v_and_or_b32 v2, 0xffe, v3, v2
	s_delay_alu instid0(VALU_DEP_3) | instskip(NEXT) | instid1(VALU_DEP_2)
	v_med3_i32 v3, v7, 0, 13
	v_or_b32_e32 v7, 0x1000, v2
	s_delay_alu instid0(VALU_DEP_1) | instskip(NEXT) | instid1(VALU_DEP_1)
	v_lshrrev_b32_e32 v8, v3, v7
	v_lshlrev_b32_e32 v3, v3, v8
	s_delay_alu instid0(VALU_DEP_1) | instskip(SKIP_1) | instid1(VALU_DEP_1)
	v_cmp_ne_u32_e32 vcc_lo, v3, v7
	v_cndmask_b32_e64 v3, 0, 1, vcc_lo
	v_or_b32_e32 v3, v8, v3
	v_add_nc_u32_e32 v6, 0xfffffc10, v6
	s_delay_alu instid0(VALU_DEP_1) | instskip(SKIP_1) | instid1(VALU_DEP_2)
	v_lshl_or_b32 v7, v6, 12, v2
	v_cmp_gt_i32_e32 vcc_lo, 1, v6
	v_cndmask_b32_e32 v3, v7, v3, vcc_lo
	s_delay_alu instid0(VALU_DEP_1) | instskip(NEXT) | instid1(VALU_DEP_1)
	v_dual_lshrrev_b32 v3, 2, v3 :: v_dual_bitop2_b32 v7, 7, v3 bitop3:0x40
	v_cmp_lt_i32_e32 vcc_lo, 5, v7
	v_cndmask_b32_e64 v8, 0, 1, vcc_lo
	v_cmp_eq_u32_e32 vcc_lo, 3, v7
	v_cndmask_b32_e64 v7, 0, 1, vcc_lo
	v_cmp_ne_u32_e32 vcc_lo, 0, v2
	s_delay_alu instid0(VALU_DEP_2) | instskip(NEXT) | instid1(VALU_DEP_1)
	v_or_b32_e32 v7, v7, v8
	v_dual_mov_b32 v8, 0x7e00 :: v_dual_add_nc_u32 v3, v3, v7
	s_delay_alu instid0(VALU_DEP_1) | instskip(SKIP_2) | instid1(VALU_DEP_4)
	v_cndmask_b32_e32 v2, 0x7c00, v8, vcc_lo
	v_cmp_gt_i32_e32 vcc_lo, 31, v6
	v_lshrrev_b32_e32 v7, 16, v1
	v_cndmask_b32_e32 v3, 0x7c00, v3, vcc_lo
	v_cmp_eq_u32_e32 vcc_lo, 0x40f, v6
	s_delay_alu instid0(VALU_DEP_2) | instskip(NEXT) | instid1(VALU_DEP_4)
	v_cndmask_b32_e32 v2, v3, v2, vcc_lo
	v_and_b32_e32 v3, 0x8000, v7
	s_delay_alu instid0(VALU_DEP_1)
	v_bitop3_b32 v2, v3, 0xffff, v2 bitop3:0xc8
	global_store_b32 v[4:5], v2, off
.LBB110_1523:
	s_mov_b32 s40, 0
.LBB110_1524:
	s_delay_alu instid0(SALU_CYCLE_1)
	s_and_not1_b32 vcc_lo, exec_lo, s40
	s_cbranch_vccnz .LBB110_1533
; %bb.1525:
	s_cmp_lt_i32 s39, 6
	s_mov_b32 s40, -1
	s_cbranch_scc1 .LBB110_1531
; %bb.1526:
	s_cmp_gt_i32 s39, 6
	s_cbranch_scc0 .LBB110_1528
; %bb.1527:
	s_mov_b32 s40, 0
	global_store_b64 v[4:5], v[0:1], off
.LBB110_1528:
	s_and_not1_b32 vcc_lo, exec_lo, s40
	s_cbranch_vccnz .LBB110_1530
; %bb.1529:
	s_wait_xcnt 0x0
	s_delay_alu instid0(VALU_DEP_4)
	v_cvt_f32_f64_e32 v2, v[0:1]
	global_store_b32 v[4:5], v2, off
.LBB110_1530:
	s_mov_b32 s40, 0
.LBB110_1531:
	s_delay_alu instid0(SALU_CYCLE_1)
	s_and_not1_b32 vcc_lo, exec_lo, s40
	s_cbranch_vccnz .LBB110_1533
; %bb.1532:
	s_wait_xcnt 0x0
	s_delay_alu instid0(VALU_DEP_4) | instskip(SKIP_2) | instid1(VALU_DEP_3)
	v_and_or_b32 v2, 0x1ff, v1, v0
	v_lshrrev_b32_e32 v3, 8, v1
	v_bfe_u32 v6, v1, 20, 11
	v_cmp_ne_u32_e32 vcc_lo, 0, v2
	s_delay_alu instid0(VALU_DEP_2) | instskip(SKIP_1) | instid1(VALU_DEP_1)
	v_sub_nc_u32_e32 v7, 0x3f1, v6
	v_cndmask_b32_e64 v2, 0, 1, vcc_lo
	v_and_or_b32 v2, 0xffe, v3, v2
	s_delay_alu instid0(VALU_DEP_3) | instskip(NEXT) | instid1(VALU_DEP_2)
	v_med3_i32 v3, v7, 0, 13
	v_or_b32_e32 v7, 0x1000, v2
	s_delay_alu instid0(VALU_DEP_1) | instskip(NEXT) | instid1(VALU_DEP_1)
	v_lshrrev_b32_e32 v8, v3, v7
	v_lshlrev_b32_e32 v3, v3, v8
	s_delay_alu instid0(VALU_DEP_1) | instskip(SKIP_1) | instid1(VALU_DEP_1)
	v_cmp_ne_u32_e32 vcc_lo, v3, v7
	v_cndmask_b32_e64 v3, 0, 1, vcc_lo
	v_or_b32_e32 v3, v8, v3
	v_add_nc_u32_e32 v6, 0xfffffc10, v6
	s_delay_alu instid0(VALU_DEP_1) | instskip(SKIP_1) | instid1(VALU_DEP_2)
	v_lshl_or_b32 v7, v6, 12, v2
	v_cmp_gt_i32_e32 vcc_lo, 1, v6
	v_cndmask_b32_e32 v3, v7, v3, vcc_lo
	s_delay_alu instid0(VALU_DEP_1) | instskip(NEXT) | instid1(VALU_DEP_1)
	v_dual_lshrrev_b32 v3, 2, v3 :: v_dual_bitop2_b32 v7, 7, v3 bitop3:0x40
	v_cmp_lt_i32_e32 vcc_lo, 5, v7
	v_cndmask_b32_e64 v8, 0, 1, vcc_lo
	v_cmp_eq_u32_e32 vcc_lo, 3, v7
	v_cndmask_b32_e64 v7, 0, 1, vcc_lo
	v_cmp_ne_u32_e32 vcc_lo, 0, v2
	s_delay_alu instid0(VALU_DEP_2) | instskip(NEXT) | instid1(VALU_DEP_1)
	v_or_b32_e32 v7, v7, v8
	v_dual_mov_b32 v8, 0x7e00 :: v_dual_add_nc_u32 v3, v3, v7
	s_delay_alu instid0(VALU_DEP_1) | instskip(SKIP_1) | instid1(VALU_DEP_3)
	v_cndmask_b32_e32 v2, 0x7c00, v8, vcc_lo
	v_cmp_gt_i32_e32 vcc_lo, 31, v6
	v_cndmask_b32_e32 v3, 0x7c00, v3, vcc_lo
	v_cmp_eq_u32_e32 vcc_lo, 0x40f, v6
	s_delay_alu instid0(VALU_DEP_2) | instskip(NEXT) | instid1(VALU_DEP_1)
	v_dual_cndmask_b32 v2, v3, v2 :: v_dual_lshrrev_b32 v3, 16, v1
	v_and_or_b32 v2, 0x8000, v3, v2
	global_store_b16 v[4:5], v2, off
.LBB110_1533:
	s_mov_b32 s40, 0
.LBB110_1534:
	s_delay_alu instid0(SALU_CYCLE_1)
	s_and_not1_b32 vcc_lo, exec_lo, s40
	s_cbranch_vccnz .LBB110_1550
; %bb.1535:
	s_cmp_lt_i32 s39, 2
	s_mov_b32 s40, -1
	s_cbranch_scc1 .LBB110_1545
; %bb.1536:
	s_cmp_lt_i32 s39, 3
	s_cbranch_scc1 .LBB110_1542
; %bb.1537:
	s_cmp_gt_i32 s39, 3
	s_cbranch_scc0 .LBB110_1539
; %bb.1538:
	s_wait_xcnt 0x0
	s_delay_alu instid0(VALU_DEP_4) | instskip(SKIP_1) | instid1(VALU_DEP_1)
	v_trunc_f64_e32 v[2:3], v[0:1]
	s_mov_b32 s40, 0
	v_ldexp_f64 v[6:7], v[2:3], 0xffffffe0
	s_delay_alu instid0(VALU_DEP_1) | instskip(NEXT) | instid1(VALU_DEP_1)
	v_floor_f64_e32 v[6:7], v[6:7]
	v_fmamk_f64 v[2:3], v[6:7], 0xc1f00000, v[2:3]
	v_cvt_i32_f64_e32 v7, v[6:7]
	s_delay_alu instid0(VALU_DEP_2)
	v_cvt_u32_f64_e32 v6, v[2:3]
	global_store_b64 v[4:5], v[6:7], off
.LBB110_1539:
	s_and_not1_b32 vcc_lo, exec_lo, s40
	s_cbranch_vccnz .LBB110_1541
; %bb.1540:
	s_wait_xcnt 0x0
	s_delay_alu instid0(VALU_DEP_4)
	v_cvt_i32_f64_e32 v2, v[0:1]
	global_store_b32 v[4:5], v2, off
.LBB110_1541:
	s_mov_b32 s40, 0
.LBB110_1542:
	s_delay_alu instid0(SALU_CYCLE_1)
	s_and_not1_b32 vcc_lo, exec_lo, s40
	s_cbranch_vccnz .LBB110_1544
; %bb.1543:
	s_wait_xcnt 0x0
	s_delay_alu instid0(VALU_DEP_4)
	v_cvt_i32_f64_e32 v2, v[0:1]
	global_store_b16 v[4:5], v2, off
.LBB110_1544:
	s_mov_b32 s40, 0
.LBB110_1545:
	s_delay_alu instid0(SALU_CYCLE_1)
	s_and_not1_b32 vcc_lo, exec_lo, s40
	s_cbranch_vccnz .LBB110_1550
; %bb.1546:
	s_cmp_gt_i32 s39, 0
	s_mov_b32 s39, -1
	s_cbranch_scc0 .LBB110_1548
; %bb.1547:
	s_wait_xcnt 0x0
	s_delay_alu instid0(VALU_DEP_4)
	v_cvt_i32_f64_e32 v2, v[0:1]
	s_mov_b32 s39, 0
	global_store_b8 v[4:5], v2, off
.LBB110_1548:
	s_and_not1_b32 vcc_lo, exec_lo, s39
	s_cbranch_vccnz .LBB110_1550
; %bb.1549:
	s_wait_xcnt 0x0
	s_delay_alu instid0(VALU_DEP_4) | instskip(NEXT) | instid1(VALU_DEP_1)
	v_trunc_f64_e32 v[0:1], v[0:1]
	v_ldexp_f64 v[2:3], v[0:1], 0xffffffe0
	s_delay_alu instid0(VALU_DEP_1) | instskip(NEXT) | instid1(VALU_DEP_1)
	v_floor_f64_e32 v[2:3], v[2:3]
	v_fmamk_f64 v[0:1], v[2:3], 0xc1f00000, v[0:1]
	s_delay_alu instid0(VALU_DEP_1)
	v_cvt_u32_f64_e32 v0, v[0:1]
	global_store_b8 v[4:5], v0, off
.LBB110_1550:
	s_mov_b32 s41, -1
.LBB110_1551:
	s_delay_alu instid0(SALU_CYCLE_1)
	s_and_not1_b32 vcc_lo, exec_lo, s41
	s_cbranch_vccnz .LBB110_1553
; %bb.1552:
	v_add_nc_u32_e32 v26, 0x80, v26
	s_mov_b32 s40, -1
	s_branch .LBB110_1555
.LBB110_1553:
	s_mov_b32 s40, 0
.LBB110_1554:
                                        ; implicit-def: $vgpr26
.LBB110_1555:
	s_and_not1_b32 s39, s30, exec_lo
	s_and_b32 s0, s0, exec_lo
	s_and_not1_b32 s41, s31, exec_lo
	s_and_b32 s38, s38, exec_lo
	s_or_b32 s39, s39, s0
	s_or_b32 s38, s41, s38
	s_and_not1_b32 s0, s33, exec_lo
	s_and_b32 s37, s37, exec_lo
	s_and_not1_b32 s41, s29, exec_lo
	s_and_b32 s36, s36, exec_lo
	s_or_b32 s37, s0, s37
	s_or_b32 s36, s41, s36
	s_or_not1_b32 s43, s40, exec_lo
.LBB110_1556:
	s_wait_xcnt 0x0
	s_or_b32 exec_lo, exec_lo, s35
	s_mov_b32 s40, 0
	s_mov_b32 s41, 0
	;; [unrolled: 1-line block ×3, first 2 shown]
                                        ; implicit-def: $sgpr0
                                        ; implicit-def: $vgpr0_vgpr1
                                        ; implicit-def: $vgpr2_vgpr3
	s_and_saveexec_b32 s35, s43
	s_cbranch_execz .LBB110_1637
; %bb.1557:
	v_cmp_gt_i32_e32 vcc_lo, s24, v26
	s_mov_b32 s44, s36
	s_mov_b32 s43, 0
	;; [unrolled: 1-line block ×3, first 2 shown]
                                        ; implicit-def: $sgpr0
                                        ; implicit-def: $vgpr0_vgpr1
                                        ; implicit-def: $vgpr2_vgpr3
	s_and_saveexec_b32 s24, vcc_lo
	s_cbranch_execz .LBB110_1636
; %bb.1558:
	s_wait_loadcnt 0x0
	v_mul_lo_u32 v0, v26, s13
	s_and_b32 s0, s21, 0xff
	s_delay_alu instid0(SALU_CYCLE_1) | instskip(NEXT) | instid1(VALU_DEP_1)
	s_cmp_lt_i32 s0, 11
	v_ashrrev_i32_e32 v1, 31, v0
	s_delay_alu instid0(VALU_DEP_1)
	v_add_nc_u64_e32 v[0:1], s[6:7], v[0:1]
	s_cbranch_scc1 .LBB110_1565
; %bb.1559:
	s_and_b32 s40, 0xffff, s0
	s_delay_alu instid0(SALU_CYCLE_1)
	s_cmp_gt_i32 s40, 25
	s_cbranch_scc0 .LBB110_1566
; %bb.1560:
	s_cmp_gt_i32 s40, 28
	s_cbranch_scc0 .LBB110_1567
; %bb.1561:
	;; [unrolled: 3-line block ×4, first 2 shown]
	s_cmp_eq_u32 s40, 46
	s_mov_b32 s44, 0
	s_cbranch_scc0 .LBB110_1570
; %bb.1564:
	global_load_b32 v2, v[0:1], off
	s_mov_b32 s43, -1
	s_wait_loadcnt 0x0
	v_lshlrev_b32_e32 v2, 16, v2
	s_delay_alu instid0(VALU_DEP_1)
	v_cvt_f64_f32_e32 v[2:3], v2
	s_branch .LBB110_1572
.LBB110_1565:
	s_mov_b32 s40, -1
	s_mov_b32 s41, s36
                                        ; implicit-def: $vgpr2_vgpr3
	s_branch .LBB110_1635
.LBB110_1566:
	s_mov_b32 s44, -1
	s_mov_b32 s41, s36
                                        ; implicit-def: $vgpr2_vgpr3
	s_branch .LBB110_1601
.LBB110_1567:
	s_mov_b32 s44, -1
	s_mov_b32 s41, s36
                                        ; implicit-def: $vgpr2_vgpr3
	s_branch .LBB110_1582
.LBB110_1568:
	s_mov_b32 s44, -1
	s_mov_b32 s41, s36
                                        ; implicit-def: $vgpr2_vgpr3
	s_branch .LBB110_1577
.LBB110_1569:
	s_mov_b32 s44, -1
	s_mov_b32 s41, s36
	s_branch .LBB110_1571
.LBB110_1570:
	s_mov_b32 s41, -1
.LBB110_1571:
                                        ; implicit-def: $vgpr2_vgpr3
.LBB110_1572:
	s_and_b32 vcc_lo, exec_lo, s44
	s_cbranch_vccz .LBB110_1576
; %bb.1573:
	s_cmp_eq_u32 s40, 44
	s_cbranch_scc0 .LBB110_1575
; %bb.1574:
	global_load_u8 v4, v[0:1], off
	s_mov_b32 s41, 0
	s_mov_b32 s43, -1
	s_wait_loadcnt 0x0
	v_cmp_ne_u32_e32 vcc_lo, 0xff, v4
	v_lshlrev_b32_e32 v2, 23, v4
	s_delay_alu instid0(VALU_DEP_1) | instskip(NEXT) | instid1(VALU_DEP_1)
	v_cvt_f64_f32_e32 v[2:3], v2
	v_cndmask_b32_e32 v2, 0x20000000, v2, vcc_lo
	s_delay_alu instid0(VALU_DEP_2) | instskip(SKIP_1) | instid1(VALU_DEP_2)
	v_cndmask_b32_e32 v3, 0x7ff80000, v3, vcc_lo
	v_cmp_ne_u32_e32 vcc_lo, 0, v4
	v_cndmask_b32_e32 v3, 0x38000000, v3, vcc_lo
	s_delay_alu instid0(VALU_DEP_4)
	v_cndmask_b32_e32 v2, 0, v2, vcc_lo
	s_branch .LBB110_1576
.LBB110_1575:
	s_mov_b32 s41, -1
                                        ; implicit-def: $vgpr2_vgpr3
.LBB110_1576:
	s_mov_b32 s44, 0
.LBB110_1577:
	s_delay_alu instid0(SALU_CYCLE_1)
	s_and_b32 vcc_lo, exec_lo, s44
	s_cbranch_vccz .LBB110_1581
; %bb.1578:
	s_cmp_eq_u32 s40, 29
	s_cbranch_scc0 .LBB110_1580
; %bb.1579:
	global_load_b64 v[2:3], v[0:1], off
	s_mov_b32 s41, 0
	s_mov_b32 s43, -1
	s_mov_b32 s44, 0
	s_wait_loadcnt 0x0
	v_cvt_f64_u32_e32 v[4:5], v3
	v_cvt_f64_u32_e32 v[2:3], v2
	s_delay_alu instid0(VALU_DEP_2) | instskip(NEXT) | instid1(VALU_DEP_1)
	v_ldexp_f64 v[4:5], v[4:5], 32
	v_add_f64_e32 v[2:3], v[4:5], v[2:3]
	s_branch .LBB110_1582
.LBB110_1580:
	s_mov_b32 s41, -1
                                        ; implicit-def: $vgpr2_vgpr3
.LBB110_1581:
	s_mov_b32 s44, 0
.LBB110_1582:
	s_delay_alu instid0(SALU_CYCLE_1)
	s_and_b32 vcc_lo, exec_lo, s44
	s_cbranch_vccz .LBB110_1600
; %bb.1583:
	s_cmp_lt_i32 s40, 27
	s_cbranch_scc1 .LBB110_1586
; %bb.1584:
	s_cmp_gt_i32 s40, 27
	s_cbranch_scc0 .LBB110_1587
; %bb.1585:
	global_load_b32 v2, v[0:1], off
	s_mov_b32 s43, 0
	s_wait_loadcnt 0x0
	v_cvt_f64_u32_e32 v[2:3], v2
	s_branch .LBB110_1588
.LBB110_1586:
	s_mov_b32 s43, -1
                                        ; implicit-def: $vgpr2_vgpr3
	s_branch .LBB110_1591
.LBB110_1587:
	s_mov_b32 s43, -1
                                        ; implicit-def: $vgpr2_vgpr3
.LBB110_1588:
	s_delay_alu instid0(SALU_CYCLE_1)
	s_and_not1_b32 vcc_lo, exec_lo, s43
	s_cbranch_vccnz .LBB110_1590
; %bb.1589:
	global_load_u16 v2, v[0:1], off
	s_wait_loadcnt 0x0
	v_cvt_f64_u32_e32 v[2:3], v2
.LBB110_1590:
	s_mov_b32 s43, 0
.LBB110_1591:
	s_delay_alu instid0(SALU_CYCLE_1)
	s_and_not1_b32 vcc_lo, exec_lo, s43
	s_cbranch_vccnz .LBB110_1599
; %bb.1592:
	global_load_u8 v4, v[0:1], off
	s_mov_b32 s43, 0
	s_mov_b32 s44, exec_lo
	s_wait_loadcnt 0x0
	v_cmpx_lt_i16_e32 0x7f, v4
	s_xor_b32 s44, exec_lo, s44
	s_cbranch_execz .LBB110_1613
; %bb.1593:
	s_mov_b32 s43, -1
	s_mov_b32 s45, exec_lo
	v_cmpx_eq_u16_e32 0x80, v4
; %bb.1594:
	s_xor_b32 s43, exec_lo, -1
; %bb.1595:
	s_or_b32 exec_lo, exec_lo, s45
	s_delay_alu instid0(SALU_CYCLE_1)
	s_and_b32 s43, s43, exec_lo
	s_or_saveexec_b32 s44, s44
	v_mov_b64_e32 v[2:3], 0x7ff8000020000000
	s_xor_b32 exec_lo, exec_lo, s44
	s_cbranch_execnz .LBB110_1614
.LBB110_1596:
	s_or_b32 exec_lo, exec_lo, s44
	s_and_saveexec_b32 s44, s43
	s_cbranch_execz .LBB110_1598
.LBB110_1597:
	v_and_b32_e32 v2, 0xffff, v4
	s_delay_alu instid0(VALU_DEP_1) | instskip(SKIP_1) | instid1(VALU_DEP_2)
	v_and_b32_e32 v3, 7, v2
	v_bfe_u32 v7, v2, 3, 4
	v_clz_i32_u32_e32 v5, v3
	s_delay_alu instid0(VALU_DEP_2) | instskip(NEXT) | instid1(VALU_DEP_2)
	v_cmp_eq_u32_e32 vcc_lo, 0, v7
	v_min_u32_e32 v5, 32, v5
	s_delay_alu instid0(VALU_DEP_1) | instskip(NEXT) | instid1(VALU_DEP_1)
	v_subrev_nc_u32_e32 v6, 28, v5
	v_dual_lshlrev_b32 v2, v6, v2 :: v_dual_sub_nc_u32 v5, 29, v5
	s_delay_alu instid0(VALU_DEP_1) | instskip(NEXT) | instid1(VALU_DEP_2)
	v_dual_lshlrev_b32 v4, 24, v4 :: v_dual_bitop2_b32 v2, 7, v2 bitop3:0x40
	v_cndmask_b32_e32 v5, v7, v5, vcc_lo
	s_delay_alu instid0(VALU_DEP_2) | instskip(NEXT) | instid1(VALU_DEP_3)
	v_cndmask_b32_e32 v2, v3, v2, vcc_lo
	v_and_b32_e32 v3, 0x80000000, v4
	s_delay_alu instid0(VALU_DEP_3) | instskip(NEXT) | instid1(VALU_DEP_3)
	v_lshl_add_u32 v4, v5, 23, 0x3b800000
	v_lshlrev_b32_e32 v2, 20, v2
	s_delay_alu instid0(VALU_DEP_1) | instskip(NEXT) | instid1(VALU_DEP_1)
	v_or3_b32 v2, v3, v4, v2
	v_cvt_f64_f32_e32 v[2:3], v2
.LBB110_1598:
	s_or_b32 exec_lo, exec_lo, s44
.LBB110_1599:
	s_mov_b32 s43, -1
.LBB110_1600:
	s_mov_b32 s44, 0
.LBB110_1601:
	s_delay_alu instid0(SALU_CYCLE_1)
	s_and_b32 vcc_lo, exec_lo, s44
	s_cbranch_vccz .LBB110_1634
; %bb.1602:
	s_cmp_gt_i32 s40, 22
	s_cbranch_scc0 .LBB110_1612
; %bb.1603:
	s_cmp_lt_i32 s40, 24
	s_cbranch_scc1 .LBB110_1615
; %bb.1604:
	s_cmp_gt_i32 s40, 24
	s_cbranch_scc0 .LBB110_1616
; %bb.1605:
	global_load_u8 v4, v[0:1], off
	s_mov_b32 s43, exec_lo
	s_wait_loadcnt 0x0
	v_cmpx_lt_i16_e32 0x7f, v4
	s_xor_b32 s43, exec_lo, s43
	s_cbranch_execz .LBB110_1628
; %bb.1606:
	s_mov_b32 s42, -1
	s_mov_b32 s44, exec_lo
	v_cmpx_eq_u16_e32 0x80, v4
; %bb.1607:
	s_xor_b32 s42, exec_lo, -1
; %bb.1608:
	s_or_b32 exec_lo, exec_lo, s44
	s_delay_alu instid0(SALU_CYCLE_1)
	s_and_b32 s42, s42, exec_lo
	s_or_saveexec_b32 s43, s43
	v_mov_b64_e32 v[2:3], 0x7ff8000020000000
	s_xor_b32 exec_lo, exec_lo, s43
	s_cbranch_execnz .LBB110_1629
.LBB110_1609:
	s_or_b32 exec_lo, exec_lo, s43
	s_and_saveexec_b32 s43, s42
	s_cbranch_execz .LBB110_1611
.LBB110_1610:
	v_and_b32_e32 v2, 0xffff, v4
	s_delay_alu instid0(VALU_DEP_1) | instskip(SKIP_1) | instid1(VALU_DEP_2)
	v_and_b32_e32 v3, 3, v2
	v_bfe_u32 v7, v2, 2, 5
	v_clz_i32_u32_e32 v5, v3
	s_delay_alu instid0(VALU_DEP_2) | instskip(NEXT) | instid1(VALU_DEP_2)
	v_cmp_eq_u32_e32 vcc_lo, 0, v7
	v_min_u32_e32 v5, 32, v5
	s_delay_alu instid0(VALU_DEP_1) | instskip(NEXT) | instid1(VALU_DEP_1)
	v_subrev_nc_u32_e32 v6, 29, v5
	v_dual_lshlrev_b32 v2, v6, v2 :: v_dual_sub_nc_u32 v5, 30, v5
	s_delay_alu instid0(VALU_DEP_1) | instskip(NEXT) | instid1(VALU_DEP_2)
	v_dual_lshlrev_b32 v4, 24, v4 :: v_dual_bitop2_b32 v2, 3, v2 bitop3:0x40
	v_cndmask_b32_e32 v5, v7, v5, vcc_lo
	s_delay_alu instid0(VALU_DEP_2) | instskip(NEXT) | instid1(VALU_DEP_3)
	v_cndmask_b32_e32 v2, v3, v2, vcc_lo
	v_and_b32_e32 v3, 0x80000000, v4
	s_delay_alu instid0(VALU_DEP_3) | instskip(NEXT) | instid1(VALU_DEP_3)
	v_lshl_add_u32 v4, v5, 23, 0x37800000
	v_lshlrev_b32_e32 v2, 21, v2
	s_delay_alu instid0(VALU_DEP_1) | instskip(NEXT) | instid1(VALU_DEP_1)
	v_or3_b32 v2, v3, v4, v2
	v_cvt_f64_f32_e32 v[2:3], v2
.LBB110_1611:
	s_or_b32 exec_lo, exec_lo, s43
	s_mov_b32 s42, 0
	s_branch .LBB110_1617
.LBB110_1612:
	s_mov_b32 s42, -1
                                        ; implicit-def: $vgpr2_vgpr3
	s_branch .LBB110_1623
.LBB110_1613:
	s_or_saveexec_b32 s44, s44
	v_mov_b64_e32 v[2:3], 0x7ff8000020000000
	s_xor_b32 exec_lo, exec_lo, s44
	s_cbranch_execz .LBB110_1596
.LBB110_1614:
	v_cmp_ne_u16_e32 vcc_lo, 0, v4
	v_mov_b64_e32 v[2:3], 0
	s_and_not1_b32 s43, s43, exec_lo
	s_and_b32 s45, vcc_lo, exec_lo
	s_delay_alu instid0(SALU_CYCLE_1)
	s_or_b32 s43, s43, s45
	s_or_b32 exec_lo, exec_lo, s44
	s_and_saveexec_b32 s44, s43
	s_cbranch_execnz .LBB110_1597
	s_branch .LBB110_1598
.LBB110_1615:
	s_mov_b32 s42, -1
                                        ; implicit-def: $vgpr2_vgpr3
	s_branch .LBB110_1620
.LBB110_1616:
	s_mov_b32 s42, -1
                                        ; implicit-def: $vgpr2_vgpr3
.LBB110_1617:
	s_delay_alu instid0(SALU_CYCLE_1)
	s_and_b32 vcc_lo, exec_lo, s42
	s_cbranch_vccz .LBB110_1619
; %bb.1618:
	global_load_u8 v2, v[0:1], off
	s_wait_loadcnt 0x0
	v_lshlrev_b32_e32 v2, 24, v2
	s_delay_alu instid0(VALU_DEP_1) | instskip(NEXT) | instid1(VALU_DEP_1)
	v_and_b32_e32 v3, 0x7f000000, v2
	v_clz_i32_u32_e32 v4, v3
	v_cmp_ne_u32_e32 vcc_lo, 0, v3
	v_add_nc_u32_e32 v6, 0x1000000, v3
	s_delay_alu instid0(VALU_DEP_3) | instskip(NEXT) | instid1(VALU_DEP_1)
	v_min_u32_e32 v4, 32, v4
	v_sub_nc_u32_e64 v4, v4, 4 clamp
	s_delay_alu instid0(VALU_DEP_1) | instskip(NEXT) | instid1(VALU_DEP_1)
	v_dual_lshlrev_b32 v5, v4, v3 :: v_dual_lshlrev_b32 v4, 23, v4
	v_lshrrev_b32_e32 v5, 4, v5
	s_delay_alu instid0(VALU_DEP_1) | instskip(NEXT) | instid1(VALU_DEP_1)
	v_dual_sub_nc_u32 v4, v5, v4 :: v_dual_ashrrev_i32 v5, 8, v6
	v_add_nc_u32_e32 v4, 0x3c000000, v4
	s_delay_alu instid0(VALU_DEP_1) | instskip(NEXT) | instid1(VALU_DEP_1)
	v_and_or_b32 v4, 0x7f800000, v5, v4
	v_cndmask_b32_e32 v3, 0, v4, vcc_lo
	s_delay_alu instid0(VALU_DEP_1) | instskip(NEXT) | instid1(VALU_DEP_1)
	v_and_or_b32 v2, 0x80000000, v2, v3
	v_cvt_f64_f32_e32 v[2:3], v2
.LBB110_1619:
	s_mov_b32 s42, 0
.LBB110_1620:
	s_delay_alu instid0(SALU_CYCLE_1)
	s_and_not1_b32 vcc_lo, exec_lo, s42
	s_cbranch_vccnz .LBB110_1622
; %bb.1621:
	global_load_u8 v2, v[0:1], off
	s_wait_loadcnt 0x0
	v_lshlrev_b32_e32 v3, 25, v2
	v_lshlrev_b16 v2, 8, v2
	s_delay_alu instid0(VALU_DEP_1) | instskip(SKIP_1) | instid1(VALU_DEP_2)
	v_and_or_b32 v5, 0x7f00, v2, 0.5
	v_bfe_i32 v2, v2, 0, 16
	v_dual_add_f32 v5, -0.5, v5 :: v_dual_lshrrev_b32 v4, 4, v3
	v_cmp_gt_u32_e32 vcc_lo, 0x8000000, v3
	s_delay_alu instid0(VALU_DEP_2) | instskip(NEXT) | instid1(VALU_DEP_1)
	v_or_b32_e32 v4, 0x70000000, v4
	v_mul_f32_e32 v4, 0x7800000, v4
	s_delay_alu instid0(VALU_DEP_1) | instskip(NEXT) | instid1(VALU_DEP_1)
	v_cndmask_b32_e32 v3, v4, v5, vcc_lo
	v_and_or_b32 v2, 0x80000000, v2, v3
	s_delay_alu instid0(VALU_DEP_1)
	v_cvt_f64_f32_e32 v[2:3], v2
.LBB110_1622:
	s_mov_b32 s42, 0
	s_mov_b32 s43, -1
.LBB110_1623:
	s_and_not1_b32 vcc_lo, exec_lo, s42
	s_mov_b32 s42, 0
	s_cbranch_vccnz .LBB110_1634
; %bb.1624:
	s_cmp_gt_i32 s40, 14
	s_cbranch_scc0 .LBB110_1627
; %bb.1625:
	s_cmp_eq_u32 s40, 15
	s_cbranch_scc0 .LBB110_1630
; %bb.1626:
	global_load_u16 v2, v[0:1], off
	s_mov_b32 s41, 0
	s_mov_b32 s43, -1
	s_wait_loadcnt 0x0
	v_lshlrev_b32_e32 v2, 16, v2
	s_delay_alu instid0(VALU_DEP_1)
	v_cvt_f64_f32_e32 v[2:3], v2
	s_branch .LBB110_1632
.LBB110_1627:
	s_mov_b32 s42, -1
	s_branch .LBB110_1631
.LBB110_1628:
	s_or_saveexec_b32 s43, s43
	v_mov_b64_e32 v[2:3], 0x7ff8000020000000
	s_xor_b32 exec_lo, exec_lo, s43
	s_cbranch_execz .LBB110_1609
.LBB110_1629:
	v_cmp_ne_u16_e32 vcc_lo, 0, v4
	v_mov_b64_e32 v[2:3], 0
	s_and_not1_b32 s42, s42, exec_lo
	s_and_b32 s44, vcc_lo, exec_lo
	s_delay_alu instid0(SALU_CYCLE_1)
	s_or_b32 s42, s42, s44
	s_or_b32 exec_lo, exec_lo, s43
	s_and_saveexec_b32 s43, s42
	s_cbranch_execnz .LBB110_1610
	s_branch .LBB110_1611
.LBB110_1630:
	s_mov_b32 s41, -1
.LBB110_1631:
                                        ; implicit-def: $vgpr2_vgpr3
.LBB110_1632:
	s_and_b32 vcc_lo, exec_lo, s42
	s_mov_b32 s42, 0
	s_cbranch_vccz .LBB110_1634
; %bb.1633:
	s_cmp_lg_u32 s40, 11
	s_mov_b32 s42, -1
	s_cselect_b32 s40, -1, 0
	s_and_not1_b32 s41, s41, exec_lo
	s_and_b32 s40, s40, exec_lo
	s_delay_alu instid0(SALU_CYCLE_1)
	s_or_b32 s41, s41, s40
.LBB110_1634:
	s_mov_b32 s40, 0
.LBB110_1635:
	s_and_not1_b32 s44, s36, exec_lo
	s_and_b32 s41, s41, exec_lo
	s_and_b32 s45, s43, exec_lo
	s_and_b32 s43, s40, exec_lo
	s_and_b32 s40, s42, exec_lo
	s_or_b32 s44, s44, s41
.LBB110_1636:
	s_wait_xcnt 0x0
	s_or_b32 exec_lo, exec_lo, s24
	s_delay_alu instid0(SALU_CYCLE_1)
	s_and_not1_b32 s24, s36, exec_lo
	s_and_b32 s36, s44, exec_lo
	s_and_b32 s42, s45, exec_lo
	;; [unrolled: 1-line block ×4, first 2 shown]
	s_or_b32 s36, s24, s36
.LBB110_1637:
	s_or_b32 exec_lo, exec_lo, s35
	s_delay_alu instid0(SALU_CYCLE_1)
	s_and_not1_b32 s24, s30, exec_lo
	s_and_b32 s30, s39, exec_lo
	s_and_not1_b32 s33, s33, exec_lo
	s_or_b32 s30, s24, s30
	s_and_not1_b32 s24, s31, exec_lo
	s_and_b32 s31, s38, exec_lo
	s_and_b32 s35, s37, exec_lo
	s_or_b32 s31, s24, s31
	s_and_not1_b32 s24, s29, exec_lo
	s_and_b32 s29, s36, exec_lo
	s_or_b32 s33, s33, s35
	s_and_b32 s38, s42, exec_lo
	s_and_b32 s37, s41, exec_lo
	;; [unrolled: 1-line block ×3, first 2 shown]
	s_or_b32 s29, s24, s29
.LBB110_1638:
	s_or_b32 exec_lo, exec_lo, s34
	s_delay_alu instid0(SALU_CYCLE_1)
	s_and_not1_b32 s23, s23, exec_lo
	s_and_b32 s24, s30, exec_lo
	s_and_not1_b32 s26, s26, exec_lo
	s_or_b32 s23, s23, s24
	s_and_not1_b32 s24, s25, exec_lo
	s_and_b32 s25, s31, exec_lo
	s_and_b32 s30, s33, exec_lo
	s_or_b32 s25, s24, s25
	s_and_not1_b32 s24, s27, exec_lo
	s_and_b32 s27, s29, exec_lo
	s_or_b32 s26, s26, s30
	s_and_b32 s30, s38, exec_lo
	s_and_b32 s31, s37, exec_lo
	s_and_b32 s29, s35, exec_lo
	s_or_b32 s27, s24, s27
	s_or_b32 exec_lo, exec_lo, s28
	s_mov_b32 s24, 0
	s_and_saveexec_b32 s28, s27
	s_cbranch_execz .LBB110_522
.LBB110_1639:
	s_mov_b32 s24, exec_lo
	s_and_not1_b32 s29, s29, exec_lo
	s_trap 2
	s_or_b32 exec_lo, exec_lo, s28
	s_and_saveexec_b32 s27, s29
	s_delay_alu instid0(SALU_CYCLE_1)
	s_xor_b32 s27, exec_lo, s27
	s_cbranch_execnz .LBB110_523
.LBB110_1640:
	s_or_b32 exec_lo, exec_lo, s27
	s_and_saveexec_b32 s27, s31
	s_cbranch_execz .LBB110_1686
.LBB110_1641:
	s_sext_i32_i16 s28, s0
	s_delay_alu instid0(SALU_CYCLE_1)
	s_cmp_lt_i32 s28, 5
	s_cbranch_scc1 .LBB110_1646
; %bb.1642:
	s_cmp_lt_i32 s28, 8
	s_cbranch_scc1 .LBB110_1647
; %bb.1643:
	;; [unrolled: 3-line block ×3, first 2 shown]
	s_cmp_gt_i32 s28, 9
	s_cbranch_scc0 .LBB110_1649
; %bb.1645:
	s_wait_loadcnt 0x0
	global_load_b64 v[2:3], v[0:1], off
	s_mov_b32 s28, 0
	s_branch .LBB110_1650
.LBB110_1646:
                                        ; implicit-def: $vgpr2_vgpr3
	s_branch .LBB110_1667
.LBB110_1647:
                                        ; implicit-def: $vgpr2_vgpr3
	s_branch .LBB110_1656
.LBB110_1648:
	s_mov_b32 s28, -1
                                        ; implicit-def: $vgpr2_vgpr3
	s_branch .LBB110_1653
.LBB110_1649:
	s_mov_b32 s28, -1
                                        ; implicit-def: $vgpr2_vgpr3
.LBB110_1650:
	s_delay_alu instid0(SALU_CYCLE_1)
	s_and_not1_b32 vcc_lo, exec_lo, s28
	s_cbranch_vccnz .LBB110_1652
; %bb.1651:
	s_wait_loadcnt 0x0
	global_load_b32 v2, v[0:1], off
	s_wait_loadcnt 0x0
	v_cvt_f64_f32_e32 v[2:3], v2
.LBB110_1652:
	s_mov_b32 s28, 0
.LBB110_1653:
	s_delay_alu instid0(SALU_CYCLE_1)
	s_and_not1_b32 vcc_lo, exec_lo, s28
	s_cbranch_vccnz .LBB110_1655
; %bb.1654:
	s_wait_loadcnt 0x0
	global_load_b32 v2, v[0:1], off
	s_wait_loadcnt 0x0
	v_cvt_f32_f16_e32 v2, v2
	s_delay_alu instid0(VALU_DEP_1)
	v_cvt_f64_f32_e32 v[2:3], v2
.LBB110_1655:
	s_cbranch_execnz .LBB110_1666
.LBB110_1656:
	s_sext_i32_i16 s28, s0
	s_delay_alu instid0(SALU_CYCLE_1)
	s_cmp_lt_i32 s28, 6
	s_cbranch_scc1 .LBB110_1659
; %bb.1657:
	s_cmp_gt_i32 s28, 6
	s_cbranch_scc0 .LBB110_1660
; %bb.1658:
	s_wait_loadcnt 0x0
	global_load_b64 v[2:3], v[0:1], off
	s_mov_b32 s28, 0
	s_branch .LBB110_1661
.LBB110_1659:
	s_mov_b32 s28, -1
                                        ; implicit-def: $vgpr2_vgpr3
	s_branch .LBB110_1664
.LBB110_1660:
	s_mov_b32 s28, -1
                                        ; implicit-def: $vgpr2_vgpr3
.LBB110_1661:
	s_delay_alu instid0(SALU_CYCLE_1)
	s_and_not1_b32 vcc_lo, exec_lo, s28
	s_cbranch_vccnz .LBB110_1663
; %bb.1662:
	s_wait_loadcnt 0x0
	global_load_b32 v2, v[0:1], off
	s_wait_loadcnt 0x0
	v_cvt_f64_f32_e32 v[2:3], v2
.LBB110_1663:
	s_mov_b32 s28, 0
.LBB110_1664:
	s_delay_alu instid0(SALU_CYCLE_1)
	s_and_not1_b32 vcc_lo, exec_lo, s28
	s_cbranch_vccnz .LBB110_1666
; %bb.1665:
	s_wait_loadcnt 0x0
	global_load_u16 v2, v[0:1], off
	s_wait_loadcnt 0x0
	v_cvt_f32_f16_e32 v2, v2
	s_delay_alu instid0(VALU_DEP_1)
	v_cvt_f64_f32_e32 v[2:3], v2
.LBB110_1666:
	s_cbranch_execnz .LBB110_1685
.LBB110_1667:
	s_sext_i32_i16 s28, s0
	s_delay_alu instid0(SALU_CYCLE_1)
	s_cmp_lt_i32 s28, 2
	s_cbranch_scc1 .LBB110_1671
; %bb.1668:
	s_cmp_lt_i32 s28, 3
	s_cbranch_scc1 .LBB110_1672
; %bb.1669:
	s_cmp_gt_i32 s28, 3
	s_cbranch_scc0 .LBB110_1673
; %bb.1670:
	s_wait_loadcnt 0x0
	global_load_b64 v[2:3], v[0:1], off
	s_mov_b32 s28, 0
	s_wait_loadcnt 0x0
	v_cvt_f64_i32_e32 v[4:5], v3
	v_cvt_f64_u32_e32 v[2:3], v2
	s_delay_alu instid0(VALU_DEP_2) | instskip(NEXT) | instid1(VALU_DEP_1)
	v_ldexp_f64 v[4:5], v[4:5], 32
	v_add_f64_e32 v[2:3], v[4:5], v[2:3]
	s_branch .LBB110_1674
.LBB110_1671:
                                        ; implicit-def: $vgpr2_vgpr3
	s_branch .LBB110_1680
.LBB110_1672:
	s_mov_b32 s28, -1
                                        ; implicit-def: $vgpr2_vgpr3
	s_branch .LBB110_1677
.LBB110_1673:
	s_mov_b32 s28, -1
                                        ; implicit-def: $vgpr2_vgpr3
.LBB110_1674:
	s_delay_alu instid0(SALU_CYCLE_1)
	s_and_not1_b32 vcc_lo, exec_lo, s28
	s_cbranch_vccnz .LBB110_1676
; %bb.1675:
	s_wait_loadcnt 0x0
	global_load_b32 v2, v[0:1], off
	s_wait_loadcnt 0x0
	v_cvt_f64_i32_e32 v[2:3], v2
.LBB110_1676:
	s_mov_b32 s28, 0
.LBB110_1677:
	s_delay_alu instid0(SALU_CYCLE_1)
	s_and_not1_b32 vcc_lo, exec_lo, s28
	s_cbranch_vccnz .LBB110_1679
; %bb.1678:
	s_wait_loadcnt 0x0
	global_load_i16 v2, v[0:1], off
	s_wait_loadcnt 0x0
	v_cvt_f64_i32_e32 v[2:3], v2
.LBB110_1679:
	s_cbranch_execnz .LBB110_1685
.LBB110_1680:
	s_sext_i32_i16 s0, s0
	s_delay_alu instid0(SALU_CYCLE_1)
	s_cmp_gt_i32 s0, 0
	s_mov_b32 s0, 0
	s_cbranch_scc0 .LBB110_1682
; %bb.1681:
	s_wait_loadcnt 0x0
	global_load_i8 v2, v[0:1], off
	s_wait_loadcnt 0x0
	v_cvt_f64_i32_e32 v[2:3], v2
	s_branch .LBB110_1683
.LBB110_1682:
	s_mov_b32 s0, -1
                                        ; implicit-def: $vgpr2_vgpr3
.LBB110_1683:
	s_delay_alu instid0(SALU_CYCLE_1)
	s_and_not1_b32 vcc_lo, exec_lo, s0
	s_cbranch_vccnz .LBB110_1685
; %bb.1684:
	s_wait_loadcnt 0x0
	global_load_u8 v0, v[0:1], off
	s_wait_loadcnt 0x0
	v_cvt_f64_u32_e32 v[2:3], v0
.LBB110_1685:
	s_or_b32 s30, s30, exec_lo
.LBB110_1686:
	s_wait_xcnt 0x0
	s_or_b32 exec_lo, exec_lo, s27
	s_mov_b32 s29, 0
	s_mov_b32 s31, 0
	;; [unrolled: 1-line block ×3, first 2 shown]
                                        ; implicit-def: $sgpr0
                                        ; implicit-def: $vgpr0_vgpr1
                                        ; implicit-def: $vgpr4_vgpr5
	s_and_saveexec_b32 s27, s30
	s_cbranch_execz .LBB110_1694
; %bb.1687:
	s_wait_loadcnt 0x0
	v_mul_lo_u32 v0, v26, s14
	s_and_b32 s0, s3, 0xff
	s_delay_alu instid0(SALU_CYCLE_1) | instskip(NEXT) | instid1(VALU_DEP_1)
	s_cmp_lt_i32 s0, 11
	v_ashrrev_i32_e32 v1, 31, v0
	s_delay_alu instid0(VALU_DEP_1)
	v_add_nc_u64_e32 v[0:1], s[8:9], v[0:1]
	s_cbranch_scc1 .LBB110_1697
; %bb.1688:
	s_and_b32 s28, 0xffff, s0
	s_mov_b32 s30, 0
	s_cmp_gt_i32 s28, 25
	s_cbranch_scc0 .LBB110_1698
; %bb.1689:
	s_cmp_gt_i32 s28, 28
	s_cbranch_scc0 .LBB110_1699
; %bb.1690:
	;; [unrolled: 3-line block ×4, first 2 shown]
	s_cmp_eq_u32 s28, 46
	s_mov_b32 s33, 0
	s_cbranch_scc0 .LBB110_1702
; %bb.1693:
	global_load_b32 v4, v[0:1], off
	s_mov_b32 s31, -1
	s_wait_loadcnt 0x0
	v_lshlrev_b32_e32 v4, 16, v4
	s_delay_alu instid0(VALU_DEP_1)
	v_cvt_f64_f32_e32 v[4:5], v4
	s_branch .LBB110_1704
.LBB110_1694:
	s_or_b32 exec_lo, exec_lo, s27
	s_and_saveexec_b32 s27, s26
	s_cbranch_execnz .LBB110_1767
.LBB110_1695:
	s_or_b32 exec_lo, exec_lo, s27
	s_and_saveexec_b32 s26, s29
	s_delay_alu instid0(SALU_CYCLE_1)
	s_xor_b32 s26, exec_lo, s26
	s_cbranch_execz .LBB110_1768
.LBB110_1696:
	s_wait_loadcnt 0x0
	global_load_u8 v4, v[0:1], off
	s_or_b32 s28, s28, exec_lo
	s_wait_loadcnt 0x0
	v_cmp_ne_u16_e32 vcc_lo, 0, v4
	v_mov_b32_e32 v4, 0
	v_cndmask_b32_e64 v5, 0, 0x3ff00000, vcc_lo
	s_wait_xcnt 0x0
	s_or_b32 exec_lo, exec_lo, s26
	s_and_saveexec_b32 s26, s31
	s_cbranch_execz .LBB110_1814
	s_branch .LBB110_1769
.LBB110_1697:
	s_mov_b32 s33, -1
	s_mov_b32 s30, 0
	s_mov_b32 s29, s26
                                        ; implicit-def: $vgpr4_vgpr5
	s_branch .LBB110_1766
.LBB110_1698:
	s_mov_b32 s29, s26
                                        ; implicit-def: $vgpr4_vgpr5
	s_cbranch_execnz .LBB110_1733
	s_branch .LBB110_1765
.LBB110_1699:
	s_mov_b32 s33, -1
	s_mov_b32 s29, s26
                                        ; implicit-def: $vgpr4_vgpr5
	s_branch .LBB110_1714
.LBB110_1700:
	s_mov_b32 s33, -1
	s_mov_b32 s29, s26
                                        ; implicit-def: $vgpr4_vgpr5
	s_branch .LBB110_1709
.LBB110_1701:
	s_mov_b32 s33, -1
	s_mov_b32 s29, s26
	s_branch .LBB110_1703
.LBB110_1702:
	s_mov_b32 s29, -1
.LBB110_1703:
                                        ; implicit-def: $vgpr4_vgpr5
.LBB110_1704:
	s_and_b32 vcc_lo, exec_lo, s33
	s_cbranch_vccz .LBB110_1708
; %bb.1705:
	s_cmp_eq_u32 s28, 44
	s_cbranch_scc0 .LBB110_1707
; %bb.1706:
	global_load_u8 v6, v[0:1], off
	s_mov_b32 s29, 0
	s_mov_b32 s31, -1
	s_wait_loadcnt 0x0
	v_cmp_ne_u32_e32 vcc_lo, 0xff, v6
	v_lshlrev_b32_e32 v4, 23, v6
	s_delay_alu instid0(VALU_DEP_1) | instskip(NEXT) | instid1(VALU_DEP_1)
	v_cvt_f64_f32_e32 v[4:5], v4
	v_cndmask_b32_e32 v4, 0x20000000, v4, vcc_lo
	s_delay_alu instid0(VALU_DEP_2) | instskip(SKIP_1) | instid1(VALU_DEP_2)
	v_cndmask_b32_e32 v5, 0x7ff80000, v5, vcc_lo
	v_cmp_ne_u32_e32 vcc_lo, 0, v6
	v_cndmask_b32_e32 v5, 0x38000000, v5, vcc_lo
	s_delay_alu instid0(VALU_DEP_4)
	v_cndmask_b32_e32 v4, 0, v4, vcc_lo
	s_branch .LBB110_1708
.LBB110_1707:
	s_mov_b32 s29, -1
                                        ; implicit-def: $vgpr4_vgpr5
.LBB110_1708:
	s_mov_b32 s33, 0
.LBB110_1709:
	s_delay_alu instid0(SALU_CYCLE_1)
	s_and_b32 vcc_lo, exec_lo, s33
	s_cbranch_vccz .LBB110_1713
; %bb.1710:
	s_cmp_eq_u32 s28, 29
	s_cbranch_scc0 .LBB110_1712
; %bb.1711:
	global_load_b64 v[4:5], v[0:1], off
	s_mov_b32 s29, 0
	s_mov_b32 s31, -1
	s_mov_b32 s33, 0
	s_wait_loadcnt 0x0
	v_cvt_f64_u32_e32 v[6:7], v5
	v_cvt_f64_u32_e32 v[4:5], v4
	s_delay_alu instid0(VALU_DEP_2) | instskip(NEXT) | instid1(VALU_DEP_1)
	v_ldexp_f64 v[6:7], v[6:7], 32
	v_add_f64_e32 v[4:5], v[6:7], v[4:5]
	s_branch .LBB110_1714
.LBB110_1712:
	s_mov_b32 s29, -1
                                        ; implicit-def: $vgpr4_vgpr5
.LBB110_1713:
	s_mov_b32 s33, 0
.LBB110_1714:
	s_delay_alu instid0(SALU_CYCLE_1)
	s_and_b32 vcc_lo, exec_lo, s33
	s_cbranch_vccz .LBB110_1732
; %bb.1715:
	s_cmp_lt_i32 s28, 27
	s_cbranch_scc1 .LBB110_1718
; %bb.1716:
	s_cmp_gt_i32 s28, 27
	s_cbranch_scc0 .LBB110_1719
; %bb.1717:
	global_load_b32 v4, v[0:1], off
	s_mov_b32 s31, 0
	s_wait_loadcnt 0x0
	v_cvt_f64_u32_e32 v[4:5], v4
	s_branch .LBB110_1720
.LBB110_1718:
	s_mov_b32 s31, -1
                                        ; implicit-def: $vgpr4_vgpr5
	s_branch .LBB110_1723
.LBB110_1719:
	s_mov_b32 s31, -1
                                        ; implicit-def: $vgpr4_vgpr5
.LBB110_1720:
	s_delay_alu instid0(SALU_CYCLE_1)
	s_and_not1_b32 vcc_lo, exec_lo, s31
	s_cbranch_vccnz .LBB110_1722
; %bb.1721:
	global_load_u16 v4, v[0:1], off
	s_wait_loadcnt 0x0
	v_cvt_f64_u32_e32 v[4:5], v4
.LBB110_1722:
	s_mov_b32 s31, 0
.LBB110_1723:
	s_delay_alu instid0(SALU_CYCLE_1)
	s_and_not1_b32 vcc_lo, exec_lo, s31
	s_cbranch_vccnz .LBB110_1731
; %bb.1724:
	global_load_u8 v6, v[0:1], off
	s_mov_b32 s31, 0
	s_mov_b32 s33, exec_lo
	s_wait_loadcnt 0x0
	v_cmpx_lt_i16_e32 0x7f, v6
	s_xor_b32 s33, exec_lo, s33
	s_cbranch_execz .LBB110_1744
; %bb.1725:
	s_mov_b32 s31, -1
	s_mov_b32 s34, exec_lo
	v_cmpx_eq_u16_e32 0x80, v6
; %bb.1726:
	s_xor_b32 s31, exec_lo, -1
; %bb.1727:
	s_or_b32 exec_lo, exec_lo, s34
	s_delay_alu instid0(SALU_CYCLE_1)
	s_and_b32 s31, s31, exec_lo
	s_or_saveexec_b32 s33, s33
	v_mov_b64_e32 v[4:5], 0x7ff8000020000000
	s_xor_b32 exec_lo, exec_lo, s33
	s_cbranch_execnz .LBB110_1745
.LBB110_1728:
	s_or_b32 exec_lo, exec_lo, s33
	s_and_saveexec_b32 s33, s31
	s_cbranch_execz .LBB110_1730
.LBB110_1729:
	v_and_b32_e32 v4, 0xffff, v6
	s_delay_alu instid0(VALU_DEP_1) | instskip(SKIP_1) | instid1(VALU_DEP_2)
	v_and_b32_e32 v5, 7, v4
	v_bfe_u32 v9, v4, 3, 4
	v_clz_i32_u32_e32 v7, v5
	s_delay_alu instid0(VALU_DEP_2) | instskip(NEXT) | instid1(VALU_DEP_2)
	v_cmp_eq_u32_e32 vcc_lo, 0, v9
	v_min_u32_e32 v7, 32, v7
	s_delay_alu instid0(VALU_DEP_1) | instskip(NEXT) | instid1(VALU_DEP_1)
	v_subrev_nc_u32_e32 v8, 28, v7
	v_dual_lshlrev_b32 v4, v8, v4 :: v_dual_sub_nc_u32 v7, 29, v7
	s_delay_alu instid0(VALU_DEP_1) | instskip(NEXT) | instid1(VALU_DEP_2)
	v_dual_lshlrev_b32 v6, 24, v6 :: v_dual_bitop2_b32 v4, 7, v4 bitop3:0x40
	v_cndmask_b32_e32 v7, v9, v7, vcc_lo
	s_delay_alu instid0(VALU_DEP_2) | instskip(NEXT) | instid1(VALU_DEP_3)
	v_cndmask_b32_e32 v4, v5, v4, vcc_lo
	v_and_b32_e32 v5, 0x80000000, v6
	s_delay_alu instid0(VALU_DEP_3) | instskip(NEXT) | instid1(VALU_DEP_3)
	v_lshl_add_u32 v6, v7, 23, 0x3b800000
	v_lshlrev_b32_e32 v4, 20, v4
	s_delay_alu instid0(VALU_DEP_1) | instskip(NEXT) | instid1(VALU_DEP_1)
	v_or3_b32 v4, v5, v6, v4
	v_cvt_f64_f32_e32 v[4:5], v4
.LBB110_1730:
	s_or_b32 exec_lo, exec_lo, s33
.LBB110_1731:
	s_mov_b32 s31, -1
.LBB110_1732:
	s_branch .LBB110_1765
.LBB110_1733:
	s_cmp_gt_i32 s28, 22
	s_cbranch_scc0 .LBB110_1743
; %bb.1734:
	s_cmp_lt_i32 s28, 24
	s_cbranch_scc1 .LBB110_1746
; %bb.1735:
	s_cmp_gt_i32 s28, 24
	s_cbranch_scc0 .LBB110_1747
; %bb.1736:
	global_load_u8 v6, v[0:1], off
	s_mov_b32 s31, exec_lo
	s_wait_loadcnt 0x0
	v_cmpx_lt_i16_e32 0x7f, v6
	s_xor_b32 s31, exec_lo, s31
	s_cbranch_execz .LBB110_1759
; %bb.1737:
	s_mov_b32 s30, -1
	s_mov_b32 s33, exec_lo
	v_cmpx_eq_u16_e32 0x80, v6
; %bb.1738:
	s_xor_b32 s30, exec_lo, -1
; %bb.1739:
	s_or_b32 exec_lo, exec_lo, s33
	s_delay_alu instid0(SALU_CYCLE_1)
	s_and_b32 s30, s30, exec_lo
	s_or_saveexec_b32 s31, s31
	v_mov_b64_e32 v[4:5], 0x7ff8000020000000
	s_xor_b32 exec_lo, exec_lo, s31
	s_cbranch_execnz .LBB110_1760
.LBB110_1740:
	s_or_b32 exec_lo, exec_lo, s31
	s_and_saveexec_b32 s31, s30
	s_cbranch_execz .LBB110_1742
.LBB110_1741:
	v_and_b32_e32 v4, 0xffff, v6
	s_delay_alu instid0(VALU_DEP_1) | instskip(SKIP_1) | instid1(VALU_DEP_2)
	v_and_b32_e32 v5, 3, v4
	v_bfe_u32 v9, v4, 2, 5
	v_clz_i32_u32_e32 v7, v5
	s_delay_alu instid0(VALU_DEP_2) | instskip(NEXT) | instid1(VALU_DEP_2)
	v_cmp_eq_u32_e32 vcc_lo, 0, v9
	v_min_u32_e32 v7, 32, v7
	s_delay_alu instid0(VALU_DEP_1) | instskip(NEXT) | instid1(VALU_DEP_1)
	v_subrev_nc_u32_e32 v8, 29, v7
	v_dual_lshlrev_b32 v4, v8, v4 :: v_dual_sub_nc_u32 v7, 30, v7
	s_delay_alu instid0(VALU_DEP_1) | instskip(NEXT) | instid1(VALU_DEP_2)
	v_dual_lshlrev_b32 v6, 24, v6 :: v_dual_bitop2_b32 v4, 3, v4 bitop3:0x40
	v_cndmask_b32_e32 v7, v9, v7, vcc_lo
	s_delay_alu instid0(VALU_DEP_2) | instskip(NEXT) | instid1(VALU_DEP_3)
	v_cndmask_b32_e32 v4, v5, v4, vcc_lo
	v_and_b32_e32 v5, 0x80000000, v6
	s_delay_alu instid0(VALU_DEP_3) | instskip(NEXT) | instid1(VALU_DEP_3)
	v_lshl_add_u32 v6, v7, 23, 0x37800000
	v_lshlrev_b32_e32 v4, 21, v4
	s_delay_alu instid0(VALU_DEP_1) | instskip(NEXT) | instid1(VALU_DEP_1)
	v_or3_b32 v4, v5, v6, v4
	v_cvt_f64_f32_e32 v[4:5], v4
.LBB110_1742:
	s_or_b32 exec_lo, exec_lo, s31
	s_mov_b32 s30, 0
	s_branch .LBB110_1748
.LBB110_1743:
	s_mov_b32 s30, -1
                                        ; implicit-def: $vgpr4_vgpr5
	s_branch .LBB110_1754
.LBB110_1744:
	s_or_saveexec_b32 s33, s33
	v_mov_b64_e32 v[4:5], 0x7ff8000020000000
	s_xor_b32 exec_lo, exec_lo, s33
	s_cbranch_execz .LBB110_1728
.LBB110_1745:
	v_cmp_ne_u16_e32 vcc_lo, 0, v6
	v_mov_b64_e32 v[4:5], 0
	s_and_not1_b32 s31, s31, exec_lo
	s_and_b32 s34, vcc_lo, exec_lo
	s_delay_alu instid0(SALU_CYCLE_1)
	s_or_b32 s31, s31, s34
	s_or_b32 exec_lo, exec_lo, s33
	s_and_saveexec_b32 s33, s31
	s_cbranch_execnz .LBB110_1729
	s_branch .LBB110_1730
.LBB110_1746:
	s_mov_b32 s30, -1
                                        ; implicit-def: $vgpr4_vgpr5
	s_branch .LBB110_1751
.LBB110_1747:
	s_mov_b32 s30, -1
                                        ; implicit-def: $vgpr4_vgpr5
.LBB110_1748:
	s_delay_alu instid0(SALU_CYCLE_1)
	s_and_b32 vcc_lo, exec_lo, s30
	s_cbranch_vccz .LBB110_1750
; %bb.1749:
	global_load_u8 v4, v[0:1], off
	s_wait_loadcnt 0x0
	v_lshlrev_b32_e32 v4, 24, v4
	s_delay_alu instid0(VALU_DEP_1) | instskip(NEXT) | instid1(VALU_DEP_1)
	v_and_b32_e32 v5, 0x7f000000, v4
	v_clz_i32_u32_e32 v6, v5
	v_cmp_ne_u32_e32 vcc_lo, 0, v5
	v_add_nc_u32_e32 v8, 0x1000000, v5
	s_delay_alu instid0(VALU_DEP_3) | instskip(NEXT) | instid1(VALU_DEP_1)
	v_min_u32_e32 v6, 32, v6
	v_sub_nc_u32_e64 v6, v6, 4 clamp
	s_delay_alu instid0(VALU_DEP_1) | instskip(NEXT) | instid1(VALU_DEP_1)
	v_dual_lshlrev_b32 v7, v6, v5 :: v_dual_lshlrev_b32 v6, 23, v6
	v_lshrrev_b32_e32 v7, 4, v7
	s_delay_alu instid0(VALU_DEP_1) | instskip(NEXT) | instid1(VALU_DEP_1)
	v_dual_sub_nc_u32 v6, v7, v6 :: v_dual_ashrrev_i32 v7, 8, v8
	v_add_nc_u32_e32 v6, 0x3c000000, v6
	s_delay_alu instid0(VALU_DEP_1) | instskip(NEXT) | instid1(VALU_DEP_1)
	v_and_or_b32 v6, 0x7f800000, v7, v6
	v_cndmask_b32_e32 v5, 0, v6, vcc_lo
	s_delay_alu instid0(VALU_DEP_1) | instskip(NEXT) | instid1(VALU_DEP_1)
	v_and_or_b32 v4, 0x80000000, v4, v5
	v_cvt_f64_f32_e32 v[4:5], v4
.LBB110_1750:
	s_mov_b32 s30, 0
.LBB110_1751:
	s_delay_alu instid0(SALU_CYCLE_1)
	s_and_not1_b32 vcc_lo, exec_lo, s30
	s_cbranch_vccnz .LBB110_1753
; %bb.1752:
	global_load_u8 v4, v[0:1], off
	s_wait_loadcnt 0x0
	v_lshlrev_b32_e32 v5, 25, v4
	v_lshlrev_b16 v4, 8, v4
	s_delay_alu instid0(VALU_DEP_1) | instskip(SKIP_1) | instid1(VALU_DEP_2)
	v_and_or_b32 v7, 0x7f00, v4, 0.5
	v_bfe_i32 v4, v4, 0, 16
	v_dual_add_f32 v7, -0.5, v7 :: v_dual_lshrrev_b32 v6, 4, v5
	v_cmp_gt_u32_e32 vcc_lo, 0x8000000, v5
	s_delay_alu instid0(VALU_DEP_2) | instskip(NEXT) | instid1(VALU_DEP_1)
	v_or_b32_e32 v6, 0x70000000, v6
	v_mul_f32_e32 v6, 0x7800000, v6
	s_delay_alu instid0(VALU_DEP_1) | instskip(NEXT) | instid1(VALU_DEP_1)
	v_cndmask_b32_e32 v5, v6, v7, vcc_lo
	v_and_or_b32 v4, 0x80000000, v4, v5
	s_delay_alu instid0(VALU_DEP_1)
	v_cvt_f64_f32_e32 v[4:5], v4
.LBB110_1753:
	s_mov_b32 s30, 0
	s_mov_b32 s31, -1
.LBB110_1754:
	s_and_not1_b32 vcc_lo, exec_lo, s30
	s_mov_b32 s30, 0
	s_cbranch_vccnz .LBB110_1765
; %bb.1755:
	s_cmp_gt_i32 s28, 14
	s_cbranch_scc0 .LBB110_1758
; %bb.1756:
	s_cmp_eq_u32 s28, 15
	s_cbranch_scc0 .LBB110_1761
; %bb.1757:
	global_load_u16 v4, v[0:1], off
	s_mov_b32 s29, 0
	s_mov_b32 s31, -1
	s_wait_loadcnt 0x0
	v_lshlrev_b32_e32 v4, 16, v4
	s_delay_alu instid0(VALU_DEP_1)
	v_cvt_f64_f32_e32 v[4:5], v4
	s_branch .LBB110_1763
.LBB110_1758:
	s_mov_b32 s30, -1
	s_branch .LBB110_1762
.LBB110_1759:
	s_or_saveexec_b32 s31, s31
	v_mov_b64_e32 v[4:5], 0x7ff8000020000000
	s_xor_b32 exec_lo, exec_lo, s31
	s_cbranch_execz .LBB110_1740
.LBB110_1760:
	v_cmp_ne_u16_e32 vcc_lo, 0, v6
	v_mov_b64_e32 v[4:5], 0
	s_and_not1_b32 s30, s30, exec_lo
	s_and_b32 s33, vcc_lo, exec_lo
	s_delay_alu instid0(SALU_CYCLE_1)
	s_or_b32 s30, s30, s33
	s_or_b32 exec_lo, exec_lo, s31
	s_and_saveexec_b32 s31, s30
	s_cbranch_execnz .LBB110_1741
	s_branch .LBB110_1742
.LBB110_1761:
	s_mov_b32 s29, -1
.LBB110_1762:
                                        ; implicit-def: $vgpr4_vgpr5
.LBB110_1763:
	s_and_b32 vcc_lo, exec_lo, s30
	s_mov_b32 s30, 0
	s_cbranch_vccz .LBB110_1765
; %bb.1764:
	s_cmp_lg_u32 s28, 11
	s_mov_b32 s30, -1
	s_cselect_b32 s28, -1, 0
	s_and_not1_b32 s29, s29, exec_lo
	s_and_b32 s28, s28, exec_lo
	s_delay_alu instid0(SALU_CYCLE_1)
	s_or_b32 s29, s29, s28
.LBB110_1765:
	s_mov_b32 s33, 0
.LBB110_1766:
	s_and_b32 s28, s31, exec_lo
	s_and_b32 s31, s33, exec_lo
	s_and_not1_b32 s26, s26, exec_lo
	s_and_b32 s33, s29, exec_lo
	s_and_b32 s29, s30, exec_lo
	s_or_b32 s26, s26, s33
	s_wait_xcnt 0x0
	s_or_b32 exec_lo, exec_lo, s27
	s_and_saveexec_b32 s27, s26
	s_cbranch_execz .LBB110_1695
.LBB110_1767:
	s_or_b32 s24, s24, exec_lo
	s_and_not1_b32 s29, s29, exec_lo
	s_trap 2
	s_or_b32 exec_lo, exec_lo, s27
	s_and_saveexec_b32 s26, s29
	s_delay_alu instid0(SALU_CYCLE_1)
	s_xor_b32 s26, exec_lo, s26
	s_cbranch_execnz .LBB110_1696
.LBB110_1768:
	s_or_b32 exec_lo, exec_lo, s26
	s_and_saveexec_b32 s26, s31
	s_cbranch_execz .LBB110_1814
.LBB110_1769:
	s_sext_i32_i16 s27, s0
	s_delay_alu instid0(SALU_CYCLE_1)
	s_cmp_lt_i32 s27, 5
	s_cbranch_scc1 .LBB110_1774
; %bb.1770:
	s_cmp_lt_i32 s27, 8
	s_cbranch_scc1 .LBB110_1775
; %bb.1771:
	s_cmp_lt_i32 s27, 9
	s_cbranch_scc1 .LBB110_1776
; %bb.1772:
	s_cmp_gt_i32 s27, 9
	s_cbranch_scc0 .LBB110_1777
; %bb.1773:
	s_wait_loadcnt 0x0
	global_load_b64 v[4:5], v[0:1], off
	s_mov_b32 s27, 0
	s_branch .LBB110_1778
.LBB110_1774:
                                        ; implicit-def: $vgpr4_vgpr5
	s_branch .LBB110_1795
.LBB110_1775:
                                        ; implicit-def: $vgpr4_vgpr5
	s_branch .LBB110_1784
.LBB110_1776:
	s_mov_b32 s27, -1
                                        ; implicit-def: $vgpr4_vgpr5
	s_branch .LBB110_1781
.LBB110_1777:
	s_mov_b32 s27, -1
                                        ; implicit-def: $vgpr4_vgpr5
.LBB110_1778:
	s_delay_alu instid0(SALU_CYCLE_1)
	s_and_not1_b32 vcc_lo, exec_lo, s27
	s_cbranch_vccnz .LBB110_1780
; %bb.1779:
	s_wait_loadcnt 0x0
	global_load_b32 v4, v[0:1], off
	s_wait_loadcnt 0x0
	v_cvt_f64_f32_e32 v[4:5], v4
.LBB110_1780:
	s_mov_b32 s27, 0
.LBB110_1781:
	s_delay_alu instid0(SALU_CYCLE_1)
	s_and_not1_b32 vcc_lo, exec_lo, s27
	s_cbranch_vccnz .LBB110_1783
; %bb.1782:
	s_wait_loadcnt 0x0
	global_load_b32 v4, v[0:1], off
	s_wait_loadcnt 0x0
	v_cvt_f32_f16_e32 v4, v4
	s_delay_alu instid0(VALU_DEP_1)
	v_cvt_f64_f32_e32 v[4:5], v4
.LBB110_1783:
	s_cbranch_execnz .LBB110_1794
.LBB110_1784:
	s_sext_i32_i16 s27, s0
	s_delay_alu instid0(SALU_CYCLE_1)
	s_cmp_lt_i32 s27, 6
	s_cbranch_scc1 .LBB110_1787
; %bb.1785:
	s_cmp_gt_i32 s27, 6
	s_cbranch_scc0 .LBB110_1788
; %bb.1786:
	s_wait_loadcnt 0x0
	global_load_b64 v[4:5], v[0:1], off
	s_mov_b32 s27, 0
	s_branch .LBB110_1789
.LBB110_1787:
	s_mov_b32 s27, -1
                                        ; implicit-def: $vgpr4_vgpr5
	s_branch .LBB110_1792
.LBB110_1788:
	s_mov_b32 s27, -1
                                        ; implicit-def: $vgpr4_vgpr5
.LBB110_1789:
	s_delay_alu instid0(SALU_CYCLE_1)
	s_and_not1_b32 vcc_lo, exec_lo, s27
	s_cbranch_vccnz .LBB110_1791
; %bb.1790:
	s_wait_loadcnt 0x0
	global_load_b32 v4, v[0:1], off
	s_wait_loadcnt 0x0
	v_cvt_f64_f32_e32 v[4:5], v4
.LBB110_1791:
	s_mov_b32 s27, 0
.LBB110_1792:
	s_delay_alu instid0(SALU_CYCLE_1)
	s_and_not1_b32 vcc_lo, exec_lo, s27
	s_cbranch_vccnz .LBB110_1794
; %bb.1793:
	s_wait_loadcnt 0x0
	global_load_u16 v4, v[0:1], off
	s_wait_loadcnt 0x0
	v_cvt_f32_f16_e32 v4, v4
	s_delay_alu instid0(VALU_DEP_1)
	v_cvt_f64_f32_e32 v[4:5], v4
.LBB110_1794:
	s_cbranch_execnz .LBB110_1813
.LBB110_1795:
	s_sext_i32_i16 s27, s0
	s_delay_alu instid0(SALU_CYCLE_1)
	s_cmp_lt_i32 s27, 2
	s_cbranch_scc1 .LBB110_1799
; %bb.1796:
	s_cmp_lt_i32 s27, 3
	s_cbranch_scc1 .LBB110_1800
; %bb.1797:
	s_cmp_gt_i32 s27, 3
	s_cbranch_scc0 .LBB110_1801
; %bb.1798:
	s_wait_loadcnt 0x0
	global_load_b64 v[4:5], v[0:1], off
	s_mov_b32 s27, 0
	s_wait_loadcnt 0x0
	v_cvt_f64_i32_e32 v[6:7], v5
	v_cvt_f64_u32_e32 v[4:5], v4
	s_delay_alu instid0(VALU_DEP_2) | instskip(NEXT) | instid1(VALU_DEP_1)
	v_ldexp_f64 v[6:7], v[6:7], 32
	v_add_f64_e32 v[4:5], v[6:7], v[4:5]
	s_branch .LBB110_1802
.LBB110_1799:
                                        ; implicit-def: $vgpr4_vgpr5
	s_branch .LBB110_1808
.LBB110_1800:
	s_mov_b32 s27, -1
                                        ; implicit-def: $vgpr4_vgpr5
	s_branch .LBB110_1805
.LBB110_1801:
	s_mov_b32 s27, -1
                                        ; implicit-def: $vgpr4_vgpr5
.LBB110_1802:
	s_delay_alu instid0(SALU_CYCLE_1)
	s_and_not1_b32 vcc_lo, exec_lo, s27
	s_cbranch_vccnz .LBB110_1804
; %bb.1803:
	s_wait_loadcnt 0x0
	global_load_b32 v4, v[0:1], off
	s_wait_loadcnt 0x0
	v_cvt_f64_i32_e32 v[4:5], v4
.LBB110_1804:
	s_mov_b32 s27, 0
.LBB110_1805:
	s_delay_alu instid0(SALU_CYCLE_1)
	s_and_not1_b32 vcc_lo, exec_lo, s27
	s_cbranch_vccnz .LBB110_1807
; %bb.1806:
	s_wait_loadcnt 0x0
	global_load_i16 v4, v[0:1], off
	s_wait_loadcnt 0x0
	v_cvt_f64_i32_e32 v[4:5], v4
.LBB110_1807:
	s_cbranch_execnz .LBB110_1813
.LBB110_1808:
	s_sext_i32_i16 s0, s0
	s_delay_alu instid0(SALU_CYCLE_1)
	s_cmp_gt_i32 s0, 0
	s_mov_b32 s0, 0
	s_cbranch_scc0 .LBB110_1810
; %bb.1809:
	s_wait_loadcnt 0x0
	global_load_i8 v4, v[0:1], off
	s_wait_loadcnt 0x0
	v_cvt_f64_i32_e32 v[4:5], v4
	s_branch .LBB110_1811
.LBB110_1810:
	s_mov_b32 s0, -1
                                        ; implicit-def: $vgpr4_vgpr5
.LBB110_1811:
	s_delay_alu instid0(SALU_CYCLE_1)
	s_and_not1_b32 vcc_lo, exec_lo, s0
	s_cbranch_vccnz .LBB110_1813
; %bb.1812:
	s_wait_loadcnt 0x0
	global_load_u8 v0, v[0:1], off
	s_wait_loadcnt 0x0
	v_cvt_f64_u32_e32 v[4:5], v0
.LBB110_1813:
	s_or_b32 s28, s28, exec_lo
.LBB110_1814:
	s_wait_xcnt 0x0
	s_or_b32 exec_lo, exec_lo, s26
	s_mov_b32 s27, 0
	s_mov_b32 s26, 0
	;; [unrolled: 1-line block ×3, first 2 shown]
                                        ; implicit-def: $vgpr0_vgpr1
                                        ; implicit-def: $vgpr8_vgpr9
	s_and_saveexec_b32 s0, s28
	s_cbranch_execz .LBB110_1822
; %bb.1815:
	s_wait_loadcnt 0x0
	v_mul_lo_u32 v0, v26, s15
	s_and_b32 s26, 0xffff, s1
	s_delay_alu instid0(SALU_CYCLE_1) | instskip(NEXT) | instid1(VALU_DEP_1)
	s_cmp_lt_i32 s26, 11
	v_ashrrev_i32_e32 v1, 31, v0
	s_delay_alu instid0(VALU_DEP_1)
	v_add_nc_u64_e32 v[0:1], s[10:11], v[0:1]
	s_cbranch_scc1 .LBB110_1825
; %bb.1816:
	s_cmp_gt_i32 s26, 25
	s_mov_b32 s28, 0
	s_cbranch_scc0 .LBB110_1826
; %bb.1817:
	s_cmp_gt_i32 s26, 28
	s_cbranch_scc0 .LBB110_1827
; %bb.1818:
	s_cmp_gt_i32 s26, 43
	;; [unrolled: 3-line block ×3, first 2 shown]
	s_cbranch_scc0 .LBB110_1829
; %bb.1820:
	s_cmp_eq_u32 s26, 46
	s_mov_b32 s30, 0
	s_cbranch_scc0 .LBB110_1830
; %bb.1821:
	global_load_b32 v6, v[0:1], off
	s_mov_b32 s29, -1
	s_wait_loadcnt 0x0
	v_lshlrev_b32_e32 v6, 16, v6
	s_delay_alu instid0(VALU_DEP_1)
	v_cvt_f64_f32_e32 v[8:9], v6
	s_branch .LBB110_1832
.LBB110_1822:
	s_or_b32 exec_lo, exec_lo, s0
	s_and_saveexec_b32 s0, s25
	s_cbranch_execnz .LBB110_1895
.LBB110_1823:
	s_or_b32 exec_lo, exec_lo, s0
	s_and_saveexec_b32 s0, s27
	s_delay_alu instid0(SALU_CYCLE_1)
	s_xor_b32 s0, exec_lo, s0
	s_cbranch_execz .LBB110_1896
.LBB110_1824:
	s_wait_loadcnt 0x0
	global_load_u8 v6, v[0:1], off
	v_mov_b32_e32 v8, 0
	s_or_b32 s29, s29, exec_lo
	s_wait_loadcnt 0x0
	v_cmp_ne_u16_e32 vcc_lo, 0, v6
	v_cndmask_b32_e64 v9, 0, 0x3ff00000, vcc_lo
	s_wait_xcnt 0x0
	s_or_b32 exec_lo, exec_lo, s0
	s_and_saveexec_b32 s0, s26
	s_cbranch_execz .LBB110_1942
	s_branch .LBB110_1897
.LBB110_1825:
	s_mov_b32 s26, -1
	s_mov_b32 s28, 0
	s_mov_b32 s27, s25
                                        ; implicit-def: $vgpr8_vgpr9
	s_branch .LBB110_1894
.LBB110_1826:
	s_mov_b32 s27, s25
                                        ; implicit-def: $vgpr8_vgpr9
	s_cbranch_execnz .LBB110_1861
	s_branch .LBB110_1893
.LBB110_1827:
	s_mov_b32 s30, -1
	s_mov_b32 s27, s25
                                        ; implicit-def: $vgpr8_vgpr9
	s_branch .LBB110_1842
.LBB110_1828:
	s_mov_b32 s30, -1
	s_mov_b32 s27, s25
                                        ; implicit-def: $vgpr8_vgpr9
	s_branch .LBB110_1837
.LBB110_1829:
	s_mov_b32 s30, -1
	s_mov_b32 s27, s25
	s_branch .LBB110_1831
.LBB110_1830:
	s_mov_b32 s27, -1
.LBB110_1831:
                                        ; implicit-def: $vgpr8_vgpr9
.LBB110_1832:
	s_and_b32 vcc_lo, exec_lo, s30
	s_cbranch_vccz .LBB110_1836
; %bb.1833:
	s_cmp_eq_u32 s26, 44
	s_cbranch_scc0 .LBB110_1835
; %bb.1834:
	global_load_u8 v8, v[0:1], off
	s_mov_b32 s27, 0
	s_mov_b32 s29, -1
	s_wait_loadcnt 0x0
	v_cmp_ne_u32_e32 vcc_lo, 0xff, v8
	v_lshlrev_b32_e32 v6, 23, v8
	s_delay_alu instid0(VALU_DEP_1) | instskip(NEXT) | instid1(VALU_DEP_1)
	v_cvt_f64_f32_e32 v[6:7], v6
	v_cndmask_b32_e32 v6, 0x20000000, v6, vcc_lo
	s_delay_alu instid0(VALU_DEP_2) | instskip(SKIP_1) | instid1(VALU_DEP_2)
	v_cndmask_b32_e32 v7, 0x7ff80000, v7, vcc_lo
	v_cmp_ne_u32_e32 vcc_lo, 0, v8
	v_cndmask_b32_e32 v9, 0x38000000, v7, vcc_lo
	s_delay_alu instid0(VALU_DEP_4)
	v_cndmask_b32_e32 v8, 0, v6, vcc_lo
	s_branch .LBB110_1836
.LBB110_1835:
	s_mov_b32 s27, -1
                                        ; implicit-def: $vgpr8_vgpr9
.LBB110_1836:
	s_mov_b32 s30, 0
.LBB110_1837:
	s_delay_alu instid0(SALU_CYCLE_1)
	s_and_b32 vcc_lo, exec_lo, s30
	s_cbranch_vccz .LBB110_1841
; %bb.1838:
	s_cmp_eq_u32 s26, 29
	s_cbranch_scc0 .LBB110_1840
; %bb.1839:
	global_load_b64 v[6:7], v[0:1], off
	s_mov_b32 s27, 0
	s_mov_b32 s29, -1
	s_mov_b32 s30, 0
	s_wait_loadcnt 0x0
	v_cvt_f64_u32_e32 v[8:9], v7
	v_cvt_f64_u32_e32 v[6:7], v6
	s_delay_alu instid0(VALU_DEP_2) | instskip(NEXT) | instid1(VALU_DEP_1)
	v_ldexp_f64 v[8:9], v[8:9], 32
	v_add_f64_e32 v[8:9], v[8:9], v[6:7]
	s_branch .LBB110_1842
.LBB110_1840:
	s_mov_b32 s27, -1
                                        ; implicit-def: $vgpr8_vgpr9
.LBB110_1841:
	s_mov_b32 s30, 0
.LBB110_1842:
	s_delay_alu instid0(SALU_CYCLE_1)
	s_and_b32 vcc_lo, exec_lo, s30
	s_cbranch_vccz .LBB110_1860
; %bb.1843:
	s_cmp_lt_i32 s26, 27
	s_cbranch_scc1 .LBB110_1846
; %bb.1844:
	s_cmp_gt_i32 s26, 27
	s_cbranch_scc0 .LBB110_1847
; %bb.1845:
	global_load_b32 v6, v[0:1], off
	s_mov_b32 s29, 0
	s_wait_loadcnt 0x0
	v_cvt_f64_u32_e32 v[8:9], v6
	s_branch .LBB110_1848
.LBB110_1846:
	s_mov_b32 s29, -1
                                        ; implicit-def: $vgpr8_vgpr9
	s_branch .LBB110_1851
.LBB110_1847:
	s_mov_b32 s29, -1
                                        ; implicit-def: $vgpr8_vgpr9
.LBB110_1848:
	s_delay_alu instid0(SALU_CYCLE_1)
	s_and_not1_b32 vcc_lo, exec_lo, s29
	s_cbranch_vccnz .LBB110_1850
; %bb.1849:
	global_load_u16 v6, v[0:1], off
	s_wait_loadcnt 0x0
	v_cvt_f64_u32_e32 v[8:9], v6
.LBB110_1850:
	s_mov_b32 s29, 0
.LBB110_1851:
	s_delay_alu instid0(SALU_CYCLE_1)
	s_and_not1_b32 vcc_lo, exec_lo, s29
	s_cbranch_vccnz .LBB110_1859
; %bb.1852:
	global_load_u8 v6, v[0:1], off
	s_mov_b32 s29, 0
	s_mov_b32 s30, exec_lo
	s_wait_loadcnt 0x0
	v_cmpx_lt_i16_e32 0x7f, v6
	s_xor_b32 s30, exec_lo, s30
	s_cbranch_execz .LBB110_1872
; %bb.1853:
	s_mov_b32 s29, -1
	s_mov_b32 s31, exec_lo
	v_cmpx_eq_u16_e32 0x80, v6
; %bb.1854:
	s_xor_b32 s29, exec_lo, -1
; %bb.1855:
	s_or_b32 exec_lo, exec_lo, s31
	s_delay_alu instid0(SALU_CYCLE_1)
	s_and_b32 s29, s29, exec_lo
	s_or_saveexec_b32 s30, s30
	v_mov_b64_e32 v[8:9], 0x7ff8000020000000
	s_xor_b32 exec_lo, exec_lo, s30
	s_cbranch_execnz .LBB110_1873
.LBB110_1856:
	s_or_b32 exec_lo, exec_lo, s30
	s_and_saveexec_b32 s30, s29
	s_cbranch_execz .LBB110_1858
.LBB110_1857:
	v_and_b32_e32 v7, 0xffff, v6
	s_delay_alu instid0(VALU_DEP_1) | instskip(SKIP_1) | instid1(VALU_DEP_2)
	v_and_b32_e32 v8, 7, v7
	v_bfe_u32 v11, v7, 3, 4
	v_clz_i32_u32_e32 v9, v8
	s_delay_alu instid0(VALU_DEP_2) | instskip(NEXT) | instid1(VALU_DEP_2)
	v_cmp_eq_u32_e32 vcc_lo, 0, v11
	v_min_u32_e32 v9, 32, v9
	s_delay_alu instid0(VALU_DEP_1) | instskip(NEXT) | instid1(VALU_DEP_1)
	v_subrev_nc_u32_e32 v10, 28, v9
	v_dual_lshlrev_b32 v7, v10, v7 :: v_dual_sub_nc_u32 v9, 29, v9
	s_delay_alu instid0(VALU_DEP_1) | instskip(NEXT) | instid1(VALU_DEP_1)
	v_dual_lshlrev_b32 v6, 24, v6 :: v_dual_bitop2_b32 v7, 7, v7 bitop3:0x40
	v_dual_cndmask_b32 v9, v11, v9, vcc_lo :: v_dual_cndmask_b32 v7, v8, v7, vcc_lo
	s_delay_alu instid0(VALU_DEP_2) | instskip(NEXT) | instid1(VALU_DEP_2)
	v_and_b32_e32 v6, 0x80000000, v6
	v_lshl_add_u32 v8, v9, 23, 0x3b800000
	s_delay_alu instid0(VALU_DEP_3) | instskip(NEXT) | instid1(VALU_DEP_1)
	v_lshlrev_b32_e32 v7, 20, v7
	v_or3_b32 v6, v6, v8, v7
	s_delay_alu instid0(VALU_DEP_1)
	v_cvt_f64_f32_e32 v[8:9], v6
.LBB110_1858:
	s_or_b32 exec_lo, exec_lo, s30
.LBB110_1859:
	s_mov_b32 s29, -1
.LBB110_1860:
	s_branch .LBB110_1893
.LBB110_1861:
	s_cmp_gt_i32 s26, 22
	s_cbranch_scc0 .LBB110_1871
; %bb.1862:
	s_cmp_lt_i32 s26, 24
	s_cbranch_scc1 .LBB110_1874
; %bb.1863:
	s_cmp_gt_i32 s26, 24
	s_cbranch_scc0 .LBB110_1875
; %bb.1864:
	global_load_u8 v6, v[0:1], off
	s_mov_b32 s29, exec_lo
	s_wait_loadcnt 0x0
	v_cmpx_lt_i16_e32 0x7f, v6
	s_xor_b32 s29, exec_lo, s29
	s_cbranch_execz .LBB110_1887
; %bb.1865:
	s_mov_b32 s28, -1
	s_mov_b32 s30, exec_lo
	v_cmpx_eq_u16_e32 0x80, v6
; %bb.1866:
	s_xor_b32 s28, exec_lo, -1
; %bb.1867:
	s_or_b32 exec_lo, exec_lo, s30
	s_delay_alu instid0(SALU_CYCLE_1)
	s_and_b32 s28, s28, exec_lo
	s_or_saveexec_b32 s29, s29
	v_mov_b64_e32 v[8:9], 0x7ff8000020000000
	s_xor_b32 exec_lo, exec_lo, s29
	s_cbranch_execnz .LBB110_1888
.LBB110_1868:
	s_or_b32 exec_lo, exec_lo, s29
	s_and_saveexec_b32 s29, s28
	s_cbranch_execz .LBB110_1870
.LBB110_1869:
	v_and_b32_e32 v7, 0xffff, v6
	s_delay_alu instid0(VALU_DEP_1) | instskip(SKIP_1) | instid1(VALU_DEP_2)
	v_and_b32_e32 v8, 3, v7
	v_bfe_u32 v11, v7, 2, 5
	v_clz_i32_u32_e32 v9, v8
	s_delay_alu instid0(VALU_DEP_2) | instskip(NEXT) | instid1(VALU_DEP_2)
	v_cmp_eq_u32_e32 vcc_lo, 0, v11
	v_min_u32_e32 v9, 32, v9
	s_delay_alu instid0(VALU_DEP_1) | instskip(NEXT) | instid1(VALU_DEP_1)
	v_subrev_nc_u32_e32 v10, 29, v9
	v_dual_lshlrev_b32 v7, v10, v7 :: v_dual_sub_nc_u32 v9, 30, v9
	s_delay_alu instid0(VALU_DEP_1) | instskip(NEXT) | instid1(VALU_DEP_1)
	v_dual_lshlrev_b32 v6, 24, v6 :: v_dual_bitop2_b32 v7, 3, v7 bitop3:0x40
	v_dual_cndmask_b32 v9, v11, v9, vcc_lo :: v_dual_cndmask_b32 v7, v8, v7, vcc_lo
	s_delay_alu instid0(VALU_DEP_2) | instskip(NEXT) | instid1(VALU_DEP_2)
	v_and_b32_e32 v6, 0x80000000, v6
	v_lshl_add_u32 v8, v9, 23, 0x37800000
	s_delay_alu instid0(VALU_DEP_3) | instskip(NEXT) | instid1(VALU_DEP_1)
	v_lshlrev_b32_e32 v7, 21, v7
	v_or3_b32 v6, v6, v8, v7
	s_delay_alu instid0(VALU_DEP_1)
	v_cvt_f64_f32_e32 v[8:9], v6
.LBB110_1870:
	s_or_b32 exec_lo, exec_lo, s29
	s_mov_b32 s28, 0
	s_branch .LBB110_1876
.LBB110_1871:
	s_mov_b32 s28, -1
                                        ; implicit-def: $vgpr8_vgpr9
	s_branch .LBB110_1882
.LBB110_1872:
	s_or_saveexec_b32 s30, s30
	v_mov_b64_e32 v[8:9], 0x7ff8000020000000
	s_xor_b32 exec_lo, exec_lo, s30
	s_cbranch_execz .LBB110_1856
.LBB110_1873:
	v_cmp_ne_u16_e32 vcc_lo, 0, v6
	v_mov_b64_e32 v[8:9], 0
	s_and_not1_b32 s29, s29, exec_lo
	s_and_b32 s31, vcc_lo, exec_lo
	s_delay_alu instid0(SALU_CYCLE_1)
	s_or_b32 s29, s29, s31
	s_or_b32 exec_lo, exec_lo, s30
	s_and_saveexec_b32 s30, s29
	s_cbranch_execnz .LBB110_1857
	s_branch .LBB110_1858
.LBB110_1874:
	s_mov_b32 s28, -1
                                        ; implicit-def: $vgpr8_vgpr9
	s_branch .LBB110_1879
.LBB110_1875:
	s_mov_b32 s28, -1
                                        ; implicit-def: $vgpr8_vgpr9
.LBB110_1876:
	s_delay_alu instid0(SALU_CYCLE_1)
	s_and_b32 vcc_lo, exec_lo, s28
	s_cbranch_vccz .LBB110_1878
; %bb.1877:
	global_load_u8 v6, v[0:1], off
	s_wait_loadcnt 0x0
	v_lshlrev_b32_e32 v6, 24, v6
	s_delay_alu instid0(VALU_DEP_1) | instskip(NEXT) | instid1(VALU_DEP_1)
	v_and_b32_e32 v7, 0x7f000000, v6
	v_clz_i32_u32_e32 v8, v7
	v_cmp_ne_u32_e32 vcc_lo, 0, v7
	v_add_nc_u32_e32 v10, 0x1000000, v7
	s_delay_alu instid0(VALU_DEP_3) | instskip(NEXT) | instid1(VALU_DEP_1)
	v_min_u32_e32 v8, 32, v8
	v_sub_nc_u32_e64 v8, v8, 4 clamp
	s_delay_alu instid0(VALU_DEP_1) | instskip(NEXT) | instid1(VALU_DEP_1)
	v_dual_lshlrev_b32 v9, v8, v7 :: v_dual_lshlrev_b32 v8, 23, v8
	v_lshrrev_b32_e32 v9, 4, v9
	s_delay_alu instid0(VALU_DEP_1) | instskip(NEXT) | instid1(VALU_DEP_1)
	v_dual_sub_nc_u32 v8, v9, v8 :: v_dual_ashrrev_i32 v9, 8, v10
	v_add_nc_u32_e32 v8, 0x3c000000, v8
	s_delay_alu instid0(VALU_DEP_1) | instskip(NEXT) | instid1(VALU_DEP_1)
	v_and_or_b32 v8, 0x7f800000, v9, v8
	v_cndmask_b32_e32 v7, 0, v8, vcc_lo
	s_delay_alu instid0(VALU_DEP_1) | instskip(NEXT) | instid1(VALU_DEP_1)
	v_and_or_b32 v6, 0x80000000, v6, v7
	v_cvt_f64_f32_e32 v[8:9], v6
.LBB110_1878:
	s_mov_b32 s28, 0
.LBB110_1879:
	s_delay_alu instid0(SALU_CYCLE_1)
	s_and_not1_b32 vcc_lo, exec_lo, s28
	s_cbranch_vccnz .LBB110_1881
; %bb.1880:
	global_load_u8 v6, v[0:1], off
	s_wait_loadcnt 0x0
	v_lshlrev_b32_e32 v7, 25, v6
	v_lshlrev_b16 v6, 8, v6
	s_delay_alu instid0(VALU_DEP_1) | instskip(SKIP_1) | instid1(VALU_DEP_2)
	v_and_or_b32 v9, 0x7f00, v6, 0.5
	v_bfe_i32 v6, v6, 0, 16
	v_dual_add_f32 v9, -0.5, v9 :: v_dual_lshrrev_b32 v8, 4, v7
	v_cmp_gt_u32_e32 vcc_lo, 0x8000000, v7
	s_delay_alu instid0(VALU_DEP_2) | instskip(NEXT) | instid1(VALU_DEP_1)
	v_or_b32_e32 v8, 0x70000000, v8
	v_mul_f32_e32 v8, 0x7800000, v8
	s_delay_alu instid0(VALU_DEP_1) | instskip(NEXT) | instid1(VALU_DEP_1)
	v_cndmask_b32_e32 v7, v8, v9, vcc_lo
	v_and_or_b32 v6, 0x80000000, v6, v7
	s_delay_alu instid0(VALU_DEP_1)
	v_cvt_f64_f32_e32 v[8:9], v6
.LBB110_1881:
	s_mov_b32 s28, 0
	s_mov_b32 s29, -1
.LBB110_1882:
	s_and_not1_b32 vcc_lo, exec_lo, s28
	s_mov_b32 s28, 0
	s_cbranch_vccnz .LBB110_1893
; %bb.1883:
	s_cmp_gt_i32 s26, 14
	s_cbranch_scc0 .LBB110_1886
; %bb.1884:
	s_cmp_eq_u32 s26, 15
	s_cbranch_scc0 .LBB110_1889
; %bb.1885:
	global_load_u16 v6, v[0:1], off
	s_mov_b32 s27, 0
	s_mov_b32 s29, -1
	s_wait_loadcnt 0x0
	v_lshlrev_b32_e32 v6, 16, v6
	s_delay_alu instid0(VALU_DEP_1)
	v_cvt_f64_f32_e32 v[8:9], v6
	s_branch .LBB110_1891
.LBB110_1886:
	s_mov_b32 s28, -1
	s_branch .LBB110_1890
.LBB110_1887:
	s_or_saveexec_b32 s29, s29
	v_mov_b64_e32 v[8:9], 0x7ff8000020000000
	s_xor_b32 exec_lo, exec_lo, s29
	s_cbranch_execz .LBB110_1868
.LBB110_1888:
	v_cmp_ne_u16_e32 vcc_lo, 0, v6
	v_mov_b64_e32 v[8:9], 0
	s_and_not1_b32 s28, s28, exec_lo
	s_and_b32 s30, vcc_lo, exec_lo
	s_delay_alu instid0(SALU_CYCLE_1)
	s_or_b32 s28, s28, s30
	s_or_b32 exec_lo, exec_lo, s29
	s_and_saveexec_b32 s29, s28
	s_cbranch_execnz .LBB110_1869
	s_branch .LBB110_1870
.LBB110_1889:
	s_mov_b32 s27, -1
.LBB110_1890:
                                        ; implicit-def: $vgpr8_vgpr9
.LBB110_1891:
	s_and_b32 vcc_lo, exec_lo, s28
	s_mov_b32 s28, 0
	s_cbranch_vccz .LBB110_1893
; %bb.1892:
	s_cmp_lg_u32 s26, 11
	s_mov_b32 s28, -1
	s_cselect_b32 s26, -1, 0
	s_and_not1_b32 s27, s27, exec_lo
	s_and_b32 s26, s26, exec_lo
	s_delay_alu instid0(SALU_CYCLE_1)
	s_or_b32 s27, s27, s26
.LBB110_1893:
	s_mov_b32 s26, 0
.LBB110_1894:
	s_and_not1_b32 s25, s25, exec_lo
	s_and_b32 s30, s27, exec_lo
	s_and_b32 s29, s29, exec_lo
	;; [unrolled: 1-line block ×4, first 2 shown]
	s_or_b32 s25, s25, s30
	s_wait_xcnt 0x0
	s_or_b32 exec_lo, exec_lo, s0
	s_and_saveexec_b32 s0, s25
	s_cbranch_execz .LBB110_1823
.LBB110_1895:
	s_or_b32 s24, s24, exec_lo
	s_and_not1_b32 s27, s27, exec_lo
	s_trap 2
	s_or_b32 exec_lo, exec_lo, s0
	s_and_saveexec_b32 s0, s27
	s_delay_alu instid0(SALU_CYCLE_1)
	s_xor_b32 s0, exec_lo, s0
	s_cbranch_execnz .LBB110_1824
.LBB110_1896:
	s_or_b32 exec_lo, exec_lo, s0
	s_and_saveexec_b32 s0, s26
	s_cbranch_execz .LBB110_1942
.LBB110_1897:
	s_sext_i32_i16 s25, s1
	s_delay_alu instid0(SALU_CYCLE_1)
	s_cmp_lt_i32 s25, 5
	s_cbranch_scc1 .LBB110_1902
; %bb.1898:
	s_cmp_lt_i32 s25, 8
	s_cbranch_scc1 .LBB110_1903
; %bb.1899:
	;; [unrolled: 3-line block ×3, first 2 shown]
	s_cmp_gt_i32 s25, 9
	s_cbranch_scc0 .LBB110_1905
; %bb.1901:
	s_wait_loadcnt 0x0
	global_load_b64 v[8:9], v[0:1], off
	s_mov_b32 s25, 0
	s_branch .LBB110_1906
.LBB110_1902:
                                        ; implicit-def: $vgpr8_vgpr9
	s_branch .LBB110_1923
.LBB110_1903:
                                        ; implicit-def: $vgpr8_vgpr9
	s_branch .LBB110_1912
.LBB110_1904:
	s_mov_b32 s25, -1
                                        ; implicit-def: $vgpr8_vgpr9
	s_branch .LBB110_1909
.LBB110_1905:
	s_mov_b32 s25, -1
                                        ; implicit-def: $vgpr8_vgpr9
.LBB110_1906:
	s_delay_alu instid0(SALU_CYCLE_1)
	s_and_not1_b32 vcc_lo, exec_lo, s25
	s_cbranch_vccnz .LBB110_1908
; %bb.1907:
	s_wait_loadcnt 0x0
	global_load_b32 v6, v[0:1], off
	s_wait_loadcnt 0x0
	v_cvt_f64_f32_e32 v[8:9], v6
.LBB110_1908:
	s_mov_b32 s25, 0
.LBB110_1909:
	s_delay_alu instid0(SALU_CYCLE_1)
	s_and_not1_b32 vcc_lo, exec_lo, s25
	s_cbranch_vccnz .LBB110_1911
; %bb.1910:
	s_wait_loadcnt 0x0
	global_load_b32 v6, v[0:1], off
	s_wait_loadcnt 0x0
	v_cvt_f32_f16_e32 v6, v6
	s_delay_alu instid0(VALU_DEP_1)
	v_cvt_f64_f32_e32 v[8:9], v6
.LBB110_1911:
	s_cbranch_execnz .LBB110_1922
.LBB110_1912:
	s_sext_i32_i16 s25, s1
	s_delay_alu instid0(SALU_CYCLE_1)
	s_cmp_lt_i32 s25, 6
	s_cbranch_scc1 .LBB110_1915
; %bb.1913:
	s_cmp_gt_i32 s25, 6
	s_cbranch_scc0 .LBB110_1916
; %bb.1914:
	s_wait_loadcnt 0x0
	global_load_b64 v[8:9], v[0:1], off
	s_mov_b32 s25, 0
	s_branch .LBB110_1917
.LBB110_1915:
	s_mov_b32 s25, -1
                                        ; implicit-def: $vgpr8_vgpr9
	s_branch .LBB110_1920
.LBB110_1916:
	s_mov_b32 s25, -1
                                        ; implicit-def: $vgpr8_vgpr9
.LBB110_1917:
	s_delay_alu instid0(SALU_CYCLE_1)
	s_and_not1_b32 vcc_lo, exec_lo, s25
	s_cbranch_vccnz .LBB110_1919
; %bb.1918:
	s_wait_loadcnt 0x0
	global_load_b32 v6, v[0:1], off
	s_wait_loadcnt 0x0
	v_cvt_f64_f32_e32 v[8:9], v6
.LBB110_1919:
	s_mov_b32 s25, 0
.LBB110_1920:
	s_delay_alu instid0(SALU_CYCLE_1)
	s_and_not1_b32 vcc_lo, exec_lo, s25
	s_cbranch_vccnz .LBB110_1922
; %bb.1921:
	s_wait_loadcnt 0x0
	global_load_u16 v6, v[0:1], off
	s_wait_loadcnt 0x0
	v_cvt_f32_f16_e32 v6, v6
	s_delay_alu instid0(VALU_DEP_1)
	v_cvt_f64_f32_e32 v[8:9], v6
.LBB110_1922:
	s_cbranch_execnz .LBB110_1941
.LBB110_1923:
	s_sext_i32_i16 s25, s1
	s_delay_alu instid0(SALU_CYCLE_1)
	s_cmp_lt_i32 s25, 2
	s_cbranch_scc1 .LBB110_1927
; %bb.1924:
	s_cmp_lt_i32 s25, 3
	s_cbranch_scc1 .LBB110_1928
; %bb.1925:
	s_cmp_gt_i32 s25, 3
	s_cbranch_scc0 .LBB110_1929
; %bb.1926:
	s_wait_loadcnt 0x0
	global_load_b64 v[6:7], v[0:1], off
	s_mov_b32 s25, 0
	s_wait_loadcnt 0x0
	v_cvt_f64_i32_e32 v[8:9], v7
	v_cvt_f64_u32_e32 v[6:7], v6
	s_delay_alu instid0(VALU_DEP_2) | instskip(NEXT) | instid1(VALU_DEP_1)
	v_ldexp_f64 v[8:9], v[8:9], 32
	v_add_f64_e32 v[8:9], v[8:9], v[6:7]
	s_branch .LBB110_1930
.LBB110_1927:
                                        ; implicit-def: $vgpr8_vgpr9
	s_branch .LBB110_1936
.LBB110_1928:
	s_mov_b32 s25, -1
                                        ; implicit-def: $vgpr8_vgpr9
	s_branch .LBB110_1933
.LBB110_1929:
	s_mov_b32 s25, -1
                                        ; implicit-def: $vgpr8_vgpr9
.LBB110_1930:
	s_delay_alu instid0(SALU_CYCLE_1)
	s_and_not1_b32 vcc_lo, exec_lo, s25
	s_cbranch_vccnz .LBB110_1932
; %bb.1931:
	s_wait_loadcnt 0x0
	global_load_b32 v6, v[0:1], off
	s_wait_loadcnt 0x0
	v_cvt_f64_i32_e32 v[8:9], v6
.LBB110_1932:
	s_mov_b32 s25, 0
.LBB110_1933:
	s_delay_alu instid0(SALU_CYCLE_1)
	s_and_not1_b32 vcc_lo, exec_lo, s25
	s_cbranch_vccnz .LBB110_1935
; %bb.1934:
	s_wait_loadcnt 0x0
	global_load_i16 v6, v[0:1], off
	s_wait_loadcnt 0x0
	v_cvt_f64_i32_e32 v[8:9], v6
.LBB110_1935:
	s_cbranch_execnz .LBB110_1941
.LBB110_1936:
	s_sext_i32_i16 s25, s1
	s_delay_alu instid0(SALU_CYCLE_1)
	s_cmp_gt_i32 s25, 0
	s_mov_b32 s25, 0
	s_cbranch_scc0 .LBB110_1938
; %bb.1937:
	s_wait_loadcnt 0x0
	global_load_i8 v6, v[0:1], off
	s_wait_loadcnt 0x0
	v_cvt_f64_i32_e32 v[8:9], v6
	s_branch .LBB110_1939
.LBB110_1938:
	s_mov_b32 s25, -1
                                        ; implicit-def: $vgpr8_vgpr9
.LBB110_1939:
	s_delay_alu instid0(SALU_CYCLE_1)
	s_and_not1_b32 vcc_lo, exec_lo, s25
	s_cbranch_vccnz .LBB110_1941
; %bb.1940:
	s_wait_loadcnt 0x0
	global_load_u8 v0, v[0:1], off
	s_wait_loadcnt 0x0
	v_cvt_f64_u32_e32 v[8:9], v0
.LBB110_1941:
	s_or_b32 s29, s29, exec_lo
.LBB110_1942:
	s_wait_xcnt 0x0
	s_or_b32 exec_lo, exec_lo, s0
	s_mov_b32 s0, 0
	s_mov_b32 s27, 0
                                        ; implicit-def: $sgpr25
                                        ; implicit-def: $vgpr6_vgpr7
                                        ; implicit-def: $vgpr0_vgpr1
	s_and_saveexec_b32 s26, s29
	s_cbranch_execz .LBB110_1950
; %bb.1943:
	s_wait_loadcnt 0x0
	s_delay_alu instid0(VALU_DEP_1) | instskip(SKIP_1) | instid1(SALU_CYCLE_1)
	v_mul_f64_e32 v[0:1], s[18:19], v[4:5]
	s_and_b32 s25, s2, 0xff
	s_cmp_lt_i32 s25, 11
	s_delay_alu instid0(VALU_DEP_1) | instskip(NEXT) | instid1(VALU_DEP_1)
	v_mul_f64_e32 v[0:1], v[0:1], v[8:9]
	v_fmac_f64_e32 v[0:1], s[16:17], v[2:3]
	v_mul_lo_u32 v2, v26, s12
	s_delay_alu instid0(VALU_DEP_1) | instskip(NEXT) | instid1(VALU_DEP_1)
	v_ashrrev_i32_e32 v3, 31, v2
	v_add_nc_u64_e32 v[6:7], s[4:5], v[2:3]
	s_cbranch_scc1 .LBB110_1953
; %bb.1944:
	s_and_b32 s27, 0xffff, s25
	s_mov_b32 s28, -1
	s_cmp_gt_i32 s27, 25
	s_mov_b32 s0, s23
	s_cbranch_scc0 .LBB110_1981
; %bb.1945:
	s_cmp_gt_i32 s27, 28
	s_mov_b32 s0, s23
	s_cbranch_scc0 .LBB110_1965
; %bb.1946:
	;; [unrolled: 4-line block ×4, first 2 shown]
	s_cmp_eq_u32 s27, 46
	s_mov_b32 s0, -1
	s_cbranch_scc0 .LBB110_1954
; %bb.1949:
	s_delay_alu instid0(VALU_DEP_4) | instskip(SKIP_2) | instid1(VALU_DEP_1)
	v_cvt_f32_f64_e32 v2, v[0:1]
	s_mov_b32 s0, 0
	s_mov_b32 s28, 0
	v_bfe_u32 v3, v2, 16, 1
	v_cmp_o_f32_e32 vcc_lo, v2, v2
	s_delay_alu instid0(VALU_DEP_2) | instskip(NEXT) | instid1(VALU_DEP_1)
	v_add3_u32 v3, v2, v3, 0x7fff
	v_lshrrev_b32_e32 v3, 16, v3
	s_delay_alu instid0(VALU_DEP_1)
	v_cndmask_b32_e32 v2, 0x7fc0, v3, vcc_lo
	global_store_b32 v[6:7], v2, off
	s_branch .LBB110_1955
.LBB110_1950:
	s_or_b32 exec_lo, exec_lo, s26
	s_and_saveexec_b32 s26, s23
	s_cbranch_execnz .LBB110_2023
.LBB110_1951:
	s_or_b32 exec_lo, exec_lo, s26
	s_and_saveexec_b32 s23, s0
	s_delay_alu instid0(SALU_CYCLE_1)
	s_xor_b32 s0, exec_lo, s23
	s_cbranch_execz .LBB110_2024
.LBB110_1952:
	s_wait_loadcnt 0x0
	s_delay_alu instid0(VALU_DEP_4)
	v_cmp_neq_f64_e32 vcc_lo, 0, v[0:1]
	v_cndmask_b32_e64 v2, 0, 1, vcc_lo
	global_store_b8 v[6:7], v2, off
	s_wait_xcnt 0x0
	s_or_b32 exec_lo, exec_lo, s0
	s_and_saveexec_b32 s0, s27
	s_delay_alu instid0(SALU_CYCLE_1)
	s_xor_b32 s0, exec_lo, s0
	s_cbranch_execz .LBB110_2062
	s_branch .LBB110_2025
.LBB110_1953:
	s_mov_b32 s29, 0
	s_mov_b32 s28, -1
	s_mov_b32 s0, s23
	s_branch .LBB110_2022
.LBB110_1954:
	s_mov_b32 s28, 0
.LBB110_1955:
	s_delay_alu instid0(SALU_CYCLE_1)
	s_and_b32 vcc_lo, exec_lo, s28
	s_cbranch_vccz .LBB110_1960
; %bb.1956:
	s_cmp_eq_u32 s27, 44
	s_mov_b32 s0, -1
	s_cbranch_scc0 .LBB110_1960
; %bb.1957:
	s_wait_xcnt 0x0
	s_delay_alu instid0(VALU_DEP_4) | instskip(SKIP_2) | instid1(VALU_DEP_2)
	v_cvt_f32_f64_e32 v2, v[0:1]
	v_mov_b32_e32 v3, 0xff
	s_mov_b32 s28, exec_lo
	v_bfe_u32 v4, v2, 23, 8
	s_delay_alu instid0(VALU_DEP_1)
	v_cmpx_ne_u32_e32 0xff, v4
	s_cbranch_execz .LBB110_1959
; %bb.1958:
	v_and_b32_e32 v3, 0x400000, v2
	v_and_or_b32 v4, 0x3fffff, v2, v4
	v_lshrrev_b32_e32 v2, 23, v2
	s_delay_alu instid0(VALU_DEP_3) | instskip(NEXT) | instid1(VALU_DEP_3)
	v_cmp_ne_u32_e32 vcc_lo, 0, v3
	v_cmp_ne_u32_e64 s0, 0, v4
	s_and_b32 s0, vcc_lo, s0
	s_delay_alu instid0(SALU_CYCLE_1) | instskip(NEXT) | instid1(VALU_DEP_1)
	v_cndmask_b32_e64 v3, 0, 1, s0
	v_add_nc_u32_e32 v3, v2, v3
.LBB110_1959:
	s_or_b32 exec_lo, exec_lo, s28
	s_mov_b32 s0, 0
	global_store_b8 v[6:7], v3, off
.LBB110_1960:
	s_mov_b32 s28, 0
.LBB110_1961:
	s_delay_alu instid0(SALU_CYCLE_1)
	s_and_b32 vcc_lo, exec_lo, s28
	s_cbranch_vccz .LBB110_1964
; %bb.1962:
	s_cmp_eq_u32 s27, 29
	s_mov_b32 s0, -1
	s_cbranch_scc0 .LBB110_1964
; %bb.1963:
	s_wait_xcnt 0x0
	s_delay_alu instid0(VALU_DEP_4) | instskip(SKIP_2) | instid1(VALU_DEP_1)
	v_trunc_f64_e32 v[2:3], v[0:1]
	s_mov_b32 s0, 0
	s_mov_b32 s28, 0
	v_ldexp_f64 v[4:5], v[2:3], 0xffffffe0
	s_delay_alu instid0(VALU_DEP_1) | instskip(NEXT) | instid1(VALU_DEP_1)
	v_floor_f64_e32 v[4:5], v[4:5]
	v_fmamk_f64 v[2:3], v[4:5], 0xc1f00000, v[2:3]
	v_cvt_u32_f64_e32 v5, v[4:5]
	s_delay_alu instid0(VALU_DEP_2)
	v_cvt_u32_f64_e32 v4, v[2:3]
	global_store_b64 v[6:7], v[4:5], off
	s_branch .LBB110_1965
.LBB110_1964:
	s_mov_b32 s28, 0
.LBB110_1965:
	s_delay_alu instid0(SALU_CYCLE_1)
	s_and_b32 vcc_lo, exec_lo, s28
	s_cbranch_vccz .LBB110_1980
; %bb.1966:
	s_cmp_lt_i32 s27, 27
	s_mov_b32 s28, -1
	s_cbranch_scc1 .LBB110_1972
; %bb.1967:
	s_wait_xcnt 0x0
	s_delay_alu instid0(VALU_DEP_4)
	v_cvt_u32_f64_e32 v2, v[0:1]
	s_cmp_gt_i32 s27, 27
	s_cbranch_scc0 .LBB110_1969
; %bb.1968:
	s_mov_b32 s28, 0
	global_store_b32 v[6:7], v2, off
.LBB110_1969:
	s_and_not1_b32 vcc_lo, exec_lo, s28
	s_cbranch_vccnz .LBB110_1971
; %bb.1970:
	global_store_b16 v[6:7], v2, off
.LBB110_1971:
	s_mov_b32 s28, 0
.LBB110_1972:
	s_delay_alu instid0(SALU_CYCLE_1)
	s_and_not1_b32 vcc_lo, exec_lo, s28
	s_cbranch_vccnz .LBB110_1980
; %bb.1973:
	s_wait_xcnt 0x0
	s_delay_alu instid0(VALU_DEP_4) | instskip(SKIP_2) | instid1(VALU_DEP_2)
	v_cvt_f32_f64_e32 v2, v[0:1]
	v_mov_b32_e32 v4, 0x80
	s_mov_b32 s28, exec_lo
	v_and_b32_e32 v3, 0x7fffffff, v2
	s_delay_alu instid0(VALU_DEP_1)
	v_cmpx_gt_u32_e32 0x43800000, v3
	s_cbranch_execz .LBB110_1979
; %bb.1974:
	v_cmp_lt_u32_e32 vcc_lo, 0x3bffffff, v3
	s_mov_b32 s29, 0
                                        ; implicit-def: $vgpr3
	s_and_saveexec_b32 s30, vcc_lo
	s_delay_alu instid0(SALU_CYCLE_1)
	s_xor_b32 s30, exec_lo, s30
	s_cbranch_execz .LBB110_2077
; %bb.1975:
	v_bfe_u32 v3, v2, 20, 1
	s_mov_b32 s29, exec_lo
	s_delay_alu instid0(VALU_DEP_1) | instskip(NEXT) | instid1(VALU_DEP_1)
	v_add3_u32 v3, v2, v3, 0x487ffff
	v_lshrrev_b32_e32 v3, 20, v3
	s_and_not1_saveexec_b32 s30, s30
	s_cbranch_execnz .LBB110_2078
.LBB110_1976:
	s_or_b32 exec_lo, exec_lo, s30
	v_mov_b32_e32 v4, 0
	s_and_saveexec_b32 s30, s29
.LBB110_1977:
	v_lshrrev_b32_e32 v2, 24, v2
	s_delay_alu instid0(VALU_DEP_1)
	v_and_or_b32 v4, 0x80, v2, v3
.LBB110_1978:
	s_or_b32 exec_lo, exec_lo, s30
.LBB110_1979:
	s_delay_alu instid0(SALU_CYCLE_1)
	s_or_b32 exec_lo, exec_lo, s28
	global_store_b8 v[6:7], v4, off
.LBB110_1980:
	s_mov_b32 s28, 0
.LBB110_1981:
	s_delay_alu instid0(SALU_CYCLE_1)
	s_and_b32 vcc_lo, exec_lo, s28
	s_mov_b32 s28, 0
	s_cbranch_vccz .LBB110_2021
; %bb.1982:
	s_cmp_gt_i32 s27, 22
	s_mov_b32 s29, -1
	s_cbranch_scc0 .LBB110_2014
; %bb.1983:
	s_cmp_lt_i32 s27, 24
	s_cbranch_scc1 .LBB110_2003
; %bb.1984:
	s_cmp_gt_i32 s27, 24
	s_cbranch_scc0 .LBB110_1992
; %bb.1985:
	s_wait_xcnt 0x0
	s_delay_alu instid0(VALU_DEP_4) | instskip(SKIP_2) | instid1(VALU_DEP_2)
	v_cvt_f32_f64_e32 v2, v[0:1]
	v_mov_b32_e32 v4, 0x80
	s_mov_b32 s29, exec_lo
	v_and_b32_e32 v3, 0x7fffffff, v2
	s_delay_alu instid0(VALU_DEP_1)
	v_cmpx_gt_u32_e32 0x47800000, v3
	s_cbranch_execz .LBB110_1991
; %bb.1986:
	v_cmp_lt_u32_e32 vcc_lo, 0x37ffffff, v3
	s_mov_b32 s30, 0
                                        ; implicit-def: $vgpr3
	s_and_saveexec_b32 s31, vcc_lo
	s_delay_alu instid0(SALU_CYCLE_1)
	s_xor_b32 s31, exec_lo, s31
	s_cbranch_execz .LBB110_2203
; %bb.1987:
	v_bfe_u32 v3, v2, 21, 1
	s_mov_b32 s30, exec_lo
	s_delay_alu instid0(VALU_DEP_1) | instskip(NEXT) | instid1(VALU_DEP_1)
	v_add3_u32 v3, v2, v3, 0x88fffff
	v_lshrrev_b32_e32 v3, 21, v3
	s_and_not1_saveexec_b32 s31, s31
	s_cbranch_execnz .LBB110_2204
.LBB110_1988:
	s_or_b32 exec_lo, exec_lo, s31
	v_mov_b32_e32 v4, 0
	s_and_saveexec_b32 s31, s30
.LBB110_1989:
	v_lshrrev_b32_e32 v2, 24, v2
	s_delay_alu instid0(VALU_DEP_1)
	v_and_or_b32 v4, 0x80, v2, v3
.LBB110_1990:
	s_or_b32 exec_lo, exec_lo, s31
.LBB110_1991:
	s_delay_alu instid0(SALU_CYCLE_1)
	s_or_b32 exec_lo, exec_lo, s29
	s_mov_b32 s29, 0
	global_store_b8 v[6:7], v4, off
.LBB110_1992:
	s_and_b32 vcc_lo, exec_lo, s29
	s_cbranch_vccz .LBB110_2002
; %bb.1993:
	s_wait_xcnt 0x0
	s_delay_alu instid0(VALU_DEP_4) | instskip(SKIP_1) | instid1(VALU_DEP_1)
	v_cvt_f32_f64_e32 v2, v[0:1]
	s_mov_b32 s29, exec_lo
                                        ; implicit-def: $vgpr3
	v_and_b32_e32 v4, 0x7fffffff, v2
	s_delay_alu instid0(VALU_DEP_1)
	v_cmpx_gt_u32_e32 0x43f00000, v4
	s_xor_b32 s29, exec_lo, s29
	s_cbranch_execz .LBB110_1999
; %bb.1994:
	s_mov_b32 s30, exec_lo
                                        ; implicit-def: $vgpr3
	v_cmpx_lt_u32_e32 0x3c7fffff, v4
	s_xor_b32 s30, exec_lo, s30
; %bb.1995:
	v_bfe_u32 v3, v2, 20, 1
	s_delay_alu instid0(VALU_DEP_1) | instskip(NEXT) | instid1(VALU_DEP_1)
	v_add3_u32 v3, v2, v3, 0x407ffff
	v_and_b32_e32 v4, 0xff00000, v3
	v_lshrrev_b32_e32 v3, 20, v3
	s_delay_alu instid0(VALU_DEP_2) | instskip(NEXT) | instid1(VALU_DEP_2)
	v_cmp_ne_u32_e32 vcc_lo, 0x7f00000, v4
	v_cndmask_b32_e32 v3, 0x7e, v3, vcc_lo
; %bb.1996:
	s_and_not1_saveexec_b32 s30, s30
; %bb.1997:
	v_add_f32_e64 v3, 0x46800000, |v2|
; %bb.1998:
	s_or_b32 exec_lo, exec_lo, s30
                                        ; implicit-def: $vgpr4
.LBB110_1999:
	s_and_not1_saveexec_b32 s29, s29
; %bb.2000:
	v_mov_b32_e32 v3, 0x7f
	v_cmp_lt_u32_e32 vcc_lo, 0x7f800000, v4
	s_delay_alu instid0(VALU_DEP_2)
	v_cndmask_b32_e32 v3, 0x7e, v3, vcc_lo
; %bb.2001:
	s_or_b32 exec_lo, exec_lo, s29
	v_lshrrev_b32_e32 v2, 24, v2
	s_delay_alu instid0(VALU_DEP_1)
	v_and_or_b32 v2, 0x80, v2, v3
	global_store_b8 v[6:7], v2, off
.LBB110_2002:
	s_mov_b32 s29, 0
.LBB110_2003:
	s_delay_alu instid0(SALU_CYCLE_1)
	s_and_not1_b32 vcc_lo, exec_lo, s29
	s_cbranch_vccnz .LBB110_2013
; %bb.2004:
	s_wait_xcnt 0x0
	s_delay_alu instid0(VALU_DEP_4) | instskip(SKIP_1) | instid1(VALU_DEP_1)
	v_cvt_f32_f64_e32 v2, v[0:1]
	s_mov_b32 s29, exec_lo
                                        ; implicit-def: $vgpr3
	v_and_b32_e32 v4, 0x7fffffff, v2
	s_delay_alu instid0(VALU_DEP_1)
	v_cmpx_gt_u32_e32 0x47800000, v4
	s_xor_b32 s29, exec_lo, s29
	s_cbranch_execz .LBB110_2010
; %bb.2005:
	s_mov_b32 s30, exec_lo
                                        ; implicit-def: $vgpr3
	v_cmpx_lt_u32_e32 0x387fffff, v4
	s_xor_b32 s30, exec_lo, s30
; %bb.2006:
	v_bfe_u32 v3, v2, 21, 1
	s_delay_alu instid0(VALU_DEP_1) | instskip(NEXT) | instid1(VALU_DEP_1)
	v_add3_u32 v3, v2, v3, 0x80fffff
	v_lshrrev_b32_e32 v3, 21, v3
; %bb.2007:
	s_and_not1_saveexec_b32 s30, s30
; %bb.2008:
	v_add_f32_e64 v3, 0x43000000, |v2|
; %bb.2009:
	s_or_b32 exec_lo, exec_lo, s30
                                        ; implicit-def: $vgpr4
.LBB110_2010:
	s_and_not1_saveexec_b32 s29, s29
; %bb.2011:
	v_mov_b32_e32 v3, 0x7f
	v_cmp_lt_u32_e32 vcc_lo, 0x7f800000, v4
	s_delay_alu instid0(VALU_DEP_2)
	v_cndmask_b32_e32 v3, 0x7c, v3, vcc_lo
; %bb.2012:
	s_or_b32 exec_lo, exec_lo, s29
	v_lshrrev_b32_e32 v2, 24, v2
	s_delay_alu instid0(VALU_DEP_1)
	v_and_or_b32 v2, 0x80, v2, v3
	global_store_b8 v[6:7], v2, off
.LBB110_2013:
	s_mov_b32 s29, 0
.LBB110_2014:
	s_delay_alu instid0(SALU_CYCLE_1)
	s_and_not1_b32 vcc_lo, exec_lo, s29
	s_mov_b32 s29, 0
	s_cbranch_vccnz .LBB110_2022
; %bb.2015:
	s_cmp_gt_i32 s27, 14
	s_mov_b32 s29, -1
	s_cbranch_scc0 .LBB110_2019
; %bb.2016:
	s_cmp_eq_u32 s27, 15
	s_mov_b32 s0, -1
	s_cbranch_scc0 .LBB110_2018
; %bb.2017:
	s_wait_xcnt 0x0
	s_delay_alu instid0(VALU_DEP_4) | instskip(SKIP_1) | instid1(VALU_DEP_1)
	v_cvt_f32_f64_e32 v2, v[0:1]
	s_mov_b32 s0, 0
	v_bfe_u32 v3, v2, 16, 1
	v_cmp_o_f32_e32 vcc_lo, v2, v2
	s_delay_alu instid0(VALU_DEP_2) | instskip(NEXT) | instid1(VALU_DEP_1)
	v_add3_u32 v3, v2, v3, 0x7fff
	v_lshrrev_b32_e32 v3, 16, v3
	s_delay_alu instid0(VALU_DEP_1)
	v_cndmask_b32_e32 v2, 0x7fc0, v3, vcc_lo
	global_store_b16 v[6:7], v2, off
.LBB110_2018:
	s_mov_b32 s29, 0
.LBB110_2019:
	s_delay_alu instid0(SALU_CYCLE_1)
	s_and_b32 vcc_lo, exec_lo, s29
	s_mov_b32 s29, 0
	s_cbranch_vccz .LBB110_2022
; %bb.2020:
	s_cmp_lg_u32 s27, 11
	s_mov_b32 s29, -1
	s_cselect_b32 s27, -1, 0
	s_and_not1_b32 s0, s0, exec_lo
	s_and_b32 s27, s27, exec_lo
	s_delay_alu instid0(SALU_CYCLE_1)
	s_or_b32 s0, s0, s27
	s_branch .LBB110_2022
.LBB110_2021:
	s_mov_b32 s29, 0
.LBB110_2022:
	s_and_b32 s27, s28, exec_lo
	s_and_not1_b32 s23, s23, exec_lo
	s_and_b32 s28, s0, exec_lo
	s_and_b32 s0, s29, exec_lo
	s_or_b32 s23, s23, s28
	s_wait_xcnt 0x0
	s_or_b32 exec_lo, exec_lo, s26
	s_and_saveexec_b32 s26, s23
	s_cbranch_execz .LBB110_1951
.LBB110_2023:
	s_or_b32 s24, s24, exec_lo
	s_and_not1_b32 s0, s0, exec_lo
	s_trap 2
	s_or_b32 exec_lo, exec_lo, s26
	s_and_saveexec_b32 s23, s0
	s_delay_alu instid0(SALU_CYCLE_1)
	s_xor_b32 s0, exec_lo, s23
	s_cbranch_execnz .LBB110_1952
.LBB110_2024:
	s_or_b32 exec_lo, exec_lo, s0
	s_and_saveexec_b32 s0, s27
	s_delay_alu instid0(SALU_CYCLE_1)
	s_xor_b32 s0, exec_lo, s0
	s_cbranch_execz .LBB110_2062
.LBB110_2025:
	s_sext_i32_i16 s26, s25
	s_mov_b32 s23, -1
	s_cmp_lt_i32 s26, 5
	s_cbranch_scc1 .LBB110_2046
; %bb.2026:
	s_cmp_lt_i32 s26, 8
	s_cbranch_scc1 .LBB110_2036
; %bb.2027:
	;; [unrolled: 3-line block ×3, first 2 shown]
	s_cmp_gt_i32 s26, 9
	s_cbranch_scc0 .LBB110_2030
; %bb.2029:
	s_wait_loadcnt 0x0
	v_mov_b32_e32 v2, 0
	s_mov_b32 s23, 0
	s_delay_alu instid0(VALU_DEP_1)
	v_mov_b32_e32 v3, v2
	global_store_b128 v[6:7], v[0:3], off
.LBB110_2030:
	s_and_not1_b32 vcc_lo, exec_lo, s23
	s_cbranch_vccnz .LBB110_2032
; %bb.2031:
	s_wait_loadcnt 0x0
	v_cvt_f32_f64_e32 v2, v[0:1]
	v_mov_b32_e32 v3, 0
	global_store_b64 v[6:7], v[2:3], off
.LBB110_2032:
	s_mov_b32 s23, 0
.LBB110_2033:
	s_delay_alu instid0(SALU_CYCLE_1)
	s_and_not1_b32 vcc_lo, exec_lo, s23
	s_cbranch_vccnz .LBB110_2035
; %bb.2034:
	s_wait_loadcnt 0x0
	v_and_or_b32 v2, 0x1ff, v1, v0
	v_lshrrev_b32_e32 v3, 8, v1
	v_bfe_u32 v4, v1, 20, 11
	s_delay_alu instid0(VALU_DEP_3) | instskip(NEXT) | instid1(VALU_DEP_2)
	v_cmp_ne_u32_e32 vcc_lo, 0, v2
	v_sub_nc_u32_e32 v5, 0x3f1, v4
	v_add_nc_u32_e32 v4, 0xfffffc10, v4
	v_cndmask_b32_e64 v2, 0, 1, vcc_lo
	s_delay_alu instid0(VALU_DEP_1) | instskip(NEXT) | instid1(VALU_DEP_4)
	v_and_or_b32 v2, 0xffe, v3, v2
	v_med3_i32 v3, v5, 0, 13
	s_delay_alu instid0(VALU_DEP_2) | instskip(NEXT) | instid1(VALU_DEP_1)
	v_or_b32_e32 v5, 0x1000, v2
	v_lshrrev_b32_e32 v8, v3, v5
	s_delay_alu instid0(VALU_DEP_1) | instskip(NEXT) | instid1(VALU_DEP_1)
	v_lshlrev_b32_e32 v3, v3, v8
	v_cmp_ne_u32_e32 vcc_lo, v3, v5
	v_lshl_or_b32 v5, v4, 12, v2
	v_cndmask_b32_e64 v3, 0, 1, vcc_lo
	v_cmp_gt_i32_e32 vcc_lo, 1, v4
	s_delay_alu instid0(VALU_DEP_2) | instskip(NEXT) | instid1(VALU_DEP_1)
	v_or_b32_e32 v3, v8, v3
	v_cndmask_b32_e32 v3, v5, v3, vcc_lo
	s_delay_alu instid0(VALU_DEP_1) | instskip(NEXT) | instid1(VALU_DEP_1)
	v_dual_lshrrev_b32 v3, 2, v3 :: v_dual_bitop2_b32 v5, 7, v3 bitop3:0x40
	v_cmp_lt_i32_e32 vcc_lo, 5, v5
	v_cndmask_b32_e64 v8, 0, 1, vcc_lo
	v_cmp_eq_u32_e32 vcc_lo, 3, v5
	v_cndmask_b32_e64 v5, 0, 1, vcc_lo
	v_cmp_ne_u32_e32 vcc_lo, 0, v2
	s_delay_alu instid0(VALU_DEP_2) | instskip(NEXT) | instid1(VALU_DEP_1)
	v_or_b32_e32 v5, v5, v8
	v_dual_mov_b32 v8, 0x7e00 :: v_dual_add_nc_u32 v3, v3, v5
	s_delay_alu instid0(VALU_DEP_1) | instskip(SKIP_2) | instid1(VALU_DEP_4)
	v_cndmask_b32_e32 v2, 0x7c00, v8, vcc_lo
	v_cmp_gt_i32_e32 vcc_lo, 31, v4
	v_lshrrev_b32_e32 v5, 16, v1
	v_cndmask_b32_e32 v3, 0x7c00, v3, vcc_lo
	v_cmp_eq_u32_e32 vcc_lo, 0x40f, v4
	s_delay_alu instid0(VALU_DEP_2) | instskip(NEXT) | instid1(VALU_DEP_4)
	v_cndmask_b32_e32 v2, v3, v2, vcc_lo
	v_and_b32_e32 v3, 0x8000, v5
	s_delay_alu instid0(VALU_DEP_1)
	v_bitop3_b32 v2, v3, 0xffff, v2 bitop3:0xc8
	global_store_b32 v[6:7], v2, off
.LBB110_2035:
	s_mov_b32 s23, 0
.LBB110_2036:
	s_delay_alu instid0(SALU_CYCLE_1)
	s_and_not1_b32 vcc_lo, exec_lo, s23
	s_cbranch_vccnz .LBB110_2045
; %bb.2037:
	s_sext_i32_i16 s26, s25
	s_mov_b32 s23, -1
	s_cmp_lt_i32 s26, 6
	s_cbranch_scc1 .LBB110_2043
; %bb.2038:
	s_cmp_gt_i32 s26, 6
	s_cbranch_scc0 .LBB110_2040
; %bb.2039:
	s_mov_b32 s23, 0
	s_wait_loadcnt 0x0
	global_store_b64 v[6:7], v[0:1], off
.LBB110_2040:
	s_and_not1_b32 vcc_lo, exec_lo, s23
	s_cbranch_vccnz .LBB110_2042
; %bb.2041:
	s_wait_loadcnt 0x0
	v_cvt_f32_f64_e32 v2, v[0:1]
	global_store_b32 v[6:7], v2, off
.LBB110_2042:
	s_mov_b32 s23, 0
.LBB110_2043:
	s_delay_alu instid0(SALU_CYCLE_1)
	s_and_not1_b32 vcc_lo, exec_lo, s23
	s_cbranch_vccnz .LBB110_2045
; %bb.2044:
	s_wait_loadcnt 0x0
	v_and_or_b32 v2, 0x1ff, v1, v0
	v_lshrrev_b32_e32 v3, 8, v1
	v_bfe_u32 v4, v1, 20, 11
	s_delay_alu instid0(VALU_DEP_3) | instskip(NEXT) | instid1(VALU_DEP_2)
	v_cmp_ne_u32_e32 vcc_lo, 0, v2
	v_sub_nc_u32_e32 v5, 0x3f1, v4
	v_add_nc_u32_e32 v4, 0xfffffc10, v4
	v_cndmask_b32_e64 v2, 0, 1, vcc_lo
	s_delay_alu instid0(VALU_DEP_1) | instskip(NEXT) | instid1(VALU_DEP_4)
	v_and_or_b32 v2, 0xffe, v3, v2
	v_med3_i32 v3, v5, 0, 13
	s_delay_alu instid0(VALU_DEP_2) | instskip(NEXT) | instid1(VALU_DEP_1)
	v_or_b32_e32 v5, 0x1000, v2
	v_lshrrev_b32_e32 v8, v3, v5
	s_delay_alu instid0(VALU_DEP_1) | instskip(NEXT) | instid1(VALU_DEP_1)
	v_lshlrev_b32_e32 v3, v3, v8
	v_cmp_ne_u32_e32 vcc_lo, v3, v5
	v_lshl_or_b32 v5, v4, 12, v2
	v_cndmask_b32_e64 v3, 0, 1, vcc_lo
	v_cmp_gt_i32_e32 vcc_lo, 1, v4
	s_delay_alu instid0(VALU_DEP_2) | instskip(NEXT) | instid1(VALU_DEP_1)
	v_or_b32_e32 v3, v8, v3
	v_cndmask_b32_e32 v3, v5, v3, vcc_lo
	s_delay_alu instid0(VALU_DEP_1) | instskip(NEXT) | instid1(VALU_DEP_1)
	v_dual_lshrrev_b32 v3, 2, v3 :: v_dual_bitop2_b32 v5, 7, v3 bitop3:0x40
	v_cmp_lt_i32_e32 vcc_lo, 5, v5
	v_cndmask_b32_e64 v8, 0, 1, vcc_lo
	v_cmp_eq_u32_e32 vcc_lo, 3, v5
	v_cndmask_b32_e64 v5, 0, 1, vcc_lo
	v_cmp_ne_u32_e32 vcc_lo, 0, v2
	s_delay_alu instid0(VALU_DEP_2) | instskip(NEXT) | instid1(VALU_DEP_1)
	v_or_b32_e32 v5, v5, v8
	v_dual_mov_b32 v8, 0x7e00 :: v_dual_add_nc_u32 v3, v3, v5
	s_delay_alu instid0(VALU_DEP_1) | instskip(SKIP_1) | instid1(VALU_DEP_3)
	v_cndmask_b32_e32 v2, 0x7c00, v8, vcc_lo
	v_cmp_gt_i32_e32 vcc_lo, 31, v4
	v_cndmask_b32_e32 v3, 0x7c00, v3, vcc_lo
	v_cmp_eq_u32_e32 vcc_lo, 0x40f, v4
	s_delay_alu instid0(VALU_DEP_2) | instskip(NEXT) | instid1(VALU_DEP_1)
	v_dual_cndmask_b32 v2, v3, v2 :: v_dual_lshrrev_b32 v3, 16, v1
	v_and_or_b32 v2, 0x8000, v3, v2
	global_store_b16 v[6:7], v2, off
.LBB110_2045:
	s_mov_b32 s23, 0
.LBB110_2046:
	s_delay_alu instid0(SALU_CYCLE_1)
	s_and_not1_b32 vcc_lo, exec_lo, s23
	s_cbranch_vccnz .LBB110_2062
; %bb.2047:
	s_sext_i32_i16 s26, s25
	s_mov_b32 s23, -1
	s_cmp_lt_i32 s26, 2
	s_cbranch_scc1 .LBB110_2057
; %bb.2048:
	s_cmp_lt_i32 s26, 3
	s_cbranch_scc1 .LBB110_2054
; %bb.2049:
	s_cmp_gt_i32 s26, 3
	s_cbranch_scc0 .LBB110_2051
; %bb.2050:
	s_wait_loadcnt 0x0
	v_trunc_f64_e32 v[2:3], v[0:1]
	s_mov_b32 s23, 0
	s_delay_alu instid0(VALU_DEP_1) | instskip(NEXT) | instid1(VALU_DEP_1)
	v_ldexp_f64 v[4:5], v[2:3], 0xffffffe0
	v_floor_f64_e32 v[4:5], v[4:5]
	s_delay_alu instid0(VALU_DEP_1) | instskip(SKIP_1) | instid1(VALU_DEP_2)
	v_fmamk_f64 v[2:3], v[4:5], 0xc1f00000, v[2:3]
	v_cvt_i32_f64_e32 v5, v[4:5]
	v_cvt_u32_f64_e32 v4, v[2:3]
	global_store_b64 v[6:7], v[4:5], off
.LBB110_2051:
	s_and_not1_b32 vcc_lo, exec_lo, s23
	s_cbranch_vccnz .LBB110_2053
; %bb.2052:
	s_wait_loadcnt 0x0
	v_cvt_i32_f64_e32 v2, v[0:1]
	global_store_b32 v[6:7], v2, off
.LBB110_2053:
	s_mov_b32 s23, 0
.LBB110_2054:
	s_delay_alu instid0(SALU_CYCLE_1)
	s_and_not1_b32 vcc_lo, exec_lo, s23
	s_cbranch_vccnz .LBB110_2056
; %bb.2055:
	s_wait_loadcnt 0x0
	v_cvt_i32_f64_e32 v2, v[0:1]
	global_store_b16 v[6:7], v2, off
.LBB110_2056:
	s_mov_b32 s23, 0
.LBB110_2057:
	s_delay_alu instid0(SALU_CYCLE_1)
	s_and_not1_b32 vcc_lo, exec_lo, s23
	s_cbranch_vccnz .LBB110_2062
; %bb.2058:
	s_sext_i32_i16 s23, s25
	s_delay_alu instid0(SALU_CYCLE_1)
	s_cmp_gt_i32 s23, 0
	s_mov_b32 s23, -1
	s_cbranch_scc0 .LBB110_2060
; %bb.2059:
	s_wait_loadcnt 0x0
	v_cvt_i32_f64_e32 v2, v[0:1]
	s_mov_b32 s23, 0
	global_store_b8 v[6:7], v2, off
.LBB110_2060:
	s_and_not1_b32 vcc_lo, exec_lo, s23
	s_cbranch_vccnz .LBB110_2062
; %bb.2061:
	s_wait_loadcnt 0x0
	v_trunc_f64_e32 v[0:1], v[0:1]
	s_delay_alu instid0(VALU_DEP_1) | instskip(NEXT) | instid1(VALU_DEP_1)
	v_ldexp_f64 v[2:3], v[0:1], 0xffffffe0
	v_floor_f64_e32 v[2:3], v[2:3]
	s_delay_alu instid0(VALU_DEP_1) | instskip(NEXT) | instid1(VALU_DEP_1)
	v_fmamk_f64 v[0:1], v[2:3], 0xc1f00000, v[0:1]
	v_cvt_u32_f64_e32 v0, v[0:1]
	global_store_b8 v[6:7], v0, off
.LBB110_2062:
	s_wait_xcnt 0x0
	s_or_b32 exec_lo, exec_lo, s0
	s_delay_alu instid0(SALU_CYCLE_1)
	s_and_b32 s23, s24, exec_lo
                                        ; implicit-def: $vgpr26
.LBB110_2063:
	s_or_saveexec_b32 s22, s22
	s_mov_b32 s0, 0
                                        ; implicit-def: $sgpr24
                                        ; implicit-def: $vgpr4_vgpr5
                                        ; implicit-def: $vgpr0_vgpr1
	s_xor_b32 exec_lo, exec_lo, s22
	s_cbranch_execz .LBB110_4067
; %bb.2064:
	s_wait_loadcnt 0x0
	v_mul_lo_u32 v4, s13, v26
	s_and_b32 s21, s21, 0xff
	s_delay_alu instid0(SALU_CYCLE_1) | instskip(NEXT) | instid1(VALU_DEP_1)
	s_cmp_lt_i32 s21, 11
	v_ashrrev_i32_e32 v5, 31, v4
	s_delay_alu instid0(VALU_DEP_1)
	v_add_nc_u64_e32 v[0:1], s[6:7], v[4:5]
	s_cbranch_scc1 .LBB110_2071
; %bb.2065:
	s_and_b32 s0, 0xffff, s21
	s_mov_b32 s24, 0
	s_cmp_gt_i32 s0, 25
	s_cbranch_scc0 .LBB110_2073
; %bb.2066:
	s_cmp_gt_i32 s0, 28
	s_cbranch_scc0 .LBB110_2074
; %bb.2067:
	;; [unrolled: 3-line block ×4, first 2 shown]
	s_cmp_eq_u32 s0, 46
	s_mov_b32 s26, 0
	s_cbranch_scc0 .LBB110_2079
; %bb.2070:
	global_load_b32 v2, v[0:1], off
	s_mov_b32 s25, -1
	s_wait_loadcnt 0x0
	v_lshlrev_b32_e32 v2, 16, v2
	s_delay_alu instid0(VALU_DEP_1)
	v_cvt_f64_f32_e32 v[2:3], v2
	s_branch .LBB110_2081
.LBB110_2071:
	s_mov_b32 s25, 0
	s_mov_b32 s20, s23
                                        ; implicit-def: $vgpr2_vgpr3
	s_cbranch_execnz .LBB110_2144
.LBB110_2072:
	s_and_not1_b32 vcc_lo, exec_lo, s25
	s_cbranch_vccz .LBB110_2189
	s_branch .LBB110_4065
.LBB110_2073:
	s_mov_b32 s25, 0
                                        ; implicit-def: $vgpr2_vgpr3
	s_cbranch_execnz .LBB110_2109
	s_branch .LBB110_2140
.LBB110_2074:
	s_mov_b32 s26, -1
	s_mov_b32 s25, 0
                                        ; implicit-def: $vgpr2_vgpr3
	s_branch .LBB110_2090
.LBB110_2075:
	s_mov_b32 s25, 0
                                        ; implicit-def: $vgpr2_vgpr3
	s_cbranch_execnz .LBB110_2086
	s_branch .LBB110_2089
.LBB110_2076:
	s_mov_b32 s26, -1
	s_branch .LBB110_2080
.LBB110_2077:
	s_and_not1_saveexec_b32 s30, s30
	s_cbranch_execz .LBB110_1976
.LBB110_2078:
	v_add_f32_e64 v3, 0x46000000, |v2|
	s_and_not1_b32 s29, s29, exec_lo
	s_delay_alu instid0(VALU_DEP_1) | instskip(NEXT) | instid1(VALU_DEP_1)
	v_and_b32_e32 v3, 0xff, v3
	v_cmp_ne_u32_e32 vcc_lo, 0, v3
	s_and_b32 s31, vcc_lo, exec_lo
	s_delay_alu instid0(SALU_CYCLE_1)
	s_or_b32 s29, s29, s31
	s_or_b32 exec_lo, exec_lo, s30
	v_mov_b32_e32 v4, 0
	s_and_saveexec_b32 s30, s29
	s_cbranch_execnz .LBB110_1977
	s_branch .LBB110_1978
.LBB110_2079:
	s_mov_b32 s20, -1
.LBB110_2080:
	s_mov_b32 s25, 0
                                        ; implicit-def: $vgpr2_vgpr3
.LBB110_2081:
	s_and_b32 vcc_lo, exec_lo, s26
	s_cbranch_vccz .LBB110_2084
; %bb.2082:
	s_cmp_eq_u32 s0, 44
	s_cbranch_scc0 .LBB110_2085
; %bb.2083:
	global_load_u8 v5, v[0:1], off
	s_mov_b32 s20, 0
	s_mov_b32 s25, -1
	s_wait_loadcnt 0x0
	v_cmp_ne_u32_e32 vcc_lo, 0xff, v5
	v_lshlrev_b32_e32 v2, 23, v5
	s_delay_alu instid0(VALU_DEP_1) | instskip(NEXT) | instid1(VALU_DEP_1)
	v_cvt_f64_f32_e32 v[2:3], v2
	v_cndmask_b32_e32 v2, 0x20000000, v2, vcc_lo
	s_delay_alu instid0(VALU_DEP_2) | instskip(SKIP_1) | instid1(VALU_DEP_2)
	v_cndmask_b32_e32 v3, 0x7ff80000, v3, vcc_lo
	v_cmp_ne_u32_e32 vcc_lo, 0, v5
	v_cndmask_b32_e32 v3, 0x38000000, v3, vcc_lo
	s_delay_alu instid0(VALU_DEP_4)
	v_cndmask_b32_e32 v2, 0, v2, vcc_lo
.LBB110_2084:
	s_branch .LBB110_2089
.LBB110_2085:
	s_mov_b32 s20, -1
                                        ; implicit-def: $vgpr2_vgpr3
	s_branch .LBB110_2089
.LBB110_2086:
	s_cmp_eq_u32 s0, 29
	s_cbranch_scc0 .LBB110_2088
; %bb.2087:
	global_load_b64 v[2:3], v[0:1], off
	s_mov_b32 s20, 0
	s_mov_b32 s25, -1
	s_mov_b32 s26, 0
	s_wait_loadcnt 0x0
	v_cvt_f64_u32_e32 v[6:7], v3
	v_cvt_f64_u32_e32 v[2:3], v2
	s_delay_alu instid0(VALU_DEP_2) | instskip(NEXT) | instid1(VALU_DEP_1)
	v_ldexp_f64 v[6:7], v[6:7], 32
	v_add_f64_e32 v[2:3], v[6:7], v[2:3]
	s_branch .LBB110_2090
.LBB110_2088:
	s_mov_b32 s20, -1
                                        ; implicit-def: $vgpr2_vgpr3
.LBB110_2089:
	s_mov_b32 s26, 0
.LBB110_2090:
	s_delay_alu instid0(SALU_CYCLE_1)
	s_and_b32 vcc_lo, exec_lo, s26
	s_cbranch_vccz .LBB110_2108
; %bb.2091:
	s_cmp_lt_i32 s0, 27
	s_cbranch_scc1 .LBB110_2094
; %bb.2092:
	s_cmp_gt_i32 s0, 27
	s_cbranch_scc0 .LBB110_2095
; %bb.2093:
	global_load_b32 v2, v[0:1], off
	s_mov_b32 s25, 0
	s_wait_loadcnt 0x0
	v_cvt_f64_u32_e32 v[2:3], v2
	s_branch .LBB110_2096
.LBB110_2094:
	s_mov_b32 s25, -1
                                        ; implicit-def: $vgpr2_vgpr3
	s_branch .LBB110_2099
.LBB110_2095:
	s_mov_b32 s25, -1
                                        ; implicit-def: $vgpr2_vgpr3
.LBB110_2096:
	s_delay_alu instid0(SALU_CYCLE_1)
	s_and_not1_b32 vcc_lo, exec_lo, s25
	s_cbranch_vccnz .LBB110_2098
; %bb.2097:
	global_load_u16 v2, v[0:1], off
	s_wait_loadcnt 0x0
	v_cvt_f64_u32_e32 v[2:3], v2
.LBB110_2098:
	s_mov_b32 s25, 0
.LBB110_2099:
	s_delay_alu instid0(SALU_CYCLE_1)
	s_and_not1_b32 vcc_lo, exec_lo, s25
	s_cbranch_vccnz .LBB110_2107
; %bb.2100:
	global_load_u8 v5, v[0:1], off
	s_mov_b32 s25, 0
	s_mov_b32 s26, exec_lo
	s_wait_loadcnt 0x0
	v_cmpx_lt_i16_e32 0x7f, v5
	s_xor_b32 s26, exec_lo, s26
	s_cbranch_execz .LBB110_2120
; %bb.2101:
	s_mov_b32 s25, -1
	s_mov_b32 s27, exec_lo
	v_cmpx_eq_u16_e32 0x80, v5
; %bb.2102:
	s_xor_b32 s25, exec_lo, -1
; %bb.2103:
	s_or_b32 exec_lo, exec_lo, s27
	s_delay_alu instid0(SALU_CYCLE_1)
	s_and_b32 s25, s25, exec_lo
	s_or_saveexec_b32 s26, s26
	v_mov_b64_e32 v[2:3], 0x7ff8000020000000
	s_xor_b32 exec_lo, exec_lo, s26
	s_cbranch_execnz .LBB110_2121
.LBB110_2104:
	s_or_b32 exec_lo, exec_lo, s26
	s_and_saveexec_b32 s26, s25
	s_cbranch_execz .LBB110_2106
.LBB110_2105:
	v_and_b32_e32 v2, 0xffff, v5
	s_delay_alu instid0(VALU_DEP_1) | instskip(SKIP_1) | instid1(VALU_DEP_2)
	v_dual_lshlrev_b32 v5, 24, v5 :: v_dual_bitop2_b32 v3, 7, v2 bitop3:0x40
	v_bfe_u32 v8, v2, 3, 4
	v_clz_i32_u32_e32 v6, v3
	s_delay_alu instid0(VALU_DEP_2) | instskip(NEXT) | instid1(VALU_DEP_2)
	v_cmp_eq_u32_e32 vcc_lo, 0, v8
	v_min_u32_e32 v6, 32, v6
	s_delay_alu instid0(VALU_DEP_1) | instskip(SKIP_1) | instid1(VALU_DEP_2)
	v_subrev_nc_u32_e32 v7, 28, v6
	v_sub_nc_u32_e32 v6, 29, v6
	v_lshlrev_b32_e32 v2, v7, v2
	s_delay_alu instid0(VALU_DEP_2) | instskip(NEXT) | instid1(VALU_DEP_2)
	v_cndmask_b32_e32 v6, v8, v6, vcc_lo
	v_and_b32_e32 v2, 7, v2
	s_delay_alu instid0(VALU_DEP_1) | instskip(SKIP_1) | instid1(VALU_DEP_4)
	v_cndmask_b32_e32 v2, v3, v2, vcc_lo
	v_and_b32_e32 v3, 0x80000000, v5
	v_lshl_add_u32 v5, v6, 23, 0x3b800000
	s_delay_alu instid0(VALU_DEP_3) | instskip(NEXT) | instid1(VALU_DEP_1)
	v_lshlrev_b32_e32 v2, 20, v2
	v_or3_b32 v2, v3, v5, v2
	s_delay_alu instid0(VALU_DEP_1)
	v_cvt_f64_f32_e32 v[2:3], v2
.LBB110_2106:
	s_or_b32 exec_lo, exec_lo, s26
.LBB110_2107:
	s_mov_b32 s25, -1
.LBB110_2108:
	s_branch .LBB110_2140
.LBB110_2109:
	s_cmp_gt_i32 s0, 22
	s_cbranch_scc0 .LBB110_2119
; %bb.2110:
	s_cmp_lt_i32 s0, 24
	s_cbranch_scc1 .LBB110_2122
; %bb.2111:
	s_cmp_gt_i32 s0, 24
	s_cbranch_scc0 .LBB110_2123
; %bb.2112:
	global_load_u8 v5, v[0:1], off
	s_mov_b32 s25, exec_lo
	s_wait_loadcnt 0x0
	v_cmpx_lt_i16_e32 0x7f, v5
	s_xor_b32 s25, exec_lo, s25
	s_cbranch_execz .LBB110_2134
; %bb.2113:
	s_mov_b32 s24, -1
	s_mov_b32 s26, exec_lo
	v_cmpx_eq_u16_e32 0x80, v5
; %bb.2114:
	s_xor_b32 s24, exec_lo, -1
; %bb.2115:
	s_or_b32 exec_lo, exec_lo, s26
	s_delay_alu instid0(SALU_CYCLE_1)
	s_and_b32 s24, s24, exec_lo
	s_or_saveexec_b32 s25, s25
	v_mov_b64_e32 v[2:3], 0x7ff8000020000000
	s_xor_b32 exec_lo, exec_lo, s25
	s_cbranch_execnz .LBB110_2135
.LBB110_2116:
	s_or_b32 exec_lo, exec_lo, s25
	s_and_saveexec_b32 s25, s24
	s_cbranch_execz .LBB110_2118
.LBB110_2117:
	v_and_b32_e32 v2, 0xffff, v5
	s_delay_alu instid0(VALU_DEP_1) | instskip(SKIP_1) | instid1(VALU_DEP_2)
	v_dual_lshlrev_b32 v5, 24, v5 :: v_dual_bitop2_b32 v3, 3, v2 bitop3:0x40
	v_bfe_u32 v8, v2, 2, 5
	v_clz_i32_u32_e32 v6, v3
	s_delay_alu instid0(VALU_DEP_2) | instskip(NEXT) | instid1(VALU_DEP_2)
	v_cmp_eq_u32_e32 vcc_lo, 0, v8
	v_min_u32_e32 v6, 32, v6
	s_delay_alu instid0(VALU_DEP_1) | instskip(SKIP_1) | instid1(VALU_DEP_2)
	v_subrev_nc_u32_e32 v7, 29, v6
	v_sub_nc_u32_e32 v6, 30, v6
	v_lshlrev_b32_e32 v2, v7, v2
	s_delay_alu instid0(VALU_DEP_2) | instskip(NEXT) | instid1(VALU_DEP_2)
	v_cndmask_b32_e32 v6, v8, v6, vcc_lo
	v_and_b32_e32 v2, 3, v2
	s_delay_alu instid0(VALU_DEP_1) | instskip(SKIP_1) | instid1(VALU_DEP_4)
	v_cndmask_b32_e32 v2, v3, v2, vcc_lo
	v_and_b32_e32 v3, 0x80000000, v5
	v_lshl_add_u32 v5, v6, 23, 0x37800000
	s_delay_alu instid0(VALU_DEP_3) | instskip(NEXT) | instid1(VALU_DEP_1)
	v_lshlrev_b32_e32 v2, 21, v2
	v_or3_b32 v2, v3, v5, v2
	s_delay_alu instid0(VALU_DEP_1)
	v_cvt_f64_f32_e32 v[2:3], v2
.LBB110_2118:
	s_or_b32 exec_lo, exec_lo, s25
	s_mov_b32 s24, 0
	s_branch .LBB110_2124
.LBB110_2119:
                                        ; implicit-def: $vgpr2_vgpr3
	s_mov_b32 s24, 0
	s_branch .LBB110_2130
.LBB110_2120:
	s_or_saveexec_b32 s26, s26
	v_mov_b64_e32 v[2:3], 0x7ff8000020000000
	s_xor_b32 exec_lo, exec_lo, s26
	s_cbranch_execz .LBB110_2104
.LBB110_2121:
	v_cmp_ne_u16_e32 vcc_lo, 0, v5
	v_mov_b64_e32 v[2:3], 0
	s_and_not1_b32 s25, s25, exec_lo
	s_and_b32 s27, vcc_lo, exec_lo
	s_delay_alu instid0(SALU_CYCLE_1)
	s_or_b32 s25, s25, s27
	s_or_b32 exec_lo, exec_lo, s26
	s_and_saveexec_b32 s26, s25
	s_cbranch_execnz .LBB110_2105
	s_branch .LBB110_2106
.LBB110_2122:
	s_mov_b32 s24, -1
                                        ; implicit-def: $vgpr2_vgpr3
	s_branch .LBB110_2127
.LBB110_2123:
	s_mov_b32 s24, -1
                                        ; implicit-def: $vgpr2_vgpr3
.LBB110_2124:
	s_delay_alu instid0(SALU_CYCLE_1)
	s_and_b32 vcc_lo, exec_lo, s24
	s_cbranch_vccz .LBB110_2126
; %bb.2125:
	global_load_u8 v2, v[0:1], off
	s_wait_loadcnt 0x0
	v_lshlrev_b32_e32 v2, 24, v2
	s_delay_alu instid0(VALU_DEP_1) | instskip(NEXT) | instid1(VALU_DEP_1)
	v_and_b32_e32 v3, 0x7f000000, v2
	v_clz_i32_u32_e32 v5, v3
	v_add_nc_u32_e32 v7, 0x1000000, v3
	v_cmp_ne_u32_e32 vcc_lo, 0, v3
	s_delay_alu instid0(VALU_DEP_3) | instskip(NEXT) | instid1(VALU_DEP_1)
	v_min_u32_e32 v5, 32, v5
	v_sub_nc_u32_e64 v5, v5, 4 clamp
	s_delay_alu instid0(VALU_DEP_1) | instskip(NEXT) | instid1(VALU_DEP_1)
	v_dual_lshlrev_b32 v6, v5, v3 :: v_dual_lshlrev_b32 v5, 23, v5
	v_lshrrev_b32_e32 v6, 4, v6
	s_delay_alu instid0(VALU_DEP_1) | instskip(NEXT) | instid1(VALU_DEP_1)
	v_dual_sub_nc_u32 v5, v6, v5 :: v_dual_ashrrev_i32 v6, 8, v7
	v_add_nc_u32_e32 v5, 0x3c000000, v5
	s_delay_alu instid0(VALU_DEP_1) | instskip(NEXT) | instid1(VALU_DEP_1)
	v_and_or_b32 v5, 0x7f800000, v6, v5
	v_cndmask_b32_e32 v3, 0, v5, vcc_lo
	s_delay_alu instid0(VALU_DEP_1) | instskip(NEXT) | instid1(VALU_DEP_1)
	v_and_or_b32 v2, 0x80000000, v2, v3
	v_cvt_f64_f32_e32 v[2:3], v2
.LBB110_2126:
	s_mov_b32 s24, 0
.LBB110_2127:
	s_delay_alu instid0(SALU_CYCLE_1)
	s_and_not1_b32 vcc_lo, exec_lo, s24
	s_cbranch_vccnz .LBB110_2129
; %bb.2128:
	global_load_u8 v2, v[0:1], off
	s_wait_loadcnt 0x0
	v_lshlrev_b32_e32 v3, 25, v2
	v_lshlrev_b16 v2, 8, v2
	s_delay_alu instid0(VALU_DEP_2) | instskip(NEXT) | instid1(VALU_DEP_2)
	v_cmp_gt_u32_e32 vcc_lo, 0x8000000, v3
	v_and_or_b32 v6, 0x7f00, v2, 0.5
	v_lshrrev_b32_e32 v5, 4, v3
	v_bfe_i32 v2, v2, 0, 16
	s_delay_alu instid0(VALU_DEP_3) | instskip(NEXT) | instid1(VALU_DEP_3)
	v_add_f32_e32 v6, -0.5, v6
	v_or_b32_e32 v5, 0x70000000, v5
	s_delay_alu instid0(VALU_DEP_1) | instskip(NEXT) | instid1(VALU_DEP_1)
	v_mul_f32_e32 v5, 0x7800000, v5
	v_cndmask_b32_e32 v3, v5, v6, vcc_lo
	s_delay_alu instid0(VALU_DEP_1) | instskip(NEXT) | instid1(VALU_DEP_1)
	v_and_or_b32 v2, 0x80000000, v2, v3
	v_cvt_f64_f32_e32 v[2:3], v2
.LBB110_2129:
	s_mov_b32 s25, -1
	s_mov_b32 s24, 0
	s_cbranch_execnz .LBB110_2140
.LBB110_2130:
	s_cmp_gt_i32 s0, 14
	s_cbranch_scc0 .LBB110_2133
; %bb.2131:
	s_cmp_eq_u32 s0, 15
	s_cbranch_scc0 .LBB110_2136
; %bb.2132:
	global_load_u16 v2, v[0:1], off
	s_mov_b32 s20, 0
	s_mov_b32 s25, -1
	s_wait_loadcnt 0x0
	v_lshlrev_b32_e32 v2, 16, v2
	s_delay_alu instid0(VALU_DEP_1)
	v_cvt_f64_f32_e32 v[2:3], v2
	s_branch .LBB110_2138
.LBB110_2133:
	s_mov_b32 s24, -1
	s_branch .LBB110_2137
.LBB110_2134:
	s_or_saveexec_b32 s25, s25
	v_mov_b64_e32 v[2:3], 0x7ff8000020000000
	s_xor_b32 exec_lo, exec_lo, s25
	s_cbranch_execz .LBB110_2116
.LBB110_2135:
	v_cmp_ne_u16_e32 vcc_lo, 0, v5
	v_mov_b64_e32 v[2:3], 0
	s_and_not1_b32 s24, s24, exec_lo
	s_and_b32 s26, vcc_lo, exec_lo
	s_delay_alu instid0(SALU_CYCLE_1)
	s_or_b32 s24, s24, s26
	s_or_b32 exec_lo, exec_lo, s25
	s_and_saveexec_b32 s25, s24
	s_cbranch_execnz .LBB110_2117
	s_branch .LBB110_2118
.LBB110_2136:
	s_mov_b32 s20, -1
.LBB110_2137:
                                        ; implicit-def: $vgpr2_vgpr3
.LBB110_2138:
	s_and_b32 vcc_lo, exec_lo, s24
	s_mov_b32 s24, 0
	s_cbranch_vccz .LBB110_2140
; %bb.2139:
	s_cmp_lg_u32 s0, 11
	s_mov_b32 s24, -1
	s_cselect_b32 s20, -1, 0
.LBB110_2140:
	s_delay_alu instid0(SALU_CYCLE_1)
	s_and_b32 vcc_lo, exec_lo, s20
	s_mov_b32 s20, s23
	s_cbranch_vccnz .LBB110_2201
; %bb.2141:
	s_and_not1_b32 vcc_lo, exec_lo, s24
	s_cbranch_vccnz .LBB110_2143
.LBB110_2142:
	global_load_u8 v2, v[0:1], off
	s_mov_b32 s25, -1
	s_wait_loadcnt 0x0
	v_cmp_ne_u16_e32 vcc_lo, 0, v2
	v_mov_b32_e32 v2, 0
	v_cndmask_b32_e64 v3, 0, 0x3ff00000, vcc_lo
.LBB110_2143:
	s_branch .LBB110_2072
.LBB110_2144:
	s_and_b32 s0, 0xffff, s21
	s_delay_alu instid0(SALU_CYCLE_1)
	s_cmp_lt_i32 s0, 5
	s_cbranch_scc1 .LBB110_2149
; %bb.2145:
	s_cmp_lt_i32 s0, 8
	s_cbranch_scc1 .LBB110_2150
; %bb.2146:
	;; [unrolled: 3-line block ×3, first 2 shown]
	s_cmp_gt_i32 s0, 9
	s_cbranch_scc0 .LBB110_2152
; %bb.2148:
	global_load_b64 v[2:3], v[0:1], off
	s_mov_b32 s24, 0
	s_branch .LBB110_2153
.LBB110_2149:
                                        ; implicit-def: $vgpr2_vgpr3
	s_branch .LBB110_2170
.LBB110_2150:
                                        ; implicit-def: $vgpr2_vgpr3
	s_branch .LBB110_2159
.LBB110_2151:
	s_mov_b32 s24, -1
                                        ; implicit-def: $vgpr2_vgpr3
	s_branch .LBB110_2156
.LBB110_2152:
	s_mov_b32 s24, -1
                                        ; implicit-def: $vgpr2_vgpr3
.LBB110_2153:
	s_delay_alu instid0(SALU_CYCLE_1)
	s_and_not1_b32 vcc_lo, exec_lo, s24
	s_cbranch_vccnz .LBB110_2155
; %bb.2154:
	s_wait_loadcnt 0x0
	global_load_b32 v2, v[0:1], off
	s_wait_loadcnt 0x0
	v_cvt_f64_f32_e32 v[2:3], v2
.LBB110_2155:
	s_mov_b32 s24, 0
.LBB110_2156:
	s_delay_alu instid0(SALU_CYCLE_1)
	s_and_not1_b32 vcc_lo, exec_lo, s24
	s_cbranch_vccnz .LBB110_2158
; %bb.2157:
	s_wait_loadcnt 0x0
	global_load_b32 v2, v[0:1], off
	s_wait_loadcnt 0x0
	v_cvt_f32_f16_e32 v2, v2
	s_delay_alu instid0(VALU_DEP_1)
	v_cvt_f64_f32_e32 v[2:3], v2
.LBB110_2158:
	s_cbranch_execnz .LBB110_2169
.LBB110_2159:
	s_cmp_lt_i32 s0, 6
	s_cbranch_scc1 .LBB110_2162
; %bb.2160:
	s_cmp_gt_i32 s0, 6
	s_cbranch_scc0 .LBB110_2163
; %bb.2161:
	s_wait_loadcnt 0x0
	global_load_b64 v[2:3], v[0:1], off
	s_mov_b32 s24, 0
	s_branch .LBB110_2164
.LBB110_2162:
	s_mov_b32 s24, -1
                                        ; implicit-def: $vgpr2_vgpr3
	s_branch .LBB110_2167
.LBB110_2163:
	s_mov_b32 s24, -1
                                        ; implicit-def: $vgpr2_vgpr3
.LBB110_2164:
	s_delay_alu instid0(SALU_CYCLE_1)
	s_and_not1_b32 vcc_lo, exec_lo, s24
	s_cbranch_vccnz .LBB110_2166
; %bb.2165:
	s_wait_loadcnt 0x0
	global_load_b32 v2, v[0:1], off
	s_wait_loadcnt 0x0
	v_cvt_f64_f32_e32 v[2:3], v2
.LBB110_2166:
	s_mov_b32 s24, 0
.LBB110_2167:
	s_delay_alu instid0(SALU_CYCLE_1)
	s_and_not1_b32 vcc_lo, exec_lo, s24
	s_cbranch_vccnz .LBB110_2169
; %bb.2168:
	s_wait_loadcnt 0x0
	global_load_u16 v2, v[0:1], off
	s_wait_loadcnt 0x0
	v_cvt_f32_f16_e32 v2, v2
	s_delay_alu instid0(VALU_DEP_1)
	v_cvt_f64_f32_e32 v[2:3], v2
.LBB110_2169:
	s_cbranch_execnz .LBB110_2188
.LBB110_2170:
	s_cmp_lt_i32 s0, 2
	s_cbranch_scc1 .LBB110_2174
; %bb.2171:
	s_cmp_lt_i32 s0, 3
	s_cbranch_scc1 .LBB110_2175
; %bb.2172:
	s_cmp_gt_i32 s0, 3
	s_cbranch_scc0 .LBB110_2176
; %bb.2173:
	s_wait_loadcnt 0x0
	global_load_b64 v[2:3], v[0:1], off
	s_mov_b32 s24, 0
	s_wait_loadcnt 0x0
	v_cvt_f64_i32_e32 v[6:7], v3
	v_cvt_f64_u32_e32 v[2:3], v2
	s_delay_alu instid0(VALU_DEP_2) | instskip(NEXT) | instid1(VALU_DEP_1)
	v_ldexp_f64 v[6:7], v[6:7], 32
	v_add_f64_e32 v[2:3], v[6:7], v[2:3]
	s_branch .LBB110_2177
.LBB110_2174:
                                        ; implicit-def: $vgpr2_vgpr3
	s_branch .LBB110_2183
.LBB110_2175:
	s_mov_b32 s24, -1
                                        ; implicit-def: $vgpr2_vgpr3
	s_branch .LBB110_2180
.LBB110_2176:
	s_mov_b32 s24, -1
                                        ; implicit-def: $vgpr2_vgpr3
.LBB110_2177:
	s_delay_alu instid0(SALU_CYCLE_1)
	s_and_not1_b32 vcc_lo, exec_lo, s24
	s_cbranch_vccnz .LBB110_2179
; %bb.2178:
	s_wait_loadcnt 0x0
	global_load_b32 v2, v[0:1], off
	s_wait_loadcnt 0x0
	v_cvt_f64_i32_e32 v[2:3], v2
.LBB110_2179:
	s_mov_b32 s24, 0
.LBB110_2180:
	s_delay_alu instid0(SALU_CYCLE_1)
	s_and_not1_b32 vcc_lo, exec_lo, s24
	s_cbranch_vccnz .LBB110_2182
; %bb.2181:
	s_wait_loadcnt 0x0
	global_load_i16 v2, v[0:1], off
	s_wait_loadcnt 0x0
	v_cvt_f64_i32_e32 v[2:3], v2
.LBB110_2182:
	s_cbranch_execnz .LBB110_2188
.LBB110_2183:
	s_cmp_gt_i32 s0, 0
	s_mov_b32 s0, 0
	s_cbranch_scc0 .LBB110_2185
; %bb.2184:
	s_wait_loadcnt 0x0
	global_load_i8 v2, v[0:1], off
	s_wait_loadcnt 0x0
	v_cvt_f64_i32_e32 v[2:3], v2
	s_branch .LBB110_2186
.LBB110_2185:
	s_mov_b32 s0, -1
                                        ; implicit-def: $vgpr2_vgpr3
.LBB110_2186:
	s_delay_alu instid0(SALU_CYCLE_1)
	s_and_not1_b32 vcc_lo, exec_lo, s0
	s_cbranch_vccnz .LBB110_2188
; %bb.2187:
	global_load_u8 v0, v[0:1], off
	s_wait_loadcnt 0x0
	v_cvt_f64_u32_e32 v[2:3], v0
.LBB110_2188:
.LBB110_2189:
	v_mul_lo_u32 v8, s14, v26
	s_and_b32 s3, s3, 0xff
	s_delay_alu instid0(SALU_CYCLE_1) | instskip(NEXT) | instid1(VALU_DEP_1)
	s_cmp_lt_i32 s3, 11
	v_ashrrev_i32_e32 v9, 31, v8
	s_delay_alu instid0(VALU_DEP_1)
	v_add_nc_u64_e32 v[6:7], s[8:9], v[8:9]
	s_cbranch_scc1 .LBB110_2196
; %bb.2190:
	s_and_b32 s0, 0xffff, s3
	s_mov_b32 s25, 0
	s_cmp_gt_i32 s0, 25
	s_cbranch_scc0 .LBB110_2198
; %bb.2191:
	s_cmp_gt_i32 s0, 28
	s_cbranch_scc0 .LBB110_2199
; %bb.2192:
	;; [unrolled: 3-line block ×4, first 2 shown]
	s_cmp_eq_u32 s0, 46
	s_mov_b32 s27, 0
	s_cbranch_scc0 .LBB110_2205
; %bb.2195:
	global_load_b32 v0, v[6:7], off
	s_mov_b32 s24, 0
	s_mov_b32 s26, -1
	s_wait_loadcnt 0x0
	v_lshlrev_b32_e32 v0, 16, v0
	s_delay_alu instid0(VALU_DEP_1)
	v_cvt_f64_f32_e32 v[0:1], v0
	s_branch .LBB110_2207
.LBB110_2196:
	s_mov_b32 s26, 0
                                        ; implicit-def: $vgpr0_vgpr1
	s_cbranch_execnz .LBB110_2272
.LBB110_2197:
	s_and_not1_b32 vcc_lo, exec_lo, s26
	s_cbranch_vccnz .LBB110_4065
	s_branch .LBB110_2319
.LBB110_2198:
	s_mov_b32 s26, 0
	s_mov_b32 s24, 0
                                        ; implicit-def: $vgpr0_vgpr1
	s_cbranch_execnz .LBB110_2236
	s_branch .LBB110_2268
.LBB110_2199:
	s_mov_b32 s27, -1
	s_mov_b32 s26, 0
	s_mov_b32 s24, 0
                                        ; implicit-def: $vgpr0_vgpr1
	s_branch .LBB110_2217
.LBB110_2200:
	s_mov_b32 s27, -1
	s_mov_b32 s26, 0
	s_mov_b32 s24, 0
                                        ; implicit-def: $vgpr0_vgpr1
	s_branch .LBB110_2212
.LBB110_2201:
	s_or_b32 s20, s23, exec_lo
	s_trap 2
	s_cbranch_execz .LBB110_2142
	s_branch .LBB110_2143
.LBB110_2202:
	s_mov_b32 s27, -1
	s_mov_b32 s26, 0
	s_mov_b32 s24, 0
	s_branch .LBB110_2206
.LBB110_2203:
	s_and_not1_saveexec_b32 s31, s31
	s_cbranch_execz .LBB110_1988
.LBB110_2204:
	v_add_f32_e64 v3, 0x42800000, |v2|
	s_and_not1_b32 s30, s30, exec_lo
	s_delay_alu instid0(VALU_DEP_1) | instskip(NEXT) | instid1(VALU_DEP_1)
	v_and_b32_e32 v3, 0xff, v3
	v_cmp_ne_u32_e32 vcc_lo, 0, v3
	s_and_b32 s33, vcc_lo, exec_lo
	s_delay_alu instid0(SALU_CYCLE_1)
	s_or_b32 s30, s30, s33
	s_or_b32 exec_lo, exec_lo, s31
	v_mov_b32_e32 v4, 0
	s_and_saveexec_b32 s31, s30
	s_cbranch_execnz .LBB110_1989
	s_branch .LBB110_1990
.LBB110_2205:
	s_mov_b32 s24, -1
	s_mov_b32 s26, 0
.LBB110_2206:
                                        ; implicit-def: $vgpr0_vgpr1
.LBB110_2207:
	s_and_b32 vcc_lo, exec_lo, s27
	s_cbranch_vccz .LBB110_2211
; %bb.2208:
	s_cmp_eq_u32 s0, 44
	s_cbranch_scc0 .LBB110_2210
; %bb.2209:
	global_load_u8 v5, v[6:7], off
	s_mov_b32 s24, 0
	s_mov_b32 s26, -1
	s_wait_loadcnt 0x0
	s_wait_xcnt 0x1
	v_lshlrev_b32_e32 v0, 23, v5
	v_cmp_ne_u32_e32 vcc_lo, 0xff, v5
	s_delay_alu instid0(VALU_DEP_2) | instskip(NEXT) | instid1(VALU_DEP_1)
	v_cvt_f64_f32_e32 v[0:1], v0
	v_cndmask_b32_e32 v0, 0x20000000, v0, vcc_lo
	s_delay_alu instid0(VALU_DEP_2) | instskip(SKIP_1) | instid1(VALU_DEP_2)
	v_cndmask_b32_e32 v1, 0x7ff80000, v1, vcc_lo
	v_cmp_ne_u32_e32 vcc_lo, 0, v5
	v_cndmask_b32_e32 v1, 0x38000000, v1, vcc_lo
	s_delay_alu instid0(VALU_DEP_4)
	v_cndmask_b32_e32 v0, 0, v0, vcc_lo
	s_branch .LBB110_2211
.LBB110_2210:
	s_mov_b32 s24, -1
                                        ; implicit-def: $vgpr0_vgpr1
.LBB110_2211:
	s_mov_b32 s27, 0
.LBB110_2212:
	s_delay_alu instid0(SALU_CYCLE_1)
	s_and_b32 vcc_lo, exec_lo, s27
	s_cbranch_vccz .LBB110_2216
; %bb.2213:
	s_cmp_eq_u32 s0, 29
	s_cbranch_scc0 .LBB110_2215
; %bb.2214:
	global_load_b64 v[0:1], v[6:7], off
	s_mov_b32 s24, 0
	s_mov_b32 s26, -1
	s_mov_b32 s27, 0
	s_wait_loadcnt 0x0
	v_cvt_f64_u32_e32 v[10:11], v1
	v_cvt_f64_u32_e32 v[0:1], v0
	s_delay_alu instid0(VALU_DEP_2) | instskip(NEXT) | instid1(VALU_DEP_1)
	v_ldexp_f64 v[10:11], v[10:11], 32
	v_add_f64_e32 v[0:1], v[10:11], v[0:1]
	s_branch .LBB110_2217
.LBB110_2215:
	s_mov_b32 s24, -1
                                        ; implicit-def: $vgpr0_vgpr1
.LBB110_2216:
	s_mov_b32 s27, 0
.LBB110_2217:
	s_delay_alu instid0(SALU_CYCLE_1)
	s_and_b32 vcc_lo, exec_lo, s27
	s_cbranch_vccz .LBB110_2235
; %bb.2218:
	s_cmp_lt_i32 s0, 27
	s_cbranch_scc1 .LBB110_2221
; %bb.2219:
	s_cmp_gt_i32 s0, 27
	s_cbranch_scc0 .LBB110_2222
; %bb.2220:
	global_load_b32 v0, v[6:7], off
	s_mov_b32 s26, 0
	s_wait_loadcnt 0x0
	v_cvt_f64_u32_e32 v[0:1], v0
	s_branch .LBB110_2223
.LBB110_2221:
	s_mov_b32 s26, -1
                                        ; implicit-def: $vgpr0_vgpr1
	s_branch .LBB110_2226
.LBB110_2222:
	s_mov_b32 s26, -1
                                        ; implicit-def: $vgpr0_vgpr1
.LBB110_2223:
	s_delay_alu instid0(SALU_CYCLE_1)
	s_and_not1_b32 vcc_lo, exec_lo, s26
	s_cbranch_vccnz .LBB110_2225
; %bb.2224:
	global_load_u16 v0, v[6:7], off
	s_wait_loadcnt 0x0
	v_cvt_f64_u32_e32 v[0:1], v0
.LBB110_2225:
	s_mov_b32 s26, 0
.LBB110_2226:
	s_delay_alu instid0(SALU_CYCLE_1)
	s_and_not1_b32 vcc_lo, exec_lo, s26
	s_cbranch_vccnz .LBB110_2234
; %bb.2227:
	global_load_u8 v5, v[6:7], off
	s_mov_b32 s26, 0
	s_mov_b32 s27, exec_lo
	s_wait_loadcnt 0x0
	v_cmpx_lt_i16_e32 0x7f, v5
	s_xor_b32 s27, exec_lo, s27
	s_cbranch_execz .LBB110_2247
; %bb.2228:
	s_mov_b32 s26, -1
	s_mov_b32 s28, exec_lo
	v_cmpx_eq_u16_e32 0x80, v5
; %bb.2229:
	s_xor_b32 s26, exec_lo, -1
; %bb.2230:
	s_or_b32 exec_lo, exec_lo, s28
	s_delay_alu instid0(SALU_CYCLE_1)
	s_and_b32 s26, s26, exec_lo
	s_or_saveexec_b32 s27, s27
	v_mov_b64_e32 v[0:1], 0x7ff8000020000000
	s_xor_b32 exec_lo, exec_lo, s27
	s_cbranch_execnz .LBB110_2248
.LBB110_2231:
	s_or_b32 exec_lo, exec_lo, s27
	s_and_saveexec_b32 s27, s26
	s_cbranch_execz .LBB110_2233
.LBB110_2232:
	v_and_b32_e32 v0, 0xffff, v5
	s_delay_alu instid0(VALU_DEP_1) | instskip(SKIP_1) | instid1(VALU_DEP_2)
	v_and_b32_e32 v1, 7, v0
	v_bfe_u32 v11, v0, 3, 4
	v_clz_i32_u32_e32 v9, v1
	s_delay_alu instid0(VALU_DEP_2) | instskip(NEXT) | instid1(VALU_DEP_2)
	v_cmp_eq_u32_e32 vcc_lo, 0, v11
	v_min_u32_e32 v9, 32, v9
	s_delay_alu instid0(VALU_DEP_1) | instskip(NEXT) | instid1(VALU_DEP_1)
	v_subrev_nc_u32_e32 v10, 28, v9
	v_dual_lshlrev_b32 v0, v10, v0 :: v_dual_sub_nc_u32 v9, 29, v9
	s_delay_alu instid0(VALU_DEP_1) | instskip(NEXT) | instid1(VALU_DEP_1)
	v_dual_lshlrev_b32 v5, 24, v5 :: v_dual_bitop2_b32 v0, 7, v0 bitop3:0x40
	v_dual_cndmask_b32 v0, v1, v0 :: v_dual_cndmask_b32 v9, v11, v9
	s_delay_alu instid0(VALU_DEP_2) | instskip(NEXT) | instid1(VALU_DEP_2)
	v_and_b32_e32 v1, 0x80000000, v5
	v_lshlrev_b32_e32 v0, 20, v0
	s_delay_alu instid0(VALU_DEP_3) | instskip(NEXT) | instid1(VALU_DEP_1)
	v_lshl_add_u32 v5, v9, 23, 0x3b800000
	v_or3_b32 v0, v1, v5, v0
	s_delay_alu instid0(VALU_DEP_1)
	v_cvt_f64_f32_e32 v[0:1], v0
.LBB110_2233:
	s_or_b32 exec_lo, exec_lo, s27
.LBB110_2234:
	s_mov_b32 s26, -1
.LBB110_2235:
	s_branch .LBB110_2268
.LBB110_2236:
	s_cmp_gt_i32 s0, 22
	s_cbranch_scc0 .LBB110_2246
; %bb.2237:
	s_cmp_lt_i32 s0, 24
	s_cbranch_scc1 .LBB110_2249
; %bb.2238:
	s_cmp_gt_i32 s0, 24
	s_cbranch_scc0 .LBB110_2250
; %bb.2239:
	global_load_u8 v5, v[6:7], off
	s_mov_b32 s26, exec_lo
	s_wait_loadcnt 0x0
	v_cmpx_lt_i16_e32 0x7f, v5
	s_xor_b32 s26, exec_lo, s26
	s_cbranch_execz .LBB110_2262
; %bb.2240:
	s_mov_b32 s25, -1
	s_mov_b32 s27, exec_lo
	v_cmpx_eq_u16_e32 0x80, v5
; %bb.2241:
	s_xor_b32 s25, exec_lo, -1
; %bb.2242:
	s_or_b32 exec_lo, exec_lo, s27
	s_delay_alu instid0(SALU_CYCLE_1)
	s_and_b32 s25, s25, exec_lo
	s_or_saveexec_b32 s26, s26
	v_mov_b64_e32 v[0:1], 0x7ff8000020000000
	s_xor_b32 exec_lo, exec_lo, s26
	s_cbranch_execnz .LBB110_2263
.LBB110_2243:
	s_or_b32 exec_lo, exec_lo, s26
	s_and_saveexec_b32 s26, s25
	s_cbranch_execz .LBB110_2245
.LBB110_2244:
	v_and_b32_e32 v0, 0xffff, v5
	s_delay_alu instid0(VALU_DEP_1) | instskip(SKIP_1) | instid1(VALU_DEP_2)
	v_and_b32_e32 v1, 3, v0
	v_bfe_u32 v11, v0, 2, 5
	v_clz_i32_u32_e32 v9, v1
	s_delay_alu instid0(VALU_DEP_2) | instskip(NEXT) | instid1(VALU_DEP_2)
	v_cmp_eq_u32_e32 vcc_lo, 0, v11
	v_min_u32_e32 v9, 32, v9
	s_delay_alu instid0(VALU_DEP_1) | instskip(NEXT) | instid1(VALU_DEP_1)
	v_subrev_nc_u32_e32 v10, 29, v9
	v_dual_lshlrev_b32 v0, v10, v0 :: v_dual_sub_nc_u32 v9, 30, v9
	s_delay_alu instid0(VALU_DEP_1) | instskip(NEXT) | instid1(VALU_DEP_1)
	v_dual_lshlrev_b32 v5, 24, v5 :: v_dual_bitop2_b32 v0, 3, v0 bitop3:0x40
	v_dual_cndmask_b32 v0, v1, v0 :: v_dual_cndmask_b32 v9, v11, v9
	s_delay_alu instid0(VALU_DEP_2) | instskip(NEXT) | instid1(VALU_DEP_2)
	v_and_b32_e32 v1, 0x80000000, v5
	v_lshlrev_b32_e32 v0, 21, v0
	s_delay_alu instid0(VALU_DEP_3) | instskip(NEXT) | instid1(VALU_DEP_1)
	v_lshl_add_u32 v5, v9, 23, 0x37800000
	v_or3_b32 v0, v1, v5, v0
	s_delay_alu instid0(VALU_DEP_1)
	v_cvt_f64_f32_e32 v[0:1], v0
.LBB110_2245:
	s_or_b32 exec_lo, exec_lo, s26
	s_mov_b32 s25, 0
	s_branch .LBB110_2251
.LBB110_2246:
	s_mov_b32 s25, -1
                                        ; implicit-def: $vgpr0_vgpr1
	s_branch .LBB110_2257
.LBB110_2247:
	s_or_saveexec_b32 s27, s27
	v_mov_b64_e32 v[0:1], 0x7ff8000020000000
	s_xor_b32 exec_lo, exec_lo, s27
	s_cbranch_execz .LBB110_2231
.LBB110_2248:
	v_cmp_ne_u16_e32 vcc_lo, 0, v5
	v_mov_b64_e32 v[0:1], 0
	s_and_not1_b32 s26, s26, exec_lo
	s_and_b32 s28, vcc_lo, exec_lo
	s_delay_alu instid0(SALU_CYCLE_1)
	s_or_b32 s26, s26, s28
	s_or_b32 exec_lo, exec_lo, s27
	s_and_saveexec_b32 s27, s26
	s_cbranch_execnz .LBB110_2232
	s_branch .LBB110_2233
.LBB110_2249:
	s_mov_b32 s25, -1
                                        ; implicit-def: $vgpr0_vgpr1
	s_branch .LBB110_2254
.LBB110_2250:
	s_mov_b32 s25, -1
                                        ; implicit-def: $vgpr0_vgpr1
.LBB110_2251:
	s_delay_alu instid0(SALU_CYCLE_1)
	s_and_b32 vcc_lo, exec_lo, s25
	s_cbranch_vccz .LBB110_2253
; %bb.2252:
	global_load_u8 v0, v[6:7], off
	s_wait_loadcnt 0x0
	v_lshlrev_b32_e32 v0, 24, v0
	s_delay_alu instid0(VALU_DEP_1) | instskip(NEXT) | instid1(VALU_DEP_1)
	v_and_b32_e32 v1, 0x7f000000, v0
	v_clz_i32_u32_e32 v5, v1
	v_add_nc_u32_e32 v10, 0x1000000, v1
	v_cmp_ne_u32_e32 vcc_lo, 0, v1
	s_delay_alu instid0(VALU_DEP_3) | instskip(NEXT) | instid1(VALU_DEP_1)
	v_min_u32_e32 v5, 32, v5
	v_sub_nc_u32_e64 v5, v5, 4 clamp
	s_delay_alu instid0(VALU_DEP_1) | instskip(SKIP_1) | instid1(VALU_DEP_2)
	v_lshlrev_b32_e32 v9, v5, v1
	v_lshlrev_b32_e32 v5, 23, v5
	v_lshrrev_b32_e32 v9, 4, v9
	s_delay_alu instid0(VALU_DEP_1) | instskip(NEXT) | instid1(VALU_DEP_1)
	v_dual_sub_nc_u32 v5, v9, v5 :: v_dual_ashrrev_i32 v9, 8, v10
	v_add_nc_u32_e32 v5, 0x3c000000, v5
	s_delay_alu instid0(VALU_DEP_1) | instskip(NEXT) | instid1(VALU_DEP_1)
	v_and_or_b32 v5, 0x7f800000, v9, v5
	v_cndmask_b32_e32 v1, 0, v5, vcc_lo
	s_delay_alu instid0(VALU_DEP_1) | instskip(NEXT) | instid1(VALU_DEP_1)
	v_and_or_b32 v0, 0x80000000, v0, v1
	v_cvt_f64_f32_e32 v[0:1], v0
.LBB110_2253:
	s_mov_b32 s25, 0
.LBB110_2254:
	s_delay_alu instid0(SALU_CYCLE_1)
	s_and_not1_b32 vcc_lo, exec_lo, s25
	s_cbranch_vccnz .LBB110_2256
; %bb.2255:
	global_load_u8 v0, v[6:7], off
	s_wait_loadcnt 0x0
	v_lshlrev_b32_e32 v1, 25, v0
	v_lshlrev_b16 v0, 8, v0
	s_delay_alu instid0(VALU_DEP_1) | instskip(SKIP_1) | instid1(VALU_DEP_2)
	v_and_or_b32 v9, 0x7f00, v0, 0.5
	v_bfe_i32 v0, v0, 0, 16
	v_add_f32_e32 v9, -0.5, v9
	v_lshrrev_b32_e32 v5, 4, v1
	v_cmp_gt_u32_e32 vcc_lo, 0x8000000, v1
	s_delay_alu instid0(VALU_DEP_2) | instskip(NEXT) | instid1(VALU_DEP_1)
	v_or_b32_e32 v5, 0x70000000, v5
	v_mul_f32_e32 v5, 0x7800000, v5
	s_delay_alu instid0(VALU_DEP_1) | instskip(NEXT) | instid1(VALU_DEP_1)
	v_cndmask_b32_e32 v1, v5, v9, vcc_lo
	v_and_or_b32 v0, 0x80000000, v0, v1
	s_delay_alu instid0(VALU_DEP_1)
	v_cvt_f64_f32_e32 v[0:1], v0
.LBB110_2256:
	s_mov_b32 s25, 0
	s_mov_b32 s26, -1
.LBB110_2257:
	s_and_not1_b32 vcc_lo, exec_lo, s25
	s_mov_b32 s25, 0
	s_cbranch_vccnz .LBB110_2268
; %bb.2258:
	s_cmp_gt_i32 s0, 14
	s_cbranch_scc0 .LBB110_2261
; %bb.2259:
	s_cmp_eq_u32 s0, 15
	s_cbranch_scc0 .LBB110_2264
; %bb.2260:
	global_load_u16 v0, v[6:7], off
	s_mov_b32 s24, 0
	s_mov_b32 s26, -1
	s_wait_loadcnt 0x0
	v_lshlrev_b32_e32 v0, 16, v0
	s_delay_alu instid0(VALU_DEP_1)
	v_cvt_f64_f32_e32 v[0:1], v0
	s_branch .LBB110_2266
.LBB110_2261:
	s_mov_b32 s25, -1
	s_branch .LBB110_2265
.LBB110_2262:
	s_or_saveexec_b32 s26, s26
	v_mov_b64_e32 v[0:1], 0x7ff8000020000000
	s_xor_b32 exec_lo, exec_lo, s26
	s_cbranch_execz .LBB110_2243
.LBB110_2263:
	v_cmp_ne_u16_e32 vcc_lo, 0, v5
	v_mov_b64_e32 v[0:1], 0
	s_and_not1_b32 s25, s25, exec_lo
	s_and_b32 s27, vcc_lo, exec_lo
	s_delay_alu instid0(SALU_CYCLE_1)
	s_or_b32 s25, s25, s27
	s_or_b32 exec_lo, exec_lo, s26
	s_and_saveexec_b32 s26, s25
	s_cbranch_execnz .LBB110_2244
	s_branch .LBB110_2245
.LBB110_2264:
	s_mov_b32 s24, -1
.LBB110_2265:
                                        ; implicit-def: $vgpr0_vgpr1
.LBB110_2266:
	s_and_b32 vcc_lo, exec_lo, s25
	s_mov_b32 s25, 0
	s_cbranch_vccz .LBB110_2268
; %bb.2267:
	s_cmp_lg_u32 s0, 11
	s_mov_b32 s25, -1
	s_cselect_b32 s24, -1, 0
.LBB110_2268:
	s_delay_alu instid0(SALU_CYCLE_1)
	s_and_b32 vcc_lo, exec_lo, s24
	s_cbranch_vccnz .LBB110_2331
; %bb.2269:
	s_and_not1_b32 vcc_lo, exec_lo, s25
	s_cbranch_vccnz .LBB110_2271
.LBB110_2270:
	global_load_u8 v0, v[6:7], off
	s_mov_b32 s26, -1
	s_wait_loadcnt 0x0
	v_cmp_ne_u16_e32 vcc_lo, 0, v0
	v_mov_b32_e32 v0, 0
	v_cndmask_b32_e64 v1, 0, 0x3ff00000, vcc_lo
.LBB110_2271:
	s_branch .LBB110_2197
.LBB110_2272:
	s_and_b32 s0, 0xffff, s3
	s_delay_alu instid0(SALU_CYCLE_1)
	s_cmp_lt_i32 s0, 5
	s_cbranch_scc1 .LBB110_2277
; %bb.2273:
	s_cmp_lt_i32 s0, 8
	s_cbranch_scc1 .LBB110_2278
; %bb.2274:
	;; [unrolled: 3-line block ×3, first 2 shown]
	s_cmp_gt_i32 s0, 9
	s_cbranch_scc0 .LBB110_2280
; %bb.2276:
	global_load_b64 v[0:1], v[6:7], off
	s_mov_b32 s24, 0
	s_branch .LBB110_2281
.LBB110_2277:
                                        ; implicit-def: $vgpr0_vgpr1
	s_branch .LBB110_2299
.LBB110_2278:
	s_mov_b32 s24, -1
                                        ; implicit-def: $vgpr0_vgpr1
	s_branch .LBB110_2287
.LBB110_2279:
	s_mov_b32 s24, -1
                                        ; implicit-def: $vgpr0_vgpr1
	s_branch .LBB110_2284
.LBB110_2280:
	s_mov_b32 s24, -1
                                        ; implicit-def: $vgpr0_vgpr1
.LBB110_2281:
	s_delay_alu instid0(SALU_CYCLE_1)
	s_and_not1_b32 vcc_lo, exec_lo, s24
	s_cbranch_vccnz .LBB110_2283
; %bb.2282:
	s_wait_loadcnt 0x0
	global_load_b32 v0, v[6:7], off
	s_wait_loadcnt 0x0
	v_cvt_f64_f32_e32 v[0:1], v0
.LBB110_2283:
	s_mov_b32 s24, 0
.LBB110_2284:
	s_delay_alu instid0(SALU_CYCLE_1)
	s_and_not1_b32 vcc_lo, exec_lo, s24
	s_cbranch_vccnz .LBB110_2286
; %bb.2285:
	s_wait_loadcnt 0x0
	global_load_b32 v0, v[6:7], off
	s_wait_loadcnt 0x0
	v_cvt_f32_f16_e32 v0, v0
	s_delay_alu instid0(VALU_DEP_1)
	v_cvt_f64_f32_e32 v[0:1], v0
.LBB110_2286:
	s_mov_b32 s24, 0
.LBB110_2287:
	s_delay_alu instid0(SALU_CYCLE_1)
	s_and_not1_b32 vcc_lo, exec_lo, s24
	s_cbranch_vccnz .LBB110_2298
; %bb.2288:
	s_cmp_lt_i32 s0, 6
	s_cbranch_scc1 .LBB110_2291
; %bb.2289:
	s_cmp_gt_i32 s0, 6
	s_cbranch_scc0 .LBB110_2292
; %bb.2290:
	s_wait_loadcnt 0x0
	global_load_b64 v[0:1], v[6:7], off
	s_mov_b32 s24, 0
	s_branch .LBB110_2293
.LBB110_2291:
	s_mov_b32 s24, -1
                                        ; implicit-def: $vgpr0_vgpr1
	s_branch .LBB110_2296
.LBB110_2292:
	s_mov_b32 s24, -1
                                        ; implicit-def: $vgpr0_vgpr1
.LBB110_2293:
	s_delay_alu instid0(SALU_CYCLE_1)
	s_and_not1_b32 vcc_lo, exec_lo, s24
	s_cbranch_vccnz .LBB110_2295
; %bb.2294:
	s_wait_loadcnt 0x0
	global_load_b32 v0, v[6:7], off
	s_wait_loadcnt 0x0
	v_cvt_f64_f32_e32 v[0:1], v0
.LBB110_2295:
	s_mov_b32 s24, 0
.LBB110_2296:
	s_delay_alu instid0(SALU_CYCLE_1)
	s_and_not1_b32 vcc_lo, exec_lo, s24
	s_cbranch_vccnz .LBB110_2298
; %bb.2297:
	s_wait_loadcnt 0x0
	global_load_u16 v0, v[6:7], off
	s_wait_loadcnt 0x0
	v_cvt_f32_f16_e32 v0, v0
	s_delay_alu instid0(VALU_DEP_1)
	v_cvt_f64_f32_e32 v[0:1], v0
.LBB110_2298:
	s_cbranch_execnz .LBB110_2318
.LBB110_2299:
	s_cmp_lt_i32 s0, 2
	s_cbranch_scc1 .LBB110_2303
; %bb.2300:
	s_cmp_lt_i32 s0, 3
	s_cbranch_scc1 .LBB110_2304
; %bb.2301:
	s_cmp_gt_i32 s0, 3
	s_cbranch_scc0 .LBB110_2305
; %bb.2302:
	s_wait_loadcnt 0x0
	global_load_b64 v[0:1], v[6:7], off
	s_mov_b32 s24, 0
	s_wait_loadcnt 0x0
	v_cvt_f64_i32_e32 v[10:11], v1
	v_cvt_f64_u32_e32 v[0:1], v0
	s_delay_alu instid0(VALU_DEP_2) | instskip(NEXT) | instid1(VALU_DEP_1)
	v_ldexp_f64 v[10:11], v[10:11], 32
	v_add_f64_e32 v[0:1], v[10:11], v[0:1]
	s_branch .LBB110_2306
.LBB110_2303:
	s_mov_b32 s24, -1
                                        ; implicit-def: $vgpr0_vgpr1
	s_branch .LBB110_2312
.LBB110_2304:
	s_mov_b32 s24, -1
                                        ; implicit-def: $vgpr0_vgpr1
	s_branch .LBB110_2309
.LBB110_2305:
	s_mov_b32 s24, -1
                                        ; implicit-def: $vgpr0_vgpr1
.LBB110_2306:
	s_delay_alu instid0(SALU_CYCLE_1)
	s_and_not1_b32 vcc_lo, exec_lo, s24
	s_cbranch_vccnz .LBB110_2308
; %bb.2307:
	s_wait_loadcnt 0x0
	global_load_b32 v0, v[6:7], off
	s_wait_loadcnt 0x0
	v_cvt_f64_i32_e32 v[0:1], v0
.LBB110_2308:
	s_mov_b32 s24, 0
.LBB110_2309:
	s_delay_alu instid0(SALU_CYCLE_1)
	s_and_not1_b32 vcc_lo, exec_lo, s24
	s_cbranch_vccnz .LBB110_2311
; %bb.2310:
	s_wait_loadcnt 0x0
	global_load_i16 v0, v[6:7], off
	s_wait_loadcnt 0x0
	v_cvt_f64_i32_e32 v[0:1], v0
.LBB110_2311:
	s_mov_b32 s24, 0
.LBB110_2312:
	s_delay_alu instid0(SALU_CYCLE_1)
	s_and_not1_b32 vcc_lo, exec_lo, s24
	s_cbranch_vccnz .LBB110_2318
; %bb.2313:
	s_cmp_gt_i32 s0, 0
	s_mov_b32 s0, 0
	s_cbranch_scc0 .LBB110_2315
; %bb.2314:
	s_wait_loadcnt 0x0
	global_load_i8 v0, v[6:7], off
	s_wait_loadcnt 0x0
	v_cvt_f64_i32_e32 v[0:1], v0
	s_branch .LBB110_2316
.LBB110_2315:
	s_mov_b32 s0, -1
                                        ; implicit-def: $vgpr0_vgpr1
.LBB110_2316:
	s_delay_alu instid0(SALU_CYCLE_1)
	s_and_not1_b32 vcc_lo, exec_lo, s0
	s_cbranch_vccnz .LBB110_2318
; %bb.2317:
	s_wait_loadcnt 0x0
	global_load_u8 v0, v[6:7], off
	s_wait_loadcnt 0x0
	v_cvt_f64_u32_e32 v[0:1], v0
.LBB110_2318:
.LBB110_2319:
	v_mul_lo_u32 v10, s15, v26
	s_and_b32 s0, 0xffff, s1
	s_delay_alu instid0(SALU_CYCLE_1) | instskip(NEXT) | instid1(VALU_DEP_1)
	s_cmp_lt_i32 s0, 11
	v_ashrrev_i32_e32 v11, 31, v10
	s_delay_alu instid0(VALU_DEP_1)
	v_add_nc_u64_e32 v[12:13], s[10:11], v[10:11]
	s_cbranch_scc1 .LBB110_2326
; %bb.2320:
	s_cmp_gt_i32 s0, 25
	s_mov_b32 s24, 0
	s_cbranch_scc0 .LBB110_2328
; %bb.2321:
	s_cmp_gt_i32 s0, 28
	s_cbranch_scc0 .LBB110_2329
; %bb.2322:
	s_cmp_gt_i32 s0, 43
	;; [unrolled: 3-line block ×3, first 2 shown]
	s_cbranch_scc0 .LBB110_2332
; %bb.2324:
	s_cmp_eq_u32 s0, 46
	s_mov_b32 s26, 0
	s_cbranch_scc0 .LBB110_2333
; %bb.2325:
	global_load_b32 v5, v[12:13], off
	s_mov_b32 s1, 0
	s_mov_b32 s25, -1
	s_wait_loadcnt 0x0
	v_lshlrev_b32_e32 v5, 16, v5
	s_wait_xcnt 0x1
	s_delay_alu instid0(VALU_DEP_1)
	v_cvt_f64_f32_e32 v[6:7], v5
	s_branch .LBB110_2335
.LBB110_2326:
	s_mov_b32 s25, 0
                                        ; implicit-def: $vgpr6_vgpr7
	s_cbranch_execnz .LBB110_2401
.LBB110_2327:
	s_and_not1_b32 vcc_lo, exec_lo, s25
	s_cbranch_vccnz .LBB110_4065
	s_branch .LBB110_2449
.LBB110_2328:
	s_mov_b32 s26, -1
	s_mov_b32 s25, 0
	s_mov_b32 s1, 0
                                        ; implicit-def: $vgpr6_vgpr7
	s_branch .LBB110_2364
.LBB110_2329:
	s_mov_b32 s26, -1
	s_mov_b32 s25, 0
	s_mov_b32 s1, 0
                                        ; implicit-def: $vgpr6_vgpr7
	s_branch .LBB110_2345
.LBB110_2330:
	s_mov_b32 s26, -1
	s_mov_b32 s25, 0
	s_mov_b32 s1, 0
                                        ; implicit-def: $vgpr6_vgpr7
	s_branch .LBB110_2340
.LBB110_2331:
	s_or_b32 s20, s20, exec_lo
	s_trap 2
	s_cbranch_execz .LBB110_2270
	s_branch .LBB110_2271
.LBB110_2332:
	s_mov_b32 s26, -1
	s_mov_b32 s25, 0
	s_mov_b32 s1, 0
	s_branch .LBB110_2334
.LBB110_2333:
	s_mov_b32 s1, -1
	s_mov_b32 s25, 0
.LBB110_2334:
                                        ; implicit-def: $vgpr6_vgpr7
.LBB110_2335:
	s_and_b32 vcc_lo, exec_lo, s26
	s_cbranch_vccz .LBB110_2339
; %bb.2336:
	s_cmp_eq_u32 s0, 44
	s_cbranch_scc0 .LBB110_2338
; %bb.2337:
	global_load_u8 v5, v[12:13], off
	s_mov_b32 s1, 0
	s_mov_b32 s25, -1
	s_wait_loadcnt 0x0
	v_cmp_ne_u32_e32 vcc_lo, 0xff, v5
	s_wait_xcnt 0x1
	v_lshlrev_b32_e32 v6, 23, v5
	s_delay_alu instid0(VALU_DEP_1) | instskip(NEXT) | instid1(VALU_DEP_1)
	v_cvt_f64_f32_e32 v[6:7], v6
	v_cndmask_b32_e32 v6, 0x20000000, v6, vcc_lo
	s_delay_alu instid0(VALU_DEP_2) | instskip(SKIP_1) | instid1(VALU_DEP_2)
	v_cndmask_b32_e32 v7, 0x7ff80000, v7, vcc_lo
	v_cmp_ne_u32_e32 vcc_lo, 0, v5
	v_cndmask_b32_e32 v7, 0x38000000, v7, vcc_lo
	s_delay_alu instid0(VALU_DEP_4)
	v_cndmask_b32_e32 v6, 0, v6, vcc_lo
	s_branch .LBB110_2339
.LBB110_2338:
	s_mov_b32 s1, -1
                                        ; implicit-def: $vgpr6_vgpr7
.LBB110_2339:
	s_mov_b32 s26, 0
.LBB110_2340:
	s_delay_alu instid0(SALU_CYCLE_1)
	s_and_b32 vcc_lo, exec_lo, s26
	s_cbranch_vccz .LBB110_2344
; %bb.2341:
	s_cmp_eq_u32 s0, 29
	s_cbranch_scc0 .LBB110_2343
; %bb.2342:
	global_load_b64 v[6:7], v[12:13], off
	s_mov_b32 s1, 0
	s_mov_b32 s25, -1
	s_mov_b32 s26, 0
	s_wait_loadcnt 0x0
	v_cvt_f64_u32_e32 v[14:15], v7
	v_cvt_f64_u32_e32 v[6:7], v6
	s_delay_alu instid0(VALU_DEP_2) | instskip(NEXT) | instid1(VALU_DEP_1)
	v_ldexp_f64 v[14:15], v[14:15], 32
	v_add_f64_e32 v[6:7], v[14:15], v[6:7]
	s_branch .LBB110_2345
.LBB110_2343:
	s_mov_b32 s1, -1
                                        ; implicit-def: $vgpr6_vgpr7
.LBB110_2344:
	s_mov_b32 s26, 0
.LBB110_2345:
	s_delay_alu instid0(SALU_CYCLE_1)
	s_and_b32 vcc_lo, exec_lo, s26
	s_cbranch_vccz .LBB110_2363
; %bb.2346:
	s_cmp_lt_i32 s0, 27
	s_cbranch_scc1 .LBB110_2349
; %bb.2347:
	s_cmp_gt_i32 s0, 27
	s_cbranch_scc0 .LBB110_2350
; %bb.2348:
	global_load_b32 v5, v[12:13], off
	s_mov_b32 s25, 0
	s_wait_loadcnt 0x0
	s_wait_xcnt 0x1
	v_cvt_f64_u32_e32 v[6:7], v5
	s_branch .LBB110_2351
.LBB110_2349:
	s_mov_b32 s25, -1
                                        ; implicit-def: $vgpr6_vgpr7
	s_branch .LBB110_2354
.LBB110_2350:
	s_mov_b32 s25, -1
                                        ; implicit-def: $vgpr6_vgpr7
.LBB110_2351:
	s_delay_alu instid0(SALU_CYCLE_1)
	s_and_not1_b32 vcc_lo, exec_lo, s25
	s_cbranch_vccnz .LBB110_2353
; %bb.2352:
	global_load_u16 v5, v[12:13], off
	s_wait_loadcnt 0x0
	s_wait_xcnt 0x1
	v_cvt_f64_u32_e32 v[6:7], v5
.LBB110_2353:
	s_mov_b32 s25, 0
.LBB110_2354:
	s_delay_alu instid0(SALU_CYCLE_1)
	s_and_not1_b32 vcc_lo, exec_lo, s25
	s_cbranch_vccnz .LBB110_2362
; %bb.2355:
	global_load_u8 v5, v[12:13], off
	s_mov_b32 s25, 0
	s_mov_b32 s26, exec_lo
	s_wait_loadcnt 0x0
	v_cmpx_lt_i16_e32 0x7f, v5
	s_xor_b32 s26, exec_lo, s26
	s_cbranch_execz .LBB110_2376
; %bb.2356:
	s_mov_b32 s25, -1
	s_mov_b32 s27, exec_lo
	v_cmpx_eq_u16_e32 0x80, v5
; %bb.2357:
	s_xor_b32 s25, exec_lo, -1
; %bb.2358:
	s_or_b32 exec_lo, exec_lo, s27
	s_delay_alu instid0(SALU_CYCLE_1)
	s_and_b32 s25, s25, exec_lo
	s_or_saveexec_b32 s26, s26
	v_mov_b64_e32 v[6:7], 0x7ff8000020000000
	s_xor_b32 exec_lo, exec_lo, s26
	s_cbranch_execnz .LBB110_2377
.LBB110_2359:
	s_or_b32 exec_lo, exec_lo, s26
	s_and_saveexec_b32 s26, s25
	s_cbranch_execz .LBB110_2361
.LBB110_2360:
	v_and_b32_e32 v6, 0xffff, v5
	s_delay_alu instid0(VALU_DEP_1) | instskip(SKIP_1) | instid1(VALU_DEP_2)
	v_and_b32_e32 v7, 7, v6
	v_bfe_u32 v14, v6, 3, 4
	v_clz_i32_u32_e32 v9, v7
	s_delay_alu instid0(VALU_DEP_2) | instskip(NEXT) | instid1(VALU_DEP_2)
	v_cmp_eq_u32_e32 vcc_lo, 0, v14
	v_min_u32_e32 v9, 32, v9
	s_delay_alu instid0(VALU_DEP_1) | instskip(NEXT) | instid1(VALU_DEP_1)
	v_subrev_nc_u32_e32 v11, 28, v9
	v_dual_lshlrev_b32 v6, v11, v6 :: v_dual_sub_nc_u32 v9, 29, v9
	s_delay_alu instid0(VALU_DEP_1) | instskip(NEXT) | instid1(VALU_DEP_1)
	v_dual_lshlrev_b32 v5, 24, v5 :: v_dual_bitop2_b32 v6, 7, v6 bitop3:0x40
	v_dual_cndmask_b32 v6, v7, v6 :: v_dual_cndmask_b32 v9, v14, v9
	s_delay_alu instid0(VALU_DEP_2) | instskip(NEXT) | instid1(VALU_DEP_2)
	v_and_b32_e32 v5, 0x80000000, v5
	v_lshlrev_b32_e32 v6, 20, v6
	s_delay_alu instid0(VALU_DEP_3) | instskip(NEXT) | instid1(VALU_DEP_1)
	v_lshl_add_u32 v7, v9, 23, 0x3b800000
	v_or3_b32 v5, v5, v7, v6
	s_delay_alu instid0(VALU_DEP_1)
	v_cvt_f64_f32_e32 v[6:7], v5
.LBB110_2361:
	s_or_b32 exec_lo, exec_lo, s26
.LBB110_2362:
	s_mov_b32 s25, -1
.LBB110_2363:
	s_mov_b32 s26, 0
.LBB110_2364:
	s_delay_alu instid0(SALU_CYCLE_1)
	s_and_b32 vcc_lo, exec_lo, s26
	s_cbranch_vccz .LBB110_2397
; %bb.2365:
	s_cmp_gt_i32 s0, 22
	s_cbranch_scc0 .LBB110_2375
; %bb.2366:
	s_cmp_lt_i32 s0, 24
	s_cbranch_scc1 .LBB110_2378
; %bb.2367:
	s_cmp_gt_i32 s0, 24
	s_cbranch_scc0 .LBB110_2379
; %bb.2368:
	global_load_u8 v5, v[12:13], off
	s_mov_b32 s25, exec_lo
	s_wait_loadcnt 0x0
	v_cmpx_lt_i16_e32 0x7f, v5
	s_xor_b32 s25, exec_lo, s25
	s_cbranch_execz .LBB110_2391
; %bb.2369:
	s_mov_b32 s24, -1
	s_mov_b32 s26, exec_lo
	v_cmpx_eq_u16_e32 0x80, v5
; %bb.2370:
	s_xor_b32 s24, exec_lo, -1
; %bb.2371:
	s_or_b32 exec_lo, exec_lo, s26
	s_delay_alu instid0(SALU_CYCLE_1)
	s_and_b32 s24, s24, exec_lo
	s_or_saveexec_b32 s25, s25
	v_mov_b64_e32 v[6:7], 0x7ff8000020000000
	s_xor_b32 exec_lo, exec_lo, s25
	s_cbranch_execnz .LBB110_2392
.LBB110_2372:
	s_or_b32 exec_lo, exec_lo, s25
	s_and_saveexec_b32 s25, s24
	s_cbranch_execz .LBB110_2374
.LBB110_2373:
	v_and_b32_e32 v6, 0xffff, v5
	s_delay_alu instid0(VALU_DEP_1) | instskip(SKIP_1) | instid1(VALU_DEP_2)
	v_and_b32_e32 v7, 3, v6
	v_bfe_u32 v14, v6, 2, 5
	v_clz_i32_u32_e32 v9, v7
	s_delay_alu instid0(VALU_DEP_2) | instskip(NEXT) | instid1(VALU_DEP_2)
	v_cmp_eq_u32_e32 vcc_lo, 0, v14
	v_min_u32_e32 v9, 32, v9
	s_delay_alu instid0(VALU_DEP_1) | instskip(NEXT) | instid1(VALU_DEP_1)
	v_subrev_nc_u32_e32 v11, 29, v9
	v_dual_lshlrev_b32 v6, v11, v6 :: v_dual_sub_nc_u32 v9, 30, v9
	s_delay_alu instid0(VALU_DEP_1) | instskip(NEXT) | instid1(VALU_DEP_1)
	v_dual_lshlrev_b32 v5, 24, v5 :: v_dual_bitop2_b32 v6, 3, v6 bitop3:0x40
	v_dual_cndmask_b32 v6, v7, v6 :: v_dual_cndmask_b32 v9, v14, v9
	s_delay_alu instid0(VALU_DEP_2) | instskip(NEXT) | instid1(VALU_DEP_2)
	v_and_b32_e32 v5, 0x80000000, v5
	v_lshlrev_b32_e32 v6, 21, v6
	s_delay_alu instid0(VALU_DEP_3) | instskip(NEXT) | instid1(VALU_DEP_1)
	v_lshl_add_u32 v7, v9, 23, 0x37800000
	v_or3_b32 v5, v5, v7, v6
	s_delay_alu instid0(VALU_DEP_1)
	v_cvt_f64_f32_e32 v[6:7], v5
.LBB110_2374:
	s_or_b32 exec_lo, exec_lo, s25
	s_mov_b32 s24, 0
	s_branch .LBB110_2380
.LBB110_2375:
	s_mov_b32 s24, -1
                                        ; implicit-def: $vgpr6_vgpr7
	s_branch .LBB110_2386
.LBB110_2376:
	s_or_saveexec_b32 s26, s26
	v_mov_b64_e32 v[6:7], 0x7ff8000020000000
	s_xor_b32 exec_lo, exec_lo, s26
	s_cbranch_execz .LBB110_2359
.LBB110_2377:
	v_cmp_ne_u16_e32 vcc_lo, 0, v5
	v_mov_b64_e32 v[6:7], 0
	s_and_not1_b32 s25, s25, exec_lo
	s_and_b32 s27, vcc_lo, exec_lo
	s_delay_alu instid0(SALU_CYCLE_1)
	s_or_b32 s25, s25, s27
	s_or_b32 exec_lo, exec_lo, s26
	s_and_saveexec_b32 s26, s25
	s_cbranch_execnz .LBB110_2360
	s_branch .LBB110_2361
.LBB110_2378:
	s_mov_b32 s24, -1
                                        ; implicit-def: $vgpr6_vgpr7
	s_branch .LBB110_2383
.LBB110_2379:
	s_mov_b32 s24, -1
                                        ; implicit-def: $vgpr6_vgpr7
.LBB110_2380:
	s_delay_alu instid0(SALU_CYCLE_1)
	s_and_b32 vcc_lo, exec_lo, s24
	s_cbranch_vccz .LBB110_2382
; %bb.2381:
	global_load_u8 v5, v[12:13], off
	s_wait_loadcnt 0x0
	v_lshlrev_b32_e32 v5, 24, v5
	s_wait_xcnt 0x1
	s_delay_alu instid0(VALU_DEP_1) | instskip(NEXT) | instid1(VALU_DEP_1)
	v_and_b32_e32 v6, 0x7f000000, v5
	v_clz_i32_u32_e32 v7, v6
	v_cmp_ne_u32_e32 vcc_lo, 0, v6
	v_add_nc_u32_e32 v11, 0x1000000, v6
	s_delay_alu instid0(VALU_DEP_3) | instskip(NEXT) | instid1(VALU_DEP_1)
	v_min_u32_e32 v7, 32, v7
	v_sub_nc_u32_e64 v7, v7, 4 clamp
	s_delay_alu instid0(VALU_DEP_1) | instskip(NEXT) | instid1(VALU_DEP_1)
	v_dual_lshlrev_b32 v9, v7, v6 :: v_dual_lshlrev_b32 v7, 23, v7
	v_lshrrev_b32_e32 v9, 4, v9
	s_delay_alu instid0(VALU_DEP_1) | instskip(SKIP_1) | instid1(VALU_DEP_2)
	v_sub_nc_u32_e32 v7, v9, v7
	v_ashrrev_i32_e32 v9, 8, v11
	v_add_nc_u32_e32 v7, 0x3c000000, v7
	s_delay_alu instid0(VALU_DEP_1) | instskip(NEXT) | instid1(VALU_DEP_1)
	v_and_or_b32 v7, 0x7f800000, v9, v7
	v_cndmask_b32_e32 v6, 0, v7, vcc_lo
	s_delay_alu instid0(VALU_DEP_1) | instskip(NEXT) | instid1(VALU_DEP_1)
	v_and_or_b32 v5, 0x80000000, v5, v6
	v_cvt_f64_f32_e32 v[6:7], v5
.LBB110_2382:
	s_mov_b32 s24, 0
.LBB110_2383:
	s_delay_alu instid0(SALU_CYCLE_1)
	s_and_not1_b32 vcc_lo, exec_lo, s24
	s_cbranch_vccnz .LBB110_2385
; %bb.2384:
	global_load_u8 v5, v[12:13], off
	s_wait_loadcnt 0x0
	s_wait_xcnt 0x1
	v_lshlrev_b32_e32 v6, 25, v5
	v_lshlrev_b16 v5, 8, v5
	s_delay_alu instid0(VALU_DEP_1) | instskip(NEXT) | instid1(VALU_DEP_3)
	v_and_or_b32 v9, 0x7f00, v5, 0.5
	v_lshrrev_b32_e32 v7, 4, v6
	v_bfe_i32 v5, v5, 0, 16
	s_delay_alu instid0(VALU_DEP_3) | instskip(NEXT) | instid1(VALU_DEP_3)
	v_add_f32_e32 v9, -0.5, v9
	v_or_b32_e32 v7, 0x70000000, v7
	s_delay_alu instid0(VALU_DEP_1) | instskip(SKIP_1) | instid1(VALU_DEP_2)
	v_mul_f32_e32 v7, 0x7800000, v7
	v_cmp_gt_u32_e32 vcc_lo, 0x8000000, v6
	v_cndmask_b32_e32 v6, v7, v9, vcc_lo
	s_delay_alu instid0(VALU_DEP_1) | instskip(NEXT) | instid1(VALU_DEP_1)
	v_and_or_b32 v5, 0x80000000, v5, v6
	v_cvt_f64_f32_e32 v[6:7], v5
.LBB110_2385:
	s_mov_b32 s24, 0
	s_mov_b32 s25, -1
.LBB110_2386:
	s_and_not1_b32 vcc_lo, exec_lo, s24
	s_mov_b32 s24, 0
	s_cbranch_vccnz .LBB110_2397
; %bb.2387:
	s_cmp_gt_i32 s0, 14
	s_cbranch_scc0 .LBB110_2390
; %bb.2388:
	s_cmp_eq_u32 s0, 15
	s_cbranch_scc0 .LBB110_2393
; %bb.2389:
	global_load_u16 v5, v[12:13], off
	s_mov_b32 s1, 0
	s_mov_b32 s25, -1
	s_wait_loadcnt 0x0
	v_lshlrev_b32_e32 v5, 16, v5
	s_wait_xcnt 0x1
	s_delay_alu instid0(VALU_DEP_1)
	v_cvt_f64_f32_e32 v[6:7], v5
	s_branch .LBB110_2395
.LBB110_2390:
	s_mov_b32 s24, -1
	s_branch .LBB110_2394
.LBB110_2391:
	s_or_saveexec_b32 s25, s25
	v_mov_b64_e32 v[6:7], 0x7ff8000020000000
	s_xor_b32 exec_lo, exec_lo, s25
	s_cbranch_execz .LBB110_2372
.LBB110_2392:
	v_cmp_ne_u16_e32 vcc_lo, 0, v5
	v_mov_b64_e32 v[6:7], 0
	s_and_not1_b32 s24, s24, exec_lo
	s_and_b32 s26, vcc_lo, exec_lo
	s_delay_alu instid0(SALU_CYCLE_1)
	s_or_b32 s24, s24, s26
	s_or_b32 exec_lo, exec_lo, s25
	s_and_saveexec_b32 s25, s24
	s_cbranch_execnz .LBB110_2373
	s_branch .LBB110_2374
.LBB110_2393:
	s_mov_b32 s1, -1
.LBB110_2394:
                                        ; implicit-def: $vgpr6_vgpr7
.LBB110_2395:
	s_and_b32 vcc_lo, exec_lo, s24
	s_mov_b32 s24, 0
	s_cbranch_vccz .LBB110_2397
; %bb.2396:
	s_cmp_lg_u32 s0, 11
	s_mov_b32 s24, -1
	s_cselect_b32 s1, -1, 0
.LBB110_2397:
	s_delay_alu instid0(SALU_CYCLE_1)
	s_and_b32 vcc_lo, exec_lo, s1
	s_cbranch_vccnz .LBB110_2460
; %bb.2398:
	s_and_not1_b32 vcc_lo, exec_lo, s24
	s_cbranch_vccnz .LBB110_2400
.LBB110_2399:
	global_load_u8 v5, v[12:13], off
	s_wait_xcnt 0x1
	v_mov_b32_e32 v6, 0
	s_mov_b32 s25, -1
	s_wait_loadcnt 0x0
	v_cmp_ne_u16_e32 vcc_lo, 0, v5
	v_cndmask_b32_e64 v7, 0, 0x3ff00000, vcc_lo
.LBB110_2400:
	s_branch .LBB110_2327
.LBB110_2401:
	s_cmp_lt_i32 s0, 5
	s_cbranch_scc1 .LBB110_2406
; %bb.2402:
	s_cmp_lt_i32 s0, 8
	s_cbranch_scc1 .LBB110_2407
; %bb.2403:
	;; [unrolled: 3-line block ×3, first 2 shown]
	s_cmp_gt_i32 s0, 9
	s_cbranch_scc0 .LBB110_2409
; %bb.2405:
	global_load_b64 v[6:7], v[12:13], off
	s_mov_b32 s1, 0
	s_branch .LBB110_2410
.LBB110_2406:
	s_mov_b32 s1, -1
                                        ; implicit-def: $vgpr6_vgpr7
	s_branch .LBB110_2428
.LBB110_2407:
	s_mov_b32 s1, -1
                                        ; implicit-def: $vgpr6_vgpr7
	s_branch .LBB110_2416
.LBB110_2408:
	s_mov_b32 s1, -1
                                        ; implicit-def: $vgpr6_vgpr7
	s_branch .LBB110_2413
.LBB110_2409:
	s_mov_b32 s1, -1
                                        ; implicit-def: $vgpr6_vgpr7
.LBB110_2410:
	s_delay_alu instid0(SALU_CYCLE_1)
	s_and_not1_b32 vcc_lo, exec_lo, s1
	s_cbranch_vccnz .LBB110_2412
; %bb.2411:
	global_load_b32 v5, v[12:13], off
	s_wait_loadcnt 0x0
	s_wait_xcnt 0x1
	v_cvt_f64_f32_e32 v[6:7], v5
.LBB110_2412:
	s_mov_b32 s1, 0
.LBB110_2413:
	s_delay_alu instid0(SALU_CYCLE_1)
	s_and_not1_b32 vcc_lo, exec_lo, s1
	s_cbranch_vccnz .LBB110_2415
; %bb.2414:
	global_load_b32 v5, v[12:13], off
	s_wait_loadcnt 0x0
	v_cvt_f32_f16_e32 v5, v5
	s_wait_xcnt 0x1
	s_delay_alu instid0(VALU_DEP_1)
	v_cvt_f64_f32_e32 v[6:7], v5
.LBB110_2415:
	s_mov_b32 s1, 0
.LBB110_2416:
	s_delay_alu instid0(SALU_CYCLE_1)
	s_and_not1_b32 vcc_lo, exec_lo, s1
	s_cbranch_vccnz .LBB110_2427
; %bb.2417:
	s_cmp_lt_i32 s0, 6
	s_cbranch_scc1 .LBB110_2420
; %bb.2418:
	s_cmp_gt_i32 s0, 6
	s_cbranch_scc0 .LBB110_2421
; %bb.2419:
	s_wait_loadcnt 0x0
	global_load_b64 v[6:7], v[12:13], off
	s_mov_b32 s1, 0
	s_branch .LBB110_2422
.LBB110_2420:
	s_mov_b32 s1, -1
                                        ; implicit-def: $vgpr6_vgpr7
	s_branch .LBB110_2425
.LBB110_2421:
	s_mov_b32 s1, -1
                                        ; implicit-def: $vgpr6_vgpr7
.LBB110_2422:
	s_delay_alu instid0(SALU_CYCLE_1)
	s_and_not1_b32 vcc_lo, exec_lo, s1
	s_cbranch_vccnz .LBB110_2424
; %bb.2423:
	global_load_b32 v5, v[12:13], off
	s_wait_loadcnt 0x0
	s_wait_xcnt 0x1
	v_cvt_f64_f32_e32 v[6:7], v5
.LBB110_2424:
	s_mov_b32 s1, 0
.LBB110_2425:
	s_delay_alu instid0(SALU_CYCLE_1)
	s_and_not1_b32 vcc_lo, exec_lo, s1
	s_cbranch_vccnz .LBB110_2427
; %bb.2426:
	global_load_u16 v5, v[12:13], off
	s_wait_loadcnt 0x0
	v_cvt_f32_f16_e32 v5, v5
	s_wait_xcnt 0x1
	s_delay_alu instid0(VALU_DEP_1)
	v_cvt_f64_f32_e32 v[6:7], v5
.LBB110_2427:
	s_mov_b32 s1, 0
.LBB110_2428:
	s_delay_alu instid0(SALU_CYCLE_1)
	s_and_not1_b32 vcc_lo, exec_lo, s1
	s_cbranch_vccnz .LBB110_2448
; %bb.2429:
	s_cmp_lt_i32 s0, 2
	s_cbranch_scc1 .LBB110_2433
; %bb.2430:
	s_cmp_lt_i32 s0, 3
	s_cbranch_scc1 .LBB110_2434
; %bb.2431:
	s_cmp_gt_i32 s0, 3
	s_cbranch_scc0 .LBB110_2435
; %bb.2432:
	s_wait_loadcnt 0x0
	global_load_b64 v[6:7], v[12:13], off
	s_mov_b32 s1, 0
	s_wait_loadcnt 0x0
	v_cvt_f64_i32_e32 v[14:15], v7
	v_cvt_f64_u32_e32 v[6:7], v6
	s_delay_alu instid0(VALU_DEP_2) | instskip(NEXT) | instid1(VALU_DEP_1)
	v_ldexp_f64 v[14:15], v[14:15], 32
	v_add_f64_e32 v[6:7], v[14:15], v[6:7]
	s_branch .LBB110_2436
.LBB110_2433:
	s_mov_b32 s1, -1
                                        ; implicit-def: $vgpr6_vgpr7
	s_branch .LBB110_2442
.LBB110_2434:
	s_mov_b32 s1, -1
                                        ; implicit-def: $vgpr6_vgpr7
	s_branch .LBB110_2439
.LBB110_2435:
	s_mov_b32 s1, -1
                                        ; implicit-def: $vgpr6_vgpr7
.LBB110_2436:
	s_delay_alu instid0(SALU_CYCLE_1)
	s_and_not1_b32 vcc_lo, exec_lo, s1
	s_cbranch_vccnz .LBB110_2438
; %bb.2437:
	global_load_b32 v5, v[12:13], off
	s_wait_loadcnt 0x0
	s_wait_xcnt 0x1
	v_cvt_f64_i32_e32 v[6:7], v5
.LBB110_2438:
	s_mov_b32 s1, 0
.LBB110_2439:
	s_delay_alu instid0(SALU_CYCLE_1)
	s_and_not1_b32 vcc_lo, exec_lo, s1
	s_cbranch_vccnz .LBB110_2441
; %bb.2440:
	global_load_i16 v5, v[12:13], off
	s_wait_loadcnt 0x0
	s_wait_xcnt 0x1
	v_cvt_f64_i32_e32 v[6:7], v5
.LBB110_2441:
	s_mov_b32 s1, 0
.LBB110_2442:
	s_delay_alu instid0(SALU_CYCLE_1)
	s_and_not1_b32 vcc_lo, exec_lo, s1
	s_cbranch_vccnz .LBB110_2448
; %bb.2443:
	s_cmp_gt_i32 s0, 0
	s_mov_b32 s1, 0
	s_cbranch_scc0 .LBB110_2445
; %bb.2444:
	global_load_i8 v5, v[12:13], off
	s_wait_loadcnt 0x0
	s_wait_xcnt 0x1
	v_cvt_f64_i32_e32 v[6:7], v5
	s_branch .LBB110_2446
.LBB110_2445:
	s_mov_b32 s1, -1
                                        ; implicit-def: $vgpr6_vgpr7
.LBB110_2446:
	s_delay_alu instid0(SALU_CYCLE_1)
	s_and_not1_b32 vcc_lo, exec_lo, s1
	s_cbranch_vccnz .LBB110_2448
; %bb.2447:
	global_load_u8 v5, v[12:13], off
	s_wait_loadcnt 0x0
	s_wait_xcnt 0x1
	v_cvt_f64_u32_e32 v[6:7], v5
.LBB110_2448:
.LBB110_2449:
	s_lshl_b32 s1, s13, 7
	s_cmp_lt_i32 s21, 11
	v_add_nc_u32_e32 v14, s1, v4
	s_delay_alu instid0(VALU_DEP_1) | instskip(SKIP_1) | instid1(VALU_DEP_1)
	v_ashrrev_i32_e32 v15, 31, v14
	s_wait_xcnt 0x0
	v_add_nc_u64_e32 v[12:13], s[6:7], v[14:15]
	s_cbranch_scc1 .LBB110_2456
; %bb.2450:
	s_and_b32 s13, 0xffff, s21
	s_mov_b32 s25, 0
	s_cmp_gt_i32 s13, 25
	s_cbranch_scc0 .LBB110_2457
; %bb.2451:
	s_cmp_gt_i32 s13, 28
	s_cbranch_scc0 .LBB110_2458
; %bb.2452:
	;; [unrolled: 3-line block ×4, first 2 shown]
	s_cmp_eq_u32 s13, 46
	s_mov_b32 s27, 0
	s_cbranch_scc0 .LBB110_2462
; %bb.2455:
	global_load_b32 v4, v[12:13], off
	s_mov_b32 s24, 0
	s_mov_b32 s26, -1
	s_wait_loadcnt 0x0
	v_lshlrev_b32_e32 v4, 16, v4
	s_delay_alu instid0(VALU_DEP_1)
	v_cvt_f64_f32_e32 v[4:5], v4
	s_branch .LBB110_2464
.LBB110_2456:
	s_mov_b32 s13, -1
	s_mov_b32 s26, 0
                                        ; implicit-def: $vgpr4_vgpr5
	s_branch .LBB110_2530
.LBB110_2457:
	s_mov_b32 s27, -1
	s_mov_b32 s26, 0
	s_mov_b32 s24, 0
                                        ; implicit-def: $vgpr4_vgpr5
	s_branch .LBB110_2493
.LBB110_2458:
	s_mov_b32 s27, -1
	s_mov_b32 s26, 0
	s_mov_b32 s24, 0
                                        ; implicit-def: $vgpr4_vgpr5
	s_branch .LBB110_2474
.LBB110_2459:
	s_mov_b32 s27, -1
	s_mov_b32 s26, 0
	s_mov_b32 s24, 0
                                        ; implicit-def: $vgpr4_vgpr5
	s_branch .LBB110_2469
.LBB110_2460:
	s_or_b32 s20, s20, exec_lo
	s_trap 2
	s_cbranch_execz .LBB110_2399
	s_branch .LBB110_2400
.LBB110_2461:
	s_mov_b32 s27, -1
	s_mov_b32 s26, 0
	s_mov_b32 s24, 0
	s_branch .LBB110_2463
.LBB110_2462:
	s_mov_b32 s24, -1
	s_mov_b32 s26, 0
.LBB110_2463:
                                        ; implicit-def: $vgpr4_vgpr5
.LBB110_2464:
	s_and_b32 vcc_lo, exec_lo, s27
	s_cbranch_vccz .LBB110_2468
; %bb.2465:
	s_cmp_eq_u32 s13, 44
	s_cbranch_scc0 .LBB110_2467
; %bb.2466:
	global_load_u8 v9, v[12:13], off
	s_mov_b32 s24, 0
	s_mov_b32 s26, -1
	s_wait_loadcnt 0x0
	v_lshlrev_b32_e32 v4, 23, v9
	v_cmp_ne_u32_e32 vcc_lo, 0xff, v9
	s_delay_alu instid0(VALU_DEP_2) | instskip(NEXT) | instid1(VALU_DEP_1)
	v_cvt_f64_f32_e32 v[4:5], v4
	v_cndmask_b32_e32 v4, 0x20000000, v4, vcc_lo
	s_delay_alu instid0(VALU_DEP_2) | instskip(SKIP_1) | instid1(VALU_DEP_2)
	v_cndmask_b32_e32 v5, 0x7ff80000, v5, vcc_lo
	v_cmp_ne_u32_e32 vcc_lo, 0, v9
	v_cndmask_b32_e32 v5, 0x38000000, v5, vcc_lo
	s_delay_alu instid0(VALU_DEP_4)
	v_cndmask_b32_e32 v4, 0, v4, vcc_lo
	s_branch .LBB110_2468
.LBB110_2467:
	s_mov_b32 s24, -1
                                        ; implicit-def: $vgpr4_vgpr5
.LBB110_2468:
	s_mov_b32 s27, 0
.LBB110_2469:
	s_delay_alu instid0(SALU_CYCLE_1)
	s_and_b32 vcc_lo, exec_lo, s27
	s_cbranch_vccz .LBB110_2473
; %bb.2470:
	s_cmp_eq_u32 s13, 29
	s_cbranch_scc0 .LBB110_2472
; %bb.2471:
	global_load_b64 v[4:5], v[12:13], off
	s_mov_b32 s24, 0
	s_mov_b32 s26, -1
	s_mov_b32 s27, 0
	s_wait_loadcnt 0x0
	v_cvt_f64_u32_e32 v[16:17], v5
	v_cvt_f64_u32_e32 v[4:5], v4
	s_delay_alu instid0(VALU_DEP_2) | instskip(NEXT) | instid1(VALU_DEP_1)
	v_ldexp_f64 v[16:17], v[16:17], 32
	v_add_f64_e32 v[4:5], v[16:17], v[4:5]
	s_branch .LBB110_2474
.LBB110_2472:
	s_mov_b32 s24, -1
                                        ; implicit-def: $vgpr4_vgpr5
.LBB110_2473:
	s_mov_b32 s27, 0
.LBB110_2474:
	s_delay_alu instid0(SALU_CYCLE_1)
	s_and_b32 vcc_lo, exec_lo, s27
	s_cbranch_vccz .LBB110_2492
; %bb.2475:
	s_cmp_lt_i32 s13, 27
	s_cbranch_scc1 .LBB110_2478
; %bb.2476:
	s_cmp_gt_i32 s13, 27
	s_cbranch_scc0 .LBB110_2479
; %bb.2477:
	global_load_b32 v4, v[12:13], off
	s_mov_b32 s26, 0
	s_wait_loadcnt 0x0
	v_cvt_f64_u32_e32 v[4:5], v4
	s_branch .LBB110_2480
.LBB110_2478:
	s_mov_b32 s26, -1
                                        ; implicit-def: $vgpr4_vgpr5
	s_branch .LBB110_2483
.LBB110_2479:
	s_mov_b32 s26, -1
                                        ; implicit-def: $vgpr4_vgpr5
.LBB110_2480:
	s_delay_alu instid0(SALU_CYCLE_1)
	s_and_not1_b32 vcc_lo, exec_lo, s26
	s_cbranch_vccnz .LBB110_2482
; %bb.2481:
	global_load_u16 v4, v[12:13], off
	s_wait_loadcnt 0x0
	v_cvt_f64_u32_e32 v[4:5], v4
.LBB110_2482:
	s_mov_b32 s26, 0
.LBB110_2483:
	s_delay_alu instid0(SALU_CYCLE_1)
	s_and_not1_b32 vcc_lo, exec_lo, s26
	s_cbranch_vccnz .LBB110_2491
; %bb.2484:
	global_load_u8 v9, v[12:13], off
	s_mov_b32 s26, 0
	s_mov_b32 s27, exec_lo
	s_wait_loadcnt 0x0
	v_cmpx_lt_i16_e32 0x7f, v9
	s_xor_b32 s27, exec_lo, s27
	s_cbranch_execz .LBB110_2505
; %bb.2485:
	s_mov_b32 s26, -1
	s_mov_b32 s28, exec_lo
	v_cmpx_eq_u16_e32 0x80, v9
; %bb.2486:
	s_xor_b32 s26, exec_lo, -1
; %bb.2487:
	s_or_b32 exec_lo, exec_lo, s28
	s_delay_alu instid0(SALU_CYCLE_1)
	s_and_b32 s26, s26, exec_lo
	s_or_saveexec_b32 s27, s27
	v_mov_b64_e32 v[4:5], 0x7ff8000020000000
	s_xor_b32 exec_lo, exec_lo, s27
	s_cbranch_execnz .LBB110_2506
.LBB110_2488:
	s_or_b32 exec_lo, exec_lo, s27
	s_and_saveexec_b32 s27, s26
	s_cbranch_execz .LBB110_2490
.LBB110_2489:
	v_and_b32_e32 v4, 0xffff, v9
	s_delay_alu instid0(VALU_DEP_1) | instskip(SKIP_1) | instid1(VALU_DEP_2)
	v_and_b32_e32 v5, 7, v4
	v_bfe_u32 v16, v4, 3, 4
	v_clz_i32_u32_e32 v11, v5
	s_delay_alu instid0(VALU_DEP_2) | instskip(NEXT) | instid1(VALU_DEP_2)
	v_cmp_eq_u32_e32 vcc_lo, 0, v16
	v_min_u32_e32 v11, 32, v11
	s_delay_alu instid0(VALU_DEP_1) | instskip(NEXT) | instid1(VALU_DEP_1)
	v_subrev_nc_u32_e32 v15, 28, v11
	v_dual_lshlrev_b32 v4, v15, v4 :: v_dual_sub_nc_u32 v11, 29, v11
	s_delay_alu instid0(VALU_DEP_1) | instskip(NEXT) | instid1(VALU_DEP_1)
	v_dual_lshlrev_b32 v9, 24, v9 :: v_dual_bitop2_b32 v4, 7, v4 bitop3:0x40
	v_dual_cndmask_b32 v11, v16, v11 :: v_dual_cndmask_b32 v4, v5, v4
	s_delay_alu instid0(VALU_DEP_2) | instskip(NEXT) | instid1(VALU_DEP_2)
	v_and_b32_e32 v5, 0x80000000, v9
	v_lshl_add_u32 v9, v11, 23, 0x3b800000
	s_delay_alu instid0(VALU_DEP_3) | instskip(NEXT) | instid1(VALU_DEP_1)
	v_lshlrev_b32_e32 v4, 20, v4
	v_or3_b32 v4, v5, v9, v4
	s_delay_alu instid0(VALU_DEP_1)
	v_cvt_f64_f32_e32 v[4:5], v4
.LBB110_2490:
	s_or_b32 exec_lo, exec_lo, s27
.LBB110_2491:
	s_mov_b32 s26, -1
.LBB110_2492:
	s_mov_b32 s27, 0
.LBB110_2493:
	s_delay_alu instid0(SALU_CYCLE_1)
	s_and_b32 vcc_lo, exec_lo, s27
	s_cbranch_vccz .LBB110_2526
; %bb.2494:
	s_cmp_gt_i32 s13, 22
	s_cbranch_scc0 .LBB110_2504
; %bb.2495:
	s_cmp_lt_i32 s13, 24
	s_cbranch_scc1 .LBB110_2507
; %bb.2496:
	s_cmp_gt_i32 s13, 24
	s_cbranch_scc0 .LBB110_2508
; %bb.2497:
	global_load_u8 v9, v[12:13], off
	s_mov_b32 s26, exec_lo
	s_wait_loadcnt 0x0
	v_cmpx_lt_i16_e32 0x7f, v9
	s_xor_b32 s26, exec_lo, s26
	s_cbranch_execz .LBB110_2520
; %bb.2498:
	s_mov_b32 s25, -1
	s_mov_b32 s27, exec_lo
	v_cmpx_eq_u16_e32 0x80, v9
; %bb.2499:
	s_xor_b32 s25, exec_lo, -1
; %bb.2500:
	s_or_b32 exec_lo, exec_lo, s27
	s_delay_alu instid0(SALU_CYCLE_1)
	s_and_b32 s25, s25, exec_lo
	s_or_saveexec_b32 s26, s26
	v_mov_b64_e32 v[4:5], 0x7ff8000020000000
	s_xor_b32 exec_lo, exec_lo, s26
	s_cbranch_execnz .LBB110_2521
.LBB110_2501:
	s_or_b32 exec_lo, exec_lo, s26
	s_and_saveexec_b32 s26, s25
	s_cbranch_execz .LBB110_2503
.LBB110_2502:
	v_and_b32_e32 v4, 0xffff, v9
	s_delay_alu instid0(VALU_DEP_1) | instskip(SKIP_1) | instid1(VALU_DEP_2)
	v_and_b32_e32 v5, 3, v4
	v_bfe_u32 v16, v4, 2, 5
	v_clz_i32_u32_e32 v11, v5
	s_delay_alu instid0(VALU_DEP_2) | instskip(NEXT) | instid1(VALU_DEP_2)
	v_cmp_eq_u32_e32 vcc_lo, 0, v16
	v_min_u32_e32 v11, 32, v11
	s_delay_alu instid0(VALU_DEP_1) | instskip(NEXT) | instid1(VALU_DEP_1)
	v_subrev_nc_u32_e32 v15, 29, v11
	v_dual_lshlrev_b32 v4, v15, v4 :: v_dual_sub_nc_u32 v11, 30, v11
	s_delay_alu instid0(VALU_DEP_1) | instskip(NEXT) | instid1(VALU_DEP_1)
	v_dual_lshlrev_b32 v9, 24, v9 :: v_dual_bitop2_b32 v4, 3, v4 bitop3:0x40
	v_dual_cndmask_b32 v11, v16, v11 :: v_dual_cndmask_b32 v4, v5, v4
	s_delay_alu instid0(VALU_DEP_2) | instskip(NEXT) | instid1(VALU_DEP_2)
	v_and_b32_e32 v5, 0x80000000, v9
	v_lshl_add_u32 v9, v11, 23, 0x37800000
	s_delay_alu instid0(VALU_DEP_3) | instskip(NEXT) | instid1(VALU_DEP_1)
	v_lshlrev_b32_e32 v4, 21, v4
	v_or3_b32 v4, v5, v9, v4
	s_delay_alu instid0(VALU_DEP_1)
	v_cvt_f64_f32_e32 v[4:5], v4
.LBB110_2503:
	s_or_b32 exec_lo, exec_lo, s26
	s_mov_b32 s25, 0
	s_branch .LBB110_2509
.LBB110_2504:
	s_mov_b32 s25, -1
                                        ; implicit-def: $vgpr4_vgpr5
	s_branch .LBB110_2515
.LBB110_2505:
	s_or_saveexec_b32 s27, s27
	v_mov_b64_e32 v[4:5], 0x7ff8000020000000
	s_xor_b32 exec_lo, exec_lo, s27
	s_cbranch_execz .LBB110_2488
.LBB110_2506:
	v_cmp_ne_u16_e32 vcc_lo, 0, v9
	v_mov_b64_e32 v[4:5], 0
	s_and_not1_b32 s26, s26, exec_lo
	s_and_b32 s28, vcc_lo, exec_lo
	s_delay_alu instid0(SALU_CYCLE_1)
	s_or_b32 s26, s26, s28
	s_or_b32 exec_lo, exec_lo, s27
	s_and_saveexec_b32 s27, s26
	s_cbranch_execnz .LBB110_2489
	s_branch .LBB110_2490
.LBB110_2507:
	s_mov_b32 s25, -1
                                        ; implicit-def: $vgpr4_vgpr5
	s_branch .LBB110_2512
.LBB110_2508:
	s_mov_b32 s25, -1
                                        ; implicit-def: $vgpr4_vgpr5
.LBB110_2509:
	s_delay_alu instid0(SALU_CYCLE_1)
	s_and_b32 vcc_lo, exec_lo, s25
	s_cbranch_vccz .LBB110_2511
; %bb.2510:
	global_load_u8 v4, v[12:13], off
	s_wait_loadcnt 0x0
	v_lshlrev_b32_e32 v4, 24, v4
	s_delay_alu instid0(VALU_DEP_1) | instskip(NEXT) | instid1(VALU_DEP_1)
	v_and_b32_e32 v5, 0x7f000000, v4
	v_clz_i32_u32_e32 v9, v5
	v_add_nc_u32_e32 v15, 0x1000000, v5
	v_cmp_ne_u32_e32 vcc_lo, 0, v5
	s_delay_alu instid0(VALU_DEP_3) | instskip(NEXT) | instid1(VALU_DEP_1)
	v_min_u32_e32 v9, 32, v9
	v_sub_nc_u32_e64 v9, v9, 4 clamp
	s_delay_alu instid0(VALU_DEP_1) | instskip(NEXT) | instid1(VALU_DEP_1)
	v_lshlrev_b32_e32 v11, v9, v5
	v_dual_lshlrev_b32 v9, 23, v9 :: v_dual_lshrrev_b32 v11, 4, v11
	s_delay_alu instid0(VALU_DEP_1) | instskip(NEXT) | instid1(VALU_DEP_1)
	v_dual_sub_nc_u32 v9, v11, v9 :: v_dual_ashrrev_i32 v11, 8, v15
	v_add_nc_u32_e32 v9, 0x3c000000, v9
	s_delay_alu instid0(VALU_DEP_1) | instskip(NEXT) | instid1(VALU_DEP_1)
	v_and_or_b32 v9, 0x7f800000, v11, v9
	v_cndmask_b32_e32 v5, 0, v9, vcc_lo
	s_delay_alu instid0(VALU_DEP_1) | instskip(NEXT) | instid1(VALU_DEP_1)
	v_and_or_b32 v4, 0x80000000, v4, v5
	v_cvt_f64_f32_e32 v[4:5], v4
.LBB110_2511:
	s_mov_b32 s25, 0
.LBB110_2512:
	s_delay_alu instid0(SALU_CYCLE_1)
	s_and_not1_b32 vcc_lo, exec_lo, s25
	s_cbranch_vccnz .LBB110_2514
; %bb.2513:
	global_load_u8 v4, v[12:13], off
	s_wait_loadcnt 0x0
	v_lshlrev_b32_e32 v5, 25, v4
	v_lshlrev_b16 v4, 8, v4
	s_delay_alu instid0(VALU_DEP_1) | instskip(SKIP_1) | instid1(VALU_DEP_2)
	v_and_or_b32 v11, 0x7f00, v4, 0.5
	v_bfe_i32 v4, v4, 0, 16
	v_dual_add_f32 v11, -0.5, v11 :: v_dual_lshrrev_b32 v9, 4, v5
	v_cmp_gt_u32_e32 vcc_lo, 0x8000000, v5
	s_delay_alu instid0(VALU_DEP_2) | instskip(NEXT) | instid1(VALU_DEP_1)
	v_or_b32_e32 v9, 0x70000000, v9
	v_mul_f32_e32 v9, 0x7800000, v9
	s_delay_alu instid0(VALU_DEP_1) | instskip(NEXT) | instid1(VALU_DEP_1)
	v_cndmask_b32_e32 v5, v9, v11, vcc_lo
	v_and_or_b32 v4, 0x80000000, v4, v5
	s_delay_alu instid0(VALU_DEP_1)
	v_cvt_f64_f32_e32 v[4:5], v4
.LBB110_2514:
	s_mov_b32 s25, 0
	s_mov_b32 s26, -1
.LBB110_2515:
	s_and_not1_b32 vcc_lo, exec_lo, s25
	s_mov_b32 s25, 0
	s_cbranch_vccnz .LBB110_2526
; %bb.2516:
	s_cmp_gt_i32 s13, 14
	s_cbranch_scc0 .LBB110_2519
; %bb.2517:
	s_cmp_eq_u32 s13, 15
	s_cbranch_scc0 .LBB110_2522
; %bb.2518:
	global_load_u16 v4, v[12:13], off
	s_mov_b32 s24, 0
	s_mov_b32 s26, -1
	s_wait_loadcnt 0x0
	v_lshlrev_b32_e32 v4, 16, v4
	s_delay_alu instid0(VALU_DEP_1)
	v_cvt_f64_f32_e32 v[4:5], v4
	s_branch .LBB110_2524
.LBB110_2519:
	s_mov_b32 s25, -1
	s_branch .LBB110_2523
.LBB110_2520:
	s_or_saveexec_b32 s26, s26
	v_mov_b64_e32 v[4:5], 0x7ff8000020000000
	s_xor_b32 exec_lo, exec_lo, s26
	s_cbranch_execz .LBB110_2501
.LBB110_2521:
	v_cmp_ne_u16_e32 vcc_lo, 0, v9
	v_mov_b64_e32 v[4:5], 0
	s_and_not1_b32 s25, s25, exec_lo
	s_and_b32 s27, vcc_lo, exec_lo
	s_delay_alu instid0(SALU_CYCLE_1)
	s_or_b32 s25, s25, s27
	s_or_b32 exec_lo, exec_lo, s26
	s_and_saveexec_b32 s26, s25
	s_cbranch_execnz .LBB110_2502
	s_branch .LBB110_2503
.LBB110_2522:
	s_mov_b32 s24, -1
.LBB110_2523:
                                        ; implicit-def: $vgpr4_vgpr5
.LBB110_2524:
	s_and_b32 vcc_lo, exec_lo, s25
	s_mov_b32 s25, 0
	s_cbranch_vccz .LBB110_2526
; %bb.2525:
	s_cmp_lg_u32 s13, 11
	s_mov_b32 s25, -1
	s_cselect_b32 s24, -1, 0
.LBB110_2526:
	s_delay_alu instid0(SALU_CYCLE_1)
	s_and_b32 vcc_lo, exec_lo, s24
	s_cbranch_vccnz .LBB110_2591
; %bb.2527:
	s_and_not1_b32 vcc_lo, exec_lo, s25
	s_cbranch_vccnz .LBB110_2529
.LBB110_2528:
	global_load_u8 v4, v[12:13], off
	s_mov_b32 s26, -1
	s_wait_loadcnt 0x0
	v_cmp_ne_u16_e32 vcc_lo, 0, v4
	v_mov_b32_e32 v4, 0
	v_cndmask_b32_e64 v5, 0, 0x3ff00000, vcc_lo
.LBB110_2529:
	s_mov_b32 s13, 0
.LBB110_2530:
	s_delay_alu instid0(SALU_CYCLE_1)
	s_and_b32 vcc_lo, exec_lo, s13
	s_cbranch_vccz .LBB110_2579
; %bb.2531:
	s_and_b32 s13, 0xffff, s21
	s_delay_alu instid0(SALU_CYCLE_1)
	s_cmp_lt_i32 s13, 5
	s_cbranch_scc1 .LBB110_2536
; %bb.2532:
	s_cmp_lt_i32 s13, 8
	s_cbranch_scc1 .LBB110_2537
; %bb.2533:
	;; [unrolled: 3-line block ×3, first 2 shown]
	s_cmp_gt_i32 s13, 9
	s_cbranch_scc0 .LBB110_2539
; %bb.2535:
	global_load_b64 v[4:5], v[12:13], off
	s_mov_b32 s24, 0
	s_branch .LBB110_2540
.LBB110_2536:
	s_mov_b32 s24, -1
                                        ; implicit-def: $vgpr4_vgpr5
	s_branch .LBB110_2558
.LBB110_2537:
	s_mov_b32 s24, -1
                                        ; implicit-def: $vgpr4_vgpr5
	s_branch .LBB110_2546
.LBB110_2538:
	s_mov_b32 s24, -1
                                        ; implicit-def: $vgpr4_vgpr5
	s_branch .LBB110_2543
.LBB110_2539:
	s_mov_b32 s24, -1
                                        ; implicit-def: $vgpr4_vgpr5
.LBB110_2540:
	s_delay_alu instid0(SALU_CYCLE_1)
	s_and_not1_b32 vcc_lo, exec_lo, s24
	s_cbranch_vccnz .LBB110_2542
; %bb.2541:
	s_wait_loadcnt 0x0
	global_load_b32 v4, v[12:13], off
	s_wait_loadcnt 0x0
	v_cvt_f64_f32_e32 v[4:5], v4
.LBB110_2542:
	s_mov_b32 s24, 0
.LBB110_2543:
	s_delay_alu instid0(SALU_CYCLE_1)
	s_and_not1_b32 vcc_lo, exec_lo, s24
	s_cbranch_vccnz .LBB110_2545
; %bb.2544:
	s_wait_loadcnt 0x0
	global_load_b32 v4, v[12:13], off
	s_wait_loadcnt 0x0
	v_cvt_f32_f16_e32 v4, v4
	s_delay_alu instid0(VALU_DEP_1)
	v_cvt_f64_f32_e32 v[4:5], v4
.LBB110_2545:
	s_mov_b32 s24, 0
.LBB110_2546:
	s_delay_alu instid0(SALU_CYCLE_1)
	s_and_not1_b32 vcc_lo, exec_lo, s24
	s_cbranch_vccnz .LBB110_2557
; %bb.2547:
	s_cmp_lt_i32 s13, 6
	s_cbranch_scc1 .LBB110_2550
; %bb.2548:
	s_cmp_gt_i32 s13, 6
	s_cbranch_scc0 .LBB110_2551
; %bb.2549:
	s_wait_loadcnt 0x0
	global_load_b64 v[4:5], v[12:13], off
	s_mov_b32 s24, 0
	s_branch .LBB110_2552
.LBB110_2550:
	s_mov_b32 s24, -1
                                        ; implicit-def: $vgpr4_vgpr5
	s_branch .LBB110_2555
.LBB110_2551:
	s_mov_b32 s24, -1
                                        ; implicit-def: $vgpr4_vgpr5
.LBB110_2552:
	s_delay_alu instid0(SALU_CYCLE_1)
	s_and_not1_b32 vcc_lo, exec_lo, s24
	s_cbranch_vccnz .LBB110_2554
; %bb.2553:
	s_wait_loadcnt 0x0
	global_load_b32 v4, v[12:13], off
	s_wait_loadcnt 0x0
	v_cvt_f64_f32_e32 v[4:5], v4
.LBB110_2554:
	s_mov_b32 s24, 0
.LBB110_2555:
	s_delay_alu instid0(SALU_CYCLE_1)
	s_and_not1_b32 vcc_lo, exec_lo, s24
	s_cbranch_vccnz .LBB110_2557
; %bb.2556:
	s_wait_loadcnt 0x0
	global_load_u16 v4, v[12:13], off
	s_wait_loadcnt 0x0
	v_cvt_f32_f16_e32 v4, v4
	s_delay_alu instid0(VALU_DEP_1)
	v_cvt_f64_f32_e32 v[4:5], v4
.LBB110_2557:
	s_mov_b32 s24, 0
.LBB110_2558:
	s_delay_alu instid0(SALU_CYCLE_1)
	s_and_not1_b32 vcc_lo, exec_lo, s24
	s_cbranch_vccnz .LBB110_2578
; %bb.2559:
	s_cmp_lt_i32 s13, 2
	s_cbranch_scc1 .LBB110_2563
; %bb.2560:
	s_cmp_lt_i32 s13, 3
	s_cbranch_scc1 .LBB110_2564
; %bb.2561:
	s_cmp_gt_i32 s13, 3
	s_cbranch_scc0 .LBB110_2565
; %bb.2562:
	s_wait_loadcnt 0x0
	global_load_b64 v[4:5], v[12:13], off
	s_mov_b32 s24, 0
	s_wait_loadcnt 0x0
	v_cvt_f64_i32_e32 v[16:17], v5
	v_cvt_f64_u32_e32 v[4:5], v4
	s_delay_alu instid0(VALU_DEP_2) | instskip(NEXT) | instid1(VALU_DEP_1)
	v_ldexp_f64 v[16:17], v[16:17], 32
	v_add_f64_e32 v[4:5], v[16:17], v[4:5]
	s_branch .LBB110_2566
.LBB110_2563:
	s_mov_b32 s24, -1
                                        ; implicit-def: $vgpr4_vgpr5
	s_branch .LBB110_2572
.LBB110_2564:
	s_mov_b32 s24, -1
                                        ; implicit-def: $vgpr4_vgpr5
	s_branch .LBB110_2569
.LBB110_2565:
	s_mov_b32 s24, -1
                                        ; implicit-def: $vgpr4_vgpr5
.LBB110_2566:
	s_delay_alu instid0(SALU_CYCLE_1)
	s_and_not1_b32 vcc_lo, exec_lo, s24
	s_cbranch_vccnz .LBB110_2568
; %bb.2567:
	s_wait_loadcnt 0x0
	global_load_b32 v4, v[12:13], off
	s_wait_loadcnt 0x0
	v_cvt_f64_i32_e32 v[4:5], v4
.LBB110_2568:
	s_mov_b32 s24, 0
.LBB110_2569:
	s_delay_alu instid0(SALU_CYCLE_1)
	s_and_not1_b32 vcc_lo, exec_lo, s24
	s_cbranch_vccnz .LBB110_2571
; %bb.2570:
	s_wait_loadcnt 0x0
	global_load_i16 v4, v[12:13], off
	s_wait_loadcnt 0x0
	v_cvt_f64_i32_e32 v[4:5], v4
.LBB110_2571:
	s_mov_b32 s24, 0
.LBB110_2572:
	s_delay_alu instid0(SALU_CYCLE_1)
	s_and_not1_b32 vcc_lo, exec_lo, s24
	s_cbranch_vccnz .LBB110_2578
; %bb.2573:
	s_cmp_gt_i32 s13, 0
	s_mov_b32 s13, 0
	s_cbranch_scc0 .LBB110_2575
; %bb.2574:
	s_wait_loadcnt 0x0
	global_load_i8 v4, v[12:13], off
	s_wait_loadcnt 0x0
	v_cvt_f64_i32_e32 v[4:5], v4
	s_branch .LBB110_2576
.LBB110_2575:
	s_mov_b32 s13, -1
                                        ; implicit-def: $vgpr4_vgpr5
.LBB110_2576:
	s_delay_alu instid0(SALU_CYCLE_1)
	s_and_not1_b32 vcc_lo, exec_lo, s13
	s_cbranch_vccnz .LBB110_2578
; %bb.2577:
	s_wait_loadcnt 0x0
	global_load_u8 v4, v[12:13], off
	s_wait_loadcnt 0x0
	v_cvt_f64_u32_e32 v[4:5], v4
.LBB110_2578:
	s_mov_b32 s26, -1
.LBB110_2579:
	s_delay_alu instid0(SALU_CYCLE_1)
	s_and_not1_b32 vcc_lo, exec_lo, s26
	s_cbranch_vccnz .LBB110_4065
; %bb.2580:
	s_lshl_b32 s13, s14, 7
	s_cmp_lt_i32 s3, 11
	v_add_nc_u32_e32 v16, s13, v8
	s_delay_alu instid0(VALU_DEP_1) | instskip(SKIP_1) | instid1(VALU_DEP_1)
	v_ashrrev_i32_e32 v17, 31, v16
	s_wait_xcnt 0x0
	v_add_nc_u64_e32 v[12:13], s[8:9], v[16:17]
	s_cbranch_scc1 .LBB110_2587
; %bb.2581:
	s_and_b32 s14, 0xffff, s3
	s_mov_b32 s25, 0
	s_cmp_gt_i32 s14, 25
	s_cbranch_scc0 .LBB110_2588
; %bb.2582:
	s_cmp_gt_i32 s14, 28
	s_cbranch_scc0 .LBB110_2589
; %bb.2583:
	;; [unrolled: 3-line block ×4, first 2 shown]
	s_cmp_eq_u32 s14, 46
	s_mov_b32 s27, 0
	s_cbranch_scc0 .LBB110_2593
; %bb.2586:
	global_load_b32 v8, v[12:13], off
	s_mov_b32 s24, 0
	s_mov_b32 s26, -1
	s_wait_loadcnt 0x0
	v_lshlrev_b32_e32 v8, 16, v8
	s_delay_alu instid0(VALU_DEP_1)
	v_cvt_f64_f32_e32 v[8:9], v8
	s_branch .LBB110_2595
.LBB110_2587:
	s_mov_b32 s14, -1
	s_mov_b32 s26, 0
                                        ; implicit-def: $vgpr8_vgpr9
	s_branch .LBB110_2661
.LBB110_2588:
	s_mov_b32 s27, -1
	s_mov_b32 s26, 0
	s_mov_b32 s24, 0
                                        ; implicit-def: $vgpr8_vgpr9
	s_branch .LBB110_2624
.LBB110_2589:
	s_mov_b32 s27, -1
	s_mov_b32 s26, 0
	s_mov_b32 s24, 0
                                        ; implicit-def: $vgpr8_vgpr9
	s_branch .LBB110_2605
.LBB110_2590:
	s_mov_b32 s27, -1
	s_mov_b32 s26, 0
	s_mov_b32 s24, 0
                                        ; implicit-def: $vgpr8_vgpr9
	s_branch .LBB110_2600
.LBB110_2591:
	s_or_b32 s20, s20, exec_lo
	s_trap 2
	s_cbranch_execz .LBB110_2528
	s_branch .LBB110_2529
.LBB110_2592:
	s_mov_b32 s27, -1
	s_mov_b32 s26, 0
	s_mov_b32 s24, 0
	s_branch .LBB110_2594
.LBB110_2593:
	s_mov_b32 s24, -1
	s_mov_b32 s26, 0
.LBB110_2594:
                                        ; implicit-def: $vgpr8_vgpr9
.LBB110_2595:
	s_and_b32 vcc_lo, exec_lo, s27
	s_cbranch_vccz .LBB110_2599
; %bb.2596:
	s_cmp_eq_u32 s14, 44
	s_cbranch_scc0 .LBB110_2598
; %bb.2597:
	global_load_u8 v11, v[12:13], off
	s_mov_b32 s24, 0
	s_mov_b32 s26, -1
	s_wait_loadcnt 0x0
	v_cmp_ne_u32_e32 vcc_lo, 0xff, v11
	v_lshlrev_b32_e32 v8, 23, v11
	s_delay_alu instid0(VALU_DEP_1) | instskip(NEXT) | instid1(VALU_DEP_1)
	v_cvt_f64_f32_e32 v[8:9], v8
	v_cndmask_b32_e32 v8, 0x20000000, v8, vcc_lo
	s_delay_alu instid0(VALU_DEP_2) | instskip(SKIP_1) | instid1(VALU_DEP_2)
	v_cndmask_b32_e32 v9, 0x7ff80000, v9, vcc_lo
	v_cmp_ne_u32_e32 vcc_lo, 0, v11
	v_cndmask_b32_e32 v9, 0x38000000, v9, vcc_lo
	s_delay_alu instid0(VALU_DEP_4)
	v_cndmask_b32_e32 v8, 0, v8, vcc_lo
	s_branch .LBB110_2599
.LBB110_2598:
	s_mov_b32 s24, -1
                                        ; implicit-def: $vgpr8_vgpr9
.LBB110_2599:
	s_mov_b32 s27, 0
.LBB110_2600:
	s_delay_alu instid0(SALU_CYCLE_1)
	s_and_b32 vcc_lo, exec_lo, s27
	s_cbranch_vccz .LBB110_2604
; %bb.2601:
	s_cmp_eq_u32 s14, 29
	s_cbranch_scc0 .LBB110_2603
; %bb.2602:
	global_load_b64 v[8:9], v[12:13], off
	s_mov_b32 s24, 0
	s_mov_b32 s26, -1
	s_mov_b32 s27, 0
	s_wait_loadcnt 0x0
	v_cvt_f64_u32_e32 v[18:19], v9
	v_cvt_f64_u32_e32 v[8:9], v8
	s_delay_alu instid0(VALU_DEP_2) | instskip(NEXT) | instid1(VALU_DEP_1)
	v_ldexp_f64 v[18:19], v[18:19], 32
	v_add_f64_e32 v[8:9], v[18:19], v[8:9]
	s_branch .LBB110_2605
.LBB110_2603:
	s_mov_b32 s24, -1
                                        ; implicit-def: $vgpr8_vgpr9
.LBB110_2604:
	s_mov_b32 s27, 0
.LBB110_2605:
	s_delay_alu instid0(SALU_CYCLE_1)
	s_and_b32 vcc_lo, exec_lo, s27
	s_cbranch_vccz .LBB110_2623
; %bb.2606:
	s_cmp_lt_i32 s14, 27
	s_cbranch_scc1 .LBB110_2609
; %bb.2607:
	s_cmp_gt_i32 s14, 27
	s_cbranch_scc0 .LBB110_2610
; %bb.2608:
	global_load_b32 v8, v[12:13], off
	s_mov_b32 s26, 0
	s_wait_loadcnt 0x0
	v_cvt_f64_u32_e32 v[8:9], v8
	s_branch .LBB110_2611
.LBB110_2609:
	s_mov_b32 s26, -1
                                        ; implicit-def: $vgpr8_vgpr9
	s_branch .LBB110_2614
.LBB110_2610:
	s_mov_b32 s26, -1
                                        ; implicit-def: $vgpr8_vgpr9
.LBB110_2611:
	s_delay_alu instid0(SALU_CYCLE_1)
	s_and_not1_b32 vcc_lo, exec_lo, s26
	s_cbranch_vccnz .LBB110_2613
; %bb.2612:
	global_load_u16 v8, v[12:13], off
	s_wait_loadcnt 0x0
	v_cvt_f64_u32_e32 v[8:9], v8
.LBB110_2613:
	s_mov_b32 s26, 0
.LBB110_2614:
	s_delay_alu instid0(SALU_CYCLE_1)
	s_and_not1_b32 vcc_lo, exec_lo, s26
	s_cbranch_vccnz .LBB110_2622
; %bb.2615:
	global_load_u8 v11, v[12:13], off
	s_mov_b32 s26, 0
	s_mov_b32 s27, exec_lo
	s_wait_loadcnt 0x0
	v_cmpx_lt_i16_e32 0x7f, v11
	s_xor_b32 s27, exec_lo, s27
	s_cbranch_execz .LBB110_2636
; %bb.2616:
	s_mov_b32 s26, -1
	s_mov_b32 s28, exec_lo
	v_cmpx_eq_u16_e32 0x80, v11
; %bb.2617:
	s_xor_b32 s26, exec_lo, -1
; %bb.2618:
	s_or_b32 exec_lo, exec_lo, s28
	s_delay_alu instid0(SALU_CYCLE_1)
	s_and_b32 s26, s26, exec_lo
	s_or_saveexec_b32 s27, s27
	v_mov_b64_e32 v[8:9], 0x7ff8000020000000
	s_xor_b32 exec_lo, exec_lo, s27
	s_cbranch_execnz .LBB110_2637
.LBB110_2619:
	s_or_b32 exec_lo, exec_lo, s27
	s_and_saveexec_b32 s27, s26
	s_cbranch_execz .LBB110_2621
.LBB110_2620:
	v_and_b32_e32 v8, 0xffff, v11
	s_delay_alu instid0(VALU_DEP_1) | instskip(SKIP_1) | instid1(VALU_DEP_2)
	v_and_b32_e32 v9, 7, v8
	v_bfe_u32 v18, v8, 3, 4
	v_clz_i32_u32_e32 v15, v9
	s_delay_alu instid0(VALU_DEP_2) | instskip(NEXT) | instid1(VALU_DEP_2)
	v_cmp_eq_u32_e32 vcc_lo, 0, v18
	v_min_u32_e32 v15, 32, v15
	s_delay_alu instid0(VALU_DEP_1) | instskip(NEXT) | instid1(VALU_DEP_1)
	v_subrev_nc_u32_e32 v17, 28, v15
	v_dual_lshlrev_b32 v8, v17, v8 :: v_dual_sub_nc_u32 v15, 29, v15
	s_delay_alu instid0(VALU_DEP_1) | instskip(NEXT) | instid1(VALU_DEP_1)
	v_dual_lshlrev_b32 v11, 24, v11 :: v_dual_bitop2_b32 v8, 7, v8 bitop3:0x40
	v_dual_cndmask_b32 v8, v9, v8 :: v_dual_cndmask_b32 v15, v18, v15
	s_delay_alu instid0(VALU_DEP_2) | instskip(NEXT) | instid1(VALU_DEP_2)
	v_and_b32_e32 v9, 0x80000000, v11
	v_lshlrev_b32_e32 v8, 20, v8
	s_delay_alu instid0(VALU_DEP_3) | instskip(NEXT) | instid1(VALU_DEP_1)
	v_lshl_add_u32 v11, v15, 23, 0x3b800000
	v_or3_b32 v8, v9, v11, v8
	s_delay_alu instid0(VALU_DEP_1)
	v_cvt_f64_f32_e32 v[8:9], v8
.LBB110_2621:
	s_or_b32 exec_lo, exec_lo, s27
.LBB110_2622:
	s_mov_b32 s26, -1
.LBB110_2623:
	s_mov_b32 s27, 0
.LBB110_2624:
	s_delay_alu instid0(SALU_CYCLE_1)
	s_and_b32 vcc_lo, exec_lo, s27
	s_cbranch_vccz .LBB110_2657
; %bb.2625:
	s_cmp_gt_i32 s14, 22
	s_cbranch_scc0 .LBB110_2635
; %bb.2626:
	s_cmp_lt_i32 s14, 24
	s_cbranch_scc1 .LBB110_2638
; %bb.2627:
	s_cmp_gt_i32 s14, 24
	s_cbranch_scc0 .LBB110_2639
; %bb.2628:
	global_load_u8 v11, v[12:13], off
	s_mov_b32 s26, exec_lo
	s_wait_loadcnt 0x0
	v_cmpx_lt_i16_e32 0x7f, v11
	s_xor_b32 s26, exec_lo, s26
	s_cbranch_execz .LBB110_2651
; %bb.2629:
	s_mov_b32 s25, -1
	s_mov_b32 s27, exec_lo
	v_cmpx_eq_u16_e32 0x80, v11
; %bb.2630:
	s_xor_b32 s25, exec_lo, -1
; %bb.2631:
	s_or_b32 exec_lo, exec_lo, s27
	s_delay_alu instid0(SALU_CYCLE_1)
	s_and_b32 s25, s25, exec_lo
	s_or_saveexec_b32 s26, s26
	v_mov_b64_e32 v[8:9], 0x7ff8000020000000
	s_xor_b32 exec_lo, exec_lo, s26
	s_cbranch_execnz .LBB110_2652
.LBB110_2632:
	s_or_b32 exec_lo, exec_lo, s26
	s_and_saveexec_b32 s26, s25
	s_cbranch_execz .LBB110_2634
.LBB110_2633:
	v_and_b32_e32 v8, 0xffff, v11
	s_delay_alu instid0(VALU_DEP_1) | instskip(SKIP_1) | instid1(VALU_DEP_2)
	v_and_b32_e32 v9, 3, v8
	v_bfe_u32 v18, v8, 2, 5
	v_clz_i32_u32_e32 v15, v9
	s_delay_alu instid0(VALU_DEP_2) | instskip(NEXT) | instid1(VALU_DEP_2)
	v_cmp_eq_u32_e32 vcc_lo, 0, v18
	v_min_u32_e32 v15, 32, v15
	s_delay_alu instid0(VALU_DEP_1) | instskip(NEXT) | instid1(VALU_DEP_1)
	v_subrev_nc_u32_e32 v17, 29, v15
	v_dual_lshlrev_b32 v8, v17, v8 :: v_dual_sub_nc_u32 v15, 30, v15
	s_delay_alu instid0(VALU_DEP_1) | instskip(NEXT) | instid1(VALU_DEP_1)
	v_dual_lshlrev_b32 v11, 24, v11 :: v_dual_bitop2_b32 v8, 3, v8 bitop3:0x40
	v_dual_cndmask_b32 v8, v9, v8 :: v_dual_cndmask_b32 v15, v18, v15
	s_delay_alu instid0(VALU_DEP_2) | instskip(NEXT) | instid1(VALU_DEP_2)
	v_and_b32_e32 v9, 0x80000000, v11
	v_lshlrev_b32_e32 v8, 21, v8
	s_delay_alu instid0(VALU_DEP_3) | instskip(NEXT) | instid1(VALU_DEP_1)
	v_lshl_add_u32 v11, v15, 23, 0x37800000
	v_or3_b32 v8, v9, v11, v8
	s_delay_alu instid0(VALU_DEP_1)
	v_cvt_f64_f32_e32 v[8:9], v8
.LBB110_2634:
	s_or_b32 exec_lo, exec_lo, s26
	s_mov_b32 s25, 0
	s_branch .LBB110_2640
.LBB110_2635:
	s_mov_b32 s25, -1
                                        ; implicit-def: $vgpr8_vgpr9
	s_branch .LBB110_2646
.LBB110_2636:
	s_or_saveexec_b32 s27, s27
	v_mov_b64_e32 v[8:9], 0x7ff8000020000000
	s_xor_b32 exec_lo, exec_lo, s27
	s_cbranch_execz .LBB110_2619
.LBB110_2637:
	v_cmp_ne_u16_e32 vcc_lo, 0, v11
	v_mov_b64_e32 v[8:9], 0
	s_and_not1_b32 s26, s26, exec_lo
	s_and_b32 s28, vcc_lo, exec_lo
	s_delay_alu instid0(SALU_CYCLE_1)
	s_or_b32 s26, s26, s28
	s_or_b32 exec_lo, exec_lo, s27
	s_and_saveexec_b32 s27, s26
	s_cbranch_execnz .LBB110_2620
	s_branch .LBB110_2621
.LBB110_2638:
	s_mov_b32 s25, -1
                                        ; implicit-def: $vgpr8_vgpr9
	s_branch .LBB110_2643
.LBB110_2639:
	s_mov_b32 s25, -1
                                        ; implicit-def: $vgpr8_vgpr9
.LBB110_2640:
	s_delay_alu instid0(SALU_CYCLE_1)
	s_and_b32 vcc_lo, exec_lo, s25
	s_cbranch_vccz .LBB110_2642
; %bb.2641:
	global_load_u8 v8, v[12:13], off
	s_wait_loadcnt 0x0
	v_lshlrev_b32_e32 v8, 24, v8
	s_delay_alu instid0(VALU_DEP_1) | instskip(NEXT) | instid1(VALU_DEP_1)
	v_and_b32_e32 v9, 0x7f000000, v8
	v_clz_i32_u32_e32 v11, v9
	v_add_nc_u32_e32 v17, 0x1000000, v9
	v_cmp_ne_u32_e32 vcc_lo, 0, v9
	s_delay_alu instid0(VALU_DEP_3) | instskip(NEXT) | instid1(VALU_DEP_1)
	v_min_u32_e32 v11, 32, v11
	v_sub_nc_u32_e64 v11, v11, 4 clamp
	s_delay_alu instid0(VALU_DEP_1) | instskip(NEXT) | instid1(VALU_DEP_1)
	v_dual_lshlrev_b32 v15, v11, v9 :: v_dual_lshlrev_b32 v11, 23, v11
	v_lshrrev_b32_e32 v15, 4, v15
	s_delay_alu instid0(VALU_DEP_1) | instskip(NEXT) | instid1(VALU_DEP_1)
	v_dual_sub_nc_u32 v11, v15, v11 :: v_dual_ashrrev_i32 v15, 8, v17
	v_add_nc_u32_e32 v11, 0x3c000000, v11
	s_delay_alu instid0(VALU_DEP_1) | instskip(NEXT) | instid1(VALU_DEP_1)
	v_and_or_b32 v11, 0x7f800000, v15, v11
	v_cndmask_b32_e32 v9, 0, v11, vcc_lo
	s_delay_alu instid0(VALU_DEP_1) | instskip(NEXT) | instid1(VALU_DEP_1)
	v_and_or_b32 v8, 0x80000000, v8, v9
	v_cvt_f64_f32_e32 v[8:9], v8
.LBB110_2642:
	s_mov_b32 s25, 0
.LBB110_2643:
	s_delay_alu instid0(SALU_CYCLE_1)
	s_and_not1_b32 vcc_lo, exec_lo, s25
	s_cbranch_vccnz .LBB110_2645
; %bb.2644:
	global_load_u8 v8, v[12:13], off
	s_wait_loadcnt 0x0
	v_lshlrev_b32_e32 v9, 25, v8
	v_lshlrev_b16 v8, 8, v8
	s_delay_alu instid0(VALU_DEP_1) | instskip(SKIP_1) | instid1(VALU_DEP_2)
	v_and_or_b32 v15, 0x7f00, v8, 0.5
	v_bfe_i32 v8, v8, 0, 16
	v_dual_add_f32 v15, -0.5, v15 :: v_dual_lshrrev_b32 v11, 4, v9
	v_cmp_gt_u32_e32 vcc_lo, 0x8000000, v9
	s_delay_alu instid0(VALU_DEP_2) | instskip(NEXT) | instid1(VALU_DEP_1)
	v_or_b32_e32 v11, 0x70000000, v11
	v_mul_f32_e32 v11, 0x7800000, v11
	s_delay_alu instid0(VALU_DEP_1) | instskip(NEXT) | instid1(VALU_DEP_1)
	v_cndmask_b32_e32 v9, v11, v15, vcc_lo
	v_and_or_b32 v8, 0x80000000, v8, v9
	s_delay_alu instid0(VALU_DEP_1)
	v_cvt_f64_f32_e32 v[8:9], v8
.LBB110_2645:
	s_mov_b32 s25, 0
	s_mov_b32 s26, -1
.LBB110_2646:
	s_and_not1_b32 vcc_lo, exec_lo, s25
	s_mov_b32 s25, 0
	s_cbranch_vccnz .LBB110_2657
; %bb.2647:
	s_cmp_gt_i32 s14, 14
	s_cbranch_scc0 .LBB110_2650
; %bb.2648:
	s_cmp_eq_u32 s14, 15
	s_cbranch_scc0 .LBB110_2653
; %bb.2649:
	global_load_u16 v8, v[12:13], off
	s_mov_b32 s24, 0
	s_mov_b32 s26, -1
	s_wait_loadcnt 0x0
	v_lshlrev_b32_e32 v8, 16, v8
	s_delay_alu instid0(VALU_DEP_1)
	v_cvt_f64_f32_e32 v[8:9], v8
	s_branch .LBB110_2655
.LBB110_2650:
	s_mov_b32 s25, -1
	s_branch .LBB110_2654
.LBB110_2651:
	s_or_saveexec_b32 s26, s26
	v_mov_b64_e32 v[8:9], 0x7ff8000020000000
	s_xor_b32 exec_lo, exec_lo, s26
	s_cbranch_execz .LBB110_2632
.LBB110_2652:
	v_cmp_ne_u16_e32 vcc_lo, 0, v11
	v_mov_b64_e32 v[8:9], 0
	s_and_not1_b32 s25, s25, exec_lo
	s_and_b32 s27, vcc_lo, exec_lo
	s_delay_alu instid0(SALU_CYCLE_1)
	s_or_b32 s25, s25, s27
	s_or_b32 exec_lo, exec_lo, s26
	s_and_saveexec_b32 s26, s25
	s_cbranch_execnz .LBB110_2633
	s_branch .LBB110_2634
.LBB110_2653:
	s_mov_b32 s24, -1
.LBB110_2654:
                                        ; implicit-def: $vgpr8_vgpr9
.LBB110_2655:
	s_and_b32 vcc_lo, exec_lo, s25
	s_mov_b32 s25, 0
	s_cbranch_vccz .LBB110_2657
; %bb.2656:
	s_cmp_lg_u32 s14, 11
	s_mov_b32 s25, -1
	s_cselect_b32 s24, -1, 0
.LBB110_2657:
	s_delay_alu instid0(SALU_CYCLE_1)
	s_and_b32 vcc_lo, exec_lo, s24
	s_cbranch_vccnz .LBB110_2722
; %bb.2658:
	s_and_not1_b32 vcc_lo, exec_lo, s25
	s_cbranch_vccnz .LBB110_2660
.LBB110_2659:
	global_load_u8 v8, v[12:13], off
	s_mov_b32 s26, -1
	s_wait_loadcnt 0x0
	v_cmp_ne_u16_e32 vcc_lo, 0, v8
	v_mov_b32_e32 v8, 0
	v_cndmask_b32_e64 v9, 0, 0x3ff00000, vcc_lo
.LBB110_2660:
	s_mov_b32 s14, 0
.LBB110_2661:
	s_delay_alu instid0(SALU_CYCLE_1)
	s_and_b32 vcc_lo, exec_lo, s14
	s_cbranch_vccz .LBB110_2710
; %bb.2662:
	s_and_b32 s14, 0xffff, s3
	s_delay_alu instid0(SALU_CYCLE_1)
	s_cmp_lt_i32 s14, 5
	s_cbranch_scc1 .LBB110_2667
; %bb.2663:
	s_cmp_lt_i32 s14, 8
	s_cbranch_scc1 .LBB110_2668
; %bb.2664:
	;; [unrolled: 3-line block ×3, first 2 shown]
	s_cmp_gt_i32 s14, 9
	s_cbranch_scc0 .LBB110_2670
; %bb.2666:
	global_load_b64 v[8:9], v[12:13], off
	s_mov_b32 s24, 0
	s_branch .LBB110_2671
.LBB110_2667:
	s_mov_b32 s24, -1
                                        ; implicit-def: $vgpr8_vgpr9
	s_branch .LBB110_2689
.LBB110_2668:
	s_mov_b32 s24, -1
                                        ; implicit-def: $vgpr8_vgpr9
	s_branch .LBB110_2677
.LBB110_2669:
	s_mov_b32 s24, -1
                                        ; implicit-def: $vgpr8_vgpr9
	s_branch .LBB110_2674
.LBB110_2670:
	s_mov_b32 s24, -1
                                        ; implicit-def: $vgpr8_vgpr9
.LBB110_2671:
	s_delay_alu instid0(SALU_CYCLE_1)
	s_and_not1_b32 vcc_lo, exec_lo, s24
	s_cbranch_vccnz .LBB110_2673
; %bb.2672:
	s_wait_loadcnt 0x0
	global_load_b32 v8, v[12:13], off
	s_wait_loadcnt 0x0
	v_cvt_f64_f32_e32 v[8:9], v8
.LBB110_2673:
	s_mov_b32 s24, 0
.LBB110_2674:
	s_delay_alu instid0(SALU_CYCLE_1)
	s_and_not1_b32 vcc_lo, exec_lo, s24
	s_cbranch_vccnz .LBB110_2676
; %bb.2675:
	s_wait_loadcnt 0x0
	global_load_b32 v8, v[12:13], off
	s_wait_loadcnt 0x0
	v_cvt_f32_f16_e32 v8, v8
	s_delay_alu instid0(VALU_DEP_1)
	v_cvt_f64_f32_e32 v[8:9], v8
.LBB110_2676:
	s_mov_b32 s24, 0
.LBB110_2677:
	s_delay_alu instid0(SALU_CYCLE_1)
	s_and_not1_b32 vcc_lo, exec_lo, s24
	s_cbranch_vccnz .LBB110_2688
; %bb.2678:
	s_cmp_lt_i32 s14, 6
	s_cbranch_scc1 .LBB110_2681
; %bb.2679:
	s_cmp_gt_i32 s14, 6
	s_cbranch_scc0 .LBB110_2682
; %bb.2680:
	s_wait_loadcnt 0x0
	global_load_b64 v[8:9], v[12:13], off
	s_mov_b32 s24, 0
	s_branch .LBB110_2683
.LBB110_2681:
	s_mov_b32 s24, -1
                                        ; implicit-def: $vgpr8_vgpr9
	s_branch .LBB110_2686
.LBB110_2682:
	s_mov_b32 s24, -1
                                        ; implicit-def: $vgpr8_vgpr9
.LBB110_2683:
	s_delay_alu instid0(SALU_CYCLE_1)
	s_and_not1_b32 vcc_lo, exec_lo, s24
	s_cbranch_vccnz .LBB110_2685
; %bb.2684:
	s_wait_loadcnt 0x0
	global_load_b32 v8, v[12:13], off
	s_wait_loadcnt 0x0
	v_cvt_f64_f32_e32 v[8:9], v8
.LBB110_2685:
	s_mov_b32 s24, 0
.LBB110_2686:
	s_delay_alu instid0(SALU_CYCLE_1)
	s_and_not1_b32 vcc_lo, exec_lo, s24
	s_cbranch_vccnz .LBB110_2688
; %bb.2687:
	s_wait_loadcnt 0x0
	global_load_u16 v8, v[12:13], off
	s_wait_loadcnt 0x0
	v_cvt_f32_f16_e32 v8, v8
	s_delay_alu instid0(VALU_DEP_1)
	v_cvt_f64_f32_e32 v[8:9], v8
.LBB110_2688:
	s_mov_b32 s24, 0
.LBB110_2689:
	s_delay_alu instid0(SALU_CYCLE_1)
	s_and_not1_b32 vcc_lo, exec_lo, s24
	s_cbranch_vccnz .LBB110_2709
; %bb.2690:
	s_cmp_lt_i32 s14, 2
	s_cbranch_scc1 .LBB110_2694
; %bb.2691:
	s_cmp_lt_i32 s14, 3
	s_cbranch_scc1 .LBB110_2695
; %bb.2692:
	s_cmp_gt_i32 s14, 3
	s_cbranch_scc0 .LBB110_2696
; %bb.2693:
	s_wait_loadcnt 0x0
	global_load_b64 v[8:9], v[12:13], off
	s_mov_b32 s24, 0
	s_wait_loadcnt 0x0
	v_cvt_f64_i32_e32 v[18:19], v9
	v_cvt_f64_u32_e32 v[8:9], v8
	s_delay_alu instid0(VALU_DEP_2) | instskip(NEXT) | instid1(VALU_DEP_1)
	v_ldexp_f64 v[18:19], v[18:19], 32
	v_add_f64_e32 v[8:9], v[18:19], v[8:9]
	s_branch .LBB110_2697
.LBB110_2694:
	s_mov_b32 s24, -1
                                        ; implicit-def: $vgpr8_vgpr9
	s_branch .LBB110_2703
.LBB110_2695:
	s_mov_b32 s24, -1
                                        ; implicit-def: $vgpr8_vgpr9
	s_branch .LBB110_2700
.LBB110_2696:
	s_mov_b32 s24, -1
                                        ; implicit-def: $vgpr8_vgpr9
.LBB110_2697:
	s_delay_alu instid0(SALU_CYCLE_1)
	s_and_not1_b32 vcc_lo, exec_lo, s24
	s_cbranch_vccnz .LBB110_2699
; %bb.2698:
	s_wait_loadcnt 0x0
	global_load_b32 v8, v[12:13], off
	s_wait_loadcnt 0x0
	v_cvt_f64_i32_e32 v[8:9], v8
.LBB110_2699:
	s_mov_b32 s24, 0
.LBB110_2700:
	s_delay_alu instid0(SALU_CYCLE_1)
	s_and_not1_b32 vcc_lo, exec_lo, s24
	s_cbranch_vccnz .LBB110_2702
; %bb.2701:
	s_wait_loadcnt 0x0
	global_load_i16 v8, v[12:13], off
	s_wait_loadcnt 0x0
	v_cvt_f64_i32_e32 v[8:9], v8
.LBB110_2702:
	s_mov_b32 s24, 0
.LBB110_2703:
	s_delay_alu instid0(SALU_CYCLE_1)
	s_and_not1_b32 vcc_lo, exec_lo, s24
	s_cbranch_vccnz .LBB110_2709
; %bb.2704:
	s_cmp_gt_i32 s14, 0
	s_mov_b32 s14, 0
	s_cbranch_scc0 .LBB110_2706
; %bb.2705:
	s_wait_loadcnt 0x0
	global_load_i8 v8, v[12:13], off
	s_wait_loadcnt 0x0
	v_cvt_f64_i32_e32 v[8:9], v8
	s_branch .LBB110_2707
.LBB110_2706:
	s_mov_b32 s14, -1
                                        ; implicit-def: $vgpr8_vgpr9
.LBB110_2707:
	s_delay_alu instid0(SALU_CYCLE_1)
	s_and_not1_b32 vcc_lo, exec_lo, s14
	s_cbranch_vccnz .LBB110_2709
; %bb.2708:
	s_wait_loadcnt 0x0
	global_load_u8 v8, v[12:13], off
	s_wait_loadcnt 0x0
	v_cvt_f64_u32_e32 v[8:9], v8
.LBB110_2709:
	s_mov_b32 s26, -1
.LBB110_2710:
	s_delay_alu instid0(SALU_CYCLE_1)
	s_and_not1_b32 vcc_lo, exec_lo, s26
	s_cbranch_vccnz .LBB110_4065
; %bb.2711:
	s_lshl_b32 s14, s15, 7
	s_cmp_lt_i32 s0, 11
	v_add_nc_u32_e32 v18, s14, v10
	s_delay_alu instid0(VALU_DEP_1) | instskip(NEXT) | instid1(VALU_DEP_1)
	v_ashrrev_i32_e32 v19, 31, v18
	v_add_nc_u64_e32 v[10:11], s[10:11], v[18:19]
	s_cbranch_scc1 .LBB110_2718
; %bb.2712:
	s_cmp_gt_i32 s0, 25
	s_mov_b32 s24, 0
	s_cbranch_scc0 .LBB110_2719
; %bb.2713:
	s_cmp_gt_i32 s0, 28
	s_cbranch_scc0 .LBB110_2720
; %bb.2714:
	s_cmp_gt_i32 s0, 43
	;; [unrolled: 3-line block ×3, first 2 shown]
	s_cbranch_scc0 .LBB110_2723
; %bb.2716:
	s_cmp_eq_u32 s0, 46
	s_mov_b32 s26, 0
	s_cbranch_scc0 .LBB110_2726
; %bb.2717:
	global_load_b32 v12, v[10:11], off
	s_mov_b32 s15, 0
	s_mov_b32 s25, -1
	s_wait_loadcnt 0x0
	v_lshlrev_b32_e32 v12, 16, v12
	s_delay_alu instid0(VALU_DEP_1)
	v_cvt_f64_f32_e32 v[12:13], v12
	s_branch .LBB110_2728
.LBB110_2718:
	s_mov_b32 s15, -1
	s_mov_b32 s25, 0
                                        ; implicit-def: $vgpr12_vgpr13
	s_branch .LBB110_2794
.LBB110_2719:
	s_mov_b32 s26, -1
	s_mov_b32 s25, 0
	s_mov_b32 s15, 0
                                        ; implicit-def: $vgpr12_vgpr13
	s_branch .LBB110_2757
.LBB110_2720:
	s_mov_b32 s26, -1
	s_mov_b32 s25, 0
	s_mov_b32 s15, 0
                                        ; implicit-def: $vgpr12_vgpr13
	s_branch .LBB110_2738
.LBB110_2721:
	s_mov_b32 s26, -1
	s_mov_b32 s25, 0
	s_mov_b32 s15, 0
                                        ; implicit-def: $vgpr12_vgpr13
	s_branch .LBB110_2733
.LBB110_2722:
	s_or_b32 s20, s20, exec_lo
	s_trap 2
	s_cbranch_execz .LBB110_2659
	s_branch .LBB110_2660
.LBB110_2723:
	s_mov_b32 s26, -1
	s_mov_b32 s25, 0
	s_mov_b32 s15, 0
	s_branch .LBB110_2727
.LBB110_2724:
	s_and_not1_saveexec_b32 s43, s43
	s_cbranch_execz .LBB110_1464
.LBB110_2725:
	v_add_f32_e64 v3, 0x46000000, |v2|
	s_and_not1_b32 s42, s42, exec_lo
	s_delay_alu instid0(VALU_DEP_1) | instskip(NEXT) | instid1(VALU_DEP_1)
	v_and_b32_e32 v3, 0xff, v3
	v_cmp_ne_u32_e32 vcc_lo, 0, v3
	s_and_b32 s44, vcc_lo, exec_lo
	s_delay_alu instid0(SALU_CYCLE_1)
	s_or_b32 s42, s42, s44
	s_or_b32 exec_lo, exec_lo, s43
	v_mov_b32_e32 v6, 0
	s_and_saveexec_b32 s43, s42
	s_cbranch_execnz .LBB110_1465
	s_branch .LBB110_1466
.LBB110_2726:
	s_mov_b32 s15, -1
	s_mov_b32 s25, 0
.LBB110_2727:
                                        ; implicit-def: $vgpr12_vgpr13
.LBB110_2728:
	s_and_b32 vcc_lo, exec_lo, s26
	s_cbranch_vccz .LBB110_2732
; %bb.2729:
	s_cmp_eq_u32 s0, 44
	s_cbranch_scc0 .LBB110_2731
; %bb.2730:
	global_load_u8 v15, v[10:11], off
	s_mov_b32 s15, 0
	s_mov_b32 s25, -1
	s_wait_loadcnt 0x0
	v_cmp_ne_u32_e32 vcc_lo, 0xff, v15
	s_wait_xcnt 0x1
	v_lshlrev_b32_e32 v12, 23, v15
	s_delay_alu instid0(VALU_DEP_1) | instskip(NEXT) | instid1(VALU_DEP_1)
	v_cvt_f64_f32_e32 v[12:13], v12
	v_cndmask_b32_e32 v12, 0x20000000, v12, vcc_lo
	s_delay_alu instid0(VALU_DEP_2) | instskip(SKIP_1) | instid1(VALU_DEP_2)
	v_cndmask_b32_e32 v13, 0x7ff80000, v13, vcc_lo
	v_cmp_ne_u32_e32 vcc_lo, 0, v15
	v_cndmask_b32_e32 v13, 0x38000000, v13, vcc_lo
	s_delay_alu instid0(VALU_DEP_4)
	v_cndmask_b32_e32 v12, 0, v12, vcc_lo
	s_branch .LBB110_2732
.LBB110_2731:
	s_mov_b32 s15, -1
                                        ; implicit-def: $vgpr12_vgpr13
.LBB110_2732:
	s_mov_b32 s26, 0
.LBB110_2733:
	s_delay_alu instid0(SALU_CYCLE_1)
	s_and_b32 vcc_lo, exec_lo, s26
	s_cbranch_vccz .LBB110_2737
; %bb.2734:
	s_cmp_eq_u32 s0, 29
	s_cbranch_scc0 .LBB110_2736
; %bb.2735:
	global_load_b64 v[12:13], v[10:11], off
	s_mov_b32 s15, 0
	s_mov_b32 s25, -1
	s_mov_b32 s26, 0
	s_wait_loadcnt 0x0
	v_cvt_f64_u32_e32 v[20:21], v13
	v_cvt_f64_u32_e32 v[12:13], v12
	s_delay_alu instid0(VALU_DEP_2) | instskip(NEXT) | instid1(VALU_DEP_1)
	v_ldexp_f64 v[20:21], v[20:21], 32
	v_add_f64_e32 v[12:13], v[20:21], v[12:13]
	s_branch .LBB110_2738
.LBB110_2736:
	s_mov_b32 s15, -1
                                        ; implicit-def: $vgpr12_vgpr13
.LBB110_2737:
	s_mov_b32 s26, 0
.LBB110_2738:
	s_delay_alu instid0(SALU_CYCLE_1)
	s_and_b32 vcc_lo, exec_lo, s26
	s_cbranch_vccz .LBB110_2756
; %bb.2739:
	s_cmp_lt_i32 s0, 27
	s_cbranch_scc1 .LBB110_2742
; %bb.2740:
	s_cmp_gt_i32 s0, 27
	s_cbranch_scc0 .LBB110_2743
; %bb.2741:
	global_load_b32 v12, v[10:11], off
	s_mov_b32 s25, 0
	s_wait_loadcnt 0x0
	v_cvt_f64_u32_e32 v[12:13], v12
	s_branch .LBB110_2744
.LBB110_2742:
	s_mov_b32 s25, -1
                                        ; implicit-def: $vgpr12_vgpr13
	s_branch .LBB110_2747
.LBB110_2743:
	s_mov_b32 s25, -1
                                        ; implicit-def: $vgpr12_vgpr13
.LBB110_2744:
	s_delay_alu instid0(SALU_CYCLE_1)
	s_and_not1_b32 vcc_lo, exec_lo, s25
	s_cbranch_vccnz .LBB110_2746
; %bb.2745:
	global_load_u16 v12, v[10:11], off
	s_wait_loadcnt 0x0
	v_cvt_f64_u32_e32 v[12:13], v12
.LBB110_2746:
	s_mov_b32 s25, 0
.LBB110_2747:
	s_delay_alu instid0(SALU_CYCLE_1)
	s_and_not1_b32 vcc_lo, exec_lo, s25
	s_cbranch_vccnz .LBB110_2755
; %bb.2748:
	global_load_u8 v15, v[10:11], off
	s_mov_b32 s25, 0
	s_mov_b32 s26, exec_lo
	s_wait_loadcnt 0x0
	v_cmpx_lt_i16_e32 0x7f, v15
	s_xor_b32 s26, exec_lo, s26
	s_cbranch_execz .LBB110_2769
; %bb.2749:
	s_mov_b32 s25, -1
	s_mov_b32 s27, exec_lo
	v_cmpx_eq_u16_e32 0x80, v15
; %bb.2750:
	s_xor_b32 s25, exec_lo, -1
; %bb.2751:
	s_or_b32 exec_lo, exec_lo, s27
	s_delay_alu instid0(SALU_CYCLE_1)
	s_and_b32 s25, s25, exec_lo
	s_or_saveexec_b32 s26, s26
	v_mov_b64_e32 v[12:13], 0x7ff8000020000000
	s_xor_b32 exec_lo, exec_lo, s26
	s_cbranch_execnz .LBB110_2770
.LBB110_2752:
	s_or_b32 exec_lo, exec_lo, s26
	s_and_saveexec_b32 s26, s25
	s_cbranch_execz .LBB110_2754
.LBB110_2753:
	v_and_b32_e32 v12, 0xffff, v15
	s_delay_alu instid0(VALU_DEP_1) | instskip(SKIP_1) | instid1(VALU_DEP_2)
	v_and_b32_e32 v13, 7, v12
	v_bfe_u32 v20, v12, 3, 4
	v_clz_i32_u32_e32 v17, v13
	s_delay_alu instid0(VALU_DEP_2) | instskip(NEXT) | instid1(VALU_DEP_2)
	v_cmp_eq_u32_e32 vcc_lo, 0, v20
	v_min_u32_e32 v17, 32, v17
	s_delay_alu instid0(VALU_DEP_1) | instskip(NEXT) | instid1(VALU_DEP_1)
	v_subrev_nc_u32_e32 v19, 28, v17
	v_dual_lshlrev_b32 v12, v19, v12 :: v_dual_sub_nc_u32 v17, 29, v17
	s_delay_alu instid0(VALU_DEP_1) | instskip(NEXT) | instid1(VALU_DEP_1)
	v_dual_lshlrev_b32 v15, 24, v15 :: v_dual_bitop2_b32 v12, 7, v12 bitop3:0x40
	v_dual_cndmask_b32 v17, v20, v17 :: v_dual_cndmask_b32 v12, v13, v12
	s_delay_alu instid0(VALU_DEP_2) | instskip(NEXT) | instid1(VALU_DEP_2)
	v_and_b32_e32 v13, 0x80000000, v15
	v_lshl_add_u32 v15, v17, 23, 0x3b800000
	s_delay_alu instid0(VALU_DEP_3) | instskip(NEXT) | instid1(VALU_DEP_1)
	v_lshlrev_b32_e32 v12, 20, v12
	v_or3_b32 v12, v13, v15, v12
	s_delay_alu instid0(VALU_DEP_1)
	v_cvt_f64_f32_e32 v[12:13], v12
.LBB110_2754:
	s_or_b32 exec_lo, exec_lo, s26
.LBB110_2755:
	s_mov_b32 s25, -1
.LBB110_2756:
	s_mov_b32 s26, 0
.LBB110_2757:
	s_delay_alu instid0(SALU_CYCLE_1)
	s_and_b32 vcc_lo, exec_lo, s26
	s_cbranch_vccz .LBB110_2790
; %bb.2758:
	s_cmp_gt_i32 s0, 22
	s_cbranch_scc0 .LBB110_2768
; %bb.2759:
	s_cmp_lt_i32 s0, 24
	s_cbranch_scc1 .LBB110_2771
; %bb.2760:
	s_cmp_gt_i32 s0, 24
	s_cbranch_scc0 .LBB110_2772
; %bb.2761:
	global_load_u8 v15, v[10:11], off
	s_mov_b32 s25, exec_lo
	s_wait_loadcnt 0x0
	v_cmpx_lt_i16_e32 0x7f, v15
	s_xor_b32 s25, exec_lo, s25
	s_cbranch_execz .LBB110_2784
; %bb.2762:
	s_mov_b32 s24, -1
	s_mov_b32 s26, exec_lo
	v_cmpx_eq_u16_e32 0x80, v15
; %bb.2763:
	s_xor_b32 s24, exec_lo, -1
; %bb.2764:
	s_or_b32 exec_lo, exec_lo, s26
	s_delay_alu instid0(SALU_CYCLE_1)
	s_and_b32 s24, s24, exec_lo
	s_or_saveexec_b32 s25, s25
	v_mov_b64_e32 v[12:13], 0x7ff8000020000000
	s_xor_b32 exec_lo, exec_lo, s25
	s_cbranch_execnz .LBB110_2785
.LBB110_2765:
	s_or_b32 exec_lo, exec_lo, s25
	s_and_saveexec_b32 s25, s24
	s_cbranch_execz .LBB110_2767
.LBB110_2766:
	v_and_b32_e32 v12, 0xffff, v15
	s_delay_alu instid0(VALU_DEP_1) | instskip(SKIP_1) | instid1(VALU_DEP_2)
	v_and_b32_e32 v13, 3, v12
	v_bfe_u32 v20, v12, 2, 5
	v_clz_i32_u32_e32 v17, v13
	s_delay_alu instid0(VALU_DEP_2) | instskip(NEXT) | instid1(VALU_DEP_2)
	v_cmp_eq_u32_e32 vcc_lo, 0, v20
	v_min_u32_e32 v17, 32, v17
	s_delay_alu instid0(VALU_DEP_1) | instskip(NEXT) | instid1(VALU_DEP_1)
	v_subrev_nc_u32_e32 v19, 29, v17
	v_dual_lshlrev_b32 v12, v19, v12 :: v_dual_sub_nc_u32 v17, 30, v17
	s_delay_alu instid0(VALU_DEP_1) | instskip(NEXT) | instid1(VALU_DEP_1)
	v_dual_lshlrev_b32 v15, 24, v15 :: v_dual_bitop2_b32 v12, 3, v12 bitop3:0x40
	v_dual_cndmask_b32 v17, v20, v17 :: v_dual_cndmask_b32 v12, v13, v12
	s_delay_alu instid0(VALU_DEP_2) | instskip(NEXT) | instid1(VALU_DEP_2)
	v_and_b32_e32 v13, 0x80000000, v15
	v_lshl_add_u32 v15, v17, 23, 0x37800000
	s_delay_alu instid0(VALU_DEP_3) | instskip(NEXT) | instid1(VALU_DEP_1)
	v_lshlrev_b32_e32 v12, 21, v12
	v_or3_b32 v12, v13, v15, v12
	s_delay_alu instid0(VALU_DEP_1)
	v_cvt_f64_f32_e32 v[12:13], v12
.LBB110_2767:
	s_or_b32 exec_lo, exec_lo, s25
	s_mov_b32 s24, 0
	s_branch .LBB110_2773
.LBB110_2768:
	s_mov_b32 s24, -1
                                        ; implicit-def: $vgpr12_vgpr13
	s_branch .LBB110_2779
.LBB110_2769:
	s_or_saveexec_b32 s26, s26
	v_mov_b64_e32 v[12:13], 0x7ff8000020000000
	s_xor_b32 exec_lo, exec_lo, s26
	s_cbranch_execz .LBB110_2752
.LBB110_2770:
	v_cmp_ne_u16_e32 vcc_lo, 0, v15
	v_mov_b64_e32 v[12:13], 0
	s_and_not1_b32 s25, s25, exec_lo
	s_and_b32 s27, vcc_lo, exec_lo
	s_delay_alu instid0(SALU_CYCLE_1)
	s_or_b32 s25, s25, s27
	s_or_b32 exec_lo, exec_lo, s26
	s_and_saveexec_b32 s26, s25
	s_cbranch_execnz .LBB110_2753
	s_branch .LBB110_2754
.LBB110_2771:
	s_mov_b32 s24, -1
                                        ; implicit-def: $vgpr12_vgpr13
	s_branch .LBB110_2776
.LBB110_2772:
	s_mov_b32 s24, -1
                                        ; implicit-def: $vgpr12_vgpr13
.LBB110_2773:
	s_delay_alu instid0(SALU_CYCLE_1)
	s_and_b32 vcc_lo, exec_lo, s24
	s_cbranch_vccz .LBB110_2775
; %bb.2774:
	global_load_u8 v12, v[10:11], off
	s_wait_loadcnt 0x0
	v_lshlrev_b32_e32 v12, 24, v12
	s_delay_alu instid0(VALU_DEP_1) | instskip(NEXT) | instid1(VALU_DEP_1)
	v_and_b32_e32 v13, 0x7f000000, v12
	v_clz_i32_u32_e32 v15, v13
	v_add_nc_u32_e32 v19, 0x1000000, v13
	v_cmp_ne_u32_e32 vcc_lo, 0, v13
	s_delay_alu instid0(VALU_DEP_3) | instskip(NEXT) | instid1(VALU_DEP_1)
	v_min_u32_e32 v15, 32, v15
	v_sub_nc_u32_e64 v15, v15, 4 clamp
	s_delay_alu instid0(VALU_DEP_1) | instskip(NEXT) | instid1(VALU_DEP_1)
	v_dual_lshlrev_b32 v17, v15, v13 :: v_dual_lshlrev_b32 v15, 23, v15
	v_lshrrev_b32_e32 v17, 4, v17
	s_delay_alu instid0(VALU_DEP_1) | instskip(SKIP_1) | instid1(VALU_DEP_2)
	v_sub_nc_u32_e32 v15, v17, v15
	v_ashrrev_i32_e32 v17, 8, v19
	v_add_nc_u32_e32 v15, 0x3c000000, v15
	s_delay_alu instid0(VALU_DEP_1) | instskip(NEXT) | instid1(VALU_DEP_1)
	v_and_or_b32 v15, 0x7f800000, v17, v15
	v_cndmask_b32_e32 v13, 0, v15, vcc_lo
	s_delay_alu instid0(VALU_DEP_1) | instskip(NEXT) | instid1(VALU_DEP_1)
	v_and_or_b32 v12, 0x80000000, v12, v13
	v_cvt_f64_f32_e32 v[12:13], v12
.LBB110_2775:
	s_mov_b32 s24, 0
.LBB110_2776:
	s_delay_alu instid0(SALU_CYCLE_1)
	s_and_not1_b32 vcc_lo, exec_lo, s24
	s_cbranch_vccnz .LBB110_2778
; %bb.2777:
	global_load_u8 v12, v[10:11], off
	s_wait_loadcnt 0x0
	v_lshlrev_b32_e32 v13, 25, v12
	v_lshlrev_b16 v12, 8, v12
	s_delay_alu instid0(VALU_DEP_1) | instskip(SKIP_1) | instid1(VALU_DEP_2)
	v_and_or_b32 v17, 0x7f00, v12, 0.5
	v_bfe_i32 v12, v12, 0, 16
	v_add_f32_e32 v17, -0.5, v17
	v_lshrrev_b32_e32 v15, 4, v13
	v_cmp_gt_u32_e32 vcc_lo, 0x8000000, v13
	s_delay_alu instid0(VALU_DEP_2) | instskip(NEXT) | instid1(VALU_DEP_1)
	v_or_b32_e32 v15, 0x70000000, v15
	v_mul_f32_e32 v15, 0x7800000, v15
	s_delay_alu instid0(VALU_DEP_1) | instskip(NEXT) | instid1(VALU_DEP_1)
	v_cndmask_b32_e32 v13, v15, v17, vcc_lo
	v_and_or_b32 v12, 0x80000000, v12, v13
	s_delay_alu instid0(VALU_DEP_1)
	v_cvt_f64_f32_e32 v[12:13], v12
.LBB110_2778:
	s_mov_b32 s24, 0
	s_mov_b32 s25, -1
.LBB110_2779:
	s_and_not1_b32 vcc_lo, exec_lo, s24
	s_mov_b32 s24, 0
	s_cbranch_vccnz .LBB110_2790
; %bb.2780:
	s_cmp_gt_i32 s0, 14
	s_cbranch_scc0 .LBB110_2783
; %bb.2781:
	s_cmp_eq_u32 s0, 15
	s_cbranch_scc0 .LBB110_2786
; %bb.2782:
	global_load_u16 v12, v[10:11], off
	s_mov_b32 s15, 0
	s_mov_b32 s25, -1
	s_wait_loadcnt 0x0
	v_lshlrev_b32_e32 v12, 16, v12
	s_delay_alu instid0(VALU_DEP_1)
	v_cvt_f64_f32_e32 v[12:13], v12
	s_branch .LBB110_2788
.LBB110_2783:
	s_mov_b32 s24, -1
	s_branch .LBB110_2787
.LBB110_2784:
	s_or_saveexec_b32 s25, s25
	v_mov_b64_e32 v[12:13], 0x7ff8000020000000
	s_xor_b32 exec_lo, exec_lo, s25
	s_cbranch_execz .LBB110_2765
.LBB110_2785:
	v_cmp_ne_u16_e32 vcc_lo, 0, v15
	v_mov_b64_e32 v[12:13], 0
	s_and_not1_b32 s24, s24, exec_lo
	s_and_b32 s26, vcc_lo, exec_lo
	s_delay_alu instid0(SALU_CYCLE_1)
	s_or_b32 s24, s24, s26
	s_or_b32 exec_lo, exec_lo, s25
	s_and_saveexec_b32 s25, s24
	s_cbranch_execnz .LBB110_2766
	s_branch .LBB110_2767
.LBB110_2786:
	s_mov_b32 s15, -1
.LBB110_2787:
                                        ; implicit-def: $vgpr12_vgpr13
.LBB110_2788:
	s_and_b32 vcc_lo, exec_lo, s24
	s_mov_b32 s24, 0
	s_cbranch_vccz .LBB110_2790
; %bb.2789:
	s_cmp_lg_u32 s0, 11
	s_mov_b32 s24, -1
	s_cselect_b32 s15, -1, 0
.LBB110_2790:
	s_delay_alu instid0(SALU_CYCLE_1)
	s_and_b32 vcc_lo, exec_lo, s15
	s_cbranch_vccnz .LBB110_2855
; %bb.2791:
	s_and_not1_b32 vcc_lo, exec_lo, s24
	s_cbranch_vccnz .LBB110_2793
.LBB110_2792:
	global_load_u8 v12, v[10:11], off
	s_mov_b32 s25, -1
	s_wait_loadcnt 0x0
	v_cmp_ne_u16_e32 vcc_lo, 0, v12
	v_mov_b32_e32 v12, 0
	v_cndmask_b32_e64 v13, 0, 0x3ff00000, vcc_lo
.LBB110_2793:
	s_mov_b32 s15, 0
.LBB110_2794:
	s_delay_alu instid0(SALU_CYCLE_1)
	s_and_b32 vcc_lo, exec_lo, s15
	s_cbranch_vccz .LBB110_2843
; %bb.2795:
	s_cmp_lt_i32 s0, 5
	s_cbranch_scc1 .LBB110_2800
; %bb.2796:
	s_cmp_lt_i32 s0, 8
	s_cbranch_scc1 .LBB110_2801
	;; [unrolled: 3-line block ×3, first 2 shown]
; %bb.2798:
	s_cmp_gt_i32 s0, 9
	s_cbranch_scc0 .LBB110_2803
; %bb.2799:
	global_load_b64 v[12:13], v[10:11], off
	s_mov_b32 s15, 0
	s_branch .LBB110_2804
.LBB110_2800:
	s_mov_b32 s15, -1
                                        ; implicit-def: $vgpr12_vgpr13
	s_branch .LBB110_2822
.LBB110_2801:
	s_mov_b32 s15, -1
                                        ; implicit-def: $vgpr12_vgpr13
	s_branch .LBB110_2810
.LBB110_2802:
	s_mov_b32 s15, -1
                                        ; implicit-def: $vgpr12_vgpr13
	s_branch .LBB110_2807
.LBB110_2803:
	s_mov_b32 s15, -1
                                        ; implicit-def: $vgpr12_vgpr13
.LBB110_2804:
	s_delay_alu instid0(SALU_CYCLE_1)
	s_and_not1_b32 vcc_lo, exec_lo, s15
	s_cbranch_vccnz .LBB110_2806
; %bb.2805:
	s_wait_loadcnt 0x0
	global_load_b32 v12, v[10:11], off
	s_wait_loadcnt 0x0
	v_cvt_f64_f32_e32 v[12:13], v12
.LBB110_2806:
	s_mov_b32 s15, 0
.LBB110_2807:
	s_delay_alu instid0(SALU_CYCLE_1)
	s_and_not1_b32 vcc_lo, exec_lo, s15
	s_cbranch_vccnz .LBB110_2809
; %bb.2808:
	s_wait_loadcnt 0x0
	global_load_b32 v12, v[10:11], off
	s_wait_loadcnt 0x0
	v_cvt_f32_f16_e32 v12, v12
	s_delay_alu instid0(VALU_DEP_1)
	v_cvt_f64_f32_e32 v[12:13], v12
.LBB110_2809:
	s_mov_b32 s15, 0
.LBB110_2810:
	s_delay_alu instid0(SALU_CYCLE_1)
	s_and_not1_b32 vcc_lo, exec_lo, s15
	s_cbranch_vccnz .LBB110_2821
; %bb.2811:
	s_cmp_lt_i32 s0, 6
	s_cbranch_scc1 .LBB110_2814
; %bb.2812:
	s_cmp_gt_i32 s0, 6
	s_cbranch_scc0 .LBB110_2815
; %bb.2813:
	s_wait_loadcnt 0x0
	global_load_b64 v[12:13], v[10:11], off
	s_mov_b32 s15, 0
	s_branch .LBB110_2816
.LBB110_2814:
	s_mov_b32 s15, -1
                                        ; implicit-def: $vgpr12_vgpr13
	s_branch .LBB110_2819
.LBB110_2815:
	s_mov_b32 s15, -1
                                        ; implicit-def: $vgpr12_vgpr13
.LBB110_2816:
	s_delay_alu instid0(SALU_CYCLE_1)
	s_and_not1_b32 vcc_lo, exec_lo, s15
	s_cbranch_vccnz .LBB110_2818
; %bb.2817:
	s_wait_loadcnt 0x0
	global_load_b32 v12, v[10:11], off
	s_wait_loadcnt 0x0
	v_cvt_f64_f32_e32 v[12:13], v12
.LBB110_2818:
	s_mov_b32 s15, 0
.LBB110_2819:
	s_delay_alu instid0(SALU_CYCLE_1)
	s_and_not1_b32 vcc_lo, exec_lo, s15
	s_cbranch_vccnz .LBB110_2821
; %bb.2820:
	s_wait_loadcnt 0x0
	global_load_u16 v12, v[10:11], off
	s_wait_loadcnt 0x0
	v_cvt_f32_f16_e32 v12, v12
	s_delay_alu instid0(VALU_DEP_1)
	v_cvt_f64_f32_e32 v[12:13], v12
.LBB110_2821:
	s_mov_b32 s15, 0
.LBB110_2822:
	s_delay_alu instid0(SALU_CYCLE_1)
	s_and_not1_b32 vcc_lo, exec_lo, s15
	s_cbranch_vccnz .LBB110_2842
; %bb.2823:
	s_cmp_lt_i32 s0, 2
	s_cbranch_scc1 .LBB110_2827
; %bb.2824:
	s_cmp_lt_i32 s0, 3
	s_cbranch_scc1 .LBB110_2828
; %bb.2825:
	s_cmp_gt_i32 s0, 3
	s_cbranch_scc0 .LBB110_2829
; %bb.2826:
	s_wait_loadcnt 0x0
	global_load_b64 v[12:13], v[10:11], off
	s_mov_b32 s15, 0
	s_wait_loadcnt 0x0
	v_cvt_f64_i32_e32 v[20:21], v13
	v_cvt_f64_u32_e32 v[12:13], v12
	s_delay_alu instid0(VALU_DEP_2) | instskip(NEXT) | instid1(VALU_DEP_1)
	v_ldexp_f64 v[20:21], v[20:21], 32
	v_add_f64_e32 v[12:13], v[20:21], v[12:13]
	s_branch .LBB110_2830
.LBB110_2827:
	s_mov_b32 s15, -1
                                        ; implicit-def: $vgpr12_vgpr13
	s_branch .LBB110_2836
.LBB110_2828:
	s_mov_b32 s15, -1
                                        ; implicit-def: $vgpr12_vgpr13
	s_branch .LBB110_2833
.LBB110_2829:
	s_mov_b32 s15, -1
                                        ; implicit-def: $vgpr12_vgpr13
.LBB110_2830:
	s_delay_alu instid0(SALU_CYCLE_1)
	s_and_not1_b32 vcc_lo, exec_lo, s15
	s_cbranch_vccnz .LBB110_2832
; %bb.2831:
	s_wait_loadcnt 0x0
	global_load_b32 v12, v[10:11], off
	s_wait_loadcnt 0x0
	v_cvt_f64_i32_e32 v[12:13], v12
.LBB110_2832:
	s_mov_b32 s15, 0
.LBB110_2833:
	s_delay_alu instid0(SALU_CYCLE_1)
	s_and_not1_b32 vcc_lo, exec_lo, s15
	s_cbranch_vccnz .LBB110_2835
; %bb.2834:
	s_wait_loadcnt 0x0
	global_load_i16 v12, v[10:11], off
	s_wait_loadcnt 0x0
	v_cvt_f64_i32_e32 v[12:13], v12
.LBB110_2835:
	s_mov_b32 s15, 0
.LBB110_2836:
	s_delay_alu instid0(SALU_CYCLE_1)
	s_and_not1_b32 vcc_lo, exec_lo, s15
	s_cbranch_vccnz .LBB110_2842
; %bb.2837:
	s_cmp_gt_i32 s0, 0
	s_mov_b32 s15, 0
	s_cbranch_scc0 .LBB110_2839
; %bb.2838:
	s_wait_loadcnt 0x0
	global_load_i8 v12, v[10:11], off
	s_wait_loadcnt 0x0
	v_cvt_f64_i32_e32 v[12:13], v12
	s_branch .LBB110_2840
.LBB110_2839:
	s_mov_b32 s15, -1
                                        ; implicit-def: $vgpr12_vgpr13
.LBB110_2840:
	s_delay_alu instid0(SALU_CYCLE_1)
	s_and_not1_b32 vcc_lo, exec_lo, s15
	s_cbranch_vccnz .LBB110_2842
; %bb.2841:
	global_load_u8 v10, v[10:11], off
	s_wait_loadcnt 0x0
	v_cvt_f64_u32_e32 v[12:13], v10
.LBB110_2842:
	s_mov_b32 s25, -1
.LBB110_2843:
	s_delay_alu instid0(SALU_CYCLE_1)
	s_and_not1_b32 vcc_lo, exec_lo, s25
	s_cbranch_vccnz .LBB110_4065
; %bb.2844:
	v_add_nc_u32_e32 v20, s1, v14
	s_cmp_lt_i32 s21, 11
	s_delay_alu instid0(VALU_DEP_1) | instskip(NEXT) | instid1(VALU_DEP_1)
	v_ashrrev_i32_e32 v21, 31, v20
	v_add_nc_u64_e32 v[14:15], s[6:7], v[20:21]
	s_cbranch_scc1 .LBB110_2851
; %bb.2845:
	s_and_b32 s15, 0xffff, s21
	s_mov_b32 s25, 0
	s_cmp_gt_i32 s15, 25
	s_cbranch_scc0 .LBB110_2852
; %bb.2846:
	s_cmp_gt_i32 s15, 28
	s_cbranch_scc0 .LBB110_2853
; %bb.2847:
	;; [unrolled: 3-line block ×4, first 2 shown]
	s_cmp_eq_u32 s15, 46
	s_mov_b32 s27, 0
	s_cbranch_scc0 .LBB110_2859
; %bb.2850:
	global_load_b32 v10, v[14:15], off
	s_mov_b32 s24, 0
	s_mov_b32 s26, -1
	s_wait_loadcnt 0x0
	v_lshlrev_b32_e32 v10, 16, v10
	s_delay_alu instid0(VALU_DEP_1)
	v_cvt_f64_f32_e32 v[10:11], v10
	s_branch .LBB110_2861
.LBB110_2851:
	s_mov_b32 s15, -1
	s_mov_b32 s26, 0
                                        ; implicit-def: $vgpr10_vgpr11
	s_branch .LBB110_2927
.LBB110_2852:
	s_mov_b32 s27, -1
	s_mov_b32 s26, 0
	s_mov_b32 s24, 0
                                        ; implicit-def: $vgpr10_vgpr11
	s_branch .LBB110_2890
.LBB110_2853:
	s_mov_b32 s27, -1
	s_mov_b32 s26, 0
	s_mov_b32 s24, 0
                                        ; implicit-def: $vgpr10_vgpr11
	s_branch .LBB110_2871
.LBB110_2854:
	s_mov_b32 s27, -1
	s_mov_b32 s26, 0
	s_mov_b32 s24, 0
                                        ; implicit-def: $vgpr10_vgpr11
	s_branch .LBB110_2866
.LBB110_2855:
	s_or_b32 s20, s20, exec_lo
	s_trap 2
	s_cbranch_execz .LBB110_2792
	s_branch .LBB110_2793
.LBB110_2856:
	s_mov_b32 s27, -1
	s_mov_b32 s26, 0
	s_mov_b32 s24, 0
	s_branch .LBB110_2860
.LBB110_2857:
	s_and_not1_saveexec_b32 s43, s43
	s_cbranch_execz .LBB110_1477
.LBB110_2858:
	v_add_f32_e64 v3, 0x42800000, |v2|
	s_and_not1_b32 s42, s42, exec_lo
	s_delay_alu instid0(VALU_DEP_1) | instskip(NEXT) | instid1(VALU_DEP_1)
	v_and_b32_e32 v3, 0xff, v3
	v_cmp_ne_u32_e32 vcc_lo, 0, v3
	s_and_b32 s44, vcc_lo, exec_lo
	s_delay_alu instid0(SALU_CYCLE_1)
	s_or_b32 s42, s42, s44
	s_or_b32 exec_lo, exec_lo, s43
	v_mov_b32_e32 v6, 0
	s_and_saveexec_b32 s43, s42
	s_cbranch_execnz .LBB110_1478
	s_branch .LBB110_1479
.LBB110_2859:
	s_mov_b32 s24, -1
	s_mov_b32 s26, 0
.LBB110_2860:
                                        ; implicit-def: $vgpr10_vgpr11
.LBB110_2861:
	s_and_b32 vcc_lo, exec_lo, s27
	s_cbranch_vccz .LBB110_2865
; %bb.2862:
	s_cmp_eq_u32 s15, 44
	s_cbranch_scc0 .LBB110_2864
; %bb.2863:
	global_load_u8 v17, v[14:15], off
	s_mov_b32 s24, 0
	s_mov_b32 s26, -1
	s_wait_loadcnt 0x0
	v_cmp_ne_u32_e32 vcc_lo, 0xff, v17
	s_wait_xcnt 0x1
	v_lshlrev_b32_e32 v10, 23, v17
	s_delay_alu instid0(VALU_DEP_1) | instskip(NEXT) | instid1(VALU_DEP_1)
	v_cvt_f64_f32_e32 v[10:11], v10
	v_cndmask_b32_e32 v10, 0x20000000, v10, vcc_lo
	s_delay_alu instid0(VALU_DEP_2) | instskip(SKIP_1) | instid1(VALU_DEP_2)
	v_cndmask_b32_e32 v11, 0x7ff80000, v11, vcc_lo
	v_cmp_ne_u32_e32 vcc_lo, 0, v17
	v_cndmask_b32_e32 v11, 0x38000000, v11, vcc_lo
	s_delay_alu instid0(VALU_DEP_4)
	v_cndmask_b32_e32 v10, 0, v10, vcc_lo
	s_branch .LBB110_2865
.LBB110_2864:
	s_mov_b32 s24, -1
                                        ; implicit-def: $vgpr10_vgpr11
.LBB110_2865:
	s_mov_b32 s27, 0
.LBB110_2866:
	s_delay_alu instid0(SALU_CYCLE_1)
	s_and_b32 vcc_lo, exec_lo, s27
	s_cbranch_vccz .LBB110_2870
; %bb.2867:
	s_cmp_eq_u32 s15, 29
	s_cbranch_scc0 .LBB110_2869
; %bb.2868:
	global_load_b64 v[10:11], v[14:15], off
	s_mov_b32 s24, 0
	s_mov_b32 s26, -1
	s_mov_b32 s27, 0
	s_wait_loadcnt 0x0
	v_cvt_f64_u32_e32 v[22:23], v11
	v_cvt_f64_u32_e32 v[10:11], v10
	s_delay_alu instid0(VALU_DEP_2) | instskip(NEXT) | instid1(VALU_DEP_1)
	v_ldexp_f64 v[22:23], v[22:23], 32
	v_add_f64_e32 v[10:11], v[22:23], v[10:11]
	s_branch .LBB110_2871
.LBB110_2869:
	s_mov_b32 s24, -1
                                        ; implicit-def: $vgpr10_vgpr11
.LBB110_2870:
	s_mov_b32 s27, 0
.LBB110_2871:
	s_delay_alu instid0(SALU_CYCLE_1)
	s_and_b32 vcc_lo, exec_lo, s27
	s_cbranch_vccz .LBB110_2889
; %bb.2872:
	s_cmp_lt_i32 s15, 27
	s_cbranch_scc1 .LBB110_2875
; %bb.2873:
	s_cmp_gt_i32 s15, 27
	s_cbranch_scc0 .LBB110_2876
; %bb.2874:
	global_load_b32 v10, v[14:15], off
	s_mov_b32 s26, 0
	s_wait_loadcnt 0x0
	v_cvt_f64_u32_e32 v[10:11], v10
	s_branch .LBB110_2877
.LBB110_2875:
	s_mov_b32 s26, -1
                                        ; implicit-def: $vgpr10_vgpr11
	s_branch .LBB110_2880
.LBB110_2876:
	s_mov_b32 s26, -1
                                        ; implicit-def: $vgpr10_vgpr11
.LBB110_2877:
	s_delay_alu instid0(SALU_CYCLE_1)
	s_and_not1_b32 vcc_lo, exec_lo, s26
	s_cbranch_vccnz .LBB110_2879
; %bb.2878:
	global_load_u16 v10, v[14:15], off
	s_wait_loadcnt 0x0
	v_cvt_f64_u32_e32 v[10:11], v10
.LBB110_2879:
	s_mov_b32 s26, 0
.LBB110_2880:
	s_delay_alu instid0(SALU_CYCLE_1)
	s_and_not1_b32 vcc_lo, exec_lo, s26
	s_cbranch_vccnz .LBB110_2888
; %bb.2881:
	global_load_u8 v17, v[14:15], off
	s_mov_b32 s26, 0
	s_mov_b32 s27, exec_lo
	s_wait_loadcnt 0x0
	v_cmpx_lt_i16_e32 0x7f, v17
	s_xor_b32 s27, exec_lo, s27
	s_cbranch_execz .LBB110_2902
; %bb.2882:
	s_mov_b32 s26, -1
	s_mov_b32 s28, exec_lo
	v_cmpx_eq_u16_e32 0x80, v17
; %bb.2883:
	s_xor_b32 s26, exec_lo, -1
; %bb.2884:
	s_or_b32 exec_lo, exec_lo, s28
	s_delay_alu instid0(SALU_CYCLE_1)
	s_and_b32 s26, s26, exec_lo
	s_or_saveexec_b32 s27, s27
	v_mov_b64_e32 v[10:11], 0x7ff8000020000000
	s_xor_b32 exec_lo, exec_lo, s27
	s_cbranch_execnz .LBB110_2903
.LBB110_2885:
	s_or_b32 exec_lo, exec_lo, s27
	s_and_saveexec_b32 s27, s26
	s_cbranch_execz .LBB110_2887
.LBB110_2886:
	v_and_b32_e32 v10, 0xffff, v17
	s_delay_alu instid0(VALU_DEP_1) | instskip(SKIP_1) | instid1(VALU_DEP_2)
	v_and_b32_e32 v11, 7, v10
	v_bfe_u32 v22, v10, 3, 4
	v_clz_i32_u32_e32 v19, v11
	s_delay_alu instid0(VALU_DEP_2) | instskip(NEXT) | instid1(VALU_DEP_2)
	v_cmp_eq_u32_e32 vcc_lo, 0, v22
	v_min_u32_e32 v19, 32, v19
	s_delay_alu instid0(VALU_DEP_1) | instskip(NEXT) | instid1(VALU_DEP_1)
	v_subrev_nc_u32_e32 v21, 28, v19
	v_dual_lshlrev_b32 v10, v21, v10 :: v_dual_sub_nc_u32 v19, 29, v19
	s_delay_alu instid0(VALU_DEP_1) | instskip(NEXT) | instid1(VALU_DEP_1)
	v_dual_lshlrev_b32 v17, 24, v17 :: v_dual_bitop2_b32 v10, 7, v10 bitop3:0x40
	v_dual_cndmask_b32 v19, v22, v19 :: v_dual_cndmask_b32 v10, v11, v10
	s_delay_alu instid0(VALU_DEP_2) | instskip(NEXT) | instid1(VALU_DEP_2)
	v_and_b32_e32 v11, 0x80000000, v17
	v_lshl_add_u32 v17, v19, 23, 0x3b800000
	s_delay_alu instid0(VALU_DEP_3) | instskip(NEXT) | instid1(VALU_DEP_1)
	v_lshlrev_b32_e32 v10, 20, v10
	v_or3_b32 v10, v11, v17, v10
	s_delay_alu instid0(VALU_DEP_1)
	v_cvt_f64_f32_e32 v[10:11], v10
.LBB110_2887:
	s_or_b32 exec_lo, exec_lo, s27
.LBB110_2888:
	s_mov_b32 s26, -1
.LBB110_2889:
	s_mov_b32 s27, 0
.LBB110_2890:
	s_delay_alu instid0(SALU_CYCLE_1)
	s_and_b32 vcc_lo, exec_lo, s27
	s_cbranch_vccz .LBB110_2923
; %bb.2891:
	s_cmp_gt_i32 s15, 22
	s_cbranch_scc0 .LBB110_2901
; %bb.2892:
	s_cmp_lt_i32 s15, 24
	s_cbranch_scc1 .LBB110_2904
; %bb.2893:
	s_cmp_gt_i32 s15, 24
	s_cbranch_scc0 .LBB110_2905
; %bb.2894:
	global_load_u8 v17, v[14:15], off
	s_mov_b32 s26, exec_lo
	s_wait_loadcnt 0x0
	v_cmpx_lt_i16_e32 0x7f, v17
	s_xor_b32 s26, exec_lo, s26
	s_cbranch_execz .LBB110_2917
; %bb.2895:
	s_mov_b32 s25, -1
	s_mov_b32 s27, exec_lo
	v_cmpx_eq_u16_e32 0x80, v17
; %bb.2896:
	s_xor_b32 s25, exec_lo, -1
; %bb.2897:
	s_or_b32 exec_lo, exec_lo, s27
	s_delay_alu instid0(SALU_CYCLE_1)
	s_and_b32 s25, s25, exec_lo
	s_or_saveexec_b32 s26, s26
	v_mov_b64_e32 v[10:11], 0x7ff8000020000000
	s_xor_b32 exec_lo, exec_lo, s26
	s_cbranch_execnz .LBB110_2918
.LBB110_2898:
	s_or_b32 exec_lo, exec_lo, s26
	s_and_saveexec_b32 s26, s25
	s_cbranch_execz .LBB110_2900
.LBB110_2899:
	v_and_b32_e32 v10, 0xffff, v17
	s_delay_alu instid0(VALU_DEP_1) | instskip(SKIP_1) | instid1(VALU_DEP_2)
	v_and_b32_e32 v11, 3, v10
	v_bfe_u32 v22, v10, 2, 5
	v_clz_i32_u32_e32 v19, v11
	s_delay_alu instid0(VALU_DEP_2) | instskip(NEXT) | instid1(VALU_DEP_2)
	v_cmp_eq_u32_e32 vcc_lo, 0, v22
	v_min_u32_e32 v19, 32, v19
	s_delay_alu instid0(VALU_DEP_1) | instskip(NEXT) | instid1(VALU_DEP_1)
	v_subrev_nc_u32_e32 v21, 29, v19
	v_dual_lshlrev_b32 v10, v21, v10 :: v_dual_sub_nc_u32 v19, 30, v19
	s_delay_alu instid0(VALU_DEP_1) | instskip(NEXT) | instid1(VALU_DEP_1)
	v_dual_lshlrev_b32 v17, 24, v17 :: v_dual_bitop2_b32 v10, 3, v10 bitop3:0x40
	v_dual_cndmask_b32 v19, v22, v19 :: v_dual_cndmask_b32 v10, v11, v10
	s_delay_alu instid0(VALU_DEP_2) | instskip(NEXT) | instid1(VALU_DEP_2)
	v_and_b32_e32 v11, 0x80000000, v17
	v_lshl_add_u32 v17, v19, 23, 0x37800000
	s_delay_alu instid0(VALU_DEP_3) | instskip(NEXT) | instid1(VALU_DEP_1)
	v_lshlrev_b32_e32 v10, 21, v10
	v_or3_b32 v10, v11, v17, v10
	s_delay_alu instid0(VALU_DEP_1)
	v_cvt_f64_f32_e32 v[10:11], v10
.LBB110_2900:
	s_or_b32 exec_lo, exec_lo, s26
	s_mov_b32 s25, 0
	s_branch .LBB110_2906
.LBB110_2901:
	s_mov_b32 s25, -1
                                        ; implicit-def: $vgpr10_vgpr11
	s_branch .LBB110_2912
.LBB110_2902:
	s_or_saveexec_b32 s27, s27
	v_mov_b64_e32 v[10:11], 0x7ff8000020000000
	s_xor_b32 exec_lo, exec_lo, s27
	s_cbranch_execz .LBB110_2885
.LBB110_2903:
	v_cmp_ne_u16_e32 vcc_lo, 0, v17
	v_mov_b64_e32 v[10:11], 0
	s_and_not1_b32 s26, s26, exec_lo
	s_and_b32 s28, vcc_lo, exec_lo
	s_delay_alu instid0(SALU_CYCLE_1)
	s_or_b32 s26, s26, s28
	s_or_b32 exec_lo, exec_lo, s27
	s_and_saveexec_b32 s27, s26
	s_cbranch_execnz .LBB110_2886
	s_branch .LBB110_2887
.LBB110_2904:
	s_mov_b32 s25, -1
                                        ; implicit-def: $vgpr10_vgpr11
	s_branch .LBB110_2909
.LBB110_2905:
	s_mov_b32 s25, -1
                                        ; implicit-def: $vgpr10_vgpr11
.LBB110_2906:
	s_delay_alu instid0(SALU_CYCLE_1)
	s_and_b32 vcc_lo, exec_lo, s25
	s_cbranch_vccz .LBB110_2908
; %bb.2907:
	global_load_u8 v10, v[14:15], off
	s_wait_loadcnt 0x0
	v_lshlrev_b32_e32 v10, 24, v10
	s_delay_alu instid0(VALU_DEP_1) | instskip(NEXT) | instid1(VALU_DEP_1)
	v_and_b32_e32 v11, 0x7f000000, v10
	v_clz_i32_u32_e32 v17, v11
	v_add_nc_u32_e32 v21, 0x1000000, v11
	v_cmp_ne_u32_e32 vcc_lo, 0, v11
	s_delay_alu instid0(VALU_DEP_3) | instskip(NEXT) | instid1(VALU_DEP_1)
	v_min_u32_e32 v17, 32, v17
	v_sub_nc_u32_e64 v17, v17, 4 clamp
	s_delay_alu instid0(VALU_DEP_1) | instskip(NEXT) | instid1(VALU_DEP_1)
	v_dual_lshlrev_b32 v19, v17, v11 :: v_dual_lshlrev_b32 v17, 23, v17
	v_lshrrev_b32_e32 v19, 4, v19
	s_delay_alu instid0(VALU_DEP_1) | instskip(SKIP_1) | instid1(VALU_DEP_2)
	v_sub_nc_u32_e32 v17, v19, v17
	v_ashrrev_i32_e32 v19, 8, v21
	v_add_nc_u32_e32 v17, 0x3c000000, v17
	s_delay_alu instid0(VALU_DEP_1) | instskip(NEXT) | instid1(VALU_DEP_1)
	v_and_or_b32 v17, 0x7f800000, v19, v17
	v_cndmask_b32_e32 v11, 0, v17, vcc_lo
	s_delay_alu instid0(VALU_DEP_1) | instskip(NEXT) | instid1(VALU_DEP_1)
	v_and_or_b32 v10, 0x80000000, v10, v11
	v_cvt_f64_f32_e32 v[10:11], v10
.LBB110_2908:
	s_mov_b32 s25, 0
.LBB110_2909:
	s_delay_alu instid0(SALU_CYCLE_1)
	s_and_not1_b32 vcc_lo, exec_lo, s25
	s_cbranch_vccnz .LBB110_2911
; %bb.2910:
	global_load_u8 v10, v[14:15], off
	s_wait_loadcnt 0x0
	v_lshlrev_b32_e32 v11, 25, v10
	v_lshlrev_b16 v10, 8, v10
	s_delay_alu instid0(VALU_DEP_1) | instskip(SKIP_1) | instid1(VALU_DEP_2)
	v_and_or_b32 v19, 0x7f00, v10, 0.5
	v_bfe_i32 v10, v10, 0, 16
	v_add_f32_e32 v19, -0.5, v19
	v_lshrrev_b32_e32 v17, 4, v11
	v_cmp_gt_u32_e32 vcc_lo, 0x8000000, v11
	s_delay_alu instid0(VALU_DEP_2) | instskip(NEXT) | instid1(VALU_DEP_1)
	v_or_b32_e32 v17, 0x70000000, v17
	v_mul_f32_e32 v17, 0x7800000, v17
	s_delay_alu instid0(VALU_DEP_1) | instskip(NEXT) | instid1(VALU_DEP_1)
	v_cndmask_b32_e32 v11, v17, v19, vcc_lo
	v_and_or_b32 v10, 0x80000000, v10, v11
	s_delay_alu instid0(VALU_DEP_1)
	v_cvt_f64_f32_e32 v[10:11], v10
.LBB110_2911:
	s_mov_b32 s25, 0
	s_mov_b32 s26, -1
.LBB110_2912:
	s_and_not1_b32 vcc_lo, exec_lo, s25
	s_mov_b32 s25, 0
	s_cbranch_vccnz .LBB110_2923
; %bb.2913:
	s_cmp_gt_i32 s15, 14
	s_cbranch_scc0 .LBB110_2916
; %bb.2914:
	s_cmp_eq_u32 s15, 15
	s_cbranch_scc0 .LBB110_2919
; %bb.2915:
	global_load_u16 v10, v[14:15], off
	s_mov_b32 s24, 0
	s_mov_b32 s26, -1
	s_wait_loadcnt 0x0
	v_lshlrev_b32_e32 v10, 16, v10
	s_delay_alu instid0(VALU_DEP_1)
	v_cvt_f64_f32_e32 v[10:11], v10
	s_branch .LBB110_2921
.LBB110_2916:
	s_mov_b32 s25, -1
	s_branch .LBB110_2920
.LBB110_2917:
	s_or_saveexec_b32 s26, s26
	v_mov_b64_e32 v[10:11], 0x7ff8000020000000
	s_xor_b32 exec_lo, exec_lo, s26
	s_cbranch_execz .LBB110_2898
.LBB110_2918:
	v_cmp_ne_u16_e32 vcc_lo, 0, v17
	v_mov_b64_e32 v[10:11], 0
	s_and_not1_b32 s25, s25, exec_lo
	s_and_b32 s27, vcc_lo, exec_lo
	s_delay_alu instid0(SALU_CYCLE_1)
	s_or_b32 s25, s25, s27
	s_or_b32 exec_lo, exec_lo, s26
	s_and_saveexec_b32 s26, s25
	s_cbranch_execnz .LBB110_2899
	s_branch .LBB110_2900
.LBB110_2919:
	s_mov_b32 s24, -1
.LBB110_2920:
                                        ; implicit-def: $vgpr10_vgpr11
.LBB110_2921:
	s_and_b32 vcc_lo, exec_lo, s25
	s_mov_b32 s25, 0
	s_cbranch_vccz .LBB110_2923
; %bb.2922:
	s_cmp_lg_u32 s15, 11
	s_mov_b32 s25, -1
	s_cselect_b32 s24, -1, 0
.LBB110_2923:
	s_delay_alu instid0(SALU_CYCLE_1)
	s_and_b32 vcc_lo, exec_lo, s24
	s_cbranch_vccnz .LBB110_2988
; %bb.2924:
	s_and_not1_b32 vcc_lo, exec_lo, s25
	s_cbranch_vccnz .LBB110_2926
.LBB110_2925:
	global_load_u8 v10, v[14:15], off
	s_mov_b32 s26, -1
	s_wait_loadcnt 0x0
	v_cmp_ne_u16_e32 vcc_lo, 0, v10
	v_mov_b32_e32 v10, 0
	v_cndmask_b32_e64 v11, 0, 0x3ff00000, vcc_lo
.LBB110_2926:
	s_mov_b32 s15, 0
.LBB110_2927:
	s_delay_alu instid0(SALU_CYCLE_1)
	s_and_b32 vcc_lo, exec_lo, s15
	s_cbranch_vccz .LBB110_2976
; %bb.2928:
	s_and_b32 s15, 0xffff, s21
	s_delay_alu instid0(SALU_CYCLE_1)
	s_cmp_lt_i32 s15, 5
	s_cbranch_scc1 .LBB110_2933
; %bb.2929:
	s_cmp_lt_i32 s15, 8
	s_cbranch_scc1 .LBB110_2934
; %bb.2930:
	;; [unrolled: 3-line block ×3, first 2 shown]
	s_cmp_gt_i32 s15, 9
	s_cbranch_scc0 .LBB110_2936
; %bb.2932:
	global_load_b64 v[10:11], v[14:15], off
	s_mov_b32 s24, 0
	s_branch .LBB110_2937
.LBB110_2933:
	s_mov_b32 s24, -1
                                        ; implicit-def: $vgpr10_vgpr11
	s_branch .LBB110_2955
.LBB110_2934:
	s_mov_b32 s24, -1
                                        ; implicit-def: $vgpr10_vgpr11
	s_branch .LBB110_2943
.LBB110_2935:
	s_mov_b32 s24, -1
                                        ; implicit-def: $vgpr10_vgpr11
	s_branch .LBB110_2940
.LBB110_2936:
	s_mov_b32 s24, -1
                                        ; implicit-def: $vgpr10_vgpr11
.LBB110_2937:
	s_delay_alu instid0(SALU_CYCLE_1)
	s_and_not1_b32 vcc_lo, exec_lo, s24
	s_cbranch_vccnz .LBB110_2939
; %bb.2938:
	s_wait_loadcnt 0x0
	global_load_b32 v10, v[14:15], off
	s_wait_loadcnt 0x0
	v_cvt_f64_f32_e32 v[10:11], v10
.LBB110_2939:
	s_mov_b32 s24, 0
.LBB110_2940:
	s_delay_alu instid0(SALU_CYCLE_1)
	s_and_not1_b32 vcc_lo, exec_lo, s24
	s_cbranch_vccnz .LBB110_2942
; %bb.2941:
	s_wait_loadcnt 0x0
	global_load_b32 v10, v[14:15], off
	s_wait_loadcnt 0x0
	v_cvt_f32_f16_e32 v10, v10
	s_delay_alu instid0(VALU_DEP_1)
	v_cvt_f64_f32_e32 v[10:11], v10
.LBB110_2942:
	s_mov_b32 s24, 0
.LBB110_2943:
	s_delay_alu instid0(SALU_CYCLE_1)
	s_and_not1_b32 vcc_lo, exec_lo, s24
	s_cbranch_vccnz .LBB110_2954
; %bb.2944:
	s_cmp_lt_i32 s15, 6
	s_cbranch_scc1 .LBB110_2947
; %bb.2945:
	s_cmp_gt_i32 s15, 6
	s_cbranch_scc0 .LBB110_2948
; %bb.2946:
	s_wait_loadcnt 0x0
	global_load_b64 v[10:11], v[14:15], off
	s_mov_b32 s24, 0
	s_branch .LBB110_2949
.LBB110_2947:
	s_mov_b32 s24, -1
                                        ; implicit-def: $vgpr10_vgpr11
	s_branch .LBB110_2952
.LBB110_2948:
	s_mov_b32 s24, -1
                                        ; implicit-def: $vgpr10_vgpr11
.LBB110_2949:
	s_delay_alu instid0(SALU_CYCLE_1)
	s_and_not1_b32 vcc_lo, exec_lo, s24
	s_cbranch_vccnz .LBB110_2951
; %bb.2950:
	s_wait_loadcnt 0x0
	global_load_b32 v10, v[14:15], off
	s_wait_loadcnt 0x0
	v_cvt_f64_f32_e32 v[10:11], v10
.LBB110_2951:
	s_mov_b32 s24, 0
.LBB110_2952:
	s_delay_alu instid0(SALU_CYCLE_1)
	s_and_not1_b32 vcc_lo, exec_lo, s24
	s_cbranch_vccnz .LBB110_2954
; %bb.2953:
	s_wait_loadcnt 0x0
	global_load_u16 v10, v[14:15], off
	s_wait_loadcnt 0x0
	v_cvt_f32_f16_e32 v10, v10
	s_delay_alu instid0(VALU_DEP_1)
	v_cvt_f64_f32_e32 v[10:11], v10
.LBB110_2954:
	s_mov_b32 s24, 0
.LBB110_2955:
	s_delay_alu instid0(SALU_CYCLE_1)
	s_and_not1_b32 vcc_lo, exec_lo, s24
	s_cbranch_vccnz .LBB110_2975
; %bb.2956:
	s_cmp_lt_i32 s15, 2
	s_cbranch_scc1 .LBB110_2960
; %bb.2957:
	s_cmp_lt_i32 s15, 3
	s_cbranch_scc1 .LBB110_2961
; %bb.2958:
	s_cmp_gt_i32 s15, 3
	s_cbranch_scc0 .LBB110_2962
; %bb.2959:
	s_wait_loadcnt 0x0
	global_load_b64 v[10:11], v[14:15], off
	s_mov_b32 s24, 0
	s_wait_loadcnt 0x0
	v_cvt_f64_i32_e32 v[22:23], v11
	v_cvt_f64_u32_e32 v[10:11], v10
	s_delay_alu instid0(VALU_DEP_2) | instskip(NEXT) | instid1(VALU_DEP_1)
	v_ldexp_f64 v[22:23], v[22:23], 32
	v_add_f64_e32 v[10:11], v[22:23], v[10:11]
	s_branch .LBB110_2963
.LBB110_2960:
	s_mov_b32 s24, -1
                                        ; implicit-def: $vgpr10_vgpr11
	s_branch .LBB110_2969
.LBB110_2961:
	s_mov_b32 s24, -1
                                        ; implicit-def: $vgpr10_vgpr11
	s_branch .LBB110_2966
.LBB110_2962:
	s_mov_b32 s24, -1
                                        ; implicit-def: $vgpr10_vgpr11
.LBB110_2963:
	s_delay_alu instid0(SALU_CYCLE_1)
	s_and_not1_b32 vcc_lo, exec_lo, s24
	s_cbranch_vccnz .LBB110_2965
; %bb.2964:
	s_wait_loadcnt 0x0
	global_load_b32 v10, v[14:15], off
	s_wait_loadcnt 0x0
	v_cvt_f64_i32_e32 v[10:11], v10
.LBB110_2965:
	s_mov_b32 s24, 0
.LBB110_2966:
	s_delay_alu instid0(SALU_CYCLE_1)
	s_and_not1_b32 vcc_lo, exec_lo, s24
	s_cbranch_vccnz .LBB110_2968
; %bb.2967:
	s_wait_loadcnt 0x0
	global_load_i16 v10, v[14:15], off
	s_wait_loadcnt 0x0
	v_cvt_f64_i32_e32 v[10:11], v10
.LBB110_2968:
	s_mov_b32 s24, 0
.LBB110_2969:
	s_delay_alu instid0(SALU_CYCLE_1)
	s_and_not1_b32 vcc_lo, exec_lo, s24
	s_cbranch_vccnz .LBB110_2975
; %bb.2970:
	s_cmp_gt_i32 s15, 0
	s_mov_b32 s15, 0
	s_cbranch_scc0 .LBB110_2972
; %bb.2971:
	s_wait_loadcnt 0x0
	global_load_i8 v10, v[14:15], off
	s_wait_loadcnt 0x0
	v_cvt_f64_i32_e32 v[10:11], v10
	s_branch .LBB110_2973
.LBB110_2972:
	s_mov_b32 s15, -1
                                        ; implicit-def: $vgpr10_vgpr11
.LBB110_2973:
	s_delay_alu instid0(SALU_CYCLE_1)
	s_and_not1_b32 vcc_lo, exec_lo, s15
	s_cbranch_vccnz .LBB110_2975
; %bb.2974:
	s_wait_loadcnt 0x0
	global_load_u8 v10, v[14:15], off
	s_wait_loadcnt 0x0
	v_cvt_f64_u32_e32 v[10:11], v10
.LBB110_2975:
	s_mov_b32 s26, -1
.LBB110_2976:
	s_delay_alu instid0(SALU_CYCLE_1)
	s_and_not1_b32 vcc_lo, exec_lo, s26
	s_cbranch_vccnz .LBB110_4065
; %bb.2977:
	v_add_nc_u32_e32 v22, s13, v16
	s_cmp_lt_i32 s3, 11
	s_delay_alu instid0(VALU_DEP_1) | instskip(NEXT) | instid1(VALU_DEP_1)
	v_ashrrev_i32_e32 v23, 31, v22
	v_add_nc_u64_e32 v[16:17], s[8:9], v[22:23]
	s_cbranch_scc1 .LBB110_2984
; %bb.2978:
	s_and_b32 s15, 0xffff, s3
	s_mov_b32 s25, 0
	s_cmp_gt_i32 s15, 25
	s_cbranch_scc0 .LBB110_2985
; %bb.2979:
	s_cmp_gt_i32 s15, 28
	s_cbranch_scc0 .LBB110_2986
; %bb.2980:
	;; [unrolled: 3-line block ×4, first 2 shown]
	s_cmp_eq_u32 s15, 46
	s_mov_b32 s27, 0
	s_cbranch_scc0 .LBB110_2990
; %bb.2983:
	global_load_b32 v14, v[16:17], off
	s_mov_b32 s24, 0
	s_mov_b32 s26, -1
	s_wait_loadcnt 0x0
	v_lshlrev_b32_e32 v14, 16, v14
	s_delay_alu instid0(VALU_DEP_1)
	v_cvt_f64_f32_e32 v[14:15], v14
	s_branch .LBB110_2992
.LBB110_2984:
	s_mov_b32 s15, -1
	s_mov_b32 s26, 0
                                        ; implicit-def: $vgpr14_vgpr15
	s_branch .LBB110_3058
.LBB110_2985:
	s_mov_b32 s27, -1
	s_mov_b32 s26, 0
	s_mov_b32 s24, 0
                                        ; implicit-def: $vgpr14_vgpr15
	s_branch .LBB110_3021
.LBB110_2986:
	s_mov_b32 s27, -1
	s_mov_b32 s26, 0
	s_mov_b32 s24, 0
                                        ; implicit-def: $vgpr14_vgpr15
	s_branch .LBB110_3002
.LBB110_2987:
	s_mov_b32 s27, -1
	s_mov_b32 s26, 0
	s_mov_b32 s24, 0
                                        ; implicit-def: $vgpr14_vgpr15
	s_branch .LBB110_2997
.LBB110_2988:
	s_or_b32 s20, s20, exec_lo
	s_trap 2
	s_cbranch_execz .LBB110_2925
	s_branch .LBB110_2926
.LBB110_2989:
	s_mov_b32 s27, -1
	s_mov_b32 s26, 0
	s_mov_b32 s24, 0
	s_branch .LBB110_2991
.LBB110_2990:
	s_mov_b32 s24, -1
	s_mov_b32 s26, 0
.LBB110_2991:
                                        ; implicit-def: $vgpr14_vgpr15
.LBB110_2992:
	s_and_b32 vcc_lo, exec_lo, s27
	s_cbranch_vccz .LBB110_2996
; %bb.2993:
	s_cmp_eq_u32 s15, 44
	s_cbranch_scc0 .LBB110_2995
; %bb.2994:
	global_load_u8 v19, v[16:17], off
	s_mov_b32 s24, 0
	s_mov_b32 s26, -1
	s_wait_loadcnt 0x0
	s_wait_xcnt 0x1
	v_lshlrev_b32_e32 v14, 23, v19
	v_cmp_ne_u32_e32 vcc_lo, 0xff, v19
	s_delay_alu instid0(VALU_DEP_2) | instskip(NEXT) | instid1(VALU_DEP_1)
	v_cvt_f64_f32_e32 v[14:15], v14
	v_cndmask_b32_e32 v14, 0x20000000, v14, vcc_lo
	s_delay_alu instid0(VALU_DEP_2) | instskip(SKIP_1) | instid1(VALU_DEP_2)
	v_cndmask_b32_e32 v15, 0x7ff80000, v15, vcc_lo
	v_cmp_ne_u32_e32 vcc_lo, 0, v19
	v_cndmask_b32_e32 v15, 0x38000000, v15, vcc_lo
	s_delay_alu instid0(VALU_DEP_4)
	v_cndmask_b32_e32 v14, 0, v14, vcc_lo
	s_branch .LBB110_2996
.LBB110_2995:
	s_mov_b32 s24, -1
                                        ; implicit-def: $vgpr14_vgpr15
.LBB110_2996:
	s_mov_b32 s27, 0
.LBB110_2997:
	s_delay_alu instid0(SALU_CYCLE_1)
	s_and_b32 vcc_lo, exec_lo, s27
	s_cbranch_vccz .LBB110_3001
; %bb.2998:
	s_cmp_eq_u32 s15, 29
	s_cbranch_scc0 .LBB110_3000
; %bb.2999:
	global_load_b64 v[14:15], v[16:17], off
	s_mov_b32 s24, 0
	s_mov_b32 s26, -1
	s_mov_b32 s27, 0
	s_wait_loadcnt 0x0
	v_cvt_f64_u32_e32 v[24:25], v15
	v_cvt_f64_u32_e32 v[14:15], v14
	s_delay_alu instid0(VALU_DEP_2) | instskip(NEXT) | instid1(VALU_DEP_1)
	v_ldexp_f64 v[24:25], v[24:25], 32
	v_add_f64_e32 v[14:15], v[24:25], v[14:15]
	s_branch .LBB110_3002
.LBB110_3000:
	s_mov_b32 s24, -1
                                        ; implicit-def: $vgpr14_vgpr15
.LBB110_3001:
	s_mov_b32 s27, 0
.LBB110_3002:
	s_delay_alu instid0(SALU_CYCLE_1)
	s_and_b32 vcc_lo, exec_lo, s27
	s_cbranch_vccz .LBB110_3020
; %bb.3003:
	s_cmp_lt_i32 s15, 27
	s_cbranch_scc1 .LBB110_3006
; %bb.3004:
	s_cmp_gt_i32 s15, 27
	s_cbranch_scc0 .LBB110_3007
; %bb.3005:
	global_load_b32 v14, v[16:17], off
	s_mov_b32 s26, 0
	s_wait_loadcnt 0x0
	v_cvt_f64_u32_e32 v[14:15], v14
	s_branch .LBB110_3008
.LBB110_3006:
	s_mov_b32 s26, -1
                                        ; implicit-def: $vgpr14_vgpr15
	s_branch .LBB110_3011
.LBB110_3007:
	s_mov_b32 s26, -1
                                        ; implicit-def: $vgpr14_vgpr15
.LBB110_3008:
	s_delay_alu instid0(SALU_CYCLE_1)
	s_and_not1_b32 vcc_lo, exec_lo, s26
	s_cbranch_vccnz .LBB110_3010
; %bb.3009:
	global_load_u16 v14, v[16:17], off
	s_wait_loadcnt 0x0
	v_cvt_f64_u32_e32 v[14:15], v14
.LBB110_3010:
	s_mov_b32 s26, 0
.LBB110_3011:
	s_delay_alu instid0(SALU_CYCLE_1)
	s_and_not1_b32 vcc_lo, exec_lo, s26
	s_cbranch_vccnz .LBB110_3019
; %bb.3012:
	global_load_u8 v19, v[16:17], off
	s_mov_b32 s26, 0
	s_mov_b32 s27, exec_lo
	s_wait_loadcnt 0x0
	v_cmpx_lt_i16_e32 0x7f, v19
	s_xor_b32 s27, exec_lo, s27
	s_cbranch_execz .LBB110_3033
; %bb.3013:
	s_mov_b32 s26, -1
	s_mov_b32 s28, exec_lo
	v_cmpx_eq_u16_e32 0x80, v19
; %bb.3014:
	s_xor_b32 s26, exec_lo, -1
; %bb.3015:
	s_or_b32 exec_lo, exec_lo, s28
	s_delay_alu instid0(SALU_CYCLE_1)
	s_and_b32 s26, s26, exec_lo
	s_or_saveexec_b32 s27, s27
	v_mov_b64_e32 v[14:15], 0x7ff8000020000000
	s_xor_b32 exec_lo, exec_lo, s27
	s_cbranch_execnz .LBB110_3034
.LBB110_3016:
	s_or_b32 exec_lo, exec_lo, s27
	s_and_saveexec_b32 s27, s26
	s_cbranch_execz .LBB110_3018
.LBB110_3017:
	v_and_b32_e32 v14, 0xffff, v19
	s_delay_alu instid0(VALU_DEP_1) | instskip(SKIP_1) | instid1(VALU_DEP_2)
	v_and_b32_e32 v15, 7, v14
	v_bfe_u32 v24, v14, 3, 4
	v_clz_i32_u32_e32 v21, v15
	s_delay_alu instid0(VALU_DEP_2) | instskip(NEXT) | instid1(VALU_DEP_2)
	v_cmp_eq_u32_e32 vcc_lo, 0, v24
	v_min_u32_e32 v21, 32, v21
	s_delay_alu instid0(VALU_DEP_1) | instskip(NEXT) | instid1(VALU_DEP_1)
	v_subrev_nc_u32_e32 v23, 28, v21
	v_dual_lshlrev_b32 v14, v23, v14 :: v_dual_sub_nc_u32 v21, 29, v21
	s_delay_alu instid0(VALU_DEP_1) | instskip(NEXT) | instid1(VALU_DEP_1)
	v_dual_lshlrev_b32 v19, 24, v19 :: v_dual_bitop2_b32 v14, 7, v14 bitop3:0x40
	v_dual_cndmask_b32 v21, v24, v21 :: v_dual_cndmask_b32 v14, v15, v14
	s_delay_alu instid0(VALU_DEP_2) | instskip(NEXT) | instid1(VALU_DEP_2)
	v_and_b32_e32 v15, 0x80000000, v19
	v_lshl_add_u32 v19, v21, 23, 0x3b800000
	s_delay_alu instid0(VALU_DEP_3) | instskip(NEXT) | instid1(VALU_DEP_1)
	v_lshlrev_b32_e32 v14, 20, v14
	v_or3_b32 v14, v15, v19, v14
	s_delay_alu instid0(VALU_DEP_1)
	v_cvt_f64_f32_e32 v[14:15], v14
.LBB110_3018:
	s_or_b32 exec_lo, exec_lo, s27
.LBB110_3019:
	s_mov_b32 s26, -1
.LBB110_3020:
	s_mov_b32 s27, 0
.LBB110_3021:
	s_delay_alu instid0(SALU_CYCLE_1)
	s_and_b32 vcc_lo, exec_lo, s27
	s_cbranch_vccz .LBB110_3054
; %bb.3022:
	s_cmp_gt_i32 s15, 22
	s_cbranch_scc0 .LBB110_3032
; %bb.3023:
	s_cmp_lt_i32 s15, 24
	s_cbranch_scc1 .LBB110_3035
; %bb.3024:
	s_cmp_gt_i32 s15, 24
	s_cbranch_scc0 .LBB110_3036
; %bb.3025:
	global_load_u8 v19, v[16:17], off
	s_mov_b32 s26, exec_lo
	s_wait_loadcnt 0x0
	v_cmpx_lt_i16_e32 0x7f, v19
	s_xor_b32 s26, exec_lo, s26
	s_cbranch_execz .LBB110_3048
; %bb.3026:
	s_mov_b32 s25, -1
	s_mov_b32 s27, exec_lo
	v_cmpx_eq_u16_e32 0x80, v19
; %bb.3027:
	s_xor_b32 s25, exec_lo, -1
; %bb.3028:
	s_or_b32 exec_lo, exec_lo, s27
	s_delay_alu instid0(SALU_CYCLE_1)
	s_and_b32 s25, s25, exec_lo
	s_or_saveexec_b32 s26, s26
	v_mov_b64_e32 v[14:15], 0x7ff8000020000000
	s_xor_b32 exec_lo, exec_lo, s26
	s_cbranch_execnz .LBB110_3049
.LBB110_3029:
	s_or_b32 exec_lo, exec_lo, s26
	s_and_saveexec_b32 s26, s25
	s_cbranch_execz .LBB110_3031
.LBB110_3030:
	v_and_b32_e32 v14, 0xffff, v19
	s_delay_alu instid0(VALU_DEP_1) | instskip(SKIP_1) | instid1(VALU_DEP_2)
	v_and_b32_e32 v15, 3, v14
	v_bfe_u32 v24, v14, 2, 5
	v_clz_i32_u32_e32 v21, v15
	s_delay_alu instid0(VALU_DEP_2) | instskip(NEXT) | instid1(VALU_DEP_2)
	v_cmp_eq_u32_e32 vcc_lo, 0, v24
	v_min_u32_e32 v21, 32, v21
	s_delay_alu instid0(VALU_DEP_1) | instskip(NEXT) | instid1(VALU_DEP_1)
	v_subrev_nc_u32_e32 v23, 29, v21
	v_dual_lshlrev_b32 v14, v23, v14 :: v_dual_sub_nc_u32 v21, 30, v21
	s_delay_alu instid0(VALU_DEP_1) | instskip(NEXT) | instid1(VALU_DEP_1)
	v_dual_lshlrev_b32 v19, 24, v19 :: v_dual_bitop2_b32 v14, 3, v14 bitop3:0x40
	v_dual_cndmask_b32 v21, v24, v21 :: v_dual_cndmask_b32 v14, v15, v14
	s_delay_alu instid0(VALU_DEP_2) | instskip(NEXT) | instid1(VALU_DEP_2)
	v_and_b32_e32 v15, 0x80000000, v19
	v_lshl_add_u32 v19, v21, 23, 0x37800000
	s_delay_alu instid0(VALU_DEP_3) | instskip(NEXT) | instid1(VALU_DEP_1)
	v_lshlrev_b32_e32 v14, 21, v14
	v_or3_b32 v14, v15, v19, v14
	s_delay_alu instid0(VALU_DEP_1)
	v_cvt_f64_f32_e32 v[14:15], v14
.LBB110_3031:
	s_or_b32 exec_lo, exec_lo, s26
	s_mov_b32 s25, 0
	s_branch .LBB110_3037
.LBB110_3032:
	s_mov_b32 s25, -1
                                        ; implicit-def: $vgpr14_vgpr15
	s_branch .LBB110_3043
.LBB110_3033:
	s_or_saveexec_b32 s27, s27
	v_mov_b64_e32 v[14:15], 0x7ff8000020000000
	s_xor_b32 exec_lo, exec_lo, s27
	s_cbranch_execz .LBB110_3016
.LBB110_3034:
	v_cmp_ne_u16_e32 vcc_lo, 0, v19
	v_mov_b64_e32 v[14:15], 0
	s_and_not1_b32 s26, s26, exec_lo
	s_and_b32 s28, vcc_lo, exec_lo
	s_delay_alu instid0(SALU_CYCLE_1)
	s_or_b32 s26, s26, s28
	s_or_b32 exec_lo, exec_lo, s27
	s_and_saveexec_b32 s27, s26
	s_cbranch_execnz .LBB110_3017
	s_branch .LBB110_3018
.LBB110_3035:
	s_mov_b32 s25, -1
                                        ; implicit-def: $vgpr14_vgpr15
	s_branch .LBB110_3040
.LBB110_3036:
	s_mov_b32 s25, -1
                                        ; implicit-def: $vgpr14_vgpr15
.LBB110_3037:
	s_delay_alu instid0(SALU_CYCLE_1)
	s_and_b32 vcc_lo, exec_lo, s25
	s_cbranch_vccz .LBB110_3039
; %bb.3038:
	global_load_u8 v14, v[16:17], off
	s_wait_loadcnt 0x0
	v_lshlrev_b32_e32 v14, 24, v14
	s_delay_alu instid0(VALU_DEP_1) | instskip(NEXT) | instid1(VALU_DEP_1)
	v_and_b32_e32 v15, 0x7f000000, v14
	v_clz_i32_u32_e32 v19, v15
	v_add_nc_u32_e32 v23, 0x1000000, v15
	v_cmp_ne_u32_e32 vcc_lo, 0, v15
	s_delay_alu instid0(VALU_DEP_3) | instskip(NEXT) | instid1(VALU_DEP_1)
	v_min_u32_e32 v19, 32, v19
	v_sub_nc_u32_e64 v19, v19, 4 clamp
	s_delay_alu instid0(VALU_DEP_1) | instskip(NEXT) | instid1(VALU_DEP_1)
	v_lshlrev_b32_e32 v21, v19, v15
	v_dual_lshlrev_b32 v19, 23, v19 :: v_dual_lshrrev_b32 v21, 4, v21
	s_delay_alu instid0(VALU_DEP_1) | instskip(SKIP_1) | instid1(VALU_DEP_2)
	v_sub_nc_u32_e32 v19, v21, v19
	v_ashrrev_i32_e32 v21, 8, v23
	v_add_nc_u32_e32 v19, 0x3c000000, v19
	s_delay_alu instid0(VALU_DEP_1) | instskip(NEXT) | instid1(VALU_DEP_1)
	v_and_or_b32 v19, 0x7f800000, v21, v19
	v_cndmask_b32_e32 v15, 0, v19, vcc_lo
	s_delay_alu instid0(VALU_DEP_1) | instskip(NEXT) | instid1(VALU_DEP_1)
	v_and_or_b32 v14, 0x80000000, v14, v15
	v_cvt_f64_f32_e32 v[14:15], v14
.LBB110_3039:
	s_mov_b32 s25, 0
.LBB110_3040:
	s_delay_alu instid0(SALU_CYCLE_1)
	s_and_not1_b32 vcc_lo, exec_lo, s25
	s_cbranch_vccnz .LBB110_3042
; %bb.3041:
	global_load_u8 v14, v[16:17], off
	s_wait_loadcnt 0x0
	v_lshlrev_b32_e32 v15, 25, v14
	v_lshlrev_b16 v14, 8, v14
	s_delay_alu instid0(VALU_DEP_1) | instskip(SKIP_1) | instid1(VALU_DEP_2)
	v_and_or_b32 v21, 0x7f00, v14, 0.5
	v_bfe_i32 v14, v14, 0, 16
	v_dual_add_f32 v21, -0.5, v21 :: v_dual_lshrrev_b32 v19, 4, v15
	v_cmp_gt_u32_e32 vcc_lo, 0x8000000, v15
	s_delay_alu instid0(VALU_DEP_2) | instskip(NEXT) | instid1(VALU_DEP_1)
	v_or_b32_e32 v19, 0x70000000, v19
	v_mul_f32_e32 v19, 0x7800000, v19
	s_delay_alu instid0(VALU_DEP_1) | instskip(NEXT) | instid1(VALU_DEP_1)
	v_cndmask_b32_e32 v15, v19, v21, vcc_lo
	v_and_or_b32 v14, 0x80000000, v14, v15
	s_delay_alu instid0(VALU_DEP_1)
	v_cvt_f64_f32_e32 v[14:15], v14
.LBB110_3042:
	s_mov_b32 s25, 0
	s_mov_b32 s26, -1
.LBB110_3043:
	s_and_not1_b32 vcc_lo, exec_lo, s25
	s_mov_b32 s25, 0
	s_cbranch_vccnz .LBB110_3054
; %bb.3044:
	s_cmp_gt_i32 s15, 14
	s_cbranch_scc0 .LBB110_3047
; %bb.3045:
	s_cmp_eq_u32 s15, 15
	s_cbranch_scc0 .LBB110_3050
; %bb.3046:
	global_load_u16 v14, v[16:17], off
	s_mov_b32 s24, 0
	s_mov_b32 s26, -1
	s_wait_loadcnt 0x0
	v_lshlrev_b32_e32 v14, 16, v14
	s_delay_alu instid0(VALU_DEP_1)
	v_cvt_f64_f32_e32 v[14:15], v14
	s_branch .LBB110_3052
.LBB110_3047:
	s_mov_b32 s25, -1
	s_branch .LBB110_3051
.LBB110_3048:
	s_or_saveexec_b32 s26, s26
	v_mov_b64_e32 v[14:15], 0x7ff8000020000000
	s_xor_b32 exec_lo, exec_lo, s26
	s_cbranch_execz .LBB110_3029
.LBB110_3049:
	v_cmp_ne_u16_e32 vcc_lo, 0, v19
	v_mov_b64_e32 v[14:15], 0
	s_and_not1_b32 s25, s25, exec_lo
	s_and_b32 s27, vcc_lo, exec_lo
	s_delay_alu instid0(SALU_CYCLE_1)
	s_or_b32 s25, s25, s27
	s_or_b32 exec_lo, exec_lo, s26
	s_and_saveexec_b32 s26, s25
	s_cbranch_execnz .LBB110_3030
	s_branch .LBB110_3031
.LBB110_3050:
	s_mov_b32 s24, -1
.LBB110_3051:
                                        ; implicit-def: $vgpr14_vgpr15
.LBB110_3052:
	s_and_b32 vcc_lo, exec_lo, s25
	s_mov_b32 s25, 0
	s_cbranch_vccz .LBB110_3054
; %bb.3053:
	s_cmp_lg_u32 s15, 11
	s_mov_b32 s25, -1
	s_cselect_b32 s24, -1, 0
.LBB110_3054:
	s_delay_alu instid0(SALU_CYCLE_1)
	s_and_b32 vcc_lo, exec_lo, s24
	s_cbranch_vccnz .LBB110_3119
; %bb.3055:
	s_and_not1_b32 vcc_lo, exec_lo, s25
	s_cbranch_vccnz .LBB110_3057
.LBB110_3056:
	global_load_u8 v14, v[16:17], off
	s_mov_b32 s26, -1
	s_wait_loadcnt 0x0
	v_cmp_ne_u16_e32 vcc_lo, 0, v14
	v_mov_b32_e32 v14, 0
	v_cndmask_b32_e64 v15, 0, 0x3ff00000, vcc_lo
.LBB110_3057:
	s_mov_b32 s15, 0
.LBB110_3058:
	s_delay_alu instid0(SALU_CYCLE_1)
	s_and_b32 vcc_lo, exec_lo, s15
	s_cbranch_vccz .LBB110_3107
; %bb.3059:
	s_and_b32 s15, 0xffff, s3
	s_delay_alu instid0(SALU_CYCLE_1)
	s_cmp_lt_i32 s15, 5
	s_cbranch_scc1 .LBB110_3064
; %bb.3060:
	s_cmp_lt_i32 s15, 8
	s_cbranch_scc1 .LBB110_3065
; %bb.3061:
	;; [unrolled: 3-line block ×3, first 2 shown]
	s_cmp_gt_i32 s15, 9
	s_cbranch_scc0 .LBB110_3067
; %bb.3063:
	global_load_b64 v[14:15], v[16:17], off
	s_mov_b32 s24, 0
	s_branch .LBB110_3068
.LBB110_3064:
	s_mov_b32 s24, -1
                                        ; implicit-def: $vgpr14_vgpr15
	s_branch .LBB110_3086
.LBB110_3065:
	s_mov_b32 s24, -1
                                        ; implicit-def: $vgpr14_vgpr15
	s_branch .LBB110_3074
.LBB110_3066:
	s_mov_b32 s24, -1
                                        ; implicit-def: $vgpr14_vgpr15
	s_branch .LBB110_3071
.LBB110_3067:
	s_mov_b32 s24, -1
                                        ; implicit-def: $vgpr14_vgpr15
.LBB110_3068:
	s_delay_alu instid0(SALU_CYCLE_1)
	s_and_not1_b32 vcc_lo, exec_lo, s24
	s_cbranch_vccnz .LBB110_3070
; %bb.3069:
	s_wait_loadcnt 0x0
	global_load_b32 v14, v[16:17], off
	s_wait_loadcnt 0x0
	v_cvt_f64_f32_e32 v[14:15], v14
.LBB110_3070:
	s_mov_b32 s24, 0
.LBB110_3071:
	s_delay_alu instid0(SALU_CYCLE_1)
	s_and_not1_b32 vcc_lo, exec_lo, s24
	s_cbranch_vccnz .LBB110_3073
; %bb.3072:
	s_wait_loadcnt 0x0
	global_load_b32 v14, v[16:17], off
	s_wait_loadcnt 0x0
	v_cvt_f32_f16_e32 v14, v14
	s_delay_alu instid0(VALU_DEP_1)
	v_cvt_f64_f32_e32 v[14:15], v14
.LBB110_3073:
	s_mov_b32 s24, 0
.LBB110_3074:
	s_delay_alu instid0(SALU_CYCLE_1)
	s_and_not1_b32 vcc_lo, exec_lo, s24
	s_cbranch_vccnz .LBB110_3085
; %bb.3075:
	s_cmp_lt_i32 s15, 6
	s_cbranch_scc1 .LBB110_3078
; %bb.3076:
	s_cmp_gt_i32 s15, 6
	s_cbranch_scc0 .LBB110_3079
; %bb.3077:
	s_wait_loadcnt 0x0
	global_load_b64 v[14:15], v[16:17], off
	s_mov_b32 s24, 0
	s_branch .LBB110_3080
.LBB110_3078:
	s_mov_b32 s24, -1
                                        ; implicit-def: $vgpr14_vgpr15
	s_branch .LBB110_3083
.LBB110_3079:
	s_mov_b32 s24, -1
                                        ; implicit-def: $vgpr14_vgpr15
.LBB110_3080:
	s_delay_alu instid0(SALU_CYCLE_1)
	s_and_not1_b32 vcc_lo, exec_lo, s24
	s_cbranch_vccnz .LBB110_3082
; %bb.3081:
	s_wait_loadcnt 0x0
	global_load_b32 v14, v[16:17], off
	s_wait_loadcnt 0x0
	v_cvt_f64_f32_e32 v[14:15], v14
.LBB110_3082:
	s_mov_b32 s24, 0
.LBB110_3083:
	s_delay_alu instid0(SALU_CYCLE_1)
	s_and_not1_b32 vcc_lo, exec_lo, s24
	s_cbranch_vccnz .LBB110_3085
; %bb.3084:
	s_wait_loadcnt 0x0
	global_load_u16 v14, v[16:17], off
	s_wait_loadcnt 0x0
	v_cvt_f32_f16_e32 v14, v14
	s_delay_alu instid0(VALU_DEP_1)
	v_cvt_f64_f32_e32 v[14:15], v14
.LBB110_3085:
	s_mov_b32 s24, 0
.LBB110_3086:
	s_delay_alu instid0(SALU_CYCLE_1)
	s_and_not1_b32 vcc_lo, exec_lo, s24
	s_cbranch_vccnz .LBB110_3106
; %bb.3087:
	s_cmp_lt_i32 s15, 2
	s_cbranch_scc1 .LBB110_3091
; %bb.3088:
	s_cmp_lt_i32 s15, 3
	s_cbranch_scc1 .LBB110_3092
; %bb.3089:
	s_cmp_gt_i32 s15, 3
	s_cbranch_scc0 .LBB110_3093
; %bb.3090:
	s_wait_loadcnt 0x0
	global_load_b64 v[14:15], v[16:17], off
	s_mov_b32 s24, 0
	s_wait_loadcnt 0x0
	v_cvt_f64_i32_e32 v[24:25], v15
	v_cvt_f64_u32_e32 v[14:15], v14
	s_delay_alu instid0(VALU_DEP_2) | instskip(NEXT) | instid1(VALU_DEP_1)
	v_ldexp_f64 v[24:25], v[24:25], 32
	v_add_f64_e32 v[14:15], v[24:25], v[14:15]
	s_branch .LBB110_3094
.LBB110_3091:
	s_mov_b32 s24, -1
                                        ; implicit-def: $vgpr14_vgpr15
	s_branch .LBB110_3100
.LBB110_3092:
	s_mov_b32 s24, -1
                                        ; implicit-def: $vgpr14_vgpr15
	s_branch .LBB110_3097
.LBB110_3093:
	s_mov_b32 s24, -1
                                        ; implicit-def: $vgpr14_vgpr15
.LBB110_3094:
	s_delay_alu instid0(SALU_CYCLE_1)
	s_and_not1_b32 vcc_lo, exec_lo, s24
	s_cbranch_vccnz .LBB110_3096
; %bb.3095:
	s_wait_loadcnt 0x0
	global_load_b32 v14, v[16:17], off
	s_wait_loadcnt 0x0
	v_cvt_f64_i32_e32 v[14:15], v14
.LBB110_3096:
	s_mov_b32 s24, 0
.LBB110_3097:
	s_delay_alu instid0(SALU_CYCLE_1)
	s_and_not1_b32 vcc_lo, exec_lo, s24
	s_cbranch_vccnz .LBB110_3099
; %bb.3098:
	s_wait_loadcnt 0x0
	global_load_i16 v14, v[16:17], off
	s_wait_loadcnt 0x0
	v_cvt_f64_i32_e32 v[14:15], v14
.LBB110_3099:
	s_mov_b32 s24, 0
.LBB110_3100:
	s_delay_alu instid0(SALU_CYCLE_1)
	s_and_not1_b32 vcc_lo, exec_lo, s24
	s_cbranch_vccnz .LBB110_3106
; %bb.3101:
	s_cmp_gt_i32 s15, 0
	s_mov_b32 s15, 0
	s_cbranch_scc0 .LBB110_3103
; %bb.3102:
	s_wait_loadcnt 0x0
	global_load_i8 v14, v[16:17], off
	s_wait_loadcnt 0x0
	v_cvt_f64_i32_e32 v[14:15], v14
	s_branch .LBB110_3104
.LBB110_3103:
	s_mov_b32 s15, -1
                                        ; implicit-def: $vgpr14_vgpr15
.LBB110_3104:
	s_delay_alu instid0(SALU_CYCLE_1)
	s_and_not1_b32 vcc_lo, exec_lo, s15
	s_cbranch_vccnz .LBB110_3106
; %bb.3105:
	s_wait_loadcnt 0x0
	global_load_u8 v14, v[16:17], off
	s_wait_loadcnt 0x0
	v_cvt_f64_u32_e32 v[14:15], v14
.LBB110_3106:
	s_mov_b32 s26, -1
.LBB110_3107:
	s_delay_alu instid0(SALU_CYCLE_1)
	s_and_not1_b32 vcc_lo, exec_lo, s26
	s_cbranch_vccnz .LBB110_4065
; %bb.3108:
	v_add_nc_u32_e32 v24, s14, v18
	s_cmp_lt_i32 s0, 11
	s_delay_alu instid0(VALU_DEP_1) | instskip(SKIP_1) | instid1(VALU_DEP_1)
	v_ashrrev_i32_e32 v25, 31, v24
	s_wait_xcnt 0x0
	v_add_nc_u64_e32 v[16:17], s[10:11], v[24:25]
	s_cbranch_scc1 .LBB110_3115
; %bb.3109:
	s_cmp_gt_i32 s0, 25
	s_mov_b32 s24, 0
	s_cbranch_scc0 .LBB110_3116
; %bb.3110:
	s_cmp_gt_i32 s0, 28
	s_cbranch_scc0 .LBB110_3117
; %bb.3111:
	s_cmp_gt_i32 s0, 43
	;; [unrolled: 3-line block ×3, first 2 shown]
	s_cbranch_scc0 .LBB110_3120
; %bb.3113:
	s_cmp_eq_u32 s0, 46
	s_mov_b32 s26, 0
	s_cbranch_scc0 .LBB110_3121
; %bb.3114:
	global_load_b32 v18, v[16:17], off
	s_mov_b32 s15, 0
	s_mov_b32 s25, -1
	s_wait_loadcnt 0x0
	v_lshlrev_b32_e32 v18, 16, v18
	s_delay_alu instid0(VALU_DEP_1)
	v_cvt_f64_f32_e32 v[18:19], v18
	s_branch .LBB110_3123
.LBB110_3115:
	s_mov_b32 s15, -1
	s_mov_b32 s25, 0
                                        ; implicit-def: $vgpr18_vgpr19
	s_branch .LBB110_3189
.LBB110_3116:
	s_mov_b32 s26, -1
	s_mov_b32 s25, 0
	s_mov_b32 s15, 0
                                        ; implicit-def: $vgpr18_vgpr19
	s_branch .LBB110_3152
.LBB110_3117:
	s_mov_b32 s26, -1
	s_mov_b32 s25, 0
	s_mov_b32 s15, 0
                                        ; implicit-def: $vgpr18_vgpr19
	s_branch .LBB110_3133
.LBB110_3118:
	s_mov_b32 s26, -1
	s_mov_b32 s25, 0
	s_mov_b32 s15, 0
                                        ; implicit-def: $vgpr18_vgpr19
	s_branch .LBB110_3128
.LBB110_3119:
	s_or_b32 s20, s20, exec_lo
	s_trap 2
	s_cbranch_execz .LBB110_3056
	s_branch .LBB110_3057
.LBB110_3120:
	s_mov_b32 s26, -1
	s_mov_b32 s25, 0
	s_mov_b32 s15, 0
	s_branch .LBB110_3122
.LBB110_3121:
	s_mov_b32 s15, -1
	s_mov_b32 s25, 0
.LBB110_3122:
                                        ; implicit-def: $vgpr18_vgpr19
.LBB110_3123:
	s_and_b32 vcc_lo, exec_lo, s26
	s_cbranch_vccz .LBB110_3127
; %bb.3124:
	s_cmp_eq_u32 s0, 44
	s_cbranch_scc0 .LBB110_3126
; %bb.3125:
	global_load_u8 v21, v[16:17], off
	s_mov_b32 s15, 0
	s_mov_b32 s25, -1
	s_wait_loadcnt 0x0
	v_cmp_ne_u32_e32 vcc_lo, 0xff, v21
	v_lshlrev_b32_e32 v18, 23, v21
	s_delay_alu instid0(VALU_DEP_1) | instskip(NEXT) | instid1(VALU_DEP_1)
	v_cvt_f64_f32_e32 v[18:19], v18
	v_cndmask_b32_e32 v18, 0x20000000, v18, vcc_lo
	s_delay_alu instid0(VALU_DEP_2) | instskip(SKIP_1) | instid1(VALU_DEP_2)
	v_cndmask_b32_e32 v19, 0x7ff80000, v19, vcc_lo
	v_cmp_ne_u32_e32 vcc_lo, 0, v21
	v_cndmask_b32_e32 v19, 0x38000000, v19, vcc_lo
	s_delay_alu instid0(VALU_DEP_4)
	v_cndmask_b32_e32 v18, 0, v18, vcc_lo
	s_branch .LBB110_3127
.LBB110_3126:
	s_mov_b32 s15, -1
                                        ; implicit-def: $vgpr18_vgpr19
.LBB110_3127:
	s_mov_b32 s26, 0
.LBB110_3128:
	s_delay_alu instid0(SALU_CYCLE_1)
	s_and_b32 vcc_lo, exec_lo, s26
	s_cbranch_vccz .LBB110_3132
; %bb.3129:
	s_cmp_eq_u32 s0, 29
	s_cbranch_scc0 .LBB110_3131
; %bb.3130:
	global_load_b64 v[18:19], v[16:17], off
	s_mov_b32 s15, 0
	s_mov_b32 s25, -1
	s_mov_b32 s26, 0
	s_wait_loadcnt 0x0
	v_cvt_f64_u32_e32 v[28:29], v19
	v_cvt_f64_u32_e32 v[18:19], v18
	s_delay_alu instid0(VALU_DEP_2) | instskip(NEXT) | instid1(VALU_DEP_1)
	v_ldexp_f64 v[28:29], v[28:29], 32
	v_add_f64_e32 v[18:19], v[28:29], v[18:19]
	s_branch .LBB110_3133
.LBB110_3131:
	s_mov_b32 s15, -1
                                        ; implicit-def: $vgpr18_vgpr19
.LBB110_3132:
	s_mov_b32 s26, 0
.LBB110_3133:
	s_delay_alu instid0(SALU_CYCLE_1)
	s_and_b32 vcc_lo, exec_lo, s26
	s_cbranch_vccz .LBB110_3151
; %bb.3134:
	s_cmp_lt_i32 s0, 27
	s_cbranch_scc1 .LBB110_3137
; %bb.3135:
	s_cmp_gt_i32 s0, 27
	s_cbranch_scc0 .LBB110_3138
; %bb.3136:
	global_load_b32 v18, v[16:17], off
	s_mov_b32 s25, 0
	s_wait_loadcnt 0x0
	v_cvt_f64_u32_e32 v[18:19], v18
	s_branch .LBB110_3139
.LBB110_3137:
	s_mov_b32 s25, -1
                                        ; implicit-def: $vgpr18_vgpr19
	s_branch .LBB110_3142
.LBB110_3138:
	s_mov_b32 s25, -1
                                        ; implicit-def: $vgpr18_vgpr19
.LBB110_3139:
	s_delay_alu instid0(SALU_CYCLE_1)
	s_and_not1_b32 vcc_lo, exec_lo, s25
	s_cbranch_vccnz .LBB110_3141
; %bb.3140:
	global_load_u16 v18, v[16:17], off
	s_wait_loadcnt 0x0
	v_cvt_f64_u32_e32 v[18:19], v18
.LBB110_3141:
	s_mov_b32 s25, 0
.LBB110_3142:
	s_delay_alu instid0(SALU_CYCLE_1)
	s_and_not1_b32 vcc_lo, exec_lo, s25
	s_cbranch_vccnz .LBB110_3150
; %bb.3143:
	global_load_u8 v21, v[16:17], off
	s_mov_b32 s25, 0
	s_mov_b32 s26, exec_lo
	s_wait_loadcnt 0x0
	v_cmpx_lt_i16_e32 0x7f, v21
	s_xor_b32 s26, exec_lo, s26
	s_cbranch_execz .LBB110_3164
; %bb.3144:
	s_mov_b32 s25, -1
	s_mov_b32 s27, exec_lo
	v_cmpx_eq_u16_e32 0x80, v21
; %bb.3145:
	s_xor_b32 s25, exec_lo, -1
; %bb.3146:
	s_or_b32 exec_lo, exec_lo, s27
	s_delay_alu instid0(SALU_CYCLE_1)
	s_and_b32 s25, s25, exec_lo
	s_or_saveexec_b32 s26, s26
	v_mov_b64_e32 v[18:19], 0x7ff8000020000000
	s_xor_b32 exec_lo, exec_lo, s26
	s_cbranch_execnz .LBB110_3165
.LBB110_3147:
	s_or_b32 exec_lo, exec_lo, s26
	s_and_saveexec_b32 s26, s25
	s_cbranch_execz .LBB110_3149
.LBB110_3148:
	v_and_b32_e32 v18, 0xffff, v21
	s_delay_alu instid0(VALU_DEP_1) | instskip(SKIP_1) | instid1(VALU_DEP_2)
	v_and_b32_e32 v19, 7, v18
	v_bfe_u32 v27, v18, 3, 4
	v_clz_i32_u32_e32 v23, v19
	s_delay_alu instid0(VALU_DEP_2) | instskip(NEXT) | instid1(VALU_DEP_2)
	v_cmp_eq_u32_e32 vcc_lo, 0, v27
	v_min_u32_e32 v23, 32, v23
	s_delay_alu instid0(VALU_DEP_1) | instskip(NEXT) | instid1(VALU_DEP_1)
	v_subrev_nc_u32_e32 v25, 28, v23
	v_dual_lshlrev_b32 v18, v25, v18 :: v_dual_sub_nc_u32 v23, 29, v23
	s_delay_alu instid0(VALU_DEP_1) | instskip(NEXT) | instid1(VALU_DEP_2)
	v_dual_lshlrev_b32 v21, 24, v21 :: v_dual_bitop2_b32 v18, 7, v18 bitop3:0x40
	v_cndmask_b32_e32 v23, v27, v23, vcc_lo
	s_delay_alu instid0(VALU_DEP_2) | instskip(NEXT) | instid1(VALU_DEP_3)
	v_cndmask_b32_e32 v18, v19, v18, vcc_lo
	v_and_b32_e32 v19, 0x80000000, v21
	s_delay_alu instid0(VALU_DEP_3) | instskip(NEXT) | instid1(VALU_DEP_3)
	v_lshl_add_u32 v21, v23, 23, 0x3b800000
	v_lshlrev_b32_e32 v18, 20, v18
	s_delay_alu instid0(VALU_DEP_1) | instskip(NEXT) | instid1(VALU_DEP_1)
	v_or3_b32 v18, v19, v21, v18
	v_cvt_f64_f32_e32 v[18:19], v18
.LBB110_3149:
	s_or_b32 exec_lo, exec_lo, s26
.LBB110_3150:
	s_mov_b32 s25, -1
.LBB110_3151:
	s_mov_b32 s26, 0
.LBB110_3152:
	s_delay_alu instid0(SALU_CYCLE_1)
	s_and_b32 vcc_lo, exec_lo, s26
	s_cbranch_vccz .LBB110_3185
; %bb.3153:
	s_cmp_gt_i32 s0, 22
	s_cbranch_scc0 .LBB110_3163
; %bb.3154:
	s_cmp_lt_i32 s0, 24
	s_cbranch_scc1 .LBB110_3166
; %bb.3155:
	s_cmp_gt_i32 s0, 24
	s_cbranch_scc0 .LBB110_3167
; %bb.3156:
	global_load_u8 v21, v[16:17], off
	s_mov_b32 s25, exec_lo
	s_wait_loadcnt 0x0
	v_cmpx_lt_i16_e32 0x7f, v21
	s_xor_b32 s25, exec_lo, s25
	s_cbranch_execz .LBB110_3179
; %bb.3157:
	s_mov_b32 s24, -1
	s_mov_b32 s26, exec_lo
	v_cmpx_eq_u16_e32 0x80, v21
; %bb.3158:
	s_xor_b32 s24, exec_lo, -1
; %bb.3159:
	s_or_b32 exec_lo, exec_lo, s26
	s_delay_alu instid0(SALU_CYCLE_1)
	s_and_b32 s24, s24, exec_lo
	s_or_saveexec_b32 s25, s25
	v_mov_b64_e32 v[18:19], 0x7ff8000020000000
	s_xor_b32 exec_lo, exec_lo, s25
	s_cbranch_execnz .LBB110_3180
.LBB110_3160:
	s_or_b32 exec_lo, exec_lo, s25
	s_and_saveexec_b32 s25, s24
	s_cbranch_execz .LBB110_3162
.LBB110_3161:
	v_and_b32_e32 v18, 0xffff, v21
	s_delay_alu instid0(VALU_DEP_1) | instskip(SKIP_1) | instid1(VALU_DEP_2)
	v_and_b32_e32 v19, 3, v18
	v_bfe_u32 v27, v18, 2, 5
	v_clz_i32_u32_e32 v23, v19
	s_delay_alu instid0(VALU_DEP_2) | instskip(NEXT) | instid1(VALU_DEP_2)
	v_cmp_eq_u32_e32 vcc_lo, 0, v27
	v_min_u32_e32 v23, 32, v23
	s_delay_alu instid0(VALU_DEP_1) | instskip(NEXT) | instid1(VALU_DEP_1)
	v_subrev_nc_u32_e32 v25, 29, v23
	v_dual_lshlrev_b32 v18, v25, v18 :: v_dual_sub_nc_u32 v23, 30, v23
	s_delay_alu instid0(VALU_DEP_1) | instskip(NEXT) | instid1(VALU_DEP_2)
	v_dual_lshlrev_b32 v21, 24, v21 :: v_dual_bitop2_b32 v18, 3, v18 bitop3:0x40
	v_cndmask_b32_e32 v23, v27, v23, vcc_lo
	s_delay_alu instid0(VALU_DEP_2) | instskip(NEXT) | instid1(VALU_DEP_3)
	v_cndmask_b32_e32 v18, v19, v18, vcc_lo
	v_and_b32_e32 v19, 0x80000000, v21
	s_delay_alu instid0(VALU_DEP_3) | instskip(NEXT) | instid1(VALU_DEP_3)
	v_lshl_add_u32 v21, v23, 23, 0x37800000
	v_lshlrev_b32_e32 v18, 21, v18
	s_delay_alu instid0(VALU_DEP_1) | instskip(NEXT) | instid1(VALU_DEP_1)
	v_or3_b32 v18, v19, v21, v18
	v_cvt_f64_f32_e32 v[18:19], v18
.LBB110_3162:
	s_or_b32 exec_lo, exec_lo, s25
	s_mov_b32 s24, 0
	s_branch .LBB110_3168
.LBB110_3163:
	s_mov_b32 s24, -1
                                        ; implicit-def: $vgpr18_vgpr19
	s_branch .LBB110_3174
.LBB110_3164:
	s_or_saveexec_b32 s26, s26
	v_mov_b64_e32 v[18:19], 0x7ff8000020000000
	s_xor_b32 exec_lo, exec_lo, s26
	s_cbranch_execz .LBB110_3147
.LBB110_3165:
	v_cmp_ne_u16_e32 vcc_lo, 0, v21
	v_mov_b64_e32 v[18:19], 0
	s_and_not1_b32 s25, s25, exec_lo
	s_and_b32 s27, vcc_lo, exec_lo
	s_delay_alu instid0(SALU_CYCLE_1)
	s_or_b32 s25, s25, s27
	s_or_b32 exec_lo, exec_lo, s26
	s_and_saveexec_b32 s26, s25
	s_cbranch_execnz .LBB110_3148
	s_branch .LBB110_3149
.LBB110_3166:
	s_mov_b32 s24, -1
                                        ; implicit-def: $vgpr18_vgpr19
	s_branch .LBB110_3171
.LBB110_3167:
	s_mov_b32 s24, -1
                                        ; implicit-def: $vgpr18_vgpr19
.LBB110_3168:
	s_delay_alu instid0(SALU_CYCLE_1)
	s_and_b32 vcc_lo, exec_lo, s24
	s_cbranch_vccz .LBB110_3170
; %bb.3169:
	global_load_u8 v18, v[16:17], off
	s_wait_loadcnt 0x0
	v_lshlrev_b32_e32 v18, 24, v18
	s_delay_alu instid0(VALU_DEP_1) | instskip(NEXT) | instid1(VALU_DEP_1)
	v_and_b32_e32 v19, 0x7f000000, v18
	v_clz_i32_u32_e32 v21, v19
	v_add_nc_u32_e32 v25, 0x1000000, v19
	v_cmp_ne_u32_e32 vcc_lo, 0, v19
	s_delay_alu instid0(VALU_DEP_3) | instskip(NEXT) | instid1(VALU_DEP_1)
	v_min_u32_e32 v21, 32, v21
	v_sub_nc_u32_e64 v21, v21, 4 clamp
	s_delay_alu instid0(VALU_DEP_1) | instskip(NEXT) | instid1(VALU_DEP_1)
	v_dual_lshlrev_b32 v23, v21, v19 :: v_dual_lshlrev_b32 v21, 23, v21
	v_lshrrev_b32_e32 v23, 4, v23
	s_delay_alu instid0(VALU_DEP_1) | instskip(SKIP_1) | instid1(VALU_DEP_2)
	v_sub_nc_u32_e32 v21, v23, v21
	v_ashrrev_i32_e32 v23, 8, v25
	v_add_nc_u32_e32 v21, 0x3c000000, v21
	s_delay_alu instid0(VALU_DEP_1) | instskip(NEXT) | instid1(VALU_DEP_1)
	v_and_or_b32 v21, 0x7f800000, v23, v21
	v_cndmask_b32_e32 v19, 0, v21, vcc_lo
	s_delay_alu instid0(VALU_DEP_1) | instskip(NEXT) | instid1(VALU_DEP_1)
	v_and_or_b32 v18, 0x80000000, v18, v19
	v_cvt_f64_f32_e32 v[18:19], v18
.LBB110_3170:
	s_mov_b32 s24, 0
.LBB110_3171:
	s_delay_alu instid0(SALU_CYCLE_1)
	s_and_not1_b32 vcc_lo, exec_lo, s24
	s_cbranch_vccnz .LBB110_3173
; %bb.3172:
	global_load_u8 v18, v[16:17], off
	s_wait_loadcnt 0x0
	v_lshlrev_b32_e32 v19, 25, v18
	v_lshlrev_b16 v18, 8, v18
	s_delay_alu instid0(VALU_DEP_1) | instskip(SKIP_1) | instid1(VALU_DEP_2)
	v_and_or_b32 v23, 0x7f00, v18, 0.5
	v_bfe_i32 v18, v18, 0, 16
	v_add_f32_e32 v23, -0.5, v23
	v_lshrrev_b32_e32 v21, 4, v19
	v_cmp_gt_u32_e32 vcc_lo, 0x8000000, v19
	s_delay_alu instid0(VALU_DEP_2) | instskip(NEXT) | instid1(VALU_DEP_1)
	v_or_b32_e32 v21, 0x70000000, v21
	v_mul_f32_e32 v21, 0x7800000, v21
	s_delay_alu instid0(VALU_DEP_1) | instskip(NEXT) | instid1(VALU_DEP_1)
	v_cndmask_b32_e32 v19, v21, v23, vcc_lo
	v_and_or_b32 v18, 0x80000000, v18, v19
	s_delay_alu instid0(VALU_DEP_1)
	v_cvt_f64_f32_e32 v[18:19], v18
.LBB110_3173:
	s_mov_b32 s24, 0
	s_mov_b32 s25, -1
.LBB110_3174:
	s_and_not1_b32 vcc_lo, exec_lo, s24
	s_mov_b32 s24, 0
	s_cbranch_vccnz .LBB110_3185
; %bb.3175:
	s_cmp_gt_i32 s0, 14
	s_cbranch_scc0 .LBB110_3178
; %bb.3176:
	s_cmp_eq_u32 s0, 15
	s_cbranch_scc0 .LBB110_3181
; %bb.3177:
	global_load_u16 v18, v[16:17], off
	s_mov_b32 s15, 0
	s_mov_b32 s25, -1
	s_wait_loadcnt 0x0
	v_lshlrev_b32_e32 v18, 16, v18
	s_delay_alu instid0(VALU_DEP_1)
	v_cvt_f64_f32_e32 v[18:19], v18
	s_branch .LBB110_3183
.LBB110_3178:
	s_mov_b32 s24, -1
	s_branch .LBB110_3182
.LBB110_3179:
	s_or_saveexec_b32 s25, s25
	v_mov_b64_e32 v[18:19], 0x7ff8000020000000
	s_xor_b32 exec_lo, exec_lo, s25
	s_cbranch_execz .LBB110_3160
.LBB110_3180:
	v_cmp_ne_u16_e32 vcc_lo, 0, v21
	v_mov_b64_e32 v[18:19], 0
	s_and_not1_b32 s24, s24, exec_lo
	s_and_b32 s26, vcc_lo, exec_lo
	s_delay_alu instid0(SALU_CYCLE_1)
	s_or_b32 s24, s24, s26
	s_or_b32 exec_lo, exec_lo, s25
	s_and_saveexec_b32 s25, s24
	s_cbranch_execnz .LBB110_3161
	s_branch .LBB110_3162
.LBB110_3181:
	s_mov_b32 s15, -1
.LBB110_3182:
                                        ; implicit-def: $vgpr18_vgpr19
.LBB110_3183:
	s_and_b32 vcc_lo, exec_lo, s24
	s_mov_b32 s24, 0
	s_cbranch_vccz .LBB110_3185
; %bb.3184:
	s_cmp_lg_u32 s0, 11
	s_mov_b32 s24, -1
	s_cselect_b32 s15, -1, 0
.LBB110_3185:
	s_delay_alu instid0(SALU_CYCLE_1)
	s_and_b32 vcc_lo, exec_lo, s15
	s_cbranch_vccnz .LBB110_3250
; %bb.3186:
	s_and_not1_b32 vcc_lo, exec_lo, s24
	s_cbranch_vccnz .LBB110_3188
.LBB110_3187:
	global_load_u8 v18, v[16:17], off
	s_mov_b32 s25, -1
	s_wait_loadcnt 0x0
	v_cmp_ne_u16_e32 vcc_lo, 0, v18
	v_mov_b32_e32 v18, 0
	v_cndmask_b32_e64 v19, 0, 0x3ff00000, vcc_lo
.LBB110_3188:
	s_mov_b32 s15, 0
.LBB110_3189:
	s_delay_alu instid0(SALU_CYCLE_1)
	s_and_b32 vcc_lo, exec_lo, s15
	s_cbranch_vccz .LBB110_3238
; %bb.3190:
	s_cmp_lt_i32 s0, 5
	s_cbranch_scc1 .LBB110_3195
; %bb.3191:
	s_cmp_lt_i32 s0, 8
	s_cbranch_scc1 .LBB110_3196
	;; [unrolled: 3-line block ×3, first 2 shown]
; %bb.3193:
	s_cmp_gt_i32 s0, 9
	s_cbranch_scc0 .LBB110_3198
; %bb.3194:
	global_load_b64 v[18:19], v[16:17], off
	s_mov_b32 s15, 0
	s_branch .LBB110_3199
.LBB110_3195:
	s_mov_b32 s15, -1
                                        ; implicit-def: $vgpr18_vgpr19
	s_branch .LBB110_3217
.LBB110_3196:
	s_mov_b32 s15, -1
                                        ; implicit-def: $vgpr18_vgpr19
	s_branch .LBB110_3205
.LBB110_3197:
	s_mov_b32 s15, -1
                                        ; implicit-def: $vgpr18_vgpr19
	s_branch .LBB110_3202
.LBB110_3198:
	s_mov_b32 s15, -1
                                        ; implicit-def: $vgpr18_vgpr19
.LBB110_3199:
	s_delay_alu instid0(SALU_CYCLE_1)
	s_and_not1_b32 vcc_lo, exec_lo, s15
	s_cbranch_vccnz .LBB110_3201
; %bb.3200:
	s_wait_loadcnt 0x0
	global_load_b32 v18, v[16:17], off
	s_wait_loadcnt 0x0
	v_cvt_f64_f32_e32 v[18:19], v18
.LBB110_3201:
	s_mov_b32 s15, 0
.LBB110_3202:
	s_delay_alu instid0(SALU_CYCLE_1)
	s_and_not1_b32 vcc_lo, exec_lo, s15
	s_cbranch_vccnz .LBB110_3204
; %bb.3203:
	s_wait_loadcnt 0x0
	global_load_b32 v18, v[16:17], off
	s_wait_loadcnt 0x0
	v_cvt_f32_f16_e32 v18, v18
	s_delay_alu instid0(VALU_DEP_1)
	v_cvt_f64_f32_e32 v[18:19], v18
.LBB110_3204:
	s_mov_b32 s15, 0
.LBB110_3205:
	s_delay_alu instid0(SALU_CYCLE_1)
	s_and_not1_b32 vcc_lo, exec_lo, s15
	s_cbranch_vccnz .LBB110_3216
; %bb.3206:
	s_cmp_lt_i32 s0, 6
	s_cbranch_scc1 .LBB110_3209
; %bb.3207:
	s_cmp_gt_i32 s0, 6
	s_cbranch_scc0 .LBB110_3210
; %bb.3208:
	s_wait_loadcnt 0x0
	global_load_b64 v[18:19], v[16:17], off
	s_mov_b32 s15, 0
	s_branch .LBB110_3211
.LBB110_3209:
	s_mov_b32 s15, -1
                                        ; implicit-def: $vgpr18_vgpr19
	s_branch .LBB110_3214
.LBB110_3210:
	s_mov_b32 s15, -1
                                        ; implicit-def: $vgpr18_vgpr19
.LBB110_3211:
	s_delay_alu instid0(SALU_CYCLE_1)
	s_and_not1_b32 vcc_lo, exec_lo, s15
	s_cbranch_vccnz .LBB110_3213
; %bb.3212:
	s_wait_loadcnt 0x0
	global_load_b32 v18, v[16:17], off
	s_wait_loadcnt 0x0
	v_cvt_f64_f32_e32 v[18:19], v18
.LBB110_3213:
	s_mov_b32 s15, 0
.LBB110_3214:
	s_delay_alu instid0(SALU_CYCLE_1)
	s_and_not1_b32 vcc_lo, exec_lo, s15
	s_cbranch_vccnz .LBB110_3216
; %bb.3215:
	s_wait_loadcnt 0x0
	global_load_u16 v18, v[16:17], off
	s_wait_loadcnt 0x0
	v_cvt_f32_f16_e32 v18, v18
	s_delay_alu instid0(VALU_DEP_1)
	v_cvt_f64_f32_e32 v[18:19], v18
.LBB110_3216:
	s_mov_b32 s15, 0
.LBB110_3217:
	s_delay_alu instid0(SALU_CYCLE_1)
	s_and_not1_b32 vcc_lo, exec_lo, s15
	s_cbranch_vccnz .LBB110_3237
; %bb.3218:
	s_cmp_lt_i32 s0, 2
	s_cbranch_scc1 .LBB110_3222
; %bb.3219:
	s_cmp_lt_i32 s0, 3
	s_cbranch_scc1 .LBB110_3223
; %bb.3220:
	s_cmp_gt_i32 s0, 3
	s_cbranch_scc0 .LBB110_3224
; %bb.3221:
	s_wait_loadcnt 0x0
	global_load_b64 v[18:19], v[16:17], off
	s_mov_b32 s15, 0
	s_wait_loadcnt 0x0
	v_cvt_f64_i32_e32 v[28:29], v19
	v_cvt_f64_u32_e32 v[18:19], v18
	s_delay_alu instid0(VALU_DEP_2) | instskip(NEXT) | instid1(VALU_DEP_1)
	v_ldexp_f64 v[28:29], v[28:29], 32
	v_add_f64_e32 v[18:19], v[28:29], v[18:19]
	s_branch .LBB110_3225
.LBB110_3222:
	s_mov_b32 s15, -1
                                        ; implicit-def: $vgpr18_vgpr19
	s_branch .LBB110_3231
.LBB110_3223:
	s_mov_b32 s15, -1
                                        ; implicit-def: $vgpr18_vgpr19
	s_branch .LBB110_3228
.LBB110_3224:
	s_mov_b32 s15, -1
                                        ; implicit-def: $vgpr18_vgpr19
.LBB110_3225:
	s_delay_alu instid0(SALU_CYCLE_1)
	s_and_not1_b32 vcc_lo, exec_lo, s15
	s_cbranch_vccnz .LBB110_3227
; %bb.3226:
	s_wait_loadcnt 0x0
	global_load_b32 v18, v[16:17], off
	s_wait_loadcnt 0x0
	v_cvt_f64_i32_e32 v[18:19], v18
.LBB110_3227:
	s_mov_b32 s15, 0
.LBB110_3228:
	s_delay_alu instid0(SALU_CYCLE_1)
	s_and_not1_b32 vcc_lo, exec_lo, s15
	s_cbranch_vccnz .LBB110_3230
; %bb.3229:
	s_wait_loadcnt 0x0
	global_load_i16 v18, v[16:17], off
	s_wait_loadcnt 0x0
	v_cvt_f64_i32_e32 v[18:19], v18
.LBB110_3230:
	s_mov_b32 s15, 0
.LBB110_3231:
	s_delay_alu instid0(SALU_CYCLE_1)
	s_and_not1_b32 vcc_lo, exec_lo, s15
	s_cbranch_vccnz .LBB110_3237
; %bb.3232:
	s_cmp_gt_i32 s0, 0
	s_mov_b32 s15, 0
	s_cbranch_scc0 .LBB110_3234
; %bb.3233:
	s_wait_loadcnt 0x0
	global_load_i8 v18, v[16:17], off
	s_wait_loadcnt 0x0
	v_cvt_f64_i32_e32 v[18:19], v18
	s_branch .LBB110_3235
.LBB110_3234:
	s_mov_b32 s15, -1
                                        ; implicit-def: $vgpr18_vgpr19
.LBB110_3235:
	s_delay_alu instid0(SALU_CYCLE_1)
	s_and_not1_b32 vcc_lo, exec_lo, s15
	s_cbranch_vccnz .LBB110_3237
; %bb.3236:
	global_load_u8 v16, v[16:17], off
	s_wait_loadcnt 0x0
	v_cvt_f64_u32_e32 v[18:19], v16
.LBB110_3237:
	s_mov_b32 s25, -1
.LBB110_3238:
	s_delay_alu instid0(SALU_CYCLE_1)
	s_and_not1_b32 vcc_lo, exec_lo, s25
	s_cbranch_vccnz .LBB110_4065
; %bb.3239:
	s_wait_xcnt 0x0
	v_add_nc_u32_e32 v16, s1, v20
	s_cmp_lt_i32 s21, 11
	s_delay_alu instid0(VALU_DEP_1) | instskip(NEXT) | instid1(VALU_DEP_1)
	v_ashrrev_i32_e32 v17, 31, v16
	v_add_nc_u64_e32 v[20:21], s[6:7], v[16:17]
	s_cbranch_scc1 .LBB110_3246
; %bb.3240:
	s_and_b32 s1, 0xffff, s21
	s_mov_b32 s7, 0
	s_cmp_gt_i32 s1, 25
	s_cbranch_scc0 .LBB110_3247
; %bb.3241:
	s_cmp_gt_i32 s1, 28
	s_cbranch_scc0 .LBB110_3248
; %bb.3242:
	;; [unrolled: 3-line block ×4, first 2 shown]
	s_cmp_eq_u32 s1, 46
	s_mov_b32 s24, 0
	s_cbranch_scc0 .LBB110_3252
; %bb.3245:
	global_load_b32 v16, v[20:21], off
	s_mov_b32 s6, 0
	s_mov_b32 s15, -1
	s_wait_loadcnt 0x0
	v_lshlrev_b32_e32 v16, 16, v16
	s_delay_alu instid0(VALU_DEP_1)
	v_cvt_f64_f32_e32 v[16:17], v16
	s_branch .LBB110_3254
.LBB110_3246:
	s_mov_b32 s1, -1
	s_mov_b32 s15, 0
                                        ; implicit-def: $vgpr16_vgpr17
	s_branch .LBB110_3320
.LBB110_3247:
	s_mov_b32 s24, -1
	s_mov_b32 s15, 0
	s_mov_b32 s6, 0
                                        ; implicit-def: $vgpr16_vgpr17
	s_branch .LBB110_3283
.LBB110_3248:
	s_mov_b32 s24, -1
	s_mov_b32 s15, 0
	s_mov_b32 s6, 0
                                        ; implicit-def: $vgpr16_vgpr17
	s_branch .LBB110_3264
.LBB110_3249:
	s_mov_b32 s24, -1
	s_mov_b32 s15, 0
	s_mov_b32 s6, 0
                                        ; implicit-def: $vgpr16_vgpr17
	s_branch .LBB110_3259
.LBB110_3250:
	s_or_b32 s20, s20, exec_lo
	s_trap 2
	s_cbranch_execz .LBB110_3187
	s_branch .LBB110_3188
.LBB110_3251:
	s_mov_b32 s24, -1
	s_mov_b32 s15, 0
	s_mov_b32 s6, 0
	s_branch .LBB110_3253
.LBB110_3252:
	s_mov_b32 s6, -1
	s_mov_b32 s15, 0
.LBB110_3253:
                                        ; implicit-def: $vgpr16_vgpr17
.LBB110_3254:
	s_and_b32 vcc_lo, exec_lo, s24
	s_cbranch_vccz .LBB110_3258
; %bb.3255:
	s_cmp_eq_u32 s1, 44
	s_cbranch_scc0 .LBB110_3257
; %bb.3256:
	global_load_u8 v23, v[20:21], off
	s_mov_b32 s6, 0
	s_mov_b32 s15, -1
	s_wait_loadcnt 0x0
	v_cmp_ne_u32_e32 vcc_lo, 0xff, v23
	v_lshlrev_b32_e32 v16, 23, v23
	s_delay_alu instid0(VALU_DEP_1) | instskip(NEXT) | instid1(VALU_DEP_1)
	v_cvt_f64_f32_e32 v[16:17], v16
	v_cndmask_b32_e32 v16, 0x20000000, v16, vcc_lo
	s_delay_alu instid0(VALU_DEP_2) | instskip(SKIP_1) | instid1(VALU_DEP_2)
	v_cndmask_b32_e32 v17, 0x7ff80000, v17, vcc_lo
	v_cmp_ne_u32_e32 vcc_lo, 0, v23
	v_cndmask_b32_e32 v17, 0x38000000, v17, vcc_lo
	s_delay_alu instid0(VALU_DEP_4)
	v_cndmask_b32_e32 v16, 0, v16, vcc_lo
	s_branch .LBB110_3258
.LBB110_3257:
	s_mov_b32 s6, -1
                                        ; implicit-def: $vgpr16_vgpr17
.LBB110_3258:
	s_mov_b32 s24, 0
.LBB110_3259:
	s_delay_alu instid0(SALU_CYCLE_1)
	s_and_b32 vcc_lo, exec_lo, s24
	s_cbranch_vccz .LBB110_3263
; %bb.3260:
	s_cmp_eq_u32 s1, 29
	s_cbranch_scc0 .LBB110_3262
; %bb.3261:
	global_load_b64 v[16:17], v[20:21], off
	s_mov_b32 s6, 0
	s_mov_b32 s15, -1
	s_mov_b32 s24, 0
	s_wait_loadcnt 0x0
	v_cvt_f64_u32_e32 v[28:29], v17
	v_cvt_f64_u32_e32 v[16:17], v16
	s_delay_alu instid0(VALU_DEP_2) | instskip(NEXT) | instid1(VALU_DEP_1)
	v_ldexp_f64 v[28:29], v[28:29], 32
	v_add_f64_e32 v[16:17], v[28:29], v[16:17]
	s_branch .LBB110_3264
.LBB110_3262:
	s_mov_b32 s6, -1
                                        ; implicit-def: $vgpr16_vgpr17
.LBB110_3263:
	s_mov_b32 s24, 0
.LBB110_3264:
	s_delay_alu instid0(SALU_CYCLE_1)
	s_and_b32 vcc_lo, exec_lo, s24
	s_cbranch_vccz .LBB110_3282
; %bb.3265:
	s_cmp_lt_i32 s1, 27
	s_cbranch_scc1 .LBB110_3268
; %bb.3266:
	s_cmp_gt_i32 s1, 27
	s_cbranch_scc0 .LBB110_3269
; %bb.3267:
	global_load_b32 v16, v[20:21], off
	s_mov_b32 s15, 0
	s_wait_loadcnt 0x0
	v_cvt_f64_u32_e32 v[16:17], v16
	s_branch .LBB110_3270
.LBB110_3268:
	s_mov_b32 s15, -1
                                        ; implicit-def: $vgpr16_vgpr17
	s_branch .LBB110_3273
.LBB110_3269:
	s_mov_b32 s15, -1
                                        ; implicit-def: $vgpr16_vgpr17
.LBB110_3270:
	s_delay_alu instid0(SALU_CYCLE_1)
	s_and_not1_b32 vcc_lo, exec_lo, s15
	s_cbranch_vccnz .LBB110_3272
; %bb.3271:
	global_load_u16 v16, v[20:21], off
	s_wait_loadcnt 0x0
	v_cvt_f64_u32_e32 v[16:17], v16
.LBB110_3272:
	s_mov_b32 s15, 0
.LBB110_3273:
	s_delay_alu instid0(SALU_CYCLE_1)
	s_and_not1_b32 vcc_lo, exec_lo, s15
	s_cbranch_vccnz .LBB110_3281
; %bb.3274:
	global_load_u8 v23, v[20:21], off
	s_mov_b32 s15, 0
	s_mov_b32 s24, exec_lo
	s_wait_loadcnt 0x0
	v_cmpx_lt_i16_e32 0x7f, v23
	s_xor_b32 s24, exec_lo, s24
	s_cbranch_execz .LBB110_3295
; %bb.3275:
	s_mov_b32 s15, -1
	s_mov_b32 s25, exec_lo
	v_cmpx_eq_u16_e32 0x80, v23
; %bb.3276:
	s_xor_b32 s15, exec_lo, -1
; %bb.3277:
	s_or_b32 exec_lo, exec_lo, s25
	s_delay_alu instid0(SALU_CYCLE_1)
	s_and_b32 s15, s15, exec_lo
	s_or_saveexec_b32 s24, s24
	v_mov_b64_e32 v[16:17], 0x7ff8000020000000
	s_xor_b32 exec_lo, exec_lo, s24
	s_cbranch_execnz .LBB110_3296
.LBB110_3278:
	s_or_b32 exec_lo, exec_lo, s24
	s_and_saveexec_b32 s24, s15
	s_cbranch_execz .LBB110_3280
.LBB110_3279:
	v_and_b32_e32 v16, 0xffff, v23
	s_delay_alu instid0(VALU_DEP_1) | instskip(SKIP_1) | instid1(VALU_DEP_2)
	v_and_b32_e32 v17, 7, v16
	v_bfe_u32 v28, v16, 3, 4
	v_clz_i32_u32_e32 v25, v17
	s_delay_alu instid0(VALU_DEP_2) | instskip(NEXT) | instid1(VALU_DEP_2)
	v_cmp_eq_u32_e32 vcc_lo, 0, v28
	v_min_u32_e32 v25, 32, v25
	s_delay_alu instid0(VALU_DEP_1) | instskip(NEXT) | instid1(VALU_DEP_1)
	v_subrev_nc_u32_e32 v27, 28, v25
	v_dual_lshlrev_b32 v16, v27, v16 :: v_dual_sub_nc_u32 v25, 29, v25
	s_delay_alu instid0(VALU_DEP_1) | instskip(NEXT) | instid1(VALU_DEP_1)
	v_dual_lshlrev_b32 v23, 24, v23 :: v_dual_bitop2_b32 v16, 7, v16 bitop3:0x40
	v_dual_cndmask_b32 v25, v28, v25 :: v_dual_cndmask_b32 v16, v17, v16
	s_delay_alu instid0(VALU_DEP_2) | instskip(NEXT) | instid1(VALU_DEP_2)
	v_and_b32_e32 v17, 0x80000000, v23
	v_lshl_add_u32 v23, v25, 23, 0x3b800000
	s_delay_alu instid0(VALU_DEP_3) | instskip(NEXT) | instid1(VALU_DEP_1)
	v_lshlrev_b32_e32 v16, 20, v16
	v_or3_b32 v16, v17, v23, v16
	s_delay_alu instid0(VALU_DEP_1)
	v_cvt_f64_f32_e32 v[16:17], v16
.LBB110_3280:
	s_or_b32 exec_lo, exec_lo, s24
.LBB110_3281:
	s_mov_b32 s15, -1
.LBB110_3282:
	s_mov_b32 s24, 0
.LBB110_3283:
	s_delay_alu instid0(SALU_CYCLE_1)
	s_and_b32 vcc_lo, exec_lo, s24
	s_cbranch_vccz .LBB110_3316
; %bb.3284:
	s_cmp_gt_i32 s1, 22
	s_cbranch_scc0 .LBB110_3294
; %bb.3285:
	s_cmp_lt_i32 s1, 24
	s_cbranch_scc1 .LBB110_3297
; %bb.3286:
	s_cmp_gt_i32 s1, 24
	s_cbranch_scc0 .LBB110_3298
; %bb.3287:
	global_load_u8 v23, v[20:21], off
	s_mov_b32 s15, exec_lo
	s_wait_loadcnt 0x0
	v_cmpx_lt_i16_e32 0x7f, v23
	s_xor_b32 s15, exec_lo, s15
	s_cbranch_execz .LBB110_3310
; %bb.3288:
	s_mov_b32 s7, -1
	s_mov_b32 s24, exec_lo
	v_cmpx_eq_u16_e32 0x80, v23
; %bb.3289:
	s_xor_b32 s7, exec_lo, -1
; %bb.3290:
	s_or_b32 exec_lo, exec_lo, s24
	s_delay_alu instid0(SALU_CYCLE_1)
	s_and_b32 s7, s7, exec_lo
	s_or_saveexec_b32 s15, s15
	v_mov_b64_e32 v[16:17], 0x7ff8000020000000
	s_xor_b32 exec_lo, exec_lo, s15
	s_cbranch_execnz .LBB110_3311
.LBB110_3291:
	s_or_b32 exec_lo, exec_lo, s15
	s_and_saveexec_b32 s15, s7
	s_cbranch_execz .LBB110_3293
.LBB110_3292:
	v_and_b32_e32 v16, 0xffff, v23
	s_delay_alu instid0(VALU_DEP_1) | instskip(SKIP_1) | instid1(VALU_DEP_2)
	v_and_b32_e32 v17, 3, v16
	v_bfe_u32 v28, v16, 2, 5
	v_clz_i32_u32_e32 v25, v17
	s_delay_alu instid0(VALU_DEP_2) | instskip(NEXT) | instid1(VALU_DEP_2)
	v_cmp_eq_u32_e32 vcc_lo, 0, v28
	v_min_u32_e32 v25, 32, v25
	s_delay_alu instid0(VALU_DEP_1) | instskip(NEXT) | instid1(VALU_DEP_1)
	v_subrev_nc_u32_e32 v27, 29, v25
	v_dual_lshlrev_b32 v16, v27, v16 :: v_dual_sub_nc_u32 v25, 30, v25
	s_delay_alu instid0(VALU_DEP_1) | instskip(NEXT) | instid1(VALU_DEP_1)
	v_dual_lshlrev_b32 v23, 24, v23 :: v_dual_bitop2_b32 v16, 3, v16 bitop3:0x40
	v_dual_cndmask_b32 v25, v28, v25 :: v_dual_cndmask_b32 v16, v17, v16
	s_delay_alu instid0(VALU_DEP_2) | instskip(NEXT) | instid1(VALU_DEP_2)
	v_and_b32_e32 v17, 0x80000000, v23
	v_lshl_add_u32 v23, v25, 23, 0x37800000
	s_delay_alu instid0(VALU_DEP_3) | instskip(NEXT) | instid1(VALU_DEP_1)
	v_lshlrev_b32_e32 v16, 21, v16
	v_or3_b32 v16, v17, v23, v16
	s_delay_alu instid0(VALU_DEP_1)
	v_cvt_f64_f32_e32 v[16:17], v16
.LBB110_3293:
	s_or_b32 exec_lo, exec_lo, s15
	s_mov_b32 s7, 0
	s_branch .LBB110_3299
.LBB110_3294:
	s_mov_b32 s7, -1
                                        ; implicit-def: $vgpr16_vgpr17
	s_branch .LBB110_3305
.LBB110_3295:
	s_or_saveexec_b32 s24, s24
	v_mov_b64_e32 v[16:17], 0x7ff8000020000000
	s_xor_b32 exec_lo, exec_lo, s24
	s_cbranch_execz .LBB110_3278
.LBB110_3296:
	v_cmp_ne_u16_e32 vcc_lo, 0, v23
	v_mov_b64_e32 v[16:17], 0
	s_and_not1_b32 s15, s15, exec_lo
	s_and_b32 s25, vcc_lo, exec_lo
	s_delay_alu instid0(SALU_CYCLE_1)
	s_or_b32 s15, s15, s25
	s_or_b32 exec_lo, exec_lo, s24
	s_and_saveexec_b32 s24, s15
	s_cbranch_execnz .LBB110_3279
	s_branch .LBB110_3280
.LBB110_3297:
	s_mov_b32 s7, -1
                                        ; implicit-def: $vgpr16_vgpr17
	s_branch .LBB110_3302
.LBB110_3298:
	s_mov_b32 s7, -1
                                        ; implicit-def: $vgpr16_vgpr17
.LBB110_3299:
	s_delay_alu instid0(SALU_CYCLE_1)
	s_and_b32 vcc_lo, exec_lo, s7
	s_cbranch_vccz .LBB110_3301
; %bb.3300:
	global_load_u8 v16, v[20:21], off
	s_wait_loadcnt 0x0
	v_lshlrev_b32_e32 v16, 24, v16
	s_delay_alu instid0(VALU_DEP_1) | instskip(NEXT) | instid1(VALU_DEP_1)
	v_and_b32_e32 v17, 0x7f000000, v16
	v_clz_i32_u32_e32 v23, v17
	v_add_nc_u32_e32 v27, 0x1000000, v17
	v_cmp_ne_u32_e32 vcc_lo, 0, v17
	s_delay_alu instid0(VALU_DEP_3) | instskip(NEXT) | instid1(VALU_DEP_1)
	v_min_u32_e32 v23, 32, v23
	v_sub_nc_u32_e64 v23, v23, 4 clamp
	s_delay_alu instid0(VALU_DEP_1) | instskip(NEXT) | instid1(VALU_DEP_1)
	v_dual_lshlrev_b32 v25, v23, v17 :: v_dual_lshlrev_b32 v23, 23, v23
	v_lshrrev_b32_e32 v25, 4, v25
	s_delay_alu instid0(VALU_DEP_1) | instskip(SKIP_1) | instid1(VALU_DEP_2)
	v_sub_nc_u32_e32 v23, v25, v23
	v_ashrrev_i32_e32 v25, 8, v27
	v_add_nc_u32_e32 v23, 0x3c000000, v23
	s_delay_alu instid0(VALU_DEP_1) | instskip(NEXT) | instid1(VALU_DEP_1)
	v_and_or_b32 v23, 0x7f800000, v25, v23
	v_cndmask_b32_e32 v17, 0, v23, vcc_lo
	s_delay_alu instid0(VALU_DEP_1) | instskip(NEXT) | instid1(VALU_DEP_1)
	v_and_or_b32 v16, 0x80000000, v16, v17
	v_cvt_f64_f32_e32 v[16:17], v16
.LBB110_3301:
	s_mov_b32 s7, 0
.LBB110_3302:
	s_delay_alu instid0(SALU_CYCLE_1)
	s_and_not1_b32 vcc_lo, exec_lo, s7
	s_cbranch_vccnz .LBB110_3304
; %bb.3303:
	global_load_u8 v16, v[20:21], off
	s_wait_loadcnt 0x0
	v_lshlrev_b32_e32 v17, 25, v16
	v_lshlrev_b16 v16, 8, v16
	s_delay_alu instid0(VALU_DEP_1) | instskip(SKIP_1) | instid1(VALU_DEP_2)
	v_and_or_b32 v25, 0x7f00, v16, 0.5
	v_bfe_i32 v16, v16, 0, 16
	v_add_f32_e32 v25, -0.5, v25
	v_lshrrev_b32_e32 v23, 4, v17
	v_cmp_gt_u32_e32 vcc_lo, 0x8000000, v17
	s_delay_alu instid0(VALU_DEP_2) | instskip(NEXT) | instid1(VALU_DEP_1)
	v_or_b32_e32 v23, 0x70000000, v23
	v_mul_f32_e32 v23, 0x7800000, v23
	s_delay_alu instid0(VALU_DEP_1) | instskip(NEXT) | instid1(VALU_DEP_1)
	v_cndmask_b32_e32 v17, v23, v25, vcc_lo
	v_and_or_b32 v16, 0x80000000, v16, v17
	s_delay_alu instid0(VALU_DEP_1)
	v_cvt_f64_f32_e32 v[16:17], v16
.LBB110_3304:
	s_mov_b32 s7, 0
	s_mov_b32 s15, -1
.LBB110_3305:
	s_and_not1_b32 vcc_lo, exec_lo, s7
	s_mov_b32 s7, 0
	s_cbranch_vccnz .LBB110_3316
; %bb.3306:
	s_cmp_gt_i32 s1, 14
	s_cbranch_scc0 .LBB110_3309
; %bb.3307:
	s_cmp_eq_u32 s1, 15
	s_cbranch_scc0 .LBB110_3312
; %bb.3308:
	global_load_u16 v16, v[20:21], off
	s_mov_b32 s6, 0
	s_mov_b32 s15, -1
	s_wait_loadcnt 0x0
	v_lshlrev_b32_e32 v16, 16, v16
	s_delay_alu instid0(VALU_DEP_1)
	v_cvt_f64_f32_e32 v[16:17], v16
	s_branch .LBB110_3314
.LBB110_3309:
	s_mov_b32 s7, -1
	s_branch .LBB110_3313
.LBB110_3310:
	s_or_saveexec_b32 s15, s15
	v_mov_b64_e32 v[16:17], 0x7ff8000020000000
	s_xor_b32 exec_lo, exec_lo, s15
	s_cbranch_execz .LBB110_3291
.LBB110_3311:
	v_cmp_ne_u16_e32 vcc_lo, 0, v23
	v_mov_b64_e32 v[16:17], 0
	s_and_not1_b32 s7, s7, exec_lo
	s_and_b32 s24, vcc_lo, exec_lo
	s_delay_alu instid0(SALU_CYCLE_1)
	s_or_b32 s7, s7, s24
	s_or_b32 exec_lo, exec_lo, s15
	s_and_saveexec_b32 s15, s7
	s_cbranch_execnz .LBB110_3292
	s_branch .LBB110_3293
.LBB110_3312:
	s_mov_b32 s6, -1
.LBB110_3313:
                                        ; implicit-def: $vgpr16_vgpr17
.LBB110_3314:
	s_and_b32 vcc_lo, exec_lo, s7
	s_mov_b32 s7, 0
	s_cbranch_vccz .LBB110_3316
; %bb.3315:
	s_cmp_lg_u32 s1, 11
	s_mov_b32 s7, -1
	s_cselect_b32 s6, -1, 0
.LBB110_3316:
	s_delay_alu instid0(SALU_CYCLE_1)
	s_and_b32 vcc_lo, exec_lo, s6
	s_cbranch_vccnz .LBB110_3381
; %bb.3317:
	s_and_not1_b32 vcc_lo, exec_lo, s7
	s_cbranch_vccnz .LBB110_3319
.LBB110_3318:
	global_load_u8 v16, v[20:21], off
	s_mov_b32 s15, -1
	s_wait_loadcnt 0x0
	v_cmp_ne_u16_e32 vcc_lo, 0, v16
	v_mov_b32_e32 v16, 0
	v_cndmask_b32_e64 v17, 0, 0x3ff00000, vcc_lo
.LBB110_3319:
	s_mov_b32 s1, 0
.LBB110_3320:
	s_delay_alu instid0(SALU_CYCLE_1)
	s_and_b32 vcc_lo, exec_lo, s1
	s_cbranch_vccz .LBB110_3369
; %bb.3321:
	s_and_b32 s1, 0xffff, s21
	s_delay_alu instid0(SALU_CYCLE_1)
	s_cmp_lt_i32 s1, 5
	s_cbranch_scc1 .LBB110_3326
; %bb.3322:
	s_cmp_lt_i32 s1, 8
	s_cbranch_scc1 .LBB110_3327
; %bb.3323:
	;; [unrolled: 3-line block ×3, first 2 shown]
	s_cmp_gt_i32 s1, 9
	s_cbranch_scc0 .LBB110_3329
; %bb.3325:
	global_load_b64 v[16:17], v[20:21], off
	s_mov_b32 s6, 0
	s_branch .LBB110_3330
.LBB110_3326:
	s_mov_b32 s6, -1
                                        ; implicit-def: $vgpr16_vgpr17
	s_branch .LBB110_3348
.LBB110_3327:
	s_mov_b32 s6, -1
                                        ; implicit-def: $vgpr16_vgpr17
	s_branch .LBB110_3336
.LBB110_3328:
	s_mov_b32 s6, -1
                                        ; implicit-def: $vgpr16_vgpr17
	s_branch .LBB110_3333
.LBB110_3329:
	s_mov_b32 s6, -1
                                        ; implicit-def: $vgpr16_vgpr17
.LBB110_3330:
	s_delay_alu instid0(SALU_CYCLE_1)
	s_and_not1_b32 vcc_lo, exec_lo, s6
	s_cbranch_vccnz .LBB110_3332
; %bb.3331:
	s_wait_loadcnt 0x0
	global_load_b32 v16, v[20:21], off
	s_wait_loadcnt 0x0
	v_cvt_f64_f32_e32 v[16:17], v16
.LBB110_3332:
	s_mov_b32 s6, 0
.LBB110_3333:
	s_delay_alu instid0(SALU_CYCLE_1)
	s_and_not1_b32 vcc_lo, exec_lo, s6
	s_cbranch_vccnz .LBB110_3335
; %bb.3334:
	s_wait_loadcnt 0x0
	global_load_b32 v16, v[20:21], off
	s_wait_loadcnt 0x0
	v_cvt_f32_f16_e32 v16, v16
	s_delay_alu instid0(VALU_DEP_1)
	v_cvt_f64_f32_e32 v[16:17], v16
.LBB110_3335:
	s_mov_b32 s6, 0
.LBB110_3336:
	s_delay_alu instid0(SALU_CYCLE_1)
	s_and_not1_b32 vcc_lo, exec_lo, s6
	s_cbranch_vccnz .LBB110_3347
; %bb.3337:
	s_cmp_lt_i32 s1, 6
	s_cbranch_scc1 .LBB110_3340
; %bb.3338:
	s_cmp_gt_i32 s1, 6
	s_cbranch_scc0 .LBB110_3341
; %bb.3339:
	s_wait_loadcnt 0x0
	global_load_b64 v[16:17], v[20:21], off
	s_mov_b32 s6, 0
	s_branch .LBB110_3342
.LBB110_3340:
	s_mov_b32 s6, -1
                                        ; implicit-def: $vgpr16_vgpr17
	s_branch .LBB110_3345
.LBB110_3341:
	s_mov_b32 s6, -1
                                        ; implicit-def: $vgpr16_vgpr17
.LBB110_3342:
	s_delay_alu instid0(SALU_CYCLE_1)
	s_and_not1_b32 vcc_lo, exec_lo, s6
	s_cbranch_vccnz .LBB110_3344
; %bb.3343:
	s_wait_loadcnt 0x0
	global_load_b32 v16, v[20:21], off
	s_wait_loadcnt 0x0
	v_cvt_f64_f32_e32 v[16:17], v16
.LBB110_3344:
	s_mov_b32 s6, 0
.LBB110_3345:
	s_delay_alu instid0(SALU_CYCLE_1)
	s_and_not1_b32 vcc_lo, exec_lo, s6
	s_cbranch_vccnz .LBB110_3347
; %bb.3346:
	s_wait_loadcnt 0x0
	global_load_u16 v16, v[20:21], off
	s_wait_loadcnt 0x0
	v_cvt_f32_f16_e32 v16, v16
	s_delay_alu instid0(VALU_DEP_1)
	v_cvt_f64_f32_e32 v[16:17], v16
.LBB110_3347:
	s_mov_b32 s6, 0
.LBB110_3348:
	s_delay_alu instid0(SALU_CYCLE_1)
	s_and_not1_b32 vcc_lo, exec_lo, s6
	s_cbranch_vccnz .LBB110_3368
; %bb.3349:
	s_cmp_lt_i32 s1, 2
	s_cbranch_scc1 .LBB110_3353
; %bb.3350:
	s_cmp_lt_i32 s1, 3
	s_cbranch_scc1 .LBB110_3354
; %bb.3351:
	s_cmp_gt_i32 s1, 3
	s_cbranch_scc0 .LBB110_3355
; %bb.3352:
	s_wait_loadcnt 0x0
	global_load_b64 v[16:17], v[20:21], off
	s_mov_b32 s6, 0
	s_wait_loadcnt 0x0
	v_cvt_f64_i32_e32 v[28:29], v17
	v_cvt_f64_u32_e32 v[16:17], v16
	s_delay_alu instid0(VALU_DEP_2) | instskip(NEXT) | instid1(VALU_DEP_1)
	v_ldexp_f64 v[28:29], v[28:29], 32
	v_add_f64_e32 v[16:17], v[28:29], v[16:17]
	s_branch .LBB110_3356
.LBB110_3353:
	s_mov_b32 s6, -1
                                        ; implicit-def: $vgpr16_vgpr17
	s_branch .LBB110_3362
.LBB110_3354:
	s_mov_b32 s6, -1
                                        ; implicit-def: $vgpr16_vgpr17
	s_branch .LBB110_3359
.LBB110_3355:
	s_mov_b32 s6, -1
                                        ; implicit-def: $vgpr16_vgpr17
.LBB110_3356:
	s_delay_alu instid0(SALU_CYCLE_1)
	s_and_not1_b32 vcc_lo, exec_lo, s6
	s_cbranch_vccnz .LBB110_3358
; %bb.3357:
	s_wait_loadcnt 0x0
	global_load_b32 v16, v[20:21], off
	s_wait_loadcnt 0x0
	v_cvt_f64_i32_e32 v[16:17], v16
.LBB110_3358:
	s_mov_b32 s6, 0
.LBB110_3359:
	s_delay_alu instid0(SALU_CYCLE_1)
	s_and_not1_b32 vcc_lo, exec_lo, s6
	s_cbranch_vccnz .LBB110_3361
; %bb.3360:
	s_wait_loadcnt 0x0
	global_load_i16 v16, v[20:21], off
	s_wait_loadcnt 0x0
	v_cvt_f64_i32_e32 v[16:17], v16
.LBB110_3361:
	s_mov_b32 s6, 0
.LBB110_3362:
	s_delay_alu instid0(SALU_CYCLE_1)
	s_and_not1_b32 vcc_lo, exec_lo, s6
	s_cbranch_vccnz .LBB110_3368
; %bb.3363:
	s_cmp_gt_i32 s1, 0
	s_mov_b32 s1, 0
	s_cbranch_scc0 .LBB110_3365
; %bb.3364:
	s_wait_loadcnt 0x0
	global_load_i8 v16, v[20:21], off
	s_wait_loadcnt 0x0
	v_cvt_f64_i32_e32 v[16:17], v16
	s_branch .LBB110_3366
.LBB110_3365:
	s_mov_b32 s1, -1
                                        ; implicit-def: $vgpr16_vgpr17
.LBB110_3366:
	s_delay_alu instid0(SALU_CYCLE_1)
	s_and_not1_b32 vcc_lo, exec_lo, s1
	s_cbranch_vccnz .LBB110_3368
; %bb.3367:
	s_wait_loadcnt 0x0
	global_load_u8 v16, v[20:21], off
	s_wait_loadcnt 0x0
	v_cvt_f64_u32_e32 v[16:17], v16
.LBB110_3368:
	s_mov_b32 s15, -1
.LBB110_3369:
	s_delay_alu instid0(SALU_CYCLE_1)
	s_and_not1_b32 vcc_lo, exec_lo, s15
	s_cbranch_vccnz .LBB110_4065
; %bb.3370:
	s_wait_xcnt 0x0
	v_add_nc_u32_e32 v20, s13, v22
	s_cmp_lt_i32 s3, 11
	s_delay_alu instid0(VALU_DEP_1) | instskip(NEXT) | instid1(VALU_DEP_1)
	v_ashrrev_i32_e32 v21, 31, v20
	v_add_nc_u64_e32 v[22:23], s[8:9], v[20:21]
	s_cbranch_scc1 .LBB110_3377
; %bb.3371:
	s_and_b32 s1, 0xffff, s3
	s_mov_b32 s7, 0
	s_cmp_gt_i32 s1, 25
	s_cbranch_scc0 .LBB110_3378
; %bb.3372:
	s_cmp_gt_i32 s1, 28
	s_cbranch_scc0 .LBB110_3379
; %bb.3373:
	;; [unrolled: 3-line block ×4, first 2 shown]
	s_cmp_eq_u32 s1, 46
	s_mov_b32 s9, 0
	s_cbranch_scc0 .LBB110_3383
; %bb.3376:
	global_load_b32 v20, v[22:23], off
	s_mov_b32 s6, 0
	s_mov_b32 s8, -1
	s_wait_loadcnt 0x0
	v_lshlrev_b32_e32 v20, 16, v20
	s_delay_alu instid0(VALU_DEP_1)
	v_cvt_f64_f32_e32 v[20:21], v20
	s_branch .LBB110_3385
.LBB110_3377:
	s_mov_b32 s1, -1
	s_mov_b32 s8, 0
                                        ; implicit-def: $vgpr20_vgpr21
	s_branch .LBB110_3451
.LBB110_3378:
	s_mov_b32 s9, -1
	s_mov_b32 s8, 0
	s_mov_b32 s6, 0
                                        ; implicit-def: $vgpr20_vgpr21
	s_branch .LBB110_3414
.LBB110_3379:
	s_mov_b32 s9, -1
	s_mov_b32 s8, 0
	s_mov_b32 s6, 0
                                        ; implicit-def: $vgpr20_vgpr21
	s_branch .LBB110_3395
.LBB110_3380:
	s_mov_b32 s9, -1
	s_mov_b32 s8, 0
	s_mov_b32 s6, 0
                                        ; implicit-def: $vgpr20_vgpr21
	s_branch .LBB110_3390
.LBB110_3381:
	s_or_b32 s20, s20, exec_lo
	s_trap 2
	s_cbranch_execz .LBB110_3318
	s_branch .LBB110_3319
.LBB110_3382:
	s_mov_b32 s9, -1
	s_mov_b32 s8, 0
	s_mov_b32 s6, 0
	s_branch .LBB110_3384
.LBB110_3383:
	s_mov_b32 s6, -1
	s_mov_b32 s8, 0
.LBB110_3384:
                                        ; implicit-def: $vgpr20_vgpr21
.LBB110_3385:
	s_and_b32 vcc_lo, exec_lo, s9
	s_cbranch_vccz .LBB110_3389
; %bb.3386:
	s_cmp_eq_u32 s1, 44
	s_cbranch_scc0 .LBB110_3388
; %bb.3387:
	global_load_u8 v25, v[22:23], off
	s_mov_b32 s6, 0
	s_mov_b32 s8, -1
	s_wait_loadcnt 0x0
	v_lshlrev_b32_e32 v20, 23, v25
	v_cmp_ne_u32_e32 vcc_lo, 0xff, v25
	s_delay_alu instid0(VALU_DEP_2) | instskip(NEXT) | instid1(VALU_DEP_1)
	v_cvt_f64_f32_e32 v[20:21], v20
	v_cndmask_b32_e32 v20, 0x20000000, v20, vcc_lo
	s_delay_alu instid0(VALU_DEP_2) | instskip(SKIP_1) | instid1(VALU_DEP_2)
	v_cndmask_b32_e32 v21, 0x7ff80000, v21, vcc_lo
	v_cmp_ne_u32_e32 vcc_lo, 0, v25
	v_cndmask_b32_e32 v21, 0x38000000, v21, vcc_lo
	s_delay_alu instid0(VALU_DEP_4)
	v_cndmask_b32_e32 v20, 0, v20, vcc_lo
	s_branch .LBB110_3389
.LBB110_3388:
	s_mov_b32 s6, -1
                                        ; implicit-def: $vgpr20_vgpr21
.LBB110_3389:
	s_mov_b32 s9, 0
.LBB110_3390:
	s_delay_alu instid0(SALU_CYCLE_1)
	s_and_b32 vcc_lo, exec_lo, s9
	s_cbranch_vccz .LBB110_3394
; %bb.3391:
	s_cmp_eq_u32 s1, 29
	s_cbranch_scc0 .LBB110_3393
; %bb.3392:
	global_load_b64 v[20:21], v[22:23], off
	s_mov_b32 s6, 0
	s_mov_b32 s8, -1
	s_mov_b32 s9, 0
	s_wait_loadcnt 0x0
	v_cvt_f64_u32_e32 v[28:29], v21
	v_cvt_f64_u32_e32 v[20:21], v20
	s_delay_alu instid0(VALU_DEP_2) | instskip(NEXT) | instid1(VALU_DEP_1)
	v_ldexp_f64 v[28:29], v[28:29], 32
	v_add_f64_e32 v[20:21], v[28:29], v[20:21]
	s_branch .LBB110_3395
.LBB110_3393:
	s_mov_b32 s6, -1
                                        ; implicit-def: $vgpr20_vgpr21
.LBB110_3394:
	s_mov_b32 s9, 0
.LBB110_3395:
	s_delay_alu instid0(SALU_CYCLE_1)
	s_and_b32 vcc_lo, exec_lo, s9
	s_cbranch_vccz .LBB110_3413
; %bb.3396:
	s_cmp_lt_i32 s1, 27
	s_cbranch_scc1 .LBB110_3399
; %bb.3397:
	s_cmp_gt_i32 s1, 27
	s_cbranch_scc0 .LBB110_3400
; %bb.3398:
	global_load_b32 v20, v[22:23], off
	s_mov_b32 s8, 0
	s_wait_loadcnt 0x0
	v_cvt_f64_u32_e32 v[20:21], v20
	s_branch .LBB110_3401
.LBB110_3399:
	s_mov_b32 s8, -1
                                        ; implicit-def: $vgpr20_vgpr21
	s_branch .LBB110_3404
.LBB110_3400:
	s_mov_b32 s8, -1
                                        ; implicit-def: $vgpr20_vgpr21
.LBB110_3401:
	s_delay_alu instid0(SALU_CYCLE_1)
	s_and_not1_b32 vcc_lo, exec_lo, s8
	s_cbranch_vccnz .LBB110_3403
; %bb.3402:
	global_load_u16 v20, v[22:23], off
	s_wait_loadcnt 0x0
	v_cvt_f64_u32_e32 v[20:21], v20
.LBB110_3403:
	s_mov_b32 s8, 0
.LBB110_3404:
	s_delay_alu instid0(SALU_CYCLE_1)
	s_and_not1_b32 vcc_lo, exec_lo, s8
	s_cbranch_vccnz .LBB110_3412
; %bb.3405:
	global_load_u8 v25, v[22:23], off
	s_mov_b32 s8, 0
	s_mov_b32 s9, exec_lo
	s_wait_loadcnt 0x0
	v_cmpx_lt_i16_e32 0x7f, v25
	s_xor_b32 s9, exec_lo, s9
	s_cbranch_execz .LBB110_3426
; %bb.3406:
	s_mov_b32 s8, -1
	s_mov_b32 s13, exec_lo
	v_cmpx_eq_u16_e32 0x80, v25
; %bb.3407:
	s_xor_b32 s8, exec_lo, -1
; %bb.3408:
	s_or_b32 exec_lo, exec_lo, s13
	s_delay_alu instid0(SALU_CYCLE_1)
	s_and_b32 s8, s8, exec_lo
	s_or_saveexec_b32 s9, s9
	v_mov_b64_e32 v[20:21], 0x7ff8000020000000
	s_xor_b32 exec_lo, exec_lo, s9
	s_cbranch_execnz .LBB110_3427
.LBB110_3409:
	s_or_b32 exec_lo, exec_lo, s9
	s_and_saveexec_b32 s9, s8
	s_cbranch_execz .LBB110_3411
.LBB110_3410:
	v_and_b32_e32 v20, 0xffff, v25
	s_delay_alu instid0(VALU_DEP_1) | instskip(SKIP_1) | instid1(VALU_DEP_2)
	v_and_b32_e32 v21, 7, v20
	v_bfe_u32 v29, v20, 3, 4
	v_clz_i32_u32_e32 v27, v21
	s_delay_alu instid0(VALU_DEP_2) | instskip(NEXT) | instid1(VALU_DEP_2)
	v_cmp_eq_u32_e32 vcc_lo, 0, v29
	v_min_u32_e32 v27, 32, v27
	s_delay_alu instid0(VALU_DEP_1) | instskip(NEXT) | instid1(VALU_DEP_1)
	v_subrev_nc_u32_e32 v28, 28, v27
	v_dual_lshlrev_b32 v20, v28, v20 :: v_dual_sub_nc_u32 v27, 29, v27
	s_delay_alu instid0(VALU_DEP_1) | instskip(NEXT) | instid1(VALU_DEP_2)
	v_dual_lshlrev_b32 v25, 24, v25 :: v_dual_bitop2_b32 v20, 7, v20 bitop3:0x40
	v_cndmask_b32_e32 v27, v29, v27, vcc_lo
	s_delay_alu instid0(VALU_DEP_2) | instskip(NEXT) | instid1(VALU_DEP_3)
	v_cndmask_b32_e32 v20, v21, v20, vcc_lo
	v_and_b32_e32 v21, 0x80000000, v25
	s_delay_alu instid0(VALU_DEP_3) | instskip(NEXT) | instid1(VALU_DEP_3)
	v_lshl_add_u32 v25, v27, 23, 0x3b800000
	v_lshlrev_b32_e32 v20, 20, v20
	s_delay_alu instid0(VALU_DEP_1) | instskip(NEXT) | instid1(VALU_DEP_1)
	v_or3_b32 v20, v21, v25, v20
	v_cvt_f64_f32_e32 v[20:21], v20
.LBB110_3411:
	s_or_b32 exec_lo, exec_lo, s9
.LBB110_3412:
	s_mov_b32 s8, -1
.LBB110_3413:
	s_mov_b32 s9, 0
.LBB110_3414:
	s_delay_alu instid0(SALU_CYCLE_1)
	s_and_b32 vcc_lo, exec_lo, s9
	s_cbranch_vccz .LBB110_3447
; %bb.3415:
	s_cmp_gt_i32 s1, 22
	s_cbranch_scc0 .LBB110_3425
; %bb.3416:
	s_cmp_lt_i32 s1, 24
	s_cbranch_scc1 .LBB110_3428
; %bb.3417:
	s_cmp_gt_i32 s1, 24
	s_cbranch_scc0 .LBB110_3429
; %bb.3418:
	global_load_u8 v25, v[22:23], off
	s_mov_b32 s8, exec_lo
	s_wait_loadcnt 0x0
	v_cmpx_lt_i16_e32 0x7f, v25
	s_xor_b32 s8, exec_lo, s8
	s_cbranch_execz .LBB110_3441
; %bb.3419:
	s_mov_b32 s7, -1
	s_mov_b32 s9, exec_lo
	v_cmpx_eq_u16_e32 0x80, v25
; %bb.3420:
	s_xor_b32 s7, exec_lo, -1
; %bb.3421:
	s_or_b32 exec_lo, exec_lo, s9
	s_delay_alu instid0(SALU_CYCLE_1)
	s_and_b32 s7, s7, exec_lo
	s_or_saveexec_b32 s8, s8
	v_mov_b64_e32 v[20:21], 0x7ff8000020000000
	s_xor_b32 exec_lo, exec_lo, s8
	s_cbranch_execnz .LBB110_3442
.LBB110_3422:
	s_or_b32 exec_lo, exec_lo, s8
	s_and_saveexec_b32 s8, s7
	s_cbranch_execz .LBB110_3424
.LBB110_3423:
	v_and_b32_e32 v20, 0xffff, v25
	s_delay_alu instid0(VALU_DEP_1) | instskip(SKIP_1) | instid1(VALU_DEP_2)
	v_and_b32_e32 v21, 3, v20
	v_bfe_u32 v29, v20, 2, 5
	v_clz_i32_u32_e32 v27, v21
	s_delay_alu instid0(VALU_DEP_2) | instskip(NEXT) | instid1(VALU_DEP_2)
	v_cmp_eq_u32_e32 vcc_lo, 0, v29
	v_min_u32_e32 v27, 32, v27
	s_delay_alu instid0(VALU_DEP_1) | instskip(NEXT) | instid1(VALU_DEP_1)
	v_subrev_nc_u32_e32 v28, 29, v27
	v_dual_lshlrev_b32 v20, v28, v20 :: v_dual_sub_nc_u32 v27, 30, v27
	s_delay_alu instid0(VALU_DEP_1) | instskip(NEXT) | instid1(VALU_DEP_2)
	v_dual_lshlrev_b32 v25, 24, v25 :: v_dual_bitop2_b32 v20, 3, v20 bitop3:0x40
	v_cndmask_b32_e32 v27, v29, v27, vcc_lo
	s_delay_alu instid0(VALU_DEP_2) | instskip(NEXT) | instid1(VALU_DEP_3)
	v_cndmask_b32_e32 v20, v21, v20, vcc_lo
	v_and_b32_e32 v21, 0x80000000, v25
	s_delay_alu instid0(VALU_DEP_3) | instskip(NEXT) | instid1(VALU_DEP_3)
	v_lshl_add_u32 v25, v27, 23, 0x37800000
	v_lshlrev_b32_e32 v20, 21, v20
	s_delay_alu instid0(VALU_DEP_1) | instskip(NEXT) | instid1(VALU_DEP_1)
	v_or3_b32 v20, v21, v25, v20
	v_cvt_f64_f32_e32 v[20:21], v20
.LBB110_3424:
	s_or_b32 exec_lo, exec_lo, s8
	s_mov_b32 s7, 0
	s_branch .LBB110_3430
.LBB110_3425:
	s_mov_b32 s7, -1
                                        ; implicit-def: $vgpr20_vgpr21
	s_branch .LBB110_3436
.LBB110_3426:
	s_or_saveexec_b32 s9, s9
	v_mov_b64_e32 v[20:21], 0x7ff8000020000000
	s_xor_b32 exec_lo, exec_lo, s9
	s_cbranch_execz .LBB110_3409
.LBB110_3427:
	v_cmp_ne_u16_e32 vcc_lo, 0, v25
	v_mov_b64_e32 v[20:21], 0
	s_and_not1_b32 s8, s8, exec_lo
	s_and_b32 s13, vcc_lo, exec_lo
	s_delay_alu instid0(SALU_CYCLE_1)
	s_or_b32 s8, s8, s13
	s_or_b32 exec_lo, exec_lo, s9
	s_and_saveexec_b32 s9, s8
	s_cbranch_execnz .LBB110_3410
	s_branch .LBB110_3411
.LBB110_3428:
	s_mov_b32 s7, -1
                                        ; implicit-def: $vgpr20_vgpr21
	s_branch .LBB110_3433
.LBB110_3429:
	s_mov_b32 s7, -1
                                        ; implicit-def: $vgpr20_vgpr21
.LBB110_3430:
	s_delay_alu instid0(SALU_CYCLE_1)
	s_and_b32 vcc_lo, exec_lo, s7
	s_cbranch_vccz .LBB110_3432
; %bb.3431:
	global_load_u8 v20, v[22:23], off
	s_wait_loadcnt 0x0
	v_lshlrev_b32_e32 v20, 24, v20
	s_delay_alu instid0(VALU_DEP_1) | instskip(NEXT) | instid1(VALU_DEP_1)
	v_and_b32_e32 v21, 0x7f000000, v20
	v_clz_i32_u32_e32 v25, v21
	v_add_nc_u32_e32 v28, 0x1000000, v21
	v_cmp_ne_u32_e32 vcc_lo, 0, v21
	s_delay_alu instid0(VALU_DEP_3) | instskip(NEXT) | instid1(VALU_DEP_1)
	v_min_u32_e32 v25, 32, v25
	v_sub_nc_u32_e64 v25, v25, 4 clamp
	s_delay_alu instid0(VALU_DEP_1) | instskip(NEXT) | instid1(VALU_DEP_1)
	v_lshlrev_b32_e32 v27, v25, v21
	v_dual_lshlrev_b32 v25, 23, v25 :: v_dual_lshrrev_b32 v27, 4, v27
	s_delay_alu instid0(VALU_DEP_1) | instskip(NEXT) | instid1(VALU_DEP_1)
	v_dual_sub_nc_u32 v25, v27, v25 :: v_dual_ashrrev_i32 v27, 8, v28
	v_add_nc_u32_e32 v25, 0x3c000000, v25
	s_delay_alu instid0(VALU_DEP_1) | instskip(NEXT) | instid1(VALU_DEP_1)
	v_and_or_b32 v25, 0x7f800000, v27, v25
	v_cndmask_b32_e32 v21, 0, v25, vcc_lo
	s_delay_alu instid0(VALU_DEP_1) | instskip(NEXT) | instid1(VALU_DEP_1)
	v_and_or_b32 v20, 0x80000000, v20, v21
	v_cvt_f64_f32_e32 v[20:21], v20
.LBB110_3432:
	s_mov_b32 s7, 0
.LBB110_3433:
	s_delay_alu instid0(SALU_CYCLE_1)
	s_and_not1_b32 vcc_lo, exec_lo, s7
	s_cbranch_vccnz .LBB110_3435
; %bb.3434:
	global_load_u8 v20, v[22:23], off
	s_wait_loadcnt 0x0
	v_lshlrev_b32_e32 v21, 25, v20
	v_lshlrev_b16 v20, 8, v20
	s_delay_alu instid0(VALU_DEP_1) | instskip(SKIP_1) | instid1(VALU_DEP_2)
	v_and_or_b32 v27, 0x7f00, v20, 0.5
	v_bfe_i32 v20, v20, 0, 16
	v_dual_add_f32 v27, -0.5, v27 :: v_dual_lshrrev_b32 v25, 4, v21
	v_cmp_gt_u32_e32 vcc_lo, 0x8000000, v21
	s_delay_alu instid0(VALU_DEP_2) | instskip(NEXT) | instid1(VALU_DEP_1)
	v_or_b32_e32 v25, 0x70000000, v25
	v_mul_f32_e32 v25, 0x7800000, v25
	s_delay_alu instid0(VALU_DEP_1) | instskip(NEXT) | instid1(VALU_DEP_1)
	v_cndmask_b32_e32 v21, v25, v27, vcc_lo
	v_and_or_b32 v20, 0x80000000, v20, v21
	s_delay_alu instid0(VALU_DEP_1)
	v_cvt_f64_f32_e32 v[20:21], v20
.LBB110_3435:
	s_mov_b32 s7, 0
	s_mov_b32 s8, -1
.LBB110_3436:
	s_and_not1_b32 vcc_lo, exec_lo, s7
	s_mov_b32 s7, 0
	s_cbranch_vccnz .LBB110_3447
; %bb.3437:
	s_cmp_gt_i32 s1, 14
	s_cbranch_scc0 .LBB110_3440
; %bb.3438:
	s_cmp_eq_u32 s1, 15
	s_cbranch_scc0 .LBB110_3443
; %bb.3439:
	global_load_u16 v20, v[22:23], off
	s_mov_b32 s6, 0
	s_mov_b32 s8, -1
	s_wait_loadcnt 0x0
	v_lshlrev_b32_e32 v20, 16, v20
	s_delay_alu instid0(VALU_DEP_1)
	v_cvt_f64_f32_e32 v[20:21], v20
	s_branch .LBB110_3445
.LBB110_3440:
	s_mov_b32 s7, -1
	s_branch .LBB110_3444
.LBB110_3441:
	s_or_saveexec_b32 s8, s8
	v_mov_b64_e32 v[20:21], 0x7ff8000020000000
	s_xor_b32 exec_lo, exec_lo, s8
	s_cbranch_execz .LBB110_3422
.LBB110_3442:
	v_cmp_ne_u16_e32 vcc_lo, 0, v25
	v_mov_b64_e32 v[20:21], 0
	s_and_not1_b32 s7, s7, exec_lo
	s_and_b32 s9, vcc_lo, exec_lo
	s_delay_alu instid0(SALU_CYCLE_1)
	s_or_b32 s7, s7, s9
	s_or_b32 exec_lo, exec_lo, s8
	s_and_saveexec_b32 s8, s7
	s_cbranch_execnz .LBB110_3423
	s_branch .LBB110_3424
.LBB110_3443:
	s_mov_b32 s6, -1
.LBB110_3444:
                                        ; implicit-def: $vgpr20_vgpr21
.LBB110_3445:
	s_and_b32 vcc_lo, exec_lo, s7
	s_mov_b32 s7, 0
	s_cbranch_vccz .LBB110_3447
; %bb.3446:
	s_cmp_lg_u32 s1, 11
	s_mov_b32 s7, -1
	s_cselect_b32 s6, -1, 0
.LBB110_3447:
	s_delay_alu instid0(SALU_CYCLE_1)
	s_and_b32 vcc_lo, exec_lo, s6
	s_cbranch_vccnz .LBB110_3512
; %bb.3448:
	s_and_not1_b32 vcc_lo, exec_lo, s7
	s_cbranch_vccnz .LBB110_3450
.LBB110_3449:
	global_load_u8 v20, v[22:23], off
	s_mov_b32 s8, -1
	s_wait_loadcnt 0x0
	v_cmp_ne_u16_e32 vcc_lo, 0, v20
	v_mov_b32_e32 v20, 0
	v_cndmask_b32_e64 v21, 0, 0x3ff00000, vcc_lo
.LBB110_3450:
	s_mov_b32 s1, 0
.LBB110_3451:
	s_delay_alu instid0(SALU_CYCLE_1)
	s_and_b32 vcc_lo, exec_lo, s1
	s_cbranch_vccz .LBB110_3500
; %bb.3452:
	s_and_b32 s1, 0xffff, s3
	s_delay_alu instid0(SALU_CYCLE_1)
	s_cmp_lt_i32 s1, 5
	s_cbranch_scc1 .LBB110_3457
; %bb.3453:
	s_cmp_lt_i32 s1, 8
	s_cbranch_scc1 .LBB110_3458
; %bb.3454:
	;; [unrolled: 3-line block ×3, first 2 shown]
	s_cmp_gt_i32 s1, 9
	s_cbranch_scc0 .LBB110_3460
; %bb.3456:
	global_load_b64 v[20:21], v[22:23], off
	s_mov_b32 s3, 0
	s_branch .LBB110_3461
.LBB110_3457:
	s_mov_b32 s3, -1
                                        ; implicit-def: $vgpr20_vgpr21
	s_branch .LBB110_3479
.LBB110_3458:
	s_mov_b32 s3, -1
                                        ; implicit-def: $vgpr20_vgpr21
	s_branch .LBB110_3467
.LBB110_3459:
	s_mov_b32 s3, -1
                                        ; implicit-def: $vgpr20_vgpr21
	s_branch .LBB110_3464
.LBB110_3460:
	s_mov_b32 s3, -1
                                        ; implicit-def: $vgpr20_vgpr21
.LBB110_3461:
	s_delay_alu instid0(SALU_CYCLE_1)
	s_and_not1_b32 vcc_lo, exec_lo, s3
	s_cbranch_vccnz .LBB110_3463
; %bb.3462:
	s_wait_loadcnt 0x0
	global_load_b32 v20, v[22:23], off
	s_wait_loadcnt 0x0
	v_cvt_f64_f32_e32 v[20:21], v20
.LBB110_3463:
	s_mov_b32 s3, 0
.LBB110_3464:
	s_delay_alu instid0(SALU_CYCLE_1)
	s_and_not1_b32 vcc_lo, exec_lo, s3
	s_cbranch_vccnz .LBB110_3466
; %bb.3465:
	s_wait_loadcnt 0x0
	global_load_b32 v20, v[22:23], off
	s_wait_loadcnt 0x0
	v_cvt_f32_f16_e32 v20, v20
	s_delay_alu instid0(VALU_DEP_1)
	v_cvt_f64_f32_e32 v[20:21], v20
.LBB110_3466:
	s_mov_b32 s3, 0
.LBB110_3467:
	s_delay_alu instid0(SALU_CYCLE_1)
	s_and_not1_b32 vcc_lo, exec_lo, s3
	s_cbranch_vccnz .LBB110_3478
; %bb.3468:
	s_cmp_lt_i32 s1, 6
	s_cbranch_scc1 .LBB110_3471
; %bb.3469:
	s_cmp_gt_i32 s1, 6
	s_cbranch_scc0 .LBB110_3472
; %bb.3470:
	s_wait_loadcnt 0x0
	global_load_b64 v[20:21], v[22:23], off
	s_mov_b32 s3, 0
	s_branch .LBB110_3473
.LBB110_3471:
	s_mov_b32 s3, -1
                                        ; implicit-def: $vgpr20_vgpr21
	s_branch .LBB110_3476
.LBB110_3472:
	s_mov_b32 s3, -1
                                        ; implicit-def: $vgpr20_vgpr21
.LBB110_3473:
	s_delay_alu instid0(SALU_CYCLE_1)
	s_and_not1_b32 vcc_lo, exec_lo, s3
	s_cbranch_vccnz .LBB110_3475
; %bb.3474:
	s_wait_loadcnt 0x0
	global_load_b32 v20, v[22:23], off
	s_wait_loadcnt 0x0
	v_cvt_f64_f32_e32 v[20:21], v20
.LBB110_3475:
	s_mov_b32 s3, 0
.LBB110_3476:
	s_delay_alu instid0(SALU_CYCLE_1)
	s_and_not1_b32 vcc_lo, exec_lo, s3
	s_cbranch_vccnz .LBB110_3478
; %bb.3477:
	s_wait_loadcnt 0x0
	global_load_u16 v20, v[22:23], off
	s_wait_loadcnt 0x0
	v_cvt_f32_f16_e32 v20, v20
	s_delay_alu instid0(VALU_DEP_1)
	v_cvt_f64_f32_e32 v[20:21], v20
.LBB110_3478:
	s_mov_b32 s3, 0
.LBB110_3479:
	s_delay_alu instid0(SALU_CYCLE_1)
	s_and_not1_b32 vcc_lo, exec_lo, s3
	s_cbranch_vccnz .LBB110_3499
; %bb.3480:
	s_cmp_lt_i32 s1, 2
	s_cbranch_scc1 .LBB110_3484
; %bb.3481:
	s_cmp_lt_i32 s1, 3
	s_cbranch_scc1 .LBB110_3485
; %bb.3482:
	s_cmp_gt_i32 s1, 3
	s_cbranch_scc0 .LBB110_3486
; %bb.3483:
	s_wait_loadcnt 0x0
	global_load_b64 v[20:21], v[22:23], off
	s_mov_b32 s3, 0
	s_wait_loadcnt 0x0
	v_cvt_f64_i32_e32 v[28:29], v21
	v_cvt_f64_u32_e32 v[20:21], v20
	s_delay_alu instid0(VALU_DEP_2) | instskip(NEXT) | instid1(VALU_DEP_1)
	v_ldexp_f64 v[28:29], v[28:29], 32
	v_add_f64_e32 v[20:21], v[28:29], v[20:21]
	s_branch .LBB110_3487
.LBB110_3484:
	s_mov_b32 s3, -1
                                        ; implicit-def: $vgpr20_vgpr21
	s_branch .LBB110_3493
.LBB110_3485:
	s_mov_b32 s3, -1
                                        ; implicit-def: $vgpr20_vgpr21
	s_branch .LBB110_3490
.LBB110_3486:
	s_mov_b32 s3, -1
                                        ; implicit-def: $vgpr20_vgpr21
.LBB110_3487:
	s_delay_alu instid0(SALU_CYCLE_1)
	s_and_not1_b32 vcc_lo, exec_lo, s3
	s_cbranch_vccnz .LBB110_3489
; %bb.3488:
	s_wait_loadcnt 0x0
	global_load_b32 v20, v[22:23], off
	s_wait_loadcnt 0x0
	v_cvt_f64_i32_e32 v[20:21], v20
.LBB110_3489:
	s_mov_b32 s3, 0
.LBB110_3490:
	s_delay_alu instid0(SALU_CYCLE_1)
	s_and_not1_b32 vcc_lo, exec_lo, s3
	s_cbranch_vccnz .LBB110_3492
; %bb.3491:
	s_wait_loadcnt 0x0
	global_load_i16 v20, v[22:23], off
	s_wait_loadcnt 0x0
	v_cvt_f64_i32_e32 v[20:21], v20
.LBB110_3492:
	s_mov_b32 s3, 0
.LBB110_3493:
	s_delay_alu instid0(SALU_CYCLE_1)
	s_and_not1_b32 vcc_lo, exec_lo, s3
	s_cbranch_vccnz .LBB110_3499
; %bb.3494:
	s_cmp_gt_i32 s1, 0
	s_mov_b32 s1, 0
	s_cbranch_scc0 .LBB110_3496
; %bb.3495:
	s_wait_loadcnt 0x0
	global_load_i8 v20, v[22:23], off
	s_wait_loadcnt 0x0
	v_cvt_f64_i32_e32 v[20:21], v20
	s_branch .LBB110_3497
.LBB110_3496:
	s_mov_b32 s1, -1
                                        ; implicit-def: $vgpr20_vgpr21
.LBB110_3497:
	s_delay_alu instid0(SALU_CYCLE_1)
	s_and_not1_b32 vcc_lo, exec_lo, s1
	s_cbranch_vccnz .LBB110_3499
; %bb.3498:
	s_wait_loadcnt 0x0
	global_load_u8 v20, v[22:23], off
	s_wait_loadcnt 0x0
	v_cvt_f64_u32_e32 v[20:21], v20
.LBB110_3499:
	s_mov_b32 s8, -1
.LBB110_3500:
	s_delay_alu instid0(SALU_CYCLE_1)
	s_and_not1_b32 vcc_lo, exec_lo, s8
	s_cbranch_vccnz .LBB110_4065
; %bb.3501:
	s_wait_xcnt 0x0
	v_add_nc_u32_e32 v22, s14, v24
	s_cmp_lt_i32 s0, 11
	s_delay_alu instid0(VALU_DEP_1) | instskip(NEXT) | instid1(VALU_DEP_1)
	v_ashrrev_i32_e32 v23, 31, v22
	v_add_nc_u64_e32 v[24:25], s[10:11], v[22:23]
	s_cbranch_scc1 .LBB110_3508
; %bb.3502:
	s_cmp_gt_i32 s0, 25
	s_mov_b32 s3, 0
	s_cbranch_scc0 .LBB110_3509
; %bb.3503:
	s_cmp_gt_i32 s0, 28
	s_cbranch_scc0 .LBB110_3510
; %bb.3504:
	s_cmp_gt_i32 s0, 43
	;; [unrolled: 3-line block ×3, first 2 shown]
	s_cbranch_scc0 .LBB110_3513
; %bb.3506:
	s_cmp_eq_u32 s0, 46
	s_mov_b32 s7, 0
	s_cbranch_scc0 .LBB110_3514
; %bb.3507:
	global_load_b32 v22, v[24:25], off
	s_mov_b32 s1, 0
	s_mov_b32 s6, -1
	s_wait_loadcnt 0x0
	v_lshlrev_b32_e32 v22, 16, v22
	s_delay_alu instid0(VALU_DEP_1)
	v_cvt_f64_f32_e32 v[22:23], v22
	s_branch .LBB110_3516
.LBB110_3508:
	s_mov_b32 s1, -1
	s_mov_b32 s6, 0
                                        ; implicit-def: $vgpr22_vgpr23
	s_branch .LBB110_3582
.LBB110_3509:
	s_mov_b32 s7, -1
	s_mov_b32 s6, 0
	s_mov_b32 s1, 0
                                        ; implicit-def: $vgpr22_vgpr23
	s_branch .LBB110_3545
.LBB110_3510:
	s_mov_b32 s7, -1
	s_mov_b32 s6, 0
	s_mov_b32 s1, 0
                                        ; implicit-def: $vgpr22_vgpr23
	s_branch .LBB110_3526
.LBB110_3511:
	s_mov_b32 s7, -1
	s_mov_b32 s6, 0
	s_mov_b32 s1, 0
                                        ; implicit-def: $vgpr22_vgpr23
	s_branch .LBB110_3521
.LBB110_3512:
	s_or_b32 s20, s20, exec_lo
	s_trap 2
	s_cbranch_execz .LBB110_3449
	s_branch .LBB110_3450
.LBB110_3513:
	s_mov_b32 s7, -1
	s_mov_b32 s6, 0
	s_mov_b32 s1, 0
	s_branch .LBB110_3515
.LBB110_3514:
	s_mov_b32 s1, -1
	s_mov_b32 s6, 0
.LBB110_3515:
                                        ; implicit-def: $vgpr22_vgpr23
.LBB110_3516:
	s_and_b32 vcc_lo, exec_lo, s7
	s_cbranch_vccz .LBB110_3520
; %bb.3517:
	s_cmp_eq_u32 s0, 44
	s_cbranch_scc0 .LBB110_3519
; %bb.3518:
	global_load_u8 v27, v[24:25], off
	s_mov_b32 s1, 0
	s_mov_b32 s6, -1
	s_wait_loadcnt 0x0
	v_lshlrev_b32_e32 v22, 23, v27
	v_cmp_ne_u32_e32 vcc_lo, 0xff, v27
	s_delay_alu instid0(VALU_DEP_2) | instskip(NEXT) | instid1(VALU_DEP_1)
	v_cvt_f64_f32_e32 v[22:23], v22
	v_cndmask_b32_e32 v22, 0x20000000, v22, vcc_lo
	s_delay_alu instid0(VALU_DEP_2) | instskip(SKIP_1) | instid1(VALU_DEP_2)
	v_cndmask_b32_e32 v23, 0x7ff80000, v23, vcc_lo
	v_cmp_ne_u32_e32 vcc_lo, 0, v27
	v_cndmask_b32_e32 v23, 0x38000000, v23, vcc_lo
	s_delay_alu instid0(VALU_DEP_4)
	v_cndmask_b32_e32 v22, 0, v22, vcc_lo
	s_branch .LBB110_3520
.LBB110_3519:
	s_mov_b32 s1, -1
                                        ; implicit-def: $vgpr22_vgpr23
.LBB110_3520:
	s_mov_b32 s7, 0
.LBB110_3521:
	s_delay_alu instid0(SALU_CYCLE_1)
	s_and_b32 vcc_lo, exec_lo, s7
	s_cbranch_vccz .LBB110_3525
; %bb.3522:
	s_cmp_eq_u32 s0, 29
	s_cbranch_scc0 .LBB110_3524
; %bb.3523:
	global_load_b64 v[22:23], v[24:25], off
	s_mov_b32 s1, 0
	s_mov_b32 s6, -1
	s_mov_b32 s7, 0
	s_wait_loadcnt 0x0
	v_cvt_f64_u32_e32 v[28:29], v23
	v_cvt_f64_u32_e32 v[22:23], v22
	s_delay_alu instid0(VALU_DEP_2) | instskip(NEXT) | instid1(VALU_DEP_1)
	v_ldexp_f64 v[28:29], v[28:29], 32
	v_add_f64_e32 v[22:23], v[28:29], v[22:23]
	s_branch .LBB110_3526
.LBB110_3524:
	s_mov_b32 s1, -1
                                        ; implicit-def: $vgpr22_vgpr23
.LBB110_3525:
	s_mov_b32 s7, 0
.LBB110_3526:
	s_delay_alu instid0(SALU_CYCLE_1)
	s_and_b32 vcc_lo, exec_lo, s7
	s_cbranch_vccz .LBB110_3544
; %bb.3527:
	s_cmp_lt_i32 s0, 27
	s_cbranch_scc1 .LBB110_3530
; %bb.3528:
	s_cmp_gt_i32 s0, 27
	s_cbranch_scc0 .LBB110_3531
; %bb.3529:
	global_load_b32 v22, v[24:25], off
	s_mov_b32 s6, 0
	s_wait_loadcnt 0x0
	v_cvt_f64_u32_e32 v[22:23], v22
	s_branch .LBB110_3532
.LBB110_3530:
	s_mov_b32 s6, -1
                                        ; implicit-def: $vgpr22_vgpr23
	s_branch .LBB110_3535
.LBB110_3531:
	s_mov_b32 s6, -1
                                        ; implicit-def: $vgpr22_vgpr23
.LBB110_3532:
	s_delay_alu instid0(SALU_CYCLE_1)
	s_and_not1_b32 vcc_lo, exec_lo, s6
	s_cbranch_vccnz .LBB110_3534
; %bb.3533:
	global_load_u16 v22, v[24:25], off
	s_wait_loadcnt 0x0
	v_cvt_f64_u32_e32 v[22:23], v22
.LBB110_3534:
	s_mov_b32 s6, 0
.LBB110_3535:
	s_delay_alu instid0(SALU_CYCLE_1)
	s_and_not1_b32 vcc_lo, exec_lo, s6
	s_cbranch_vccnz .LBB110_3543
; %bb.3536:
	global_load_u8 v27, v[24:25], off
	s_mov_b32 s6, 0
	s_mov_b32 s7, exec_lo
	s_wait_loadcnt 0x0
	v_cmpx_lt_i16_e32 0x7f, v27
	s_xor_b32 s7, exec_lo, s7
	s_cbranch_execz .LBB110_3557
; %bb.3537:
	s_mov_b32 s6, -1
	s_mov_b32 s8, exec_lo
	v_cmpx_eq_u16_e32 0x80, v27
; %bb.3538:
	s_xor_b32 s6, exec_lo, -1
; %bb.3539:
	s_or_b32 exec_lo, exec_lo, s8
	s_delay_alu instid0(SALU_CYCLE_1)
	s_and_b32 s6, s6, exec_lo
	s_or_saveexec_b32 s7, s7
	v_mov_b64_e32 v[22:23], 0x7ff8000020000000
	s_xor_b32 exec_lo, exec_lo, s7
	s_cbranch_execnz .LBB110_3558
.LBB110_3540:
	s_or_b32 exec_lo, exec_lo, s7
	s_and_saveexec_b32 s7, s6
	s_cbranch_execz .LBB110_3542
.LBB110_3541:
	v_and_b32_e32 v22, 0xffff, v27
	s_delay_alu instid0(VALU_DEP_1) | instskip(SKIP_1) | instid1(VALU_DEP_2)
	v_and_b32_e32 v23, 7, v22
	v_bfe_u32 v30, v22, 3, 4
	v_clz_i32_u32_e32 v28, v23
	s_delay_alu instid0(VALU_DEP_2) | instskip(NEXT) | instid1(VALU_DEP_2)
	v_cmp_eq_u32_e32 vcc_lo, 0, v30
	v_min_u32_e32 v28, 32, v28
	s_delay_alu instid0(VALU_DEP_1) | instskip(NEXT) | instid1(VALU_DEP_1)
	v_subrev_nc_u32_e32 v29, 28, v28
	v_dual_lshlrev_b32 v22, v29, v22 :: v_dual_sub_nc_u32 v28, 29, v28
	s_delay_alu instid0(VALU_DEP_1) | instskip(NEXT) | instid1(VALU_DEP_1)
	v_dual_lshlrev_b32 v27, 24, v27 :: v_dual_bitop2_b32 v22, 7, v22 bitop3:0x40
	v_dual_cndmask_b32 v28, v30, v28, vcc_lo :: v_dual_cndmask_b32 v22, v23, v22, vcc_lo
	s_delay_alu instid0(VALU_DEP_2) | instskip(NEXT) | instid1(VALU_DEP_2)
	v_and_b32_e32 v23, 0x80000000, v27
	v_lshl_add_u32 v27, v28, 23, 0x3b800000
	s_delay_alu instid0(VALU_DEP_3) | instskip(NEXT) | instid1(VALU_DEP_1)
	v_lshlrev_b32_e32 v22, 20, v22
	v_or3_b32 v22, v23, v27, v22
	s_delay_alu instid0(VALU_DEP_1)
	v_cvt_f64_f32_e32 v[22:23], v22
.LBB110_3542:
	s_or_b32 exec_lo, exec_lo, s7
.LBB110_3543:
	s_mov_b32 s6, -1
.LBB110_3544:
	s_mov_b32 s7, 0
.LBB110_3545:
	s_delay_alu instid0(SALU_CYCLE_1)
	s_and_b32 vcc_lo, exec_lo, s7
	s_cbranch_vccz .LBB110_3578
; %bb.3546:
	s_cmp_gt_i32 s0, 22
	s_cbranch_scc0 .LBB110_3556
; %bb.3547:
	s_cmp_lt_i32 s0, 24
	s_cbranch_scc1 .LBB110_3559
; %bb.3548:
	s_cmp_gt_i32 s0, 24
	s_cbranch_scc0 .LBB110_3560
; %bb.3549:
	global_load_u8 v27, v[24:25], off
	s_mov_b32 s6, exec_lo
	s_wait_loadcnt 0x0
	v_cmpx_lt_i16_e32 0x7f, v27
	s_xor_b32 s6, exec_lo, s6
	s_cbranch_execz .LBB110_3572
; %bb.3550:
	s_mov_b32 s3, -1
	s_mov_b32 s7, exec_lo
	v_cmpx_eq_u16_e32 0x80, v27
; %bb.3551:
	s_xor_b32 s3, exec_lo, -1
; %bb.3552:
	s_or_b32 exec_lo, exec_lo, s7
	s_delay_alu instid0(SALU_CYCLE_1)
	s_and_b32 s3, s3, exec_lo
	s_or_saveexec_b32 s6, s6
	v_mov_b64_e32 v[22:23], 0x7ff8000020000000
	s_xor_b32 exec_lo, exec_lo, s6
	s_cbranch_execnz .LBB110_3573
.LBB110_3553:
	s_or_b32 exec_lo, exec_lo, s6
	s_and_saveexec_b32 s6, s3
	s_cbranch_execz .LBB110_3555
.LBB110_3554:
	v_and_b32_e32 v22, 0xffff, v27
	s_delay_alu instid0(VALU_DEP_1) | instskip(SKIP_1) | instid1(VALU_DEP_2)
	v_and_b32_e32 v23, 3, v22
	v_bfe_u32 v30, v22, 2, 5
	v_clz_i32_u32_e32 v28, v23
	s_delay_alu instid0(VALU_DEP_2) | instskip(NEXT) | instid1(VALU_DEP_2)
	v_cmp_eq_u32_e32 vcc_lo, 0, v30
	v_min_u32_e32 v28, 32, v28
	s_delay_alu instid0(VALU_DEP_1) | instskip(NEXT) | instid1(VALU_DEP_1)
	v_subrev_nc_u32_e32 v29, 29, v28
	v_dual_lshlrev_b32 v22, v29, v22 :: v_dual_sub_nc_u32 v28, 30, v28
	s_delay_alu instid0(VALU_DEP_1) | instskip(NEXT) | instid1(VALU_DEP_1)
	v_dual_lshlrev_b32 v27, 24, v27 :: v_dual_bitop2_b32 v22, 3, v22 bitop3:0x40
	v_dual_cndmask_b32 v28, v30, v28, vcc_lo :: v_dual_cndmask_b32 v22, v23, v22, vcc_lo
	s_delay_alu instid0(VALU_DEP_2) | instskip(NEXT) | instid1(VALU_DEP_2)
	v_and_b32_e32 v23, 0x80000000, v27
	v_lshl_add_u32 v27, v28, 23, 0x37800000
	s_delay_alu instid0(VALU_DEP_3) | instskip(NEXT) | instid1(VALU_DEP_1)
	v_lshlrev_b32_e32 v22, 21, v22
	v_or3_b32 v22, v23, v27, v22
	s_delay_alu instid0(VALU_DEP_1)
	v_cvt_f64_f32_e32 v[22:23], v22
.LBB110_3555:
	s_or_b32 exec_lo, exec_lo, s6
	s_mov_b32 s3, 0
	s_branch .LBB110_3561
.LBB110_3556:
	s_mov_b32 s3, -1
                                        ; implicit-def: $vgpr22_vgpr23
	s_branch .LBB110_3567
.LBB110_3557:
	s_or_saveexec_b32 s7, s7
	v_mov_b64_e32 v[22:23], 0x7ff8000020000000
	s_xor_b32 exec_lo, exec_lo, s7
	s_cbranch_execz .LBB110_3540
.LBB110_3558:
	v_cmp_ne_u16_e32 vcc_lo, 0, v27
	v_mov_b64_e32 v[22:23], 0
	s_and_not1_b32 s6, s6, exec_lo
	s_and_b32 s8, vcc_lo, exec_lo
	s_delay_alu instid0(SALU_CYCLE_1)
	s_or_b32 s6, s6, s8
	s_or_b32 exec_lo, exec_lo, s7
	s_and_saveexec_b32 s7, s6
	s_cbranch_execnz .LBB110_3541
	s_branch .LBB110_3542
.LBB110_3559:
	s_mov_b32 s3, -1
                                        ; implicit-def: $vgpr22_vgpr23
	s_branch .LBB110_3564
.LBB110_3560:
	s_mov_b32 s3, -1
                                        ; implicit-def: $vgpr22_vgpr23
.LBB110_3561:
	s_delay_alu instid0(SALU_CYCLE_1)
	s_and_b32 vcc_lo, exec_lo, s3
	s_cbranch_vccz .LBB110_3563
; %bb.3562:
	global_load_u8 v22, v[24:25], off
	s_wait_loadcnt 0x0
	v_lshlrev_b32_e32 v22, 24, v22
	s_delay_alu instid0(VALU_DEP_1) | instskip(NEXT) | instid1(VALU_DEP_1)
	v_and_b32_e32 v23, 0x7f000000, v22
	v_clz_i32_u32_e32 v27, v23
	v_add_nc_u32_e32 v29, 0x1000000, v23
	v_cmp_ne_u32_e32 vcc_lo, 0, v23
	s_delay_alu instid0(VALU_DEP_3) | instskip(NEXT) | instid1(VALU_DEP_1)
	v_min_u32_e32 v27, 32, v27
	v_sub_nc_u32_e64 v27, v27, 4 clamp
	s_delay_alu instid0(VALU_DEP_1) | instskip(NEXT) | instid1(VALU_DEP_1)
	v_lshlrev_b32_e32 v28, v27, v23
	v_dual_lshlrev_b32 v27, 23, v27 :: v_dual_lshrrev_b32 v28, 4, v28
	s_delay_alu instid0(VALU_DEP_1) | instskip(NEXT) | instid1(VALU_DEP_1)
	v_dual_sub_nc_u32 v27, v28, v27 :: v_dual_ashrrev_i32 v28, 8, v29
	v_add_nc_u32_e32 v27, 0x3c000000, v27
	s_delay_alu instid0(VALU_DEP_1) | instskip(NEXT) | instid1(VALU_DEP_1)
	v_and_or_b32 v27, 0x7f800000, v28, v27
	v_cndmask_b32_e32 v23, 0, v27, vcc_lo
	s_delay_alu instid0(VALU_DEP_1) | instskip(NEXT) | instid1(VALU_DEP_1)
	v_and_or_b32 v22, 0x80000000, v22, v23
	v_cvt_f64_f32_e32 v[22:23], v22
.LBB110_3563:
	s_mov_b32 s3, 0
.LBB110_3564:
	s_delay_alu instid0(SALU_CYCLE_1)
	s_and_not1_b32 vcc_lo, exec_lo, s3
	s_cbranch_vccnz .LBB110_3566
; %bb.3565:
	global_load_u8 v22, v[24:25], off
	s_wait_loadcnt 0x0
	v_lshlrev_b32_e32 v23, 25, v22
	v_lshlrev_b16 v22, 8, v22
	s_delay_alu instid0(VALU_DEP_1) | instskip(SKIP_1) | instid1(VALU_DEP_2)
	v_and_or_b32 v28, 0x7f00, v22, 0.5
	v_bfe_i32 v22, v22, 0, 16
	v_dual_add_f32 v28, -0.5, v28 :: v_dual_lshrrev_b32 v27, 4, v23
	v_cmp_gt_u32_e32 vcc_lo, 0x8000000, v23
	s_delay_alu instid0(VALU_DEP_2) | instskip(NEXT) | instid1(VALU_DEP_1)
	v_or_b32_e32 v27, 0x70000000, v27
	v_mul_f32_e32 v27, 0x7800000, v27
	s_delay_alu instid0(VALU_DEP_1) | instskip(NEXT) | instid1(VALU_DEP_1)
	v_cndmask_b32_e32 v23, v27, v28, vcc_lo
	v_and_or_b32 v22, 0x80000000, v22, v23
	s_delay_alu instid0(VALU_DEP_1)
	v_cvt_f64_f32_e32 v[22:23], v22
.LBB110_3566:
	s_mov_b32 s3, 0
	s_mov_b32 s6, -1
.LBB110_3567:
	s_and_not1_b32 vcc_lo, exec_lo, s3
	s_mov_b32 s3, 0
	s_cbranch_vccnz .LBB110_3578
; %bb.3568:
	s_cmp_gt_i32 s0, 14
	s_cbranch_scc0 .LBB110_3571
; %bb.3569:
	s_cmp_eq_u32 s0, 15
	s_cbranch_scc0 .LBB110_3574
; %bb.3570:
	global_load_u16 v22, v[24:25], off
	s_mov_b32 s1, 0
	s_mov_b32 s6, -1
	s_wait_loadcnt 0x0
	v_lshlrev_b32_e32 v22, 16, v22
	s_delay_alu instid0(VALU_DEP_1)
	v_cvt_f64_f32_e32 v[22:23], v22
	s_branch .LBB110_3576
.LBB110_3571:
	s_mov_b32 s3, -1
	s_branch .LBB110_3575
.LBB110_3572:
	s_or_saveexec_b32 s6, s6
	v_mov_b64_e32 v[22:23], 0x7ff8000020000000
	s_xor_b32 exec_lo, exec_lo, s6
	s_cbranch_execz .LBB110_3553
.LBB110_3573:
	v_cmp_ne_u16_e32 vcc_lo, 0, v27
	v_mov_b64_e32 v[22:23], 0
	s_and_not1_b32 s3, s3, exec_lo
	s_and_b32 s7, vcc_lo, exec_lo
	s_delay_alu instid0(SALU_CYCLE_1)
	s_or_b32 s3, s3, s7
	s_or_b32 exec_lo, exec_lo, s6
	s_and_saveexec_b32 s6, s3
	s_cbranch_execnz .LBB110_3554
	s_branch .LBB110_3555
.LBB110_3574:
	s_mov_b32 s1, -1
.LBB110_3575:
                                        ; implicit-def: $vgpr22_vgpr23
.LBB110_3576:
	s_and_b32 vcc_lo, exec_lo, s3
	s_mov_b32 s3, 0
	s_cbranch_vccz .LBB110_3578
; %bb.3577:
	s_cmp_lg_u32 s0, 11
	s_mov_b32 s3, -1
	s_cselect_b32 s1, -1, 0
.LBB110_3578:
	s_delay_alu instid0(SALU_CYCLE_1)
	s_and_b32 vcc_lo, exec_lo, s1
	s_cbranch_vccnz .LBB110_4111
; %bb.3579:
	s_and_not1_b32 vcc_lo, exec_lo, s3
	s_cbranch_vccnz .LBB110_3581
.LBB110_3580:
	global_load_u8 v22, v[24:25], off
	s_mov_b32 s6, -1
	s_wait_loadcnt 0x0
	v_cmp_ne_u16_e32 vcc_lo, 0, v22
	v_mov_b32_e32 v22, 0
	v_cndmask_b32_e64 v23, 0, 0x3ff00000, vcc_lo
.LBB110_3581:
	s_mov_b32 s1, 0
.LBB110_3582:
	s_delay_alu instid0(SALU_CYCLE_1)
	s_and_b32 vcc_lo, exec_lo, s1
	s_cbranch_vccz .LBB110_3631
; %bb.3583:
	s_cmp_lt_i32 s0, 5
	s_cbranch_scc1 .LBB110_3588
; %bb.3584:
	s_cmp_lt_i32 s0, 8
	s_cbranch_scc1 .LBB110_3589
	;; [unrolled: 3-line block ×3, first 2 shown]
; %bb.3586:
	s_cmp_gt_i32 s0, 9
	s_cbranch_scc0 .LBB110_3591
; %bb.3587:
	global_load_b64 v[22:23], v[24:25], off
	s_mov_b32 s1, 0
	s_branch .LBB110_3592
.LBB110_3588:
	s_mov_b32 s1, -1
                                        ; implicit-def: $vgpr22_vgpr23
	s_branch .LBB110_3610
.LBB110_3589:
	s_mov_b32 s1, -1
                                        ; implicit-def: $vgpr22_vgpr23
	s_branch .LBB110_3598
.LBB110_3590:
	s_mov_b32 s1, -1
                                        ; implicit-def: $vgpr22_vgpr23
	s_branch .LBB110_3595
.LBB110_3591:
	s_mov_b32 s1, -1
                                        ; implicit-def: $vgpr22_vgpr23
.LBB110_3592:
	s_delay_alu instid0(SALU_CYCLE_1)
	s_and_not1_b32 vcc_lo, exec_lo, s1
	s_cbranch_vccnz .LBB110_3594
; %bb.3593:
	s_wait_loadcnt 0x0
	global_load_b32 v22, v[24:25], off
	s_wait_loadcnt 0x0
	v_cvt_f64_f32_e32 v[22:23], v22
.LBB110_3594:
	s_mov_b32 s1, 0
.LBB110_3595:
	s_delay_alu instid0(SALU_CYCLE_1)
	s_and_not1_b32 vcc_lo, exec_lo, s1
	s_cbranch_vccnz .LBB110_3597
; %bb.3596:
	s_wait_loadcnt 0x0
	global_load_b32 v22, v[24:25], off
	s_wait_loadcnt 0x0
	v_cvt_f32_f16_e32 v22, v22
	s_delay_alu instid0(VALU_DEP_1)
	v_cvt_f64_f32_e32 v[22:23], v22
.LBB110_3597:
	s_mov_b32 s1, 0
.LBB110_3598:
	s_delay_alu instid0(SALU_CYCLE_1)
	s_and_not1_b32 vcc_lo, exec_lo, s1
	s_cbranch_vccnz .LBB110_3609
; %bb.3599:
	s_cmp_lt_i32 s0, 6
	s_cbranch_scc1 .LBB110_3602
; %bb.3600:
	s_cmp_gt_i32 s0, 6
	s_cbranch_scc0 .LBB110_3603
; %bb.3601:
	s_wait_loadcnt 0x0
	global_load_b64 v[22:23], v[24:25], off
	s_mov_b32 s1, 0
	s_branch .LBB110_3604
.LBB110_3602:
	s_mov_b32 s1, -1
                                        ; implicit-def: $vgpr22_vgpr23
	s_branch .LBB110_3607
.LBB110_3603:
	s_mov_b32 s1, -1
                                        ; implicit-def: $vgpr22_vgpr23
.LBB110_3604:
	s_delay_alu instid0(SALU_CYCLE_1)
	s_and_not1_b32 vcc_lo, exec_lo, s1
	s_cbranch_vccnz .LBB110_3606
; %bb.3605:
	s_wait_loadcnt 0x0
	global_load_b32 v22, v[24:25], off
	s_wait_loadcnt 0x0
	v_cvt_f64_f32_e32 v[22:23], v22
.LBB110_3606:
	s_mov_b32 s1, 0
.LBB110_3607:
	s_delay_alu instid0(SALU_CYCLE_1)
	s_and_not1_b32 vcc_lo, exec_lo, s1
	s_cbranch_vccnz .LBB110_3609
; %bb.3608:
	s_wait_loadcnt 0x0
	global_load_u16 v22, v[24:25], off
	s_wait_loadcnt 0x0
	v_cvt_f32_f16_e32 v22, v22
	s_delay_alu instid0(VALU_DEP_1)
	v_cvt_f64_f32_e32 v[22:23], v22
.LBB110_3609:
	s_mov_b32 s1, 0
.LBB110_3610:
	s_delay_alu instid0(SALU_CYCLE_1)
	s_and_not1_b32 vcc_lo, exec_lo, s1
	s_cbranch_vccnz .LBB110_3630
; %bb.3611:
	s_cmp_lt_i32 s0, 2
	s_cbranch_scc1 .LBB110_3615
; %bb.3612:
	s_cmp_lt_i32 s0, 3
	s_cbranch_scc1 .LBB110_3616
; %bb.3613:
	s_cmp_gt_i32 s0, 3
	s_cbranch_scc0 .LBB110_3617
; %bb.3614:
	s_wait_loadcnt 0x0
	global_load_b64 v[22:23], v[24:25], off
	s_mov_b32 s1, 0
	s_wait_loadcnt 0x0
	v_cvt_f64_i32_e32 v[28:29], v23
	v_cvt_f64_u32_e32 v[22:23], v22
	s_delay_alu instid0(VALU_DEP_2) | instskip(NEXT) | instid1(VALU_DEP_1)
	v_ldexp_f64 v[28:29], v[28:29], 32
	v_add_f64_e32 v[22:23], v[28:29], v[22:23]
	s_branch .LBB110_3618
.LBB110_3615:
	s_mov_b32 s1, -1
                                        ; implicit-def: $vgpr22_vgpr23
	s_branch .LBB110_3624
.LBB110_3616:
	s_mov_b32 s1, -1
                                        ; implicit-def: $vgpr22_vgpr23
	s_branch .LBB110_3621
.LBB110_3617:
	s_mov_b32 s1, -1
                                        ; implicit-def: $vgpr22_vgpr23
.LBB110_3618:
	s_delay_alu instid0(SALU_CYCLE_1)
	s_and_not1_b32 vcc_lo, exec_lo, s1
	s_cbranch_vccnz .LBB110_3620
; %bb.3619:
	s_wait_loadcnt 0x0
	global_load_b32 v22, v[24:25], off
	s_wait_loadcnt 0x0
	v_cvt_f64_i32_e32 v[22:23], v22
.LBB110_3620:
	s_mov_b32 s1, 0
.LBB110_3621:
	s_delay_alu instid0(SALU_CYCLE_1)
	s_and_not1_b32 vcc_lo, exec_lo, s1
	s_cbranch_vccnz .LBB110_3623
; %bb.3622:
	s_wait_loadcnt 0x0
	global_load_i16 v22, v[24:25], off
	s_wait_loadcnt 0x0
	v_cvt_f64_i32_e32 v[22:23], v22
.LBB110_3623:
	s_mov_b32 s1, 0
.LBB110_3624:
	s_delay_alu instid0(SALU_CYCLE_1)
	s_and_not1_b32 vcc_lo, exec_lo, s1
	s_cbranch_vccnz .LBB110_3630
; %bb.3625:
	s_cmp_gt_i32 s0, 0
	s_mov_b32 s0, 0
	s_cbranch_scc0 .LBB110_3627
; %bb.3626:
	s_wait_loadcnt 0x0
	global_load_i8 v22, v[24:25], off
	s_wait_loadcnt 0x0
	v_cvt_f64_i32_e32 v[22:23], v22
	s_branch .LBB110_3628
.LBB110_3627:
	s_mov_b32 s0, -1
                                        ; implicit-def: $vgpr22_vgpr23
.LBB110_3628:
	s_delay_alu instid0(SALU_CYCLE_1)
	s_and_not1_b32 vcc_lo, exec_lo, s0
	s_cbranch_vccnz .LBB110_3630
; %bb.3629:
	s_wait_loadcnt 0x0
	global_load_u8 v22, v[24:25], off
	s_wait_loadcnt 0x0
	v_cvt_f64_u32_e32 v[22:23], v22
.LBB110_3630:
	s_mov_b32 s6, -1
.LBB110_3631:
	s_delay_alu instid0(SALU_CYCLE_1)
	s_and_not1_b32 vcc_lo, exec_lo, s6
	s_cbranch_vccnz .LBB110_4065
; %bb.3632:
	s_wait_loadcnt 0x0
	v_mul_f64_e32 v[0:1], s[18:19], v[0:1]
	s_and_b32 s24, s2, 0xff
	s_delay_alu instid0(SALU_CYCLE_1) | instskip(NEXT) | instid1(VALU_DEP_1)
	s_cmp_lt_i32 s24, 11
	v_mul_f64_e32 v[0:1], v[0:1], v[6:7]
	v_mul_lo_u32 v6, s12, v26
	s_delay_alu instid0(VALU_DEP_1) | instskip(SKIP_1) | instid1(VALU_DEP_1)
	v_ashrrev_i32_e32 v7, 31, v6
	s_wait_xcnt 0x0
	v_add_nc_u64_e32 v[24:25], s[4:5], v[6:7]
	s_delay_alu instid0(VALU_DEP_4)
	v_fmac_f64_e32 v[0:1], s[16:17], v[2:3]
	s_cbranch_scc1 .LBB110_3710
; %bb.3633:
	s_and_b32 s1, 0xffff, s24
	s_mov_b32 s6, -1
	s_mov_b32 s2, 0
	s_cmp_gt_i32 s1, 25
	s_mov_b32 s3, 0
	s_mov_b32 s0, 0
	s_cbranch_scc0 .LBB110_3666
; %bb.3634:
	s_cmp_gt_i32 s1, 28
	s_cbranch_scc0 .LBB110_3649
; %bb.3635:
	s_cmp_gt_i32 s1, 43
	;; [unrolled: 3-line block ×3, first 2 shown]
	s_cbranch_scc0 .LBB110_3639
; %bb.3637:
	s_mov_b32 s0, -1
	s_mov_b32 s6, 0
	s_cmp_eq_u32 s1, 46
	s_cbranch_scc0 .LBB110_3639
; %bb.3638:
	s_delay_alu instid0(VALU_DEP_1) | instskip(SKIP_2) | instid1(VALU_DEP_1)
	v_cvt_f32_f64_e32 v2, v[0:1]
	s_mov_b32 s0, 0
	s_mov_b32 s3, -1
	v_bfe_u32 v3, v2, 16, 1
	v_cmp_o_f32_e32 vcc_lo, v2, v2
	s_delay_alu instid0(VALU_DEP_2) | instskip(NEXT) | instid1(VALU_DEP_1)
	v_add3_u32 v3, v2, v3, 0x7fff
	v_lshrrev_b32_e32 v3, 16, v3
	s_delay_alu instid0(VALU_DEP_1)
	v_cndmask_b32_e32 v2, 0x7fc0, v3, vcc_lo
	global_store_b32 v[24:25], v2, off
.LBB110_3639:
	s_and_b32 vcc_lo, exec_lo, s6
	s_cbranch_vccz .LBB110_3644
; %bb.3640:
	s_cmp_eq_u32 s1, 44
	s_mov_b32 s0, -1
	s_cbranch_scc0 .LBB110_3644
; %bb.3641:
	s_wait_xcnt 0x0
	s_delay_alu instid0(VALU_DEP_1) | instskip(SKIP_2) | instid1(VALU_DEP_2)
	v_cvt_f32_f64_e32 v2, v[0:1]
	v_mov_b32_e32 v3, 0xff
	s_mov_b32 s3, exec_lo
	v_bfe_u32 v7, v2, 23, 8
	s_delay_alu instid0(VALU_DEP_1)
	v_cmpx_ne_u32_e32 0xff, v7
	s_cbranch_execz .LBB110_3643
; %bb.3642:
	v_and_b32_e32 v3, 0x400000, v2
	v_and_or_b32 v7, 0x3fffff, v2, v7
	v_lshrrev_b32_e32 v2, 23, v2
	s_delay_alu instid0(VALU_DEP_3) | instskip(NEXT) | instid1(VALU_DEP_3)
	v_cmp_ne_u32_e32 vcc_lo, 0, v3
	v_cmp_ne_u32_e64 s0, 0, v7
	s_and_b32 s0, vcc_lo, s0
	s_delay_alu instid0(SALU_CYCLE_1) | instskip(NEXT) | instid1(VALU_DEP_1)
	v_cndmask_b32_e64 v3, 0, 1, s0
	v_add_nc_u32_e32 v3, v2, v3
.LBB110_3643:
	s_or_b32 exec_lo, exec_lo, s3
	s_mov_b32 s0, 0
	s_mov_b32 s3, -1
	global_store_b8 v[24:25], v3, off
.LBB110_3644:
	s_mov_b32 s6, 0
.LBB110_3645:
	s_delay_alu instid0(SALU_CYCLE_1)
	s_and_b32 vcc_lo, exec_lo, s6
	s_cbranch_vccz .LBB110_3648
; %bb.3646:
	s_cmp_eq_u32 s1, 29
	s_mov_b32 s0, -1
	s_cbranch_scc0 .LBB110_3648
; %bb.3647:
	s_wait_xcnt 0x0
	s_delay_alu instid0(VALU_DEP_1) | instskip(SKIP_2) | instid1(VALU_DEP_1)
	v_trunc_f64_e32 v[2:3], v[0:1]
	s_mov_b32 s0, 0
	s_mov_b32 s3, -1
	v_ldexp_f64 v[26:27], v[2:3], 0xffffffe0
	s_delay_alu instid0(VALU_DEP_1) | instskip(NEXT) | instid1(VALU_DEP_1)
	v_floor_f64_e32 v[26:27], v[26:27]
	v_fmamk_f64 v[2:3], v[26:27], 0xc1f00000, v[2:3]
	v_cvt_u32_f64_e32 v27, v[26:27]
	s_delay_alu instid0(VALU_DEP_2)
	v_cvt_u32_f64_e32 v26, v[2:3]
	global_store_b64 v[24:25], v[26:27], off
.LBB110_3648:
	s_mov_b32 s6, 0
.LBB110_3649:
	s_delay_alu instid0(SALU_CYCLE_1)
	s_and_b32 vcc_lo, exec_lo, s6
	s_cbranch_vccz .LBB110_3665
; %bb.3650:
	s_cmp_lt_i32 s1, 27
	s_mov_b32 s3, -1
	s_cbranch_scc1 .LBB110_3656
; %bb.3651:
	s_wait_xcnt 0x0
	s_delay_alu instid0(VALU_DEP_1)
	v_cvt_u32_f64_e32 v2, v[0:1]
	s_cmp_gt_i32 s1, 27
	s_cbranch_scc0 .LBB110_3653
; %bb.3652:
	s_mov_b32 s3, 0
	global_store_b32 v[24:25], v2, off
.LBB110_3653:
	s_and_not1_b32 vcc_lo, exec_lo, s3
	s_cbranch_vccnz .LBB110_3655
; %bb.3654:
	global_store_b16 v[24:25], v2, off
.LBB110_3655:
	s_mov_b32 s3, 0
.LBB110_3656:
	s_delay_alu instid0(SALU_CYCLE_1)
	s_and_not1_b32 vcc_lo, exec_lo, s3
	s_cbranch_vccnz .LBB110_3664
; %bb.3657:
	s_wait_xcnt 0x0
	s_delay_alu instid0(VALU_DEP_1) | instskip(SKIP_2) | instid1(VALU_DEP_2)
	v_cvt_f32_f64_e32 v2, v[0:1]
	v_mov_b32_e32 v7, 0x80
	s_mov_b32 s3, exec_lo
	v_and_b32_e32 v3, 0x7fffffff, v2
	s_delay_alu instid0(VALU_DEP_1)
	v_cmpx_gt_u32_e32 0x43800000, v3
	s_cbranch_execz .LBB110_3663
; %bb.3658:
	v_cmp_lt_u32_e32 vcc_lo, 0x3bffffff, v3
	s_mov_b32 s6, 0
                                        ; implicit-def: $vgpr3
	s_and_saveexec_b32 s7, vcc_lo
	s_delay_alu instid0(SALU_CYCLE_1)
	s_xor_b32 s7, exec_lo, s7
	s_cbranch_execz .LBB110_4112
; %bb.3659:
	v_bfe_u32 v3, v2, 20, 1
	s_mov_b32 s6, exec_lo
	s_delay_alu instid0(VALU_DEP_1) | instskip(NEXT) | instid1(VALU_DEP_1)
	v_add3_u32 v3, v2, v3, 0x487ffff
	v_lshrrev_b32_e32 v3, 20, v3
	s_and_not1_saveexec_b32 s7, s7
	s_cbranch_execnz .LBB110_4113
.LBB110_3660:
	s_or_b32 exec_lo, exec_lo, s7
	v_mov_b32_e32 v7, 0
	s_and_saveexec_b32 s7, s6
.LBB110_3661:
	v_lshrrev_b32_e32 v2, 24, v2
	s_delay_alu instid0(VALU_DEP_1)
	v_and_or_b32 v7, 0x80, v2, v3
.LBB110_3662:
	s_or_b32 exec_lo, exec_lo, s7
.LBB110_3663:
	s_delay_alu instid0(SALU_CYCLE_1)
	s_or_b32 exec_lo, exec_lo, s3
	global_store_b8 v[24:25], v7, off
.LBB110_3664:
	s_mov_b32 s3, -1
.LBB110_3665:
	s_mov_b32 s6, 0
.LBB110_3666:
	s_delay_alu instid0(SALU_CYCLE_1)
	s_and_b32 vcc_lo, exec_lo, s6
	s_cbranch_vccz .LBB110_3706
; %bb.3667:
	s_cmp_gt_i32 s1, 22
	s_mov_b32 s2, -1
	s_cbranch_scc0 .LBB110_3699
; %bb.3668:
	s_cmp_lt_i32 s1, 24
	s_cbranch_scc1 .LBB110_3688
; %bb.3669:
	s_cmp_gt_i32 s1, 24
	s_cbranch_scc0 .LBB110_3677
; %bb.3670:
	s_wait_xcnt 0x0
	s_delay_alu instid0(VALU_DEP_1) | instskip(SKIP_2) | instid1(VALU_DEP_2)
	v_cvt_f32_f64_e32 v2, v[0:1]
	v_mov_b32_e32 v7, 0x80
	s_mov_b32 s2, exec_lo
	v_and_b32_e32 v3, 0x7fffffff, v2
	s_delay_alu instid0(VALU_DEP_1)
	v_cmpx_gt_u32_e32 0x47800000, v3
	s_cbranch_execz .LBB110_3676
; %bb.3671:
	v_cmp_lt_u32_e32 vcc_lo, 0x37ffffff, v3
	s_mov_b32 s3, 0
                                        ; implicit-def: $vgpr3
	s_and_saveexec_b32 s6, vcc_lo
	s_delay_alu instid0(SALU_CYCLE_1)
	s_xor_b32 s6, exec_lo, s6
	s_cbranch_execz .LBB110_4115
; %bb.3672:
	v_bfe_u32 v3, v2, 21, 1
	s_mov_b32 s3, exec_lo
	s_delay_alu instid0(VALU_DEP_1) | instskip(NEXT) | instid1(VALU_DEP_1)
	v_add3_u32 v3, v2, v3, 0x88fffff
	v_lshrrev_b32_e32 v3, 21, v3
	s_and_not1_saveexec_b32 s6, s6
	s_cbranch_execnz .LBB110_4116
.LBB110_3673:
	s_or_b32 exec_lo, exec_lo, s6
	v_mov_b32_e32 v7, 0
	s_and_saveexec_b32 s6, s3
.LBB110_3674:
	v_lshrrev_b32_e32 v2, 24, v2
	s_delay_alu instid0(VALU_DEP_1)
	v_and_or_b32 v7, 0x80, v2, v3
.LBB110_3675:
	s_or_b32 exec_lo, exec_lo, s6
.LBB110_3676:
	s_delay_alu instid0(SALU_CYCLE_1)
	s_or_b32 exec_lo, exec_lo, s2
	s_mov_b32 s2, 0
	global_store_b8 v[24:25], v7, off
.LBB110_3677:
	s_and_b32 vcc_lo, exec_lo, s2
	s_cbranch_vccz .LBB110_3687
; %bb.3678:
	s_wait_xcnt 0x0
	s_delay_alu instid0(VALU_DEP_1) | instskip(SKIP_1) | instid1(VALU_DEP_1)
	v_cvt_f32_f64_e32 v2, v[0:1]
	s_mov_b32 s2, exec_lo
                                        ; implicit-def: $vgpr3
	v_and_b32_e32 v7, 0x7fffffff, v2
	s_delay_alu instid0(VALU_DEP_1)
	v_cmpx_gt_u32_e32 0x43f00000, v7
	s_xor_b32 s2, exec_lo, s2
	s_cbranch_execz .LBB110_3684
; %bb.3679:
	s_mov_b32 s3, exec_lo
                                        ; implicit-def: $vgpr3
	v_cmpx_lt_u32_e32 0x3c7fffff, v7
	s_xor_b32 s3, exec_lo, s3
; %bb.3680:
	v_bfe_u32 v3, v2, 20, 1
	s_delay_alu instid0(VALU_DEP_1) | instskip(NEXT) | instid1(VALU_DEP_1)
	v_add3_u32 v3, v2, v3, 0x407ffff
	v_and_b32_e32 v7, 0xff00000, v3
	v_lshrrev_b32_e32 v3, 20, v3
	s_delay_alu instid0(VALU_DEP_2) | instskip(NEXT) | instid1(VALU_DEP_2)
	v_cmp_ne_u32_e32 vcc_lo, 0x7f00000, v7
	v_cndmask_b32_e32 v3, 0x7e, v3, vcc_lo
; %bb.3681:
	s_and_not1_saveexec_b32 s3, s3
; %bb.3682:
	v_add_f32_e64 v3, 0x46800000, |v2|
; %bb.3683:
	s_or_b32 exec_lo, exec_lo, s3
                                        ; implicit-def: $vgpr7
.LBB110_3684:
	s_and_not1_saveexec_b32 s2, s2
; %bb.3685:
	v_mov_b32_e32 v3, 0x7f
	v_cmp_lt_u32_e32 vcc_lo, 0x7f800000, v7
	s_delay_alu instid0(VALU_DEP_2)
	v_cndmask_b32_e32 v3, 0x7e, v3, vcc_lo
; %bb.3686:
	s_or_b32 exec_lo, exec_lo, s2
	v_lshrrev_b32_e32 v2, 24, v2
	s_delay_alu instid0(VALU_DEP_1)
	v_and_or_b32 v2, 0x80, v2, v3
	global_store_b8 v[24:25], v2, off
.LBB110_3687:
	s_mov_b32 s2, 0
.LBB110_3688:
	s_delay_alu instid0(SALU_CYCLE_1)
	s_and_not1_b32 vcc_lo, exec_lo, s2
	s_cbranch_vccnz .LBB110_3698
; %bb.3689:
	s_wait_xcnt 0x0
	s_delay_alu instid0(VALU_DEP_1) | instskip(SKIP_1) | instid1(VALU_DEP_1)
	v_cvt_f32_f64_e32 v2, v[0:1]
	s_mov_b32 s2, exec_lo
                                        ; implicit-def: $vgpr3
	v_and_b32_e32 v7, 0x7fffffff, v2
	s_delay_alu instid0(VALU_DEP_1)
	v_cmpx_gt_u32_e32 0x47800000, v7
	s_xor_b32 s2, exec_lo, s2
	s_cbranch_execz .LBB110_3695
; %bb.3690:
	s_mov_b32 s3, exec_lo
                                        ; implicit-def: $vgpr3
	v_cmpx_lt_u32_e32 0x387fffff, v7
	s_xor_b32 s3, exec_lo, s3
; %bb.3691:
	v_bfe_u32 v3, v2, 21, 1
	s_delay_alu instid0(VALU_DEP_1) | instskip(NEXT) | instid1(VALU_DEP_1)
	v_add3_u32 v3, v2, v3, 0x80fffff
	v_lshrrev_b32_e32 v3, 21, v3
; %bb.3692:
	s_and_not1_saveexec_b32 s3, s3
; %bb.3693:
	v_add_f32_e64 v3, 0x43000000, |v2|
; %bb.3694:
	s_or_b32 exec_lo, exec_lo, s3
                                        ; implicit-def: $vgpr7
.LBB110_3695:
	s_and_not1_saveexec_b32 s2, s2
; %bb.3696:
	v_mov_b32_e32 v3, 0x7f
	v_cmp_lt_u32_e32 vcc_lo, 0x7f800000, v7
	s_delay_alu instid0(VALU_DEP_2)
	v_cndmask_b32_e32 v3, 0x7c, v3, vcc_lo
; %bb.3697:
	s_or_b32 exec_lo, exec_lo, s2
	v_lshrrev_b32_e32 v2, 24, v2
	s_delay_alu instid0(VALU_DEP_1)
	v_and_or_b32 v2, 0x80, v2, v3
	global_store_b8 v[24:25], v2, off
.LBB110_3698:
	s_mov_b32 s2, 0
	s_mov_b32 s3, -1
.LBB110_3699:
	s_and_not1_b32 vcc_lo, exec_lo, s2
	s_mov_b32 s2, 0
	s_cbranch_vccnz .LBB110_3706
; %bb.3700:
	s_cmp_gt_i32 s1, 14
	s_mov_b32 s2, -1
	s_cbranch_scc0 .LBB110_3704
; %bb.3701:
	s_cmp_eq_u32 s1, 15
	s_mov_b32 s0, -1
	s_cbranch_scc0 .LBB110_3703
; %bb.3702:
	s_wait_xcnt 0x0
	s_delay_alu instid0(VALU_DEP_1) | instskip(SKIP_2) | instid1(VALU_DEP_1)
	v_cvt_f32_f64_e32 v2, v[0:1]
	s_mov_b32 s0, 0
	s_mov_b32 s3, -1
	v_bfe_u32 v3, v2, 16, 1
	v_cmp_o_f32_e32 vcc_lo, v2, v2
	s_delay_alu instid0(VALU_DEP_2) | instskip(NEXT) | instid1(VALU_DEP_1)
	v_add3_u32 v3, v2, v3, 0x7fff
	v_lshrrev_b32_e32 v3, 16, v3
	s_delay_alu instid0(VALU_DEP_1)
	v_cndmask_b32_e32 v2, 0x7fc0, v3, vcc_lo
	global_store_b16 v[24:25], v2, off
.LBB110_3703:
	s_mov_b32 s2, 0
.LBB110_3704:
	s_delay_alu instid0(SALU_CYCLE_1)
	s_and_b32 vcc_lo, exec_lo, s2
	s_mov_b32 s2, 0
	s_cbranch_vccz .LBB110_3706
; %bb.3705:
	s_cmp_lg_u32 s1, 11
	s_mov_b32 s2, -1
	s_cselect_b32 s0, -1, 0
.LBB110_3706:
	s_delay_alu instid0(SALU_CYCLE_1)
	s_and_b32 vcc_lo, exec_lo, s0
	s_cbranch_vccnz .LBB110_4114
; %bb.3707:
	s_and_not1_b32 vcc_lo, exec_lo, s2
	s_cbranch_vccnz .LBB110_3709
.LBB110_3708:
	s_delay_alu instid0(VALU_DEP_1)
	v_cmp_neq_f64_e32 vcc_lo, 0, v[0:1]
	s_mov_b32 s3, -1
	s_wait_xcnt 0x0
	v_cndmask_b32_e64 v2, 0, 1, vcc_lo
	global_store_b8 v[24:25], v2, off
.LBB110_3709:
	s_mov_b32 s0, 0
	s_branch .LBB110_3711
.LBB110_3710:
	s_mov_b32 s0, -1
	s_mov_b32 s3, 0
.LBB110_3711:
	s_and_b32 vcc_lo, exec_lo, s0
	s_cbranch_vccz .LBB110_3750
; %bb.3712:
	s_and_b32 s0, 0xffff, s24
	s_mov_b32 s1, -1
	s_cmp_lt_i32 s0, 5
	s_cbranch_scc1 .LBB110_3733
; %bb.3713:
	s_cmp_lt_i32 s0, 8
	s_cbranch_scc1 .LBB110_3723
; %bb.3714:
	;; [unrolled: 3-line block ×3, first 2 shown]
	s_cmp_gt_i32 s0, 9
	s_cbranch_scc0 .LBB110_3717
; %bb.3716:
	s_wait_xcnt 0x0
	v_mov_b32_e32 v2, 0
	s_mov_b32 s1, 0
	s_delay_alu instid0(VALU_DEP_1)
	v_mov_b32_e32 v3, v2
	global_store_b128 v[24:25], v[0:3], off
.LBB110_3717:
	s_and_not1_b32 vcc_lo, exec_lo, s1
	s_cbranch_vccnz .LBB110_3719
; %bb.3718:
	s_wait_xcnt 0x0
	s_delay_alu instid0(VALU_DEP_1)
	v_cvt_f32_f64_e32 v2, v[0:1]
	v_mov_b32_e32 v3, 0
	global_store_b64 v[24:25], v[2:3], off
.LBB110_3719:
	s_mov_b32 s1, 0
.LBB110_3720:
	s_delay_alu instid0(SALU_CYCLE_1)
	s_and_not1_b32 vcc_lo, exec_lo, s1
	s_cbranch_vccnz .LBB110_3722
; %bb.3721:
	s_wait_xcnt 0x0
	s_delay_alu instid0(VALU_DEP_1) | instskip(SKIP_2) | instid1(VALU_DEP_3)
	v_and_or_b32 v2, 0x1ff, v1, v0
	v_lshrrev_b32_e32 v3, 8, v1
	v_bfe_u32 v7, v1, 20, 11
	v_cmp_ne_u32_e32 vcc_lo, 0, v2
	s_delay_alu instid0(VALU_DEP_2) | instskip(SKIP_2) | instid1(VALU_DEP_1)
	v_sub_nc_u32_e32 v26, 0x3f1, v7
	v_add_nc_u32_e32 v7, 0xfffffc10, v7
	v_cndmask_b32_e64 v2, 0, 1, vcc_lo
	v_and_or_b32 v2, 0xffe, v3, v2
	s_delay_alu instid0(VALU_DEP_4) | instskip(NEXT) | instid1(VALU_DEP_2)
	v_med3_i32 v3, v26, 0, 13
	v_or_b32_e32 v26, 0x1000, v2
	s_delay_alu instid0(VALU_DEP_1) | instskip(NEXT) | instid1(VALU_DEP_1)
	v_lshrrev_b32_e32 v27, v3, v26
	v_lshlrev_b32_e32 v3, v3, v27
	s_delay_alu instid0(VALU_DEP_1) | instskip(SKIP_3) | instid1(VALU_DEP_2)
	v_cmp_ne_u32_e32 vcc_lo, v3, v26
	v_lshl_or_b32 v26, v7, 12, v2
	v_cndmask_b32_e64 v3, 0, 1, vcc_lo
	v_cmp_gt_i32_e32 vcc_lo, 1, v7
	v_or_b32_e32 v3, v27, v3
	s_delay_alu instid0(VALU_DEP_1) | instskip(NEXT) | instid1(VALU_DEP_1)
	v_cndmask_b32_e32 v3, v26, v3, vcc_lo
	v_dual_lshrrev_b32 v3, 2, v3 :: v_dual_bitop2_b32 v26, 7, v3 bitop3:0x40
	s_delay_alu instid0(VALU_DEP_1) | instskip(SKIP_4) | instid1(VALU_DEP_2)
	v_cmp_lt_i32_e32 vcc_lo, 5, v26
	v_cndmask_b32_e64 v27, 0, 1, vcc_lo
	v_cmp_eq_u32_e32 vcc_lo, 3, v26
	v_cndmask_b32_e64 v26, 0, 1, vcc_lo
	v_cmp_ne_u32_e32 vcc_lo, 0, v2
	v_or_b32_e32 v26, v26, v27
	v_mov_b32_e32 v27, 0x7e00
	s_delay_alu instid0(VALU_DEP_1) | instskip(SKIP_1) | instid1(VALU_DEP_2)
	v_dual_cndmask_b32 v2, 0x7c00, v27 :: v_dual_add_nc_u32 v3, v3, v26
	v_cmp_gt_i32_e32 vcc_lo, 31, v7
	v_dual_cndmask_b32 v3, 0x7c00, v3 :: v_dual_lshrrev_b32 v26, 16, v1
	v_cmp_eq_u32_e32 vcc_lo, 0x40f, v7
	s_delay_alu instid0(VALU_DEP_2) | instskip(NEXT) | instid1(VALU_DEP_3)
	v_cndmask_b32_e32 v2, v3, v2, vcc_lo
	v_and_b32_e32 v3, 0x8000, v26
	s_delay_alu instid0(VALU_DEP_1)
	v_bitop3_b32 v2, v3, 0xffff, v2 bitop3:0xc8
	global_store_b32 v[24:25], v2, off
.LBB110_3722:
	s_mov_b32 s1, 0
.LBB110_3723:
	s_delay_alu instid0(SALU_CYCLE_1)
	s_and_not1_b32 vcc_lo, exec_lo, s1
	s_cbranch_vccnz .LBB110_3732
; %bb.3724:
	s_cmp_lt_i32 s0, 6
	s_mov_b32 s1, -1
	s_cbranch_scc1 .LBB110_3730
; %bb.3725:
	s_cmp_gt_i32 s0, 6
	s_cbranch_scc0 .LBB110_3727
; %bb.3726:
	s_mov_b32 s1, 0
	global_store_b64 v[24:25], v[0:1], off
.LBB110_3727:
	s_and_not1_b32 vcc_lo, exec_lo, s1
	s_cbranch_vccnz .LBB110_3729
; %bb.3728:
	s_wait_xcnt 0x0
	s_delay_alu instid0(VALU_DEP_1)
	v_cvt_f32_f64_e32 v2, v[0:1]
	global_store_b32 v[24:25], v2, off
.LBB110_3729:
	s_mov_b32 s1, 0
.LBB110_3730:
	s_delay_alu instid0(SALU_CYCLE_1)
	s_and_not1_b32 vcc_lo, exec_lo, s1
	s_cbranch_vccnz .LBB110_3732
; %bb.3731:
	s_wait_xcnt 0x0
	s_delay_alu instid0(VALU_DEP_1) | instskip(SKIP_2) | instid1(VALU_DEP_3)
	v_and_or_b32 v2, 0x1ff, v1, v0
	v_lshrrev_b32_e32 v3, 8, v1
	v_bfe_u32 v7, v1, 20, 11
	v_cmp_ne_u32_e32 vcc_lo, 0, v2
	s_delay_alu instid0(VALU_DEP_2) | instskip(SKIP_2) | instid1(VALU_DEP_1)
	v_sub_nc_u32_e32 v26, 0x3f1, v7
	v_add_nc_u32_e32 v7, 0xfffffc10, v7
	v_cndmask_b32_e64 v2, 0, 1, vcc_lo
	v_and_or_b32 v2, 0xffe, v3, v2
	s_delay_alu instid0(VALU_DEP_4) | instskip(NEXT) | instid1(VALU_DEP_2)
	v_med3_i32 v3, v26, 0, 13
	v_or_b32_e32 v26, 0x1000, v2
	s_delay_alu instid0(VALU_DEP_1) | instskip(NEXT) | instid1(VALU_DEP_1)
	v_lshrrev_b32_e32 v27, v3, v26
	v_lshlrev_b32_e32 v3, v3, v27
	s_delay_alu instid0(VALU_DEP_1) | instskip(SKIP_3) | instid1(VALU_DEP_2)
	v_cmp_ne_u32_e32 vcc_lo, v3, v26
	v_lshl_or_b32 v26, v7, 12, v2
	v_cndmask_b32_e64 v3, 0, 1, vcc_lo
	v_cmp_gt_i32_e32 vcc_lo, 1, v7
	v_or_b32_e32 v3, v27, v3
	s_delay_alu instid0(VALU_DEP_1) | instskip(NEXT) | instid1(VALU_DEP_1)
	v_cndmask_b32_e32 v3, v26, v3, vcc_lo
	v_dual_lshrrev_b32 v3, 2, v3 :: v_dual_bitop2_b32 v26, 7, v3 bitop3:0x40
	s_delay_alu instid0(VALU_DEP_1) | instskip(SKIP_4) | instid1(VALU_DEP_2)
	v_cmp_lt_i32_e32 vcc_lo, 5, v26
	v_cndmask_b32_e64 v27, 0, 1, vcc_lo
	v_cmp_eq_u32_e32 vcc_lo, 3, v26
	v_cndmask_b32_e64 v26, 0, 1, vcc_lo
	v_cmp_ne_u32_e32 vcc_lo, 0, v2
	v_or_b32_e32 v26, v26, v27
	v_mov_b32_e32 v27, 0x7e00
	s_delay_alu instid0(VALU_DEP_1) | instskip(SKIP_1) | instid1(VALU_DEP_2)
	v_dual_cndmask_b32 v2, 0x7c00, v27 :: v_dual_add_nc_u32 v3, v3, v26
	v_cmp_gt_i32_e32 vcc_lo, 31, v7
	v_cndmask_b32_e32 v3, 0x7c00, v3, vcc_lo
	v_cmp_eq_u32_e32 vcc_lo, 0x40f, v7
	s_delay_alu instid0(VALU_DEP_2) | instskip(NEXT) | instid1(VALU_DEP_1)
	v_dual_cndmask_b32 v2, v3, v2 :: v_dual_lshrrev_b32 v3, 16, v1
	v_and_or_b32 v2, 0x8000, v3, v2
	global_store_b16 v[24:25], v2, off
.LBB110_3732:
	s_mov_b32 s1, 0
.LBB110_3733:
	s_delay_alu instid0(SALU_CYCLE_1)
	s_and_not1_b32 vcc_lo, exec_lo, s1
	s_cbranch_vccnz .LBB110_3749
; %bb.3734:
	s_cmp_lt_i32 s0, 2
	s_mov_b32 s1, -1
	s_cbranch_scc1 .LBB110_3744
; %bb.3735:
	s_cmp_lt_i32 s0, 3
	s_cbranch_scc1 .LBB110_3741
; %bb.3736:
	s_cmp_gt_i32 s0, 3
	s_cbranch_scc0 .LBB110_3738
; %bb.3737:
	s_wait_xcnt 0x0
	s_delay_alu instid0(VALU_DEP_1) | instskip(SKIP_1) | instid1(VALU_DEP_1)
	v_trunc_f64_e32 v[2:3], v[0:1]
	s_mov_b32 s1, 0
	v_ldexp_f64 v[26:27], v[2:3], 0xffffffe0
	s_delay_alu instid0(VALU_DEP_1) | instskip(NEXT) | instid1(VALU_DEP_1)
	v_floor_f64_e32 v[26:27], v[26:27]
	v_fmamk_f64 v[2:3], v[26:27], 0xc1f00000, v[2:3]
	v_cvt_i32_f64_e32 v27, v[26:27]
	s_delay_alu instid0(VALU_DEP_2)
	v_cvt_u32_f64_e32 v26, v[2:3]
	global_store_b64 v[24:25], v[26:27], off
.LBB110_3738:
	s_and_not1_b32 vcc_lo, exec_lo, s1
	s_cbranch_vccnz .LBB110_3740
; %bb.3739:
	s_wait_xcnt 0x0
	s_delay_alu instid0(VALU_DEP_1)
	v_cvt_i32_f64_e32 v2, v[0:1]
	global_store_b32 v[24:25], v2, off
.LBB110_3740:
	s_mov_b32 s1, 0
.LBB110_3741:
	s_delay_alu instid0(SALU_CYCLE_1)
	s_and_not1_b32 vcc_lo, exec_lo, s1
	s_cbranch_vccnz .LBB110_3743
; %bb.3742:
	s_wait_xcnt 0x0
	s_delay_alu instid0(VALU_DEP_1)
	v_cvt_i32_f64_e32 v2, v[0:1]
	global_store_b16 v[24:25], v2, off
.LBB110_3743:
	s_mov_b32 s1, 0
.LBB110_3744:
	s_delay_alu instid0(SALU_CYCLE_1)
	s_and_not1_b32 vcc_lo, exec_lo, s1
	s_cbranch_vccnz .LBB110_3749
; %bb.3745:
	s_cmp_gt_i32 s0, 0
	s_mov_b32 s0, -1
	s_cbranch_scc0 .LBB110_3747
; %bb.3746:
	s_wait_xcnt 0x0
	s_delay_alu instid0(VALU_DEP_1)
	v_cvt_i32_f64_e32 v2, v[0:1]
	s_mov_b32 s0, 0
	global_store_b8 v[24:25], v2, off
.LBB110_3747:
	s_and_not1_b32 vcc_lo, exec_lo, s0
	s_cbranch_vccnz .LBB110_3749
; %bb.3748:
	s_wait_xcnt 0x0
	s_delay_alu instid0(VALU_DEP_1) | instskip(NEXT) | instid1(VALU_DEP_1)
	v_trunc_f64_e32 v[0:1], v[0:1]
	v_ldexp_f64 v[2:3], v[0:1], 0xffffffe0
	s_delay_alu instid0(VALU_DEP_1) | instskip(NEXT) | instid1(VALU_DEP_1)
	v_floor_f64_e32 v[2:3], v[2:3]
	v_fmamk_f64 v[0:1], v[2:3], 0xc1f00000, v[0:1]
	s_delay_alu instid0(VALU_DEP_1)
	v_cvt_u32_f64_e32 v0, v[0:1]
	global_store_b8 v[24:25], v0, off
.LBB110_3749:
	s_mov_b32 s3, -1
.LBB110_3750:
	s_delay_alu instid0(SALU_CYCLE_1)
	s_and_not1_b32 vcc_lo, exec_lo, s3
	s_cbranch_vccnz .LBB110_4065
; %bb.3751:
	s_lshl_b32 s1, s12, 7
	s_wait_xcnt 0x0
	v_mul_f64_e32 v[0:1], s[18:19], v[8:9]
	s_cmp_lt_i32 s24, 11
	s_delay_alu instid0(VALU_DEP_1) | instskip(NEXT) | instid1(VALU_DEP_1)
	v_mul_f64_e32 v[0:1], v[0:1], v[12:13]
	v_fmac_f64_e32 v[0:1], s[16:17], v[4:5]
	v_add_nc_u32_e32 v4, s1, v6
	s_delay_alu instid0(VALU_DEP_1) | instskip(NEXT) | instid1(VALU_DEP_1)
	v_ashrrev_i32_e32 v5, 31, v4
	v_add_nc_u64_e32 v[6:7], s[4:5], v[4:5]
	s_cbranch_scc1 .LBB110_3829
; %bb.3752:
	s_and_b32 s2, 0xffff, s24
	s_mov_b32 s7, -1
	s_mov_b32 s3, 0
	s_cmp_gt_i32 s2, 25
	s_mov_b32 s6, 0
	s_mov_b32 s0, 0
	s_cbranch_scc0 .LBB110_3785
; %bb.3753:
	s_cmp_gt_i32 s2, 28
	s_cbranch_scc0 .LBB110_3768
; %bb.3754:
	s_cmp_gt_i32 s2, 43
	;; [unrolled: 3-line block ×3, first 2 shown]
	s_cbranch_scc0 .LBB110_3758
; %bb.3756:
	s_mov_b32 s0, -1
	s_mov_b32 s7, 0
	s_cmp_eq_u32 s2, 46
	s_cbranch_scc0 .LBB110_3758
; %bb.3757:
	s_delay_alu instid0(VALU_DEP_4) | instskip(SKIP_2) | instid1(VALU_DEP_1)
	v_cvt_f32_f64_e32 v2, v[0:1]
	s_mov_b32 s0, 0
	s_mov_b32 s6, -1
	v_bfe_u32 v3, v2, 16, 1
	v_cmp_o_f32_e32 vcc_lo, v2, v2
	s_delay_alu instid0(VALU_DEP_2) | instskip(NEXT) | instid1(VALU_DEP_1)
	v_add3_u32 v3, v2, v3, 0x7fff
	v_lshrrev_b32_e32 v3, 16, v3
	s_delay_alu instid0(VALU_DEP_1)
	v_cndmask_b32_e32 v2, 0x7fc0, v3, vcc_lo
	global_store_b32 v[6:7], v2, off
.LBB110_3758:
	s_and_b32 vcc_lo, exec_lo, s7
	s_cbranch_vccz .LBB110_3763
; %bb.3759:
	s_cmp_eq_u32 s2, 44
	s_mov_b32 s0, -1
	s_cbranch_scc0 .LBB110_3763
; %bb.3760:
	s_wait_xcnt 0x0
	s_delay_alu instid0(VALU_DEP_4) | instskip(SKIP_2) | instid1(VALU_DEP_2)
	v_cvt_f32_f64_e32 v2, v[0:1]
	v_mov_b32_e32 v3, 0xff
	s_mov_b32 s6, exec_lo
	v_bfe_u32 v5, v2, 23, 8
	s_delay_alu instid0(VALU_DEP_1)
	v_cmpx_ne_u32_e32 0xff, v5
	s_cbranch_execz .LBB110_3762
; %bb.3761:
	v_and_b32_e32 v3, 0x400000, v2
	v_and_or_b32 v5, 0x3fffff, v2, v5
	v_lshrrev_b32_e32 v2, 23, v2
	s_delay_alu instid0(VALU_DEP_3) | instskip(NEXT) | instid1(VALU_DEP_3)
	v_cmp_ne_u32_e32 vcc_lo, 0, v3
	v_cmp_ne_u32_e64 s0, 0, v5
	s_and_b32 s0, vcc_lo, s0
	s_delay_alu instid0(SALU_CYCLE_1) | instskip(NEXT) | instid1(VALU_DEP_1)
	v_cndmask_b32_e64 v3, 0, 1, s0
	v_add_nc_u32_e32 v3, v2, v3
.LBB110_3762:
	s_or_b32 exec_lo, exec_lo, s6
	s_mov_b32 s0, 0
	s_mov_b32 s6, -1
	global_store_b8 v[6:7], v3, off
.LBB110_3763:
	s_mov_b32 s7, 0
.LBB110_3764:
	s_delay_alu instid0(SALU_CYCLE_1)
	s_and_b32 vcc_lo, exec_lo, s7
	s_cbranch_vccz .LBB110_3767
; %bb.3765:
	s_cmp_eq_u32 s2, 29
	s_mov_b32 s0, -1
	s_cbranch_scc0 .LBB110_3767
; %bb.3766:
	s_wait_xcnt 0x0
	s_delay_alu instid0(VALU_DEP_4) | instskip(SKIP_2) | instid1(VALU_DEP_1)
	v_trunc_f64_e32 v[2:3], v[0:1]
	s_mov_b32 s0, 0
	s_mov_b32 s6, -1
	v_ldexp_f64 v[8:9], v[2:3], 0xffffffe0
	s_delay_alu instid0(VALU_DEP_1) | instskip(NEXT) | instid1(VALU_DEP_1)
	v_floor_f64_e32 v[8:9], v[8:9]
	v_fmamk_f64 v[2:3], v[8:9], 0xc1f00000, v[2:3]
	v_cvt_u32_f64_e32 v9, v[8:9]
	s_delay_alu instid0(VALU_DEP_2)
	v_cvt_u32_f64_e32 v8, v[2:3]
	global_store_b64 v[6:7], v[8:9], off
.LBB110_3767:
	s_mov_b32 s7, 0
.LBB110_3768:
	s_delay_alu instid0(SALU_CYCLE_1)
	s_and_b32 vcc_lo, exec_lo, s7
	s_cbranch_vccz .LBB110_3784
; %bb.3769:
	s_cmp_lt_i32 s2, 27
	s_mov_b32 s6, -1
	s_cbranch_scc1 .LBB110_3775
; %bb.3770:
	s_wait_xcnt 0x0
	s_delay_alu instid0(VALU_DEP_4)
	v_cvt_u32_f64_e32 v2, v[0:1]
	s_cmp_gt_i32 s2, 27
	s_cbranch_scc0 .LBB110_3772
; %bb.3771:
	s_mov_b32 s6, 0
	global_store_b32 v[6:7], v2, off
.LBB110_3772:
	s_and_not1_b32 vcc_lo, exec_lo, s6
	s_cbranch_vccnz .LBB110_3774
; %bb.3773:
	global_store_b16 v[6:7], v2, off
.LBB110_3774:
	s_mov_b32 s6, 0
.LBB110_3775:
	s_delay_alu instid0(SALU_CYCLE_1)
	s_and_not1_b32 vcc_lo, exec_lo, s6
	s_cbranch_vccnz .LBB110_3783
; %bb.3776:
	s_wait_xcnt 0x0
	s_delay_alu instid0(VALU_DEP_4) | instskip(SKIP_2) | instid1(VALU_DEP_2)
	v_cvt_f32_f64_e32 v2, v[0:1]
	v_mov_b32_e32 v5, 0x80
	s_mov_b32 s6, exec_lo
	v_and_b32_e32 v3, 0x7fffffff, v2
	s_delay_alu instid0(VALU_DEP_1)
	v_cmpx_gt_u32_e32 0x43800000, v3
	s_cbranch_execz .LBB110_3782
; %bb.3777:
	v_cmp_lt_u32_e32 vcc_lo, 0x3bffffff, v3
	s_mov_b32 s7, 0
                                        ; implicit-def: $vgpr3
	s_and_saveexec_b32 s8, vcc_lo
	s_delay_alu instid0(SALU_CYCLE_1)
	s_xor_b32 s8, exec_lo, s8
	s_cbranch_execz .LBB110_4117
; %bb.3778:
	v_bfe_u32 v3, v2, 20, 1
	s_mov_b32 s7, exec_lo
	s_delay_alu instid0(VALU_DEP_1) | instskip(NEXT) | instid1(VALU_DEP_1)
	v_add3_u32 v3, v2, v3, 0x487ffff
	v_lshrrev_b32_e32 v3, 20, v3
	s_and_not1_saveexec_b32 s8, s8
	s_cbranch_execnz .LBB110_4118
.LBB110_3779:
	s_or_b32 exec_lo, exec_lo, s8
	v_mov_b32_e32 v5, 0
	s_and_saveexec_b32 s8, s7
.LBB110_3780:
	v_lshrrev_b32_e32 v2, 24, v2
	s_delay_alu instid0(VALU_DEP_1)
	v_and_or_b32 v5, 0x80, v2, v3
.LBB110_3781:
	s_or_b32 exec_lo, exec_lo, s8
.LBB110_3782:
	s_delay_alu instid0(SALU_CYCLE_1)
	s_or_b32 exec_lo, exec_lo, s6
	global_store_b8 v[6:7], v5, off
.LBB110_3783:
	s_mov_b32 s6, -1
.LBB110_3784:
	s_mov_b32 s7, 0
.LBB110_3785:
	s_delay_alu instid0(SALU_CYCLE_1)
	s_and_b32 vcc_lo, exec_lo, s7
	s_cbranch_vccz .LBB110_3825
; %bb.3786:
	s_cmp_gt_i32 s2, 22
	s_mov_b32 s3, -1
	s_cbranch_scc0 .LBB110_3818
; %bb.3787:
	s_cmp_lt_i32 s2, 24
	s_cbranch_scc1 .LBB110_3807
; %bb.3788:
	s_cmp_gt_i32 s2, 24
	s_cbranch_scc0 .LBB110_3796
; %bb.3789:
	s_wait_xcnt 0x0
	s_delay_alu instid0(VALU_DEP_4) | instskip(SKIP_2) | instid1(VALU_DEP_2)
	v_cvt_f32_f64_e32 v2, v[0:1]
	v_mov_b32_e32 v5, 0x80
	s_mov_b32 s3, exec_lo
	v_and_b32_e32 v3, 0x7fffffff, v2
	s_delay_alu instid0(VALU_DEP_1)
	v_cmpx_gt_u32_e32 0x47800000, v3
	s_cbranch_execz .LBB110_3795
; %bb.3790:
	v_cmp_lt_u32_e32 vcc_lo, 0x37ffffff, v3
	s_mov_b32 s6, 0
                                        ; implicit-def: $vgpr3
	s_and_saveexec_b32 s7, vcc_lo
	s_delay_alu instid0(SALU_CYCLE_1)
	s_xor_b32 s7, exec_lo, s7
	s_cbranch_execz .LBB110_4120
; %bb.3791:
	v_bfe_u32 v3, v2, 21, 1
	s_mov_b32 s6, exec_lo
	s_delay_alu instid0(VALU_DEP_1) | instskip(NEXT) | instid1(VALU_DEP_1)
	v_add3_u32 v3, v2, v3, 0x88fffff
	v_lshrrev_b32_e32 v3, 21, v3
	s_and_not1_saveexec_b32 s7, s7
	s_cbranch_execnz .LBB110_4121
.LBB110_3792:
	s_or_b32 exec_lo, exec_lo, s7
	v_mov_b32_e32 v5, 0
	s_and_saveexec_b32 s7, s6
.LBB110_3793:
	v_lshrrev_b32_e32 v2, 24, v2
	s_delay_alu instid0(VALU_DEP_1)
	v_and_or_b32 v5, 0x80, v2, v3
.LBB110_3794:
	s_or_b32 exec_lo, exec_lo, s7
.LBB110_3795:
	s_delay_alu instid0(SALU_CYCLE_1)
	s_or_b32 exec_lo, exec_lo, s3
	s_mov_b32 s3, 0
	global_store_b8 v[6:7], v5, off
.LBB110_3796:
	s_and_b32 vcc_lo, exec_lo, s3
	s_cbranch_vccz .LBB110_3806
; %bb.3797:
	s_wait_xcnt 0x0
	s_delay_alu instid0(VALU_DEP_4) | instskip(SKIP_1) | instid1(VALU_DEP_1)
	v_cvt_f32_f64_e32 v2, v[0:1]
	s_mov_b32 s3, exec_lo
                                        ; implicit-def: $vgpr3
	v_and_b32_e32 v5, 0x7fffffff, v2
	s_delay_alu instid0(VALU_DEP_1)
	v_cmpx_gt_u32_e32 0x43f00000, v5
	s_xor_b32 s3, exec_lo, s3
	s_cbranch_execz .LBB110_3803
; %bb.3798:
	s_mov_b32 s6, exec_lo
                                        ; implicit-def: $vgpr3
	v_cmpx_lt_u32_e32 0x3c7fffff, v5
	s_xor_b32 s6, exec_lo, s6
; %bb.3799:
	v_bfe_u32 v3, v2, 20, 1
	s_delay_alu instid0(VALU_DEP_1) | instskip(NEXT) | instid1(VALU_DEP_1)
	v_add3_u32 v3, v2, v3, 0x407ffff
	v_and_b32_e32 v5, 0xff00000, v3
	v_lshrrev_b32_e32 v3, 20, v3
	s_delay_alu instid0(VALU_DEP_2) | instskip(NEXT) | instid1(VALU_DEP_2)
	v_cmp_ne_u32_e32 vcc_lo, 0x7f00000, v5
	v_cndmask_b32_e32 v3, 0x7e, v3, vcc_lo
; %bb.3800:
	s_and_not1_saveexec_b32 s6, s6
; %bb.3801:
	v_add_f32_e64 v3, 0x46800000, |v2|
; %bb.3802:
	s_or_b32 exec_lo, exec_lo, s6
                                        ; implicit-def: $vgpr5
.LBB110_3803:
	s_and_not1_saveexec_b32 s3, s3
; %bb.3804:
	v_mov_b32_e32 v3, 0x7f
	v_cmp_lt_u32_e32 vcc_lo, 0x7f800000, v5
	s_delay_alu instid0(VALU_DEP_2)
	v_cndmask_b32_e32 v3, 0x7e, v3, vcc_lo
; %bb.3805:
	s_or_b32 exec_lo, exec_lo, s3
	v_lshrrev_b32_e32 v2, 24, v2
	s_delay_alu instid0(VALU_DEP_1)
	v_and_or_b32 v2, 0x80, v2, v3
	global_store_b8 v[6:7], v2, off
.LBB110_3806:
	s_mov_b32 s3, 0
.LBB110_3807:
	s_delay_alu instid0(SALU_CYCLE_1)
	s_and_not1_b32 vcc_lo, exec_lo, s3
	s_cbranch_vccnz .LBB110_3817
; %bb.3808:
	s_wait_xcnt 0x0
	s_delay_alu instid0(VALU_DEP_4) | instskip(SKIP_1) | instid1(VALU_DEP_1)
	v_cvt_f32_f64_e32 v2, v[0:1]
	s_mov_b32 s3, exec_lo
                                        ; implicit-def: $vgpr3
	v_and_b32_e32 v5, 0x7fffffff, v2
	s_delay_alu instid0(VALU_DEP_1)
	v_cmpx_gt_u32_e32 0x47800000, v5
	s_xor_b32 s3, exec_lo, s3
	s_cbranch_execz .LBB110_3814
; %bb.3809:
	s_mov_b32 s6, exec_lo
                                        ; implicit-def: $vgpr3
	v_cmpx_lt_u32_e32 0x387fffff, v5
	s_xor_b32 s6, exec_lo, s6
; %bb.3810:
	v_bfe_u32 v3, v2, 21, 1
	s_delay_alu instid0(VALU_DEP_1) | instskip(NEXT) | instid1(VALU_DEP_1)
	v_add3_u32 v3, v2, v3, 0x80fffff
	v_lshrrev_b32_e32 v3, 21, v3
; %bb.3811:
	s_and_not1_saveexec_b32 s6, s6
; %bb.3812:
	v_add_f32_e64 v3, 0x43000000, |v2|
; %bb.3813:
	s_or_b32 exec_lo, exec_lo, s6
                                        ; implicit-def: $vgpr5
.LBB110_3814:
	s_and_not1_saveexec_b32 s3, s3
; %bb.3815:
	v_mov_b32_e32 v3, 0x7f
	v_cmp_lt_u32_e32 vcc_lo, 0x7f800000, v5
	s_delay_alu instid0(VALU_DEP_2)
	v_cndmask_b32_e32 v3, 0x7c, v3, vcc_lo
; %bb.3816:
	s_or_b32 exec_lo, exec_lo, s3
	v_lshrrev_b32_e32 v2, 24, v2
	s_delay_alu instid0(VALU_DEP_1)
	v_and_or_b32 v2, 0x80, v2, v3
	global_store_b8 v[6:7], v2, off
.LBB110_3817:
	s_mov_b32 s3, 0
	s_mov_b32 s6, -1
.LBB110_3818:
	s_and_not1_b32 vcc_lo, exec_lo, s3
	s_mov_b32 s3, 0
	s_cbranch_vccnz .LBB110_3825
; %bb.3819:
	s_cmp_gt_i32 s2, 14
	s_mov_b32 s3, -1
	s_cbranch_scc0 .LBB110_3823
; %bb.3820:
	s_cmp_eq_u32 s2, 15
	s_mov_b32 s0, -1
	s_cbranch_scc0 .LBB110_3822
; %bb.3821:
	s_wait_xcnt 0x0
	s_delay_alu instid0(VALU_DEP_4) | instskip(SKIP_2) | instid1(VALU_DEP_1)
	v_cvt_f32_f64_e32 v2, v[0:1]
	s_mov_b32 s0, 0
	s_mov_b32 s6, -1
	v_bfe_u32 v3, v2, 16, 1
	v_cmp_o_f32_e32 vcc_lo, v2, v2
	s_delay_alu instid0(VALU_DEP_2) | instskip(NEXT) | instid1(VALU_DEP_1)
	v_add3_u32 v3, v2, v3, 0x7fff
	v_lshrrev_b32_e32 v3, 16, v3
	s_delay_alu instid0(VALU_DEP_1)
	v_cndmask_b32_e32 v2, 0x7fc0, v3, vcc_lo
	global_store_b16 v[6:7], v2, off
.LBB110_3822:
	s_mov_b32 s3, 0
.LBB110_3823:
	s_delay_alu instid0(SALU_CYCLE_1)
	s_and_b32 vcc_lo, exec_lo, s3
	s_mov_b32 s3, 0
	s_cbranch_vccz .LBB110_3825
; %bb.3824:
	s_cmp_lg_u32 s2, 11
	s_mov_b32 s3, -1
	s_cselect_b32 s0, -1, 0
.LBB110_3825:
	s_delay_alu instid0(SALU_CYCLE_1)
	s_and_b32 vcc_lo, exec_lo, s0
	s_cbranch_vccnz .LBB110_4119
; %bb.3826:
	s_and_not1_b32 vcc_lo, exec_lo, s3
	s_cbranch_vccnz .LBB110_3828
.LBB110_3827:
	s_delay_alu instid0(VALU_DEP_4)
	v_cmp_neq_f64_e32 vcc_lo, 0, v[0:1]
	s_mov_b32 s6, -1
	s_wait_xcnt 0x0
	v_cndmask_b32_e64 v2, 0, 1, vcc_lo
	global_store_b8 v[6:7], v2, off
.LBB110_3828:
	s_mov_b32 s0, 0
	s_branch .LBB110_3830
.LBB110_3829:
	s_mov_b32 s0, -1
	s_mov_b32 s6, 0
.LBB110_3830:
	s_and_b32 vcc_lo, exec_lo, s0
	s_cbranch_vccz .LBB110_3869
; %bb.3831:
	s_and_b32 s0, 0xffff, s24
	s_mov_b32 s2, -1
	s_cmp_lt_i32 s0, 5
	s_cbranch_scc1 .LBB110_3852
; %bb.3832:
	s_cmp_lt_i32 s0, 8
	s_cbranch_scc1 .LBB110_3842
; %bb.3833:
	;; [unrolled: 3-line block ×3, first 2 shown]
	s_cmp_gt_i32 s0, 9
	s_cbranch_scc0 .LBB110_3836
; %bb.3835:
	s_wait_xcnt 0x0
	v_mov_b32_e32 v2, 0
	s_mov_b32 s2, 0
	s_delay_alu instid0(VALU_DEP_1)
	v_mov_b32_e32 v3, v2
	global_store_b128 v[6:7], v[0:3], off
.LBB110_3836:
	s_and_not1_b32 vcc_lo, exec_lo, s2
	s_cbranch_vccnz .LBB110_3838
; %bb.3837:
	s_wait_xcnt 0x0
	s_delay_alu instid0(VALU_DEP_4)
	v_cvt_f32_f64_e32 v2, v[0:1]
	v_mov_b32_e32 v3, 0
	global_store_b64 v[6:7], v[2:3], off
.LBB110_3838:
	s_mov_b32 s2, 0
.LBB110_3839:
	s_delay_alu instid0(SALU_CYCLE_1)
	s_and_not1_b32 vcc_lo, exec_lo, s2
	s_cbranch_vccnz .LBB110_3841
; %bb.3840:
	s_wait_xcnt 0x0
	s_delay_alu instid0(VALU_DEP_4) | instskip(SKIP_2) | instid1(VALU_DEP_3)
	v_and_or_b32 v2, 0x1ff, v1, v0
	v_lshrrev_b32_e32 v3, 8, v1
	v_bfe_u32 v5, v1, 20, 11
	v_cmp_ne_u32_e32 vcc_lo, 0, v2
	s_delay_alu instid0(VALU_DEP_2) | instskip(SKIP_2) | instid1(VALU_DEP_1)
	v_sub_nc_u32_e32 v8, 0x3f1, v5
	v_add_nc_u32_e32 v5, 0xfffffc10, v5
	v_cndmask_b32_e64 v2, 0, 1, vcc_lo
	v_and_or_b32 v2, 0xffe, v3, v2
	s_delay_alu instid0(VALU_DEP_4) | instskip(NEXT) | instid1(VALU_DEP_2)
	v_med3_i32 v3, v8, 0, 13
	v_or_b32_e32 v8, 0x1000, v2
	s_delay_alu instid0(VALU_DEP_1) | instskip(NEXT) | instid1(VALU_DEP_1)
	v_lshrrev_b32_e32 v9, v3, v8
	v_lshlrev_b32_e32 v3, v3, v9
	s_delay_alu instid0(VALU_DEP_1) | instskip(SKIP_3) | instid1(VALU_DEP_2)
	v_cmp_ne_u32_e32 vcc_lo, v3, v8
	v_lshl_or_b32 v8, v5, 12, v2
	v_cndmask_b32_e64 v3, 0, 1, vcc_lo
	v_cmp_gt_i32_e32 vcc_lo, 1, v5
	v_or_b32_e32 v3, v9, v3
	s_delay_alu instid0(VALU_DEP_1) | instskip(NEXT) | instid1(VALU_DEP_1)
	v_cndmask_b32_e32 v3, v8, v3, vcc_lo
	v_dual_lshrrev_b32 v3, 2, v3 :: v_dual_bitop2_b32 v8, 7, v3 bitop3:0x40
	s_delay_alu instid0(VALU_DEP_1) | instskip(SKIP_4) | instid1(VALU_DEP_2)
	v_cmp_lt_i32_e32 vcc_lo, 5, v8
	v_cndmask_b32_e64 v9, 0, 1, vcc_lo
	v_cmp_eq_u32_e32 vcc_lo, 3, v8
	v_cndmask_b32_e64 v8, 0, 1, vcc_lo
	v_cmp_ne_u32_e32 vcc_lo, 0, v2
	v_or_b32_e32 v8, v8, v9
	v_mov_b32_e32 v9, 0x7e00
	s_delay_alu instid0(VALU_DEP_1) | instskip(SKIP_1) | instid1(VALU_DEP_2)
	v_dual_cndmask_b32 v2, 0x7c00, v9 :: v_dual_add_nc_u32 v3, v3, v8
	v_cmp_gt_i32_e32 vcc_lo, 31, v5
	v_dual_cndmask_b32 v3, 0x7c00, v3 :: v_dual_lshrrev_b32 v8, 16, v1
	v_cmp_eq_u32_e32 vcc_lo, 0x40f, v5
	s_delay_alu instid0(VALU_DEP_2) | instskip(NEXT) | instid1(VALU_DEP_3)
	v_cndmask_b32_e32 v2, v3, v2, vcc_lo
	v_and_b32_e32 v3, 0x8000, v8
	s_delay_alu instid0(VALU_DEP_1)
	v_bitop3_b32 v2, v3, 0xffff, v2 bitop3:0xc8
	global_store_b32 v[6:7], v2, off
.LBB110_3841:
	s_mov_b32 s2, 0
.LBB110_3842:
	s_delay_alu instid0(SALU_CYCLE_1)
	s_and_not1_b32 vcc_lo, exec_lo, s2
	s_cbranch_vccnz .LBB110_3851
; %bb.3843:
	s_cmp_lt_i32 s0, 6
	s_mov_b32 s2, -1
	s_cbranch_scc1 .LBB110_3849
; %bb.3844:
	s_cmp_gt_i32 s0, 6
	s_cbranch_scc0 .LBB110_3846
; %bb.3845:
	s_mov_b32 s2, 0
	global_store_b64 v[6:7], v[0:1], off
.LBB110_3846:
	s_and_not1_b32 vcc_lo, exec_lo, s2
	s_cbranch_vccnz .LBB110_3848
; %bb.3847:
	s_wait_xcnt 0x0
	s_delay_alu instid0(VALU_DEP_4)
	v_cvt_f32_f64_e32 v2, v[0:1]
	global_store_b32 v[6:7], v2, off
.LBB110_3848:
	s_mov_b32 s2, 0
.LBB110_3849:
	s_delay_alu instid0(SALU_CYCLE_1)
	s_and_not1_b32 vcc_lo, exec_lo, s2
	s_cbranch_vccnz .LBB110_3851
; %bb.3850:
	s_wait_xcnt 0x0
	s_delay_alu instid0(VALU_DEP_4) | instskip(SKIP_2) | instid1(VALU_DEP_3)
	v_and_or_b32 v2, 0x1ff, v1, v0
	v_lshrrev_b32_e32 v3, 8, v1
	v_bfe_u32 v5, v1, 20, 11
	v_cmp_ne_u32_e32 vcc_lo, 0, v2
	s_delay_alu instid0(VALU_DEP_2) | instskip(SKIP_2) | instid1(VALU_DEP_1)
	v_sub_nc_u32_e32 v8, 0x3f1, v5
	v_add_nc_u32_e32 v5, 0xfffffc10, v5
	v_cndmask_b32_e64 v2, 0, 1, vcc_lo
	v_and_or_b32 v2, 0xffe, v3, v2
	s_delay_alu instid0(VALU_DEP_4) | instskip(NEXT) | instid1(VALU_DEP_2)
	v_med3_i32 v3, v8, 0, 13
	v_or_b32_e32 v8, 0x1000, v2
	s_delay_alu instid0(VALU_DEP_1) | instskip(NEXT) | instid1(VALU_DEP_1)
	v_lshrrev_b32_e32 v9, v3, v8
	v_lshlrev_b32_e32 v3, v3, v9
	s_delay_alu instid0(VALU_DEP_1) | instskip(SKIP_3) | instid1(VALU_DEP_2)
	v_cmp_ne_u32_e32 vcc_lo, v3, v8
	v_lshl_or_b32 v8, v5, 12, v2
	v_cndmask_b32_e64 v3, 0, 1, vcc_lo
	v_cmp_gt_i32_e32 vcc_lo, 1, v5
	v_or_b32_e32 v3, v9, v3
	s_delay_alu instid0(VALU_DEP_1) | instskip(NEXT) | instid1(VALU_DEP_1)
	v_cndmask_b32_e32 v3, v8, v3, vcc_lo
	v_dual_lshrrev_b32 v3, 2, v3 :: v_dual_bitop2_b32 v8, 7, v3 bitop3:0x40
	s_delay_alu instid0(VALU_DEP_1) | instskip(SKIP_4) | instid1(VALU_DEP_2)
	v_cmp_lt_i32_e32 vcc_lo, 5, v8
	v_cndmask_b32_e64 v9, 0, 1, vcc_lo
	v_cmp_eq_u32_e32 vcc_lo, 3, v8
	v_cndmask_b32_e64 v8, 0, 1, vcc_lo
	v_cmp_ne_u32_e32 vcc_lo, 0, v2
	v_or_b32_e32 v8, v8, v9
	v_mov_b32_e32 v9, 0x7e00
	s_delay_alu instid0(VALU_DEP_1) | instskip(SKIP_1) | instid1(VALU_DEP_2)
	v_dual_cndmask_b32 v2, 0x7c00, v9 :: v_dual_add_nc_u32 v3, v3, v8
	v_cmp_gt_i32_e32 vcc_lo, 31, v5
	v_cndmask_b32_e32 v3, 0x7c00, v3, vcc_lo
	v_cmp_eq_u32_e32 vcc_lo, 0x40f, v5
	s_delay_alu instid0(VALU_DEP_2) | instskip(NEXT) | instid1(VALU_DEP_1)
	v_dual_cndmask_b32 v2, v3, v2 :: v_dual_lshrrev_b32 v3, 16, v1
	v_and_or_b32 v2, 0x8000, v3, v2
	global_store_b16 v[6:7], v2, off
.LBB110_3851:
	s_mov_b32 s2, 0
.LBB110_3852:
	s_delay_alu instid0(SALU_CYCLE_1)
	s_and_not1_b32 vcc_lo, exec_lo, s2
	s_cbranch_vccnz .LBB110_3868
; %bb.3853:
	s_cmp_lt_i32 s0, 2
	s_mov_b32 s2, -1
	s_cbranch_scc1 .LBB110_3863
; %bb.3854:
	s_cmp_lt_i32 s0, 3
	s_cbranch_scc1 .LBB110_3860
; %bb.3855:
	s_cmp_gt_i32 s0, 3
	s_cbranch_scc0 .LBB110_3857
; %bb.3856:
	s_wait_xcnt 0x0
	s_delay_alu instid0(VALU_DEP_4) | instskip(SKIP_1) | instid1(VALU_DEP_1)
	v_trunc_f64_e32 v[2:3], v[0:1]
	s_mov_b32 s2, 0
	v_ldexp_f64 v[8:9], v[2:3], 0xffffffe0
	s_delay_alu instid0(VALU_DEP_1) | instskip(NEXT) | instid1(VALU_DEP_1)
	v_floor_f64_e32 v[8:9], v[8:9]
	v_fmamk_f64 v[2:3], v[8:9], 0xc1f00000, v[2:3]
	v_cvt_i32_f64_e32 v9, v[8:9]
	s_delay_alu instid0(VALU_DEP_2)
	v_cvt_u32_f64_e32 v8, v[2:3]
	global_store_b64 v[6:7], v[8:9], off
.LBB110_3857:
	s_and_not1_b32 vcc_lo, exec_lo, s2
	s_cbranch_vccnz .LBB110_3859
; %bb.3858:
	s_wait_xcnt 0x0
	s_delay_alu instid0(VALU_DEP_4)
	v_cvt_i32_f64_e32 v2, v[0:1]
	global_store_b32 v[6:7], v2, off
.LBB110_3859:
	s_mov_b32 s2, 0
.LBB110_3860:
	s_delay_alu instid0(SALU_CYCLE_1)
	s_and_not1_b32 vcc_lo, exec_lo, s2
	s_cbranch_vccnz .LBB110_3862
; %bb.3861:
	s_wait_xcnt 0x0
	s_delay_alu instid0(VALU_DEP_4)
	v_cvt_i32_f64_e32 v2, v[0:1]
	global_store_b16 v[6:7], v2, off
.LBB110_3862:
	s_mov_b32 s2, 0
.LBB110_3863:
	s_delay_alu instid0(SALU_CYCLE_1)
	s_and_not1_b32 vcc_lo, exec_lo, s2
	s_cbranch_vccnz .LBB110_3868
; %bb.3864:
	s_cmp_gt_i32 s0, 0
	s_mov_b32 s0, -1
	s_cbranch_scc0 .LBB110_3866
; %bb.3865:
	s_wait_xcnt 0x0
	s_delay_alu instid0(VALU_DEP_4)
	v_cvt_i32_f64_e32 v2, v[0:1]
	s_mov_b32 s0, 0
	global_store_b8 v[6:7], v2, off
.LBB110_3866:
	s_and_not1_b32 vcc_lo, exec_lo, s0
	s_cbranch_vccnz .LBB110_3868
; %bb.3867:
	s_wait_xcnt 0x0
	s_delay_alu instid0(VALU_DEP_4) | instskip(NEXT) | instid1(VALU_DEP_1)
	v_trunc_f64_e32 v[0:1], v[0:1]
	v_ldexp_f64 v[2:3], v[0:1], 0xffffffe0
	s_delay_alu instid0(VALU_DEP_1) | instskip(NEXT) | instid1(VALU_DEP_1)
	v_floor_f64_e32 v[2:3], v[2:3]
	v_fmamk_f64 v[0:1], v[2:3], 0xc1f00000, v[0:1]
	s_delay_alu instid0(VALU_DEP_1)
	v_cvt_u32_f64_e32 v0, v[0:1]
	global_store_b8 v[6:7], v0, off
.LBB110_3868:
	s_mov_b32 s6, -1
.LBB110_3869:
	s_delay_alu instid0(SALU_CYCLE_1)
	s_and_not1_b32 vcc_lo, exec_lo, s6
	s_cbranch_vccnz .LBB110_4065
; %bb.3870:
	s_wait_xcnt 0x0
	v_dual_mul_f64 v[0:1], s[18:19], v[14:15] :: v_dual_add_nc_u32 v4, s1, v4
	s_cmp_lt_i32 s24, 11
	s_delay_alu instid0(VALU_DEP_1) | instskip(NEXT) | instid1(VALU_DEP_1)
	v_ashrrev_i32_e32 v5, 31, v4
	v_add_nc_u64_e32 v[6:7], s[4:5], v[4:5]
	s_delay_alu instid0(VALU_DEP_3) | instskip(NEXT) | instid1(VALU_DEP_1)
	v_mul_f64_e32 v[0:1], v[0:1], v[18:19]
	v_fmac_f64_e32 v[0:1], s[16:17], v[10:11]
	s_cbranch_scc1 .LBB110_3948
; %bb.3871:
	s_and_b32 s2, 0xffff, s24
	s_mov_b32 s7, -1
	s_mov_b32 s3, 0
	s_cmp_gt_i32 s2, 25
	s_mov_b32 s6, 0
	s_mov_b32 s0, 0
	s_cbranch_scc0 .LBB110_3904
; %bb.3872:
	s_cmp_gt_i32 s2, 28
	s_cbranch_scc0 .LBB110_3887
; %bb.3873:
	s_cmp_gt_i32 s2, 43
	;; [unrolled: 3-line block ×3, first 2 shown]
	s_cbranch_scc0 .LBB110_3877
; %bb.3875:
	s_mov_b32 s0, -1
	s_mov_b32 s7, 0
	s_cmp_eq_u32 s2, 46
	s_cbranch_scc0 .LBB110_3877
; %bb.3876:
	s_delay_alu instid0(VALU_DEP_1) | instskip(SKIP_2) | instid1(VALU_DEP_1)
	v_cvt_f32_f64_e32 v2, v[0:1]
	s_mov_b32 s0, 0
	s_mov_b32 s6, -1
	v_bfe_u32 v3, v2, 16, 1
	v_cmp_o_f32_e32 vcc_lo, v2, v2
	s_delay_alu instid0(VALU_DEP_2) | instskip(NEXT) | instid1(VALU_DEP_1)
	v_add3_u32 v3, v2, v3, 0x7fff
	v_lshrrev_b32_e32 v3, 16, v3
	s_delay_alu instid0(VALU_DEP_1)
	v_cndmask_b32_e32 v2, 0x7fc0, v3, vcc_lo
	global_store_b32 v[6:7], v2, off
.LBB110_3877:
	s_and_b32 vcc_lo, exec_lo, s7
	s_cbranch_vccz .LBB110_3882
; %bb.3878:
	s_cmp_eq_u32 s2, 44
	s_mov_b32 s0, -1
	s_cbranch_scc0 .LBB110_3882
; %bb.3879:
	s_wait_xcnt 0x0
	s_delay_alu instid0(VALU_DEP_1) | instskip(SKIP_2) | instid1(VALU_DEP_2)
	v_cvt_f32_f64_e32 v2, v[0:1]
	v_mov_b32_e32 v3, 0xff
	s_mov_b32 s6, exec_lo
	v_bfe_u32 v5, v2, 23, 8
	s_delay_alu instid0(VALU_DEP_1)
	v_cmpx_ne_u32_e32 0xff, v5
	s_cbranch_execz .LBB110_3881
; %bb.3880:
	v_and_b32_e32 v3, 0x400000, v2
	v_and_or_b32 v5, 0x3fffff, v2, v5
	v_lshrrev_b32_e32 v2, 23, v2
	s_delay_alu instid0(VALU_DEP_3) | instskip(NEXT) | instid1(VALU_DEP_3)
	v_cmp_ne_u32_e32 vcc_lo, 0, v3
	v_cmp_ne_u32_e64 s0, 0, v5
	s_and_b32 s0, vcc_lo, s0
	s_delay_alu instid0(SALU_CYCLE_1) | instskip(NEXT) | instid1(VALU_DEP_1)
	v_cndmask_b32_e64 v3, 0, 1, s0
	v_add_nc_u32_e32 v3, v2, v3
.LBB110_3881:
	s_or_b32 exec_lo, exec_lo, s6
	s_mov_b32 s0, 0
	s_mov_b32 s6, -1
	global_store_b8 v[6:7], v3, off
.LBB110_3882:
	s_mov_b32 s7, 0
.LBB110_3883:
	s_delay_alu instid0(SALU_CYCLE_1)
	s_and_b32 vcc_lo, exec_lo, s7
	s_cbranch_vccz .LBB110_3886
; %bb.3884:
	s_cmp_eq_u32 s2, 29
	s_mov_b32 s0, -1
	s_cbranch_scc0 .LBB110_3886
; %bb.3885:
	s_wait_xcnt 0x0
	s_delay_alu instid0(VALU_DEP_1) | instskip(SKIP_2) | instid1(VALU_DEP_1)
	v_trunc_f64_e32 v[2:3], v[0:1]
	s_mov_b32 s0, 0
	s_mov_b32 s6, -1
	v_ldexp_f64 v[8:9], v[2:3], 0xffffffe0
	s_delay_alu instid0(VALU_DEP_1) | instskip(NEXT) | instid1(VALU_DEP_1)
	v_floor_f64_e32 v[8:9], v[8:9]
	v_fmamk_f64 v[2:3], v[8:9], 0xc1f00000, v[2:3]
	v_cvt_u32_f64_e32 v9, v[8:9]
	s_delay_alu instid0(VALU_DEP_2)
	v_cvt_u32_f64_e32 v8, v[2:3]
	global_store_b64 v[6:7], v[8:9], off
.LBB110_3886:
	s_mov_b32 s7, 0
.LBB110_3887:
	s_delay_alu instid0(SALU_CYCLE_1)
	s_and_b32 vcc_lo, exec_lo, s7
	s_cbranch_vccz .LBB110_3903
; %bb.3888:
	s_cmp_lt_i32 s2, 27
	s_mov_b32 s6, -1
	s_cbranch_scc1 .LBB110_3894
; %bb.3889:
	s_wait_xcnt 0x0
	s_delay_alu instid0(VALU_DEP_1)
	v_cvt_u32_f64_e32 v2, v[0:1]
	s_cmp_gt_i32 s2, 27
	s_cbranch_scc0 .LBB110_3891
; %bb.3890:
	s_mov_b32 s6, 0
	global_store_b32 v[6:7], v2, off
.LBB110_3891:
	s_and_not1_b32 vcc_lo, exec_lo, s6
	s_cbranch_vccnz .LBB110_3893
; %bb.3892:
	global_store_b16 v[6:7], v2, off
.LBB110_3893:
	s_mov_b32 s6, 0
.LBB110_3894:
	s_delay_alu instid0(SALU_CYCLE_1)
	s_and_not1_b32 vcc_lo, exec_lo, s6
	s_cbranch_vccnz .LBB110_3902
; %bb.3895:
	s_wait_xcnt 0x0
	s_delay_alu instid0(VALU_DEP_1) | instskip(SKIP_2) | instid1(VALU_DEP_2)
	v_cvt_f32_f64_e32 v2, v[0:1]
	v_mov_b32_e32 v5, 0x80
	s_mov_b32 s6, exec_lo
	v_and_b32_e32 v3, 0x7fffffff, v2
	s_delay_alu instid0(VALU_DEP_1)
	v_cmpx_gt_u32_e32 0x43800000, v3
	s_cbranch_execz .LBB110_3901
; %bb.3896:
	v_cmp_lt_u32_e32 vcc_lo, 0x3bffffff, v3
	s_mov_b32 s7, 0
                                        ; implicit-def: $vgpr3
	s_and_saveexec_b32 s8, vcc_lo
	s_delay_alu instid0(SALU_CYCLE_1)
	s_xor_b32 s8, exec_lo, s8
	s_cbranch_execz .LBB110_4122
; %bb.3897:
	v_bfe_u32 v3, v2, 20, 1
	s_mov_b32 s7, exec_lo
	s_delay_alu instid0(VALU_DEP_1) | instskip(NEXT) | instid1(VALU_DEP_1)
	v_add3_u32 v3, v2, v3, 0x487ffff
	v_lshrrev_b32_e32 v3, 20, v3
	s_and_not1_saveexec_b32 s8, s8
	s_cbranch_execnz .LBB110_4123
.LBB110_3898:
	s_or_b32 exec_lo, exec_lo, s8
	v_mov_b32_e32 v5, 0
	s_and_saveexec_b32 s8, s7
.LBB110_3899:
	v_lshrrev_b32_e32 v2, 24, v2
	s_delay_alu instid0(VALU_DEP_1)
	v_and_or_b32 v5, 0x80, v2, v3
.LBB110_3900:
	s_or_b32 exec_lo, exec_lo, s8
.LBB110_3901:
	s_delay_alu instid0(SALU_CYCLE_1)
	s_or_b32 exec_lo, exec_lo, s6
	global_store_b8 v[6:7], v5, off
.LBB110_3902:
	s_mov_b32 s6, -1
.LBB110_3903:
	s_mov_b32 s7, 0
.LBB110_3904:
	s_delay_alu instid0(SALU_CYCLE_1)
	s_and_b32 vcc_lo, exec_lo, s7
	s_cbranch_vccz .LBB110_3944
; %bb.3905:
	s_cmp_gt_i32 s2, 22
	s_mov_b32 s3, -1
	s_cbranch_scc0 .LBB110_3937
; %bb.3906:
	s_cmp_lt_i32 s2, 24
	s_cbranch_scc1 .LBB110_3926
; %bb.3907:
	s_cmp_gt_i32 s2, 24
	s_cbranch_scc0 .LBB110_3915
; %bb.3908:
	s_wait_xcnt 0x0
	s_delay_alu instid0(VALU_DEP_1) | instskip(SKIP_2) | instid1(VALU_DEP_2)
	v_cvt_f32_f64_e32 v2, v[0:1]
	v_mov_b32_e32 v5, 0x80
	s_mov_b32 s3, exec_lo
	v_and_b32_e32 v3, 0x7fffffff, v2
	s_delay_alu instid0(VALU_DEP_1)
	v_cmpx_gt_u32_e32 0x47800000, v3
	s_cbranch_execz .LBB110_3914
; %bb.3909:
	v_cmp_lt_u32_e32 vcc_lo, 0x37ffffff, v3
	s_mov_b32 s6, 0
                                        ; implicit-def: $vgpr3
	s_and_saveexec_b32 s7, vcc_lo
	s_delay_alu instid0(SALU_CYCLE_1)
	s_xor_b32 s7, exec_lo, s7
	s_cbranch_execz .LBB110_4125
; %bb.3910:
	v_bfe_u32 v3, v2, 21, 1
	s_mov_b32 s6, exec_lo
	s_delay_alu instid0(VALU_DEP_1) | instskip(NEXT) | instid1(VALU_DEP_1)
	v_add3_u32 v3, v2, v3, 0x88fffff
	v_lshrrev_b32_e32 v3, 21, v3
	s_and_not1_saveexec_b32 s7, s7
	s_cbranch_execnz .LBB110_4126
.LBB110_3911:
	s_or_b32 exec_lo, exec_lo, s7
	v_mov_b32_e32 v5, 0
	s_and_saveexec_b32 s7, s6
.LBB110_3912:
	v_lshrrev_b32_e32 v2, 24, v2
	s_delay_alu instid0(VALU_DEP_1)
	v_and_or_b32 v5, 0x80, v2, v3
.LBB110_3913:
	s_or_b32 exec_lo, exec_lo, s7
.LBB110_3914:
	s_delay_alu instid0(SALU_CYCLE_1)
	s_or_b32 exec_lo, exec_lo, s3
	s_mov_b32 s3, 0
	global_store_b8 v[6:7], v5, off
.LBB110_3915:
	s_and_b32 vcc_lo, exec_lo, s3
	s_cbranch_vccz .LBB110_3925
; %bb.3916:
	s_wait_xcnt 0x0
	s_delay_alu instid0(VALU_DEP_1) | instskip(SKIP_1) | instid1(VALU_DEP_1)
	v_cvt_f32_f64_e32 v2, v[0:1]
	s_mov_b32 s3, exec_lo
                                        ; implicit-def: $vgpr3
	v_and_b32_e32 v5, 0x7fffffff, v2
	s_delay_alu instid0(VALU_DEP_1)
	v_cmpx_gt_u32_e32 0x43f00000, v5
	s_xor_b32 s3, exec_lo, s3
	s_cbranch_execz .LBB110_3922
; %bb.3917:
	s_mov_b32 s6, exec_lo
                                        ; implicit-def: $vgpr3
	v_cmpx_lt_u32_e32 0x3c7fffff, v5
	s_xor_b32 s6, exec_lo, s6
; %bb.3918:
	v_bfe_u32 v3, v2, 20, 1
	s_delay_alu instid0(VALU_DEP_1) | instskip(NEXT) | instid1(VALU_DEP_1)
	v_add3_u32 v3, v2, v3, 0x407ffff
	v_and_b32_e32 v5, 0xff00000, v3
	v_lshrrev_b32_e32 v3, 20, v3
	s_delay_alu instid0(VALU_DEP_2) | instskip(NEXT) | instid1(VALU_DEP_2)
	v_cmp_ne_u32_e32 vcc_lo, 0x7f00000, v5
	v_cndmask_b32_e32 v3, 0x7e, v3, vcc_lo
; %bb.3919:
	s_and_not1_saveexec_b32 s6, s6
; %bb.3920:
	v_add_f32_e64 v3, 0x46800000, |v2|
; %bb.3921:
	s_or_b32 exec_lo, exec_lo, s6
                                        ; implicit-def: $vgpr5
.LBB110_3922:
	s_and_not1_saveexec_b32 s3, s3
; %bb.3923:
	v_mov_b32_e32 v3, 0x7f
	v_cmp_lt_u32_e32 vcc_lo, 0x7f800000, v5
	s_delay_alu instid0(VALU_DEP_2)
	v_cndmask_b32_e32 v3, 0x7e, v3, vcc_lo
; %bb.3924:
	s_or_b32 exec_lo, exec_lo, s3
	v_lshrrev_b32_e32 v2, 24, v2
	s_delay_alu instid0(VALU_DEP_1)
	v_and_or_b32 v2, 0x80, v2, v3
	global_store_b8 v[6:7], v2, off
.LBB110_3925:
	s_mov_b32 s3, 0
.LBB110_3926:
	s_delay_alu instid0(SALU_CYCLE_1)
	s_and_not1_b32 vcc_lo, exec_lo, s3
	s_cbranch_vccnz .LBB110_3936
; %bb.3927:
	s_wait_xcnt 0x0
	s_delay_alu instid0(VALU_DEP_1) | instskip(SKIP_1) | instid1(VALU_DEP_1)
	v_cvt_f32_f64_e32 v2, v[0:1]
	s_mov_b32 s3, exec_lo
                                        ; implicit-def: $vgpr3
	v_and_b32_e32 v5, 0x7fffffff, v2
	s_delay_alu instid0(VALU_DEP_1)
	v_cmpx_gt_u32_e32 0x47800000, v5
	s_xor_b32 s3, exec_lo, s3
	s_cbranch_execz .LBB110_3933
; %bb.3928:
	s_mov_b32 s6, exec_lo
                                        ; implicit-def: $vgpr3
	v_cmpx_lt_u32_e32 0x387fffff, v5
	s_xor_b32 s6, exec_lo, s6
; %bb.3929:
	v_bfe_u32 v3, v2, 21, 1
	s_delay_alu instid0(VALU_DEP_1) | instskip(NEXT) | instid1(VALU_DEP_1)
	v_add3_u32 v3, v2, v3, 0x80fffff
	v_lshrrev_b32_e32 v3, 21, v3
; %bb.3930:
	s_and_not1_saveexec_b32 s6, s6
; %bb.3931:
	v_add_f32_e64 v3, 0x43000000, |v2|
; %bb.3932:
	s_or_b32 exec_lo, exec_lo, s6
                                        ; implicit-def: $vgpr5
.LBB110_3933:
	s_and_not1_saveexec_b32 s3, s3
; %bb.3934:
	v_mov_b32_e32 v3, 0x7f
	v_cmp_lt_u32_e32 vcc_lo, 0x7f800000, v5
	s_delay_alu instid0(VALU_DEP_2)
	v_cndmask_b32_e32 v3, 0x7c, v3, vcc_lo
; %bb.3935:
	s_or_b32 exec_lo, exec_lo, s3
	v_lshrrev_b32_e32 v2, 24, v2
	s_delay_alu instid0(VALU_DEP_1)
	v_and_or_b32 v2, 0x80, v2, v3
	global_store_b8 v[6:7], v2, off
.LBB110_3936:
	s_mov_b32 s3, 0
	s_mov_b32 s6, -1
.LBB110_3937:
	s_and_not1_b32 vcc_lo, exec_lo, s3
	s_mov_b32 s3, 0
	s_cbranch_vccnz .LBB110_3944
; %bb.3938:
	s_cmp_gt_i32 s2, 14
	s_mov_b32 s3, -1
	s_cbranch_scc0 .LBB110_3942
; %bb.3939:
	s_cmp_eq_u32 s2, 15
	s_mov_b32 s0, -1
	s_cbranch_scc0 .LBB110_3941
; %bb.3940:
	s_wait_xcnt 0x0
	s_delay_alu instid0(VALU_DEP_1) | instskip(SKIP_2) | instid1(VALU_DEP_1)
	v_cvt_f32_f64_e32 v2, v[0:1]
	s_mov_b32 s0, 0
	s_mov_b32 s6, -1
	v_bfe_u32 v3, v2, 16, 1
	v_cmp_o_f32_e32 vcc_lo, v2, v2
	s_delay_alu instid0(VALU_DEP_2) | instskip(NEXT) | instid1(VALU_DEP_1)
	v_add3_u32 v3, v2, v3, 0x7fff
	v_lshrrev_b32_e32 v3, 16, v3
	s_delay_alu instid0(VALU_DEP_1)
	v_cndmask_b32_e32 v2, 0x7fc0, v3, vcc_lo
	global_store_b16 v[6:7], v2, off
.LBB110_3941:
	s_mov_b32 s3, 0
.LBB110_3942:
	s_delay_alu instid0(SALU_CYCLE_1)
	s_and_b32 vcc_lo, exec_lo, s3
	s_mov_b32 s3, 0
	s_cbranch_vccz .LBB110_3944
; %bb.3943:
	s_cmp_lg_u32 s2, 11
	s_mov_b32 s3, -1
	s_cselect_b32 s0, -1, 0
.LBB110_3944:
	s_delay_alu instid0(SALU_CYCLE_1)
	s_and_b32 vcc_lo, exec_lo, s0
	s_cbranch_vccnz .LBB110_4124
; %bb.3945:
	s_and_not1_b32 vcc_lo, exec_lo, s3
	s_cbranch_vccnz .LBB110_3947
.LBB110_3946:
	s_delay_alu instid0(VALU_DEP_1)
	v_cmp_neq_f64_e32 vcc_lo, 0, v[0:1]
	s_mov_b32 s6, -1
	s_wait_xcnt 0x0
	v_cndmask_b32_e64 v2, 0, 1, vcc_lo
	global_store_b8 v[6:7], v2, off
.LBB110_3947:
	s_mov_b32 s0, 0
	s_branch .LBB110_3949
.LBB110_3948:
	s_mov_b32 s0, -1
	s_mov_b32 s6, 0
.LBB110_3949:
	s_and_b32 vcc_lo, exec_lo, s0
	s_cbranch_vccz .LBB110_3988
; %bb.3950:
	s_and_b32 s0, 0xffff, s24
	s_mov_b32 s2, -1
	s_cmp_lt_i32 s0, 5
	s_cbranch_scc1 .LBB110_3971
; %bb.3951:
	s_cmp_lt_i32 s0, 8
	s_cbranch_scc1 .LBB110_3961
; %bb.3952:
	;; [unrolled: 3-line block ×3, first 2 shown]
	s_cmp_gt_i32 s0, 9
	s_cbranch_scc0 .LBB110_3955
; %bb.3954:
	s_wait_xcnt 0x0
	v_mov_b32_e32 v2, 0
	s_mov_b32 s2, 0
	s_delay_alu instid0(VALU_DEP_1)
	v_mov_b32_e32 v3, v2
	global_store_b128 v[6:7], v[0:3], off
.LBB110_3955:
	s_and_not1_b32 vcc_lo, exec_lo, s2
	s_cbranch_vccnz .LBB110_3957
; %bb.3956:
	s_wait_xcnt 0x0
	s_delay_alu instid0(VALU_DEP_1)
	v_cvt_f32_f64_e32 v2, v[0:1]
	v_mov_b32_e32 v3, 0
	global_store_b64 v[6:7], v[2:3], off
.LBB110_3957:
	s_mov_b32 s2, 0
.LBB110_3958:
	s_delay_alu instid0(SALU_CYCLE_1)
	s_and_not1_b32 vcc_lo, exec_lo, s2
	s_cbranch_vccnz .LBB110_3960
; %bb.3959:
	s_wait_xcnt 0x0
	s_delay_alu instid0(VALU_DEP_1) | instskip(SKIP_2) | instid1(VALU_DEP_3)
	v_and_or_b32 v2, 0x1ff, v1, v0
	v_lshrrev_b32_e32 v3, 8, v1
	v_bfe_u32 v5, v1, 20, 11
	v_cmp_ne_u32_e32 vcc_lo, 0, v2
	s_delay_alu instid0(VALU_DEP_2) | instskip(SKIP_2) | instid1(VALU_DEP_1)
	v_sub_nc_u32_e32 v8, 0x3f1, v5
	v_add_nc_u32_e32 v5, 0xfffffc10, v5
	v_cndmask_b32_e64 v2, 0, 1, vcc_lo
	v_and_or_b32 v2, 0xffe, v3, v2
	s_delay_alu instid0(VALU_DEP_4) | instskip(NEXT) | instid1(VALU_DEP_2)
	v_med3_i32 v3, v8, 0, 13
	v_or_b32_e32 v8, 0x1000, v2
	s_delay_alu instid0(VALU_DEP_1) | instskip(NEXT) | instid1(VALU_DEP_1)
	v_lshrrev_b32_e32 v9, v3, v8
	v_lshlrev_b32_e32 v3, v3, v9
	s_delay_alu instid0(VALU_DEP_1) | instskip(SKIP_3) | instid1(VALU_DEP_2)
	v_cmp_ne_u32_e32 vcc_lo, v3, v8
	v_lshl_or_b32 v8, v5, 12, v2
	v_cndmask_b32_e64 v3, 0, 1, vcc_lo
	v_cmp_gt_i32_e32 vcc_lo, 1, v5
	v_or_b32_e32 v3, v9, v3
	s_delay_alu instid0(VALU_DEP_1) | instskip(NEXT) | instid1(VALU_DEP_1)
	v_cndmask_b32_e32 v3, v8, v3, vcc_lo
	v_dual_lshrrev_b32 v3, 2, v3 :: v_dual_bitop2_b32 v8, 7, v3 bitop3:0x40
	s_delay_alu instid0(VALU_DEP_1) | instskip(SKIP_4) | instid1(VALU_DEP_2)
	v_cmp_lt_i32_e32 vcc_lo, 5, v8
	v_cndmask_b32_e64 v9, 0, 1, vcc_lo
	v_cmp_eq_u32_e32 vcc_lo, 3, v8
	v_cndmask_b32_e64 v8, 0, 1, vcc_lo
	v_cmp_ne_u32_e32 vcc_lo, 0, v2
	v_or_b32_e32 v8, v8, v9
	v_mov_b32_e32 v9, 0x7e00
	s_delay_alu instid0(VALU_DEP_1) | instskip(SKIP_1) | instid1(VALU_DEP_2)
	v_dual_cndmask_b32 v2, 0x7c00, v9 :: v_dual_add_nc_u32 v3, v3, v8
	v_cmp_gt_i32_e32 vcc_lo, 31, v5
	v_dual_cndmask_b32 v3, 0x7c00, v3 :: v_dual_lshrrev_b32 v8, 16, v1
	v_cmp_eq_u32_e32 vcc_lo, 0x40f, v5
	s_delay_alu instid0(VALU_DEP_2) | instskip(NEXT) | instid1(VALU_DEP_3)
	v_cndmask_b32_e32 v2, v3, v2, vcc_lo
	v_and_b32_e32 v3, 0x8000, v8
	s_delay_alu instid0(VALU_DEP_1)
	v_bitop3_b32 v2, v3, 0xffff, v2 bitop3:0xc8
	global_store_b32 v[6:7], v2, off
.LBB110_3960:
	s_mov_b32 s2, 0
.LBB110_3961:
	s_delay_alu instid0(SALU_CYCLE_1)
	s_and_not1_b32 vcc_lo, exec_lo, s2
	s_cbranch_vccnz .LBB110_3970
; %bb.3962:
	s_cmp_lt_i32 s0, 6
	s_mov_b32 s2, -1
	s_cbranch_scc1 .LBB110_3968
; %bb.3963:
	s_cmp_gt_i32 s0, 6
	s_cbranch_scc0 .LBB110_3965
; %bb.3964:
	s_mov_b32 s2, 0
	global_store_b64 v[6:7], v[0:1], off
.LBB110_3965:
	s_and_not1_b32 vcc_lo, exec_lo, s2
	s_cbranch_vccnz .LBB110_3967
; %bb.3966:
	s_wait_xcnt 0x0
	s_delay_alu instid0(VALU_DEP_1)
	v_cvt_f32_f64_e32 v2, v[0:1]
	global_store_b32 v[6:7], v2, off
.LBB110_3967:
	s_mov_b32 s2, 0
.LBB110_3968:
	s_delay_alu instid0(SALU_CYCLE_1)
	s_and_not1_b32 vcc_lo, exec_lo, s2
	s_cbranch_vccnz .LBB110_3970
; %bb.3969:
	s_wait_xcnt 0x0
	s_delay_alu instid0(VALU_DEP_1) | instskip(SKIP_2) | instid1(VALU_DEP_3)
	v_and_or_b32 v2, 0x1ff, v1, v0
	v_lshrrev_b32_e32 v3, 8, v1
	v_bfe_u32 v5, v1, 20, 11
	v_cmp_ne_u32_e32 vcc_lo, 0, v2
	s_delay_alu instid0(VALU_DEP_2) | instskip(SKIP_2) | instid1(VALU_DEP_1)
	v_sub_nc_u32_e32 v8, 0x3f1, v5
	v_add_nc_u32_e32 v5, 0xfffffc10, v5
	v_cndmask_b32_e64 v2, 0, 1, vcc_lo
	v_and_or_b32 v2, 0xffe, v3, v2
	s_delay_alu instid0(VALU_DEP_4) | instskip(NEXT) | instid1(VALU_DEP_2)
	v_med3_i32 v3, v8, 0, 13
	v_or_b32_e32 v8, 0x1000, v2
	s_delay_alu instid0(VALU_DEP_1) | instskip(NEXT) | instid1(VALU_DEP_1)
	v_lshrrev_b32_e32 v9, v3, v8
	v_lshlrev_b32_e32 v3, v3, v9
	s_delay_alu instid0(VALU_DEP_1) | instskip(SKIP_3) | instid1(VALU_DEP_2)
	v_cmp_ne_u32_e32 vcc_lo, v3, v8
	v_lshl_or_b32 v8, v5, 12, v2
	v_cndmask_b32_e64 v3, 0, 1, vcc_lo
	v_cmp_gt_i32_e32 vcc_lo, 1, v5
	v_or_b32_e32 v3, v9, v3
	s_delay_alu instid0(VALU_DEP_1) | instskip(NEXT) | instid1(VALU_DEP_1)
	v_cndmask_b32_e32 v3, v8, v3, vcc_lo
	v_dual_lshrrev_b32 v3, 2, v3 :: v_dual_bitop2_b32 v8, 7, v3 bitop3:0x40
	s_delay_alu instid0(VALU_DEP_1) | instskip(SKIP_4) | instid1(VALU_DEP_2)
	v_cmp_lt_i32_e32 vcc_lo, 5, v8
	v_cndmask_b32_e64 v9, 0, 1, vcc_lo
	v_cmp_eq_u32_e32 vcc_lo, 3, v8
	v_cndmask_b32_e64 v8, 0, 1, vcc_lo
	v_cmp_ne_u32_e32 vcc_lo, 0, v2
	v_or_b32_e32 v8, v8, v9
	v_mov_b32_e32 v9, 0x7e00
	s_delay_alu instid0(VALU_DEP_1) | instskip(SKIP_1) | instid1(VALU_DEP_2)
	v_dual_cndmask_b32 v2, 0x7c00, v9 :: v_dual_add_nc_u32 v3, v3, v8
	v_cmp_gt_i32_e32 vcc_lo, 31, v5
	v_cndmask_b32_e32 v3, 0x7c00, v3, vcc_lo
	v_cmp_eq_u32_e32 vcc_lo, 0x40f, v5
	s_delay_alu instid0(VALU_DEP_2) | instskip(NEXT) | instid1(VALU_DEP_1)
	v_dual_cndmask_b32 v2, v3, v2 :: v_dual_lshrrev_b32 v3, 16, v1
	v_and_or_b32 v2, 0x8000, v3, v2
	global_store_b16 v[6:7], v2, off
.LBB110_3970:
	s_mov_b32 s2, 0
.LBB110_3971:
	s_delay_alu instid0(SALU_CYCLE_1)
	s_and_not1_b32 vcc_lo, exec_lo, s2
	s_cbranch_vccnz .LBB110_3987
; %bb.3972:
	s_cmp_lt_i32 s0, 2
	s_mov_b32 s2, -1
	s_cbranch_scc1 .LBB110_3982
; %bb.3973:
	s_cmp_lt_i32 s0, 3
	s_cbranch_scc1 .LBB110_3979
; %bb.3974:
	s_cmp_gt_i32 s0, 3
	s_cbranch_scc0 .LBB110_3976
; %bb.3975:
	s_wait_xcnt 0x0
	s_delay_alu instid0(VALU_DEP_1) | instskip(SKIP_1) | instid1(VALU_DEP_1)
	v_trunc_f64_e32 v[2:3], v[0:1]
	s_mov_b32 s2, 0
	v_ldexp_f64 v[8:9], v[2:3], 0xffffffe0
	s_delay_alu instid0(VALU_DEP_1) | instskip(NEXT) | instid1(VALU_DEP_1)
	v_floor_f64_e32 v[8:9], v[8:9]
	v_fmamk_f64 v[2:3], v[8:9], 0xc1f00000, v[2:3]
	v_cvt_i32_f64_e32 v9, v[8:9]
	s_delay_alu instid0(VALU_DEP_2)
	v_cvt_u32_f64_e32 v8, v[2:3]
	global_store_b64 v[6:7], v[8:9], off
.LBB110_3976:
	s_and_not1_b32 vcc_lo, exec_lo, s2
	s_cbranch_vccnz .LBB110_3978
; %bb.3977:
	s_wait_xcnt 0x0
	s_delay_alu instid0(VALU_DEP_1)
	v_cvt_i32_f64_e32 v2, v[0:1]
	global_store_b32 v[6:7], v2, off
.LBB110_3978:
	s_mov_b32 s2, 0
.LBB110_3979:
	s_delay_alu instid0(SALU_CYCLE_1)
	s_and_not1_b32 vcc_lo, exec_lo, s2
	s_cbranch_vccnz .LBB110_3981
; %bb.3980:
	s_wait_xcnt 0x0
	s_delay_alu instid0(VALU_DEP_1)
	v_cvt_i32_f64_e32 v2, v[0:1]
	global_store_b16 v[6:7], v2, off
.LBB110_3981:
	s_mov_b32 s2, 0
.LBB110_3982:
	s_delay_alu instid0(SALU_CYCLE_1)
	s_and_not1_b32 vcc_lo, exec_lo, s2
	s_cbranch_vccnz .LBB110_3987
; %bb.3983:
	s_cmp_gt_i32 s0, 0
	s_mov_b32 s0, -1
	s_cbranch_scc0 .LBB110_3985
; %bb.3984:
	s_wait_xcnt 0x0
	s_delay_alu instid0(VALU_DEP_1)
	v_cvt_i32_f64_e32 v2, v[0:1]
	s_mov_b32 s0, 0
	global_store_b8 v[6:7], v2, off
.LBB110_3985:
	s_and_not1_b32 vcc_lo, exec_lo, s0
	s_cbranch_vccnz .LBB110_3987
; %bb.3986:
	s_wait_xcnt 0x0
	s_delay_alu instid0(VALU_DEP_1) | instskip(NEXT) | instid1(VALU_DEP_1)
	v_trunc_f64_e32 v[0:1], v[0:1]
	v_ldexp_f64 v[2:3], v[0:1], 0xffffffe0
	s_delay_alu instid0(VALU_DEP_1) | instskip(NEXT) | instid1(VALU_DEP_1)
	v_floor_f64_e32 v[2:3], v[2:3]
	v_fmamk_f64 v[0:1], v[2:3], 0xc1f00000, v[0:1]
	s_delay_alu instid0(VALU_DEP_1)
	v_cvt_u32_f64_e32 v0, v[0:1]
	global_store_b8 v[6:7], v0, off
.LBB110_3987:
	s_mov_b32 s6, -1
.LBB110_3988:
	s_delay_alu instid0(SALU_CYCLE_1)
	s_and_not1_b32 vcc_lo, exec_lo, s6
	s_cbranch_vccnz .LBB110_4065
; %bb.3989:
	s_wait_xcnt 0x0
	v_add_nc_u32_e32 v2, s1, v4
	v_mul_f64_e32 v[0:1], s[18:19], v[20:21]
	s_cmp_lt_i32 s24, 11
	s_delay_alu instid0(VALU_DEP_2) | instskip(NEXT) | instid1(VALU_DEP_1)
	v_ashrrev_i32_e32 v3, 31, v2
	v_add_nc_u64_e32 v[4:5], s[4:5], v[2:3]
	s_delay_alu instid0(VALU_DEP_3) | instskip(NEXT) | instid1(VALU_DEP_1)
	v_mul_f64_e32 v[0:1], v[0:1], v[22:23]
	v_fmac_f64_e32 v[0:1], s[16:17], v[16:17]
	s_cbranch_scc1 .LBB110_4110
; %bb.3990:
	s_and_b32 s2, 0xffff, s24
	s_mov_b32 s3, -1
	s_mov_b32 s1, 0
	s_cmp_gt_i32 s2, 25
	s_mov_b32 s0, 0
	s_cbranch_scc0 .LBB110_4023
; %bb.3991:
	s_cmp_gt_i32 s2, 28
	s_cbranch_scc0 .LBB110_4007
; %bb.3992:
	s_cmp_gt_i32 s2, 43
	s_cbranch_scc0 .LBB110_4003
; %bb.3993:
	s_cmp_gt_i32 s2, 45
	s_cbranch_scc0 .LBB110_3997
; %bb.3994:
	s_cmp_eq_u32 s2, 46
	s_mov_b32 s0, -1
	s_cbranch_scc0 .LBB110_3996
; %bb.3995:
	s_delay_alu instid0(VALU_DEP_1) | instskip(SKIP_1) | instid1(VALU_DEP_1)
	v_cvt_f32_f64_e32 v2, v[0:1]
	s_mov_b32 s0, 0
	v_bfe_u32 v3, v2, 16, 1
	v_cmp_o_f32_e32 vcc_lo, v2, v2
	s_delay_alu instid0(VALU_DEP_2) | instskip(NEXT) | instid1(VALU_DEP_1)
	v_add3_u32 v3, v2, v3, 0x7fff
	v_lshrrev_b32_e32 v3, 16, v3
	s_delay_alu instid0(VALU_DEP_1)
	v_cndmask_b32_e32 v2, 0x7fc0, v3, vcc_lo
	global_store_b32 v[4:5], v2, off
.LBB110_3996:
	s_mov_b32 s3, 0
.LBB110_3997:
	s_delay_alu instid0(SALU_CYCLE_1)
	s_and_b32 vcc_lo, exec_lo, s3
	s_cbranch_vccz .LBB110_4002
; %bb.3998:
	s_cmp_eq_u32 s2, 44
	s_mov_b32 s0, -1
	s_cbranch_scc0 .LBB110_4002
; %bb.3999:
	s_wait_xcnt 0x0
	s_delay_alu instid0(VALU_DEP_1) | instskip(SKIP_2) | instid1(VALU_DEP_2)
	v_cvt_f32_f64_e32 v2, v[0:1]
	v_mov_b32_e32 v3, 0xff
	s_mov_b32 s3, exec_lo
	v_bfe_u32 v6, v2, 23, 8
	s_delay_alu instid0(VALU_DEP_1)
	v_cmpx_ne_u32_e32 0xff, v6
	s_cbranch_execz .LBB110_4001
; %bb.4000:
	v_and_b32_e32 v3, 0x400000, v2
	v_and_or_b32 v6, 0x3fffff, v2, v6
	v_lshrrev_b32_e32 v2, 23, v2
	s_delay_alu instid0(VALU_DEP_3) | instskip(NEXT) | instid1(VALU_DEP_3)
	v_cmp_ne_u32_e32 vcc_lo, 0, v3
	v_cmp_ne_u32_e64 s0, 0, v6
	s_and_b32 s0, vcc_lo, s0
	s_delay_alu instid0(SALU_CYCLE_1) | instskip(NEXT) | instid1(VALU_DEP_1)
	v_cndmask_b32_e64 v3, 0, 1, s0
	v_add_nc_u32_e32 v3, v2, v3
.LBB110_4001:
	s_or_b32 exec_lo, exec_lo, s3
	s_mov_b32 s0, 0
	global_store_b8 v[4:5], v3, off
.LBB110_4002:
	s_mov_b32 s3, 0
.LBB110_4003:
	s_delay_alu instid0(SALU_CYCLE_1)
	s_and_b32 vcc_lo, exec_lo, s3
	s_cbranch_vccz .LBB110_4006
; %bb.4004:
	s_cmp_eq_u32 s2, 29
	s_mov_b32 s0, -1
	s_cbranch_scc0 .LBB110_4006
; %bb.4005:
	s_wait_xcnt 0x0
	s_delay_alu instid0(VALU_DEP_1) | instskip(SKIP_1) | instid1(VALU_DEP_1)
	v_trunc_f64_e32 v[2:3], v[0:1]
	s_mov_b32 s0, 0
	v_ldexp_f64 v[6:7], v[2:3], 0xffffffe0
	s_delay_alu instid0(VALU_DEP_1) | instskip(NEXT) | instid1(VALU_DEP_1)
	v_floor_f64_e32 v[6:7], v[6:7]
	v_fmamk_f64 v[2:3], v[6:7], 0xc1f00000, v[2:3]
	v_cvt_u32_f64_e32 v7, v[6:7]
	s_delay_alu instid0(VALU_DEP_2)
	v_cvt_u32_f64_e32 v6, v[2:3]
	global_store_b64 v[4:5], v[6:7], off
.LBB110_4006:
	s_mov_b32 s3, 0
.LBB110_4007:
	s_delay_alu instid0(SALU_CYCLE_1)
	s_and_b32 vcc_lo, exec_lo, s3
	s_cbranch_vccz .LBB110_4022
; %bb.4008:
	s_cmp_lt_i32 s2, 27
	s_mov_b32 s3, -1
	s_cbranch_scc1 .LBB110_4014
; %bb.4009:
	s_wait_xcnt 0x0
	s_delay_alu instid0(VALU_DEP_1)
	v_cvt_u32_f64_e32 v2, v[0:1]
	s_cmp_gt_i32 s2, 27
	s_cbranch_scc0 .LBB110_4011
; %bb.4010:
	s_mov_b32 s3, 0
	global_store_b32 v[4:5], v2, off
.LBB110_4011:
	s_and_not1_b32 vcc_lo, exec_lo, s3
	s_cbranch_vccnz .LBB110_4013
; %bb.4012:
	global_store_b16 v[4:5], v2, off
.LBB110_4013:
	s_mov_b32 s3, 0
.LBB110_4014:
	s_delay_alu instid0(SALU_CYCLE_1)
	s_and_not1_b32 vcc_lo, exec_lo, s3
	s_cbranch_vccnz .LBB110_4022
; %bb.4015:
	s_wait_xcnt 0x0
	s_delay_alu instid0(VALU_DEP_1) | instskip(SKIP_2) | instid1(VALU_DEP_2)
	v_cvt_f32_f64_e32 v2, v[0:1]
	v_mov_b32_e32 v6, 0x80
	s_mov_b32 s3, exec_lo
	v_and_b32_e32 v3, 0x7fffffff, v2
	s_delay_alu instid0(VALU_DEP_1)
	v_cmpx_gt_u32_e32 0x43800000, v3
	s_cbranch_execz .LBB110_4021
; %bb.4016:
	v_cmp_lt_u32_e32 vcc_lo, 0x3bffffff, v3
	s_mov_b32 s4, 0
                                        ; implicit-def: $vgpr3
	s_and_saveexec_b32 s5, vcc_lo
	s_delay_alu instid0(SALU_CYCLE_1)
	s_xor_b32 s5, exec_lo, s5
	s_cbranch_execz .LBB110_4127
; %bb.4017:
	v_bfe_u32 v3, v2, 20, 1
	s_mov_b32 s4, exec_lo
	s_delay_alu instid0(VALU_DEP_1) | instskip(NEXT) | instid1(VALU_DEP_1)
	v_add3_u32 v3, v2, v3, 0x487ffff
	v_lshrrev_b32_e32 v3, 20, v3
	s_and_not1_saveexec_b32 s5, s5
	s_cbranch_execnz .LBB110_4128
.LBB110_4018:
	s_or_b32 exec_lo, exec_lo, s5
	v_mov_b32_e32 v6, 0
	s_and_saveexec_b32 s5, s4
.LBB110_4019:
	v_lshrrev_b32_e32 v2, 24, v2
	s_delay_alu instid0(VALU_DEP_1)
	v_and_or_b32 v6, 0x80, v2, v3
.LBB110_4020:
	s_or_b32 exec_lo, exec_lo, s5
.LBB110_4021:
	s_delay_alu instid0(SALU_CYCLE_1)
	s_or_b32 exec_lo, exec_lo, s3
	global_store_b8 v[4:5], v6, off
.LBB110_4022:
	s_mov_b32 s3, 0
.LBB110_4023:
	s_delay_alu instid0(SALU_CYCLE_1)
	s_and_b32 vcc_lo, exec_lo, s3
	s_cbranch_vccz .LBB110_4063
; %bb.4024:
	s_cmp_gt_i32 s2, 22
	s_mov_b32 s1, -1
	s_cbranch_scc0 .LBB110_4056
; %bb.4025:
	s_cmp_lt_i32 s2, 24
	s_cbranch_scc1 .LBB110_4045
; %bb.4026:
	s_cmp_gt_i32 s2, 24
	s_cbranch_scc0 .LBB110_4034
; %bb.4027:
	s_wait_xcnt 0x0
	s_delay_alu instid0(VALU_DEP_1) | instskip(SKIP_2) | instid1(VALU_DEP_2)
	v_cvt_f32_f64_e32 v2, v[0:1]
	v_mov_b32_e32 v6, 0x80
	s_mov_b32 s1, exec_lo
	v_and_b32_e32 v3, 0x7fffffff, v2
	s_delay_alu instid0(VALU_DEP_1)
	v_cmpx_gt_u32_e32 0x47800000, v3
	s_cbranch_execz .LBB110_4033
; %bb.4028:
	v_cmp_lt_u32_e32 vcc_lo, 0x37ffffff, v3
	s_mov_b32 s3, 0
                                        ; implicit-def: $vgpr3
	s_and_saveexec_b32 s4, vcc_lo
	s_delay_alu instid0(SALU_CYCLE_1)
	s_xor_b32 s4, exec_lo, s4
	s_cbranch_execz .LBB110_4130
; %bb.4029:
	v_bfe_u32 v3, v2, 21, 1
	s_mov_b32 s3, exec_lo
	s_delay_alu instid0(VALU_DEP_1) | instskip(NEXT) | instid1(VALU_DEP_1)
	v_add3_u32 v3, v2, v3, 0x88fffff
	v_lshrrev_b32_e32 v3, 21, v3
	s_and_not1_saveexec_b32 s4, s4
	s_cbranch_execnz .LBB110_4131
.LBB110_4030:
	s_or_b32 exec_lo, exec_lo, s4
	v_mov_b32_e32 v6, 0
	s_and_saveexec_b32 s4, s3
.LBB110_4031:
	v_lshrrev_b32_e32 v2, 24, v2
	s_delay_alu instid0(VALU_DEP_1)
	v_and_or_b32 v6, 0x80, v2, v3
.LBB110_4032:
	s_or_b32 exec_lo, exec_lo, s4
.LBB110_4033:
	s_delay_alu instid0(SALU_CYCLE_1)
	s_or_b32 exec_lo, exec_lo, s1
	s_mov_b32 s1, 0
	global_store_b8 v[4:5], v6, off
.LBB110_4034:
	s_and_b32 vcc_lo, exec_lo, s1
	s_cbranch_vccz .LBB110_4044
; %bb.4035:
	s_wait_xcnt 0x0
	s_delay_alu instid0(VALU_DEP_1) | instskip(SKIP_1) | instid1(VALU_DEP_1)
	v_cvt_f32_f64_e32 v2, v[0:1]
	s_mov_b32 s1, exec_lo
                                        ; implicit-def: $vgpr3
	v_and_b32_e32 v6, 0x7fffffff, v2
	s_delay_alu instid0(VALU_DEP_1)
	v_cmpx_gt_u32_e32 0x43f00000, v6
	s_xor_b32 s1, exec_lo, s1
	s_cbranch_execz .LBB110_4041
; %bb.4036:
	s_mov_b32 s3, exec_lo
                                        ; implicit-def: $vgpr3
	v_cmpx_lt_u32_e32 0x3c7fffff, v6
	s_xor_b32 s3, exec_lo, s3
; %bb.4037:
	v_bfe_u32 v3, v2, 20, 1
	s_delay_alu instid0(VALU_DEP_1) | instskip(NEXT) | instid1(VALU_DEP_1)
	v_add3_u32 v3, v2, v3, 0x407ffff
	v_and_b32_e32 v6, 0xff00000, v3
	v_lshrrev_b32_e32 v3, 20, v3
	s_delay_alu instid0(VALU_DEP_2) | instskip(NEXT) | instid1(VALU_DEP_2)
	v_cmp_ne_u32_e32 vcc_lo, 0x7f00000, v6
	v_cndmask_b32_e32 v3, 0x7e, v3, vcc_lo
; %bb.4038:
	s_and_not1_saveexec_b32 s3, s3
; %bb.4039:
	v_add_f32_e64 v3, 0x46800000, |v2|
; %bb.4040:
	s_or_b32 exec_lo, exec_lo, s3
                                        ; implicit-def: $vgpr6
.LBB110_4041:
	s_and_not1_saveexec_b32 s1, s1
; %bb.4042:
	v_mov_b32_e32 v3, 0x7f
	v_cmp_lt_u32_e32 vcc_lo, 0x7f800000, v6
	s_delay_alu instid0(VALU_DEP_2)
	v_cndmask_b32_e32 v3, 0x7e, v3, vcc_lo
; %bb.4043:
	s_or_b32 exec_lo, exec_lo, s1
	v_lshrrev_b32_e32 v2, 24, v2
	s_delay_alu instid0(VALU_DEP_1)
	v_and_or_b32 v2, 0x80, v2, v3
	global_store_b8 v[4:5], v2, off
.LBB110_4044:
	s_mov_b32 s1, 0
.LBB110_4045:
	s_delay_alu instid0(SALU_CYCLE_1)
	s_and_not1_b32 vcc_lo, exec_lo, s1
	s_cbranch_vccnz .LBB110_4055
; %bb.4046:
	s_wait_xcnt 0x0
	s_delay_alu instid0(VALU_DEP_1) | instskip(SKIP_1) | instid1(VALU_DEP_1)
	v_cvt_f32_f64_e32 v2, v[0:1]
	s_mov_b32 s1, exec_lo
                                        ; implicit-def: $vgpr3
	v_and_b32_e32 v6, 0x7fffffff, v2
	s_delay_alu instid0(VALU_DEP_1)
	v_cmpx_gt_u32_e32 0x47800000, v6
	s_xor_b32 s1, exec_lo, s1
	s_cbranch_execz .LBB110_4052
; %bb.4047:
	s_mov_b32 s3, exec_lo
                                        ; implicit-def: $vgpr3
	v_cmpx_lt_u32_e32 0x387fffff, v6
	s_xor_b32 s3, exec_lo, s3
; %bb.4048:
	v_bfe_u32 v3, v2, 21, 1
	s_delay_alu instid0(VALU_DEP_1) | instskip(NEXT) | instid1(VALU_DEP_1)
	v_add3_u32 v3, v2, v3, 0x80fffff
	v_lshrrev_b32_e32 v3, 21, v3
; %bb.4049:
	s_and_not1_saveexec_b32 s3, s3
; %bb.4050:
	v_add_f32_e64 v3, 0x43000000, |v2|
; %bb.4051:
	s_or_b32 exec_lo, exec_lo, s3
                                        ; implicit-def: $vgpr6
.LBB110_4052:
	s_and_not1_saveexec_b32 s1, s1
; %bb.4053:
	v_mov_b32_e32 v3, 0x7f
	v_cmp_lt_u32_e32 vcc_lo, 0x7f800000, v6
	s_delay_alu instid0(VALU_DEP_2)
	v_cndmask_b32_e32 v3, 0x7c, v3, vcc_lo
; %bb.4054:
	s_or_b32 exec_lo, exec_lo, s1
	v_lshrrev_b32_e32 v2, 24, v2
	s_delay_alu instid0(VALU_DEP_1)
	v_and_or_b32 v2, 0x80, v2, v3
	global_store_b8 v[4:5], v2, off
.LBB110_4055:
	s_mov_b32 s1, 0
.LBB110_4056:
	s_delay_alu instid0(SALU_CYCLE_1)
	s_and_not1_b32 vcc_lo, exec_lo, s1
	s_mov_b32 s1, 0
	s_cbranch_vccnz .LBB110_4063
; %bb.4057:
	s_cmp_gt_i32 s2, 14
	s_mov_b32 s1, -1
	s_cbranch_scc0 .LBB110_4061
; %bb.4058:
	s_cmp_eq_u32 s2, 15
	s_mov_b32 s0, -1
	s_cbranch_scc0 .LBB110_4060
; %bb.4059:
	s_wait_xcnt 0x0
	s_delay_alu instid0(VALU_DEP_1) | instskip(SKIP_1) | instid1(VALU_DEP_1)
	v_cvt_f32_f64_e32 v2, v[0:1]
	s_mov_b32 s0, 0
	v_bfe_u32 v3, v2, 16, 1
	v_cmp_o_f32_e32 vcc_lo, v2, v2
	s_delay_alu instid0(VALU_DEP_2) | instskip(NEXT) | instid1(VALU_DEP_1)
	v_add3_u32 v3, v2, v3, 0x7fff
	v_lshrrev_b32_e32 v3, 16, v3
	s_delay_alu instid0(VALU_DEP_1)
	v_cndmask_b32_e32 v2, 0x7fc0, v3, vcc_lo
	global_store_b16 v[4:5], v2, off
.LBB110_4060:
	s_mov_b32 s1, 0
.LBB110_4061:
	s_delay_alu instid0(SALU_CYCLE_1)
	s_and_b32 vcc_lo, exec_lo, s1
	s_mov_b32 s1, 0
	s_cbranch_vccz .LBB110_4063
; %bb.4062:
	s_cmp_lg_u32 s2, 11
	s_mov_b32 s1, -1
	s_cselect_b32 s0, -1, 0
.LBB110_4063:
	s_delay_alu instid0(SALU_CYCLE_1)
	s_and_b32 vcc_lo, exec_lo, s0
	s_cbranch_vccnz .LBB110_4129
.LBB110_4064:
	s_mov_b32 s0, 0
	s_branch .LBB110_4066
.LBB110_4065:
	s_mov_b32 s0, 0
	s_mov_b32 s1, 0
                                        ; implicit-def: $sgpr24
                                        ; implicit-def: $vgpr4_vgpr5
                                        ; implicit-def: $vgpr0_vgpr1
.LBB110_4066:
	s_and_not1_b32 s2, s23, exec_lo
	s_and_b32 s3, s20, exec_lo
	s_and_b32 s0, s0, exec_lo
	;; [unrolled: 1-line block ×3, first 2 shown]
	s_or_b32 s23, s2, s3
.LBB110_4067:
	s_wait_xcnt 0x0
	s_or_b32 exec_lo, exec_lo, s22
	s_and_saveexec_b32 s1, s23
	s_cbranch_execz .LBB110_4070
; %bb.4068:
	; divergent unreachable
	s_or_b32 exec_lo, exec_lo, s1
	s_and_saveexec_b32 s1, s20
	s_delay_alu instid0(SALU_CYCLE_1)
	s_xor_b32 s1, exec_lo, s1
	s_cbranch_execnz .LBB110_4071
.LBB110_4069:
	s_or_b32 exec_lo, exec_lo, s1
	s_and_saveexec_b32 s1, s0
	s_cbranch_execnz .LBB110_4072
	s_branch .LBB110_4109
.LBB110_4070:
	s_or_b32 exec_lo, exec_lo, s1
	s_and_saveexec_b32 s1, s20
	s_delay_alu instid0(SALU_CYCLE_1)
	s_xor_b32 s1, exec_lo, s1
	s_cbranch_execz .LBB110_4069
.LBB110_4071:
	s_wait_loadcnt 0x0
	s_delay_alu instid0(VALU_DEP_1)
	v_cmp_neq_f64_e32 vcc_lo, 0, v[0:1]
	v_cndmask_b32_e64 v2, 0, 1, vcc_lo
	global_store_b8 v[4:5], v2, off
	s_wait_xcnt 0x0
	s_or_b32 exec_lo, exec_lo, s1
	s_and_saveexec_b32 s1, s0
	s_cbranch_execz .LBB110_4109
.LBB110_4072:
	s_sext_i32_i16 s1, s24
	s_mov_b32 s0, -1
	s_cmp_lt_i32 s1, 5
	s_cbranch_scc1 .LBB110_4093
; %bb.4073:
	s_cmp_lt_i32 s1, 8
	s_cbranch_scc1 .LBB110_4083
; %bb.4074:
	;; [unrolled: 3-line block ×3, first 2 shown]
	s_cmp_gt_i32 s1, 9
	s_cbranch_scc0 .LBB110_4077
; %bb.4076:
	s_wait_loadcnt 0x0
	v_mov_b32_e32 v2, 0
	s_mov_b32 s0, 0
	s_delay_alu instid0(VALU_DEP_1)
	v_mov_b32_e32 v3, v2
	global_store_b128 v[4:5], v[0:3], off
.LBB110_4077:
	s_and_not1_b32 vcc_lo, exec_lo, s0
	s_cbranch_vccnz .LBB110_4079
; %bb.4078:
	s_wait_loadcnt 0x0
	v_cvt_f32_f64_e32 v2, v[0:1]
	v_mov_b32_e32 v3, 0
	global_store_b64 v[4:5], v[2:3], off
.LBB110_4079:
	s_mov_b32 s0, 0
.LBB110_4080:
	s_delay_alu instid0(SALU_CYCLE_1)
	s_and_not1_b32 vcc_lo, exec_lo, s0
	s_cbranch_vccnz .LBB110_4082
; %bb.4081:
	s_wait_loadcnt 0x0
	v_and_or_b32 v2, 0x1ff, v1, v0
	v_lshrrev_b32_e32 v3, 8, v1
	v_bfe_u32 v6, v1, 20, 11
	s_delay_alu instid0(VALU_DEP_3) | instskip(NEXT) | instid1(VALU_DEP_2)
	v_cmp_ne_u32_e32 vcc_lo, 0, v2
	v_sub_nc_u32_e32 v7, 0x3f1, v6
	v_cndmask_b32_e64 v2, 0, 1, vcc_lo
	s_delay_alu instid0(VALU_DEP_1) | instskip(NEXT) | instid1(VALU_DEP_3)
	v_and_or_b32 v2, 0xffe, v3, v2
	v_med3_i32 v3, v7, 0, 13
	s_delay_alu instid0(VALU_DEP_2) | instskip(NEXT) | instid1(VALU_DEP_1)
	v_or_b32_e32 v7, 0x1000, v2
	v_lshrrev_b32_e32 v8, v3, v7
	s_delay_alu instid0(VALU_DEP_1) | instskip(NEXT) | instid1(VALU_DEP_1)
	v_lshlrev_b32_e32 v3, v3, v8
	v_cmp_ne_u32_e32 vcc_lo, v3, v7
	v_cndmask_b32_e64 v3, 0, 1, vcc_lo
	s_delay_alu instid0(VALU_DEP_1) | instskip(SKIP_1) | instid1(VALU_DEP_1)
	v_or_b32_e32 v3, v8, v3
	v_add_nc_u32_e32 v6, 0xfffffc10, v6
	v_lshl_or_b32 v7, v6, 12, v2
	v_cmp_gt_i32_e32 vcc_lo, 1, v6
	s_delay_alu instid0(VALU_DEP_2) | instskip(NEXT) | instid1(VALU_DEP_1)
	v_cndmask_b32_e32 v3, v7, v3, vcc_lo
	v_dual_lshrrev_b32 v3, 2, v3 :: v_dual_bitop2_b32 v7, 7, v3 bitop3:0x40
	s_delay_alu instid0(VALU_DEP_1) | instskip(SKIP_4) | instid1(VALU_DEP_2)
	v_cmp_lt_i32_e32 vcc_lo, 5, v7
	v_cndmask_b32_e64 v8, 0, 1, vcc_lo
	v_cmp_eq_u32_e32 vcc_lo, 3, v7
	v_cndmask_b32_e64 v7, 0, 1, vcc_lo
	v_cmp_ne_u32_e32 vcc_lo, 0, v2
	v_or_b32_e32 v7, v7, v8
	s_delay_alu instid0(VALU_DEP_1) | instskip(NEXT) | instid1(VALU_DEP_1)
	v_dual_mov_b32 v8, 0x7e00 :: v_dual_add_nc_u32 v3, v3, v7
	v_cndmask_b32_e32 v2, 0x7c00, v8, vcc_lo
	v_cmp_gt_i32_e32 vcc_lo, 31, v6
	v_lshrrev_b32_e32 v7, 16, v1
	s_delay_alu instid0(VALU_DEP_4) | instskip(SKIP_1) | instid1(VALU_DEP_2)
	v_cndmask_b32_e32 v3, 0x7c00, v3, vcc_lo
	v_cmp_eq_u32_e32 vcc_lo, 0x40f, v6
	v_cndmask_b32_e32 v2, v3, v2, vcc_lo
	s_delay_alu instid0(VALU_DEP_4) | instskip(NEXT) | instid1(VALU_DEP_1)
	v_and_b32_e32 v3, 0x8000, v7
	v_bitop3_b32 v2, v3, 0xffff, v2 bitop3:0xc8
	global_store_b32 v[4:5], v2, off
.LBB110_4082:
	s_mov_b32 s0, 0
.LBB110_4083:
	s_delay_alu instid0(SALU_CYCLE_1)
	s_and_not1_b32 vcc_lo, exec_lo, s0
	s_cbranch_vccnz .LBB110_4092
; %bb.4084:
	s_sext_i32_i16 s1, s24
	s_mov_b32 s0, -1
	s_cmp_lt_i32 s1, 6
	s_cbranch_scc1 .LBB110_4090
; %bb.4085:
	s_cmp_gt_i32 s1, 6
	s_cbranch_scc0 .LBB110_4087
; %bb.4086:
	s_mov_b32 s0, 0
	s_wait_loadcnt 0x0
	global_store_b64 v[4:5], v[0:1], off
.LBB110_4087:
	s_and_not1_b32 vcc_lo, exec_lo, s0
	s_cbranch_vccnz .LBB110_4089
; %bb.4088:
	s_wait_loadcnt 0x0
	v_cvt_f32_f64_e32 v2, v[0:1]
	global_store_b32 v[4:5], v2, off
.LBB110_4089:
	s_mov_b32 s0, 0
.LBB110_4090:
	s_delay_alu instid0(SALU_CYCLE_1)
	s_and_not1_b32 vcc_lo, exec_lo, s0
	s_cbranch_vccnz .LBB110_4092
; %bb.4091:
	s_wait_loadcnt 0x0
	v_and_or_b32 v2, 0x1ff, v1, v0
	v_lshrrev_b32_e32 v3, 8, v1
	v_bfe_u32 v6, v1, 20, 11
	s_delay_alu instid0(VALU_DEP_3) | instskip(NEXT) | instid1(VALU_DEP_2)
	v_cmp_ne_u32_e32 vcc_lo, 0, v2
	v_sub_nc_u32_e32 v7, 0x3f1, v6
	v_cndmask_b32_e64 v2, 0, 1, vcc_lo
	s_delay_alu instid0(VALU_DEP_1) | instskip(NEXT) | instid1(VALU_DEP_3)
	v_and_or_b32 v2, 0xffe, v3, v2
	v_med3_i32 v3, v7, 0, 13
	s_delay_alu instid0(VALU_DEP_2) | instskip(NEXT) | instid1(VALU_DEP_1)
	v_or_b32_e32 v7, 0x1000, v2
	v_lshrrev_b32_e32 v8, v3, v7
	s_delay_alu instid0(VALU_DEP_1) | instskip(NEXT) | instid1(VALU_DEP_1)
	v_lshlrev_b32_e32 v3, v3, v8
	v_cmp_ne_u32_e32 vcc_lo, v3, v7
	v_cndmask_b32_e64 v3, 0, 1, vcc_lo
	s_delay_alu instid0(VALU_DEP_1) | instskip(SKIP_1) | instid1(VALU_DEP_1)
	v_or_b32_e32 v3, v8, v3
	v_add_nc_u32_e32 v6, 0xfffffc10, v6
	v_lshl_or_b32 v7, v6, 12, v2
	v_cmp_gt_i32_e32 vcc_lo, 1, v6
	s_delay_alu instid0(VALU_DEP_2) | instskip(NEXT) | instid1(VALU_DEP_1)
	v_cndmask_b32_e32 v3, v7, v3, vcc_lo
	v_dual_lshrrev_b32 v3, 2, v3 :: v_dual_bitop2_b32 v7, 7, v3 bitop3:0x40
	s_delay_alu instid0(VALU_DEP_1) | instskip(SKIP_4) | instid1(VALU_DEP_2)
	v_cmp_lt_i32_e32 vcc_lo, 5, v7
	v_cndmask_b32_e64 v8, 0, 1, vcc_lo
	v_cmp_eq_u32_e32 vcc_lo, 3, v7
	v_cndmask_b32_e64 v7, 0, 1, vcc_lo
	v_cmp_ne_u32_e32 vcc_lo, 0, v2
	v_or_b32_e32 v7, v7, v8
	s_delay_alu instid0(VALU_DEP_1) | instskip(NEXT) | instid1(VALU_DEP_1)
	v_dual_mov_b32 v8, 0x7e00 :: v_dual_add_nc_u32 v3, v3, v7
	v_cndmask_b32_e32 v2, 0x7c00, v8, vcc_lo
	v_cmp_gt_i32_e32 vcc_lo, 31, v6
	s_delay_alu instid0(VALU_DEP_3) | instskip(SKIP_1) | instid1(VALU_DEP_2)
	v_cndmask_b32_e32 v3, 0x7c00, v3, vcc_lo
	v_cmp_eq_u32_e32 vcc_lo, 0x40f, v6
	v_dual_cndmask_b32 v2, v3, v2 :: v_dual_lshrrev_b32 v3, 16, v1
	s_delay_alu instid0(VALU_DEP_1)
	v_and_or_b32 v2, 0x8000, v3, v2
	global_store_b16 v[4:5], v2, off
.LBB110_4092:
	s_mov_b32 s0, 0
.LBB110_4093:
	s_delay_alu instid0(SALU_CYCLE_1)
	s_and_not1_b32 vcc_lo, exec_lo, s0
	s_cbranch_vccnz .LBB110_4109
; %bb.4094:
	s_sext_i32_i16 s1, s24
	s_mov_b32 s0, -1
	s_cmp_lt_i32 s1, 2
	s_cbranch_scc1 .LBB110_4104
; %bb.4095:
	s_cmp_lt_i32 s1, 3
	s_cbranch_scc1 .LBB110_4101
; %bb.4096:
	s_cmp_gt_i32 s1, 3
	s_cbranch_scc0 .LBB110_4098
; %bb.4097:
	s_wait_loadcnt 0x0
	v_trunc_f64_e32 v[2:3], v[0:1]
	s_mov_b32 s0, 0
	s_delay_alu instid0(VALU_DEP_1) | instskip(NEXT) | instid1(VALU_DEP_1)
	v_ldexp_f64 v[6:7], v[2:3], 0xffffffe0
	v_floor_f64_e32 v[6:7], v[6:7]
	s_delay_alu instid0(VALU_DEP_1) | instskip(SKIP_1) | instid1(VALU_DEP_2)
	v_fmamk_f64 v[2:3], v[6:7], 0xc1f00000, v[2:3]
	v_cvt_i32_f64_e32 v7, v[6:7]
	v_cvt_u32_f64_e32 v6, v[2:3]
	global_store_b64 v[4:5], v[6:7], off
.LBB110_4098:
	s_and_not1_b32 vcc_lo, exec_lo, s0
	s_cbranch_vccnz .LBB110_4100
; %bb.4099:
	s_wait_loadcnt 0x0
	v_cvt_i32_f64_e32 v2, v[0:1]
	global_store_b32 v[4:5], v2, off
.LBB110_4100:
	s_mov_b32 s0, 0
.LBB110_4101:
	s_delay_alu instid0(SALU_CYCLE_1)
	s_and_not1_b32 vcc_lo, exec_lo, s0
	s_cbranch_vccnz .LBB110_4103
; %bb.4102:
	s_wait_loadcnt 0x0
	v_cvt_i32_f64_e32 v2, v[0:1]
	global_store_b16 v[4:5], v2, off
.LBB110_4103:
	s_mov_b32 s0, 0
.LBB110_4104:
	s_delay_alu instid0(SALU_CYCLE_1)
	s_and_not1_b32 vcc_lo, exec_lo, s0
	s_cbranch_vccnz .LBB110_4109
; %bb.4105:
	s_sext_i32_i16 s0, s24
	s_delay_alu instid0(SALU_CYCLE_1)
	s_cmp_gt_i32 s0, 0
	s_mov_b32 s0, -1
	s_cbranch_scc0 .LBB110_4107
; %bb.4106:
	s_wait_loadcnt 0x0
	v_cvt_i32_f64_e32 v2, v[0:1]
	s_mov_b32 s0, 0
	global_store_b8 v[4:5], v2, off
.LBB110_4107:
	s_and_not1_b32 vcc_lo, exec_lo, s0
	s_cbranch_vccnz .LBB110_4109
; %bb.4108:
	s_wait_loadcnt 0x0
	v_trunc_f64_e32 v[0:1], v[0:1]
	s_delay_alu instid0(VALU_DEP_1) | instskip(NEXT) | instid1(VALU_DEP_1)
	v_ldexp_f64 v[2:3], v[0:1], 0xffffffe0
	v_floor_f64_e32 v[2:3], v[2:3]
	s_delay_alu instid0(VALU_DEP_1) | instskip(NEXT) | instid1(VALU_DEP_1)
	v_fmamk_f64 v[0:1], v[2:3], 0xc1f00000, v[0:1]
	v_cvt_u32_f64_e32 v0, v[0:1]
	global_store_b8 v[4:5], v0, off
	s_endpgm
.LBB110_4109:
	s_endpgm
.LBB110_4110:
	s_mov_b32 s1, 0
	s_mov_b32 s0, -1
	s_branch .LBB110_4066
.LBB110_4111:
	s_or_b32 s20, s20, exec_lo
	s_trap 2
	s_cbranch_execz .LBB110_3580
	s_branch .LBB110_3581
.LBB110_4112:
	s_and_not1_saveexec_b32 s7, s7
	s_cbranch_execz .LBB110_3660
.LBB110_4113:
	v_add_f32_e64 v3, 0x46000000, |v2|
	s_and_not1_b32 s6, s6, exec_lo
	s_delay_alu instid0(VALU_DEP_1) | instskip(NEXT) | instid1(VALU_DEP_1)
	v_and_b32_e32 v3, 0xff, v3
	v_cmp_ne_u32_e32 vcc_lo, 0, v3
	s_and_b32 s8, vcc_lo, exec_lo
	s_delay_alu instid0(SALU_CYCLE_1)
	s_or_b32 s6, s6, s8
	s_or_b32 exec_lo, exec_lo, s7
	v_mov_b32_e32 v7, 0
	s_and_saveexec_b32 s7, s6
	s_cbranch_execnz .LBB110_3661
	s_branch .LBB110_3662
.LBB110_4114:
	s_or_b32 s20, s20, exec_lo
	s_trap 2
	s_cbranch_execz .LBB110_3708
	s_branch .LBB110_3709
.LBB110_4115:
	s_and_not1_saveexec_b32 s6, s6
	s_cbranch_execz .LBB110_3673
.LBB110_4116:
	v_add_f32_e64 v3, 0x42800000, |v2|
	s_and_not1_b32 s3, s3, exec_lo
	s_delay_alu instid0(VALU_DEP_1) | instskip(NEXT) | instid1(VALU_DEP_1)
	v_and_b32_e32 v3, 0xff, v3
	v_cmp_ne_u32_e32 vcc_lo, 0, v3
	s_and_b32 s7, vcc_lo, exec_lo
	s_delay_alu instid0(SALU_CYCLE_1)
	s_or_b32 s3, s3, s7
	s_or_b32 exec_lo, exec_lo, s6
	v_mov_b32_e32 v7, 0
	s_and_saveexec_b32 s6, s3
	s_cbranch_execnz .LBB110_3674
	s_branch .LBB110_3675
.LBB110_4117:
	s_and_not1_saveexec_b32 s8, s8
	s_cbranch_execz .LBB110_3779
.LBB110_4118:
	v_add_f32_e64 v3, 0x46000000, |v2|
	s_and_not1_b32 s7, s7, exec_lo
	s_delay_alu instid0(VALU_DEP_1) | instskip(NEXT) | instid1(VALU_DEP_1)
	v_and_b32_e32 v3, 0xff, v3
	v_cmp_ne_u32_e32 vcc_lo, 0, v3
	s_and_b32 s9, vcc_lo, exec_lo
	s_delay_alu instid0(SALU_CYCLE_1)
	s_or_b32 s7, s7, s9
	s_or_b32 exec_lo, exec_lo, s8
	v_mov_b32_e32 v5, 0
	s_and_saveexec_b32 s8, s7
	s_cbranch_execnz .LBB110_3780
	s_branch .LBB110_3781
.LBB110_4119:
	s_or_b32 s20, s20, exec_lo
	s_trap 2
	s_cbranch_execz .LBB110_3827
	s_branch .LBB110_3828
.LBB110_4120:
	s_and_not1_saveexec_b32 s7, s7
	s_cbranch_execz .LBB110_3792
.LBB110_4121:
	v_add_f32_e64 v3, 0x42800000, |v2|
	s_and_not1_b32 s6, s6, exec_lo
	s_delay_alu instid0(VALU_DEP_1) | instskip(NEXT) | instid1(VALU_DEP_1)
	v_and_b32_e32 v3, 0xff, v3
	v_cmp_ne_u32_e32 vcc_lo, 0, v3
	s_and_b32 s8, vcc_lo, exec_lo
	s_delay_alu instid0(SALU_CYCLE_1)
	s_or_b32 s6, s6, s8
	s_or_b32 exec_lo, exec_lo, s7
	v_mov_b32_e32 v5, 0
	s_and_saveexec_b32 s7, s6
	s_cbranch_execnz .LBB110_3793
	s_branch .LBB110_3794
.LBB110_4122:
	s_and_not1_saveexec_b32 s8, s8
	s_cbranch_execz .LBB110_3898
.LBB110_4123:
	v_add_f32_e64 v3, 0x46000000, |v2|
	s_and_not1_b32 s7, s7, exec_lo
	s_delay_alu instid0(VALU_DEP_1) | instskip(NEXT) | instid1(VALU_DEP_1)
	v_and_b32_e32 v3, 0xff, v3
	v_cmp_ne_u32_e32 vcc_lo, 0, v3
	s_and_b32 s9, vcc_lo, exec_lo
	s_delay_alu instid0(SALU_CYCLE_1)
	s_or_b32 s7, s7, s9
	s_or_b32 exec_lo, exec_lo, s8
	v_mov_b32_e32 v5, 0
	s_and_saveexec_b32 s8, s7
	s_cbranch_execnz .LBB110_3899
	s_branch .LBB110_3900
.LBB110_4124:
	s_or_b32 s20, s20, exec_lo
	s_trap 2
	s_cbranch_execz .LBB110_3946
	s_branch .LBB110_3947
.LBB110_4125:
	s_and_not1_saveexec_b32 s7, s7
	s_cbranch_execz .LBB110_3911
.LBB110_4126:
	v_add_f32_e64 v3, 0x42800000, |v2|
	s_and_not1_b32 s6, s6, exec_lo
	s_delay_alu instid0(VALU_DEP_1) | instskip(NEXT) | instid1(VALU_DEP_1)
	v_and_b32_e32 v3, 0xff, v3
	v_cmp_ne_u32_e32 vcc_lo, 0, v3
	s_and_b32 s8, vcc_lo, exec_lo
	s_delay_alu instid0(SALU_CYCLE_1)
	s_or_b32 s6, s6, s8
	s_or_b32 exec_lo, exec_lo, s7
	v_mov_b32_e32 v5, 0
	s_and_saveexec_b32 s7, s6
	s_cbranch_execnz .LBB110_3912
	s_branch .LBB110_3913
.LBB110_4127:
	s_and_not1_saveexec_b32 s5, s5
	s_cbranch_execz .LBB110_4018
.LBB110_4128:
	v_add_f32_e64 v3, 0x46000000, |v2|
	s_and_not1_b32 s4, s4, exec_lo
	s_delay_alu instid0(VALU_DEP_1) | instskip(NEXT) | instid1(VALU_DEP_1)
	v_and_b32_e32 v3, 0xff, v3
	v_cmp_ne_u32_e32 vcc_lo, 0, v3
	s_and_b32 s6, vcc_lo, exec_lo
	s_delay_alu instid0(SALU_CYCLE_1)
	s_or_b32 s4, s4, s6
	s_or_b32 exec_lo, exec_lo, s5
	v_mov_b32_e32 v6, 0
	s_and_saveexec_b32 s5, s4
	s_cbranch_execnz .LBB110_4019
	s_branch .LBB110_4020
.LBB110_4129:
	s_mov_b32 s1, 0
	s_or_b32 s20, s20, exec_lo
	s_trap 2
	s_branch .LBB110_4064
.LBB110_4130:
	s_and_not1_saveexec_b32 s4, s4
	s_cbranch_execz .LBB110_4030
.LBB110_4131:
	v_add_f32_e64 v3, 0x42800000, |v2|
	s_and_not1_b32 s3, s3, exec_lo
	s_delay_alu instid0(VALU_DEP_1) | instskip(NEXT) | instid1(VALU_DEP_1)
	v_and_b32_e32 v3, 0xff, v3
	v_cmp_ne_u32_e32 vcc_lo, 0, v3
	s_and_b32 s5, vcc_lo, exec_lo
	s_delay_alu instid0(SALU_CYCLE_1)
	s_or_b32 s3, s3, s5
	s_or_b32 exec_lo, exec_lo, s4
	v_mov_b32_e32 v6, 0
	s_and_saveexec_b32 s4, s3
	s_cbranch_execnz .LBB110_4031
	s_branch .LBB110_4032
	.section	.rodata,"a",@progbits
	.p2align	6, 0x0
	.amdhsa_kernel _ZN2at6native32elementwise_kernel_manual_unrollILi128ELi4EZNS0_15gpu_kernel_implIZZZNS0_12_GLOBAL__N_116addr_kernel_cudaERNS_14TensorIteratorERKN3c106ScalarES9_ENKUlvE_clEvENKUlvE4_clEvEUldddE0_EEvRNS_18TensorIteratorBaseERKT_EUlibE_EEviT1_
		.amdhsa_group_segment_fixed_size 0
		.amdhsa_private_segment_fixed_size 0
		.amdhsa_kernarg_size 80
		.amdhsa_user_sgpr_count 2
		.amdhsa_user_sgpr_dispatch_ptr 0
		.amdhsa_user_sgpr_queue_ptr 0
		.amdhsa_user_sgpr_kernarg_segment_ptr 1
		.amdhsa_user_sgpr_dispatch_id 0
		.amdhsa_user_sgpr_kernarg_preload_length 0
		.amdhsa_user_sgpr_kernarg_preload_offset 0
		.amdhsa_user_sgpr_private_segment_size 0
		.amdhsa_wavefront_size32 1
		.amdhsa_uses_dynamic_stack 0
		.amdhsa_enable_private_segment 0
		.amdhsa_system_sgpr_workgroup_id_x 1
		.amdhsa_system_sgpr_workgroup_id_y 0
		.amdhsa_system_sgpr_workgroup_id_z 0
		.amdhsa_system_sgpr_workgroup_info 0
		.amdhsa_system_vgpr_workitem_id 0
		.amdhsa_next_free_vgpr 31
		.amdhsa_next_free_sgpr 46
		.amdhsa_named_barrier_count 0
		.amdhsa_reserve_vcc 1
		.amdhsa_float_round_mode_32 0
		.amdhsa_float_round_mode_16_64 0
		.amdhsa_float_denorm_mode_32 3
		.amdhsa_float_denorm_mode_16_64 3
		.amdhsa_fp16_overflow 0
		.amdhsa_memory_ordered 1
		.amdhsa_forward_progress 1
		.amdhsa_inst_pref_size 255
		.amdhsa_round_robin_scheduling 0
		.amdhsa_exception_fp_ieee_invalid_op 0
		.amdhsa_exception_fp_denorm_src 0
		.amdhsa_exception_fp_ieee_div_zero 0
		.amdhsa_exception_fp_ieee_overflow 0
		.amdhsa_exception_fp_ieee_underflow 0
		.amdhsa_exception_fp_ieee_inexact 0
		.amdhsa_exception_int_div_zero 0
	.end_amdhsa_kernel
	.section	.text._ZN2at6native32elementwise_kernel_manual_unrollILi128ELi4EZNS0_15gpu_kernel_implIZZZNS0_12_GLOBAL__N_116addr_kernel_cudaERNS_14TensorIteratorERKN3c106ScalarES9_ENKUlvE_clEvENKUlvE4_clEvEUldddE0_EEvRNS_18TensorIteratorBaseERKT_EUlibE_EEviT1_,"axG",@progbits,_ZN2at6native32elementwise_kernel_manual_unrollILi128ELi4EZNS0_15gpu_kernel_implIZZZNS0_12_GLOBAL__N_116addr_kernel_cudaERNS_14TensorIteratorERKN3c106ScalarES9_ENKUlvE_clEvENKUlvE4_clEvEUldddE0_EEvRNS_18TensorIteratorBaseERKT_EUlibE_EEviT1_,comdat
.Lfunc_end110:
	.size	_ZN2at6native32elementwise_kernel_manual_unrollILi128ELi4EZNS0_15gpu_kernel_implIZZZNS0_12_GLOBAL__N_116addr_kernel_cudaERNS_14TensorIteratorERKN3c106ScalarES9_ENKUlvE_clEvENKUlvE4_clEvEUldddE0_EEvRNS_18TensorIteratorBaseERKT_EUlibE_EEviT1_, .Lfunc_end110-_ZN2at6native32elementwise_kernel_manual_unrollILi128ELi4EZNS0_15gpu_kernel_implIZZZNS0_12_GLOBAL__N_116addr_kernel_cudaERNS_14TensorIteratorERKN3c106ScalarES9_ENKUlvE_clEvENKUlvE4_clEvEUldddE0_EEvRNS_18TensorIteratorBaseERKT_EUlibE_EEviT1_
                                        ; -- End function
	.set _ZN2at6native32elementwise_kernel_manual_unrollILi128ELi4EZNS0_15gpu_kernel_implIZZZNS0_12_GLOBAL__N_116addr_kernel_cudaERNS_14TensorIteratorERKN3c106ScalarES9_ENKUlvE_clEvENKUlvE4_clEvEUldddE0_EEvRNS_18TensorIteratorBaseERKT_EUlibE_EEviT1_.num_vgpr, 31
	.set _ZN2at6native32elementwise_kernel_manual_unrollILi128ELi4EZNS0_15gpu_kernel_implIZZZNS0_12_GLOBAL__N_116addr_kernel_cudaERNS_14TensorIteratorERKN3c106ScalarES9_ENKUlvE_clEvENKUlvE4_clEvEUldddE0_EEvRNS_18TensorIteratorBaseERKT_EUlibE_EEviT1_.num_agpr, 0
	.set _ZN2at6native32elementwise_kernel_manual_unrollILi128ELi4EZNS0_15gpu_kernel_implIZZZNS0_12_GLOBAL__N_116addr_kernel_cudaERNS_14TensorIteratorERKN3c106ScalarES9_ENKUlvE_clEvENKUlvE4_clEvEUldddE0_EEvRNS_18TensorIteratorBaseERKT_EUlibE_EEviT1_.numbered_sgpr, 46
	.set _ZN2at6native32elementwise_kernel_manual_unrollILi128ELi4EZNS0_15gpu_kernel_implIZZZNS0_12_GLOBAL__N_116addr_kernel_cudaERNS_14TensorIteratorERKN3c106ScalarES9_ENKUlvE_clEvENKUlvE4_clEvEUldddE0_EEvRNS_18TensorIteratorBaseERKT_EUlibE_EEviT1_.num_named_barrier, 0
	.set _ZN2at6native32elementwise_kernel_manual_unrollILi128ELi4EZNS0_15gpu_kernel_implIZZZNS0_12_GLOBAL__N_116addr_kernel_cudaERNS_14TensorIteratorERKN3c106ScalarES9_ENKUlvE_clEvENKUlvE4_clEvEUldddE0_EEvRNS_18TensorIteratorBaseERKT_EUlibE_EEviT1_.private_seg_size, 0
	.set _ZN2at6native32elementwise_kernel_manual_unrollILi128ELi4EZNS0_15gpu_kernel_implIZZZNS0_12_GLOBAL__N_116addr_kernel_cudaERNS_14TensorIteratorERKN3c106ScalarES9_ENKUlvE_clEvENKUlvE4_clEvEUldddE0_EEvRNS_18TensorIteratorBaseERKT_EUlibE_EEviT1_.uses_vcc, 1
	.set _ZN2at6native32elementwise_kernel_manual_unrollILi128ELi4EZNS0_15gpu_kernel_implIZZZNS0_12_GLOBAL__N_116addr_kernel_cudaERNS_14TensorIteratorERKN3c106ScalarES9_ENKUlvE_clEvENKUlvE4_clEvEUldddE0_EEvRNS_18TensorIteratorBaseERKT_EUlibE_EEviT1_.uses_flat_scratch, 0
	.set _ZN2at6native32elementwise_kernel_manual_unrollILi128ELi4EZNS0_15gpu_kernel_implIZZZNS0_12_GLOBAL__N_116addr_kernel_cudaERNS_14TensorIteratorERKN3c106ScalarES9_ENKUlvE_clEvENKUlvE4_clEvEUldddE0_EEvRNS_18TensorIteratorBaseERKT_EUlibE_EEviT1_.has_dyn_sized_stack, 0
	.set _ZN2at6native32elementwise_kernel_manual_unrollILi128ELi4EZNS0_15gpu_kernel_implIZZZNS0_12_GLOBAL__N_116addr_kernel_cudaERNS_14TensorIteratorERKN3c106ScalarES9_ENKUlvE_clEvENKUlvE4_clEvEUldddE0_EEvRNS_18TensorIteratorBaseERKT_EUlibE_EEviT1_.has_recursion, 0
	.set _ZN2at6native32elementwise_kernel_manual_unrollILi128ELi4EZNS0_15gpu_kernel_implIZZZNS0_12_GLOBAL__N_116addr_kernel_cudaERNS_14TensorIteratorERKN3c106ScalarES9_ENKUlvE_clEvENKUlvE4_clEvEUldddE0_EEvRNS_18TensorIteratorBaseERKT_EUlibE_EEviT1_.has_indirect_call, 0
	.section	.AMDGPU.csdata,"",@progbits
; Kernel info:
; codeLenInByte = 79784
; TotalNumSgprs: 48
; NumVgprs: 31
; ScratchSize: 0
; MemoryBound: 1
; FloatMode: 240
; IeeeMode: 1
; LDSByteSize: 0 bytes/workgroup (compile time only)
; SGPRBlocks: 0
; VGPRBlocks: 1
; NumSGPRsForWavesPerEU: 48
; NumVGPRsForWavesPerEU: 31
; NamedBarCnt: 0
; Occupancy: 16
; WaveLimiterHint : 0
; COMPUTE_PGM_RSRC2:SCRATCH_EN: 0
; COMPUTE_PGM_RSRC2:USER_SGPR: 2
; COMPUTE_PGM_RSRC2:TRAP_HANDLER: 0
; COMPUTE_PGM_RSRC2:TGID_X_EN: 1
; COMPUTE_PGM_RSRC2:TGID_Y_EN: 0
; COMPUTE_PGM_RSRC2:TGID_Z_EN: 0
; COMPUTE_PGM_RSRC2:TIDIG_COMP_CNT: 0
	.section	.text._ZN2at6native32elementwise_kernel_manual_unrollILi128ELi4EZNS0_15gpu_kernel_implIZZZNS0_12_GLOBAL__N_116addr_kernel_cudaERNS_14TensorIteratorERKN3c106ScalarES9_ENKUlvE_clEvENKUlvE4_clEvEUldddE0_EEvRNS_18TensorIteratorBaseERKT_EUlibE0_EEviT1_,"axG",@progbits,_ZN2at6native32elementwise_kernel_manual_unrollILi128ELi4EZNS0_15gpu_kernel_implIZZZNS0_12_GLOBAL__N_116addr_kernel_cudaERNS_14TensorIteratorERKN3c106ScalarES9_ENKUlvE_clEvENKUlvE4_clEvEUldddE0_EEvRNS_18TensorIteratorBaseERKT_EUlibE0_EEviT1_,comdat
	.globl	_ZN2at6native32elementwise_kernel_manual_unrollILi128ELi4EZNS0_15gpu_kernel_implIZZZNS0_12_GLOBAL__N_116addr_kernel_cudaERNS_14TensorIteratorERKN3c106ScalarES9_ENKUlvE_clEvENKUlvE4_clEvEUldddE0_EEvRNS_18TensorIteratorBaseERKT_EUlibE0_EEviT1_ ; -- Begin function _ZN2at6native32elementwise_kernel_manual_unrollILi128ELi4EZNS0_15gpu_kernel_implIZZZNS0_12_GLOBAL__N_116addr_kernel_cudaERNS_14TensorIteratorERKN3c106ScalarES9_ENKUlvE_clEvENKUlvE4_clEvEUldddE0_EEvRNS_18TensorIteratorBaseERKT_EUlibE0_EEviT1_
	.p2align	8
	.type	_ZN2at6native32elementwise_kernel_manual_unrollILi128ELi4EZNS0_15gpu_kernel_implIZZZNS0_12_GLOBAL__N_116addr_kernel_cudaERNS_14TensorIteratorERKN3c106ScalarES9_ENKUlvE_clEvENKUlvE4_clEvEUldddE0_EEvRNS_18TensorIteratorBaseERKT_EUlibE0_EEviT1_,@function
_ZN2at6native32elementwise_kernel_manual_unrollILi128ELi4EZNS0_15gpu_kernel_implIZZZNS0_12_GLOBAL__N_116addr_kernel_cudaERNS_14TensorIteratorERKN3c106ScalarES9_ENKUlvE_clEvENKUlvE4_clEvEUldddE0_EEvRNS_18TensorIteratorBaseERKT_EUlibE0_EEviT1_: ; @_ZN2at6native32elementwise_kernel_manual_unrollILi128ELi4EZNS0_15gpu_kernel_implIZZZNS0_12_GLOBAL__N_116addr_kernel_cudaERNS_14TensorIteratorERKN3c106ScalarES9_ENKUlvE_clEvENKUlvE4_clEvEUldddE0_EEvRNS_18TensorIteratorBaseERKT_EUlibE0_EEviT1_
; %bb.0:
	s_clause 0x1
	s_load_b32 s33, s[0:1], 0x8
	s_load_b32 s47, s[0:1], 0x0
	s_bfe_u32 s2, ttmp6, 0x4000c
	s_and_b32 s3, ttmp6, 15
	s_add_co_i32 s2, s2, 1
	s_getreg_b32 s4, hwreg(HW_REG_IB_STS2, 6, 4)
	s_mul_i32 s2, ttmp9, s2
	s_mov_b32 s39, 0
	s_add_co_i32 s3, s3, s2
	s_cmp_eq_u32 s4, 0
	s_mov_b32 s35, -1
	s_cselect_b32 s2, ttmp9, s3
	s_mov_b32 s12, 0
	v_lshl_or_b32 v4, s2, 9, v0
	s_add_nc_u64 s[2:3], s[0:1], 8
	s_wait_xcnt 0x0
	s_mov_b32 s0, exec_lo
	s_delay_alu instid0(VALU_DEP_1) | instskip(SKIP_2) | instid1(SALU_CYCLE_1)
	v_or_b32_e32 v3, 0x180, v4
	s_wait_kmcnt 0x0
	s_add_co_i32 s38, s33, -1
	s_cmp_gt_u32 s38, 1
	s_cselect_b32 s40, -1, 0
	v_cmpx_le_i32_e64 s47, v3
	s_xor_b32 s41, exec_lo, s0
	s_cbranch_execz .LBB111_2109
; %bb.1:
	s_clause 0x5
	s_load_b128 s[24:27], s[2:3], 0x4
	s_load_b64 s[0:1], s[2:3], 0x14
	s_load_b32 s42, s[2:3], 0x1f8
	s_load_b128 s[20:23], s[2:3], 0x1e8
	s_load_b256 s[12:19], s[2:3], 0xc4
	s_load_b256 s[4:11], s[2:3], 0x1c8
	s_cmp_lg_u32 s33, 0
	s_mov_b32 s29, 0
	s_cselect_b32 s48, -1, 0
	s_min_u32 s46, s38, 15
	s_cmp_gt_u32 s33, 1
	s_mov_b32 s31, s29
	s_mov_b32 s52, s29
	;; [unrolled: 1-line block ×3, first 2 shown]
	s_cselect_b32 s45, -1, 0
	s_mov_b32 s50, s29
	s_mov_b32 s49, s29
	s_mov_b32 s53, exec_lo
	s_wait_kmcnt 0x0
	s_mov_b32 s28, s25
	s_mov_b32 s30, s0
	s_lshr_b32 s43, s42, 16
	s_lshr_b32 s44, s42, 8
	;; [unrolled: 1-line block ×3, first 2 shown]
	v_cmpx_gt_i32_e64 s47, v4
	s_cbranch_execz .LBB111_523
; %bb.2:
	s_and_not1_b32 vcc_lo, exec_lo, s40
	s_cbranch_vccnz .LBB111_8
; %bb.3:
	s_and_not1_b32 vcc_lo, exec_lo, s48
	s_cbranch_vccnz .LBB111_9
; %bb.4:
	v_dual_mov_b32 v8, 0 :: v_dual_mov_b32 v1, v4
	v_dual_mov_b32 v0, 0 :: v_dual_mov_b32 v2, 0
	v_mov_b32_e32 v6, 0
	s_add_co_i32 s0, s46, 1
	s_mov_b64 s[34:35], 0xffffffffffffffe0
	s_and_b32 s0, s0, 30
	s_add_nc_u64 s[34:35], s[2:3], s[34:35]
	s_mov_b64 s[36:37], s[2:3]
.LBB111_5:                              ; =>This Inner Loop Header: Depth=1
	s_clause 0x1
	s_load_b128 s[64:67], s[36:37], 0x4
	s_load_b64 s[50:51], s[36:37], 0x14
	s_load_b256 s[56:63], s[34:35], 0xe4
	s_add_co_i32 s0, s0, -2
	s_wait_xcnt 0x0
	s_add_nc_u64 s[36:37], s[36:37], 24
	s_cmp_lg_u32 s0, 0
	s_add_nc_u64 s[34:35], s[34:35], 32
	s_wait_kmcnt 0x0
	v_mul_hi_u32 v3, s65, v1
	s_delay_alu instid0(VALU_DEP_1) | instskip(NEXT) | instid1(VALU_DEP_1)
	v_add_nc_u32_e32 v3, v1, v3
	v_lshrrev_b32_e32 v3, s66, v3
	s_delay_alu instid0(VALU_DEP_1) | instskip(SKIP_1) | instid1(VALU_DEP_1)
	v_mul_hi_u32 v5, s50, v3
	v_mul_lo_u32 v7, v3, s64
	v_dual_add_nc_u32 v5, v3, v5 :: v_dual_sub_nc_u32 v7, v1, v7
	s_delay_alu instid0(VALU_DEP_1) | instskip(NEXT) | instid1(VALU_DEP_2)
	v_lshrrev_b32_e32 v1, s51, v5
	v_mad_u32 v6, v7, s57, v6
	v_mad_u32 v2, v7, s56, v2
	;; [unrolled: 1-line block ×4, first 2 shown]
	v_mul_lo_u32 v5, v1, s67
	s_delay_alu instid0(VALU_DEP_1) | instskip(NEXT) | instid1(VALU_DEP_1)
	v_sub_nc_u32_e32 v3, v3, v5
	v_mad_u32 v6, v3, s61, v6
	v_mad_u32 v2, v3, s60, v2
	;; [unrolled: 1-line block ×4, first 2 shown]
	s_cbranch_scc1 .LBB111_5
; %bb.6:
	s_bitcmp1_b32 s46, 0
	s_cselect_b32 s0, -1, 0
	s_delay_alu instid0(SALU_CYCLE_1)
	s_and_b32 vcc_lo, exec_lo, s0
	s_cbranch_vccnz .LBB111_10
; %bb.7:
	s_load_b96 s[60:62], s[36:37], 0x4
	s_load_b128 s[56:59], s[34:35], 0xe4
	s_wait_kmcnt 0x0
	v_mul_hi_u32 v3, s61, v1
	s_delay_alu instid0(VALU_DEP_1) | instskip(NEXT) | instid1(VALU_DEP_1)
	v_add_nc_u32_e32 v3, v1, v3
	v_lshrrev_b32_e32 v3, s62, v3
	s_delay_alu instid0(VALU_DEP_1) | instskip(NEXT) | instid1(VALU_DEP_1)
	v_mul_lo_u32 v3, v3, s60
	v_sub_nc_u32_e32 v1, v1, v3
	s_delay_alu instid0(VALU_DEP_1)
	v_mad_u32 v2, v1, s56, v2
	v_mad_u32 v6, v1, s57, v6
	;; [unrolled: 1-line block ×4, first 2 shown]
	s_cbranch_execz .LBB111_11
	s_branch .LBB111_13
.LBB111_8:
                                        ; implicit-def: $vgpr6
                                        ; implicit-def: $vgpr2
                                        ; implicit-def: $vgpr0
                                        ; implicit-def: $vgpr8
	s_branch .LBB111_11
.LBB111_9:
	v_dual_mov_b32 v6, 0 :: v_dual_mov_b32 v2, 0
	v_dual_mov_b32 v0, 0 :: v_dual_mov_b32 v8, 0
.LBB111_10:
	s_cbranch_execnz .LBB111_13
.LBB111_11:
	v_mov_b32_e32 v5, 0
	s_and_not1_b32 vcc_lo, exec_lo, s45
	s_delay_alu instid0(VALU_DEP_1) | instskip(NEXT) | instid1(VALU_DEP_1)
	v_mul_u64_e32 v[0:1], s[28:29], v[4:5]
	v_add_nc_u32_e32 v0, v4, v1
	s_delay_alu instid0(VALU_DEP_1) | instskip(NEXT) | instid1(VALU_DEP_1)
	v_lshrrev_b32_e32 v10, s26, v0
	v_mul_lo_u32 v0, v10, s24
	s_delay_alu instid0(VALU_DEP_1) | instskip(NEXT) | instid1(VALU_DEP_1)
	v_sub_nc_u32_e32 v1, v4, v0
	v_mul_lo_u32 v6, v1, s13
	v_mul_lo_u32 v2, v1, s12
	;; [unrolled: 1-line block ×4, first 2 shown]
	s_cbranch_vccnz .LBB111_13
; %bb.12:
	v_mov_b32_e32 v11, v5
	s_delay_alu instid0(VALU_DEP_1) | instskip(NEXT) | instid1(VALU_DEP_1)
	v_mul_u64_e32 v[12:13], s[30:31], v[10:11]
	v_add_nc_u32_e32 v1, v10, v13
	s_delay_alu instid0(VALU_DEP_1) | instskip(NEXT) | instid1(VALU_DEP_1)
	v_lshrrev_b32_e32 v1, s1, v1
	v_mul_lo_u32 v1, v1, s27
	s_delay_alu instid0(VALU_DEP_1) | instskip(NEXT) | instid1(VALU_DEP_1)
	v_sub_nc_u32_e32 v1, v10, v1
	v_mad_u32 v2, v1, s16, v2
	v_mad_u32 v6, v1, s17, v6
	;; [unrolled: 1-line block ×4, first 2 shown]
.LBB111_13:
	v_mov_b32_e32 v7, 0
	s_and_b32 s0, s44, 0xff
	s_delay_alu instid0(SALU_CYCLE_1) | instskip(NEXT) | instid1(VALU_DEP_1)
	s_cmp_lt_i32 s0, 11
	v_add_nc_u64_e32 v[10:11], s[6:7], v[6:7]
	s_cbranch_scc1 .LBB111_20
; %bb.14:
	s_and_b32 s35, 0xffff, s0
	s_delay_alu instid0(SALU_CYCLE_1)
	s_cmp_gt_i32 s35, 25
	s_cbranch_scc0 .LBB111_29
; %bb.15:
	s_cmp_gt_i32 s35, 28
	s_cbranch_scc0 .LBB111_39
; %bb.16:
	;; [unrolled: 3-line block ×4, first 2 shown]
	s_cmp_eq_u32 s35, 46
	s_mov_b32 s37, 0
	s_cbranch_scc0 .LBB111_48
; %bb.19:
	global_load_b32 v1, v[10:11], off
	s_mov_b32 s36, -1
	s_mov_b32 s34, 0
	s_wait_loadcnt 0x0
	v_lshlrev_b32_e32 v1, 16, v1
	s_delay_alu instid0(VALU_DEP_1)
	v_cvt_f64_f32_e32 v[6:7], v1
	s_branch .LBB111_50
.LBB111_20:
	s_mov_b32 s34, 0
	s_mov_b32 s36, 0
                                        ; implicit-def: $vgpr6_vgpr7
	s_cbranch_execnz .LBB111_116
.LBB111_21:
	s_and_not1_b32 vcc_lo, exec_lo, s36
	s_cbranch_vccnz .LBB111_163
.LBB111_22:
	v_mov_b32_e32 v9, 0
	s_and_b32 s0, s43, 0xff
	s_delay_alu instid0(SALU_CYCLE_1) | instskip(SKIP_1) | instid1(VALU_DEP_1)
	s_cmp_lt_i32 s0, 11
	s_wait_xcnt 0x0
	v_add_nc_u64_e32 v[10:11], s[8:9], v[8:9]
	s_cbranch_scc1 .LBB111_30
; %bb.23:
	s_and_b32 s36, 0xffff, s0
	s_delay_alu instid0(SALU_CYCLE_1)
	s_cmp_gt_i32 s36, 25
	s_cbranch_scc0 .LBB111_40
; %bb.24:
	s_cmp_gt_i32 s36, 28
	s_cbranch_scc0 .LBB111_43
; %bb.25:
	;; [unrolled: 3-line block ×4, first 2 shown]
	s_cmp_eq_u32 s36, 46
	s_mov_b32 s49, 0
	s_cbranch_scc0 .LBB111_164
; %bb.28:
	global_load_b32 v1, v[10:11], off
	s_mov_b32 s37, -1
	s_mov_b32 s35, 0
	s_wait_loadcnt 0x0
	v_lshlrev_b32_e32 v1, 16, v1
	s_delay_alu instid0(VALU_DEP_1)
	v_cvt_f64_f32_e32 v[8:9], v1
	s_branch .LBB111_166
.LBB111_29:
	s_mov_b32 s34, 0
	s_mov_b32 s36, 0
                                        ; implicit-def: $vgpr6_vgpr7
	s_cbranch_execnz .LBB111_81
	s_branch .LBB111_115
.LBB111_30:
	s_mov_b32 s35, 0
	s_mov_b32 s37, 0
                                        ; implicit-def: $vgpr8_vgpr9
	s_cbranch_execnz .LBB111_232
.LBB111_31:
	s_and_not1_b32 vcc_lo, exec_lo, s37
	s_cbranch_vccnz .LBB111_280
.LBB111_32:
	v_mov_b32_e32 v1, 0
	s_and_b32 s0, 0xffff, s25
	s_delay_alu instid0(SALU_CYCLE_1) | instskip(NEXT) | instid1(VALU_DEP_1)
	s_cmp_lt_i32 s0, 11
	v_add_nc_u64_e32 v[0:1], s[10:11], v[0:1]
	s_cbranch_scc1 .LBB111_41
; %bb.33:
	s_cmp_gt_i32 s0, 25
	s_cbranch_scc0 .LBB111_44
; %bb.34:
	s_cmp_gt_i32 s0, 28
	s_cbranch_scc0 .LBB111_47
	;; [unrolled: 3-line block ×4, first 2 shown]
; %bb.37:
	s_cmp_eq_u32 s0, 46
	s_mov_b32 s49, 0
	s_cbranch_scc0 .LBB111_281
; %bb.38:
	global_load_b32 v3, v[0:1], off
	s_mov_b32 s37, -1
	s_mov_b32 s36, 0
	s_wait_loadcnt 0x0
	v_lshlrev_b32_e32 v3, 16, v3
	s_delay_alu instid0(VALU_DEP_1)
	v_cvt_f64_f32_e32 v[10:11], v3
	s_branch .LBB111_283
.LBB111_39:
	s_mov_b32 s37, -1
	s_mov_b32 s34, 0
	s_mov_b32 s36, 0
                                        ; implicit-def: $vgpr6_vgpr7
	s_branch .LBB111_62
.LBB111_40:
	s_mov_b32 s49, -1
	s_mov_b32 s35, 0
	s_mov_b32 s37, 0
                                        ; implicit-def: $vgpr8_vgpr9
	s_branch .LBB111_196
.LBB111_41:
	s_mov_b32 s49, -1
	s_mov_b32 s36, 0
	s_mov_b32 s37, 0
                                        ; implicit-def: $vgpr10_vgpr11
	s_branch .LBB111_348
.LBB111_42:
	s_mov_b32 s37, -1
	s_mov_b32 s34, 0
	s_mov_b32 s36, 0
                                        ; implicit-def: $vgpr6_vgpr7
	s_branch .LBB111_57
.LBB111_43:
	s_mov_b32 s49, -1
	s_mov_b32 s35, 0
	s_mov_b32 s37, 0
                                        ; implicit-def: $vgpr8_vgpr9
	s_branch .LBB111_177
.LBB111_44:
	s_mov_b32 s49, -1
	s_mov_b32 s36, 0
	s_mov_b32 s37, 0
                                        ; implicit-def: $vgpr10_vgpr11
	s_branch .LBB111_312
.LBB111_45:
	s_mov_b32 s37, -1
	s_mov_b32 s34, 0
	s_branch .LBB111_49
.LBB111_46:
	s_mov_b32 s49, -1
	s_mov_b32 s35, 0
	s_mov_b32 s37, 0
                                        ; implicit-def: $vgpr8_vgpr9
	s_branch .LBB111_172
.LBB111_47:
	s_mov_b32 s49, -1
	s_mov_b32 s36, 0
	s_mov_b32 s37, 0
                                        ; implicit-def: $vgpr10_vgpr11
	s_branch .LBB111_293
.LBB111_48:
	s_mov_b32 s34, -1
.LBB111_49:
	s_mov_b32 s36, 0
                                        ; implicit-def: $vgpr6_vgpr7
.LBB111_50:
	s_and_b32 vcc_lo, exec_lo, s37
	s_cbranch_vccz .LBB111_56
; %bb.51:
	s_cmp_eq_u32 s35, 44
	s_cbranch_scc0 .LBB111_55
; %bb.52:
	global_load_u8 v1, v[10:11], off
	s_mov_b32 s34, 0
	s_mov_b32 s36, -1
	s_wait_loadcnt 0x0
	v_lshlrev_b32_e32 v3, 23, v1
	v_cmp_ne_u32_e32 vcc_lo, 0xff, v1
	s_delay_alu instid0(VALU_DEP_2) | instskip(NEXT) | instid1(VALU_DEP_1)
	v_cvt_f64_f32_e32 v[6:7], v3
	v_cndmask_b32_e32 v3, 0x20000000, v6, vcc_lo
	s_delay_alu instid0(VALU_DEP_2) | instskip(SKIP_1) | instid1(VALU_DEP_2)
	v_cndmask_b32_e32 v5, 0x7ff80000, v7, vcc_lo
	v_cmp_ne_u32_e32 vcc_lo, 0, v1
	v_cndmask_b32_e32 v7, 0x38000000, v5, vcc_lo
	s_delay_alu instid0(VALU_DEP_4)
	v_cndmask_b32_e32 v6, 0, v3, vcc_lo
	s_branch .LBB111_56
.LBB111_53:
	s_mov_b32 s49, -1
	s_mov_b32 s35, 0
	s_branch .LBB111_165
.LBB111_54:
	s_mov_b32 s49, -1
	s_mov_b32 s36, 0
	s_mov_b32 s37, 0
                                        ; implicit-def: $vgpr10_vgpr11
	s_branch .LBB111_288
.LBB111_55:
	s_mov_b32 s34, -1
                                        ; implicit-def: $vgpr6_vgpr7
.LBB111_56:
	s_mov_b32 s37, 0
.LBB111_57:
	s_delay_alu instid0(SALU_CYCLE_1)
	s_and_b32 vcc_lo, exec_lo, s37
	s_cbranch_vccz .LBB111_61
; %bb.58:
	s_cmp_eq_u32 s35, 29
	s_cbranch_scc0 .LBB111_60
; %bb.59:
	global_load_b64 v[6:7], v[10:11], off
	s_mov_b32 s36, -1
	s_mov_b32 s34, 0
	s_mov_b32 s37, 0
	s_wait_loadcnt 0x0
	v_cvt_f64_u32_e32 v[12:13], v7
	v_cvt_f64_u32_e32 v[6:7], v6
	s_delay_alu instid0(VALU_DEP_2) | instskip(NEXT) | instid1(VALU_DEP_1)
	v_ldexp_f64 v[12:13], v[12:13], 32
	v_add_f64_e32 v[6:7], v[12:13], v[6:7]
	s_branch .LBB111_62
.LBB111_60:
	s_mov_b32 s34, -1
                                        ; implicit-def: $vgpr6_vgpr7
.LBB111_61:
	s_mov_b32 s37, 0
.LBB111_62:
	s_delay_alu instid0(SALU_CYCLE_1)
	s_and_b32 vcc_lo, exec_lo, s37
	s_cbranch_vccz .LBB111_80
; %bb.63:
	s_cmp_lt_i32 s35, 27
	s_cbranch_scc1 .LBB111_66
; %bb.64:
	s_cmp_gt_i32 s35, 27
	s_cbranch_scc0 .LBB111_67
; %bb.65:
	global_load_b32 v1, v[10:11], off
	s_mov_b32 s36, 0
	s_wait_loadcnt 0x0
	v_cvt_f64_u32_e32 v[6:7], v1
	s_branch .LBB111_68
.LBB111_66:
	s_mov_b32 s36, -1
                                        ; implicit-def: $vgpr6_vgpr7
	s_branch .LBB111_71
.LBB111_67:
	s_mov_b32 s36, -1
                                        ; implicit-def: $vgpr6_vgpr7
.LBB111_68:
	s_delay_alu instid0(SALU_CYCLE_1)
	s_and_not1_b32 vcc_lo, exec_lo, s36
	s_cbranch_vccnz .LBB111_70
; %bb.69:
	global_load_u16 v1, v[10:11], off
	s_wait_loadcnt 0x0
	v_cvt_f64_u32_e32 v[6:7], v1
.LBB111_70:
	s_mov_b32 s36, 0
.LBB111_71:
	s_delay_alu instid0(SALU_CYCLE_1)
	s_and_not1_b32 vcc_lo, exec_lo, s36
	s_cbranch_vccnz .LBB111_79
; %bb.72:
	global_load_u8 v1, v[10:11], off
	s_mov_b32 s36, 0
	s_mov_b32 s37, exec_lo
	s_wait_loadcnt 0x0
	v_cmpx_lt_i16_e32 0x7f, v1
	s_xor_b32 s37, exec_lo, s37
	s_cbranch_execz .LBB111_92
; %bb.73:
	s_mov_b32 s36, -1
	s_mov_b32 s49, exec_lo
	v_cmpx_eq_u16_e32 0x80, v1
; %bb.74:
	s_xor_b32 s36, exec_lo, -1
; %bb.75:
	s_or_b32 exec_lo, exec_lo, s49
	s_delay_alu instid0(SALU_CYCLE_1)
	s_and_b32 s36, s36, exec_lo
	s_or_saveexec_b32 s37, s37
	v_mov_b64_e32 v[6:7], 0x7ff8000020000000
	s_xor_b32 exec_lo, exec_lo, s37
	s_cbranch_execnz .LBB111_93
.LBB111_76:
	s_or_b32 exec_lo, exec_lo, s37
	s_and_saveexec_b32 s37, s36
	s_cbranch_execz .LBB111_78
.LBB111_77:
	v_and_b32_e32 v3, 0xffff, v1
	s_delay_alu instid0(VALU_DEP_1) | instskip(SKIP_1) | instid1(VALU_DEP_2)
	v_and_b32_e32 v5, 7, v3
	v_bfe_u32 v9, v3, 3, 4
	v_clz_i32_u32_e32 v6, v5
	s_delay_alu instid0(VALU_DEP_2) | instskip(NEXT) | instid1(VALU_DEP_2)
	v_cmp_eq_u32_e32 vcc_lo, 0, v9
	v_min_u32_e32 v6, 32, v6
	s_delay_alu instid0(VALU_DEP_1) | instskip(NEXT) | instid1(VALU_DEP_1)
	v_subrev_nc_u32_e32 v7, 28, v6
	v_dual_lshlrev_b32 v3, v7, v3 :: v_dual_sub_nc_u32 v6, 29, v6
	s_delay_alu instid0(VALU_DEP_1) | instskip(NEXT) | instid1(VALU_DEP_2)
	v_dual_lshlrev_b32 v1, 24, v1 :: v_dual_bitop2_b32 v3, 7, v3 bitop3:0x40
	v_cndmask_b32_e32 v6, v9, v6, vcc_lo
	s_delay_alu instid0(VALU_DEP_2) | instskip(NEXT) | instid1(VALU_DEP_3)
	v_cndmask_b32_e32 v3, v5, v3, vcc_lo
	v_and_b32_e32 v1, 0x80000000, v1
	s_delay_alu instid0(VALU_DEP_3) | instskip(NEXT) | instid1(VALU_DEP_3)
	v_lshl_add_u32 v5, v6, 23, 0x3b800000
	v_lshlrev_b32_e32 v3, 20, v3
	s_delay_alu instid0(VALU_DEP_1) | instskip(NEXT) | instid1(VALU_DEP_1)
	v_or3_b32 v1, v1, v5, v3
	v_cvt_f64_f32_e32 v[6:7], v1
.LBB111_78:
	s_or_b32 exec_lo, exec_lo, s37
.LBB111_79:
	s_mov_b32 s36, -1
.LBB111_80:
	s_branch .LBB111_115
.LBB111_81:
	s_cmp_gt_i32 s35, 22
	s_cbranch_scc0 .LBB111_91
; %bb.82:
	s_cmp_lt_i32 s35, 24
	s_cbranch_scc1 .LBB111_94
; %bb.83:
	s_cmp_gt_i32 s35, 24
	s_cbranch_scc0 .LBB111_95
; %bb.84:
	global_load_u8 v1, v[10:11], off
	s_mov_b32 s36, 0
	s_mov_b32 s37, exec_lo
	s_wait_loadcnt 0x0
	v_cmpx_lt_i16_e32 0x7f, v1
	s_xor_b32 s37, exec_lo, s37
	s_cbranch_execz .LBB111_107
; %bb.85:
	s_mov_b32 s36, -1
	s_mov_b32 s49, exec_lo
	v_cmpx_eq_u16_e32 0x80, v1
; %bb.86:
	s_xor_b32 s36, exec_lo, -1
; %bb.87:
	s_or_b32 exec_lo, exec_lo, s49
	s_delay_alu instid0(SALU_CYCLE_1)
	s_and_b32 s36, s36, exec_lo
	s_or_saveexec_b32 s37, s37
	v_mov_b64_e32 v[6:7], 0x7ff8000020000000
	s_xor_b32 exec_lo, exec_lo, s37
	s_cbranch_execnz .LBB111_108
.LBB111_88:
	s_or_b32 exec_lo, exec_lo, s37
	s_and_saveexec_b32 s37, s36
	s_cbranch_execz .LBB111_90
.LBB111_89:
	v_and_b32_e32 v3, 0xffff, v1
	s_delay_alu instid0(VALU_DEP_1) | instskip(SKIP_1) | instid1(VALU_DEP_2)
	v_and_b32_e32 v5, 3, v3
	v_bfe_u32 v9, v3, 2, 5
	v_clz_i32_u32_e32 v6, v5
	s_delay_alu instid0(VALU_DEP_2) | instskip(NEXT) | instid1(VALU_DEP_2)
	v_cmp_eq_u32_e32 vcc_lo, 0, v9
	v_min_u32_e32 v6, 32, v6
	s_delay_alu instid0(VALU_DEP_1) | instskip(NEXT) | instid1(VALU_DEP_1)
	v_subrev_nc_u32_e32 v7, 29, v6
	v_dual_lshlrev_b32 v3, v7, v3 :: v_dual_sub_nc_u32 v6, 30, v6
	s_delay_alu instid0(VALU_DEP_1) | instskip(NEXT) | instid1(VALU_DEP_2)
	v_dual_lshlrev_b32 v1, 24, v1 :: v_dual_bitop2_b32 v3, 3, v3 bitop3:0x40
	v_cndmask_b32_e32 v6, v9, v6, vcc_lo
	s_delay_alu instid0(VALU_DEP_2) | instskip(NEXT) | instid1(VALU_DEP_3)
	v_cndmask_b32_e32 v3, v5, v3, vcc_lo
	v_and_b32_e32 v1, 0x80000000, v1
	s_delay_alu instid0(VALU_DEP_3) | instskip(NEXT) | instid1(VALU_DEP_3)
	v_lshl_add_u32 v5, v6, 23, 0x37800000
	v_lshlrev_b32_e32 v3, 21, v3
	s_delay_alu instid0(VALU_DEP_1) | instskip(NEXT) | instid1(VALU_DEP_1)
	v_or3_b32 v1, v1, v5, v3
	v_cvt_f64_f32_e32 v[6:7], v1
.LBB111_90:
	s_or_b32 exec_lo, exec_lo, s37
	s_mov_b32 s36, 0
	s_branch .LBB111_96
.LBB111_91:
	s_mov_b32 s37, -1
                                        ; implicit-def: $vgpr6_vgpr7
	s_branch .LBB111_102
.LBB111_92:
	s_or_saveexec_b32 s37, s37
	v_mov_b64_e32 v[6:7], 0x7ff8000020000000
	s_xor_b32 exec_lo, exec_lo, s37
	s_cbranch_execz .LBB111_76
.LBB111_93:
	v_cmp_ne_u16_e32 vcc_lo, 0, v1
	v_mov_b64_e32 v[6:7], 0
	s_and_not1_b32 s36, s36, exec_lo
	s_and_b32 s49, vcc_lo, exec_lo
	s_delay_alu instid0(SALU_CYCLE_1)
	s_or_b32 s36, s36, s49
	s_or_b32 exec_lo, exec_lo, s37
	s_and_saveexec_b32 s37, s36
	s_cbranch_execnz .LBB111_77
	s_branch .LBB111_78
.LBB111_94:
	s_mov_b32 s36, -1
                                        ; implicit-def: $vgpr6_vgpr7
	s_branch .LBB111_99
.LBB111_95:
	s_mov_b32 s36, -1
                                        ; implicit-def: $vgpr6_vgpr7
.LBB111_96:
	s_delay_alu instid0(SALU_CYCLE_1)
	s_and_b32 vcc_lo, exec_lo, s36
	s_cbranch_vccz .LBB111_98
; %bb.97:
	global_load_u8 v1, v[10:11], off
	s_wait_loadcnt 0x0
	v_lshlrev_b32_e32 v1, 24, v1
	s_delay_alu instid0(VALU_DEP_1) | instskip(NEXT) | instid1(VALU_DEP_1)
	v_and_b32_e32 v3, 0x7f000000, v1
	v_clz_i32_u32_e32 v5, v3
	v_add_nc_u32_e32 v7, 0x1000000, v3
	v_cmp_ne_u32_e32 vcc_lo, 0, v3
	s_delay_alu instid0(VALU_DEP_3) | instskip(NEXT) | instid1(VALU_DEP_1)
	v_min_u32_e32 v5, 32, v5
	v_sub_nc_u32_e64 v5, v5, 4 clamp
	s_delay_alu instid0(VALU_DEP_1) | instskip(NEXT) | instid1(VALU_DEP_1)
	v_dual_lshlrev_b32 v6, v5, v3 :: v_dual_lshlrev_b32 v5, 23, v5
	v_lshrrev_b32_e32 v6, 4, v6
	s_delay_alu instid0(VALU_DEP_1) | instskip(NEXT) | instid1(VALU_DEP_1)
	v_dual_sub_nc_u32 v5, v6, v5 :: v_dual_ashrrev_i32 v6, 8, v7
	v_add_nc_u32_e32 v5, 0x3c000000, v5
	s_delay_alu instid0(VALU_DEP_1) | instskip(NEXT) | instid1(VALU_DEP_1)
	v_and_or_b32 v5, 0x7f800000, v6, v5
	v_cndmask_b32_e32 v3, 0, v5, vcc_lo
	s_delay_alu instid0(VALU_DEP_1) | instskip(NEXT) | instid1(VALU_DEP_1)
	v_and_or_b32 v1, 0x80000000, v1, v3
	v_cvt_f64_f32_e32 v[6:7], v1
.LBB111_98:
	s_mov_b32 s36, 0
.LBB111_99:
	s_delay_alu instid0(SALU_CYCLE_1)
	s_and_not1_b32 vcc_lo, exec_lo, s36
	s_cbranch_vccnz .LBB111_101
; %bb.100:
	global_load_u8 v1, v[10:11], off
	s_wait_loadcnt 0x0
	v_lshlrev_b32_e32 v3, 25, v1
	v_lshlrev_b16 v1, 8, v1
	s_delay_alu instid0(VALU_DEP_1) | instskip(SKIP_1) | instid1(VALU_DEP_2)
	v_and_or_b32 v6, 0x7f00, v1, 0.5
	v_bfe_i32 v1, v1, 0, 16
	v_dual_add_f32 v6, -0.5, v6 :: v_dual_lshrrev_b32 v5, 4, v3
	v_cmp_gt_u32_e32 vcc_lo, 0x8000000, v3
	s_delay_alu instid0(VALU_DEP_2) | instskip(NEXT) | instid1(VALU_DEP_1)
	v_or_b32_e32 v5, 0x70000000, v5
	v_mul_f32_e32 v5, 0x7800000, v5
	s_delay_alu instid0(VALU_DEP_1) | instskip(NEXT) | instid1(VALU_DEP_1)
	v_cndmask_b32_e32 v3, v5, v6, vcc_lo
	v_and_or_b32 v1, 0x80000000, v1, v3
	s_delay_alu instid0(VALU_DEP_1)
	v_cvt_f64_f32_e32 v[6:7], v1
.LBB111_101:
	s_mov_b32 s37, 0
	s_mov_b32 s36, -1
.LBB111_102:
	s_and_not1_b32 vcc_lo, exec_lo, s37
	s_cbranch_vccnz .LBB111_115
; %bb.103:
	s_cmp_gt_i32 s35, 14
	s_cbranch_scc0 .LBB111_106
; %bb.104:
	s_cmp_eq_u32 s35, 15
	s_cbranch_scc0 .LBB111_109
; %bb.105:
	global_load_u16 v1, v[10:11], off
	s_mov_b32 s36, -1
	s_mov_b32 s34, 0
	s_wait_loadcnt 0x0
	v_lshlrev_b32_e32 v1, 16, v1
	s_delay_alu instid0(VALU_DEP_1)
	v_cvt_f64_f32_e32 v[6:7], v1
	s_branch .LBB111_110
.LBB111_106:
	s_mov_b32 s37, -1
                                        ; implicit-def: $vgpr6_vgpr7
	s_branch .LBB111_111
.LBB111_107:
	s_or_saveexec_b32 s37, s37
	v_mov_b64_e32 v[6:7], 0x7ff8000020000000
	s_xor_b32 exec_lo, exec_lo, s37
	s_cbranch_execz .LBB111_88
.LBB111_108:
	v_cmp_ne_u16_e32 vcc_lo, 0, v1
	v_mov_b64_e32 v[6:7], 0
	s_and_not1_b32 s36, s36, exec_lo
	s_and_b32 s49, vcc_lo, exec_lo
	s_delay_alu instid0(SALU_CYCLE_1)
	s_or_b32 s36, s36, s49
	s_or_b32 exec_lo, exec_lo, s37
	s_and_saveexec_b32 s37, s36
	s_cbranch_execnz .LBB111_89
	s_branch .LBB111_90
.LBB111_109:
	s_mov_b32 s34, -1
                                        ; implicit-def: $vgpr6_vgpr7
.LBB111_110:
	s_mov_b32 s37, 0
.LBB111_111:
	s_delay_alu instid0(SALU_CYCLE_1)
	s_and_b32 vcc_lo, exec_lo, s37
	s_cbranch_vccz .LBB111_115
; %bb.112:
	s_cmp_eq_u32 s35, 11
	s_cbranch_scc0 .LBB111_114
; %bb.113:
	global_load_u8 v1, v[10:11], off
	v_mov_b32_e32 v6, 0
	s_mov_b32 s34, 0
	s_mov_b32 s36, -1
	s_wait_loadcnt 0x0
	v_cmp_ne_u16_e32 vcc_lo, 0, v1
	v_cndmask_b32_e64 v7, 0, 0x3ff00000, vcc_lo
	s_branch .LBB111_115
.LBB111_114:
	s_mov_b32 s34, -1
                                        ; implicit-def: $vgpr6_vgpr7
.LBB111_115:
	s_branch .LBB111_21
.LBB111_116:
	s_and_b32 s0, 0xffff, s0
	s_delay_alu instid0(SALU_CYCLE_1)
	s_cmp_lt_i32 s0, 5
	s_cbranch_scc1 .LBB111_121
; %bb.117:
	s_cmp_lt_i32 s0, 8
	s_cbranch_scc1 .LBB111_122
; %bb.118:
	;; [unrolled: 3-line block ×3, first 2 shown]
	s_cmp_gt_i32 s0, 9
	s_cbranch_scc0 .LBB111_124
; %bb.120:
	global_load_b64 v[6:7], v[10:11], off
	s_mov_b32 s35, 0
	s_branch .LBB111_125
.LBB111_121:
                                        ; implicit-def: $vgpr6_vgpr7
	s_branch .LBB111_143
.LBB111_122:
	s_mov_b32 s35, -1
                                        ; implicit-def: $vgpr6_vgpr7
	s_branch .LBB111_131
.LBB111_123:
	s_mov_b32 s35, -1
                                        ; implicit-def: $vgpr6_vgpr7
	s_branch .LBB111_128
.LBB111_124:
	s_mov_b32 s35, -1
                                        ; implicit-def: $vgpr6_vgpr7
.LBB111_125:
	s_delay_alu instid0(SALU_CYCLE_1)
	s_and_not1_b32 vcc_lo, exec_lo, s35
	s_cbranch_vccnz .LBB111_127
; %bb.126:
	global_load_b32 v1, v[10:11], off
	s_wait_loadcnt 0x0
	v_cvt_f64_f32_e32 v[6:7], v1
.LBB111_127:
	s_mov_b32 s35, 0
.LBB111_128:
	s_delay_alu instid0(SALU_CYCLE_1)
	s_and_not1_b32 vcc_lo, exec_lo, s35
	s_cbranch_vccnz .LBB111_130
; %bb.129:
	global_load_b32 v1, v[10:11], off
	s_wait_loadcnt 0x0
	v_cvt_f32_f16_e32 v1, v1
	s_delay_alu instid0(VALU_DEP_1)
	v_cvt_f64_f32_e32 v[6:7], v1
.LBB111_130:
	s_mov_b32 s35, 0
.LBB111_131:
	s_delay_alu instid0(SALU_CYCLE_1)
	s_and_not1_b32 vcc_lo, exec_lo, s35
	s_cbranch_vccnz .LBB111_142
; %bb.132:
	s_cmp_lt_i32 s0, 6
	s_cbranch_scc1 .LBB111_135
; %bb.133:
	s_cmp_gt_i32 s0, 6
	s_cbranch_scc0 .LBB111_136
; %bb.134:
	s_wait_loadcnt 0x0
	global_load_b64 v[6:7], v[10:11], off
	s_mov_b32 s35, 0
	s_branch .LBB111_137
.LBB111_135:
	s_mov_b32 s35, -1
                                        ; implicit-def: $vgpr6_vgpr7
	s_branch .LBB111_140
.LBB111_136:
	s_mov_b32 s35, -1
                                        ; implicit-def: $vgpr6_vgpr7
.LBB111_137:
	s_delay_alu instid0(SALU_CYCLE_1)
	s_and_not1_b32 vcc_lo, exec_lo, s35
	s_cbranch_vccnz .LBB111_139
; %bb.138:
	global_load_b32 v1, v[10:11], off
	s_wait_loadcnt 0x0
	v_cvt_f64_f32_e32 v[6:7], v1
.LBB111_139:
	s_mov_b32 s35, 0
.LBB111_140:
	s_delay_alu instid0(SALU_CYCLE_1)
	s_and_not1_b32 vcc_lo, exec_lo, s35
	s_cbranch_vccnz .LBB111_142
; %bb.141:
	global_load_u16 v1, v[10:11], off
	s_wait_loadcnt 0x0
	v_cvt_f32_f16_e32 v1, v1
	s_delay_alu instid0(VALU_DEP_1)
	v_cvt_f64_f32_e32 v[6:7], v1
.LBB111_142:
	s_cbranch_execnz .LBB111_162
.LBB111_143:
	s_cmp_lt_i32 s0, 2
	s_cbranch_scc1 .LBB111_147
; %bb.144:
	s_cmp_lt_i32 s0, 3
	s_cbranch_scc1 .LBB111_148
; %bb.145:
	s_cmp_gt_i32 s0, 3
	s_cbranch_scc0 .LBB111_149
; %bb.146:
	s_wait_loadcnt 0x0
	global_load_b64 v[6:7], v[10:11], off
	s_mov_b32 s35, 0
	s_wait_loadcnt 0x0
	v_cvt_f64_i32_e32 v[12:13], v7
	v_cvt_f64_u32_e32 v[6:7], v6
	s_delay_alu instid0(VALU_DEP_2) | instskip(NEXT) | instid1(VALU_DEP_1)
	v_ldexp_f64 v[12:13], v[12:13], 32
	v_add_f64_e32 v[6:7], v[12:13], v[6:7]
	s_branch .LBB111_150
.LBB111_147:
	s_mov_b32 s35, -1
                                        ; implicit-def: $vgpr6_vgpr7
	s_branch .LBB111_156
.LBB111_148:
	s_mov_b32 s35, -1
                                        ; implicit-def: $vgpr6_vgpr7
	s_branch .LBB111_153
.LBB111_149:
	s_mov_b32 s35, -1
                                        ; implicit-def: $vgpr6_vgpr7
.LBB111_150:
	s_delay_alu instid0(SALU_CYCLE_1)
	s_and_not1_b32 vcc_lo, exec_lo, s35
	s_cbranch_vccnz .LBB111_152
; %bb.151:
	global_load_b32 v1, v[10:11], off
	s_wait_loadcnt 0x0
	v_cvt_f64_i32_e32 v[6:7], v1
.LBB111_152:
	s_mov_b32 s35, 0
.LBB111_153:
	s_delay_alu instid0(SALU_CYCLE_1)
	s_and_not1_b32 vcc_lo, exec_lo, s35
	s_cbranch_vccnz .LBB111_155
; %bb.154:
	global_load_i16 v1, v[10:11], off
	s_wait_loadcnt 0x0
	v_cvt_f64_i32_e32 v[6:7], v1
.LBB111_155:
	s_mov_b32 s35, 0
.LBB111_156:
	s_delay_alu instid0(SALU_CYCLE_1)
	s_and_not1_b32 vcc_lo, exec_lo, s35
	s_cbranch_vccnz .LBB111_162
; %bb.157:
	s_cmp_gt_i32 s0, 0
	s_mov_b32 s0, 0
	s_cbranch_scc0 .LBB111_159
; %bb.158:
	global_load_i8 v1, v[10:11], off
	s_wait_loadcnt 0x0
	v_cvt_f64_i32_e32 v[6:7], v1
	s_branch .LBB111_160
.LBB111_159:
	s_mov_b32 s0, -1
                                        ; implicit-def: $vgpr6_vgpr7
.LBB111_160:
	s_delay_alu instid0(SALU_CYCLE_1)
	s_and_not1_b32 vcc_lo, exec_lo, s0
	s_cbranch_vccnz .LBB111_162
; %bb.161:
	global_load_u8 v1, v[10:11], off
	s_wait_loadcnt 0x0
	v_cvt_f64_u32_e32 v[6:7], v1
.LBB111_162:
	s_branch .LBB111_22
.LBB111_163:
	s_mov_b32 s0, 0
	s_mov_b32 s36, 0
	;; [unrolled: 1-line block ×3, first 2 shown]
	s_branch .LBB111_521
.LBB111_164:
	s_mov_b32 s35, -1
.LBB111_165:
	s_mov_b32 s37, 0
                                        ; implicit-def: $vgpr8_vgpr9
.LBB111_166:
	s_and_b32 vcc_lo, exec_lo, s49
	s_cbranch_vccz .LBB111_171
; %bb.167:
	s_cmp_eq_u32 s36, 44
	s_cbranch_scc0 .LBB111_170
; %bb.168:
	global_load_u8 v1, v[10:11], off
	s_mov_b32 s35, 0
	s_mov_b32 s37, -1
	s_wait_loadcnt 0x0
	v_lshlrev_b32_e32 v3, 23, v1
	v_cmp_ne_u32_e32 vcc_lo, 0xff, v1
	s_delay_alu instid0(VALU_DEP_2) | instskip(NEXT) | instid1(VALU_DEP_1)
	v_cvt_f64_f32_e32 v[8:9], v3
	v_cndmask_b32_e32 v3, 0x20000000, v8, vcc_lo
	s_delay_alu instid0(VALU_DEP_2) | instskip(SKIP_1) | instid1(VALU_DEP_2)
	v_cndmask_b32_e32 v5, 0x7ff80000, v9, vcc_lo
	v_cmp_ne_u32_e32 vcc_lo, 0, v1
	v_cndmask_b32_e32 v9, 0x38000000, v5, vcc_lo
	s_delay_alu instid0(VALU_DEP_4)
	v_cndmask_b32_e32 v8, 0, v3, vcc_lo
	s_branch .LBB111_171
.LBB111_169:
	s_mov_b32 s49, -1
	s_mov_b32 s36, 0
	s_branch .LBB111_282
.LBB111_170:
	s_mov_b32 s35, -1
                                        ; implicit-def: $vgpr8_vgpr9
.LBB111_171:
	s_mov_b32 s49, 0
.LBB111_172:
	s_delay_alu instid0(SALU_CYCLE_1)
	s_and_b32 vcc_lo, exec_lo, s49
	s_cbranch_vccz .LBB111_176
; %bb.173:
	s_cmp_eq_u32 s36, 29
	s_cbranch_scc0 .LBB111_175
; %bb.174:
	global_load_b64 v[8:9], v[10:11], off
	s_mov_b32 s37, -1
	s_mov_b32 s35, 0
	s_mov_b32 s49, 0
	s_wait_loadcnt 0x0
	v_cvt_f64_u32_e32 v[12:13], v9
	v_cvt_f64_u32_e32 v[8:9], v8
	s_delay_alu instid0(VALU_DEP_2) | instskip(NEXT) | instid1(VALU_DEP_1)
	v_ldexp_f64 v[12:13], v[12:13], 32
	v_add_f64_e32 v[8:9], v[12:13], v[8:9]
	s_branch .LBB111_177
.LBB111_175:
	s_mov_b32 s35, -1
                                        ; implicit-def: $vgpr8_vgpr9
.LBB111_176:
	s_mov_b32 s49, 0
.LBB111_177:
	s_delay_alu instid0(SALU_CYCLE_1)
	s_and_b32 vcc_lo, exec_lo, s49
	s_cbranch_vccz .LBB111_195
; %bb.178:
	s_cmp_lt_i32 s36, 27
	s_cbranch_scc1 .LBB111_181
; %bb.179:
	s_cmp_gt_i32 s36, 27
	s_cbranch_scc0 .LBB111_182
; %bb.180:
	global_load_b32 v1, v[10:11], off
	s_mov_b32 s37, 0
	s_wait_loadcnt 0x0
	v_cvt_f64_u32_e32 v[8:9], v1
	s_branch .LBB111_183
.LBB111_181:
	s_mov_b32 s37, -1
                                        ; implicit-def: $vgpr8_vgpr9
	s_branch .LBB111_186
.LBB111_182:
	s_mov_b32 s37, -1
                                        ; implicit-def: $vgpr8_vgpr9
.LBB111_183:
	s_delay_alu instid0(SALU_CYCLE_1)
	s_and_not1_b32 vcc_lo, exec_lo, s37
	s_cbranch_vccnz .LBB111_185
; %bb.184:
	global_load_u16 v1, v[10:11], off
	s_wait_loadcnt 0x0
	v_cvt_f64_u32_e32 v[8:9], v1
.LBB111_185:
	s_mov_b32 s37, 0
.LBB111_186:
	s_delay_alu instid0(SALU_CYCLE_1)
	s_and_not1_b32 vcc_lo, exec_lo, s37
	s_cbranch_vccnz .LBB111_194
; %bb.187:
	global_load_u8 v1, v[10:11], off
	s_mov_b32 s37, 0
	s_mov_b32 s49, exec_lo
	s_wait_loadcnt 0x0
	v_cmpx_lt_i16_e32 0x7f, v1
	s_xor_b32 s49, exec_lo, s49
	s_cbranch_execz .LBB111_208
; %bb.188:
	s_mov_b32 s37, -1
	s_mov_b32 s50, exec_lo
	v_cmpx_eq_u16_e32 0x80, v1
; %bb.189:
	s_xor_b32 s37, exec_lo, -1
; %bb.190:
	s_or_b32 exec_lo, exec_lo, s50
	s_delay_alu instid0(SALU_CYCLE_1)
	s_and_b32 s37, s37, exec_lo
	s_or_saveexec_b32 s49, s49
	v_mov_b64_e32 v[8:9], 0x7ff8000020000000
	s_xor_b32 exec_lo, exec_lo, s49
	s_cbranch_execnz .LBB111_209
.LBB111_191:
	s_or_b32 exec_lo, exec_lo, s49
	s_and_saveexec_b32 s49, s37
	s_cbranch_execz .LBB111_193
.LBB111_192:
	v_and_b32_e32 v3, 0xffff, v1
	s_delay_alu instid0(VALU_DEP_1) | instskip(SKIP_1) | instid1(VALU_DEP_2)
	v_and_b32_e32 v5, 7, v3
	v_bfe_u32 v12, v3, 3, 4
	v_clz_i32_u32_e32 v8, v5
	s_delay_alu instid0(VALU_DEP_2) | instskip(NEXT) | instid1(VALU_DEP_2)
	v_cmp_eq_u32_e32 vcc_lo, 0, v12
	v_min_u32_e32 v8, 32, v8
	s_delay_alu instid0(VALU_DEP_1) | instskip(NEXT) | instid1(VALU_DEP_1)
	v_subrev_nc_u32_e32 v9, 28, v8
	v_dual_lshlrev_b32 v3, v9, v3 :: v_dual_sub_nc_u32 v8, 29, v8
	s_delay_alu instid0(VALU_DEP_1) | instskip(NEXT) | instid1(VALU_DEP_1)
	v_dual_lshlrev_b32 v1, 24, v1 :: v_dual_bitop2_b32 v3, 7, v3 bitop3:0x40
	v_dual_cndmask_b32 v8, v12, v8 :: v_dual_cndmask_b32 v3, v5, v3
	s_delay_alu instid0(VALU_DEP_2) | instskip(NEXT) | instid1(VALU_DEP_2)
	v_and_b32_e32 v1, 0x80000000, v1
	v_lshl_add_u32 v5, v8, 23, 0x3b800000
	s_delay_alu instid0(VALU_DEP_3) | instskip(NEXT) | instid1(VALU_DEP_1)
	v_lshlrev_b32_e32 v3, 20, v3
	v_or3_b32 v1, v1, v5, v3
	s_delay_alu instid0(VALU_DEP_1)
	v_cvt_f64_f32_e32 v[8:9], v1
.LBB111_193:
	s_or_b32 exec_lo, exec_lo, s49
.LBB111_194:
	s_mov_b32 s37, -1
.LBB111_195:
	s_mov_b32 s49, 0
.LBB111_196:
	s_delay_alu instid0(SALU_CYCLE_1)
	s_and_b32 vcc_lo, exec_lo, s49
	s_cbranch_vccz .LBB111_231
; %bb.197:
	s_cmp_gt_i32 s36, 22
	s_cbranch_scc0 .LBB111_207
; %bb.198:
	s_cmp_lt_i32 s36, 24
	s_cbranch_scc1 .LBB111_210
; %bb.199:
	s_cmp_gt_i32 s36, 24
	s_cbranch_scc0 .LBB111_211
; %bb.200:
	global_load_u8 v1, v[10:11], off
	s_mov_b32 s37, 0
	s_mov_b32 s49, exec_lo
	s_wait_loadcnt 0x0
	v_cmpx_lt_i16_e32 0x7f, v1
	s_xor_b32 s49, exec_lo, s49
	s_cbranch_execz .LBB111_223
; %bb.201:
	s_mov_b32 s37, -1
	s_mov_b32 s50, exec_lo
	v_cmpx_eq_u16_e32 0x80, v1
; %bb.202:
	s_xor_b32 s37, exec_lo, -1
; %bb.203:
	s_or_b32 exec_lo, exec_lo, s50
	s_delay_alu instid0(SALU_CYCLE_1)
	s_and_b32 s37, s37, exec_lo
	s_or_saveexec_b32 s49, s49
	v_mov_b64_e32 v[8:9], 0x7ff8000020000000
	s_xor_b32 exec_lo, exec_lo, s49
	s_cbranch_execnz .LBB111_224
.LBB111_204:
	s_or_b32 exec_lo, exec_lo, s49
	s_and_saveexec_b32 s49, s37
	s_cbranch_execz .LBB111_206
.LBB111_205:
	v_and_b32_e32 v3, 0xffff, v1
	s_delay_alu instid0(VALU_DEP_1) | instskip(SKIP_1) | instid1(VALU_DEP_2)
	v_and_b32_e32 v5, 3, v3
	v_bfe_u32 v12, v3, 2, 5
	v_clz_i32_u32_e32 v8, v5
	s_delay_alu instid0(VALU_DEP_2) | instskip(NEXT) | instid1(VALU_DEP_2)
	v_cmp_eq_u32_e32 vcc_lo, 0, v12
	v_min_u32_e32 v8, 32, v8
	s_delay_alu instid0(VALU_DEP_1) | instskip(NEXT) | instid1(VALU_DEP_1)
	v_subrev_nc_u32_e32 v9, 29, v8
	v_dual_lshlrev_b32 v3, v9, v3 :: v_dual_sub_nc_u32 v8, 30, v8
	s_delay_alu instid0(VALU_DEP_1) | instskip(NEXT) | instid1(VALU_DEP_1)
	v_dual_lshlrev_b32 v1, 24, v1 :: v_dual_bitop2_b32 v3, 3, v3 bitop3:0x40
	v_dual_cndmask_b32 v8, v12, v8 :: v_dual_cndmask_b32 v3, v5, v3
	s_delay_alu instid0(VALU_DEP_2) | instskip(NEXT) | instid1(VALU_DEP_2)
	v_and_b32_e32 v1, 0x80000000, v1
	v_lshl_add_u32 v5, v8, 23, 0x37800000
	s_delay_alu instid0(VALU_DEP_3) | instskip(NEXT) | instid1(VALU_DEP_1)
	v_lshlrev_b32_e32 v3, 21, v3
	v_or3_b32 v1, v1, v5, v3
	s_delay_alu instid0(VALU_DEP_1)
	v_cvt_f64_f32_e32 v[8:9], v1
.LBB111_206:
	s_or_b32 exec_lo, exec_lo, s49
	s_mov_b32 s37, 0
	s_branch .LBB111_212
.LBB111_207:
	s_mov_b32 s49, -1
                                        ; implicit-def: $vgpr8_vgpr9
	s_branch .LBB111_218
.LBB111_208:
	s_or_saveexec_b32 s49, s49
	v_mov_b64_e32 v[8:9], 0x7ff8000020000000
	s_xor_b32 exec_lo, exec_lo, s49
	s_cbranch_execz .LBB111_191
.LBB111_209:
	v_cmp_ne_u16_e32 vcc_lo, 0, v1
	v_mov_b64_e32 v[8:9], 0
	s_and_not1_b32 s37, s37, exec_lo
	s_and_b32 s50, vcc_lo, exec_lo
	s_delay_alu instid0(SALU_CYCLE_1)
	s_or_b32 s37, s37, s50
	s_or_b32 exec_lo, exec_lo, s49
	s_and_saveexec_b32 s49, s37
	s_cbranch_execnz .LBB111_192
	s_branch .LBB111_193
.LBB111_210:
	s_mov_b32 s37, -1
                                        ; implicit-def: $vgpr8_vgpr9
	s_branch .LBB111_215
.LBB111_211:
	s_mov_b32 s37, -1
                                        ; implicit-def: $vgpr8_vgpr9
.LBB111_212:
	s_delay_alu instid0(SALU_CYCLE_1)
	s_and_b32 vcc_lo, exec_lo, s37
	s_cbranch_vccz .LBB111_214
; %bb.213:
	global_load_u8 v1, v[10:11], off
	s_wait_loadcnt 0x0
	v_lshlrev_b32_e32 v1, 24, v1
	s_delay_alu instid0(VALU_DEP_1) | instskip(NEXT) | instid1(VALU_DEP_1)
	v_and_b32_e32 v3, 0x7f000000, v1
	v_clz_i32_u32_e32 v5, v3
	v_add_nc_u32_e32 v9, 0x1000000, v3
	v_cmp_ne_u32_e32 vcc_lo, 0, v3
	s_delay_alu instid0(VALU_DEP_3) | instskip(NEXT) | instid1(VALU_DEP_1)
	v_min_u32_e32 v5, 32, v5
	v_sub_nc_u32_e64 v5, v5, 4 clamp
	s_delay_alu instid0(VALU_DEP_1) | instskip(NEXT) | instid1(VALU_DEP_1)
	v_dual_lshlrev_b32 v8, v5, v3 :: v_dual_lshlrev_b32 v5, 23, v5
	v_lshrrev_b32_e32 v8, 4, v8
	s_delay_alu instid0(VALU_DEP_1) | instskip(SKIP_1) | instid1(VALU_DEP_2)
	v_sub_nc_u32_e32 v5, v8, v5
	v_ashrrev_i32_e32 v8, 8, v9
	v_add_nc_u32_e32 v5, 0x3c000000, v5
	s_delay_alu instid0(VALU_DEP_1) | instskip(NEXT) | instid1(VALU_DEP_1)
	v_and_or_b32 v5, 0x7f800000, v8, v5
	v_cndmask_b32_e32 v3, 0, v5, vcc_lo
	s_delay_alu instid0(VALU_DEP_1) | instskip(NEXT) | instid1(VALU_DEP_1)
	v_and_or_b32 v1, 0x80000000, v1, v3
	v_cvt_f64_f32_e32 v[8:9], v1
.LBB111_214:
	s_mov_b32 s37, 0
.LBB111_215:
	s_delay_alu instid0(SALU_CYCLE_1)
	s_and_not1_b32 vcc_lo, exec_lo, s37
	s_cbranch_vccnz .LBB111_217
; %bb.216:
	global_load_u8 v1, v[10:11], off
	s_wait_loadcnt 0x0
	v_lshlrev_b32_e32 v3, 25, v1
	v_lshlrev_b16 v1, 8, v1
	s_delay_alu instid0(VALU_DEP_1) | instskip(SKIP_1) | instid1(VALU_DEP_2)
	v_and_or_b32 v8, 0x7f00, v1, 0.5
	v_bfe_i32 v1, v1, 0, 16
	v_dual_add_f32 v8, -0.5, v8 :: v_dual_lshrrev_b32 v5, 4, v3
	v_cmp_gt_u32_e32 vcc_lo, 0x8000000, v3
	s_delay_alu instid0(VALU_DEP_2) | instskip(NEXT) | instid1(VALU_DEP_1)
	v_or_b32_e32 v5, 0x70000000, v5
	v_mul_f32_e32 v5, 0x7800000, v5
	s_delay_alu instid0(VALU_DEP_1) | instskip(NEXT) | instid1(VALU_DEP_1)
	v_cndmask_b32_e32 v3, v5, v8, vcc_lo
	v_and_or_b32 v1, 0x80000000, v1, v3
	s_delay_alu instid0(VALU_DEP_1)
	v_cvt_f64_f32_e32 v[8:9], v1
.LBB111_217:
	s_mov_b32 s49, 0
	s_mov_b32 s37, -1
.LBB111_218:
	s_and_not1_b32 vcc_lo, exec_lo, s49
	s_cbranch_vccnz .LBB111_231
; %bb.219:
	s_cmp_gt_i32 s36, 14
	s_cbranch_scc0 .LBB111_222
; %bb.220:
	s_cmp_eq_u32 s36, 15
	s_cbranch_scc0 .LBB111_225
; %bb.221:
	global_load_u16 v1, v[10:11], off
	s_mov_b32 s37, -1
	s_mov_b32 s35, 0
	s_wait_loadcnt 0x0
	v_lshlrev_b32_e32 v1, 16, v1
	s_delay_alu instid0(VALU_DEP_1)
	v_cvt_f64_f32_e32 v[8:9], v1
	s_branch .LBB111_226
.LBB111_222:
	s_mov_b32 s49, -1
                                        ; implicit-def: $vgpr8_vgpr9
	s_branch .LBB111_227
.LBB111_223:
	s_or_saveexec_b32 s49, s49
	v_mov_b64_e32 v[8:9], 0x7ff8000020000000
	s_xor_b32 exec_lo, exec_lo, s49
	s_cbranch_execz .LBB111_204
.LBB111_224:
	v_cmp_ne_u16_e32 vcc_lo, 0, v1
	v_mov_b64_e32 v[8:9], 0
	s_and_not1_b32 s37, s37, exec_lo
	s_and_b32 s50, vcc_lo, exec_lo
	s_delay_alu instid0(SALU_CYCLE_1)
	s_or_b32 s37, s37, s50
	s_or_b32 exec_lo, exec_lo, s49
	s_and_saveexec_b32 s49, s37
	s_cbranch_execnz .LBB111_205
	s_branch .LBB111_206
.LBB111_225:
	s_mov_b32 s35, -1
                                        ; implicit-def: $vgpr8_vgpr9
.LBB111_226:
	s_mov_b32 s49, 0
.LBB111_227:
	s_delay_alu instid0(SALU_CYCLE_1)
	s_and_b32 vcc_lo, exec_lo, s49
	s_cbranch_vccz .LBB111_231
; %bb.228:
	s_cmp_eq_u32 s36, 11
	s_cbranch_scc0 .LBB111_230
; %bb.229:
	global_load_u8 v1, v[10:11], off
	v_mov_b32_e32 v8, 0
	s_mov_b32 s35, 0
	s_mov_b32 s37, -1
	s_wait_loadcnt 0x0
	v_cmp_ne_u16_e32 vcc_lo, 0, v1
	v_cndmask_b32_e64 v9, 0, 0x3ff00000, vcc_lo
	s_branch .LBB111_231
.LBB111_230:
	s_mov_b32 s35, -1
                                        ; implicit-def: $vgpr8_vgpr9
.LBB111_231:
	s_branch .LBB111_31
.LBB111_232:
	s_and_b32 s0, 0xffff, s0
	s_delay_alu instid0(SALU_CYCLE_1)
	s_cmp_lt_i32 s0, 5
	s_cbranch_scc1 .LBB111_237
; %bb.233:
	s_cmp_lt_i32 s0, 8
	s_cbranch_scc1 .LBB111_238
; %bb.234:
	;; [unrolled: 3-line block ×3, first 2 shown]
	s_cmp_gt_i32 s0, 9
	s_cbranch_scc0 .LBB111_240
; %bb.236:
	global_load_b64 v[8:9], v[10:11], off
	s_mov_b32 s36, 0
	s_branch .LBB111_241
.LBB111_237:
	s_mov_b32 s36, -1
                                        ; implicit-def: $vgpr8_vgpr9
	s_branch .LBB111_259
.LBB111_238:
	s_mov_b32 s36, -1
                                        ; implicit-def: $vgpr8_vgpr9
	s_branch .LBB111_247
.LBB111_239:
	s_mov_b32 s36, -1
                                        ; implicit-def: $vgpr8_vgpr9
	s_branch .LBB111_244
.LBB111_240:
	s_mov_b32 s36, -1
                                        ; implicit-def: $vgpr8_vgpr9
.LBB111_241:
	s_delay_alu instid0(SALU_CYCLE_1)
	s_and_not1_b32 vcc_lo, exec_lo, s36
	s_cbranch_vccnz .LBB111_243
; %bb.242:
	global_load_b32 v1, v[10:11], off
	s_wait_loadcnt 0x0
	v_cvt_f64_f32_e32 v[8:9], v1
.LBB111_243:
	s_mov_b32 s36, 0
.LBB111_244:
	s_delay_alu instid0(SALU_CYCLE_1)
	s_and_not1_b32 vcc_lo, exec_lo, s36
	s_cbranch_vccnz .LBB111_246
; %bb.245:
	global_load_b32 v1, v[10:11], off
	s_wait_loadcnt 0x0
	v_cvt_f32_f16_e32 v1, v1
	s_delay_alu instid0(VALU_DEP_1)
	v_cvt_f64_f32_e32 v[8:9], v1
.LBB111_246:
	s_mov_b32 s36, 0
.LBB111_247:
	s_delay_alu instid0(SALU_CYCLE_1)
	s_and_not1_b32 vcc_lo, exec_lo, s36
	s_cbranch_vccnz .LBB111_258
; %bb.248:
	s_cmp_lt_i32 s0, 6
	s_cbranch_scc1 .LBB111_251
; %bb.249:
	s_cmp_gt_i32 s0, 6
	s_cbranch_scc0 .LBB111_252
; %bb.250:
	s_wait_loadcnt 0x0
	global_load_b64 v[8:9], v[10:11], off
	s_mov_b32 s36, 0
	s_branch .LBB111_253
.LBB111_251:
	s_mov_b32 s36, -1
                                        ; implicit-def: $vgpr8_vgpr9
	s_branch .LBB111_256
.LBB111_252:
	s_mov_b32 s36, -1
                                        ; implicit-def: $vgpr8_vgpr9
.LBB111_253:
	s_delay_alu instid0(SALU_CYCLE_1)
	s_and_not1_b32 vcc_lo, exec_lo, s36
	s_cbranch_vccnz .LBB111_255
; %bb.254:
	global_load_b32 v1, v[10:11], off
	s_wait_loadcnt 0x0
	v_cvt_f64_f32_e32 v[8:9], v1
.LBB111_255:
	s_mov_b32 s36, 0
.LBB111_256:
	s_delay_alu instid0(SALU_CYCLE_1)
	s_and_not1_b32 vcc_lo, exec_lo, s36
	s_cbranch_vccnz .LBB111_258
; %bb.257:
	global_load_u16 v1, v[10:11], off
	s_wait_loadcnt 0x0
	v_cvt_f32_f16_e32 v1, v1
	s_delay_alu instid0(VALU_DEP_1)
	v_cvt_f64_f32_e32 v[8:9], v1
.LBB111_258:
	s_mov_b32 s36, 0
.LBB111_259:
	s_delay_alu instid0(SALU_CYCLE_1)
	s_and_not1_b32 vcc_lo, exec_lo, s36
	s_cbranch_vccnz .LBB111_279
; %bb.260:
	s_cmp_lt_i32 s0, 2
	s_cbranch_scc1 .LBB111_264
; %bb.261:
	s_cmp_lt_i32 s0, 3
	s_cbranch_scc1 .LBB111_265
; %bb.262:
	s_cmp_gt_i32 s0, 3
	s_cbranch_scc0 .LBB111_266
; %bb.263:
	s_wait_loadcnt 0x0
	global_load_b64 v[8:9], v[10:11], off
	s_mov_b32 s36, 0
	s_wait_loadcnt 0x0
	v_cvt_f64_i32_e32 v[12:13], v9
	v_cvt_f64_u32_e32 v[8:9], v8
	s_delay_alu instid0(VALU_DEP_2) | instskip(NEXT) | instid1(VALU_DEP_1)
	v_ldexp_f64 v[12:13], v[12:13], 32
	v_add_f64_e32 v[8:9], v[12:13], v[8:9]
	s_branch .LBB111_267
.LBB111_264:
	s_mov_b32 s36, -1
                                        ; implicit-def: $vgpr8_vgpr9
	s_branch .LBB111_273
.LBB111_265:
	s_mov_b32 s36, -1
                                        ; implicit-def: $vgpr8_vgpr9
	s_branch .LBB111_270
.LBB111_266:
	s_mov_b32 s36, -1
                                        ; implicit-def: $vgpr8_vgpr9
.LBB111_267:
	s_delay_alu instid0(SALU_CYCLE_1)
	s_and_not1_b32 vcc_lo, exec_lo, s36
	s_cbranch_vccnz .LBB111_269
; %bb.268:
	global_load_b32 v1, v[10:11], off
	s_wait_loadcnt 0x0
	v_cvt_f64_i32_e32 v[8:9], v1
.LBB111_269:
	s_mov_b32 s36, 0
.LBB111_270:
	s_delay_alu instid0(SALU_CYCLE_1)
	s_and_not1_b32 vcc_lo, exec_lo, s36
	s_cbranch_vccnz .LBB111_272
; %bb.271:
	global_load_i16 v1, v[10:11], off
	s_wait_loadcnt 0x0
	v_cvt_f64_i32_e32 v[8:9], v1
.LBB111_272:
	s_mov_b32 s36, 0
.LBB111_273:
	s_delay_alu instid0(SALU_CYCLE_1)
	s_and_not1_b32 vcc_lo, exec_lo, s36
	s_cbranch_vccnz .LBB111_279
; %bb.274:
	s_cmp_gt_i32 s0, 0
	s_mov_b32 s0, 0
	s_cbranch_scc0 .LBB111_276
; %bb.275:
	global_load_i8 v1, v[10:11], off
	s_wait_loadcnt 0x0
	v_cvt_f64_i32_e32 v[8:9], v1
	s_branch .LBB111_277
.LBB111_276:
	s_mov_b32 s0, -1
                                        ; implicit-def: $vgpr8_vgpr9
.LBB111_277:
	s_delay_alu instid0(SALU_CYCLE_1)
	s_and_not1_b32 vcc_lo, exec_lo, s0
	s_cbranch_vccnz .LBB111_279
; %bb.278:
	global_load_u8 v1, v[10:11], off
	s_wait_loadcnt 0x0
	v_cvt_f64_u32_e32 v[8:9], v1
.LBB111_279:
	s_branch .LBB111_32
.LBB111_280:
	s_mov_b32 s0, 0
	s_mov_b32 s36, 0
	s_branch .LBB111_521
.LBB111_281:
	s_mov_b32 s36, -1
.LBB111_282:
	s_mov_b32 s37, 0
                                        ; implicit-def: $vgpr10_vgpr11
.LBB111_283:
	s_and_b32 vcc_lo, exec_lo, s49
	s_cbranch_vccz .LBB111_287
; %bb.284:
	s_cmp_eq_u32 s0, 44
	s_cbranch_scc0 .LBB111_286
; %bb.285:
	global_load_u8 v3, v[0:1], off
	s_mov_b32 s36, 0
	s_mov_b32 s37, -1
	s_wait_loadcnt 0x0
	v_lshlrev_b32_e32 v5, 23, v3
	v_cmp_ne_u32_e32 vcc_lo, 0xff, v3
	s_delay_alu instid0(VALU_DEP_2) | instskip(NEXT) | instid1(VALU_DEP_1)
	v_cvt_f64_f32_e32 v[10:11], v5
	v_cndmask_b32_e32 v5, 0x20000000, v10, vcc_lo
	s_delay_alu instid0(VALU_DEP_2) | instskip(SKIP_1) | instid1(VALU_DEP_2)
	v_cndmask_b32_e32 v10, 0x7ff80000, v11, vcc_lo
	v_cmp_ne_u32_e32 vcc_lo, 0, v3
	v_cndmask_b32_e32 v11, 0x38000000, v10, vcc_lo
	s_delay_alu instid0(VALU_DEP_4)
	v_cndmask_b32_e32 v10, 0, v5, vcc_lo
	s_branch .LBB111_287
.LBB111_286:
	s_mov_b32 s36, -1
                                        ; implicit-def: $vgpr10_vgpr11
.LBB111_287:
	s_mov_b32 s49, 0
.LBB111_288:
	s_delay_alu instid0(SALU_CYCLE_1)
	s_and_b32 vcc_lo, exec_lo, s49
	s_cbranch_vccz .LBB111_292
; %bb.289:
	s_cmp_eq_u32 s0, 29
	s_cbranch_scc0 .LBB111_291
; %bb.290:
	global_load_b64 v[10:11], v[0:1], off
	s_mov_b32 s37, -1
	s_mov_b32 s36, 0
	s_mov_b32 s49, 0
	s_wait_loadcnt 0x0
	v_cvt_f64_u32_e32 v[12:13], v11
	v_cvt_f64_u32_e32 v[10:11], v10
	s_delay_alu instid0(VALU_DEP_2) | instskip(NEXT) | instid1(VALU_DEP_1)
	v_ldexp_f64 v[12:13], v[12:13], 32
	v_add_f64_e32 v[10:11], v[12:13], v[10:11]
	s_branch .LBB111_293
.LBB111_291:
	s_mov_b32 s36, -1
                                        ; implicit-def: $vgpr10_vgpr11
.LBB111_292:
	s_mov_b32 s49, 0
.LBB111_293:
	s_delay_alu instid0(SALU_CYCLE_1)
	s_and_b32 vcc_lo, exec_lo, s49
	s_cbranch_vccz .LBB111_311
; %bb.294:
	s_cmp_lt_i32 s0, 27
	s_cbranch_scc1 .LBB111_297
; %bb.295:
	s_cmp_gt_i32 s0, 27
	s_cbranch_scc0 .LBB111_298
; %bb.296:
	global_load_b32 v3, v[0:1], off
	s_mov_b32 s37, 0
	s_wait_loadcnt 0x0
	v_cvt_f64_u32_e32 v[10:11], v3
	s_branch .LBB111_299
.LBB111_297:
	s_mov_b32 s37, -1
                                        ; implicit-def: $vgpr10_vgpr11
	s_branch .LBB111_302
.LBB111_298:
	s_mov_b32 s37, -1
                                        ; implicit-def: $vgpr10_vgpr11
.LBB111_299:
	s_delay_alu instid0(SALU_CYCLE_1)
	s_and_not1_b32 vcc_lo, exec_lo, s37
	s_cbranch_vccnz .LBB111_301
; %bb.300:
	global_load_u16 v3, v[0:1], off
	s_wait_loadcnt 0x0
	v_cvt_f64_u32_e32 v[10:11], v3
.LBB111_301:
	s_mov_b32 s37, 0
.LBB111_302:
	s_delay_alu instid0(SALU_CYCLE_1)
	s_and_not1_b32 vcc_lo, exec_lo, s37
	s_cbranch_vccnz .LBB111_310
; %bb.303:
	global_load_u8 v3, v[0:1], off
	s_mov_b32 s37, 0
	s_mov_b32 s49, exec_lo
	s_wait_loadcnt 0x0
	v_cmpx_lt_i16_e32 0x7f, v3
	s_xor_b32 s49, exec_lo, s49
	s_cbranch_execz .LBB111_324
; %bb.304:
	s_mov_b32 s37, -1
	s_mov_b32 s50, exec_lo
	v_cmpx_eq_u16_e32 0x80, v3
; %bb.305:
	s_xor_b32 s37, exec_lo, -1
; %bb.306:
	s_or_b32 exec_lo, exec_lo, s50
	s_delay_alu instid0(SALU_CYCLE_1)
	s_and_b32 s37, s37, exec_lo
	s_or_saveexec_b32 s49, s49
	v_mov_b64_e32 v[10:11], 0x7ff8000020000000
	s_xor_b32 exec_lo, exec_lo, s49
	s_cbranch_execnz .LBB111_325
.LBB111_307:
	s_or_b32 exec_lo, exec_lo, s49
	s_and_saveexec_b32 s49, s37
	s_cbranch_execz .LBB111_309
.LBB111_308:
	v_and_b32_e32 v5, 0xffff, v3
	s_delay_alu instid0(VALU_DEP_1) | instskip(SKIP_1) | instid1(VALU_DEP_2)
	v_and_b32_e32 v10, 7, v5
	v_bfe_u32 v13, v5, 3, 4
	v_clz_i32_u32_e32 v11, v10
	s_delay_alu instid0(VALU_DEP_2) | instskip(NEXT) | instid1(VALU_DEP_2)
	v_cmp_eq_u32_e32 vcc_lo, 0, v13
	v_min_u32_e32 v11, 32, v11
	s_delay_alu instid0(VALU_DEP_1) | instskip(NEXT) | instid1(VALU_DEP_1)
	v_subrev_nc_u32_e32 v12, 28, v11
	v_dual_lshlrev_b32 v5, v12, v5 :: v_dual_sub_nc_u32 v11, 29, v11
	s_delay_alu instid0(VALU_DEP_1) | instskip(NEXT) | instid1(VALU_DEP_1)
	v_dual_lshlrev_b32 v3, 24, v3 :: v_dual_bitop2_b32 v5, 7, v5 bitop3:0x40
	v_dual_cndmask_b32 v5, v10, v5, vcc_lo :: v_dual_cndmask_b32 v11, v13, v11, vcc_lo
	s_delay_alu instid0(VALU_DEP_2) | instskip(NEXT) | instid1(VALU_DEP_2)
	v_and_b32_e32 v3, 0x80000000, v3
	v_lshlrev_b32_e32 v5, 20, v5
	s_delay_alu instid0(VALU_DEP_3) | instskip(NEXT) | instid1(VALU_DEP_1)
	v_lshl_add_u32 v10, v11, 23, 0x3b800000
	v_or3_b32 v3, v3, v10, v5
	s_delay_alu instid0(VALU_DEP_1)
	v_cvt_f64_f32_e32 v[10:11], v3
.LBB111_309:
	s_or_b32 exec_lo, exec_lo, s49
.LBB111_310:
	s_mov_b32 s37, -1
.LBB111_311:
	s_mov_b32 s49, 0
.LBB111_312:
	s_delay_alu instid0(SALU_CYCLE_1)
	s_and_b32 vcc_lo, exec_lo, s49
	s_cbranch_vccz .LBB111_347
; %bb.313:
	s_cmp_gt_i32 s0, 22
	s_cbranch_scc0 .LBB111_323
; %bb.314:
	s_cmp_lt_i32 s0, 24
	s_cbranch_scc1 .LBB111_326
; %bb.315:
	s_cmp_gt_i32 s0, 24
	s_cbranch_scc0 .LBB111_327
; %bb.316:
	global_load_u8 v3, v[0:1], off
	s_mov_b32 s37, 0
	s_mov_b32 s49, exec_lo
	s_wait_loadcnt 0x0
	v_cmpx_lt_i16_e32 0x7f, v3
	s_xor_b32 s49, exec_lo, s49
	s_cbranch_execz .LBB111_339
; %bb.317:
	s_mov_b32 s37, -1
	s_mov_b32 s50, exec_lo
	v_cmpx_eq_u16_e32 0x80, v3
; %bb.318:
	s_xor_b32 s37, exec_lo, -1
; %bb.319:
	s_or_b32 exec_lo, exec_lo, s50
	s_delay_alu instid0(SALU_CYCLE_1)
	s_and_b32 s37, s37, exec_lo
	s_or_saveexec_b32 s49, s49
	v_mov_b64_e32 v[10:11], 0x7ff8000020000000
	s_xor_b32 exec_lo, exec_lo, s49
	s_cbranch_execnz .LBB111_340
.LBB111_320:
	s_or_b32 exec_lo, exec_lo, s49
	s_and_saveexec_b32 s49, s37
	s_cbranch_execz .LBB111_322
.LBB111_321:
	v_and_b32_e32 v5, 0xffff, v3
	s_delay_alu instid0(VALU_DEP_1) | instskip(SKIP_1) | instid1(VALU_DEP_2)
	v_and_b32_e32 v10, 3, v5
	v_bfe_u32 v13, v5, 2, 5
	v_clz_i32_u32_e32 v11, v10
	s_delay_alu instid0(VALU_DEP_2) | instskip(NEXT) | instid1(VALU_DEP_2)
	v_cmp_eq_u32_e32 vcc_lo, 0, v13
	v_min_u32_e32 v11, 32, v11
	s_delay_alu instid0(VALU_DEP_1) | instskip(NEXT) | instid1(VALU_DEP_1)
	v_subrev_nc_u32_e32 v12, 29, v11
	v_dual_lshlrev_b32 v5, v12, v5 :: v_dual_sub_nc_u32 v11, 30, v11
	s_delay_alu instid0(VALU_DEP_1) | instskip(NEXT) | instid1(VALU_DEP_1)
	v_dual_lshlrev_b32 v3, 24, v3 :: v_dual_bitop2_b32 v5, 3, v5 bitop3:0x40
	v_dual_cndmask_b32 v5, v10, v5, vcc_lo :: v_dual_cndmask_b32 v11, v13, v11, vcc_lo
	s_delay_alu instid0(VALU_DEP_2) | instskip(NEXT) | instid1(VALU_DEP_2)
	v_and_b32_e32 v3, 0x80000000, v3
	v_lshlrev_b32_e32 v5, 21, v5
	s_delay_alu instid0(VALU_DEP_3) | instskip(NEXT) | instid1(VALU_DEP_1)
	v_lshl_add_u32 v10, v11, 23, 0x37800000
	v_or3_b32 v3, v3, v10, v5
	s_delay_alu instid0(VALU_DEP_1)
	v_cvt_f64_f32_e32 v[10:11], v3
.LBB111_322:
	s_or_b32 exec_lo, exec_lo, s49
	s_mov_b32 s37, 0
	s_branch .LBB111_328
.LBB111_323:
	s_mov_b32 s49, -1
                                        ; implicit-def: $vgpr10_vgpr11
	s_branch .LBB111_334
.LBB111_324:
	s_or_saveexec_b32 s49, s49
	v_mov_b64_e32 v[10:11], 0x7ff8000020000000
	s_xor_b32 exec_lo, exec_lo, s49
	s_cbranch_execz .LBB111_307
.LBB111_325:
	v_cmp_ne_u16_e32 vcc_lo, 0, v3
	v_mov_b64_e32 v[10:11], 0
	s_and_not1_b32 s37, s37, exec_lo
	s_and_b32 s50, vcc_lo, exec_lo
	s_delay_alu instid0(SALU_CYCLE_1)
	s_or_b32 s37, s37, s50
	s_or_b32 exec_lo, exec_lo, s49
	s_and_saveexec_b32 s49, s37
	s_cbranch_execnz .LBB111_308
	s_branch .LBB111_309
.LBB111_326:
	s_mov_b32 s37, -1
                                        ; implicit-def: $vgpr10_vgpr11
	s_branch .LBB111_331
.LBB111_327:
	s_mov_b32 s37, -1
                                        ; implicit-def: $vgpr10_vgpr11
.LBB111_328:
	s_delay_alu instid0(SALU_CYCLE_1)
	s_and_b32 vcc_lo, exec_lo, s37
	s_cbranch_vccz .LBB111_330
; %bb.329:
	global_load_u8 v3, v[0:1], off
	s_wait_loadcnt 0x0
	v_lshlrev_b32_e32 v3, 24, v3
	s_delay_alu instid0(VALU_DEP_1) | instskip(NEXT) | instid1(VALU_DEP_1)
	v_and_b32_e32 v5, 0x7f000000, v3
	v_clz_i32_u32_e32 v10, v5
	v_cmp_ne_u32_e32 vcc_lo, 0, v5
	v_add_nc_u32_e32 v12, 0x1000000, v5
	s_delay_alu instid0(VALU_DEP_3) | instskip(NEXT) | instid1(VALU_DEP_1)
	v_min_u32_e32 v10, 32, v10
	v_sub_nc_u32_e64 v10, v10, 4 clamp
	s_delay_alu instid0(VALU_DEP_1) | instskip(NEXT) | instid1(VALU_DEP_1)
	v_dual_lshlrev_b32 v11, v10, v5 :: v_dual_lshlrev_b32 v10, 23, v10
	v_lshrrev_b32_e32 v11, 4, v11
	s_delay_alu instid0(VALU_DEP_1) | instskip(NEXT) | instid1(VALU_DEP_1)
	v_dual_sub_nc_u32 v10, v11, v10 :: v_dual_ashrrev_i32 v11, 8, v12
	v_add_nc_u32_e32 v10, 0x3c000000, v10
	s_delay_alu instid0(VALU_DEP_1) | instskip(NEXT) | instid1(VALU_DEP_1)
	v_and_or_b32 v10, 0x7f800000, v11, v10
	v_cndmask_b32_e32 v5, 0, v10, vcc_lo
	s_delay_alu instid0(VALU_DEP_1) | instskip(NEXT) | instid1(VALU_DEP_1)
	v_and_or_b32 v3, 0x80000000, v3, v5
	v_cvt_f64_f32_e32 v[10:11], v3
.LBB111_330:
	s_mov_b32 s37, 0
.LBB111_331:
	s_delay_alu instid0(SALU_CYCLE_1)
	s_and_not1_b32 vcc_lo, exec_lo, s37
	s_cbranch_vccnz .LBB111_333
; %bb.332:
	global_load_u8 v3, v[0:1], off
	s_wait_loadcnt 0x0
	v_lshlrev_b32_e32 v5, 25, v3
	v_lshlrev_b16 v3, 8, v3
	s_delay_alu instid0(VALU_DEP_1) | instskip(NEXT) | instid1(VALU_DEP_3)
	v_and_or_b32 v11, 0x7f00, v3, 0.5
	v_lshrrev_b32_e32 v10, 4, v5
	v_bfe_i32 v3, v3, 0, 16
	s_delay_alu instid0(VALU_DEP_3) | instskip(NEXT) | instid1(VALU_DEP_3)
	v_add_f32_e32 v11, -0.5, v11
	v_or_b32_e32 v10, 0x70000000, v10
	s_delay_alu instid0(VALU_DEP_1) | instskip(SKIP_1) | instid1(VALU_DEP_2)
	v_mul_f32_e32 v10, 0x7800000, v10
	v_cmp_gt_u32_e32 vcc_lo, 0x8000000, v5
	v_cndmask_b32_e32 v5, v10, v11, vcc_lo
	s_delay_alu instid0(VALU_DEP_1) | instskip(NEXT) | instid1(VALU_DEP_1)
	v_and_or_b32 v3, 0x80000000, v3, v5
	v_cvt_f64_f32_e32 v[10:11], v3
.LBB111_333:
	s_mov_b32 s49, 0
	s_mov_b32 s37, -1
.LBB111_334:
	s_and_not1_b32 vcc_lo, exec_lo, s49
	s_cbranch_vccnz .LBB111_347
; %bb.335:
	s_cmp_gt_i32 s0, 14
	s_cbranch_scc0 .LBB111_338
; %bb.336:
	s_cmp_eq_u32 s0, 15
	s_cbranch_scc0 .LBB111_341
; %bb.337:
	global_load_u16 v3, v[0:1], off
	s_mov_b32 s37, -1
	s_mov_b32 s36, 0
	s_wait_loadcnt 0x0
	v_lshlrev_b32_e32 v3, 16, v3
	s_delay_alu instid0(VALU_DEP_1)
	v_cvt_f64_f32_e32 v[10:11], v3
	s_branch .LBB111_342
.LBB111_338:
	s_mov_b32 s49, -1
                                        ; implicit-def: $vgpr10_vgpr11
	s_branch .LBB111_343
.LBB111_339:
	s_or_saveexec_b32 s49, s49
	v_mov_b64_e32 v[10:11], 0x7ff8000020000000
	s_xor_b32 exec_lo, exec_lo, s49
	s_cbranch_execz .LBB111_320
.LBB111_340:
	v_cmp_ne_u16_e32 vcc_lo, 0, v3
	v_mov_b64_e32 v[10:11], 0
	s_and_not1_b32 s37, s37, exec_lo
	s_and_b32 s50, vcc_lo, exec_lo
	s_delay_alu instid0(SALU_CYCLE_1)
	s_or_b32 s37, s37, s50
	s_or_b32 exec_lo, exec_lo, s49
	s_and_saveexec_b32 s49, s37
	s_cbranch_execnz .LBB111_321
	s_branch .LBB111_322
.LBB111_341:
	s_mov_b32 s36, -1
                                        ; implicit-def: $vgpr10_vgpr11
.LBB111_342:
	s_mov_b32 s49, 0
.LBB111_343:
	s_delay_alu instid0(SALU_CYCLE_1)
	s_and_b32 vcc_lo, exec_lo, s49
	s_cbranch_vccz .LBB111_347
; %bb.344:
	s_cmp_eq_u32 s0, 11
	s_cbranch_scc0 .LBB111_346
; %bb.345:
	global_load_u8 v3, v[0:1], off
	s_wait_xcnt 0x1
	v_mov_b32_e32 v10, 0
	s_mov_b32 s36, 0
	s_mov_b32 s37, -1
	s_wait_loadcnt 0x0
	v_cmp_ne_u16_e32 vcc_lo, 0, v3
	v_cndmask_b32_e64 v11, 0, 0x3ff00000, vcc_lo
	s_branch .LBB111_347
.LBB111_346:
	s_mov_b32 s36, -1
                                        ; implicit-def: $vgpr10_vgpr11
.LBB111_347:
	s_mov_b32 s49, 0
.LBB111_348:
	s_delay_alu instid0(SALU_CYCLE_1)
	s_and_b32 vcc_lo, exec_lo, s49
	s_cbranch_vccz .LBB111_397
; %bb.349:
	s_cmp_lt_i32 s0, 5
	s_cbranch_scc1 .LBB111_354
; %bb.350:
	s_cmp_lt_i32 s0, 8
	s_cbranch_scc1 .LBB111_355
	;; [unrolled: 3-line block ×3, first 2 shown]
; %bb.352:
	s_cmp_gt_i32 s0, 9
	s_cbranch_scc0 .LBB111_357
; %bb.353:
	global_load_b64 v[10:11], v[0:1], off
	s_mov_b32 s37, 0
	s_branch .LBB111_358
.LBB111_354:
	s_mov_b32 s37, -1
                                        ; implicit-def: $vgpr10_vgpr11
	s_branch .LBB111_376
.LBB111_355:
	s_mov_b32 s37, -1
                                        ; implicit-def: $vgpr10_vgpr11
	s_branch .LBB111_364
.LBB111_356:
	s_mov_b32 s37, -1
                                        ; implicit-def: $vgpr10_vgpr11
	s_branch .LBB111_361
.LBB111_357:
	s_mov_b32 s37, -1
                                        ; implicit-def: $vgpr10_vgpr11
.LBB111_358:
	s_delay_alu instid0(SALU_CYCLE_1)
	s_and_not1_b32 vcc_lo, exec_lo, s37
	s_cbranch_vccnz .LBB111_360
; %bb.359:
	global_load_b32 v3, v[0:1], off
	s_wait_loadcnt 0x0
	v_cvt_f64_f32_e32 v[10:11], v3
.LBB111_360:
	s_mov_b32 s37, 0
.LBB111_361:
	s_delay_alu instid0(SALU_CYCLE_1)
	s_and_not1_b32 vcc_lo, exec_lo, s37
	s_cbranch_vccnz .LBB111_363
; %bb.362:
	global_load_b32 v3, v[0:1], off
	s_wait_loadcnt 0x0
	v_cvt_f32_f16_e32 v3, v3
	s_delay_alu instid0(VALU_DEP_1)
	v_cvt_f64_f32_e32 v[10:11], v3
.LBB111_363:
	s_mov_b32 s37, 0
.LBB111_364:
	s_delay_alu instid0(SALU_CYCLE_1)
	s_and_not1_b32 vcc_lo, exec_lo, s37
	s_cbranch_vccnz .LBB111_375
; %bb.365:
	s_cmp_lt_i32 s0, 6
	s_cbranch_scc1 .LBB111_368
; %bb.366:
	s_cmp_gt_i32 s0, 6
	s_cbranch_scc0 .LBB111_369
; %bb.367:
	s_wait_loadcnt 0x0
	global_load_b64 v[10:11], v[0:1], off
	s_mov_b32 s37, 0
	s_branch .LBB111_370
.LBB111_368:
	s_mov_b32 s37, -1
                                        ; implicit-def: $vgpr10_vgpr11
	s_branch .LBB111_373
.LBB111_369:
	s_mov_b32 s37, -1
                                        ; implicit-def: $vgpr10_vgpr11
.LBB111_370:
	s_delay_alu instid0(SALU_CYCLE_1)
	s_and_not1_b32 vcc_lo, exec_lo, s37
	s_cbranch_vccnz .LBB111_372
; %bb.371:
	global_load_b32 v3, v[0:1], off
	s_wait_loadcnt 0x0
	v_cvt_f64_f32_e32 v[10:11], v3
.LBB111_372:
	s_mov_b32 s37, 0
.LBB111_373:
	s_delay_alu instid0(SALU_CYCLE_1)
	s_and_not1_b32 vcc_lo, exec_lo, s37
	s_cbranch_vccnz .LBB111_375
; %bb.374:
	global_load_u16 v3, v[0:1], off
	s_wait_loadcnt 0x0
	v_cvt_f32_f16_e32 v3, v3
	s_delay_alu instid0(VALU_DEP_1)
	v_cvt_f64_f32_e32 v[10:11], v3
.LBB111_375:
	s_mov_b32 s37, 0
.LBB111_376:
	s_delay_alu instid0(SALU_CYCLE_1)
	s_and_not1_b32 vcc_lo, exec_lo, s37
	s_cbranch_vccnz .LBB111_396
; %bb.377:
	s_cmp_lt_i32 s0, 2
	s_cbranch_scc1 .LBB111_381
; %bb.378:
	s_cmp_lt_i32 s0, 3
	s_cbranch_scc1 .LBB111_382
; %bb.379:
	s_cmp_gt_i32 s0, 3
	s_cbranch_scc0 .LBB111_383
; %bb.380:
	s_wait_loadcnt 0x0
	global_load_b64 v[10:11], v[0:1], off
	s_mov_b32 s37, 0
	s_wait_loadcnt 0x0
	v_cvt_f64_i32_e32 v[12:13], v11
	v_cvt_f64_u32_e32 v[10:11], v10
	s_delay_alu instid0(VALU_DEP_2) | instskip(NEXT) | instid1(VALU_DEP_1)
	v_ldexp_f64 v[12:13], v[12:13], 32
	v_add_f64_e32 v[10:11], v[12:13], v[10:11]
	s_branch .LBB111_384
.LBB111_381:
	s_mov_b32 s37, -1
                                        ; implicit-def: $vgpr10_vgpr11
	s_branch .LBB111_390
.LBB111_382:
	s_mov_b32 s37, -1
                                        ; implicit-def: $vgpr10_vgpr11
	s_branch .LBB111_387
.LBB111_383:
	s_mov_b32 s37, -1
                                        ; implicit-def: $vgpr10_vgpr11
.LBB111_384:
	s_delay_alu instid0(SALU_CYCLE_1)
	s_and_not1_b32 vcc_lo, exec_lo, s37
	s_cbranch_vccnz .LBB111_386
; %bb.385:
	global_load_b32 v3, v[0:1], off
	s_wait_loadcnt 0x0
	v_cvt_f64_i32_e32 v[10:11], v3
.LBB111_386:
	s_mov_b32 s37, 0
.LBB111_387:
	s_delay_alu instid0(SALU_CYCLE_1)
	s_and_not1_b32 vcc_lo, exec_lo, s37
	s_cbranch_vccnz .LBB111_389
; %bb.388:
	global_load_i16 v3, v[0:1], off
	s_wait_loadcnt 0x0
	v_cvt_f64_i32_e32 v[10:11], v3
.LBB111_389:
	s_mov_b32 s37, 0
.LBB111_390:
	s_delay_alu instid0(SALU_CYCLE_1)
	s_and_not1_b32 vcc_lo, exec_lo, s37
	s_cbranch_vccnz .LBB111_396
; %bb.391:
	s_cmp_gt_i32 s0, 0
	s_mov_b32 s0, 0
	s_cbranch_scc0 .LBB111_393
; %bb.392:
	global_load_i8 v3, v[0:1], off
	s_wait_loadcnt 0x0
	v_cvt_f64_i32_e32 v[10:11], v3
	s_branch .LBB111_394
.LBB111_393:
	s_mov_b32 s0, -1
                                        ; implicit-def: $vgpr10_vgpr11
.LBB111_394:
	s_delay_alu instid0(SALU_CYCLE_1)
	s_and_not1_b32 vcc_lo, exec_lo, s0
	s_cbranch_vccnz .LBB111_396
; %bb.395:
	global_load_u8 v0, v[0:1], off
	s_wait_loadcnt 0x0
	v_cvt_f64_u32_e32 v[10:11], v0
.LBB111_396:
	s_mov_b32 s37, -1
.LBB111_397:
	s_delay_alu instid0(SALU_CYCLE_1)
	s_and_not1_b32 vcc_lo, exec_lo, s37
	s_cbranch_vccnz .LBB111_405
; %bb.398:
	s_wait_loadcnt 0x0
	s_delay_alu instid0(VALU_DEP_3) | instskip(SKIP_1) | instid1(SALU_CYCLE_1)
	v_dual_mul_f64 v[0:1], s[22:23], v[8:9] :: v_dual_mov_b32 v3, 0
	s_and_b32 s37, s42, 0xff
	s_cmp_lt_i32 s37, 11
	s_delay_alu instid0(VALU_DEP_1) | instskip(NEXT) | instid1(VALU_DEP_1)
	v_mul_f64_e32 v[0:1], v[0:1], v[10:11]
	v_fmac_f64_e32 v[0:1], s[20:21], v[6:7]
	v_add_nc_u64_e32 v[6:7], s[4:5], v[2:3]
	s_cbranch_scc1 .LBB111_406
; %bb.399:
	s_and_b32 s49, 0xffff, s37
	s_delay_alu instid0(SALU_CYCLE_1)
	s_cmp_gt_i32 s49, 25
	s_cbranch_scc0 .LBB111_407
; %bb.400:
	s_cmp_gt_i32 s49, 28
	s_cbranch_scc0 .LBB111_408
; %bb.401:
	;; [unrolled: 3-line block ×4, first 2 shown]
	s_mov_b32 s51, 0
	s_mov_b32 s0, -1
	s_cmp_eq_u32 s49, 46
	s_mov_b32 s50, 0
	s_cbranch_scc0 .LBB111_411
; %bb.404:
	s_delay_alu instid0(VALU_DEP_2) | instskip(SKIP_2) | instid1(VALU_DEP_1)
	v_cvt_f32_f64_e32 v2, v[0:1]
	s_mov_b32 s50, -1
	s_mov_b32 s0, 0
	v_bfe_u32 v3, v2, 16, 1
	v_cmp_o_f32_e32 vcc_lo, v2, v2
	s_delay_alu instid0(VALU_DEP_2) | instskip(NEXT) | instid1(VALU_DEP_1)
	v_add3_u32 v3, v2, v3, 0x7fff
	v_lshrrev_b32_e32 v3, 16, v3
	s_delay_alu instid0(VALU_DEP_1)
	v_cndmask_b32_e32 v2, 0x7fc0, v3, vcc_lo
	global_store_b32 v[6:7], v2, off
	s_branch .LBB111_411
.LBB111_405:
	s_mov_b32 s0, 0
	s_branch .LBB111_521
.LBB111_406:
	s_mov_b32 s49, -1
	s_mov_b32 s0, 0
	s_mov_b32 s50, 0
	s_branch .LBB111_480
.LBB111_407:
	s_mov_b32 s51, -1
	s_mov_b32 s0, 0
	s_mov_b32 s50, 0
	s_branch .LBB111_438
.LBB111_408:
	s_mov_b32 s51, -1
	s_mov_b32 s0, 0
	s_mov_b32 s50, 0
	s_branch .LBB111_421
.LBB111_409:
	s_mov_b32 s51, -1
	s_mov_b32 s0, 0
	s_mov_b32 s50, 0
	s_branch .LBB111_417
.LBB111_410:
	s_mov_b32 s51, -1
	s_mov_b32 s0, 0
	s_mov_b32 s50, 0
.LBB111_411:
	s_and_b32 vcc_lo, exec_lo, s51
	s_cbranch_vccz .LBB111_416
; %bb.412:
	s_cmp_eq_u32 s49, 44
	s_mov_b32 s0, -1
	s_cbranch_scc0 .LBB111_416
; %bb.413:
	s_wait_xcnt 0x0
	s_delay_alu instid0(VALU_DEP_2) | instskip(SKIP_2) | instid1(VALU_DEP_2)
	v_cvt_f32_f64_e32 v2, v[0:1]
	v_mov_b32_e32 v3, 0xff
	s_mov_b32 s50, exec_lo
	v_bfe_u32 v5, v2, 23, 8
	s_delay_alu instid0(VALU_DEP_1)
	v_cmpx_ne_u32_e32 0xff, v5
	s_cbranch_execz .LBB111_415
; %bb.414:
	v_and_b32_e32 v3, 0x400000, v2
	v_and_or_b32 v5, 0x3fffff, v2, v5
	v_lshrrev_b32_e32 v2, 23, v2
	s_delay_alu instid0(VALU_DEP_3) | instskip(NEXT) | instid1(VALU_DEP_3)
	v_cmp_ne_u32_e32 vcc_lo, 0, v3
	v_cmp_ne_u32_e64 s0, 0, v5
	s_and_b32 s0, vcc_lo, s0
	s_delay_alu instid0(SALU_CYCLE_1) | instskip(NEXT) | instid1(VALU_DEP_1)
	v_cndmask_b32_e64 v3, 0, 1, s0
	v_add_nc_u32_e32 v3, v2, v3
.LBB111_415:
	s_or_b32 exec_lo, exec_lo, s50
	s_mov_b32 s50, -1
	s_mov_b32 s0, 0
	global_store_b8 v[6:7], v3, off
.LBB111_416:
	s_mov_b32 s51, 0
.LBB111_417:
	s_delay_alu instid0(SALU_CYCLE_1)
	s_and_b32 vcc_lo, exec_lo, s51
	s_cbranch_vccz .LBB111_420
; %bb.418:
	s_cmp_eq_u32 s49, 29
	s_mov_b32 s0, -1
	s_cbranch_scc0 .LBB111_420
; %bb.419:
	s_wait_xcnt 0x0
	s_delay_alu instid0(VALU_DEP_2) | instskip(SKIP_3) | instid1(VALU_DEP_1)
	v_trunc_f64_e32 v[2:3], v[0:1]
	s_mov_b32 s50, -1
	s_mov_b32 s0, 0
	s_mov_b32 s51, 0
	v_ldexp_f64 v[8:9], v[2:3], 0xffffffe0
	s_delay_alu instid0(VALU_DEP_1) | instskip(NEXT) | instid1(VALU_DEP_1)
	v_floor_f64_e32 v[8:9], v[8:9]
	v_fmamk_f64 v[2:3], v[8:9], 0xc1f00000, v[2:3]
	v_cvt_u32_f64_e32 v9, v[8:9]
	s_delay_alu instid0(VALU_DEP_2)
	v_cvt_u32_f64_e32 v8, v[2:3]
	global_store_b64 v[6:7], v[8:9], off
	s_branch .LBB111_421
.LBB111_420:
	s_mov_b32 s51, 0
.LBB111_421:
	s_delay_alu instid0(SALU_CYCLE_1)
	s_and_b32 vcc_lo, exec_lo, s51
	s_cbranch_vccz .LBB111_437
; %bb.422:
	s_cmp_lt_i32 s49, 27
	s_mov_b32 s50, -1
	s_cbranch_scc1 .LBB111_428
; %bb.423:
	s_wait_xcnt 0x0
	s_delay_alu instid0(VALU_DEP_2)
	v_cvt_u32_f64_e32 v2, v[0:1]
	s_cmp_gt_i32 s49, 27
	s_cbranch_scc0 .LBB111_425
; %bb.424:
	s_mov_b32 s50, 0
	global_store_b32 v[6:7], v2, off
.LBB111_425:
	s_and_not1_b32 vcc_lo, exec_lo, s50
	s_cbranch_vccnz .LBB111_427
; %bb.426:
	global_store_b16 v[6:7], v2, off
.LBB111_427:
	s_mov_b32 s50, 0
.LBB111_428:
	s_delay_alu instid0(SALU_CYCLE_1)
	s_and_not1_b32 vcc_lo, exec_lo, s50
	s_cbranch_vccnz .LBB111_436
; %bb.429:
	s_wait_xcnt 0x0
	s_delay_alu instid0(VALU_DEP_2) | instskip(SKIP_2) | instid1(VALU_DEP_2)
	v_cvt_f32_f64_e32 v2, v[0:1]
	v_mov_b32_e32 v5, 0x80
	s_mov_b32 s50, exec_lo
	v_and_b32_e32 v3, 0x7fffffff, v2
	s_delay_alu instid0(VALU_DEP_1)
	v_cmpx_gt_u32_e32 0x43800000, v3
	s_cbranch_execz .LBB111_435
; %bb.430:
	v_cmp_lt_u32_e32 vcc_lo, 0x3bffffff, v3
	s_mov_b32 s51, 0
                                        ; implicit-def: $vgpr3
	s_and_saveexec_b32 s52, vcc_lo
	s_delay_alu instid0(SALU_CYCLE_1)
	s_xor_b32 s52, exec_lo, s52
	s_cbranch_execz .LBB111_680
; %bb.431:
	v_bfe_u32 v3, v2, 20, 1
	s_mov_b32 s51, exec_lo
	s_delay_alu instid0(VALU_DEP_1) | instskip(NEXT) | instid1(VALU_DEP_1)
	v_add3_u32 v3, v2, v3, 0x487ffff
	v_lshrrev_b32_e32 v3, 20, v3
	s_and_not1_saveexec_b32 s52, s52
	s_cbranch_execnz .LBB111_681
.LBB111_432:
	s_or_b32 exec_lo, exec_lo, s52
	v_mov_b32_e32 v5, 0
	s_and_saveexec_b32 s52, s51
.LBB111_433:
	v_lshrrev_b32_e32 v2, 24, v2
	s_delay_alu instid0(VALU_DEP_1)
	v_and_or_b32 v5, 0x80, v2, v3
.LBB111_434:
	s_or_b32 exec_lo, exec_lo, s52
.LBB111_435:
	s_delay_alu instid0(SALU_CYCLE_1)
	s_or_b32 exec_lo, exec_lo, s50
	global_store_b8 v[6:7], v5, off
.LBB111_436:
	s_mov_b32 s50, -1
.LBB111_437:
	s_mov_b32 s51, 0
.LBB111_438:
	s_delay_alu instid0(SALU_CYCLE_1)
	s_and_b32 vcc_lo, exec_lo, s51
	s_cbranch_vccz .LBB111_479
; %bb.439:
	s_cmp_gt_i32 s49, 22
	s_mov_b32 s51, -1
	s_cbranch_scc0 .LBB111_471
; %bb.440:
	s_cmp_lt_i32 s49, 24
	s_mov_b32 s50, -1
	s_cbranch_scc1 .LBB111_460
; %bb.441:
	s_cmp_gt_i32 s49, 24
	s_cbranch_scc0 .LBB111_449
; %bb.442:
	s_wait_xcnt 0x0
	s_delay_alu instid0(VALU_DEP_2) | instskip(SKIP_2) | instid1(VALU_DEP_2)
	v_cvt_f32_f64_e32 v2, v[0:1]
	v_mov_b32_e32 v5, 0x80
	s_mov_b32 s50, exec_lo
	v_and_b32_e32 v3, 0x7fffffff, v2
	s_delay_alu instid0(VALU_DEP_1)
	v_cmpx_gt_u32_e32 0x47800000, v3
	s_cbranch_execz .LBB111_448
; %bb.443:
	v_cmp_lt_u32_e32 vcc_lo, 0x37ffffff, v3
	s_mov_b32 s51, 0
                                        ; implicit-def: $vgpr3
	s_and_saveexec_b32 s52, vcc_lo
	s_delay_alu instid0(SALU_CYCLE_1)
	s_xor_b32 s52, exec_lo, s52
	s_cbranch_execz .LBB111_812
; %bb.444:
	v_bfe_u32 v3, v2, 21, 1
	s_mov_b32 s51, exec_lo
	s_delay_alu instid0(VALU_DEP_1) | instskip(NEXT) | instid1(VALU_DEP_1)
	v_add3_u32 v3, v2, v3, 0x88fffff
	v_lshrrev_b32_e32 v3, 21, v3
	s_and_not1_saveexec_b32 s52, s52
	s_cbranch_execnz .LBB111_813
.LBB111_445:
	s_or_b32 exec_lo, exec_lo, s52
	v_mov_b32_e32 v5, 0
	s_and_saveexec_b32 s52, s51
.LBB111_446:
	v_lshrrev_b32_e32 v2, 24, v2
	s_delay_alu instid0(VALU_DEP_1)
	v_and_or_b32 v5, 0x80, v2, v3
.LBB111_447:
	s_or_b32 exec_lo, exec_lo, s52
.LBB111_448:
	s_delay_alu instid0(SALU_CYCLE_1)
	s_or_b32 exec_lo, exec_lo, s50
	s_mov_b32 s50, 0
	global_store_b8 v[6:7], v5, off
.LBB111_449:
	s_and_b32 vcc_lo, exec_lo, s50
	s_cbranch_vccz .LBB111_459
; %bb.450:
	s_wait_xcnt 0x0
	s_delay_alu instid0(VALU_DEP_2) | instskip(SKIP_1) | instid1(VALU_DEP_1)
	v_cvt_f32_f64_e32 v2, v[0:1]
	s_mov_b32 s50, exec_lo
                                        ; implicit-def: $vgpr3
	v_and_b32_e32 v5, 0x7fffffff, v2
	s_delay_alu instid0(VALU_DEP_1)
	v_cmpx_gt_u32_e32 0x43f00000, v5
	s_xor_b32 s50, exec_lo, s50
	s_cbranch_execz .LBB111_456
; %bb.451:
	s_mov_b32 s51, exec_lo
                                        ; implicit-def: $vgpr3
	v_cmpx_lt_u32_e32 0x3c7fffff, v5
	s_xor_b32 s51, exec_lo, s51
; %bb.452:
	v_bfe_u32 v3, v2, 20, 1
	s_delay_alu instid0(VALU_DEP_1) | instskip(NEXT) | instid1(VALU_DEP_1)
	v_add3_u32 v3, v2, v3, 0x407ffff
	v_and_b32_e32 v5, 0xff00000, v3
	v_lshrrev_b32_e32 v3, 20, v3
	s_delay_alu instid0(VALU_DEP_2) | instskip(NEXT) | instid1(VALU_DEP_2)
	v_cmp_ne_u32_e32 vcc_lo, 0x7f00000, v5
	v_cndmask_b32_e32 v3, 0x7e, v3, vcc_lo
; %bb.453:
	s_and_not1_saveexec_b32 s51, s51
; %bb.454:
	v_add_f32_e64 v3, 0x46800000, |v2|
; %bb.455:
	s_or_b32 exec_lo, exec_lo, s51
                                        ; implicit-def: $vgpr5
.LBB111_456:
	s_and_not1_saveexec_b32 s50, s50
; %bb.457:
	v_mov_b32_e32 v3, 0x7f
	v_cmp_lt_u32_e32 vcc_lo, 0x7f800000, v5
	s_delay_alu instid0(VALU_DEP_2)
	v_cndmask_b32_e32 v3, 0x7e, v3, vcc_lo
; %bb.458:
	s_or_b32 exec_lo, exec_lo, s50
	v_lshrrev_b32_e32 v2, 24, v2
	s_delay_alu instid0(VALU_DEP_1)
	v_and_or_b32 v2, 0x80, v2, v3
	global_store_b8 v[6:7], v2, off
.LBB111_459:
	s_mov_b32 s50, 0
.LBB111_460:
	s_delay_alu instid0(SALU_CYCLE_1)
	s_and_not1_b32 vcc_lo, exec_lo, s50
	s_cbranch_vccnz .LBB111_470
; %bb.461:
	s_wait_xcnt 0x0
	s_delay_alu instid0(VALU_DEP_2) | instskip(SKIP_1) | instid1(VALU_DEP_1)
	v_cvt_f32_f64_e32 v2, v[0:1]
	s_mov_b32 s50, exec_lo
                                        ; implicit-def: $vgpr3
	v_and_b32_e32 v5, 0x7fffffff, v2
	s_delay_alu instid0(VALU_DEP_1)
	v_cmpx_gt_u32_e32 0x47800000, v5
	s_xor_b32 s50, exec_lo, s50
	s_cbranch_execz .LBB111_467
; %bb.462:
	s_mov_b32 s51, exec_lo
                                        ; implicit-def: $vgpr3
	v_cmpx_lt_u32_e32 0x387fffff, v5
	s_xor_b32 s51, exec_lo, s51
; %bb.463:
	v_bfe_u32 v3, v2, 21, 1
	s_delay_alu instid0(VALU_DEP_1) | instskip(NEXT) | instid1(VALU_DEP_1)
	v_add3_u32 v3, v2, v3, 0x80fffff
	v_lshrrev_b32_e32 v3, 21, v3
; %bb.464:
	s_and_not1_saveexec_b32 s51, s51
; %bb.465:
	v_add_f32_e64 v3, 0x43000000, |v2|
; %bb.466:
	s_or_b32 exec_lo, exec_lo, s51
                                        ; implicit-def: $vgpr5
.LBB111_467:
	s_and_not1_saveexec_b32 s50, s50
; %bb.468:
	v_mov_b32_e32 v3, 0x7f
	v_cmp_lt_u32_e32 vcc_lo, 0x7f800000, v5
	s_delay_alu instid0(VALU_DEP_2)
	v_cndmask_b32_e32 v3, 0x7c, v3, vcc_lo
; %bb.469:
	s_or_b32 exec_lo, exec_lo, s50
	v_lshrrev_b32_e32 v2, 24, v2
	s_delay_alu instid0(VALU_DEP_1)
	v_and_or_b32 v2, 0x80, v2, v3
	global_store_b8 v[6:7], v2, off
.LBB111_470:
	s_mov_b32 s51, 0
	s_mov_b32 s50, -1
.LBB111_471:
	s_and_not1_b32 vcc_lo, exec_lo, s51
	s_cbranch_vccnz .LBB111_479
; %bb.472:
	s_cmp_gt_i32 s49, 14
	s_mov_b32 s51, -1
	s_cbranch_scc0 .LBB111_476
; %bb.473:
	s_cmp_eq_u32 s49, 15
	s_mov_b32 s0, -1
	s_cbranch_scc0 .LBB111_475
; %bb.474:
	s_wait_xcnt 0x0
	s_delay_alu instid0(VALU_DEP_2) | instskip(SKIP_2) | instid1(VALU_DEP_1)
	v_cvt_f32_f64_e32 v2, v[0:1]
	s_mov_b32 s50, -1
	s_mov_b32 s0, 0
	v_bfe_u32 v3, v2, 16, 1
	v_cmp_o_f32_e32 vcc_lo, v2, v2
	s_delay_alu instid0(VALU_DEP_2) | instskip(NEXT) | instid1(VALU_DEP_1)
	v_add3_u32 v3, v2, v3, 0x7fff
	v_lshrrev_b32_e32 v3, 16, v3
	s_delay_alu instid0(VALU_DEP_1)
	v_cndmask_b32_e32 v2, 0x7fc0, v3, vcc_lo
	global_store_b16 v[6:7], v2, off
.LBB111_475:
	s_mov_b32 s51, 0
.LBB111_476:
	s_delay_alu instid0(SALU_CYCLE_1)
	s_and_b32 vcc_lo, exec_lo, s51
	s_cbranch_vccz .LBB111_479
; %bb.477:
	s_cmp_eq_u32 s49, 11
	s_mov_b32 s0, -1
	s_cbranch_scc0 .LBB111_479
; %bb.478:
	s_delay_alu instid0(VALU_DEP_2)
	v_cmp_neq_f64_e32 vcc_lo, 0, v[0:1]
	s_mov_b32 s50, -1
	s_mov_b32 s0, 0
	s_wait_xcnt 0x0
	v_cndmask_b32_e64 v2, 0, 1, vcc_lo
	global_store_b8 v[6:7], v2, off
.LBB111_479:
	s_mov_b32 s49, 0
.LBB111_480:
	s_delay_alu instid0(SALU_CYCLE_1)
	s_and_b32 vcc_lo, exec_lo, s49
	s_cbranch_vccz .LBB111_519
; %bb.481:
	s_and_b32 s37, 0xffff, s37
	s_mov_b32 s49, -1
	s_cmp_lt_i32 s37, 5
	s_cbranch_scc1 .LBB111_502
; %bb.482:
	s_cmp_lt_i32 s37, 8
	s_cbranch_scc1 .LBB111_492
; %bb.483:
	;; [unrolled: 3-line block ×3, first 2 shown]
	s_cmp_gt_i32 s37, 9
	s_cbranch_scc0 .LBB111_486
; %bb.485:
	s_wait_xcnt 0x0
	v_mov_b32_e32 v2, 0
	s_mov_b32 s49, 0
	s_delay_alu instid0(VALU_DEP_1)
	v_mov_b32_e32 v3, v2
	global_store_b128 v[6:7], v[0:3], off
.LBB111_486:
	s_and_not1_b32 vcc_lo, exec_lo, s49
	s_cbranch_vccnz .LBB111_488
; %bb.487:
	s_wait_xcnt 0x0
	s_delay_alu instid0(VALU_DEP_2)
	v_cvt_f32_f64_e32 v2, v[0:1]
	v_mov_b32_e32 v3, 0
	global_store_b64 v[6:7], v[2:3], off
.LBB111_488:
	s_mov_b32 s49, 0
.LBB111_489:
	s_delay_alu instid0(SALU_CYCLE_1)
	s_and_not1_b32 vcc_lo, exec_lo, s49
	s_cbranch_vccnz .LBB111_491
; %bb.490:
	s_wait_xcnt 0x0
	s_delay_alu instid0(VALU_DEP_2) | instskip(SKIP_2) | instid1(VALU_DEP_3)
	v_and_or_b32 v2, 0x1ff, v1, v0
	v_lshrrev_b32_e32 v3, 8, v1
	v_bfe_u32 v5, v1, 20, 11
	v_cmp_ne_u32_e32 vcc_lo, 0, v2
	s_delay_alu instid0(VALU_DEP_2) | instskip(SKIP_2) | instid1(VALU_DEP_1)
	v_sub_nc_u32_e32 v8, 0x3f1, v5
	v_add_nc_u32_e32 v5, 0xfffffc10, v5
	v_cndmask_b32_e64 v2, 0, 1, vcc_lo
	v_and_or_b32 v2, 0xffe, v3, v2
	s_delay_alu instid0(VALU_DEP_4) | instskip(NEXT) | instid1(VALU_DEP_2)
	v_med3_i32 v3, v8, 0, 13
	v_or_b32_e32 v8, 0x1000, v2
	s_delay_alu instid0(VALU_DEP_1) | instskip(NEXT) | instid1(VALU_DEP_1)
	v_lshrrev_b32_e32 v9, v3, v8
	v_lshlrev_b32_e32 v3, v3, v9
	s_delay_alu instid0(VALU_DEP_1) | instskip(SKIP_3) | instid1(VALU_DEP_2)
	v_cmp_ne_u32_e32 vcc_lo, v3, v8
	v_lshl_or_b32 v8, v5, 12, v2
	v_cndmask_b32_e64 v3, 0, 1, vcc_lo
	v_cmp_gt_i32_e32 vcc_lo, 1, v5
	v_or_b32_e32 v3, v9, v3
	s_delay_alu instid0(VALU_DEP_1) | instskip(NEXT) | instid1(VALU_DEP_1)
	v_cndmask_b32_e32 v3, v8, v3, vcc_lo
	v_dual_lshrrev_b32 v3, 2, v3 :: v_dual_bitop2_b32 v8, 7, v3 bitop3:0x40
	s_delay_alu instid0(VALU_DEP_1) | instskip(SKIP_4) | instid1(VALU_DEP_2)
	v_cmp_lt_i32_e32 vcc_lo, 5, v8
	v_cndmask_b32_e64 v9, 0, 1, vcc_lo
	v_cmp_eq_u32_e32 vcc_lo, 3, v8
	v_cndmask_b32_e64 v8, 0, 1, vcc_lo
	v_cmp_ne_u32_e32 vcc_lo, 0, v2
	v_or_b32_e32 v8, v8, v9
	v_mov_b32_e32 v9, 0x7e00
	s_delay_alu instid0(VALU_DEP_1) | instskip(SKIP_1) | instid1(VALU_DEP_2)
	v_dual_cndmask_b32 v2, 0x7c00, v9 :: v_dual_add_nc_u32 v3, v3, v8
	v_cmp_gt_i32_e32 vcc_lo, 31, v5
	v_dual_cndmask_b32 v3, 0x7c00, v3 :: v_dual_lshrrev_b32 v8, 16, v1
	v_cmp_eq_u32_e32 vcc_lo, 0x40f, v5
	s_delay_alu instid0(VALU_DEP_2) | instskip(NEXT) | instid1(VALU_DEP_3)
	v_cndmask_b32_e32 v2, v3, v2, vcc_lo
	v_and_b32_e32 v3, 0x8000, v8
	s_delay_alu instid0(VALU_DEP_1)
	v_bitop3_b32 v2, v3, 0xffff, v2 bitop3:0xc8
	global_store_b32 v[6:7], v2, off
.LBB111_491:
	s_mov_b32 s49, 0
.LBB111_492:
	s_delay_alu instid0(SALU_CYCLE_1)
	s_and_not1_b32 vcc_lo, exec_lo, s49
	s_cbranch_vccnz .LBB111_501
; %bb.493:
	s_cmp_lt_i32 s37, 6
	s_mov_b32 s49, -1
	s_cbranch_scc1 .LBB111_499
; %bb.494:
	s_cmp_gt_i32 s37, 6
	s_cbranch_scc0 .LBB111_496
; %bb.495:
	s_mov_b32 s49, 0
	global_store_b64 v[6:7], v[0:1], off
.LBB111_496:
	s_and_not1_b32 vcc_lo, exec_lo, s49
	s_cbranch_vccnz .LBB111_498
; %bb.497:
	s_wait_xcnt 0x0
	s_delay_alu instid0(VALU_DEP_2)
	v_cvt_f32_f64_e32 v2, v[0:1]
	global_store_b32 v[6:7], v2, off
.LBB111_498:
	s_mov_b32 s49, 0
.LBB111_499:
	s_delay_alu instid0(SALU_CYCLE_1)
	s_and_not1_b32 vcc_lo, exec_lo, s49
	s_cbranch_vccnz .LBB111_501
; %bb.500:
	s_wait_xcnt 0x0
	s_delay_alu instid0(VALU_DEP_2) | instskip(SKIP_2) | instid1(VALU_DEP_3)
	v_and_or_b32 v2, 0x1ff, v1, v0
	v_lshrrev_b32_e32 v3, 8, v1
	v_bfe_u32 v5, v1, 20, 11
	v_cmp_ne_u32_e32 vcc_lo, 0, v2
	s_delay_alu instid0(VALU_DEP_2) | instskip(SKIP_2) | instid1(VALU_DEP_1)
	v_sub_nc_u32_e32 v8, 0x3f1, v5
	v_add_nc_u32_e32 v5, 0xfffffc10, v5
	v_cndmask_b32_e64 v2, 0, 1, vcc_lo
	v_and_or_b32 v2, 0xffe, v3, v2
	s_delay_alu instid0(VALU_DEP_4) | instskip(NEXT) | instid1(VALU_DEP_2)
	v_med3_i32 v3, v8, 0, 13
	v_or_b32_e32 v8, 0x1000, v2
	s_delay_alu instid0(VALU_DEP_1) | instskip(NEXT) | instid1(VALU_DEP_1)
	v_lshrrev_b32_e32 v9, v3, v8
	v_lshlrev_b32_e32 v3, v3, v9
	s_delay_alu instid0(VALU_DEP_1) | instskip(SKIP_3) | instid1(VALU_DEP_2)
	v_cmp_ne_u32_e32 vcc_lo, v3, v8
	v_lshl_or_b32 v8, v5, 12, v2
	v_cndmask_b32_e64 v3, 0, 1, vcc_lo
	v_cmp_gt_i32_e32 vcc_lo, 1, v5
	v_or_b32_e32 v3, v9, v3
	s_delay_alu instid0(VALU_DEP_1) | instskip(NEXT) | instid1(VALU_DEP_1)
	v_cndmask_b32_e32 v3, v8, v3, vcc_lo
	v_dual_lshrrev_b32 v3, 2, v3 :: v_dual_bitop2_b32 v8, 7, v3 bitop3:0x40
	s_delay_alu instid0(VALU_DEP_1) | instskip(SKIP_4) | instid1(VALU_DEP_2)
	v_cmp_lt_i32_e32 vcc_lo, 5, v8
	v_cndmask_b32_e64 v9, 0, 1, vcc_lo
	v_cmp_eq_u32_e32 vcc_lo, 3, v8
	v_cndmask_b32_e64 v8, 0, 1, vcc_lo
	v_cmp_ne_u32_e32 vcc_lo, 0, v2
	v_or_b32_e32 v8, v8, v9
	v_mov_b32_e32 v9, 0x7e00
	s_delay_alu instid0(VALU_DEP_1) | instskip(SKIP_1) | instid1(VALU_DEP_2)
	v_dual_cndmask_b32 v2, 0x7c00, v9 :: v_dual_add_nc_u32 v3, v3, v8
	v_cmp_gt_i32_e32 vcc_lo, 31, v5
	v_cndmask_b32_e32 v3, 0x7c00, v3, vcc_lo
	v_cmp_eq_u32_e32 vcc_lo, 0x40f, v5
	s_delay_alu instid0(VALU_DEP_2) | instskip(NEXT) | instid1(VALU_DEP_1)
	v_dual_cndmask_b32 v2, v3, v2 :: v_dual_lshrrev_b32 v3, 16, v1
	v_and_or_b32 v2, 0x8000, v3, v2
	global_store_b16 v[6:7], v2, off
.LBB111_501:
	s_mov_b32 s49, 0
.LBB111_502:
	s_delay_alu instid0(SALU_CYCLE_1)
	s_and_not1_b32 vcc_lo, exec_lo, s49
	s_cbranch_vccnz .LBB111_518
; %bb.503:
	s_cmp_lt_i32 s37, 2
	s_mov_b32 s49, -1
	s_cbranch_scc1 .LBB111_513
; %bb.504:
	s_cmp_lt_i32 s37, 3
	s_cbranch_scc1 .LBB111_510
; %bb.505:
	s_cmp_gt_i32 s37, 3
	s_cbranch_scc0 .LBB111_507
; %bb.506:
	s_wait_xcnt 0x0
	s_delay_alu instid0(VALU_DEP_2) | instskip(SKIP_1) | instid1(VALU_DEP_1)
	v_trunc_f64_e32 v[2:3], v[0:1]
	s_mov_b32 s49, 0
	v_ldexp_f64 v[8:9], v[2:3], 0xffffffe0
	s_delay_alu instid0(VALU_DEP_1) | instskip(NEXT) | instid1(VALU_DEP_1)
	v_floor_f64_e32 v[8:9], v[8:9]
	v_fmamk_f64 v[2:3], v[8:9], 0xc1f00000, v[2:3]
	v_cvt_i32_f64_e32 v9, v[8:9]
	s_delay_alu instid0(VALU_DEP_2)
	v_cvt_u32_f64_e32 v8, v[2:3]
	global_store_b64 v[6:7], v[8:9], off
.LBB111_507:
	s_and_not1_b32 vcc_lo, exec_lo, s49
	s_cbranch_vccnz .LBB111_509
; %bb.508:
	s_wait_xcnt 0x0
	s_delay_alu instid0(VALU_DEP_2)
	v_cvt_i32_f64_e32 v2, v[0:1]
	global_store_b32 v[6:7], v2, off
.LBB111_509:
	s_mov_b32 s49, 0
.LBB111_510:
	s_delay_alu instid0(SALU_CYCLE_1)
	s_and_not1_b32 vcc_lo, exec_lo, s49
	s_cbranch_vccnz .LBB111_512
; %bb.511:
	s_wait_xcnt 0x0
	s_delay_alu instid0(VALU_DEP_2)
	v_cvt_i32_f64_e32 v2, v[0:1]
	global_store_b16 v[6:7], v2, off
.LBB111_512:
	s_mov_b32 s49, 0
.LBB111_513:
	s_delay_alu instid0(SALU_CYCLE_1)
	s_and_not1_b32 vcc_lo, exec_lo, s49
	s_cbranch_vccnz .LBB111_518
; %bb.514:
	s_cmp_gt_i32 s37, 0
	s_mov_b32 s37, -1
	s_cbranch_scc0 .LBB111_516
; %bb.515:
	s_wait_xcnt 0x0
	s_delay_alu instid0(VALU_DEP_2)
	v_cvt_i32_f64_e32 v2, v[0:1]
	s_mov_b32 s37, 0
	global_store_b8 v[6:7], v2, off
.LBB111_516:
	s_and_not1_b32 vcc_lo, exec_lo, s37
	s_cbranch_vccnz .LBB111_518
; %bb.517:
	s_wait_xcnt 0x0
	s_delay_alu instid0(VALU_DEP_2) | instskip(NEXT) | instid1(VALU_DEP_1)
	v_trunc_f64_e32 v[0:1], v[0:1]
	v_ldexp_f64 v[2:3], v[0:1], 0xffffffe0
	s_delay_alu instid0(VALU_DEP_1) | instskip(NEXT) | instid1(VALU_DEP_1)
	v_floor_f64_e32 v[2:3], v[2:3]
	v_fmamk_f64 v[0:1], v[2:3], 0xc1f00000, v[0:1]
	s_delay_alu instid0(VALU_DEP_1)
	v_cvt_u32_f64_e32 v0, v[0:1]
	global_store_b8 v[6:7], v0, off
.LBB111_518:
	s_mov_b32 s50, -1
.LBB111_519:
	s_delay_alu instid0(SALU_CYCLE_1)
	s_and_not1_b32 vcc_lo, exec_lo, s50
	s_cbranch_vccnz .LBB111_521
; %bb.520:
	v_add_nc_u32_e32 v4, 0x80, v4
	s_mov_b32 s37, -1
	s_branch .LBB111_522
.LBB111_521:
	s_mov_b32 s37, 0
                                        ; implicit-def: $vgpr4
.LBB111_522:
	s_and_b32 s49, s0, exec_lo
	s_and_b32 s50, s36, exec_lo
	;; [unrolled: 1-line block ×4, first 2 shown]
	s_or_not1_b32 s35, s37, exec_lo
.LBB111_523:
	s_wait_xcnt 0x0
	s_or_b32 exec_lo, exec_lo, s53
	s_mov_b32 s36, 0
	s_mov_b32 s34, 0
                                        ; implicit-def: $sgpr0
                                        ; implicit-def: $vgpr10_vgpr11
                                        ; implicit-def: $vgpr2
                                        ; implicit-def: $vgpr0
                                        ; implicit-def: $vgpr8
                                        ; implicit-def: $vgpr6_vgpr7
	s_and_saveexec_b32 s53, s35
	s_cbranch_execz .LBB111_531
; %bb.524:
	s_mov_b32 s37, -1
	s_mov_b32 s54, s52
	s_mov_b32 s57, s51
	;; [unrolled: 1-line block ×4, first 2 shown]
	s_mov_b32 s58, exec_lo
	v_cmpx_gt_i32_e64 s47, v4
	s_cbranch_execz .LBB111_1057
; %bb.525:
	s_and_not1_b32 vcc_lo, exec_lo, s40
	s_cbranch_vccnz .LBB111_534
; %bb.526:
	s_and_not1_b32 vcc_lo, exec_lo, s48
	s_cbranch_vccnz .LBB111_535
; %bb.527:
	s_wait_loadcnt 0x0
	v_dual_mov_b32 v8, 0 :: v_dual_mov_b32 v1, v4
	v_dual_mov_b32 v0, 0 :: v_dual_mov_b32 v2, 0
	v_mov_b32_e32 v6, 0
	s_add_co_i32 s0, s46, 1
	s_mov_b64 s[34:35], 0xffffffffffffffe0
	s_and_b32 s0, s0, 30
	s_add_nc_u64 s[34:35], s[2:3], s[34:35]
	s_mov_b64 s[36:37], s[2:3]
.LBB111_528:                            ; =>This Inner Loop Header: Depth=1
	s_clause 0x1
	s_load_b128 s[68:71], s[36:37], 0x4
	s_load_b64 s[54:55], s[36:37], 0x14
	s_load_b256 s[60:67], s[34:35], 0xe4
	s_add_co_i32 s0, s0, -2
	s_wait_xcnt 0x0
	s_add_nc_u64 s[36:37], s[36:37], 24
	s_cmp_eq_u32 s0, 0
	s_add_nc_u64 s[34:35], s[34:35], 32
	s_wait_kmcnt 0x0
	v_mul_hi_u32 v3, s69, v1
	s_delay_alu instid0(VALU_DEP_1) | instskip(NEXT) | instid1(VALU_DEP_1)
	v_add_nc_u32_e32 v3, v1, v3
	v_lshrrev_b32_e32 v3, s70, v3
	s_delay_alu instid0(VALU_DEP_1) | instskip(SKIP_1) | instid1(VALU_DEP_1)
	v_mul_hi_u32 v5, s54, v3
	v_mul_lo_u32 v7, v3, s68
	v_dual_add_nc_u32 v5, v3, v5 :: v_dual_sub_nc_u32 v7, v1, v7
	s_delay_alu instid0(VALU_DEP_1) | instskip(NEXT) | instid1(VALU_DEP_2)
	v_lshrrev_b32_e32 v1, s55, v5
	v_mad_u32 v6, v7, s61, v6
	v_mad_u32 v2, v7, s60, v2
	;; [unrolled: 1-line block ×4, first 2 shown]
	v_mul_lo_u32 v5, v1, s71
	s_delay_alu instid0(VALU_DEP_1) | instskip(NEXT) | instid1(VALU_DEP_1)
	v_sub_nc_u32_e32 v3, v3, v5
	v_mad_u32 v6, v3, s65, v6
	v_mad_u32 v2, v3, s64, v2
	;; [unrolled: 1-line block ×4, first 2 shown]
	s_cbranch_scc0 .LBB111_528
; %bb.529:
	s_bitcmp1_b32 s46, 0
	s_cselect_b32 s0, -1, 0
	s_delay_alu instid0(SALU_CYCLE_1)
	s_and_b32 vcc_lo, exec_lo, s0
	s_cbranch_vccnz .LBB111_536
; %bb.530:
	s_load_b96 s[64:66], s[36:37], 0x4
	s_load_b128 s[60:63], s[34:35], 0xe4
	s_wait_kmcnt 0x0
	v_mul_hi_u32 v3, s65, v1
	s_delay_alu instid0(VALU_DEP_1) | instskip(NEXT) | instid1(VALU_DEP_1)
	v_add_nc_u32_e32 v3, v1, v3
	v_lshrrev_b32_e32 v3, s66, v3
	s_delay_alu instid0(VALU_DEP_1) | instskip(NEXT) | instid1(VALU_DEP_1)
	v_mul_lo_u32 v3, v3, s64
	v_sub_nc_u32_e32 v1, v1, v3
	s_delay_alu instid0(VALU_DEP_1)
	v_mad_u32 v2, v1, s60, v2
	v_mad_u32 v6, v1, s61, v6
	;; [unrolled: 1-line block ×4, first 2 shown]
	s_branch .LBB111_536
.LBB111_531:
	s_or_b32 exec_lo, exec_lo, s53
	s_mov_b32 s1, 0
	s_and_saveexec_b32 s6, s52
	s_cbranch_execnz .LBB111_1685
.LBB111_532:
	s_or_b32 exec_lo, exec_lo, s6
	s_and_saveexec_b32 s6, s29
	s_delay_alu instid0(SALU_CYCLE_1)
	s_xor_b32 s6, exec_lo, s6
	s_cbranch_execz .LBB111_1686
.LBB111_533:
	s_wait_loadcnt 0x0
	global_load_u8 v1, v[10:11], off
	v_mov_b32_e32 v6, 0
	s_or_b32 s34, s34, exec_lo
	s_wait_loadcnt 0x0
	v_cmp_ne_u16_e32 vcc_lo, 0, v1
	v_cndmask_b32_e64 v7, 0, 0x3ff00000, vcc_lo
	s_wait_xcnt 0x0
	s_or_b32 exec_lo, exec_lo, s6
	s_and_saveexec_b32 s6, s36
	s_cbranch_execz .LBB111_1732
	s_branch .LBB111_1687
.LBB111_534:
                                        ; implicit-def: $vgpr6
                                        ; implicit-def: $vgpr2
                                        ; implicit-def: $vgpr0
                                        ; implicit-def: $vgpr8
	s_branch .LBB111_537
.LBB111_535:
	s_wait_loadcnt 0x0
	v_dual_mov_b32 v6, 0 :: v_dual_mov_b32 v2, 0
	v_dual_mov_b32 v0, 0 :: v_dual_mov_b32 v8, 0
.LBB111_536:
	s_cbranch_execnz .LBB111_539
.LBB111_537:
	v_mov_b32_e32 v5, 0
	s_and_not1_b32 vcc_lo, exec_lo, s45
	s_delay_alu instid0(VALU_DEP_1) | instskip(NEXT) | instid1(VALU_DEP_1)
	v_mul_u64_e32 v[0:1], s[28:29], v[4:5]
	v_add_nc_u32_e32 v0, v4, v1
	s_wait_loadcnt 0x0
	s_delay_alu instid0(VALU_DEP_1) | instskip(NEXT) | instid1(VALU_DEP_1)
	v_lshrrev_b32_e32 v10, s26, v0
	v_mul_lo_u32 v0, v10, s24
	s_delay_alu instid0(VALU_DEP_1) | instskip(NEXT) | instid1(VALU_DEP_1)
	v_sub_nc_u32_e32 v1, v4, v0
	v_mul_lo_u32 v6, v1, s13
	v_mul_lo_u32 v2, v1, s12
	;; [unrolled: 1-line block ×4, first 2 shown]
	s_cbranch_vccnz .LBB111_539
; %bb.538:
	v_mov_b32_e32 v11, v5
	s_delay_alu instid0(VALU_DEP_1) | instskip(NEXT) | instid1(VALU_DEP_1)
	v_mul_u64_e32 v[12:13], s[30:31], v[10:11]
	v_add_nc_u32_e32 v1, v10, v13
	s_delay_alu instid0(VALU_DEP_1) | instskip(NEXT) | instid1(VALU_DEP_1)
	v_lshrrev_b32_e32 v1, s1, v1
	v_mul_lo_u32 v1, v1, s27
	s_delay_alu instid0(VALU_DEP_1) | instskip(NEXT) | instid1(VALU_DEP_1)
	v_sub_nc_u32_e32 v1, v10, v1
	v_mad_u32 v2, v1, s16, v2
	v_mad_u32 v6, v1, s17, v6
	;; [unrolled: 1-line block ×4, first 2 shown]
.LBB111_539:
	s_wait_loadcnt 0x0
	v_mov_b32_e32 v7, 0
	s_and_b32 s0, s44, 0xff
	s_delay_alu instid0(SALU_CYCLE_1) | instskip(NEXT) | instid1(VALU_DEP_1)
	s_cmp_lt_i32 s0, 11
	v_add_nc_u64_e32 v[10:11], s[6:7], v[6:7]
	s_cbranch_scc1 .LBB111_546
; %bb.540:
	s_and_b32 s35, 0xffff, s0
	s_delay_alu instid0(SALU_CYCLE_1)
	s_cmp_gt_i32 s35, 25
	s_cbranch_scc0 .LBB111_555
; %bb.541:
	s_cmp_gt_i32 s35, 28
	s_cbranch_scc0 .LBB111_557
; %bb.542:
	;; [unrolled: 3-line block ×4, first 2 shown]
	s_cmp_eq_u32 s35, 46
	s_mov_b32 s37, 0
	s_cbranch_scc0 .LBB111_563
; %bb.545:
	global_load_b32 v1, v[10:11], off
	s_mov_b32 s36, -1
	s_mov_b32 s34, 0
	s_wait_loadcnt 0x0
	v_lshlrev_b32_e32 v1, 16, v1
	s_delay_alu instid0(VALU_DEP_1)
	v_cvt_f64_f32_e32 v[6:7], v1
	s_branch .LBB111_565
.LBB111_546:
	s_mov_b32 s36, 0
	s_mov_b32 s34, s52
                                        ; implicit-def: $vgpr6_vgpr7
	s_cbranch_execnz .LBB111_631
.LBB111_547:
	s_and_not1_b32 vcc_lo, exec_lo, s36
	s_cbranch_vccnz .LBB111_679
.LBB111_548:
	v_mov_b32_e32 v9, 0
	s_and_b32 s0, s43, 0xff
	s_delay_alu instid0(SALU_CYCLE_1) | instskip(SKIP_1) | instid1(VALU_DEP_1)
	s_cmp_lt_i32 s0, 11
	s_wait_xcnt 0x0
	v_add_nc_u64_e32 v[10:11], s[8:9], v[8:9]
	s_cbranch_scc1 .LBB111_556
; %bb.549:
	s_and_b32 s36, 0xffff, s0
	s_delay_alu instid0(SALU_CYCLE_1)
	s_cmp_gt_i32 s36, 25
	s_cbranch_scc0 .LBB111_558
; %bb.550:
	s_cmp_gt_i32 s36, 28
	s_cbranch_scc0 .LBB111_560
; %bb.551:
	s_cmp_gt_i32 s36, 43
	s_cbranch_scc0 .LBB111_562
; %bb.552:
	s_cmp_gt_i32 s36, 45
	s_cbranch_scc0 .LBB111_568
; %bb.553:
	s_cmp_eq_u32 s36, 46
	s_mov_b32 s54, 0
	s_cbranch_scc0 .LBB111_682
; %bb.554:
	global_load_b32 v1, v[10:11], off
	s_mov_b32 s37, -1
	s_mov_b32 s35, 0
	s_wait_loadcnt 0x0
	v_lshlrev_b32_e32 v1, 16, v1
	s_delay_alu instid0(VALU_DEP_1)
	v_cvt_f64_f32_e32 v[8:9], v1
	s_branch .LBB111_684
.LBB111_555:
	s_mov_b32 s37, -1
	s_mov_b32 s36, 0
	s_mov_b32 s34, s52
                                        ; implicit-def: $vgpr6_vgpr7
	s_branch .LBB111_595
.LBB111_556:
	s_mov_b32 s36, -1
	s_mov_b32 s37, 0
	s_mov_b32 s35, s51
                                        ; implicit-def: $vgpr8_vgpr9
	s_branch .LBB111_749
.LBB111_557:
	s_mov_b32 s37, -1
	s_mov_b32 s36, 0
	s_mov_b32 s34, s52
                                        ; implicit-def: $vgpr6_vgpr7
	s_branch .LBB111_576
.LBB111_558:
	s_mov_b32 s54, -1
	s_mov_b32 s37, 0
	s_mov_b32 s35, s51
                                        ; implicit-def: $vgpr8_vgpr9
	s_branch .LBB111_713
.LBB111_559:
	s_mov_b32 s37, -1
	s_mov_b32 s36, 0
	s_mov_b32 s34, s52
                                        ; implicit-def: $vgpr6_vgpr7
	s_branch .LBB111_571
.LBB111_560:
	s_mov_b32 s54, -1
	s_mov_b32 s37, 0
	s_mov_b32 s35, s51
                                        ; implicit-def: $vgpr8_vgpr9
	s_branch .LBB111_694
.LBB111_561:
	s_mov_b32 s37, -1
	s_mov_b32 s36, 0
	s_mov_b32 s34, s52
	s_branch .LBB111_564
.LBB111_562:
	s_mov_b32 s54, -1
	s_mov_b32 s37, 0
	s_mov_b32 s35, s51
                                        ; implicit-def: $vgpr8_vgpr9
	s_branch .LBB111_689
.LBB111_563:
	s_mov_b32 s34, -1
	s_mov_b32 s36, 0
.LBB111_564:
                                        ; implicit-def: $vgpr6_vgpr7
.LBB111_565:
	s_and_b32 vcc_lo, exec_lo, s37
	s_cbranch_vccz .LBB111_570
; %bb.566:
	s_cmp_eq_u32 s35, 44
	s_cbranch_scc0 .LBB111_569
; %bb.567:
	global_load_u8 v1, v[10:11], off
	s_mov_b32 s34, 0
	s_mov_b32 s36, -1
	s_wait_loadcnt 0x0
	v_lshlrev_b32_e32 v3, 23, v1
	v_cmp_ne_u32_e32 vcc_lo, 0xff, v1
	s_delay_alu instid0(VALU_DEP_2) | instskip(NEXT) | instid1(VALU_DEP_1)
	v_cvt_f64_f32_e32 v[6:7], v3
	v_cndmask_b32_e32 v3, 0x20000000, v6, vcc_lo
	s_delay_alu instid0(VALU_DEP_2) | instskip(SKIP_1) | instid1(VALU_DEP_2)
	v_cndmask_b32_e32 v5, 0x7ff80000, v7, vcc_lo
	v_cmp_ne_u32_e32 vcc_lo, 0, v1
	v_cndmask_b32_e32 v7, 0x38000000, v5, vcc_lo
	s_delay_alu instid0(VALU_DEP_4)
	v_cndmask_b32_e32 v6, 0, v3, vcc_lo
	s_branch .LBB111_570
.LBB111_568:
	s_mov_b32 s54, -1
	s_mov_b32 s37, 0
	s_mov_b32 s35, s51
	s_branch .LBB111_683
.LBB111_569:
	s_mov_b32 s34, -1
                                        ; implicit-def: $vgpr6_vgpr7
.LBB111_570:
	s_mov_b32 s37, 0
.LBB111_571:
	s_delay_alu instid0(SALU_CYCLE_1)
	s_and_b32 vcc_lo, exec_lo, s37
	s_cbranch_vccz .LBB111_575
; %bb.572:
	s_cmp_eq_u32 s35, 29
	s_cbranch_scc0 .LBB111_574
; %bb.573:
	global_load_b64 v[6:7], v[10:11], off
	s_mov_b32 s36, -1
	s_mov_b32 s34, 0
	s_mov_b32 s37, 0
	s_wait_loadcnt 0x0
	v_cvt_f64_u32_e32 v[12:13], v7
	v_cvt_f64_u32_e32 v[6:7], v6
	s_delay_alu instid0(VALU_DEP_2) | instskip(NEXT) | instid1(VALU_DEP_1)
	v_ldexp_f64 v[12:13], v[12:13], 32
	v_add_f64_e32 v[6:7], v[12:13], v[6:7]
	s_branch .LBB111_576
.LBB111_574:
	s_mov_b32 s34, -1
                                        ; implicit-def: $vgpr6_vgpr7
.LBB111_575:
	s_mov_b32 s37, 0
.LBB111_576:
	s_delay_alu instid0(SALU_CYCLE_1)
	s_and_b32 vcc_lo, exec_lo, s37
	s_cbranch_vccz .LBB111_594
; %bb.577:
	s_cmp_lt_i32 s35, 27
	s_cbranch_scc1 .LBB111_580
; %bb.578:
	s_cmp_gt_i32 s35, 27
	s_cbranch_scc0 .LBB111_581
; %bb.579:
	global_load_b32 v1, v[10:11], off
	s_mov_b32 s36, 0
	s_wait_loadcnt 0x0
	v_cvt_f64_u32_e32 v[6:7], v1
	s_branch .LBB111_582
.LBB111_580:
	s_mov_b32 s36, -1
                                        ; implicit-def: $vgpr6_vgpr7
	s_branch .LBB111_585
.LBB111_581:
	s_mov_b32 s36, -1
                                        ; implicit-def: $vgpr6_vgpr7
.LBB111_582:
	s_delay_alu instid0(SALU_CYCLE_1)
	s_and_not1_b32 vcc_lo, exec_lo, s36
	s_cbranch_vccnz .LBB111_584
; %bb.583:
	global_load_u16 v1, v[10:11], off
	s_wait_loadcnt 0x0
	v_cvt_f64_u32_e32 v[6:7], v1
.LBB111_584:
	s_mov_b32 s36, 0
.LBB111_585:
	s_delay_alu instid0(SALU_CYCLE_1)
	s_and_not1_b32 vcc_lo, exec_lo, s36
	s_cbranch_vccnz .LBB111_593
; %bb.586:
	global_load_u8 v1, v[10:11], off
	s_mov_b32 s36, 0
	s_mov_b32 s37, exec_lo
	s_wait_loadcnt 0x0
	v_cmpx_lt_i16_e32 0x7f, v1
	s_xor_b32 s37, exec_lo, s37
	s_cbranch_execz .LBB111_607
; %bb.587:
	s_mov_b32 s36, -1
	s_mov_b32 s54, exec_lo
	v_cmpx_eq_u16_e32 0x80, v1
; %bb.588:
	s_xor_b32 s36, exec_lo, -1
; %bb.589:
	s_or_b32 exec_lo, exec_lo, s54
	s_delay_alu instid0(SALU_CYCLE_1)
	s_and_b32 s36, s36, exec_lo
	s_or_saveexec_b32 s37, s37
	v_mov_b64_e32 v[6:7], 0x7ff8000020000000
	s_xor_b32 exec_lo, exec_lo, s37
	s_cbranch_execnz .LBB111_608
.LBB111_590:
	s_or_b32 exec_lo, exec_lo, s37
	s_and_saveexec_b32 s37, s36
	s_cbranch_execz .LBB111_592
.LBB111_591:
	v_and_b32_e32 v3, 0xffff, v1
	s_delay_alu instid0(VALU_DEP_1) | instskip(SKIP_1) | instid1(VALU_DEP_2)
	v_and_b32_e32 v5, 7, v3
	v_bfe_u32 v9, v3, 3, 4
	v_clz_i32_u32_e32 v6, v5
	s_delay_alu instid0(VALU_DEP_2) | instskip(NEXT) | instid1(VALU_DEP_2)
	v_cmp_eq_u32_e32 vcc_lo, 0, v9
	v_min_u32_e32 v6, 32, v6
	s_delay_alu instid0(VALU_DEP_1) | instskip(NEXT) | instid1(VALU_DEP_1)
	v_subrev_nc_u32_e32 v7, 28, v6
	v_dual_lshlrev_b32 v3, v7, v3 :: v_dual_sub_nc_u32 v6, 29, v6
	s_delay_alu instid0(VALU_DEP_1) | instskip(NEXT) | instid1(VALU_DEP_2)
	v_dual_lshlrev_b32 v1, 24, v1 :: v_dual_bitop2_b32 v3, 7, v3 bitop3:0x40
	v_cndmask_b32_e32 v6, v9, v6, vcc_lo
	s_delay_alu instid0(VALU_DEP_2) | instskip(NEXT) | instid1(VALU_DEP_3)
	v_cndmask_b32_e32 v3, v5, v3, vcc_lo
	v_and_b32_e32 v1, 0x80000000, v1
	s_delay_alu instid0(VALU_DEP_3) | instskip(NEXT) | instid1(VALU_DEP_3)
	v_lshl_add_u32 v5, v6, 23, 0x3b800000
	v_lshlrev_b32_e32 v3, 20, v3
	s_delay_alu instid0(VALU_DEP_1) | instskip(NEXT) | instid1(VALU_DEP_1)
	v_or3_b32 v1, v1, v5, v3
	v_cvt_f64_f32_e32 v[6:7], v1
.LBB111_592:
	s_or_b32 exec_lo, exec_lo, s37
.LBB111_593:
	s_mov_b32 s36, -1
.LBB111_594:
	s_mov_b32 s37, 0
.LBB111_595:
	s_delay_alu instid0(SALU_CYCLE_1)
	s_and_b32 vcc_lo, exec_lo, s37
	s_cbranch_vccz .LBB111_630
; %bb.596:
	s_cmp_gt_i32 s35, 22
	s_cbranch_scc0 .LBB111_606
; %bb.597:
	s_cmp_lt_i32 s35, 24
	s_cbranch_scc1 .LBB111_609
; %bb.598:
	s_cmp_gt_i32 s35, 24
	s_cbranch_scc0 .LBB111_610
; %bb.599:
	global_load_u8 v1, v[10:11], off
	s_mov_b32 s36, 0
	s_mov_b32 s37, exec_lo
	s_wait_loadcnt 0x0
	v_cmpx_lt_i16_e32 0x7f, v1
	s_xor_b32 s37, exec_lo, s37
	s_cbranch_execz .LBB111_622
; %bb.600:
	s_mov_b32 s36, -1
	s_mov_b32 s54, exec_lo
	v_cmpx_eq_u16_e32 0x80, v1
; %bb.601:
	s_xor_b32 s36, exec_lo, -1
; %bb.602:
	s_or_b32 exec_lo, exec_lo, s54
	s_delay_alu instid0(SALU_CYCLE_1)
	s_and_b32 s36, s36, exec_lo
	s_or_saveexec_b32 s37, s37
	v_mov_b64_e32 v[6:7], 0x7ff8000020000000
	s_xor_b32 exec_lo, exec_lo, s37
	s_cbranch_execnz .LBB111_623
.LBB111_603:
	s_or_b32 exec_lo, exec_lo, s37
	s_and_saveexec_b32 s37, s36
	s_cbranch_execz .LBB111_605
.LBB111_604:
	v_and_b32_e32 v3, 0xffff, v1
	s_delay_alu instid0(VALU_DEP_1) | instskip(SKIP_1) | instid1(VALU_DEP_2)
	v_and_b32_e32 v5, 3, v3
	v_bfe_u32 v9, v3, 2, 5
	v_clz_i32_u32_e32 v6, v5
	s_delay_alu instid0(VALU_DEP_2) | instskip(NEXT) | instid1(VALU_DEP_2)
	v_cmp_eq_u32_e32 vcc_lo, 0, v9
	v_min_u32_e32 v6, 32, v6
	s_delay_alu instid0(VALU_DEP_1) | instskip(NEXT) | instid1(VALU_DEP_1)
	v_subrev_nc_u32_e32 v7, 29, v6
	v_dual_lshlrev_b32 v3, v7, v3 :: v_dual_sub_nc_u32 v6, 30, v6
	s_delay_alu instid0(VALU_DEP_1) | instskip(NEXT) | instid1(VALU_DEP_2)
	v_dual_lshlrev_b32 v1, 24, v1 :: v_dual_bitop2_b32 v3, 3, v3 bitop3:0x40
	v_cndmask_b32_e32 v6, v9, v6, vcc_lo
	s_delay_alu instid0(VALU_DEP_2) | instskip(NEXT) | instid1(VALU_DEP_3)
	v_cndmask_b32_e32 v3, v5, v3, vcc_lo
	v_and_b32_e32 v1, 0x80000000, v1
	s_delay_alu instid0(VALU_DEP_3) | instskip(NEXT) | instid1(VALU_DEP_3)
	v_lshl_add_u32 v5, v6, 23, 0x37800000
	v_lshlrev_b32_e32 v3, 21, v3
	s_delay_alu instid0(VALU_DEP_1) | instskip(NEXT) | instid1(VALU_DEP_1)
	v_or3_b32 v1, v1, v5, v3
	v_cvt_f64_f32_e32 v[6:7], v1
.LBB111_605:
	s_or_b32 exec_lo, exec_lo, s37
	s_mov_b32 s36, 0
	s_branch .LBB111_611
.LBB111_606:
	s_mov_b32 s37, -1
                                        ; implicit-def: $vgpr6_vgpr7
	s_branch .LBB111_617
.LBB111_607:
	s_or_saveexec_b32 s37, s37
	v_mov_b64_e32 v[6:7], 0x7ff8000020000000
	s_xor_b32 exec_lo, exec_lo, s37
	s_cbranch_execz .LBB111_590
.LBB111_608:
	v_cmp_ne_u16_e32 vcc_lo, 0, v1
	v_mov_b64_e32 v[6:7], 0
	s_and_not1_b32 s36, s36, exec_lo
	s_and_b32 s54, vcc_lo, exec_lo
	s_delay_alu instid0(SALU_CYCLE_1)
	s_or_b32 s36, s36, s54
	s_or_b32 exec_lo, exec_lo, s37
	s_and_saveexec_b32 s37, s36
	s_cbranch_execnz .LBB111_591
	s_branch .LBB111_592
.LBB111_609:
	s_mov_b32 s36, -1
                                        ; implicit-def: $vgpr6_vgpr7
	s_branch .LBB111_614
.LBB111_610:
	s_mov_b32 s36, -1
                                        ; implicit-def: $vgpr6_vgpr7
.LBB111_611:
	s_delay_alu instid0(SALU_CYCLE_1)
	s_and_b32 vcc_lo, exec_lo, s36
	s_cbranch_vccz .LBB111_613
; %bb.612:
	global_load_u8 v1, v[10:11], off
	s_wait_loadcnt 0x0
	v_lshlrev_b32_e32 v1, 24, v1
	s_delay_alu instid0(VALU_DEP_1) | instskip(NEXT) | instid1(VALU_DEP_1)
	v_and_b32_e32 v3, 0x7f000000, v1
	v_clz_i32_u32_e32 v5, v3
	v_add_nc_u32_e32 v7, 0x1000000, v3
	v_cmp_ne_u32_e32 vcc_lo, 0, v3
	s_delay_alu instid0(VALU_DEP_3) | instskip(NEXT) | instid1(VALU_DEP_1)
	v_min_u32_e32 v5, 32, v5
	v_sub_nc_u32_e64 v5, v5, 4 clamp
	s_delay_alu instid0(VALU_DEP_1) | instskip(NEXT) | instid1(VALU_DEP_1)
	v_dual_lshlrev_b32 v6, v5, v3 :: v_dual_lshlrev_b32 v5, 23, v5
	v_lshrrev_b32_e32 v6, 4, v6
	s_delay_alu instid0(VALU_DEP_1) | instskip(NEXT) | instid1(VALU_DEP_1)
	v_dual_sub_nc_u32 v5, v6, v5 :: v_dual_ashrrev_i32 v6, 8, v7
	v_add_nc_u32_e32 v5, 0x3c000000, v5
	s_delay_alu instid0(VALU_DEP_1) | instskip(NEXT) | instid1(VALU_DEP_1)
	v_and_or_b32 v5, 0x7f800000, v6, v5
	v_cndmask_b32_e32 v3, 0, v5, vcc_lo
	s_delay_alu instid0(VALU_DEP_1) | instskip(NEXT) | instid1(VALU_DEP_1)
	v_and_or_b32 v1, 0x80000000, v1, v3
	v_cvt_f64_f32_e32 v[6:7], v1
.LBB111_613:
	s_mov_b32 s36, 0
.LBB111_614:
	s_delay_alu instid0(SALU_CYCLE_1)
	s_and_not1_b32 vcc_lo, exec_lo, s36
	s_cbranch_vccnz .LBB111_616
; %bb.615:
	global_load_u8 v1, v[10:11], off
	s_wait_loadcnt 0x0
	v_lshlrev_b32_e32 v3, 25, v1
	v_lshlrev_b16 v1, 8, v1
	s_delay_alu instid0(VALU_DEP_1) | instskip(SKIP_1) | instid1(VALU_DEP_2)
	v_and_or_b32 v6, 0x7f00, v1, 0.5
	v_bfe_i32 v1, v1, 0, 16
	v_dual_add_f32 v6, -0.5, v6 :: v_dual_lshrrev_b32 v5, 4, v3
	v_cmp_gt_u32_e32 vcc_lo, 0x8000000, v3
	s_delay_alu instid0(VALU_DEP_2) | instskip(NEXT) | instid1(VALU_DEP_1)
	v_or_b32_e32 v5, 0x70000000, v5
	v_mul_f32_e32 v5, 0x7800000, v5
	s_delay_alu instid0(VALU_DEP_1) | instskip(NEXT) | instid1(VALU_DEP_1)
	v_cndmask_b32_e32 v3, v5, v6, vcc_lo
	v_and_or_b32 v1, 0x80000000, v1, v3
	s_delay_alu instid0(VALU_DEP_1)
	v_cvt_f64_f32_e32 v[6:7], v1
.LBB111_616:
	s_mov_b32 s37, 0
	s_mov_b32 s36, -1
.LBB111_617:
	s_and_not1_b32 vcc_lo, exec_lo, s37
	s_cbranch_vccnz .LBB111_630
; %bb.618:
	s_cmp_gt_i32 s35, 14
	s_cbranch_scc0 .LBB111_621
; %bb.619:
	s_cmp_eq_u32 s35, 15
	s_cbranch_scc0 .LBB111_624
; %bb.620:
	global_load_u16 v1, v[10:11], off
	s_mov_b32 s36, -1
	s_mov_b32 s34, 0
	s_wait_loadcnt 0x0
	v_lshlrev_b32_e32 v1, 16, v1
	s_delay_alu instid0(VALU_DEP_1)
	v_cvt_f64_f32_e32 v[6:7], v1
	s_branch .LBB111_625
.LBB111_621:
	s_mov_b32 s37, -1
                                        ; implicit-def: $vgpr6_vgpr7
	s_branch .LBB111_626
.LBB111_622:
	s_or_saveexec_b32 s37, s37
	v_mov_b64_e32 v[6:7], 0x7ff8000020000000
	s_xor_b32 exec_lo, exec_lo, s37
	s_cbranch_execz .LBB111_603
.LBB111_623:
	v_cmp_ne_u16_e32 vcc_lo, 0, v1
	v_mov_b64_e32 v[6:7], 0
	s_and_not1_b32 s36, s36, exec_lo
	s_and_b32 s54, vcc_lo, exec_lo
	s_delay_alu instid0(SALU_CYCLE_1)
	s_or_b32 s36, s36, s54
	s_or_b32 exec_lo, exec_lo, s37
	s_and_saveexec_b32 s37, s36
	s_cbranch_execnz .LBB111_604
	s_branch .LBB111_605
.LBB111_624:
	s_mov_b32 s34, -1
                                        ; implicit-def: $vgpr6_vgpr7
.LBB111_625:
	s_mov_b32 s37, 0
.LBB111_626:
	s_delay_alu instid0(SALU_CYCLE_1)
	s_and_b32 vcc_lo, exec_lo, s37
	s_cbranch_vccz .LBB111_630
; %bb.627:
	s_cmp_eq_u32 s35, 11
	s_cbranch_scc0 .LBB111_629
; %bb.628:
	global_load_u8 v1, v[10:11], off
	v_mov_b32_e32 v6, 0
	s_mov_b32 s34, 0
	s_mov_b32 s36, -1
	s_wait_loadcnt 0x0
	v_cmp_ne_u16_e32 vcc_lo, 0, v1
	v_cndmask_b32_e64 v7, 0, 0x3ff00000, vcc_lo
	s_branch .LBB111_630
.LBB111_629:
	s_mov_b32 s34, -1
                                        ; implicit-def: $vgpr6_vgpr7
.LBB111_630:
	s_branch .LBB111_547
.LBB111_631:
	s_and_b32 s0, 0xffff, s0
	s_delay_alu instid0(SALU_CYCLE_1)
	s_cmp_lt_i32 s0, 5
	s_cbranch_scc1 .LBB111_636
; %bb.632:
	s_cmp_lt_i32 s0, 8
	s_cbranch_scc1 .LBB111_637
; %bb.633:
	;; [unrolled: 3-line block ×3, first 2 shown]
	s_cmp_gt_i32 s0, 9
	s_cbranch_scc0 .LBB111_639
; %bb.635:
	global_load_b64 v[6:7], v[10:11], off
	s_mov_b32 s35, 0
	s_branch .LBB111_640
.LBB111_636:
	s_mov_b32 s35, -1
                                        ; implicit-def: $vgpr6_vgpr7
	s_branch .LBB111_658
.LBB111_637:
	s_mov_b32 s35, -1
                                        ; implicit-def: $vgpr6_vgpr7
	s_branch .LBB111_646
.LBB111_638:
	s_mov_b32 s35, -1
                                        ; implicit-def: $vgpr6_vgpr7
	s_branch .LBB111_643
.LBB111_639:
	s_mov_b32 s35, -1
                                        ; implicit-def: $vgpr6_vgpr7
.LBB111_640:
	s_delay_alu instid0(SALU_CYCLE_1)
	s_and_not1_b32 vcc_lo, exec_lo, s35
	s_cbranch_vccnz .LBB111_642
; %bb.641:
	global_load_b32 v1, v[10:11], off
	s_wait_loadcnt 0x0
	v_cvt_f64_f32_e32 v[6:7], v1
.LBB111_642:
	s_mov_b32 s35, 0
.LBB111_643:
	s_delay_alu instid0(SALU_CYCLE_1)
	s_and_not1_b32 vcc_lo, exec_lo, s35
	s_cbranch_vccnz .LBB111_645
; %bb.644:
	global_load_b32 v1, v[10:11], off
	s_wait_loadcnt 0x0
	v_cvt_f32_f16_e32 v1, v1
	s_delay_alu instid0(VALU_DEP_1)
	v_cvt_f64_f32_e32 v[6:7], v1
.LBB111_645:
	s_mov_b32 s35, 0
.LBB111_646:
	s_delay_alu instid0(SALU_CYCLE_1)
	s_and_not1_b32 vcc_lo, exec_lo, s35
	s_cbranch_vccnz .LBB111_657
; %bb.647:
	s_cmp_lt_i32 s0, 6
	s_cbranch_scc1 .LBB111_650
; %bb.648:
	s_cmp_gt_i32 s0, 6
	s_cbranch_scc0 .LBB111_651
; %bb.649:
	s_wait_loadcnt 0x0
	global_load_b64 v[6:7], v[10:11], off
	s_mov_b32 s35, 0
	s_branch .LBB111_652
.LBB111_650:
	s_mov_b32 s35, -1
                                        ; implicit-def: $vgpr6_vgpr7
	s_branch .LBB111_655
.LBB111_651:
	s_mov_b32 s35, -1
                                        ; implicit-def: $vgpr6_vgpr7
.LBB111_652:
	s_delay_alu instid0(SALU_CYCLE_1)
	s_and_not1_b32 vcc_lo, exec_lo, s35
	s_cbranch_vccnz .LBB111_654
; %bb.653:
	global_load_b32 v1, v[10:11], off
	s_wait_loadcnt 0x0
	v_cvt_f64_f32_e32 v[6:7], v1
.LBB111_654:
	s_mov_b32 s35, 0
.LBB111_655:
	s_delay_alu instid0(SALU_CYCLE_1)
	s_and_not1_b32 vcc_lo, exec_lo, s35
	s_cbranch_vccnz .LBB111_657
; %bb.656:
	global_load_u16 v1, v[10:11], off
	s_wait_loadcnt 0x0
	v_cvt_f32_f16_e32 v1, v1
	s_delay_alu instid0(VALU_DEP_1)
	v_cvt_f64_f32_e32 v[6:7], v1
.LBB111_657:
	s_mov_b32 s35, 0
.LBB111_658:
	s_delay_alu instid0(SALU_CYCLE_1)
	s_and_not1_b32 vcc_lo, exec_lo, s35
	s_cbranch_vccnz .LBB111_678
; %bb.659:
	s_cmp_lt_i32 s0, 2
	s_cbranch_scc1 .LBB111_663
; %bb.660:
	s_cmp_lt_i32 s0, 3
	s_cbranch_scc1 .LBB111_664
; %bb.661:
	s_cmp_gt_i32 s0, 3
	s_cbranch_scc0 .LBB111_665
; %bb.662:
	s_wait_loadcnt 0x0
	global_load_b64 v[6:7], v[10:11], off
	s_mov_b32 s35, 0
	s_wait_loadcnt 0x0
	v_cvt_f64_i32_e32 v[12:13], v7
	v_cvt_f64_u32_e32 v[6:7], v6
	s_delay_alu instid0(VALU_DEP_2) | instskip(NEXT) | instid1(VALU_DEP_1)
	v_ldexp_f64 v[12:13], v[12:13], 32
	v_add_f64_e32 v[6:7], v[12:13], v[6:7]
	s_branch .LBB111_666
.LBB111_663:
	s_mov_b32 s35, -1
                                        ; implicit-def: $vgpr6_vgpr7
	s_branch .LBB111_672
.LBB111_664:
	s_mov_b32 s35, -1
                                        ; implicit-def: $vgpr6_vgpr7
	s_branch .LBB111_669
.LBB111_665:
	s_mov_b32 s35, -1
                                        ; implicit-def: $vgpr6_vgpr7
.LBB111_666:
	s_delay_alu instid0(SALU_CYCLE_1)
	s_and_not1_b32 vcc_lo, exec_lo, s35
	s_cbranch_vccnz .LBB111_668
; %bb.667:
	global_load_b32 v1, v[10:11], off
	s_wait_loadcnt 0x0
	v_cvt_f64_i32_e32 v[6:7], v1
.LBB111_668:
	s_mov_b32 s35, 0
.LBB111_669:
	s_delay_alu instid0(SALU_CYCLE_1)
	s_and_not1_b32 vcc_lo, exec_lo, s35
	s_cbranch_vccnz .LBB111_671
; %bb.670:
	global_load_i16 v1, v[10:11], off
	s_wait_loadcnt 0x0
	v_cvt_f64_i32_e32 v[6:7], v1
.LBB111_671:
	s_mov_b32 s35, 0
.LBB111_672:
	s_delay_alu instid0(SALU_CYCLE_1)
	s_and_not1_b32 vcc_lo, exec_lo, s35
	s_cbranch_vccnz .LBB111_678
; %bb.673:
	s_cmp_gt_i32 s0, 0
	s_mov_b32 s0, 0
	s_cbranch_scc0 .LBB111_675
; %bb.674:
	global_load_i8 v1, v[10:11], off
	s_wait_loadcnt 0x0
	v_cvt_f64_i32_e32 v[6:7], v1
	s_branch .LBB111_676
.LBB111_675:
	s_mov_b32 s0, -1
                                        ; implicit-def: $vgpr6_vgpr7
.LBB111_676:
	s_delay_alu instid0(SALU_CYCLE_1)
	s_and_not1_b32 vcc_lo, exec_lo, s0
	s_cbranch_vccnz .LBB111_678
; %bb.677:
	global_load_u8 v1, v[10:11], off
	s_wait_loadcnt 0x0
	v_cvt_f64_u32_e32 v[6:7], v1
.LBB111_678:
	s_branch .LBB111_548
.LBB111_679:
	s_mov_b32 s37, 0
	s_mov_b32 s0, s49
	;; [unrolled: 1-line block ×4, first 2 shown]
	s_branch .LBB111_1055
.LBB111_680:
	s_and_not1_saveexec_b32 s52, s52
	s_cbranch_execz .LBB111_432
.LBB111_681:
	v_add_f32_e64 v3, 0x46000000, |v2|
	s_and_not1_b32 s51, s51, exec_lo
	s_delay_alu instid0(VALU_DEP_1) | instskip(NEXT) | instid1(VALU_DEP_1)
	v_and_b32_e32 v3, 0xff, v3
	v_cmp_ne_u32_e32 vcc_lo, 0, v3
	s_and_b32 s54, vcc_lo, exec_lo
	s_delay_alu instid0(SALU_CYCLE_1)
	s_or_b32 s51, s51, s54
	s_or_b32 exec_lo, exec_lo, s52
	v_mov_b32_e32 v5, 0
	s_and_saveexec_b32 s52, s51
	s_cbranch_execnz .LBB111_433
	s_branch .LBB111_434
.LBB111_682:
	s_mov_b32 s35, -1
	s_mov_b32 s37, 0
.LBB111_683:
                                        ; implicit-def: $vgpr8_vgpr9
.LBB111_684:
	s_and_b32 vcc_lo, exec_lo, s54
	s_cbranch_vccz .LBB111_688
; %bb.685:
	s_cmp_eq_u32 s36, 44
	s_cbranch_scc0 .LBB111_687
; %bb.686:
	global_load_u8 v1, v[10:11], off
	s_mov_b32 s35, 0
	s_mov_b32 s37, -1
	s_wait_loadcnt 0x0
	v_lshlrev_b32_e32 v3, 23, v1
	v_cmp_ne_u32_e32 vcc_lo, 0xff, v1
	s_delay_alu instid0(VALU_DEP_2) | instskip(NEXT) | instid1(VALU_DEP_1)
	v_cvt_f64_f32_e32 v[8:9], v3
	v_cndmask_b32_e32 v3, 0x20000000, v8, vcc_lo
	s_delay_alu instid0(VALU_DEP_2) | instskip(SKIP_1) | instid1(VALU_DEP_2)
	v_cndmask_b32_e32 v5, 0x7ff80000, v9, vcc_lo
	v_cmp_ne_u32_e32 vcc_lo, 0, v1
	v_cndmask_b32_e32 v9, 0x38000000, v5, vcc_lo
	s_delay_alu instid0(VALU_DEP_4)
	v_cndmask_b32_e32 v8, 0, v3, vcc_lo
	s_branch .LBB111_688
.LBB111_687:
	s_mov_b32 s35, -1
                                        ; implicit-def: $vgpr8_vgpr9
.LBB111_688:
	s_mov_b32 s54, 0
.LBB111_689:
	s_delay_alu instid0(SALU_CYCLE_1)
	s_and_b32 vcc_lo, exec_lo, s54
	s_cbranch_vccz .LBB111_693
; %bb.690:
	s_cmp_eq_u32 s36, 29
	s_cbranch_scc0 .LBB111_692
; %bb.691:
	global_load_b64 v[8:9], v[10:11], off
	s_mov_b32 s37, -1
	s_mov_b32 s35, 0
	s_mov_b32 s54, 0
	s_wait_loadcnt 0x0
	v_cvt_f64_u32_e32 v[12:13], v9
	v_cvt_f64_u32_e32 v[8:9], v8
	s_delay_alu instid0(VALU_DEP_2) | instskip(NEXT) | instid1(VALU_DEP_1)
	v_ldexp_f64 v[12:13], v[12:13], 32
	v_add_f64_e32 v[8:9], v[12:13], v[8:9]
	s_branch .LBB111_694
.LBB111_692:
	s_mov_b32 s35, -1
                                        ; implicit-def: $vgpr8_vgpr9
.LBB111_693:
	s_mov_b32 s54, 0
.LBB111_694:
	s_delay_alu instid0(SALU_CYCLE_1)
	s_and_b32 vcc_lo, exec_lo, s54
	s_cbranch_vccz .LBB111_712
; %bb.695:
	s_cmp_lt_i32 s36, 27
	s_cbranch_scc1 .LBB111_698
; %bb.696:
	s_cmp_gt_i32 s36, 27
	s_cbranch_scc0 .LBB111_699
; %bb.697:
	global_load_b32 v1, v[10:11], off
	s_mov_b32 s37, 0
	s_wait_loadcnt 0x0
	v_cvt_f64_u32_e32 v[8:9], v1
	s_branch .LBB111_700
.LBB111_698:
	s_mov_b32 s37, -1
                                        ; implicit-def: $vgpr8_vgpr9
	s_branch .LBB111_703
.LBB111_699:
	s_mov_b32 s37, -1
                                        ; implicit-def: $vgpr8_vgpr9
.LBB111_700:
	s_delay_alu instid0(SALU_CYCLE_1)
	s_and_not1_b32 vcc_lo, exec_lo, s37
	s_cbranch_vccnz .LBB111_702
; %bb.701:
	global_load_u16 v1, v[10:11], off
	s_wait_loadcnt 0x0
	v_cvt_f64_u32_e32 v[8:9], v1
.LBB111_702:
	s_mov_b32 s37, 0
.LBB111_703:
	s_delay_alu instid0(SALU_CYCLE_1)
	s_and_not1_b32 vcc_lo, exec_lo, s37
	s_cbranch_vccnz .LBB111_711
; %bb.704:
	global_load_u8 v1, v[10:11], off
	s_mov_b32 s37, 0
	s_mov_b32 s54, exec_lo
	s_wait_loadcnt 0x0
	v_cmpx_lt_i16_e32 0x7f, v1
	s_xor_b32 s54, exec_lo, s54
	s_cbranch_execz .LBB111_725
; %bb.705:
	s_mov_b32 s37, -1
	s_mov_b32 s55, exec_lo
	v_cmpx_eq_u16_e32 0x80, v1
; %bb.706:
	s_xor_b32 s37, exec_lo, -1
; %bb.707:
	s_or_b32 exec_lo, exec_lo, s55
	s_delay_alu instid0(SALU_CYCLE_1)
	s_and_b32 s37, s37, exec_lo
	s_or_saveexec_b32 s54, s54
	v_mov_b64_e32 v[8:9], 0x7ff8000020000000
	s_xor_b32 exec_lo, exec_lo, s54
	s_cbranch_execnz .LBB111_726
.LBB111_708:
	s_or_b32 exec_lo, exec_lo, s54
	s_and_saveexec_b32 s54, s37
	s_cbranch_execz .LBB111_710
.LBB111_709:
	v_and_b32_e32 v3, 0xffff, v1
	s_delay_alu instid0(VALU_DEP_1) | instskip(SKIP_1) | instid1(VALU_DEP_2)
	v_and_b32_e32 v5, 7, v3
	v_bfe_u32 v12, v3, 3, 4
	v_clz_i32_u32_e32 v8, v5
	s_delay_alu instid0(VALU_DEP_2) | instskip(NEXT) | instid1(VALU_DEP_2)
	v_cmp_eq_u32_e32 vcc_lo, 0, v12
	v_min_u32_e32 v8, 32, v8
	s_delay_alu instid0(VALU_DEP_1) | instskip(NEXT) | instid1(VALU_DEP_1)
	v_subrev_nc_u32_e32 v9, 28, v8
	v_dual_lshlrev_b32 v3, v9, v3 :: v_dual_sub_nc_u32 v8, 29, v8
	s_delay_alu instid0(VALU_DEP_1) | instskip(NEXT) | instid1(VALU_DEP_1)
	v_dual_lshlrev_b32 v1, 24, v1 :: v_dual_bitop2_b32 v3, 7, v3 bitop3:0x40
	v_dual_cndmask_b32 v8, v12, v8 :: v_dual_cndmask_b32 v3, v5, v3
	s_delay_alu instid0(VALU_DEP_2) | instskip(NEXT) | instid1(VALU_DEP_2)
	v_and_b32_e32 v1, 0x80000000, v1
	v_lshl_add_u32 v5, v8, 23, 0x3b800000
	s_delay_alu instid0(VALU_DEP_3) | instskip(NEXT) | instid1(VALU_DEP_1)
	v_lshlrev_b32_e32 v3, 20, v3
	v_or3_b32 v1, v1, v5, v3
	s_delay_alu instid0(VALU_DEP_1)
	v_cvt_f64_f32_e32 v[8:9], v1
.LBB111_710:
	s_or_b32 exec_lo, exec_lo, s54
.LBB111_711:
	s_mov_b32 s37, -1
.LBB111_712:
	s_mov_b32 s54, 0
.LBB111_713:
	s_delay_alu instid0(SALU_CYCLE_1)
	s_and_b32 vcc_lo, exec_lo, s54
	s_cbranch_vccz .LBB111_748
; %bb.714:
	s_cmp_gt_i32 s36, 22
	s_cbranch_scc0 .LBB111_724
; %bb.715:
	s_cmp_lt_i32 s36, 24
	s_cbranch_scc1 .LBB111_727
; %bb.716:
	s_cmp_gt_i32 s36, 24
	s_cbranch_scc0 .LBB111_728
; %bb.717:
	global_load_u8 v1, v[10:11], off
	s_mov_b32 s37, 0
	s_mov_b32 s54, exec_lo
	s_wait_loadcnt 0x0
	v_cmpx_lt_i16_e32 0x7f, v1
	s_xor_b32 s54, exec_lo, s54
	s_cbranch_execz .LBB111_740
; %bb.718:
	s_mov_b32 s37, -1
	s_mov_b32 s55, exec_lo
	v_cmpx_eq_u16_e32 0x80, v1
; %bb.719:
	s_xor_b32 s37, exec_lo, -1
; %bb.720:
	s_or_b32 exec_lo, exec_lo, s55
	s_delay_alu instid0(SALU_CYCLE_1)
	s_and_b32 s37, s37, exec_lo
	s_or_saveexec_b32 s54, s54
	v_mov_b64_e32 v[8:9], 0x7ff8000020000000
	s_xor_b32 exec_lo, exec_lo, s54
	s_cbranch_execnz .LBB111_741
.LBB111_721:
	s_or_b32 exec_lo, exec_lo, s54
	s_and_saveexec_b32 s54, s37
	s_cbranch_execz .LBB111_723
.LBB111_722:
	v_and_b32_e32 v3, 0xffff, v1
	s_delay_alu instid0(VALU_DEP_1) | instskip(SKIP_1) | instid1(VALU_DEP_2)
	v_and_b32_e32 v5, 3, v3
	v_bfe_u32 v12, v3, 2, 5
	v_clz_i32_u32_e32 v8, v5
	s_delay_alu instid0(VALU_DEP_2) | instskip(NEXT) | instid1(VALU_DEP_2)
	v_cmp_eq_u32_e32 vcc_lo, 0, v12
	v_min_u32_e32 v8, 32, v8
	s_delay_alu instid0(VALU_DEP_1) | instskip(NEXT) | instid1(VALU_DEP_1)
	v_subrev_nc_u32_e32 v9, 29, v8
	v_dual_lshlrev_b32 v3, v9, v3 :: v_dual_sub_nc_u32 v8, 30, v8
	s_delay_alu instid0(VALU_DEP_1) | instskip(NEXT) | instid1(VALU_DEP_1)
	v_dual_lshlrev_b32 v1, 24, v1 :: v_dual_bitop2_b32 v3, 3, v3 bitop3:0x40
	v_dual_cndmask_b32 v8, v12, v8 :: v_dual_cndmask_b32 v3, v5, v3
	s_delay_alu instid0(VALU_DEP_2) | instskip(NEXT) | instid1(VALU_DEP_2)
	v_and_b32_e32 v1, 0x80000000, v1
	v_lshl_add_u32 v5, v8, 23, 0x37800000
	s_delay_alu instid0(VALU_DEP_3) | instskip(NEXT) | instid1(VALU_DEP_1)
	v_lshlrev_b32_e32 v3, 21, v3
	v_or3_b32 v1, v1, v5, v3
	s_delay_alu instid0(VALU_DEP_1)
	v_cvt_f64_f32_e32 v[8:9], v1
.LBB111_723:
	s_or_b32 exec_lo, exec_lo, s54
	s_mov_b32 s37, 0
	s_branch .LBB111_729
.LBB111_724:
	s_mov_b32 s54, -1
                                        ; implicit-def: $vgpr8_vgpr9
	s_branch .LBB111_735
.LBB111_725:
	s_or_saveexec_b32 s54, s54
	v_mov_b64_e32 v[8:9], 0x7ff8000020000000
	s_xor_b32 exec_lo, exec_lo, s54
	s_cbranch_execz .LBB111_708
.LBB111_726:
	v_cmp_ne_u16_e32 vcc_lo, 0, v1
	v_mov_b64_e32 v[8:9], 0
	s_and_not1_b32 s37, s37, exec_lo
	s_and_b32 s55, vcc_lo, exec_lo
	s_delay_alu instid0(SALU_CYCLE_1)
	s_or_b32 s37, s37, s55
	s_or_b32 exec_lo, exec_lo, s54
	s_and_saveexec_b32 s54, s37
	s_cbranch_execnz .LBB111_709
	s_branch .LBB111_710
.LBB111_727:
	s_mov_b32 s37, -1
                                        ; implicit-def: $vgpr8_vgpr9
	s_branch .LBB111_732
.LBB111_728:
	s_mov_b32 s37, -1
                                        ; implicit-def: $vgpr8_vgpr9
.LBB111_729:
	s_delay_alu instid0(SALU_CYCLE_1)
	s_and_b32 vcc_lo, exec_lo, s37
	s_cbranch_vccz .LBB111_731
; %bb.730:
	global_load_u8 v1, v[10:11], off
	s_wait_loadcnt 0x0
	v_lshlrev_b32_e32 v1, 24, v1
	s_delay_alu instid0(VALU_DEP_1) | instskip(NEXT) | instid1(VALU_DEP_1)
	v_and_b32_e32 v3, 0x7f000000, v1
	v_clz_i32_u32_e32 v5, v3
	v_add_nc_u32_e32 v9, 0x1000000, v3
	v_cmp_ne_u32_e32 vcc_lo, 0, v3
	s_delay_alu instid0(VALU_DEP_3) | instskip(NEXT) | instid1(VALU_DEP_1)
	v_min_u32_e32 v5, 32, v5
	v_sub_nc_u32_e64 v5, v5, 4 clamp
	s_delay_alu instid0(VALU_DEP_1) | instskip(NEXT) | instid1(VALU_DEP_1)
	v_dual_lshlrev_b32 v8, v5, v3 :: v_dual_lshlrev_b32 v5, 23, v5
	v_lshrrev_b32_e32 v8, 4, v8
	s_delay_alu instid0(VALU_DEP_1) | instskip(SKIP_1) | instid1(VALU_DEP_2)
	v_sub_nc_u32_e32 v5, v8, v5
	v_ashrrev_i32_e32 v8, 8, v9
	v_add_nc_u32_e32 v5, 0x3c000000, v5
	s_delay_alu instid0(VALU_DEP_1) | instskip(NEXT) | instid1(VALU_DEP_1)
	v_and_or_b32 v5, 0x7f800000, v8, v5
	v_cndmask_b32_e32 v3, 0, v5, vcc_lo
	s_delay_alu instid0(VALU_DEP_1) | instskip(NEXT) | instid1(VALU_DEP_1)
	v_and_or_b32 v1, 0x80000000, v1, v3
	v_cvt_f64_f32_e32 v[8:9], v1
.LBB111_731:
	s_mov_b32 s37, 0
.LBB111_732:
	s_delay_alu instid0(SALU_CYCLE_1)
	s_and_not1_b32 vcc_lo, exec_lo, s37
	s_cbranch_vccnz .LBB111_734
; %bb.733:
	global_load_u8 v1, v[10:11], off
	s_wait_loadcnt 0x0
	v_lshlrev_b32_e32 v3, 25, v1
	v_lshlrev_b16 v1, 8, v1
	s_delay_alu instid0(VALU_DEP_1) | instskip(SKIP_1) | instid1(VALU_DEP_2)
	v_and_or_b32 v8, 0x7f00, v1, 0.5
	v_bfe_i32 v1, v1, 0, 16
	v_dual_add_f32 v8, -0.5, v8 :: v_dual_lshrrev_b32 v5, 4, v3
	v_cmp_gt_u32_e32 vcc_lo, 0x8000000, v3
	s_delay_alu instid0(VALU_DEP_2) | instskip(NEXT) | instid1(VALU_DEP_1)
	v_or_b32_e32 v5, 0x70000000, v5
	v_mul_f32_e32 v5, 0x7800000, v5
	s_delay_alu instid0(VALU_DEP_1) | instskip(NEXT) | instid1(VALU_DEP_1)
	v_cndmask_b32_e32 v3, v5, v8, vcc_lo
	v_and_or_b32 v1, 0x80000000, v1, v3
	s_delay_alu instid0(VALU_DEP_1)
	v_cvt_f64_f32_e32 v[8:9], v1
.LBB111_734:
	s_mov_b32 s54, 0
	s_mov_b32 s37, -1
.LBB111_735:
	s_and_not1_b32 vcc_lo, exec_lo, s54
	s_cbranch_vccnz .LBB111_748
; %bb.736:
	s_cmp_gt_i32 s36, 14
	s_cbranch_scc0 .LBB111_739
; %bb.737:
	s_cmp_eq_u32 s36, 15
	s_cbranch_scc0 .LBB111_742
; %bb.738:
	global_load_u16 v1, v[10:11], off
	s_mov_b32 s37, -1
	s_mov_b32 s35, 0
	s_wait_loadcnt 0x0
	v_lshlrev_b32_e32 v1, 16, v1
	s_delay_alu instid0(VALU_DEP_1)
	v_cvt_f64_f32_e32 v[8:9], v1
	s_branch .LBB111_743
.LBB111_739:
	s_mov_b32 s54, -1
                                        ; implicit-def: $vgpr8_vgpr9
	s_branch .LBB111_744
.LBB111_740:
	s_or_saveexec_b32 s54, s54
	v_mov_b64_e32 v[8:9], 0x7ff8000020000000
	s_xor_b32 exec_lo, exec_lo, s54
	s_cbranch_execz .LBB111_721
.LBB111_741:
	v_cmp_ne_u16_e32 vcc_lo, 0, v1
	v_mov_b64_e32 v[8:9], 0
	s_and_not1_b32 s37, s37, exec_lo
	s_and_b32 s55, vcc_lo, exec_lo
	s_delay_alu instid0(SALU_CYCLE_1)
	s_or_b32 s37, s37, s55
	s_or_b32 exec_lo, exec_lo, s54
	s_and_saveexec_b32 s54, s37
	s_cbranch_execnz .LBB111_722
	s_branch .LBB111_723
.LBB111_742:
	s_mov_b32 s35, -1
                                        ; implicit-def: $vgpr8_vgpr9
.LBB111_743:
	s_mov_b32 s54, 0
.LBB111_744:
	s_delay_alu instid0(SALU_CYCLE_1)
	s_and_b32 vcc_lo, exec_lo, s54
	s_cbranch_vccz .LBB111_748
; %bb.745:
	s_cmp_eq_u32 s36, 11
	s_cbranch_scc0 .LBB111_747
; %bb.746:
	global_load_u8 v1, v[10:11], off
	v_mov_b32_e32 v8, 0
	s_mov_b32 s35, 0
	s_mov_b32 s37, -1
	s_wait_loadcnt 0x0
	v_cmp_ne_u16_e32 vcc_lo, 0, v1
	v_cndmask_b32_e64 v9, 0, 0x3ff00000, vcc_lo
	s_branch .LBB111_748
.LBB111_747:
	s_mov_b32 s35, -1
                                        ; implicit-def: $vgpr8_vgpr9
.LBB111_748:
	s_mov_b32 s36, 0
.LBB111_749:
	s_delay_alu instid0(SALU_CYCLE_1)
	s_and_b32 vcc_lo, exec_lo, s36
	s_cbranch_vccz .LBB111_798
; %bb.750:
	s_and_b32 s0, 0xffff, s0
	s_delay_alu instid0(SALU_CYCLE_1)
	s_cmp_lt_i32 s0, 5
	s_cbranch_scc1 .LBB111_755
; %bb.751:
	s_cmp_lt_i32 s0, 8
	s_cbranch_scc1 .LBB111_756
; %bb.752:
	;; [unrolled: 3-line block ×3, first 2 shown]
	s_cmp_gt_i32 s0, 9
	s_cbranch_scc0 .LBB111_758
; %bb.754:
	global_load_b64 v[8:9], v[10:11], off
	s_mov_b32 s36, 0
	s_branch .LBB111_759
.LBB111_755:
	s_mov_b32 s36, -1
                                        ; implicit-def: $vgpr8_vgpr9
	s_branch .LBB111_777
.LBB111_756:
	s_mov_b32 s36, -1
                                        ; implicit-def: $vgpr8_vgpr9
	s_branch .LBB111_765
.LBB111_757:
	s_mov_b32 s36, -1
                                        ; implicit-def: $vgpr8_vgpr9
	s_branch .LBB111_762
.LBB111_758:
	s_mov_b32 s36, -1
                                        ; implicit-def: $vgpr8_vgpr9
.LBB111_759:
	s_delay_alu instid0(SALU_CYCLE_1)
	s_and_not1_b32 vcc_lo, exec_lo, s36
	s_cbranch_vccnz .LBB111_761
; %bb.760:
	global_load_b32 v1, v[10:11], off
	s_wait_loadcnt 0x0
	v_cvt_f64_f32_e32 v[8:9], v1
.LBB111_761:
	s_mov_b32 s36, 0
.LBB111_762:
	s_delay_alu instid0(SALU_CYCLE_1)
	s_and_not1_b32 vcc_lo, exec_lo, s36
	s_cbranch_vccnz .LBB111_764
; %bb.763:
	global_load_b32 v1, v[10:11], off
	s_wait_loadcnt 0x0
	v_cvt_f32_f16_e32 v1, v1
	s_delay_alu instid0(VALU_DEP_1)
	v_cvt_f64_f32_e32 v[8:9], v1
.LBB111_764:
	s_mov_b32 s36, 0
.LBB111_765:
	s_delay_alu instid0(SALU_CYCLE_1)
	s_and_not1_b32 vcc_lo, exec_lo, s36
	s_cbranch_vccnz .LBB111_776
; %bb.766:
	s_cmp_lt_i32 s0, 6
	s_cbranch_scc1 .LBB111_769
; %bb.767:
	s_cmp_gt_i32 s0, 6
	s_cbranch_scc0 .LBB111_770
; %bb.768:
	s_wait_loadcnt 0x0
	global_load_b64 v[8:9], v[10:11], off
	s_mov_b32 s36, 0
	s_branch .LBB111_771
.LBB111_769:
	s_mov_b32 s36, -1
                                        ; implicit-def: $vgpr8_vgpr9
	s_branch .LBB111_774
.LBB111_770:
	s_mov_b32 s36, -1
                                        ; implicit-def: $vgpr8_vgpr9
.LBB111_771:
	s_delay_alu instid0(SALU_CYCLE_1)
	s_and_not1_b32 vcc_lo, exec_lo, s36
	s_cbranch_vccnz .LBB111_773
; %bb.772:
	global_load_b32 v1, v[10:11], off
	s_wait_loadcnt 0x0
	v_cvt_f64_f32_e32 v[8:9], v1
.LBB111_773:
	s_mov_b32 s36, 0
.LBB111_774:
	s_delay_alu instid0(SALU_CYCLE_1)
	s_and_not1_b32 vcc_lo, exec_lo, s36
	s_cbranch_vccnz .LBB111_776
; %bb.775:
	global_load_u16 v1, v[10:11], off
	s_wait_loadcnt 0x0
	v_cvt_f32_f16_e32 v1, v1
	s_delay_alu instid0(VALU_DEP_1)
	v_cvt_f64_f32_e32 v[8:9], v1
.LBB111_776:
	s_mov_b32 s36, 0
.LBB111_777:
	s_delay_alu instid0(SALU_CYCLE_1)
	s_and_not1_b32 vcc_lo, exec_lo, s36
	s_cbranch_vccnz .LBB111_797
; %bb.778:
	s_cmp_lt_i32 s0, 2
	s_cbranch_scc1 .LBB111_782
; %bb.779:
	s_cmp_lt_i32 s0, 3
	s_cbranch_scc1 .LBB111_783
; %bb.780:
	s_cmp_gt_i32 s0, 3
	s_cbranch_scc0 .LBB111_784
; %bb.781:
	s_wait_loadcnt 0x0
	global_load_b64 v[8:9], v[10:11], off
	s_mov_b32 s36, 0
	s_wait_loadcnt 0x0
	v_cvt_f64_i32_e32 v[12:13], v9
	v_cvt_f64_u32_e32 v[8:9], v8
	s_delay_alu instid0(VALU_DEP_2) | instskip(NEXT) | instid1(VALU_DEP_1)
	v_ldexp_f64 v[12:13], v[12:13], 32
	v_add_f64_e32 v[8:9], v[12:13], v[8:9]
	s_branch .LBB111_785
.LBB111_782:
	s_mov_b32 s36, -1
                                        ; implicit-def: $vgpr8_vgpr9
	s_branch .LBB111_791
.LBB111_783:
	s_mov_b32 s36, -1
                                        ; implicit-def: $vgpr8_vgpr9
	s_branch .LBB111_788
.LBB111_784:
	s_mov_b32 s36, -1
                                        ; implicit-def: $vgpr8_vgpr9
.LBB111_785:
	s_delay_alu instid0(SALU_CYCLE_1)
	s_and_not1_b32 vcc_lo, exec_lo, s36
	s_cbranch_vccnz .LBB111_787
; %bb.786:
	global_load_b32 v1, v[10:11], off
	s_wait_loadcnt 0x0
	v_cvt_f64_i32_e32 v[8:9], v1
.LBB111_787:
	s_mov_b32 s36, 0
.LBB111_788:
	s_delay_alu instid0(SALU_CYCLE_1)
	s_and_not1_b32 vcc_lo, exec_lo, s36
	s_cbranch_vccnz .LBB111_790
; %bb.789:
	global_load_i16 v1, v[10:11], off
	s_wait_loadcnt 0x0
	v_cvt_f64_i32_e32 v[8:9], v1
.LBB111_790:
	s_mov_b32 s36, 0
.LBB111_791:
	s_delay_alu instid0(SALU_CYCLE_1)
	s_and_not1_b32 vcc_lo, exec_lo, s36
	s_cbranch_vccnz .LBB111_797
; %bb.792:
	s_cmp_gt_i32 s0, 0
	s_mov_b32 s0, 0
	s_cbranch_scc0 .LBB111_794
; %bb.793:
	global_load_i8 v1, v[10:11], off
	s_wait_loadcnt 0x0
	v_cvt_f64_i32_e32 v[8:9], v1
	s_branch .LBB111_795
.LBB111_794:
	s_mov_b32 s0, -1
                                        ; implicit-def: $vgpr8_vgpr9
.LBB111_795:
	s_delay_alu instid0(SALU_CYCLE_1)
	s_and_not1_b32 vcc_lo, exec_lo, s0
	s_cbranch_vccnz .LBB111_797
; %bb.796:
	global_load_u8 v1, v[10:11], off
	s_wait_loadcnt 0x0
	v_cvt_f64_u32_e32 v[8:9], v1
.LBB111_797:
	s_mov_b32 s37, -1
.LBB111_798:
	s_delay_alu instid0(SALU_CYCLE_1)
	s_and_not1_b32 vcc_lo, exec_lo, s37
	s_cbranch_vccnz .LBB111_806
; %bb.799:
	v_mov_b32_e32 v1, 0
	s_and_b32 s0, 0xffff, s25
	s_delay_alu instid0(SALU_CYCLE_1) | instskip(NEXT) | instid1(VALU_DEP_1)
	s_cmp_lt_i32 s0, 11
	v_add_nc_u64_e32 v[0:1], s[10:11], v[0:1]
	s_cbranch_scc1 .LBB111_807
; %bb.800:
	s_cmp_gt_i32 s0, 25
	s_cbranch_scc0 .LBB111_808
; %bb.801:
	s_cmp_gt_i32 s0, 28
	s_cbranch_scc0 .LBB111_809
	;; [unrolled: 3-line block ×4, first 2 shown]
; %bb.804:
	s_cmp_eq_u32 s0, 46
	s_mov_b32 s54, 0
	s_cbranch_scc0 .LBB111_814
; %bb.805:
	global_load_b32 v3, v[0:1], off
	s_mov_b32 s37, -1
	s_mov_b32 s36, 0
	s_wait_loadcnt 0x0
	v_lshlrev_b32_e32 v3, 16, v3
	s_wait_xcnt 0x1
	s_delay_alu instid0(VALU_DEP_1)
	v_cvt_f64_f32_e32 v[10:11], v3
	s_branch .LBB111_816
.LBB111_806:
	s_mov_b32 s37, 0
	s_mov_b32 s0, s49
	;; [unrolled: 1-line block ×3, first 2 shown]
	s_branch .LBB111_1055
.LBB111_807:
	s_mov_b32 s54, -1
	s_mov_b32 s37, 0
	s_mov_b32 s36, s50
                                        ; implicit-def: $vgpr10_vgpr11
	s_branch .LBB111_881
.LBB111_808:
	s_mov_b32 s54, -1
	s_mov_b32 s37, 0
	s_mov_b32 s36, s50
                                        ; implicit-def: $vgpr10_vgpr11
	s_branch .LBB111_845
.LBB111_809:
	s_mov_b32 s54, -1
	s_mov_b32 s37, 0
	s_mov_b32 s36, s50
                                        ; implicit-def: $vgpr10_vgpr11
	s_branch .LBB111_826
.LBB111_810:
	s_mov_b32 s54, -1
	s_mov_b32 s37, 0
	s_mov_b32 s36, s50
                                        ; implicit-def: $vgpr10_vgpr11
	s_branch .LBB111_821
.LBB111_811:
	s_mov_b32 s54, -1
	s_mov_b32 s37, 0
	s_mov_b32 s36, s50
	s_branch .LBB111_815
.LBB111_812:
	s_and_not1_saveexec_b32 s52, s52
	s_cbranch_execz .LBB111_445
.LBB111_813:
	v_add_f32_e64 v3, 0x42800000, |v2|
	s_and_not1_b32 s51, s51, exec_lo
	s_delay_alu instid0(VALU_DEP_1) | instskip(NEXT) | instid1(VALU_DEP_1)
	v_and_b32_e32 v3, 0xff, v3
	v_cmp_ne_u32_e32 vcc_lo, 0, v3
	s_and_b32 s54, vcc_lo, exec_lo
	s_delay_alu instid0(SALU_CYCLE_1)
	s_or_b32 s51, s51, s54
	s_or_b32 exec_lo, exec_lo, s52
	v_mov_b32_e32 v5, 0
	s_and_saveexec_b32 s52, s51
	s_cbranch_execnz .LBB111_446
	s_branch .LBB111_447
.LBB111_814:
	s_mov_b32 s36, -1
	s_mov_b32 s37, 0
.LBB111_815:
                                        ; implicit-def: $vgpr10_vgpr11
.LBB111_816:
	s_and_b32 vcc_lo, exec_lo, s54
	s_cbranch_vccz .LBB111_820
; %bb.817:
	s_cmp_eq_u32 s0, 44
	s_cbranch_scc0 .LBB111_819
; %bb.818:
	global_load_u8 v3, v[0:1], off
	s_mov_b32 s36, 0
	s_mov_b32 s37, -1
	s_wait_loadcnt 0x0
	v_lshlrev_b32_e32 v5, 23, v3
	v_cmp_ne_u32_e32 vcc_lo, 0xff, v3
	s_wait_xcnt 0x1
	s_delay_alu instid0(VALU_DEP_2) | instskip(NEXT) | instid1(VALU_DEP_1)
	v_cvt_f64_f32_e32 v[10:11], v5
	v_cndmask_b32_e32 v5, 0x20000000, v10, vcc_lo
	s_delay_alu instid0(VALU_DEP_2) | instskip(SKIP_1) | instid1(VALU_DEP_2)
	v_cndmask_b32_e32 v10, 0x7ff80000, v11, vcc_lo
	v_cmp_ne_u32_e32 vcc_lo, 0, v3
	v_cndmask_b32_e32 v11, 0x38000000, v10, vcc_lo
	s_delay_alu instid0(VALU_DEP_4)
	v_cndmask_b32_e32 v10, 0, v5, vcc_lo
	s_branch .LBB111_820
.LBB111_819:
	s_mov_b32 s36, -1
                                        ; implicit-def: $vgpr10_vgpr11
.LBB111_820:
	s_mov_b32 s54, 0
.LBB111_821:
	s_delay_alu instid0(SALU_CYCLE_1)
	s_and_b32 vcc_lo, exec_lo, s54
	s_cbranch_vccz .LBB111_825
; %bb.822:
	s_cmp_eq_u32 s0, 29
	s_cbranch_scc0 .LBB111_824
; %bb.823:
	global_load_b64 v[10:11], v[0:1], off
	s_mov_b32 s37, -1
	s_mov_b32 s36, 0
	s_mov_b32 s54, 0
	s_wait_loadcnt 0x0
	v_cvt_f64_u32_e32 v[12:13], v11
	v_cvt_f64_u32_e32 v[10:11], v10
	s_delay_alu instid0(VALU_DEP_2) | instskip(NEXT) | instid1(VALU_DEP_1)
	v_ldexp_f64 v[12:13], v[12:13], 32
	v_add_f64_e32 v[10:11], v[12:13], v[10:11]
	s_branch .LBB111_826
.LBB111_824:
	s_mov_b32 s36, -1
                                        ; implicit-def: $vgpr10_vgpr11
.LBB111_825:
	s_mov_b32 s54, 0
.LBB111_826:
	s_delay_alu instid0(SALU_CYCLE_1)
	s_and_b32 vcc_lo, exec_lo, s54
	s_cbranch_vccz .LBB111_844
; %bb.827:
	s_cmp_lt_i32 s0, 27
	s_cbranch_scc1 .LBB111_830
; %bb.828:
	s_cmp_gt_i32 s0, 27
	s_cbranch_scc0 .LBB111_831
; %bb.829:
	global_load_b32 v3, v[0:1], off
	s_mov_b32 s37, 0
	s_wait_loadcnt 0x0
	s_wait_xcnt 0x1
	v_cvt_f64_u32_e32 v[10:11], v3
	s_branch .LBB111_832
.LBB111_830:
	s_mov_b32 s37, -1
                                        ; implicit-def: $vgpr10_vgpr11
	s_branch .LBB111_835
.LBB111_831:
	s_mov_b32 s37, -1
                                        ; implicit-def: $vgpr10_vgpr11
.LBB111_832:
	s_delay_alu instid0(SALU_CYCLE_1)
	s_and_not1_b32 vcc_lo, exec_lo, s37
	s_cbranch_vccnz .LBB111_834
; %bb.833:
	global_load_u16 v3, v[0:1], off
	s_wait_loadcnt 0x0
	s_wait_xcnt 0x1
	v_cvt_f64_u32_e32 v[10:11], v3
.LBB111_834:
	s_mov_b32 s37, 0
.LBB111_835:
	s_delay_alu instid0(SALU_CYCLE_1)
	s_and_not1_b32 vcc_lo, exec_lo, s37
	s_cbranch_vccnz .LBB111_843
; %bb.836:
	global_load_u8 v3, v[0:1], off
	s_mov_b32 s37, 0
	s_mov_b32 s54, exec_lo
	s_wait_loadcnt 0x0
	v_cmpx_lt_i16_e32 0x7f, v3
	s_xor_b32 s54, exec_lo, s54
	s_cbranch_execz .LBB111_857
; %bb.837:
	s_mov_b32 s37, -1
	s_mov_b32 s55, exec_lo
	v_cmpx_eq_u16_e32 0x80, v3
; %bb.838:
	s_xor_b32 s37, exec_lo, -1
; %bb.839:
	s_or_b32 exec_lo, exec_lo, s55
	s_delay_alu instid0(SALU_CYCLE_1)
	s_and_b32 s37, s37, exec_lo
	s_or_saveexec_b32 s54, s54
	v_mov_b64_e32 v[10:11], 0x7ff8000020000000
	s_xor_b32 exec_lo, exec_lo, s54
	s_cbranch_execnz .LBB111_858
.LBB111_840:
	s_or_b32 exec_lo, exec_lo, s54
	s_and_saveexec_b32 s54, s37
	s_cbranch_execz .LBB111_842
.LBB111_841:
	v_and_b32_e32 v5, 0xffff, v3
	s_delay_alu instid0(VALU_DEP_1) | instskip(SKIP_1) | instid1(VALU_DEP_2)
	v_and_b32_e32 v10, 7, v5
	v_bfe_u32 v13, v5, 3, 4
	v_clz_i32_u32_e32 v11, v10
	s_delay_alu instid0(VALU_DEP_2) | instskip(NEXT) | instid1(VALU_DEP_2)
	v_cmp_eq_u32_e32 vcc_lo, 0, v13
	v_min_u32_e32 v11, 32, v11
	s_delay_alu instid0(VALU_DEP_1) | instskip(NEXT) | instid1(VALU_DEP_1)
	v_subrev_nc_u32_e32 v12, 28, v11
	v_dual_lshlrev_b32 v5, v12, v5 :: v_dual_sub_nc_u32 v11, 29, v11
	s_delay_alu instid0(VALU_DEP_1) | instskip(NEXT) | instid1(VALU_DEP_1)
	v_dual_lshlrev_b32 v3, 24, v3 :: v_dual_bitop2_b32 v5, 7, v5 bitop3:0x40
	v_dual_cndmask_b32 v5, v10, v5, vcc_lo :: v_dual_cndmask_b32 v11, v13, v11, vcc_lo
	s_delay_alu instid0(VALU_DEP_2) | instskip(NEXT) | instid1(VALU_DEP_2)
	v_and_b32_e32 v3, 0x80000000, v3
	v_lshlrev_b32_e32 v5, 20, v5
	s_delay_alu instid0(VALU_DEP_3) | instskip(NEXT) | instid1(VALU_DEP_1)
	v_lshl_add_u32 v10, v11, 23, 0x3b800000
	v_or3_b32 v3, v3, v10, v5
	s_delay_alu instid0(VALU_DEP_1)
	v_cvt_f64_f32_e32 v[10:11], v3
.LBB111_842:
	s_or_b32 exec_lo, exec_lo, s54
.LBB111_843:
	s_mov_b32 s37, -1
.LBB111_844:
	s_mov_b32 s54, 0
.LBB111_845:
	s_delay_alu instid0(SALU_CYCLE_1)
	s_and_b32 vcc_lo, exec_lo, s54
	s_cbranch_vccz .LBB111_880
; %bb.846:
	s_cmp_gt_i32 s0, 22
	s_cbranch_scc0 .LBB111_856
; %bb.847:
	s_cmp_lt_i32 s0, 24
	s_cbranch_scc1 .LBB111_859
; %bb.848:
	s_cmp_gt_i32 s0, 24
	s_cbranch_scc0 .LBB111_860
; %bb.849:
	global_load_u8 v3, v[0:1], off
	s_mov_b32 s37, 0
	s_mov_b32 s54, exec_lo
	s_wait_loadcnt 0x0
	v_cmpx_lt_i16_e32 0x7f, v3
	s_xor_b32 s54, exec_lo, s54
	s_cbranch_execz .LBB111_872
; %bb.850:
	s_mov_b32 s37, -1
	s_mov_b32 s55, exec_lo
	v_cmpx_eq_u16_e32 0x80, v3
; %bb.851:
	s_xor_b32 s37, exec_lo, -1
; %bb.852:
	s_or_b32 exec_lo, exec_lo, s55
	s_delay_alu instid0(SALU_CYCLE_1)
	s_and_b32 s37, s37, exec_lo
	s_or_saveexec_b32 s54, s54
	v_mov_b64_e32 v[10:11], 0x7ff8000020000000
	s_xor_b32 exec_lo, exec_lo, s54
	s_cbranch_execnz .LBB111_873
.LBB111_853:
	s_or_b32 exec_lo, exec_lo, s54
	s_and_saveexec_b32 s54, s37
	s_cbranch_execz .LBB111_855
.LBB111_854:
	v_and_b32_e32 v5, 0xffff, v3
	s_delay_alu instid0(VALU_DEP_1) | instskip(SKIP_1) | instid1(VALU_DEP_2)
	v_and_b32_e32 v10, 3, v5
	v_bfe_u32 v13, v5, 2, 5
	v_clz_i32_u32_e32 v11, v10
	s_delay_alu instid0(VALU_DEP_2) | instskip(NEXT) | instid1(VALU_DEP_2)
	v_cmp_eq_u32_e32 vcc_lo, 0, v13
	v_min_u32_e32 v11, 32, v11
	s_delay_alu instid0(VALU_DEP_1) | instskip(NEXT) | instid1(VALU_DEP_1)
	v_subrev_nc_u32_e32 v12, 29, v11
	v_dual_lshlrev_b32 v5, v12, v5 :: v_dual_sub_nc_u32 v11, 30, v11
	s_delay_alu instid0(VALU_DEP_1) | instskip(NEXT) | instid1(VALU_DEP_1)
	v_dual_lshlrev_b32 v3, 24, v3 :: v_dual_bitop2_b32 v5, 3, v5 bitop3:0x40
	v_dual_cndmask_b32 v5, v10, v5, vcc_lo :: v_dual_cndmask_b32 v11, v13, v11, vcc_lo
	s_delay_alu instid0(VALU_DEP_2) | instskip(NEXT) | instid1(VALU_DEP_2)
	v_and_b32_e32 v3, 0x80000000, v3
	v_lshlrev_b32_e32 v5, 21, v5
	s_delay_alu instid0(VALU_DEP_3) | instskip(NEXT) | instid1(VALU_DEP_1)
	v_lshl_add_u32 v10, v11, 23, 0x37800000
	v_or3_b32 v3, v3, v10, v5
	s_delay_alu instid0(VALU_DEP_1)
	v_cvt_f64_f32_e32 v[10:11], v3
.LBB111_855:
	s_or_b32 exec_lo, exec_lo, s54
	s_mov_b32 s37, 0
	s_branch .LBB111_861
.LBB111_856:
	s_mov_b32 s54, -1
                                        ; implicit-def: $vgpr10_vgpr11
	s_branch .LBB111_867
.LBB111_857:
	s_or_saveexec_b32 s54, s54
	v_mov_b64_e32 v[10:11], 0x7ff8000020000000
	s_xor_b32 exec_lo, exec_lo, s54
	s_cbranch_execz .LBB111_840
.LBB111_858:
	v_cmp_ne_u16_e32 vcc_lo, 0, v3
	v_mov_b64_e32 v[10:11], 0
	s_and_not1_b32 s37, s37, exec_lo
	s_and_b32 s55, vcc_lo, exec_lo
	s_delay_alu instid0(SALU_CYCLE_1)
	s_or_b32 s37, s37, s55
	s_or_b32 exec_lo, exec_lo, s54
	s_and_saveexec_b32 s54, s37
	s_cbranch_execnz .LBB111_841
	s_branch .LBB111_842
.LBB111_859:
	s_mov_b32 s37, -1
                                        ; implicit-def: $vgpr10_vgpr11
	s_branch .LBB111_864
.LBB111_860:
	s_mov_b32 s37, -1
                                        ; implicit-def: $vgpr10_vgpr11
.LBB111_861:
	s_delay_alu instid0(SALU_CYCLE_1)
	s_and_b32 vcc_lo, exec_lo, s37
	s_cbranch_vccz .LBB111_863
; %bb.862:
	global_load_u8 v3, v[0:1], off
	s_wait_loadcnt 0x0
	v_lshlrev_b32_e32 v3, 24, v3
	s_delay_alu instid0(VALU_DEP_1) | instskip(SKIP_1) | instid1(VALU_DEP_1)
	v_and_b32_e32 v5, 0x7f000000, v3
	s_wait_xcnt 0x1
	v_clz_i32_u32_e32 v10, v5
	v_cmp_ne_u32_e32 vcc_lo, 0, v5
	v_add_nc_u32_e32 v12, 0x1000000, v5
	s_delay_alu instid0(VALU_DEP_3) | instskip(NEXT) | instid1(VALU_DEP_1)
	v_min_u32_e32 v10, 32, v10
	v_sub_nc_u32_e64 v10, v10, 4 clamp
	s_delay_alu instid0(VALU_DEP_1) | instskip(NEXT) | instid1(VALU_DEP_1)
	v_dual_lshlrev_b32 v11, v10, v5 :: v_dual_lshlrev_b32 v10, 23, v10
	v_lshrrev_b32_e32 v11, 4, v11
	s_delay_alu instid0(VALU_DEP_1) | instskip(NEXT) | instid1(VALU_DEP_1)
	v_dual_sub_nc_u32 v10, v11, v10 :: v_dual_ashrrev_i32 v11, 8, v12
	v_add_nc_u32_e32 v10, 0x3c000000, v10
	s_delay_alu instid0(VALU_DEP_1) | instskip(NEXT) | instid1(VALU_DEP_1)
	v_and_or_b32 v10, 0x7f800000, v11, v10
	v_cndmask_b32_e32 v5, 0, v10, vcc_lo
	s_delay_alu instid0(VALU_DEP_1) | instskip(NEXT) | instid1(VALU_DEP_1)
	v_and_or_b32 v3, 0x80000000, v3, v5
	v_cvt_f64_f32_e32 v[10:11], v3
.LBB111_863:
	s_mov_b32 s37, 0
.LBB111_864:
	s_delay_alu instid0(SALU_CYCLE_1)
	s_and_not1_b32 vcc_lo, exec_lo, s37
	s_cbranch_vccnz .LBB111_866
; %bb.865:
	global_load_u8 v3, v[0:1], off
	s_wait_loadcnt 0x0
	v_lshlrev_b32_e32 v5, 25, v3
	v_lshlrev_b16 v3, 8, v3
	s_wait_xcnt 0x1
	s_delay_alu instid0(VALU_DEP_1) | instskip(NEXT) | instid1(VALU_DEP_3)
	v_and_or_b32 v11, 0x7f00, v3, 0.5
	v_lshrrev_b32_e32 v10, 4, v5
	v_bfe_i32 v3, v3, 0, 16
	s_delay_alu instid0(VALU_DEP_3) | instskip(NEXT) | instid1(VALU_DEP_3)
	v_add_f32_e32 v11, -0.5, v11
	v_or_b32_e32 v10, 0x70000000, v10
	s_delay_alu instid0(VALU_DEP_1) | instskip(SKIP_1) | instid1(VALU_DEP_2)
	v_mul_f32_e32 v10, 0x7800000, v10
	v_cmp_gt_u32_e32 vcc_lo, 0x8000000, v5
	v_cndmask_b32_e32 v5, v10, v11, vcc_lo
	s_delay_alu instid0(VALU_DEP_1) | instskip(NEXT) | instid1(VALU_DEP_1)
	v_and_or_b32 v3, 0x80000000, v3, v5
	v_cvt_f64_f32_e32 v[10:11], v3
.LBB111_866:
	s_mov_b32 s54, 0
	s_mov_b32 s37, -1
.LBB111_867:
	s_and_not1_b32 vcc_lo, exec_lo, s54
	s_cbranch_vccnz .LBB111_880
; %bb.868:
	s_cmp_gt_i32 s0, 14
	s_cbranch_scc0 .LBB111_871
; %bb.869:
	s_cmp_eq_u32 s0, 15
	s_cbranch_scc0 .LBB111_874
; %bb.870:
	global_load_u16 v3, v[0:1], off
	s_mov_b32 s37, -1
	s_mov_b32 s36, 0
	s_wait_loadcnt 0x0
	v_lshlrev_b32_e32 v3, 16, v3
	s_wait_xcnt 0x1
	s_delay_alu instid0(VALU_DEP_1)
	v_cvt_f64_f32_e32 v[10:11], v3
	s_branch .LBB111_875
.LBB111_871:
	s_mov_b32 s54, -1
                                        ; implicit-def: $vgpr10_vgpr11
	s_branch .LBB111_876
.LBB111_872:
	s_or_saveexec_b32 s54, s54
	v_mov_b64_e32 v[10:11], 0x7ff8000020000000
	s_xor_b32 exec_lo, exec_lo, s54
	s_cbranch_execz .LBB111_853
.LBB111_873:
	v_cmp_ne_u16_e32 vcc_lo, 0, v3
	v_mov_b64_e32 v[10:11], 0
	s_and_not1_b32 s37, s37, exec_lo
	s_and_b32 s55, vcc_lo, exec_lo
	s_delay_alu instid0(SALU_CYCLE_1)
	s_or_b32 s37, s37, s55
	s_or_b32 exec_lo, exec_lo, s54
	s_and_saveexec_b32 s54, s37
	s_cbranch_execnz .LBB111_854
	s_branch .LBB111_855
.LBB111_874:
	s_mov_b32 s36, -1
                                        ; implicit-def: $vgpr10_vgpr11
.LBB111_875:
	s_mov_b32 s54, 0
.LBB111_876:
	s_delay_alu instid0(SALU_CYCLE_1)
	s_and_b32 vcc_lo, exec_lo, s54
	s_cbranch_vccz .LBB111_880
; %bb.877:
	s_cmp_eq_u32 s0, 11
	s_cbranch_scc0 .LBB111_879
; %bb.878:
	global_load_u8 v3, v[0:1], off
	s_wait_xcnt 0x1
	v_mov_b32_e32 v10, 0
	s_mov_b32 s36, 0
	s_mov_b32 s37, -1
	s_wait_loadcnt 0x0
	v_cmp_ne_u16_e32 vcc_lo, 0, v3
	v_cndmask_b32_e64 v11, 0, 0x3ff00000, vcc_lo
	s_branch .LBB111_880
.LBB111_879:
	s_mov_b32 s36, -1
                                        ; implicit-def: $vgpr10_vgpr11
.LBB111_880:
	s_mov_b32 s54, 0
.LBB111_881:
	s_delay_alu instid0(SALU_CYCLE_1)
	s_and_b32 vcc_lo, exec_lo, s54
	s_cbranch_vccz .LBB111_930
; %bb.882:
	s_cmp_lt_i32 s0, 5
	s_cbranch_scc1 .LBB111_887
; %bb.883:
	s_cmp_lt_i32 s0, 8
	s_cbranch_scc1 .LBB111_888
	;; [unrolled: 3-line block ×3, first 2 shown]
; %bb.885:
	s_cmp_gt_i32 s0, 9
	s_cbranch_scc0 .LBB111_890
; %bb.886:
	global_load_b64 v[10:11], v[0:1], off
	s_mov_b32 s37, 0
	s_branch .LBB111_891
.LBB111_887:
	s_mov_b32 s37, -1
                                        ; implicit-def: $vgpr10_vgpr11
	s_branch .LBB111_909
.LBB111_888:
	s_mov_b32 s37, -1
                                        ; implicit-def: $vgpr10_vgpr11
	s_branch .LBB111_897
.LBB111_889:
	s_mov_b32 s37, -1
                                        ; implicit-def: $vgpr10_vgpr11
	s_branch .LBB111_894
.LBB111_890:
	s_mov_b32 s37, -1
                                        ; implicit-def: $vgpr10_vgpr11
.LBB111_891:
	s_delay_alu instid0(SALU_CYCLE_1)
	s_and_not1_b32 vcc_lo, exec_lo, s37
	s_cbranch_vccnz .LBB111_893
; %bb.892:
	global_load_b32 v3, v[0:1], off
	s_wait_loadcnt 0x0
	s_wait_xcnt 0x1
	v_cvt_f64_f32_e32 v[10:11], v3
.LBB111_893:
	s_mov_b32 s37, 0
.LBB111_894:
	s_delay_alu instid0(SALU_CYCLE_1)
	s_and_not1_b32 vcc_lo, exec_lo, s37
	s_cbranch_vccnz .LBB111_896
; %bb.895:
	global_load_b32 v3, v[0:1], off
	s_wait_loadcnt 0x0
	v_cvt_f32_f16_e32 v3, v3
	s_wait_xcnt 0x1
	s_delay_alu instid0(VALU_DEP_1)
	v_cvt_f64_f32_e32 v[10:11], v3
.LBB111_896:
	s_mov_b32 s37, 0
.LBB111_897:
	s_delay_alu instid0(SALU_CYCLE_1)
	s_and_not1_b32 vcc_lo, exec_lo, s37
	s_cbranch_vccnz .LBB111_908
; %bb.898:
	s_cmp_lt_i32 s0, 6
	s_cbranch_scc1 .LBB111_901
; %bb.899:
	s_cmp_gt_i32 s0, 6
	s_cbranch_scc0 .LBB111_902
; %bb.900:
	s_wait_loadcnt 0x0
	global_load_b64 v[10:11], v[0:1], off
	s_mov_b32 s37, 0
	s_branch .LBB111_903
.LBB111_901:
	s_mov_b32 s37, -1
                                        ; implicit-def: $vgpr10_vgpr11
	s_branch .LBB111_906
.LBB111_902:
	s_mov_b32 s37, -1
                                        ; implicit-def: $vgpr10_vgpr11
.LBB111_903:
	s_delay_alu instid0(SALU_CYCLE_1)
	s_and_not1_b32 vcc_lo, exec_lo, s37
	s_cbranch_vccnz .LBB111_905
; %bb.904:
	global_load_b32 v3, v[0:1], off
	s_wait_loadcnt 0x0
	s_wait_xcnt 0x1
	v_cvt_f64_f32_e32 v[10:11], v3
.LBB111_905:
	s_mov_b32 s37, 0
.LBB111_906:
	s_delay_alu instid0(SALU_CYCLE_1)
	s_and_not1_b32 vcc_lo, exec_lo, s37
	s_cbranch_vccnz .LBB111_908
; %bb.907:
	global_load_u16 v3, v[0:1], off
	s_wait_loadcnt 0x0
	v_cvt_f32_f16_e32 v3, v3
	s_wait_xcnt 0x1
	s_delay_alu instid0(VALU_DEP_1)
	v_cvt_f64_f32_e32 v[10:11], v3
.LBB111_908:
	s_mov_b32 s37, 0
.LBB111_909:
	s_delay_alu instid0(SALU_CYCLE_1)
	s_and_not1_b32 vcc_lo, exec_lo, s37
	s_cbranch_vccnz .LBB111_929
; %bb.910:
	s_cmp_lt_i32 s0, 2
	s_cbranch_scc1 .LBB111_914
; %bb.911:
	s_cmp_lt_i32 s0, 3
	s_cbranch_scc1 .LBB111_915
; %bb.912:
	s_cmp_gt_i32 s0, 3
	s_cbranch_scc0 .LBB111_916
; %bb.913:
	s_wait_loadcnt 0x0
	global_load_b64 v[10:11], v[0:1], off
	s_mov_b32 s37, 0
	s_wait_loadcnt 0x0
	v_cvt_f64_i32_e32 v[12:13], v11
	v_cvt_f64_u32_e32 v[10:11], v10
	s_delay_alu instid0(VALU_DEP_2) | instskip(NEXT) | instid1(VALU_DEP_1)
	v_ldexp_f64 v[12:13], v[12:13], 32
	v_add_f64_e32 v[10:11], v[12:13], v[10:11]
	s_branch .LBB111_917
.LBB111_914:
	s_mov_b32 s37, -1
                                        ; implicit-def: $vgpr10_vgpr11
	s_branch .LBB111_923
.LBB111_915:
	s_mov_b32 s37, -1
                                        ; implicit-def: $vgpr10_vgpr11
	s_branch .LBB111_920
.LBB111_916:
	s_mov_b32 s37, -1
                                        ; implicit-def: $vgpr10_vgpr11
.LBB111_917:
	s_delay_alu instid0(SALU_CYCLE_1)
	s_and_not1_b32 vcc_lo, exec_lo, s37
	s_cbranch_vccnz .LBB111_919
; %bb.918:
	global_load_b32 v3, v[0:1], off
	s_wait_loadcnt 0x0
	s_wait_xcnt 0x1
	v_cvt_f64_i32_e32 v[10:11], v3
.LBB111_919:
	s_mov_b32 s37, 0
.LBB111_920:
	s_delay_alu instid0(SALU_CYCLE_1)
	s_and_not1_b32 vcc_lo, exec_lo, s37
	s_cbranch_vccnz .LBB111_922
; %bb.921:
	global_load_i16 v3, v[0:1], off
	s_wait_loadcnt 0x0
	s_wait_xcnt 0x1
	v_cvt_f64_i32_e32 v[10:11], v3
.LBB111_922:
	s_mov_b32 s37, 0
.LBB111_923:
	s_delay_alu instid0(SALU_CYCLE_1)
	s_and_not1_b32 vcc_lo, exec_lo, s37
	s_cbranch_vccnz .LBB111_929
; %bb.924:
	s_cmp_gt_i32 s0, 0
	s_mov_b32 s0, 0
	s_cbranch_scc0 .LBB111_926
; %bb.925:
	global_load_i8 v3, v[0:1], off
	s_wait_loadcnt 0x0
	s_wait_xcnt 0x1
	v_cvt_f64_i32_e32 v[10:11], v3
	s_branch .LBB111_927
.LBB111_926:
	s_mov_b32 s0, -1
                                        ; implicit-def: $vgpr10_vgpr11
.LBB111_927:
	s_delay_alu instid0(SALU_CYCLE_1)
	s_and_not1_b32 vcc_lo, exec_lo, s0
	s_cbranch_vccnz .LBB111_929
; %bb.928:
	global_load_u8 v0, v[0:1], off
	s_wait_loadcnt 0x0
	v_cvt_f64_u32_e32 v[10:11], v0
.LBB111_929:
	s_mov_b32 s37, -1
.LBB111_930:
	s_delay_alu instid0(SALU_CYCLE_1)
	s_and_not1_b32 vcc_lo, exec_lo, s37
	s_cbranch_vccnz .LBB111_938
; %bb.931:
	s_wait_loadcnt 0x0
	s_delay_alu instid0(VALU_DEP_3) | instskip(SKIP_1) | instid1(SALU_CYCLE_1)
	v_dual_mul_f64 v[0:1], s[22:23], v[8:9] :: v_dual_mov_b32 v3, 0
	s_and_b32 s37, s42, 0xff
	s_cmp_lt_i32 s37, 11
	s_delay_alu instid0(VALU_DEP_1) | instskip(NEXT) | instid1(VALU_DEP_1)
	v_mul_f64_e32 v[0:1], v[0:1], v[10:11]
	v_fmac_f64_e32 v[0:1], s[20:21], v[6:7]
	v_add_nc_u64_e32 v[6:7], s[4:5], v[2:3]
	s_cbranch_scc1 .LBB111_939
; %bb.932:
	s_and_b32 s54, 0xffff, s37
	s_delay_alu instid0(SALU_CYCLE_1)
	s_cmp_gt_i32 s54, 25
	s_cbranch_scc0 .LBB111_940
; %bb.933:
	s_cmp_gt_i32 s54, 28
	s_cbranch_scc0 .LBB111_941
; %bb.934:
	;; [unrolled: 3-line block ×4, first 2 shown]
	s_mov_b32 s56, 0
	s_mov_b32 s0, -1
	s_cmp_eq_u32 s54, 46
	s_mov_b32 s55, 0
	s_cbranch_scc0 .LBB111_944
; %bb.937:
	s_delay_alu instid0(VALU_DEP_2) | instskip(SKIP_2) | instid1(VALU_DEP_1)
	v_cvt_f32_f64_e32 v2, v[0:1]
	s_mov_b32 s55, -1
	s_mov_b32 s0, 0
	v_bfe_u32 v3, v2, 16, 1
	v_cmp_o_f32_e32 vcc_lo, v2, v2
	s_delay_alu instid0(VALU_DEP_2) | instskip(NEXT) | instid1(VALU_DEP_1)
	v_add3_u32 v3, v2, v3, 0x7fff
	v_lshrrev_b32_e32 v3, 16, v3
	s_delay_alu instid0(VALU_DEP_1)
	v_cndmask_b32_e32 v2, 0x7fc0, v3, vcc_lo
	global_store_b32 v[6:7], v2, off
	s_branch .LBB111_944
.LBB111_938:
	s_mov_b32 s37, 0
	s_mov_b32 s0, s49
	s_branch .LBB111_1055
.LBB111_939:
	s_mov_b32 s54, -1
	s_mov_b32 s55, 0
	s_mov_b32 s0, s49
	s_branch .LBB111_1013
.LBB111_940:
	s_mov_b32 s56, -1
	s_mov_b32 s55, 0
	s_mov_b32 s0, s49
	s_branch .LBB111_971
.LBB111_941:
	s_mov_b32 s56, -1
	s_mov_b32 s55, 0
	s_mov_b32 s0, s49
	s_branch .LBB111_954
.LBB111_942:
	s_mov_b32 s56, -1
	s_mov_b32 s55, 0
	s_mov_b32 s0, s49
	s_branch .LBB111_950
.LBB111_943:
	s_mov_b32 s56, -1
	s_mov_b32 s55, 0
	s_mov_b32 s0, s49
.LBB111_944:
	s_and_b32 vcc_lo, exec_lo, s56
	s_cbranch_vccz .LBB111_949
; %bb.945:
	s_cmp_eq_u32 s54, 44
	s_mov_b32 s0, -1
	s_cbranch_scc0 .LBB111_949
; %bb.946:
	s_wait_xcnt 0x0
	s_delay_alu instid0(VALU_DEP_2) | instskip(SKIP_2) | instid1(VALU_DEP_2)
	v_cvt_f32_f64_e32 v2, v[0:1]
	v_mov_b32_e32 v3, 0xff
	s_mov_b32 s55, exec_lo
	v_bfe_u32 v5, v2, 23, 8
	s_delay_alu instid0(VALU_DEP_1)
	v_cmpx_ne_u32_e32 0xff, v5
	s_cbranch_execz .LBB111_948
; %bb.947:
	v_and_b32_e32 v3, 0x400000, v2
	v_and_or_b32 v5, 0x3fffff, v2, v5
	v_lshrrev_b32_e32 v2, 23, v2
	s_delay_alu instid0(VALU_DEP_3) | instskip(NEXT) | instid1(VALU_DEP_3)
	v_cmp_ne_u32_e32 vcc_lo, 0, v3
	v_cmp_ne_u32_e64 s0, 0, v5
	s_and_b32 s0, vcc_lo, s0
	s_delay_alu instid0(SALU_CYCLE_1) | instskip(NEXT) | instid1(VALU_DEP_1)
	v_cndmask_b32_e64 v3, 0, 1, s0
	v_add_nc_u32_e32 v3, v2, v3
.LBB111_948:
	s_or_b32 exec_lo, exec_lo, s55
	s_mov_b32 s55, -1
	s_mov_b32 s0, 0
	global_store_b8 v[6:7], v3, off
.LBB111_949:
	s_mov_b32 s56, 0
.LBB111_950:
	s_delay_alu instid0(SALU_CYCLE_1)
	s_and_b32 vcc_lo, exec_lo, s56
	s_cbranch_vccz .LBB111_953
; %bb.951:
	s_cmp_eq_u32 s54, 29
	s_mov_b32 s0, -1
	s_cbranch_scc0 .LBB111_953
; %bb.952:
	s_wait_xcnt 0x0
	s_delay_alu instid0(VALU_DEP_2) | instskip(SKIP_3) | instid1(VALU_DEP_1)
	v_trunc_f64_e32 v[2:3], v[0:1]
	s_mov_b32 s55, -1
	s_mov_b32 s0, 0
	s_mov_b32 s56, 0
	v_ldexp_f64 v[8:9], v[2:3], 0xffffffe0
	s_delay_alu instid0(VALU_DEP_1) | instskip(NEXT) | instid1(VALU_DEP_1)
	v_floor_f64_e32 v[8:9], v[8:9]
	v_fmamk_f64 v[2:3], v[8:9], 0xc1f00000, v[2:3]
	v_cvt_u32_f64_e32 v9, v[8:9]
	s_delay_alu instid0(VALU_DEP_2)
	v_cvt_u32_f64_e32 v8, v[2:3]
	global_store_b64 v[6:7], v[8:9], off
	s_branch .LBB111_954
.LBB111_953:
	s_mov_b32 s56, 0
.LBB111_954:
	s_delay_alu instid0(SALU_CYCLE_1)
	s_and_b32 vcc_lo, exec_lo, s56
	s_cbranch_vccz .LBB111_970
; %bb.955:
	s_cmp_lt_i32 s54, 27
	s_mov_b32 s55, -1
	s_cbranch_scc1 .LBB111_961
; %bb.956:
	s_cmp_gt_i32 s54, 27
	s_cbranch_scc0 .LBB111_958
; %bb.957:
	s_wait_xcnt 0x0
	s_delay_alu instid0(VALU_DEP_2)
	v_cvt_u32_f64_e32 v2, v[0:1]
	s_mov_b32 s55, 0
	global_store_b32 v[6:7], v2, off
.LBB111_958:
	s_and_not1_b32 vcc_lo, exec_lo, s55
	s_cbranch_vccnz .LBB111_960
; %bb.959:
	s_wait_xcnt 0x0
	s_delay_alu instid0(VALU_DEP_2)
	v_cvt_u32_f64_e32 v2, v[0:1]
	global_store_b16 v[6:7], v2, off
.LBB111_960:
	s_mov_b32 s55, 0
.LBB111_961:
	s_delay_alu instid0(SALU_CYCLE_1)
	s_and_not1_b32 vcc_lo, exec_lo, s55
	s_cbranch_vccnz .LBB111_969
; %bb.962:
	s_wait_xcnt 0x0
	s_delay_alu instid0(VALU_DEP_2) | instskip(SKIP_2) | instid1(VALU_DEP_2)
	v_cvt_f32_f64_e32 v2, v[0:1]
	v_mov_b32_e32 v5, 0x80
	s_mov_b32 s55, exec_lo
	v_and_b32_e32 v3, 0x7fffffff, v2
	s_delay_alu instid0(VALU_DEP_1)
	v_cmpx_gt_u32_e32 0x43800000, v3
	s_cbranch_execz .LBB111_968
; %bb.963:
	v_cmp_lt_u32_e32 vcc_lo, 0x3bffffff, v3
	s_mov_b32 s56, 0
                                        ; implicit-def: $vgpr3
	s_and_saveexec_b32 s57, vcc_lo
	s_delay_alu instid0(SALU_CYCLE_1)
	s_xor_b32 s57, exec_lo, s57
	s_cbranch_execz .LBB111_1213
; %bb.964:
	v_bfe_u32 v3, v2, 20, 1
	s_mov_b32 s56, exec_lo
	s_delay_alu instid0(VALU_DEP_1) | instskip(NEXT) | instid1(VALU_DEP_1)
	v_add3_u32 v3, v2, v3, 0x487ffff
	v_lshrrev_b32_e32 v3, 20, v3
	s_and_not1_saveexec_b32 s57, s57
	s_cbranch_execnz .LBB111_1214
.LBB111_965:
	s_or_b32 exec_lo, exec_lo, s57
	v_mov_b32_e32 v5, 0
	s_and_saveexec_b32 s57, s56
.LBB111_966:
	v_lshrrev_b32_e32 v2, 24, v2
	s_delay_alu instid0(VALU_DEP_1)
	v_and_or_b32 v5, 0x80, v2, v3
.LBB111_967:
	s_or_b32 exec_lo, exec_lo, s57
.LBB111_968:
	s_delay_alu instid0(SALU_CYCLE_1)
	s_or_b32 exec_lo, exec_lo, s55
	global_store_b8 v[6:7], v5, off
.LBB111_969:
	s_mov_b32 s55, -1
.LBB111_970:
	s_mov_b32 s56, 0
.LBB111_971:
	s_delay_alu instid0(SALU_CYCLE_1)
	s_and_b32 vcc_lo, exec_lo, s56
	s_cbranch_vccz .LBB111_1012
; %bb.972:
	s_cmp_gt_i32 s54, 22
	s_mov_b32 s56, -1
	s_cbranch_scc0 .LBB111_1004
; %bb.973:
	s_cmp_lt_i32 s54, 24
	s_mov_b32 s55, -1
	s_cbranch_scc1 .LBB111_993
; %bb.974:
	s_cmp_gt_i32 s54, 24
	s_cbranch_scc0 .LBB111_982
; %bb.975:
	s_wait_xcnt 0x0
	s_delay_alu instid0(VALU_DEP_2) | instskip(SKIP_2) | instid1(VALU_DEP_2)
	v_cvt_f32_f64_e32 v2, v[0:1]
	v_mov_b32_e32 v5, 0x80
	s_mov_b32 s55, exec_lo
	v_and_b32_e32 v3, 0x7fffffff, v2
	s_delay_alu instid0(VALU_DEP_1)
	v_cmpx_gt_u32_e32 0x47800000, v3
	s_cbranch_execz .LBB111_981
; %bb.976:
	v_cmp_lt_u32_e32 vcc_lo, 0x37ffffff, v3
	s_mov_b32 s56, 0
                                        ; implicit-def: $vgpr3
	s_and_saveexec_b32 s57, vcc_lo
	s_delay_alu instid0(SALU_CYCLE_1)
	s_xor_b32 s57, exec_lo, s57
	s_cbranch_execz .LBB111_1345
; %bb.977:
	v_bfe_u32 v3, v2, 21, 1
	s_mov_b32 s56, exec_lo
	s_delay_alu instid0(VALU_DEP_1) | instskip(NEXT) | instid1(VALU_DEP_1)
	v_add3_u32 v3, v2, v3, 0x88fffff
	v_lshrrev_b32_e32 v3, 21, v3
	s_and_not1_saveexec_b32 s57, s57
	s_cbranch_execnz .LBB111_1346
.LBB111_978:
	s_or_b32 exec_lo, exec_lo, s57
	v_mov_b32_e32 v5, 0
	s_and_saveexec_b32 s57, s56
.LBB111_979:
	v_lshrrev_b32_e32 v2, 24, v2
	s_delay_alu instid0(VALU_DEP_1)
	v_and_or_b32 v5, 0x80, v2, v3
.LBB111_980:
	s_or_b32 exec_lo, exec_lo, s57
.LBB111_981:
	s_delay_alu instid0(SALU_CYCLE_1)
	s_or_b32 exec_lo, exec_lo, s55
	s_mov_b32 s55, 0
	global_store_b8 v[6:7], v5, off
.LBB111_982:
	s_and_b32 vcc_lo, exec_lo, s55
	s_cbranch_vccz .LBB111_992
; %bb.983:
	s_wait_xcnt 0x0
	s_delay_alu instid0(VALU_DEP_2) | instskip(SKIP_1) | instid1(VALU_DEP_1)
	v_cvt_f32_f64_e32 v2, v[0:1]
	s_mov_b32 s55, exec_lo
                                        ; implicit-def: $vgpr3
	v_and_b32_e32 v5, 0x7fffffff, v2
	s_delay_alu instid0(VALU_DEP_1)
	v_cmpx_gt_u32_e32 0x43f00000, v5
	s_xor_b32 s55, exec_lo, s55
	s_cbranch_execz .LBB111_989
; %bb.984:
	s_mov_b32 s56, exec_lo
                                        ; implicit-def: $vgpr3
	v_cmpx_lt_u32_e32 0x3c7fffff, v5
	s_xor_b32 s56, exec_lo, s56
; %bb.985:
	v_bfe_u32 v3, v2, 20, 1
	s_delay_alu instid0(VALU_DEP_1) | instskip(NEXT) | instid1(VALU_DEP_1)
	v_add3_u32 v3, v2, v3, 0x407ffff
	v_and_b32_e32 v5, 0xff00000, v3
	v_lshrrev_b32_e32 v3, 20, v3
	s_delay_alu instid0(VALU_DEP_2) | instskip(NEXT) | instid1(VALU_DEP_2)
	v_cmp_ne_u32_e32 vcc_lo, 0x7f00000, v5
	v_cndmask_b32_e32 v3, 0x7e, v3, vcc_lo
; %bb.986:
	s_and_not1_saveexec_b32 s56, s56
; %bb.987:
	v_add_f32_e64 v3, 0x46800000, |v2|
; %bb.988:
	s_or_b32 exec_lo, exec_lo, s56
                                        ; implicit-def: $vgpr5
.LBB111_989:
	s_and_not1_saveexec_b32 s55, s55
; %bb.990:
	v_mov_b32_e32 v3, 0x7f
	v_cmp_lt_u32_e32 vcc_lo, 0x7f800000, v5
	s_delay_alu instid0(VALU_DEP_2)
	v_cndmask_b32_e32 v3, 0x7e, v3, vcc_lo
; %bb.991:
	s_or_b32 exec_lo, exec_lo, s55
	v_lshrrev_b32_e32 v2, 24, v2
	s_delay_alu instid0(VALU_DEP_1)
	v_and_or_b32 v2, 0x80, v2, v3
	global_store_b8 v[6:7], v2, off
.LBB111_992:
	s_mov_b32 s55, 0
.LBB111_993:
	s_delay_alu instid0(SALU_CYCLE_1)
	s_and_not1_b32 vcc_lo, exec_lo, s55
	s_cbranch_vccnz .LBB111_1003
; %bb.994:
	s_wait_xcnt 0x0
	s_delay_alu instid0(VALU_DEP_2) | instskip(SKIP_1) | instid1(VALU_DEP_1)
	v_cvt_f32_f64_e32 v2, v[0:1]
	s_mov_b32 s55, exec_lo
                                        ; implicit-def: $vgpr3
	v_and_b32_e32 v5, 0x7fffffff, v2
	s_delay_alu instid0(VALU_DEP_1)
	v_cmpx_gt_u32_e32 0x47800000, v5
	s_xor_b32 s55, exec_lo, s55
	s_cbranch_execz .LBB111_1000
; %bb.995:
	s_mov_b32 s56, exec_lo
                                        ; implicit-def: $vgpr3
	v_cmpx_lt_u32_e32 0x387fffff, v5
	s_xor_b32 s56, exec_lo, s56
; %bb.996:
	v_bfe_u32 v3, v2, 21, 1
	s_delay_alu instid0(VALU_DEP_1) | instskip(NEXT) | instid1(VALU_DEP_1)
	v_add3_u32 v3, v2, v3, 0x80fffff
	v_lshrrev_b32_e32 v3, 21, v3
; %bb.997:
	s_and_not1_saveexec_b32 s56, s56
; %bb.998:
	v_add_f32_e64 v3, 0x43000000, |v2|
; %bb.999:
	s_or_b32 exec_lo, exec_lo, s56
                                        ; implicit-def: $vgpr5
.LBB111_1000:
	s_and_not1_saveexec_b32 s55, s55
; %bb.1001:
	v_mov_b32_e32 v3, 0x7f
	v_cmp_lt_u32_e32 vcc_lo, 0x7f800000, v5
	s_delay_alu instid0(VALU_DEP_2)
	v_cndmask_b32_e32 v3, 0x7c, v3, vcc_lo
; %bb.1002:
	s_or_b32 exec_lo, exec_lo, s55
	v_lshrrev_b32_e32 v2, 24, v2
	s_delay_alu instid0(VALU_DEP_1)
	v_and_or_b32 v2, 0x80, v2, v3
	global_store_b8 v[6:7], v2, off
.LBB111_1003:
	s_mov_b32 s56, 0
	s_mov_b32 s55, -1
.LBB111_1004:
	s_and_not1_b32 vcc_lo, exec_lo, s56
	s_cbranch_vccnz .LBB111_1012
; %bb.1005:
	s_cmp_gt_i32 s54, 14
	s_mov_b32 s56, -1
	s_cbranch_scc0 .LBB111_1009
; %bb.1006:
	s_cmp_eq_u32 s54, 15
	s_mov_b32 s0, -1
	s_cbranch_scc0 .LBB111_1008
; %bb.1007:
	s_wait_xcnt 0x0
	s_delay_alu instid0(VALU_DEP_2) | instskip(SKIP_2) | instid1(VALU_DEP_1)
	v_cvt_f32_f64_e32 v2, v[0:1]
	s_mov_b32 s55, -1
	s_mov_b32 s0, 0
	v_bfe_u32 v3, v2, 16, 1
	v_cmp_o_f32_e32 vcc_lo, v2, v2
	s_delay_alu instid0(VALU_DEP_2) | instskip(NEXT) | instid1(VALU_DEP_1)
	v_add3_u32 v3, v2, v3, 0x7fff
	v_lshrrev_b32_e32 v3, 16, v3
	s_delay_alu instid0(VALU_DEP_1)
	v_cndmask_b32_e32 v2, 0x7fc0, v3, vcc_lo
	global_store_b16 v[6:7], v2, off
.LBB111_1008:
	s_mov_b32 s56, 0
.LBB111_1009:
	s_delay_alu instid0(SALU_CYCLE_1)
	s_and_b32 vcc_lo, exec_lo, s56
	s_cbranch_vccz .LBB111_1012
; %bb.1010:
	s_cmp_eq_u32 s54, 11
	s_mov_b32 s0, -1
	s_cbranch_scc0 .LBB111_1012
; %bb.1011:
	s_delay_alu instid0(VALU_DEP_2)
	v_cmp_neq_f64_e32 vcc_lo, 0, v[0:1]
	s_mov_b32 s55, -1
	s_mov_b32 s0, 0
	s_wait_xcnt 0x0
	v_cndmask_b32_e64 v2, 0, 1, vcc_lo
	global_store_b8 v[6:7], v2, off
.LBB111_1012:
	s_mov_b32 s54, 0
.LBB111_1013:
	s_delay_alu instid0(SALU_CYCLE_1)
	s_and_b32 vcc_lo, exec_lo, s54
	s_cbranch_vccz .LBB111_1052
; %bb.1014:
	s_and_b32 s37, 0xffff, s37
	s_mov_b32 s54, -1
	s_cmp_lt_i32 s37, 5
	s_cbranch_scc1 .LBB111_1035
; %bb.1015:
	s_cmp_lt_i32 s37, 8
	s_cbranch_scc1 .LBB111_1025
; %bb.1016:
	s_cmp_lt_i32 s37, 9
	s_cbranch_scc1 .LBB111_1022
; %bb.1017:
	s_cmp_gt_i32 s37, 9
	s_cbranch_scc0 .LBB111_1019
; %bb.1018:
	s_wait_xcnt 0x0
	v_mov_b32_e32 v2, 0
	s_mov_b32 s54, 0
	s_delay_alu instid0(VALU_DEP_1)
	v_mov_b32_e32 v3, v2
	global_store_b128 v[6:7], v[0:3], off
.LBB111_1019:
	s_and_not1_b32 vcc_lo, exec_lo, s54
	s_cbranch_vccnz .LBB111_1021
; %bb.1020:
	s_wait_xcnt 0x0
	s_delay_alu instid0(VALU_DEP_2)
	v_cvt_f32_f64_e32 v2, v[0:1]
	v_mov_b32_e32 v3, 0
	global_store_b64 v[6:7], v[2:3], off
.LBB111_1021:
	s_mov_b32 s54, 0
.LBB111_1022:
	s_delay_alu instid0(SALU_CYCLE_1)
	s_and_not1_b32 vcc_lo, exec_lo, s54
	s_cbranch_vccnz .LBB111_1024
; %bb.1023:
	s_wait_xcnt 0x0
	s_delay_alu instid0(VALU_DEP_2) | instskip(SKIP_2) | instid1(VALU_DEP_3)
	v_and_or_b32 v2, 0x1ff, v1, v0
	v_lshrrev_b32_e32 v3, 8, v1
	v_bfe_u32 v5, v1, 20, 11
	v_cmp_ne_u32_e32 vcc_lo, 0, v2
	s_delay_alu instid0(VALU_DEP_2) | instskip(SKIP_2) | instid1(VALU_DEP_1)
	v_sub_nc_u32_e32 v8, 0x3f1, v5
	v_add_nc_u32_e32 v5, 0xfffffc10, v5
	v_cndmask_b32_e64 v2, 0, 1, vcc_lo
	v_and_or_b32 v2, 0xffe, v3, v2
	s_delay_alu instid0(VALU_DEP_4) | instskip(NEXT) | instid1(VALU_DEP_2)
	v_med3_i32 v3, v8, 0, 13
	v_or_b32_e32 v8, 0x1000, v2
	s_delay_alu instid0(VALU_DEP_1) | instskip(NEXT) | instid1(VALU_DEP_1)
	v_lshrrev_b32_e32 v9, v3, v8
	v_lshlrev_b32_e32 v3, v3, v9
	s_delay_alu instid0(VALU_DEP_1) | instskip(SKIP_3) | instid1(VALU_DEP_2)
	v_cmp_ne_u32_e32 vcc_lo, v3, v8
	v_lshl_or_b32 v8, v5, 12, v2
	v_cndmask_b32_e64 v3, 0, 1, vcc_lo
	v_cmp_gt_i32_e32 vcc_lo, 1, v5
	v_or_b32_e32 v3, v9, v3
	s_delay_alu instid0(VALU_DEP_1) | instskip(NEXT) | instid1(VALU_DEP_1)
	v_cndmask_b32_e32 v3, v8, v3, vcc_lo
	v_dual_lshrrev_b32 v3, 2, v3 :: v_dual_bitop2_b32 v8, 7, v3 bitop3:0x40
	s_delay_alu instid0(VALU_DEP_1) | instskip(SKIP_4) | instid1(VALU_DEP_2)
	v_cmp_lt_i32_e32 vcc_lo, 5, v8
	v_cndmask_b32_e64 v9, 0, 1, vcc_lo
	v_cmp_eq_u32_e32 vcc_lo, 3, v8
	v_cndmask_b32_e64 v8, 0, 1, vcc_lo
	v_cmp_ne_u32_e32 vcc_lo, 0, v2
	v_or_b32_e32 v8, v8, v9
	v_mov_b32_e32 v9, 0x7e00
	s_delay_alu instid0(VALU_DEP_1) | instskip(SKIP_1) | instid1(VALU_DEP_2)
	v_dual_cndmask_b32 v2, 0x7c00, v9 :: v_dual_add_nc_u32 v3, v3, v8
	v_cmp_gt_i32_e32 vcc_lo, 31, v5
	v_dual_cndmask_b32 v3, 0x7c00, v3 :: v_dual_lshrrev_b32 v8, 16, v1
	v_cmp_eq_u32_e32 vcc_lo, 0x40f, v5
	s_delay_alu instid0(VALU_DEP_2) | instskip(NEXT) | instid1(VALU_DEP_3)
	v_cndmask_b32_e32 v2, v3, v2, vcc_lo
	v_and_b32_e32 v3, 0x8000, v8
	s_delay_alu instid0(VALU_DEP_1)
	v_bitop3_b32 v2, v3, 0xffff, v2 bitop3:0xc8
	global_store_b32 v[6:7], v2, off
.LBB111_1024:
	s_mov_b32 s54, 0
.LBB111_1025:
	s_delay_alu instid0(SALU_CYCLE_1)
	s_and_not1_b32 vcc_lo, exec_lo, s54
	s_cbranch_vccnz .LBB111_1034
; %bb.1026:
	s_cmp_lt_i32 s37, 6
	s_mov_b32 s54, -1
	s_cbranch_scc1 .LBB111_1032
; %bb.1027:
	s_cmp_gt_i32 s37, 6
	s_cbranch_scc0 .LBB111_1029
; %bb.1028:
	s_mov_b32 s54, 0
	global_store_b64 v[6:7], v[0:1], off
.LBB111_1029:
	s_and_not1_b32 vcc_lo, exec_lo, s54
	s_cbranch_vccnz .LBB111_1031
; %bb.1030:
	s_wait_xcnt 0x0
	s_delay_alu instid0(VALU_DEP_2)
	v_cvt_f32_f64_e32 v2, v[0:1]
	global_store_b32 v[6:7], v2, off
.LBB111_1031:
	s_mov_b32 s54, 0
.LBB111_1032:
	s_delay_alu instid0(SALU_CYCLE_1)
	s_and_not1_b32 vcc_lo, exec_lo, s54
	s_cbranch_vccnz .LBB111_1034
; %bb.1033:
	s_wait_xcnt 0x0
	s_delay_alu instid0(VALU_DEP_2) | instskip(SKIP_2) | instid1(VALU_DEP_3)
	v_and_or_b32 v2, 0x1ff, v1, v0
	v_lshrrev_b32_e32 v3, 8, v1
	v_bfe_u32 v5, v1, 20, 11
	v_cmp_ne_u32_e32 vcc_lo, 0, v2
	s_delay_alu instid0(VALU_DEP_2) | instskip(SKIP_2) | instid1(VALU_DEP_1)
	v_sub_nc_u32_e32 v8, 0x3f1, v5
	v_add_nc_u32_e32 v5, 0xfffffc10, v5
	v_cndmask_b32_e64 v2, 0, 1, vcc_lo
	v_and_or_b32 v2, 0xffe, v3, v2
	s_delay_alu instid0(VALU_DEP_4) | instskip(NEXT) | instid1(VALU_DEP_2)
	v_med3_i32 v3, v8, 0, 13
	v_or_b32_e32 v8, 0x1000, v2
	s_delay_alu instid0(VALU_DEP_1) | instskip(NEXT) | instid1(VALU_DEP_1)
	v_lshrrev_b32_e32 v9, v3, v8
	v_lshlrev_b32_e32 v3, v3, v9
	s_delay_alu instid0(VALU_DEP_1) | instskip(SKIP_3) | instid1(VALU_DEP_2)
	v_cmp_ne_u32_e32 vcc_lo, v3, v8
	v_lshl_or_b32 v8, v5, 12, v2
	v_cndmask_b32_e64 v3, 0, 1, vcc_lo
	v_cmp_gt_i32_e32 vcc_lo, 1, v5
	v_or_b32_e32 v3, v9, v3
	s_delay_alu instid0(VALU_DEP_1) | instskip(NEXT) | instid1(VALU_DEP_1)
	v_cndmask_b32_e32 v3, v8, v3, vcc_lo
	v_dual_lshrrev_b32 v3, 2, v3 :: v_dual_bitop2_b32 v8, 7, v3 bitop3:0x40
	s_delay_alu instid0(VALU_DEP_1) | instskip(SKIP_4) | instid1(VALU_DEP_2)
	v_cmp_lt_i32_e32 vcc_lo, 5, v8
	v_cndmask_b32_e64 v9, 0, 1, vcc_lo
	v_cmp_eq_u32_e32 vcc_lo, 3, v8
	v_cndmask_b32_e64 v8, 0, 1, vcc_lo
	v_cmp_ne_u32_e32 vcc_lo, 0, v2
	v_or_b32_e32 v8, v8, v9
	v_mov_b32_e32 v9, 0x7e00
	s_delay_alu instid0(VALU_DEP_1) | instskip(SKIP_1) | instid1(VALU_DEP_2)
	v_dual_cndmask_b32 v2, 0x7c00, v9 :: v_dual_add_nc_u32 v3, v3, v8
	v_cmp_gt_i32_e32 vcc_lo, 31, v5
	v_cndmask_b32_e32 v3, 0x7c00, v3, vcc_lo
	v_cmp_eq_u32_e32 vcc_lo, 0x40f, v5
	s_delay_alu instid0(VALU_DEP_2) | instskip(NEXT) | instid1(VALU_DEP_1)
	v_dual_cndmask_b32 v2, v3, v2 :: v_dual_lshrrev_b32 v3, 16, v1
	v_and_or_b32 v2, 0x8000, v3, v2
	global_store_b16 v[6:7], v2, off
.LBB111_1034:
	s_mov_b32 s54, 0
.LBB111_1035:
	s_delay_alu instid0(SALU_CYCLE_1)
	s_and_not1_b32 vcc_lo, exec_lo, s54
	s_cbranch_vccnz .LBB111_1051
; %bb.1036:
	s_cmp_lt_i32 s37, 2
	s_mov_b32 s54, -1
	s_cbranch_scc1 .LBB111_1046
; %bb.1037:
	s_cmp_lt_i32 s37, 3
	s_cbranch_scc1 .LBB111_1043
; %bb.1038:
	s_cmp_gt_i32 s37, 3
	s_cbranch_scc0 .LBB111_1040
; %bb.1039:
	s_wait_xcnt 0x0
	s_delay_alu instid0(VALU_DEP_2) | instskip(SKIP_1) | instid1(VALU_DEP_1)
	v_trunc_f64_e32 v[2:3], v[0:1]
	s_mov_b32 s54, 0
	v_ldexp_f64 v[8:9], v[2:3], 0xffffffe0
	s_delay_alu instid0(VALU_DEP_1) | instskip(NEXT) | instid1(VALU_DEP_1)
	v_floor_f64_e32 v[8:9], v[8:9]
	v_fmamk_f64 v[2:3], v[8:9], 0xc1f00000, v[2:3]
	v_cvt_i32_f64_e32 v9, v[8:9]
	s_delay_alu instid0(VALU_DEP_2)
	v_cvt_u32_f64_e32 v8, v[2:3]
	global_store_b64 v[6:7], v[8:9], off
.LBB111_1040:
	s_and_not1_b32 vcc_lo, exec_lo, s54
	s_cbranch_vccnz .LBB111_1042
; %bb.1041:
	s_wait_xcnt 0x0
	s_delay_alu instid0(VALU_DEP_2)
	v_cvt_i32_f64_e32 v2, v[0:1]
	global_store_b32 v[6:7], v2, off
.LBB111_1042:
	s_mov_b32 s54, 0
.LBB111_1043:
	s_delay_alu instid0(SALU_CYCLE_1)
	s_and_not1_b32 vcc_lo, exec_lo, s54
	s_cbranch_vccnz .LBB111_1045
; %bb.1044:
	s_wait_xcnt 0x0
	s_delay_alu instid0(VALU_DEP_2)
	v_cvt_i32_f64_e32 v2, v[0:1]
	global_store_b16 v[6:7], v2, off
.LBB111_1045:
	s_mov_b32 s54, 0
.LBB111_1046:
	s_delay_alu instid0(SALU_CYCLE_1)
	s_and_not1_b32 vcc_lo, exec_lo, s54
	s_cbranch_vccnz .LBB111_1051
; %bb.1047:
	s_cmp_gt_i32 s37, 0
	s_mov_b32 s37, -1
	s_cbranch_scc0 .LBB111_1049
; %bb.1048:
	s_wait_xcnt 0x0
	s_delay_alu instid0(VALU_DEP_2)
	v_cvt_i32_f64_e32 v2, v[0:1]
	s_mov_b32 s37, 0
	global_store_b8 v[6:7], v2, off
.LBB111_1049:
	s_and_not1_b32 vcc_lo, exec_lo, s37
	s_cbranch_vccnz .LBB111_1051
; %bb.1050:
	s_wait_xcnt 0x0
	s_delay_alu instid0(VALU_DEP_2) | instskip(NEXT) | instid1(VALU_DEP_1)
	v_trunc_f64_e32 v[0:1], v[0:1]
	v_ldexp_f64 v[2:3], v[0:1], 0xffffffe0
	s_delay_alu instid0(VALU_DEP_1) | instskip(NEXT) | instid1(VALU_DEP_1)
	v_floor_f64_e32 v[2:3], v[2:3]
	v_fmamk_f64 v[0:1], v[2:3], 0xc1f00000, v[0:1]
	s_delay_alu instid0(VALU_DEP_1)
	v_cvt_u32_f64_e32 v0, v[0:1]
	global_store_b8 v[6:7], v0, off
.LBB111_1051:
	s_mov_b32 s55, -1
.LBB111_1052:
	s_delay_alu instid0(SALU_CYCLE_1)
	s_and_not1_b32 vcc_lo, exec_lo, s55
	s_cbranch_vccnz .LBB111_1054
; %bb.1053:
	v_add_nc_u32_e32 v4, 0x80, v4
	s_mov_b32 s37, -1
	s_branch .LBB111_1056
.LBB111_1054:
	s_mov_b32 s37, 0
.LBB111_1055:
                                        ; implicit-def: $vgpr4
.LBB111_1056:
	s_and_not1_b32 s54, s49, exec_lo
	s_and_b32 s0, s0, exec_lo
	s_and_not1_b32 s56, s50, exec_lo
	s_and_b32 s36, s36, exec_lo
	s_or_b32 s55, s54, s0
	s_or_b32 s56, s56, s36
	s_and_not1_b32 s0, s51, exec_lo
	s_and_b32 s35, s35, exec_lo
	s_and_not1_b32 s36, s52, exec_lo
	s_and_b32 s34, s34, exec_lo
	s_or_b32 s57, s0, s35
	s_or_b32 s54, s36, s34
	s_or_not1_b32 s37, s37, exec_lo
.LBB111_1057:
	s_wait_xcnt 0x0
	s_or_b32 exec_lo, exec_lo, s58
	s_mov_b32 s35, 0
	s_mov_b32 s36, 0
	s_mov_b32 s34, 0
                                        ; implicit-def: $sgpr0
                                        ; implicit-def: $vgpr10_vgpr11
                                        ; implicit-def: $vgpr2
                                        ; implicit-def: $vgpr0
                                        ; implicit-def: $vgpr8
                                        ; implicit-def: $vgpr6_vgpr7
	s_and_saveexec_b32 s58, s37
	s_cbranch_execz .LBB111_1684
; %bb.1058:
	s_mov_b32 s37, -1
	s_mov_b32 s60, s54
	s_mov_b32 s62, s57
	s_mov_b32 s61, s56
	s_mov_b32 s63, s55
	s_mov_b32 s59, exec_lo
	v_cmpx_gt_i32_e64 s47, v4
	s_cbranch_execz .LBB111_1590
; %bb.1059:
	s_and_not1_b32 vcc_lo, exec_lo, s40
	s_cbranch_vccnz .LBB111_1065
; %bb.1060:
	s_and_not1_b32 vcc_lo, exec_lo, s48
	s_cbranch_vccnz .LBB111_1066
; %bb.1061:
	s_wait_loadcnt 0x0
	v_dual_mov_b32 v8, 0 :: v_dual_mov_b32 v1, v4
	v_dual_mov_b32 v0, 0 :: v_dual_mov_b32 v2, 0
	v_mov_b32_e32 v6, 0
	s_add_co_i32 s0, s46, 1
	s_mov_b64 s[34:35], 0xffffffffffffffe0
	s_and_b32 s0, s0, 30
	s_add_nc_u64 s[34:35], s[2:3], s[34:35]
	s_mov_b64 s[36:37], s[2:3]
.LBB111_1062:                           ; =>This Inner Loop Header: Depth=1
	s_clause 0x1
	s_load_b128 s[68:71], s[36:37], 0x4
	s_load_b64 s[72:73], s[36:37], 0x14
	s_load_b256 s[60:67], s[34:35], 0xe4
	s_add_co_i32 s0, s0, -2
	s_wait_xcnt 0x0
	s_add_nc_u64 s[36:37], s[36:37], 24
	s_cmp_eq_u32 s0, 0
	s_add_nc_u64 s[34:35], s[34:35], 32
	s_wait_kmcnt 0x0
	v_mul_hi_u32 v3, s69, v1
	s_delay_alu instid0(VALU_DEP_1) | instskip(NEXT) | instid1(VALU_DEP_1)
	v_add_nc_u32_e32 v3, v1, v3
	v_lshrrev_b32_e32 v3, s70, v3
	s_delay_alu instid0(VALU_DEP_1) | instskip(SKIP_1) | instid1(VALU_DEP_1)
	v_mul_hi_u32 v5, s72, v3
	v_mul_lo_u32 v7, v3, s68
	v_dual_add_nc_u32 v5, v3, v5 :: v_dual_sub_nc_u32 v7, v1, v7
	s_delay_alu instid0(VALU_DEP_1) | instskip(NEXT) | instid1(VALU_DEP_2)
	v_lshrrev_b32_e32 v1, s73, v5
	v_mad_u32 v6, v7, s61, v6
	v_mad_u32 v2, v7, s60, v2
	;; [unrolled: 1-line block ×4, first 2 shown]
	v_mul_lo_u32 v5, v1, s71
	s_delay_alu instid0(VALU_DEP_1) | instskip(NEXT) | instid1(VALU_DEP_1)
	v_sub_nc_u32_e32 v3, v3, v5
	v_mad_u32 v6, v3, s65, v6
	v_mad_u32 v2, v3, s64, v2
	v_mad_u32 v0, v3, s67, v0
	v_mad_u32 v8, v3, s66, v7
	s_cbranch_scc0 .LBB111_1062
; %bb.1063:
	s_bitcmp1_b32 s46, 0
	s_cselect_b32 s0, -1, 0
	s_delay_alu instid0(SALU_CYCLE_1)
	s_and_b32 vcc_lo, exec_lo, s0
	s_cbranch_vccnz .LBB111_1067
; %bb.1064:
	s_load_b96 s[64:66], s[36:37], 0x4
	s_load_b128 s[60:63], s[34:35], 0xe4
	s_wait_kmcnt 0x0
	v_mul_hi_u32 v3, s65, v1
	s_delay_alu instid0(VALU_DEP_1) | instskip(NEXT) | instid1(VALU_DEP_1)
	v_add_nc_u32_e32 v3, v1, v3
	v_lshrrev_b32_e32 v3, s66, v3
	s_delay_alu instid0(VALU_DEP_1) | instskip(NEXT) | instid1(VALU_DEP_1)
	v_mul_lo_u32 v3, v3, s64
	v_sub_nc_u32_e32 v1, v1, v3
	s_delay_alu instid0(VALU_DEP_1)
	v_mad_u32 v2, v1, s60, v2
	v_mad_u32 v6, v1, s61, v6
	v_mad_u32 v8, v1, s62, v8
	v_mad_u32 v0, v1, s63, v0
	s_branch .LBB111_1067
.LBB111_1065:
	s_mov_b32 s0, -1
                                        ; implicit-def: $vgpr6
                                        ; implicit-def: $vgpr2
                                        ; implicit-def: $vgpr0
                                        ; implicit-def: $vgpr8
	s_branch .LBB111_1068
.LBB111_1066:
	s_wait_loadcnt 0x0
	v_dual_mov_b32 v6, 0 :: v_dual_mov_b32 v2, 0
	v_dual_mov_b32 v0, 0 :: v_dual_mov_b32 v8, 0
.LBB111_1067:
	s_mov_b32 s0, 0
.LBB111_1068:
	s_delay_alu instid0(SALU_CYCLE_1)
	s_and_not1_b32 vcc_lo, exec_lo, s0
	s_cbranch_vccnz .LBB111_1071
; %bb.1069:
	v_mov_b32_e32 v5, 0
	s_and_not1_b32 vcc_lo, exec_lo, s45
	s_delay_alu instid0(VALU_DEP_1) | instskip(NEXT) | instid1(VALU_DEP_1)
	v_mul_u64_e32 v[0:1], s[28:29], v[4:5]
	v_add_nc_u32_e32 v0, v4, v1
	s_wait_loadcnt 0x0
	s_delay_alu instid0(VALU_DEP_1) | instskip(NEXT) | instid1(VALU_DEP_1)
	v_lshrrev_b32_e32 v10, s26, v0
	v_mul_lo_u32 v0, v10, s24
	s_delay_alu instid0(VALU_DEP_1) | instskip(NEXT) | instid1(VALU_DEP_1)
	v_sub_nc_u32_e32 v1, v4, v0
	v_mul_lo_u32 v6, v1, s13
	v_mul_lo_u32 v2, v1, s12
	;; [unrolled: 1-line block ×4, first 2 shown]
	s_cbranch_vccnz .LBB111_1071
; %bb.1070:
	v_mov_b32_e32 v11, v5
	s_delay_alu instid0(VALU_DEP_1) | instskip(NEXT) | instid1(VALU_DEP_1)
	v_mul_u64_e32 v[12:13], s[30:31], v[10:11]
	v_add_nc_u32_e32 v1, v10, v13
	s_delay_alu instid0(VALU_DEP_1) | instskip(NEXT) | instid1(VALU_DEP_1)
	v_lshrrev_b32_e32 v1, s1, v1
	v_mul_lo_u32 v1, v1, s27
	s_delay_alu instid0(VALU_DEP_1) | instskip(NEXT) | instid1(VALU_DEP_1)
	v_sub_nc_u32_e32 v1, v10, v1
	v_mad_u32 v2, v1, s16, v2
	v_mad_u32 v6, v1, s17, v6
	;; [unrolled: 1-line block ×4, first 2 shown]
.LBB111_1071:
	s_wait_loadcnt 0x0
	v_mov_b32_e32 v7, 0
	s_and_b32 s0, s44, 0xff
	s_delay_alu instid0(SALU_CYCLE_1) | instskip(NEXT) | instid1(VALU_DEP_1)
	s_cmp_lt_i32 s0, 11
	v_add_nc_u64_e32 v[10:11], s[6:7], v[6:7]
	s_cbranch_scc1 .LBB111_1078
; %bb.1072:
	s_and_b32 s35, 0xffff, s0
	s_delay_alu instid0(SALU_CYCLE_1)
	s_cmp_gt_i32 s35, 25
	s_cbranch_scc0 .LBB111_1079
; %bb.1073:
	s_cmp_gt_i32 s35, 28
	s_cbranch_scc0 .LBB111_1080
; %bb.1074:
	;; [unrolled: 3-line block ×4, first 2 shown]
	s_cmp_eq_u32 s35, 46
	s_mov_b32 s37, 0
	s_cbranch_scc0 .LBB111_1083
; %bb.1077:
	global_load_b32 v1, v[10:11], off
	s_mov_b32 s36, -1
	s_mov_b32 s34, 0
	s_wait_loadcnt 0x0
	v_lshlrev_b32_e32 v1, 16, v1
	s_delay_alu instid0(VALU_DEP_1)
	v_cvt_f64_f32_e32 v[6:7], v1
	s_branch .LBB111_1085
.LBB111_1078:
	s_mov_b32 s35, -1
	s_mov_b32 s36, 0
	s_mov_b32 s34, s54
                                        ; implicit-def: $vgpr6_vgpr7
	s_branch .LBB111_1150
.LBB111_1079:
	s_mov_b32 s37, -1
	s_mov_b32 s36, 0
	s_mov_b32 s34, s54
                                        ; implicit-def: $vgpr6_vgpr7
	s_branch .LBB111_1114
.LBB111_1080:
	s_mov_b32 s37, -1
	s_mov_b32 s36, 0
	s_mov_b32 s34, s54
                                        ; implicit-def: $vgpr6_vgpr7
	s_branch .LBB111_1095
.LBB111_1081:
	s_mov_b32 s37, -1
	s_mov_b32 s36, 0
	s_mov_b32 s34, s54
                                        ; implicit-def: $vgpr6_vgpr7
	s_branch .LBB111_1090
.LBB111_1082:
	s_mov_b32 s37, -1
	s_mov_b32 s36, 0
	s_mov_b32 s34, s54
	s_branch .LBB111_1084
.LBB111_1083:
	s_mov_b32 s34, -1
	s_mov_b32 s36, 0
.LBB111_1084:
                                        ; implicit-def: $vgpr6_vgpr7
.LBB111_1085:
	s_and_b32 vcc_lo, exec_lo, s37
	s_cbranch_vccz .LBB111_1089
; %bb.1086:
	s_cmp_eq_u32 s35, 44
	s_cbranch_scc0 .LBB111_1088
; %bb.1087:
	global_load_u8 v1, v[10:11], off
	s_mov_b32 s34, 0
	s_mov_b32 s36, -1
	s_wait_loadcnt 0x0
	v_lshlrev_b32_e32 v3, 23, v1
	v_cmp_ne_u32_e32 vcc_lo, 0xff, v1
	s_delay_alu instid0(VALU_DEP_2) | instskip(NEXT) | instid1(VALU_DEP_1)
	v_cvt_f64_f32_e32 v[6:7], v3
	v_cndmask_b32_e32 v3, 0x20000000, v6, vcc_lo
	s_delay_alu instid0(VALU_DEP_2) | instskip(SKIP_1) | instid1(VALU_DEP_2)
	v_cndmask_b32_e32 v5, 0x7ff80000, v7, vcc_lo
	v_cmp_ne_u32_e32 vcc_lo, 0, v1
	v_cndmask_b32_e32 v7, 0x38000000, v5, vcc_lo
	s_delay_alu instid0(VALU_DEP_4)
	v_cndmask_b32_e32 v6, 0, v3, vcc_lo
	s_branch .LBB111_1089
.LBB111_1088:
	s_mov_b32 s34, -1
                                        ; implicit-def: $vgpr6_vgpr7
.LBB111_1089:
	s_mov_b32 s37, 0
.LBB111_1090:
	s_delay_alu instid0(SALU_CYCLE_1)
	s_and_b32 vcc_lo, exec_lo, s37
	s_cbranch_vccz .LBB111_1094
; %bb.1091:
	s_cmp_eq_u32 s35, 29
	s_cbranch_scc0 .LBB111_1093
; %bb.1092:
	global_load_b64 v[6:7], v[10:11], off
	s_mov_b32 s36, -1
	s_mov_b32 s34, 0
	s_mov_b32 s37, 0
	s_wait_loadcnt 0x0
	v_cvt_f64_u32_e32 v[12:13], v7
	v_cvt_f64_u32_e32 v[6:7], v6
	s_delay_alu instid0(VALU_DEP_2) | instskip(NEXT) | instid1(VALU_DEP_1)
	v_ldexp_f64 v[12:13], v[12:13], 32
	v_add_f64_e32 v[6:7], v[12:13], v[6:7]
	s_branch .LBB111_1095
.LBB111_1093:
	s_mov_b32 s34, -1
                                        ; implicit-def: $vgpr6_vgpr7
.LBB111_1094:
	s_mov_b32 s37, 0
.LBB111_1095:
	s_delay_alu instid0(SALU_CYCLE_1)
	s_and_b32 vcc_lo, exec_lo, s37
	s_cbranch_vccz .LBB111_1113
; %bb.1096:
	s_cmp_lt_i32 s35, 27
	s_cbranch_scc1 .LBB111_1099
; %bb.1097:
	s_cmp_gt_i32 s35, 27
	s_cbranch_scc0 .LBB111_1100
; %bb.1098:
	global_load_b32 v1, v[10:11], off
	s_mov_b32 s36, 0
	s_wait_loadcnt 0x0
	v_cvt_f64_u32_e32 v[6:7], v1
	s_branch .LBB111_1101
.LBB111_1099:
	s_mov_b32 s36, -1
                                        ; implicit-def: $vgpr6_vgpr7
	s_branch .LBB111_1104
.LBB111_1100:
	s_mov_b32 s36, -1
                                        ; implicit-def: $vgpr6_vgpr7
.LBB111_1101:
	s_delay_alu instid0(SALU_CYCLE_1)
	s_and_not1_b32 vcc_lo, exec_lo, s36
	s_cbranch_vccnz .LBB111_1103
; %bb.1102:
	global_load_u16 v1, v[10:11], off
	s_wait_loadcnt 0x0
	v_cvt_f64_u32_e32 v[6:7], v1
.LBB111_1103:
	s_mov_b32 s36, 0
.LBB111_1104:
	s_delay_alu instid0(SALU_CYCLE_1)
	s_and_not1_b32 vcc_lo, exec_lo, s36
	s_cbranch_vccnz .LBB111_1112
; %bb.1105:
	global_load_u8 v1, v[10:11], off
	s_mov_b32 s36, 0
	s_mov_b32 s37, exec_lo
	s_wait_loadcnt 0x0
	v_cmpx_lt_i16_e32 0x7f, v1
	s_xor_b32 s37, exec_lo, s37
	s_cbranch_execz .LBB111_1126
; %bb.1106:
	s_mov_b32 s36, -1
	s_mov_b32 s60, exec_lo
	v_cmpx_eq_u16_e32 0x80, v1
; %bb.1107:
	s_xor_b32 s36, exec_lo, -1
; %bb.1108:
	s_or_b32 exec_lo, exec_lo, s60
	s_delay_alu instid0(SALU_CYCLE_1)
	s_and_b32 s36, s36, exec_lo
	s_or_saveexec_b32 s37, s37
	v_mov_b64_e32 v[6:7], 0x7ff8000020000000
	s_xor_b32 exec_lo, exec_lo, s37
	s_cbranch_execnz .LBB111_1127
.LBB111_1109:
	s_or_b32 exec_lo, exec_lo, s37
	s_and_saveexec_b32 s37, s36
	s_cbranch_execz .LBB111_1111
.LBB111_1110:
	v_and_b32_e32 v3, 0xffff, v1
	s_delay_alu instid0(VALU_DEP_1) | instskip(SKIP_1) | instid1(VALU_DEP_2)
	v_and_b32_e32 v5, 7, v3
	v_bfe_u32 v9, v3, 3, 4
	v_clz_i32_u32_e32 v6, v5
	s_delay_alu instid0(VALU_DEP_2) | instskip(NEXT) | instid1(VALU_DEP_2)
	v_cmp_eq_u32_e32 vcc_lo, 0, v9
	v_min_u32_e32 v6, 32, v6
	s_delay_alu instid0(VALU_DEP_1) | instskip(NEXT) | instid1(VALU_DEP_1)
	v_subrev_nc_u32_e32 v7, 28, v6
	v_dual_lshlrev_b32 v3, v7, v3 :: v_dual_sub_nc_u32 v6, 29, v6
	s_delay_alu instid0(VALU_DEP_1) | instskip(NEXT) | instid1(VALU_DEP_2)
	v_dual_lshlrev_b32 v1, 24, v1 :: v_dual_bitop2_b32 v3, 7, v3 bitop3:0x40
	v_cndmask_b32_e32 v6, v9, v6, vcc_lo
	s_delay_alu instid0(VALU_DEP_2) | instskip(NEXT) | instid1(VALU_DEP_3)
	v_cndmask_b32_e32 v3, v5, v3, vcc_lo
	v_and_b32_e32 v1, 0x80000000, v1
	s_delay_alu instid0(VALU_DEP_3) | instskip(NEXT) | instid1(VALU_DEP_3)
	v_lshl_add_u32 v5, v6, 23, 0x3b800000
	v_lshlrev_b32_e32 v3, 20, v3
	s_delay_alu instid0(VALU_DEP_1) | instskip(NEXT) | instid1(VALU_DEP_1)
	v_or3_b32 v1, v1, v5, v3
	v_cvt_f64_f32_e32 v[6:7], v1
.LBB111_1111:
	s_or_b32 exec_lo, exec_lo, s37
.LBB111_1112:
	s_mov_b32 s36, -1
.LBB111_1113:
	s_mov_b32 s37, 0
.LBB111_1114:
	s_delay_alu instid0(SALU_CYCLE_1)
	s_and_b32 vcc_lo, exec_lo, s37
	s_cbranch_vccz .LBB111_1149
; %bb.1115:
	s_cmp_gt_i32 s35, 22
	s_cbranch_scc0 .LBB111_1125
; %bb.1116:
	s_cmp_lt_i32 s35, 24
	s_cbranch_scc1 .LBB111_1128
; %bb.1117:
	s_cmp_gt_i32 s35, 24
	s_cbranch_scc0 .LBB111_1129
; %bb.1118:
	global_load_u8 v1, v[10:11], off
	s_mov_b32 s36, 0
	s_mov_b32 s37, exec_lo
	s_wait_loadcnt 0x0
	v_cmpx_lt_i16_e32 0x7f, v1
	s_xor_b32 s37, exec_lo, s37
	s_cbranch_execz .LBB111_1141
; %bb.1119:
	s_mov_b32 s36, -1
	s_mov_b32 s60, exec_lo
	v_cmpx_eq_u16_e32 0x80, v1
; %bb.1120:
	s_xor_b32 s36, exec_lo, -1
; %bb.1121:
	s_or_b32 exec_lo, exec_lo, s60
	s_delay_alu instid0(SALU_CYCLE_1)
	s_and_b32 s36, s36, exec_lo
	s_or_saveexec_b32 s37, s37
	v_mov_b64_e32 v[6:7], 0x7ff8000020000000
	s_xor_b32 exec_lo, exec_lo, s37
	s_cbranch_execnz .LBB111_1142
.LBB111_1122:
	s_or_b32 exec_lo, exec_lo, s37
	s_and_saveexec_b32 s37, s36
	s_cbranch_execz .LBB111_1124
.LBB111_1123:
	v_and_b32_e32 v3, 0xffff, v1
	s_delay_alu instid0(VALU_DEP_1) | instskip(SKIP_1) | instid1(VALU_DEP_2)
	v_and_b32_e32 v5, 3, v3
	v_bfe_u32 v9, v3, 2, 5
	v_clz_i32_u32_e32 v6, v5
	s_delay_alu instid0(VALU_DEP_2) | instskip(NEXT) | instid1(VALU_DEP_2)
	v_cmp_eq_u32_e32 vcc_lo, 0, v9
	v_min_u32_e32 v6, 32, v6
	s_delay_alu instid0(VALU_DEP_1) | instskip(NEXT) | instid1(VALU_DEP_1)
	v_subrev_nc_u32_e32 v7, 29, v6
	v_dual_lshlrev_b32 v3, v7, v3 :: v_dual_sub_nc_u32 v6, 30, v6
	s_delay_alu instid0(VALU_DEP_1) | instskip(NEXT) | instid1(VALU_DEP_2)
	v_dual_lshlrev_b32 v1, 24, v1 :: v_dual_bitop2_b32 v3, 3, v3 bitop3:0x40
	v_cndmask_b32_e32 v6, v9, v6, vcc_lo
	s_delay_alu instid0(VALU_DEP_2) | instskip(NEXT) | instid1(VALU_DEP_3)
	v_cndmask_b32_e32 v3, v5, v3, vcc_lo
	v_and_b32_e32 v1, 0x80000000, v1
	s_delay_alu instid0(VALU_DEP_3) | instskip(NEXT) | instid1(VALU_DEP_3)
	v_lshl_add_u32 v5, v6, 23, 0x37800000
	v_lshlrev_b32_e32 v3, 21, v3
	s_delay_alu instid0(VALU_DEP_1) | instskip(NEXT) | instid1(VALU_DEP_1)
	v_or3_b32 v1, v1, v5, v3
	v_cvt_f64_f32_e32 v[6:7], v1
.LBB111_1124:
	s_or_b32 exec_lo, exec_lo, s37
	s_mov_b32 s36, 0
	s_branch .LBB111_1130
.LBB111_1125:
	s_mov_b32 s37, -1
                                        ; implicit-def: $vgpr6_vgpr7
	s_branch .LBB111_1136
.LBB111_1126:
	s_or_saveexec_b32 s37, s37
	v_mov_b64_e32 v[6:7], 0x7ff8000020000000
	s_xor_b32 exec_lo, exec_lo, s37
	s_cbranch_execz .LBB111_1109
.LBB111_1127:
	v_cmp_ne_u16_e32 vcc_lo, 0, v1
	v_mov_b64_e32 v[6:7], 0
	s_and_not1_b32 s36, s36, exec_lo
	s_and_b32 s60, vcc_lo, exec_lo
	s_delay_alu instid0(SALU_CYCLE_1)
	s_or_b32 s36, s36, s60
	s_or_b32 exec_lo, exec_lo, s37
	s_and_saveexec_b32 s37, s36
	s_cbranch_execnz .LBB111_1110
	s_branch .LBB111_1111
.LBB111_1128:
	s_mov_b32 s36, -1
                                        ; implicit-def: $vgpr6_vgpr7
	s_branch .LBB111_1133
.LBB111_1129:
	s_mov_b32 s36, -1
                                        ; implicit-def: $vgpr6_vgpr7
.LBB111_1130:
	s_delay_alu instid0(SALU_CYCLE_1)
	s_and_b32 vcc_lo, exec_lo, s36
	s_cbranch_vccz .LBB111_1132
; %bb.1131:
	global_load_u8 v1, v[10:11], off
	s_wait_loadcnt 0x0
	v_lshlrev_b32_e32 v1, 24, v1
	s_delay_alu instid0(VALU_DEP_1) | instskip(NEXT) | instid1(VALU_DEP_1)
	v_and_b32_e32 v3, 0x7f000000, v1
	v_clz_i32_u32_e32 v5, v3
	v_add_nc_u32_e32 v7, 0x1000000, v3
	v_cmp_ne_u32_e32 vcc_lo, 0, v3
	s_delay_alu instid0(VALU_DEP_3) | instskip(NEXT) | instid1(VALU_DEP_1)
	v_min_u32_e32 v5, 32, v5
	v_sub_nc_u32_e64 v5, v5, 4 clamp
	s_delay_alu instid0(VALU_DEP_1) | instskip(NEXT) | instid1(VALU_DEP_1)
	v_dual_lshlrev_b32 v6, v5, v3 :: v_dual_lshlrev_b32 v5, 23, v5
	v_lshrrev_b32_e32 v6, 4, v6
	s_delay_alu instid0(VALU_DEP_1) | instskip(NEXT) | instid1(VALU_DEP_1)
	v_dual_sub_nc_u32 v5, v6, v5 :: v_dual_ashrrev_i32 v6, 8, v7
	v_add_nc_u32_e32 v5, 0x3c000000, v5
	s_delay_alu instid0(VALU_DEP_1) | instskip(NEXT) | instid1(VALU_DEP_1)
	v_and_or_b32 v5, 0x7f800000, v6, v5
	v_cndmask_b32_e32 v3, 0, v5, vcc_lo
	s_delay_alu instid0(VALU_DEP_1) | instskip(NEXT) | instid1(VALU_DEP_1)
	v_and_or_b32 v1, 0x80000000, v1, v3
	v_cvt_f64_f32_e32 v[6:7], v1
.LBB111_1132:
	s_mov_b32 s36, 0
.LBB111_1133:
	s_delay_alu instid0(SALU_CYCLE_1)
	s_and_not1_b32 vcc_lo, exec_lo, s36
	s_cbranch_vccnz .LBB111_1135
; %bb.1134:
	global_load_u8 v1, v[10:11], off
	s_wait_loadcnt 0x0
	v_lshlrev_b32_e32 v3, 25, v1
	v_lshlrev_b16 v1, 8, v1
	s_delay_alu instid0(VALU_DEP_1) | instskip(SKIP_1) | instid1(VALU_DEP_2)
	v_and_or_b32 v6, 0x7f00, v1, 0.5
	v_bfe_i32 v1, v1, 0, 16
	v_dual_add_f32 v6, -0.5, v6 :: v_dual_lshrrev_b32 v5, 4, v3
	v_cmp_gt_u32_e32 vcc_lo, 0x8000000, v3
	s_delay_alu instid0(VALU_DEP_2) | instskip(NEXT) | instid1(VALU_DEP_1)
	v_or_b32_e32 v5, 0x70000000, v5
	v_mul_f32_e32 v5, 0x7800000, v5
	s_delay_alu instid0(VALU_DEP_1) | instskip(NEXT) | instid1(VALU_DEP_1)
	v_cndmask_b32_e32 v3, v5, v6, vcc_lo
	v_and_or_b32 v1, 0x80000000, v1, v3
	s_delay_alu instid0(VALU_DEP_1)
	v_cvt_f64_f32_e32 v[6:7], v1
.LBB111_1135:
	s_mov_b32 s37, 0
	s_mov_b32 s36, -1
.LBB111_1136:
	s_and_not1_b32 vcc_lo, exec_lo, s37
	s_cbranch_vccnz .LBB111_1149
; %bb.1137:
	s_cmp_gt_i32 s35, 14
	s_cbranch_scc0 .LBB111_1140
; %bb.1138:
	s_cmp_eq_u32 s35, 15
	s_cbranch_scc0 .LBB111_1143
; %bb.1139:
	global_load_u16 v1, v[10:11], off
	s_mov_b32 s36, -1
	s_mov_b32 s34, 0
	s_wait_loadcnt 0x0
	v_lshlrev_b32_e32 v1, 16, v1
	s_delay_alu instid0(VALU_DEP_1)
	v_cvt_f64_f32_e32 v[6:7], v1
	s_branch .LBB111_1144
.LBB111_1140:
	s_mov_b32 s37, -1
                                        ; implicit-def: $vgpr6_vgpr7
	s_branch .LBB111_1145
.LBB111_1141:
	s_or_saveexec_b32 s37, s37
	v_mov_b64_e32 v[6:7], 0x7ff8000020000000
	s_xor_b32 exec_lo, exec_lo, s37
	s_cbranch_execz .LBB111_1122
.LBB111_1142:
	v_cmp_ne_u16_e32 vcc_lo, 0, v1
	v_mov_b64_e32 v[6:7], 0
	s_and_not1_b32 s36, s36, exec_lo
	s_and_b32 s60, vcc_lo, exec_lo
	s_delay_alu instid0(SALU_CYCLE_1)
	s_or_b32 s36, s36, s60
	s_or_b32 exec_lo, exec_lo, s37
	s_and_saveexec_b32 s37, s36
	s_cbranch_execnz .LBB111_1123
	s_branch .LBB111_1124
.LBB111_1143:
	s_mov_b32 s34, -1
                                        ; implicit-def: $vgpr6_vgpr7
.LBB111_1144:
	s_mov_b32 s37, 0
.LBB111_1145:
	s_delay_alu instid0(SALU_CYCLE_1)
	s_and_b32 vcc_lo, exec_lo, s37
	s_cbranch_vccz .LBB111_1149
; %bb.1146:
	s_cmp_eq_u32 s35, 11
	s_cbranch_scc0 .LBB111_1148
; %bb.1147:
	global_load_u8 v1, v[10:11], off
	v_mov_b32_e32 v6, 0
	s_mov_b32 s34, 0
	s_mov_b32 s36, -1
	s_wait_loadcnt 0x0
	v_cmp_ne_u16_e32 vcc_lo, 0, v1
	v_cndmask_b32_e64 v7, 0, 0x3ff00000, vcc_lo
	s_branch .LBB111_1149
.LBB111_1148:
	s_mov_b32 s34, -1
                                        ; implicit-def: $vgpr6_vgpr7
.LBB111_1149:
	s_mov_b32 s35, 0
.LBB111_1150:
	s_delay_alu instid0(SALU_CYCLE_1)
	s_and_b32 vcc_lo, exec_lo, s35
	s_cbranch_vccz .LBB111_1199
; %bb.1151:
	s_and_b32 s0, 0xffff, s0
	s_delay_alu instid0(SALU_CYCLE_1)
	s_cmp_lt_i32 s0, 5
	s_cbranch_scc1 .LBB111_1156
; %bb.1152:
	s_cmp_lt_i32 s0, 8
	s_cbranch_scc1 .LBB111_1157
; %bb.1153:
	s_cmp_lt_i32 s0, 9
	s_cbranch_scc1 .LBB111_1158
; %bb.1154:
	s_cmp_gt_i32 s0, 9
	s_cbranch_scc0 .LBB111_1159
; %bb.1155:
	global_load_b64 v[6:7], v[10:11], off
	s_mov_b32 s35, 0
	s_branch .LBB111_1160
.LBB111_1156:
	s_mov_b32 s35, -1
                                        ; implicit-def: $vgpr6_vgpr7
	s_branch .LBB111_1178
.LBB111_1157:
	s_mov_b32 s35, -1
                                        ; implicit-def: $vgpr6_vgpr7
	s_branch .LBB111_1166
.LBB111_1158:
	s_mov_b32 s35, -1
                                        ; implicit-def: $vgpr6_vgpr7
	s_branch .LBB111_1163
.LBB111_1159:
	s_mov_b32 s35, -1
                                        ; implicit-def: $vgpr6_vgpr7
.LBB111_1160:
	s_delay_alu instid0(SALU_CYCLE_1)
	s_and_not1_b32 vcc_lo, exec_lo, s35
	s_cbranch_vccnz .LBB111_1162
; %bb.1161:
	global_load_b32 v1, v[10:11], off
	s_wait_loadcnt 0x0
	v_cvt_f64_f32_e32 v[6:7], v1
.LBB111_1162:
	s_mov_b32 s35, 0
.LBB111_1163:
	s_delay_alu instid0(SALU_CYCLE_1)
	s_and_not1_b32 vcc_lo, exec_lo, s35
	s_cbranch_vccnz .LBB111_1165
; %bb.1164:
	global_load_b32 v1, v[10:11], off
	s_wait_loadcnt 0x0
	v_cvt_f32_f16_e32 v1, v1
	s_delay_alu instid0(VALU_DEP_1)
	v_cvt_f64_f32_e32 v[6:7], v1
.LBB111_1165:
	s_mov_b32 s35, 0
.LBB111_1166:
	s_delay_alu instid0(SALU_CYCLE_1)
	s_and_not1_b32 vcc_lo, exec_lo, s35
	s_cbranch_vccnz .LBB111_1177
; %bb.1167:
	s_cmp_lt_i32 s0, 6
	s_cbranch_scc1 .LBB111_1170
; %bb.1168:
	s_cmp_gt_i32 s0, 6
	s_cbranch_scc0 .LBB111_1171
; %bb.1169:
	s_wait_loadcnt 0x0
	global_load_b64 v[6:7], v[10:11], off
	s_mov_b32 s35, 0
	s_branch .LBB111_1172
.LBB111_1170:
	s_mov_b32 s35, -1
                                        ; implicit-def: $vgpr6_vgpr7
	s_branch .LBB111_1175
.LBB111_1171:
	s_mov_b32 s35, -1
                                        ; implicit-def: $vgpr6_vgpr7
.LBB111_1172:
	s_delay_alu instid0(SALU_CYCLE_1)
	s_and_not1_b32 vcc_lo, exec_lo, s35
	s_cbranch_vccnz .LBB111_1174
; %bb.1173:
	global_load_b32 v1, v[10:11], off
	s_wait_loadcnt 0x0
	v_cvt_f64_f32_e32 v[6:7], v1
.LBB111_1174:
	s_mov_b32 s35, 0
.LBB111_1175:
	s_delay_alu instid0(SALU_CYCLE_1)
	s_and_not1_b32 vcc_lo, exec_lo, s35
	s_cbranch_vccnz .LBB111_1177
; %bb.1176:
	global_load_u16 v1, v[10:11], off
	s_wait_loadcnt 0x0
	v_cvt_f32_f16_e32 v1, v1
	s_delay_alu instid0(VALU_DEP_1)
	v_cvt_f64_f32_e32 v[6:7], v1
.LBB111_1177:
	s_mov_b32 s35, 0
.LBB111_1178:
	s_delay_alu instid0(SALU_CYCLE_1)
	s_and_not1_b32 vcc_lo, exec_lo, s35
	s_cbranch_vccnz .LBB111_1198
; %bb.1179:
	s_cmp_lt_i32 s0, 2
	s_cbranch_scc1 .LBB111_1183
; %bb.1180:
	s_cmp_lt_i32 s0, 3
	s_cbranch_scc1 .LBB111_1184
; %bb.1181:
	s_cmp_gt_i32 s0, 3
	s_cbranch_scc0 .LBB111_1185
; %bb.1182:
	s_wait_loadcnt 0x0
	global_load_b64 v[6:7], v[10:11], off
	s_mov_b32 s35, 0
	s_wait_loadcnt 0x0
	v_cvt_f64_i32_e32 v[12:13], v7
	v_cvt_f64_u32_e32 v[6:7], v6
	s_delay_alu instid0(VALU_DEP_2) | instskip(NEXT) | instid1(VALU_DEP_1)
	v_ldexp_f64 v[12:13], v[12:13], 32
	v_add_f64_e32 v[6:7], v[12:13], v[6:7]
	s_branch .LBB111_1186
.LBB111_1183:
	s_mov_b32 s35, -1
                                        ; implicit-def: $vgpr6_vgpr7
	s_branch .LBB111_1192
.LBB111_1184:
	s_mov_b32 s35, -1
                                        ; implicit-def: $vgpr6_vgpr7
	s_branch .LBB111_1189
.LBB111_1185:
	s_mov_b32 s35, -1
                                        ; implicit-def: $vgpr6_vgpr7
.LBB111_1186:
	s_delay_alu instid0(SALU_CYCLE_1)
	s_and_not1_b32 vcc_lo, exec_lo, s35
	s_cbranch_vccnz .LBB111_1188
; %bb.1187:
	global_load_b32 v1, v[10:11], off
	s_wait_loadcnt 0x0
	v_cvt_f64_i32_e32 v[6:7], v1
.LBB111_1188:
	s_mov_b32 s35, 0
.LBB111_1189:
	s_delay_alu instid0(SALU_CYCLE_1)
	s_and_not1_b32 vcc_lo, exec_lo, s35
	s_cbranch_vccnz .LBB111_1191
; %bb.1190:
	global_load_i16 v1, v[10:11], off
	s_wait_loadcnt 0x0
	v_cvt_f64_i32_e32 v[6:7], v1
.LBB111_1191:
	s_mov_b32 s35, 0
.LBB111_1192:
	s_delay_alu instid0(SALU_CYCLE_1)
	s_and_not1_b32 vcc_lo, exec_lo, s35
	s_cbranch_vccnz .LBB111_1198
; %bb.1193:
	s_cmp_gt_i32 s0, 0
	s_mov_b32 s0, 0
	s_cbranch_scc0 .LBB111_1195
; %bb.1194:
	global_load_i8 v1, v[10:11], off
	s_wait_loadcnt 0x0
	v_cvt_f64_i32_e32 v[6:7], v1
	s_branch .LBB111_1196
.LBB111_1195:
	s_mov_b32 s0, -1
                                        ; implicit-def: $vgpr6_vgpr7
.LBB111_1196:
	s_delay_alu instid0(SALU_CYCLE_1)
	s_and_not1_b32 vcc_lo, exec_lo, s0
	s_cbranch_vccnz .LBB111_1198
; %bb.1197:
	global_load_u8 v1, v[10:11], off
	s_wait_loadcnt 0x0
	v_cvt_f64_u32_e32 v[6:7], v1
.LBB111_1198:
	s_mov_b32 s36, -1
.LBB111_1199:
	s_delay_alu instid0(SALU_CYCLE_1)
	s_and_not1_b32 vcc_lo, exec_lo, s36
	s_cbranch_vccnz .LBB111_1207
; %bb.1200:
	v_mov_b32_e32 v9, 0
	s_and_b32 s0, s43, 0xff
	s_delay_alu instid0(SALU_CYCLE_1) | instskip(SKIP_1) | instid1(VALU_DEP_1)
	s_cmp_lt_i32 s0, 11
	s_wait_xcnt 0x0
	v_add_nc_u64_e32 v[10:11], s[8:9], v[8:9]
	s_cbranch_scc1 .LBB111_1208
; %bb.1201:
	s_and_b32 s36, 0xffff, s0
	s_delay_alu instid0(SALU_CYCLE_1)
	s_cmp_gt_i32 s36, 25
	s_cbranch_scc0 .LBB111_1209
; %bb.1202:
	s_cmp_gt_i32 s36, 28
	s_cbranch_scc0 .LBB111_1210
; %bb.1203:
	;; [unrolled: 3-line block ×4, first 2 shown]
	s_cmp_eq_u32 s36, 46
	s_mov_b32 s60, 0
	s_cbranch_scc0 .LBB111_1215
; %bb.1206:
	global_load_b32 v1, v[10:11], off
	s_mov_b32 s37, -1
	s_mov_b32 s35, 0
	s_wait_loadcnt 0x0
	v_lshlrev_b32_e32 v1, 16, v1
	s_delay_alu instid0(VALU_DEP_1)
	v_cvt_f64_f32_e32 v[8:9], v1
	s_branch .LBB111_1217
.LBB111_1207:
	s_mov_b32 s37, 0
	s_mov_b32 s0, s55
	;; [unrolled: 1-line block ×4, first 2 shown]
	s_branch .LBB111_1588
.LBB111_1208:
	s_mov_b32 s36, -1
	s_mov_b32 s37, 0
	s_mov_b32 s35, s57
                                        ; implicit-def: $vgpr8_vgpr9
	s_branch .LBB111_1282
.LBB111_1209:
	s_mov_b32 s60, -1
	s_mov_b32 s37, 0
	s_mov_b32 s35, s57
                                        ; implicit-def: $vgpr8_vgpr9
	s_branch .LBB111_1246
.LBB111_1210:
	s_mov_b32 s60, -1
	s_mov_b32 s37, 0
	s_mov_b32 s35, s57
                                        ; implicit-def: $vgpr8_vgpr9
	s_branch .LBB111_1227
.LBB111_1211:
	s_mov_b32 s60, -1
	s_mov_b32 s37, 0
	s_mov_b32 s35, s57
                                        ; implicit-def: $vgpr8_vgpr9
	s_branch .LBB111_1222
.LBB111_1212:
	s_mov_b32 s60, -1
	s_mov_b32 s37, 0
	s_mov_b32 s35, s57
	s_branch .LBB111_1216
.LBB111_1213:
	s_and_not1_saveexec_b32 s57, s57
	s_cbranch_execz .LBB111_965
.LBB111_1214:
	v_add_f32_e64 v3, 0x46000000, |v2|
	s_and_not1_b32 s56, s56, exec_lo
	s_delay_alu instid0(VALU_DEP_1) | instskip(NEXT) | instid1(VALU_DEP_1)
	v_and_b32_e32 v3, 0xff, v3
	v_cmp_ne_u32_e32 vcc_lo, 0, v3
	s_and_b32 s59, vcc_lo, exec_lo
	s_delay_alu instid0(SALU_CYCLE_1)
	s_or_b32 s56, s56, s59
	s_or_b32 exec_lo, exec_lo, s57
	v_mov_b32_e32 v5, 0
	s_and_saveexec_b32 s57, s56
	s_cbranch_execnz .LBB111_966
	s_branch .LBB111_967
.LBB111_1215:
	s_mov_b32 s35, -1
	s_mov_b32 s37, 0
.LBB111_1216:
                                        ; implicit-def: $vgpr8_vgpr9
.LBB111_1217:
	s_and_b32 vcc_lo, exec_lo, s60
	s_cbranch_vccz .LBB111_1221
; %bb.1218:
	s_cmp_eq_u32 s36, 44
	s_cbranch_scc0 .LBB111_1220
; %bb.1219:
	global_load_u8 v1, v[10:11], off
	s_mov_b32 s35, 0
	s_mov_b32 s37, -1
	s_wait_loadcnt 0x0
	v_lshlrev_b32_e32 v3, 23, v1
	v_cmp_ne_u32_e32 vcc_lo, 0xff, v1
	s_delay_alu instid0(VALU_DEP_2) | instskip(NEXT) | instid1(VALU_DEP_1)
	v_cvt_f64_f32_e32 v[8:9], v3
	v_cndmask_b32_e32 v3, 0x20000000, v8, vcc_lo
	s_delay_alu instid0(VALU_DEP_2) | instskip(SKIP_1) | instid1(VALU_DEP_2)
	v_cndmask_b32_e32 v5, 0x7ff80000, v9, vcc_lo
	v_cmp_ne_u32_e32 vcc_lo, 0, v1
	v_cndmask_b32_e32 v9, 0x38000000, v5, vcc_lo
	s_delay_alu instid0(VALU_DEP_4)
	v_cndmask_b32_e32 v8, 0, v3, vcc_lo
	s_branch .LBB111_1221
.LBB111_1220:
	s_mov_b32 s35, -1
                                        ; implicit-def: $vgpr8_vgpr9
.LBB111_1221:
	s_mov_b32 s60, 0
.LBB111_1222:
	s_delay_alu instid0(SALU_CYCLE_1)
	s_and_b32 vcc_lo, exec_lo, s60
	s_cbranch_vccz .LBB111_1226
; %bb.1223:
	s_cmp_eq_u32 s36, 29
	s_cbranch_scc0 .LBB111_1225
; %bb.1224:
	global_load_b64 v[8:9], v[10:11], off
	s_mov_b32 s37, -1
	s_mov_b32 s35, 0
	s_mov_b32 s60, 0
	s_wait_loadcnt 0x0
	v_cvt_f64_u32_e32 v[12:13], v9
	v_cvt_f64_u32_e32 v[8:9], v8
	s_delay_alu instid0(VALU_DEP_2) | instskip(NEXT) | instid1(VALU_DEP_1)
	v_ldexp_f64 v[12:13], v[12:13], 32
	v_add_f64_e32 v[8:9], v[12:13], v[8:9]
	s_branch .LBB111_1227
.LBB111_1225:
	s_mov_b32 s35, -1
                                        ; implicit-def: $vgpr8_vgpr9
.LBB111_1226:
	s_mov_b32 s60, 0
.LBB111_1227:
	s_delay_alu instid0(SALU_CYCLE_1)
	s_and_b32 vcc_lo, exec_lo, s60
	s_cbranch_vccz .LBB111_1245
; %bb.1228:
	s_cmp_lt_i32 s36, 27
	s_cbranch_scc1 .LBB111_1231
; %bb.1229:
	s_cmp_gt_i32 s36, 27
	s_cbranch_scc0 .LBB111_1232
; %bb.1230:
	global_load_b32 v1, v[10:11], off
	s_mov_b32 s37, 0
	s_wait_loadcnt 0x0
	v_cvt_f64_u32_e32 v[8:9], v1
	s_branch .LBB111_1233
.LBB111_1231:
	s_mov_b32 s37, -1
                                        ; implicit-def: $vgpr8_vgpr9
	s_branch .LBB111_1236
.LBB111_1232:
	s_mov_b32 s37, -1
                                        ; implicit-def: $vgpr8_vgpr9
.LBB111_1233:
	s_delay_alu instid0(SALU_CYCLE_1)
	s_and_not1_b32 vcc_lo, exec_lo, s37
	s_cbranch_vccnz .LBB111_1235
; %bb.1234:
	global_load_u16 v1, v[10:11], off
	s_wait_loadcnt 0x0
	v_cvt_f64_u32_e32 v[8:9], v1
.LBB111_1235:
	s_mov_b32 s37, 0
.LBB111_1236:
	s_delay_alu instid0(SALU_CYCLE_1)
	s_and_not1_b32 vcc_lo, exec_lo, s37
	s_cbranch_vccnz .LBB111_1244
; %bb.1237:
	global_load_u8 v1, v[10:11], off
	s_mov_b32 s37, 0
	s_mov_b32 s60, exec_lo
	s_wait_loadcnt 0x0
	v_cmpx_lt_i16_e32 0x7f, v1
	s_xor_b32 s60, exec_lo, s60
	s_cbranch_execz .LBB111_1258
; %bb.1238:
	s_mov_b32 s37, -1
	s_mov_b32 s61, exec_lo
	v_cmpx_eq_u16_e32 0x80, v1
; %bb.1239:
	s_xor_b32 s37, exec_lo, -1
; %bb.1240:
	s_or_b32 exec_lo, exec_lo, s61
	s_delay_alu instid0(SALU_CYCLE_1)
	s_and_b32 s37, s37, exec_lo
	s_or_saveexec_b32 s60, s60
	v_mov_b64_e32 v[8:9], 0x7ff8000020000000
	s_xor_b32 exec_lo, exec_lo, s60
	s_cbranch_execnz .LBB111_1259
.LBB111_1241:
	s_or_b32 exec_lo, exec_lo, s60
	s_and_saveexec_b32 s60, s37
	s_cbranch_execz .LBB111_1243
.LBB111_1242:
	v_and_b32_e32 v3, 0xffff, v1
	s_delay_alu instid0(VALU_DEP_1) | instskip(SKIP_1) | instid1(VALU_DEP_2)
	v_and_b32_e32 v5, 7, v3
	v_bfe_u32 v12, v3, 3, 4
	v_clz_i32_u32_e32 v8, v5
	s_delay_alu instid0(VALU_DEP_2) | instskip(NEXT) | instid1(VALU_DEP_2)
	v_cmp_eq_u32_e32 vcc_lo, 0, v12
	v_min_u32_e32 v8, 32, v8
	s_delay_alu instid0(VALU_DEP_1) | instskip(NEXT) | instid1(VALU_DEP_1)
	v_subrev_nc_u32_e32 v9, 28, v8
	v_dual_lshlrev_b32 v3, v9, v3 :: v_dual_sub_nc_u32 v8, 29, v8
	s_delay_alu instid0(VALU_DEP_1) | instskip(NEXT) | instid1(VALU_DEP_1)
	v_dual_lshlrev_b32 v1, 24, v1 :: v_dual_bitop2_b32 v3, 7, v3 bitop3:0x40
	v_dual_cndmask_b32 v8, v12, v8 :: v_dual_cndmask_b32 v3, v5, v3
	s_delay_alu instid0(VALU_DEP_2) | instskip(NEXT) | instid1(VALU_DEP_2)
	v_and_b32_e32 v1, 0x80000000, v1
	v_lshl_add_u32 v5, v8, 23, 0x3b800000
	s_delay_alu instid0(VALU_DEP_3) | instskip(NEXT) | instid1(VALU_DEP_1)
	v_lshlrev_b32_e32 v3, 20, v3
	v_or3_b32 v1, v1, v5, v3
	s_delay_alu instid0(VALU_DEP_1)
	v_cvt_f64_f32_e32 v[8:9], v1
.LBB111_1243:
	s_or_b32 exec_lo, exec_lo, s60
.LBB111_1244:
	s_mov_b32 s37, -1
.LBB111_1245:
	s_mov_b32 s60, 0
.LBB111_1246:
	s_delay_alu instid0(SALU_CYCLE_1)
	s_and_b32 vcc_lo, exec_lo, s60
	s_cbranch_vccz .LBB111_1281
; %bb.1247:
	s_cmp_gt_i32 s36, 22
	s_cbranch_scc0 .LBB111_1257
; %bb.1248:
	s_cmp_lt_i32 s36, 24
	s_cbranch_scc1 .LBB111_1260
; %bb.1249:
	s_cmp_gt_i32 s36, 24
	s_cbranch_scc0 .LBB111_1261
; %bb.1250:
	global_load_u8 v1, v[10:11], off
	s_mov_b32 s37, 0
	s_mov_b32 s60, exec_lo
	s_wait_loadcnt 0x0
	v_cmpx_lt_i16_e32 0x7f, v1
	s_xor_b32 s60, exec_lo, s60
	s_cbranch_execz .LBB111_1273
; %bb.1251:
	s_mov_b32 s37, -1
	s_mov_b32 s61, exec_lo
	v_cmpx_eq_u16_e32 0x80, v1
; %bb.1252:
	s_xor_b32 s37, exec_lo, -1
; %bb.1253:
	s_or_b32 exec_lo, exec_lo, s61
	s_delay_alu instid0(SALU_CYCLE_1)
	s_and_b32 s37, s37, exec_lo
	s_or_saveexec_b32 s60, s60
	v_mov_b64_e32 v[8:9], 0x7ff8000020000000
	s_xor_b32 exec_lo, exec_lo, s60
	s_cbranch_execnz .LBB111_1274
.LBB111_1254:
	s_or_b32 exec_lo, exec_lo, s60
	s_and_saveexec_b32 s60, s37
	s_cbranch_execz .LBB111_1256
.LBB111_1255:
	v_and_b32_e32 v3, 0xffff, v1
	s_delay_alu instid0(VALU_DEP_1) | instskip(SKIP_1) | instid1(VALU_DEP_2)
	v_and_b32_e32 v5, 3, v3
	v_bfe_u32 v12, v3, 2, 5
	v_clz_i32_u32_e32 v8, v5
	s_delay_alu instid0(VALU_DEP_2) | instskip(NEXT) | instid1(VALU_DEP_2)
	v_cmp_eq_u32_e32 vcc_lo, 0, v12
	v_min_u32_e32 v8, 32, v8
	s_delay_alu instid0(VALU_DEP_1) | instskip(NEXT) | instid1(VALU_DEP_1)
	v_subrev_nc_u32_e32 v9, 29, v8
	v_dual_lshlrev_b32 v3, v9, v3 :: v_dual_sub_nc_u32 v8, 30, v8
	s_delay_alu instid0(VALU_DEP_1) | instskip(NEXT) | instid1(VALU_DEP_1)
	v_dual_lshlrev_b32 v1, 24, v1 :: v_dual_bitop2_b32 v3, 3, v3 bitop3:0x40
	v_dual_cndmask_b32 v8, v12, v8 :: v_dual_cndmask_b32 v3, v5, v3
	s_delay_alu instid0(VALU_DEP_2) | instskip(NEXT) | instid1(VALU_DEP_2)
	v_and_b32_e32 v1, 0x80000000, v1
	v_lshl_add_u32 v5, v8, 23, 0x37800000
	s_delay_alu instid0(VALU_DEP_3) | instskip(NEXT) | instid1(VALU_DEP_1)
	v_lshlrev_b32_e32 v3, 21, v3
	v_or3_b32 v1, v1, v5, v3
	s_delay_alu instid0(VALU_DEP_1)
	v_cvt_f64_f32_e32 v[8:9], v1
.LBB111_1256:
	s_or_b32 exec_lo, exec_lo, s60
	s_mov_b32 s37, 0
	s_branch .LBB111_1262
.LBB111_1257:
	s_mov_b32 s60, -1
                                        ; implicit-def: $vgpr8_vgpr9
	s_branch .LBB111_1268
.LBB111_1258:
	s_or_saveexec_b32 s60, s60
	v_mov_b64_e32 v[8:9], 0x7ff8000020000000
	s_xor_b32 exec_lo, exec_lo, s60
	s_cbranch_execz .LBB111_1241
.LBB111_1259:
	v_cmp_ne_u16_e32 vcc_lo, 0, v1
	v_mov_b64_e32 v[8:9], 0
	s_and_not1_b32 s37, s37, exec_lo
	s_and_b32 s61, vcc_lo, exec_lo
	s_delay_alu instid0(SALU_CYCLE_1)
	s_or_b32 s37, s37, s61
	s_or_b32 exec_lo, exec_lo, s60
	s_and_saveexec_b32 s60, s37
	s_cbranch_execnz .LBB111_1242
	s_branch .LBB111_1243
.LBB111_1260:
	s_mov_b32 s37, -1
                                        ; implicit-def: $vgpr8_vgpr9
	s_branch .LBB111_1265
.LBB111_1261:
	s_mov_b32 s37, -1
                                        ; implicit-def: $vgpr8_vgpr9
.LBB111_1262:
	s_delay_alu instid0(SALU_CYCLE_1)
	s_and_b32 vcc_lo, exec_lo, s37
	s_cbranch_vccz .LBB111_1264
; %bb.1263:
	global_load_u8 v1, v[10:11], off
	s_wait_loadcnt 0x0
	v_lshlrev_b32_e32 v1, 24, v1
	s_delay_alu instid0(VALU_DEP_1) | instskip(NEXT) | instid1(VALU_DEP_1)
	v_and_b32_e32 v3, 0x7f000000, v1
	v_clz_i32_u32_e32 v5, v3
	v_add_nc_u32_e32 v9, 0x1000000, v3
	v_cmp_ne_u32_e32 vcc_lo, 0, v3
	s_delay_alu instid0(VALU_DEP_3) | instskip(NEXT) | instid1(VALU_DEP_1)
	v_min_u32_e32 v5, 32, v5
	v_sub_nc_u32_e64 v5, v5, 4 clamp
	s_delay_alu instid0(VALU_DEP_1) | instskip(NEXT) | instid1(VALU_DEP_1)
	v_dual_lshlrev_b32 v8, v5, v3 :: v_dual_lshlrev_b32 v5, 23, v5
	v_lshrrev_b32_e32 v8, 4, v8
	s_delay_alu instid0(VALU_DEP_1) | instskip(SKIP_1) | instid1(VALU_DEP_2)
	v_sub_nc_u32_e32 v5, v8, v5
	v_ashrrev_i32_e32 v8, 8, v9
	v_add_nc_u32_e32 v5, 0x3c000000, v5
	s_delay_alu instid0(VALU_DEP_1) | instskip(NEXT) | instid1(VALU_DEP_1)
	v_and_or_b32 v5, 0x7f800000, v8, v5
	v_cndmask_b32_e32 v3, 0, v5, vcc_lo
	s_delay_alu instid0(VALU_DEP_1) | instskip(NEXT) | instid1(VALU_DEP_1)
	v_and_or_b32 v1, 0x80000000, v1, v3
	v_cvt_f64_f32_e32 v[8:9], v1
.LBB111_1264:
	s_mov_b32 s37, 0
.LBB111_1265:
	s_delay_alu instid0(SALU_CYCLE_1)
	s_and_not1_b32 vcc_lo, exec_lo, s37
	s_cbranch_vccnz .LBB111_1267
; %bb.1266:
	global_load_u8 v1, v[10:11], off
	s_wait_loadcnt 0x0
	v_lshlrev_b32_e32 v3, 25, v1
	v_lshlrev_b16 v1, 8, v1
	s_delay_alu instid0(VALU_DEP_1) | instskip(SKIP_1) | instid1(VALU_DEP_2)
	v_and_or_b32 v8, 0x7f00, v1, 0.5
	v_bfe_i32 v1, v1, 0, 16
	v_dual_add_f32 v8, -0.5, v8 :: v_dual_lshrrev_b32 v5, 4, v3
	v_cmp_gt_u32_e32 vcc_lo, 0x8000000, v3
	s_delay_alu instid0(VALU_DEP_2) | instskip(NEXT) | instid1(VALU_DEP_1)
	v_or_b32_e32 v5, 0x70000000, v5
	v_mul_f32_e32 v5, 0x7800000, v5
	s_delay_alu instid0(VALU_DEP_1) | instskip(NEXT) | instid1(VALU_DEP_1)
	v_cndmask_b32_e32 v3, v5, v8, vcc_lo
	v_and_or_b32 v1, 0x80000000, v1, v3
	s_delay_alu instid0(VALU_DEP_1)
	v_cvt_f64_f32_e32 v[8:9], v1
.LBB111_1267:
	s_mov_b32 s60, 0
	s_mov_b32 s37, -1
.LBB111_1268:
	s_and_not1_b32 vcc_lo, exec_lo, s60
	s_cbranch_vccnz .LBB111_1281
; %bb.1269:
	s_cmp_gt_i32 s36, 14
	s_cbranch_scc0 .LBB111_1272
; %bb.1270:
	s_cmp_eq_u32 s36, 15
	s_cbranch_scc0 .LBB111_1275
; %bb.1271:
	global_load_u16 v1, v[10:11], off
	s_mov_b32 s37, -1
	s_mov_b32 s35, 0
	s_wait_loadcnt 0x0
	v_lshlrev_b32_e32 v1, 16, v1
	s_delay_alu instid0(VALU_DEP_1)
	v_cvt_f64_f32_e32 v[8:9], v1
	s_branch .LBB111_1276
.LBB111_1272:
	s_mov_b32 s60, -1
                                        ; implicit-def: $vgpr8_vgpr9
	s_branch .LBB111_1277
.LBB111_1273:
	s_or_saveexec_b32 s60, s60
	v_mov_b64_e32 v[8:9], 0x7ff8000020000000
	s_xor_b32 exec_lo, exec_lo, s60
	s_cbranch_execz .LBB111_1254
.LBB111_1274:
	v_cmp_ne_u16_e32 vcc_lo, 0, v1
	v_mov_b64_e32 v[8:9], 0
	s_and_not1_b32 s37, s37, exec_lo
	s_and_b32 s61, vcc_lo, exec_lo
	s_delay_alu instid0(SALU_CYCLE_1)
	s_or_b32 s37, s37, s61
	s_or_b32 exec_lo, exec_lo, s60
	s_and_saveexec_b32 s60, s37
	s_cbranch_execnz .LBB111_1255
	s_branch .LBB111_1256
.LBB111_1275:
	s_mov_b32 s35, -1
                                        ; implicit-def: $vgpr8_vgpr9
.LBB111_1276:
	s_mov_b32 s60, 0
.LBB111_1277:
	s_delay_alu instid0(SALU_CYCLE_1)
	s_and_b32 vcc_lo, exec_lo, s60
	s_cbranch_vccz .LBB111_1281
; %bb.1278:
	s_cmp_eq_u32 s36, 11
	s_cbranch_scc0 .LBB111_1280
; %bb.1279:
	global_load_u8 v1, v[10:11], off
	v_mov_b32_e32 v8, 0
	s_mov_b32 s35, 0
	s_mov_b32 s37, -1
	s_wait_loadcnt 0x0
	v_cmp_ne_u16_e32 vcc_lo, 0, v1
	v_cndmask_b32_e64 v9, 0, 0x3ff00000, vcc_lo
	s_branch .LBB111_1281
.LBB111_1280:
	s_mov_b32 s35, -1
                                        ; implicit-def: $vgpr8_vgpr9
.LBB111_1281:
	s_mov_b32 s36, 0
.LBB111_1282:
	s_delay_alu instid0(SALU_CYCLE_1)
	s_and_b32 vcc_lo, exec_lo, s36
	s_cbranch_vccz .LBB111_1331
; %bb.1283:
	s_and_b32 s0, 0xffff, s0
	s_delay_alu instid0(SALU_CYCLE_1)
	s_cmp_lt_i32 s0, 5
	s_cbranch_scc1 .LBB111_1288
; %bb.1284:
	s_cmp_lt_i32 s0, 8
	s_cbranch_scc1 .LBB111_1289
; %bb.1285:
	s_cmp_lt_i32 s0, 9
	s_cbranch_scc1 .LBB111_1290
; %bb.1286:
	s_cmp_gt_i32 s0, 9
	s_cbranch_scc0 .LBB111_1291
; %bb.1287:
	global_load_b64 v[8:9], v[10:11], off
	s_mov_b32 s36, 0
	s_branch .LBB111_1292
.LBB111_1288:
	s_mov_b32 s36, -1
                                        ; implicit-def: $vgpr8_vgpr9
	s_branch .LBB111_1310
.LBB111_1289:
	s_mov_b32 s36, -1
                                        ; implicit-def: $vgpr8_vgpr9
	s_branch .LBB111_1298
.LBB111_1290:
	s_mov_b32 s36, -1
                                        ; implicit-def: $vgpr8_vgpr9
	s_branch .LBB111_1295
.LBB111_1291:
	s_mov_b32 s36, -1
                                        ; implicit-def: $vgpr8_vgpr9
.LBB111_1292:
	s_delay_alu instid0(SALU_CYCLE_1)
	s_and_not1_b32 vcc_lo, exec_lo, s36
	s_cbranch_vccnz .LBB111_1294
; %bb.1293:
	global_load_b32 v1, v[10:11], off
	s_wait_loadcnt 0x0
	v_cvt_f64_f32_e32 v[8:9], v1
.LBB111_1294:
	s_mov_b32 s36, 0
.LBB111_1295:
	s_delay_alu instid0(SALU_CYCLE_1)
	s_and_not1_b32 vcc_lo, exec_lo, s36
	s_cbranch_vccnz .LBB111_1297
; %bb.1296:
	global_load_b32 v1, v[10:11], off
	s_wait_loadcnt 0x0
	v_cvt_f32_f16_e32 v1, v1
	s_delay_alu instid0(VALU_DEP_1)
	v_cvt_f64_f32_e32 v[8:9], v1
.LBB111_1297:
	s_mov_b32 s36, 0
.LBB111_1298:
	s_delay_alu instid0(SALU_CYCLE_1)
	s_and_not1_b32 vcc_lo, exec_lo, s36
	s_cbranch_vccnz .LBB111_1309
; %bb.1299:
	s_cmp_lt_i32 s0, 6
	s_cbranch_scc1 .LBB111_1302
; %bb.1300:
	s_cmp_gt_i32 s0, 6
	s_cbranch_scc0 .LBB111_1303
; %bb.1301:
	s_wait_loadcnt 0x0
	global_load_b64 v[8:9], v[10:11], off
	s_mov_b32 s36, 0
	s_branch .LBB111_1304
.LBB111_1302:
	s_mov_b32 s36, -1
                                        ; implicit-def: $vgpr8_vgpr9
	s_branch .LBB111_1307
.LBB111_1303:
	s_mov_b32 s36, -1
                                        ; implicit-def: $vgpr8_vgpr9
.LBB111_1304:
	s_delay_alu instid0(SALU_CYCLE_1)
	s_and_not1_b32 vcc_lo, exec_lo, s36
	s_cbranch_vccnz .LBB111_1306
; %bb.1305:
	global_load_b32 v1, v[10:11], off
	s_wait_loadcnt 0x0
	v_cvt_f64_f32_e32 v[8:9], v1
.LBB111_1306:
	s_mov_b32 s36, 0
.LBB111_1307:
	s_delay_alu instid0(SALU_CYCLE_1)
	s_and_not1_b32 vcc_lo, exec_lo, s36
	s_cbranch_vccnz .LBB111_1309
; %bb.1308:
	global_load_u16 v1, v[10:11], off
	s_wait_loadcnt 0x0
	v_cvt_f32_f16_e32 v1, v1
	s_delay_alu instid0(VALU_DEP_1)
	v_cvt_f64_f32_e32 v[8:9], v1
.LBB111_1309:
	s_mov_b32 s36, 0
.LBB111_1310:
	s_delay_alu instid0(SALU_CYCLE_1)
	s_and_not1_b32 vcc_lo, exec_lo, s36
	s_cbranch_vccnz .LBB111_1330
; %bb.1311:
	s_cmp_lt_i32 s0, 2
	s_cbranch_scc1 .LBB111_1315
; %bb.1312:
	s_cmp_lt_i32 s0, 3
	s_cbranch_scc1 .LBB111_1316
; %bb.1313:
	s_cmp_gt_i32 s0, 3
	s_cbranch_scc0 .LBB111_1317
; %bb.1314:
	s_wait_loadcnt 0x0
	global_load_b64 v[8:9], v[10:11], off
	s_mov_b32 s36, 0
	s_wait_loadcnt 0x0
	v_cvt_f64_i32_e32 v[12:13], v9
	v_cvt_f64_u32_e32 v[8:9], v8
	s_delay_alu instid0(VALU_DEP_2) | instskip(NEXT) | instid1(VALU_DEP_1)
	v_ldexp_f64 v[12:13], v[12:13], 32
	v_add_f64_e32 v[8:9], v[12:13], v[8:9]
	s_branch .LBB111_1318
.LBB111_1315:
	s_mov_b32 s36, -1
                                        ; implicit-def: $vgpr8_vgpr9
	s_branch .LBB111_1324
.LBB111_1316:
	s_mov_b32 s36, -1
                                        ; implicit-def: $vgpr8_vgpr9
	s_branch .LBB111_1321
.LBB111_1317:
	s_mov_b32 s36, -1
                                        ; implicit-def: $vgpr8_vgpr9
.LBB111_1318:
	s_delay_alu instid0(SALU_CYCLE_1)
	s_and_not1_b32 vcc_lo, exec_lo, s36
	s_cbranch_vccnz .LBB111_1320
; %bb.1319:
	global_load_b32 v1, v[10:11], off
	s_wait_loadcnt 0x0
	v_cvt_f64_i32_e32 v[8:9], v1
.LBB111_1320:
	s_mov_b32 s36, 0
.LBB111_1321:
	s_delay_alu instid0(SALU_CYCLE_1)
	s_and_not1_b32 vcc_lo, exec_lo, s36
	s_cbranch_vccnz .LBB111_1323
; %bb.1322:
	global_load_i16 v1, v[10:11], off
	s_wait_loadcnt 0x0
	v_cvt_f64_i32_e32 v[8:9], v1
.LBB111_1323:
	s_mov_b32 s36, 0
.LBB111_1324:
	s_delay_alu instid0(SALU_CYCLE_1)
	s_and_not1_b32 vcc_lo, exec_lo, s36
	s_cbranch_vccnz .LBB111_1330
; %bb.1325:
	s_cmp_gt_i32 s0, 0
	s_mov_b32 s0, 0
	s_cbranch_scc0 .LBB111_1327
; %bb.1326:
	global_load_i8 v1, v[10:11], off
	s_wait_loadcnt 0x0
	v_cvt_f64_i32_e32 v[8:9], v1
	s_branch .LBB111_1328
.LBB111_1327:
	s_mov_b32 s0, -1
                                        ; implicit-def: $vgpr8_vgpr9
.LBB111_1328:
	s_delay_alu instid0(SALU_CYCLE_1)
	s_and_not1_b32 vcc_lo, exec_lo, s0
	s_cbranch_vccnz .LBB111_1330
; %bb.1329:
	global_load_u8 v1, v[10:11], off
	s_wait_loadcnt 0x0
	v_cvt_f64_u32_e32 v[8:9], v1
.LBB111_1330:
	s_mov_b32 s37, -1
.LBB111_1331:
	s_delay_alu instid0(SALU_CYCLE_1)
	s_and_not1_b32 vcc_lo, exec_lo, s37
	s_cbranch_vccnz .LBB111_1339
; %bb.1332:
	v_mov_b32_e32 v1, 0
	s_and_b32 s0, 0xffff, s25
	s_delay_alu instid0(SALU_CYCLE_1) | instskip(NEXT) | instid1(VALU_DEP_1)
	s_cmp_lt_i32 s0, 11
	v_add_nc_u64_e32 v[0:1], s[10:11], v[0:1]
	s_cbranch_scc1 .LBB111_1340
; %bb.1333:
	s_cmp_gt_i32 s0, 25
	s_cbranch_scc0 .LBB111_1341
; %bb.1334:
	s_cmp_gt_i32 s0, 28
	s_cbranch_scc0 .LBB111_1342
	;; [unrolled: 3-line block ×4, first 2 shown]
; %bb.1337:
	s_cmp_eq_u32 s0, 46
	s_mov_b32 s60, 0
	s_cbranch_scc0 .LBB111_1347
; %bb.1338:
	global_load_b32 v3, v[0:1], off
	s_mov_b32 s37, -1
	s_mov_b32 s36, 0
	s_wait_loadcnt 0x0
	v_lshlrev_b32_e32 v3, 16, v3
	s_wait_xcnt 0x1
	s_delay_alu instid0(VALU_DEP_1)
	v_cvt_f64_f32_e32 v[10:11], v3
	s_branch .LBB111_1349
.LBB111_1339:
	s_mov_b32 s37, 0
	s_mov_b32 s0, s55
	s_mov_b32 s36, s56
	s_branch .LBB111_1588
.LBB111_1340:
	s_mov_b32 s60, -1
	s_mov_b32 s37, 0
	s_mov_b32 s36, s56
                                        ; implicit-def: $vgpr10_vgpr11
	s_branch .LBB111_1414
.LBB111_1341:
	s_mov_b32 s60, -1
	s_mov_b32 s37, 0
	s_mov_b32 s36, s56
                                        ; implicit-def: $vgpr10_vgpr11
	s_branch .LBB111_1378
.LBB111_1342:
	s_mov_b32 s60, -1
	s_mov_b32 s37, 0
	s_mov_b32 s36, s56
                                        ; implicit-def: $vgpr10_vgpr11
	s_branch .LBB111_1359
.LBB111_1343:
	s_mov_b32 s60, -1
	s_mov_b32 s37, 0
	s_mov_b32 s36, s56
                                        ; implicit-def: $vgpr10_vgpr11
	s_branch .LBB111_1354
.LBB111_1344:
	s_mov_b32 s60, -1
	s_mov_b32 s37, 0
	s_mov_b32 s36, s56
	s_branch .LBB111_1348
.LBB111_1345:
	s_and_not1_saveexec_b32 s57, s57
	s_cbranch_execz .LBB111_978
.LBB111_1346:
	v_add_f32_e64 v3, 0x42800000, |v2|
	s_and_not1_b32 s56, s56, exec_lo
	s_delay_alu instid0(VALU_DEP_1) | instskip(NEXT) | instid1(VALU_DEP_1)
	v_and_b32_e32 v3, 0xff, v3
	v_cmp_ne_u32_e32 vcc_lo, 0, v3
	s_and_b32 s59, vcc_lo, exec_lo
	s_delay_alu instid0(SALU_CYCLE_1)
	s_or_b32 s56, s56, s59
	s_or_b32 exec_lo, exec_lo, s57
	v_mov_b32_e32 v5, 0
	s_and_saveexec_b32 s57, s56
	s_cbranch_execnz .LBB111_979
	s_branch .LBB111_980
.LBB111_1347:
	s_mov_b32 s36, -1
	s_mov_b32 s37, 0
.LBB111_1348:
                                        ; implicit-def: $vgpr10_vgpr11
.LBB111_1349:
	s_and_b32 vcc_lo, exec_lo, s60
	s_cbranch_vccz .LBB111_1353
; %bb.1350:
	s_cmp_eq_u32 s0, 44
	s_cbranch_scc0 .LBB111_1352
; %bb.1351:
	global_load_u8 v3, v[0:1], off
	s_mov_b32 s36, 0
	s_mov_b32 s37, -1
	s_wait_loadcnt 0x0
	v_lshlrev_b32_e32 v5, 23, v3
	v_cmp_ne_u32_e32 vcc_lo, 0xff, v3
	s_wait_xcnt 0x1
	s_delay_alu instid0(VALU_DEP_2) | instskip(NEXT) | instid1(VALU_DEP_1)
	v_cvt_f64_f32_e32 v[10:11], v5
	v_cndmask_b32_e32 v5, 0x20000000, v10, vcc_lo
	s_delay_alu instid0(VALU_DEP_2) | instskip(SKIP_1) | instid1(VALU_DEP_2)
	v_cndmask_b32_e32 v10, 0x7ff80000, v11, vcc_lo
	v_cmp_ne_u32_e32 vcc_lo, 0, v3
	v_cndmask_b32_e32 v11, 0x38000000, v10, vcc_lo
	s_delay_alu instid0(VALU_DEP_4)
	v_cndmask_b32_e32 v10, 0, v5, vcc_lo
	s_branch .LBB111_1353
.LBB111_1352:
	s_mov_b32 s36, -1
                                        ; implicit-def: $vgpr10_vgpr11
.LBB111_1353:
	s_mov_b32 s60, 0
.LBB111_1354:
	s_delay_alu instid0(SALU_CYCLE_1)
	s_and_b32 vcc_lo, exec_lo, s60
	s_cbranch_vccz .LBB111_1358
; %bb.1355:
	s_cmp_eq_u32 s0, 29
	s_cbranch_scc0 .LBB111_1357
; %bb.1356:
	global_load_b64 v[10:11], v[0:1], off
	s_mov_b32 s37, -1
	s_mov_b32 s36, 0
	s_mov_b32 s60, 0
	s_wait_loadcnt 0x0
	v_cvt_f64_u32_e32 v[12:13], v11
	v_cvt_f64_u32_e32 v[10:11], v10
	s_delay_alu instid0(VALU_DEP_2) | instskip(NEXT) | instid1(VALU_DEP_1)
	v_ldexp_f64 v[12:13], v[12:13], 32
	v_add_f64_e32 v[10:11], v[12:13], v[10:11]
	s_branch .LBB111_1359
.LBB111_1357:
	s_mov_b32 s36, -1
                                        ; implicit-def: $vgpr10_vgpr11
.LBB111_1358:
	s_mov_b32 s60, 0
.LBB111_1359:
	s_delay_alu instid0(SALU_CYCLE_1)
	s_and_b32 vcc_lo, exec_lo, s60
	s_cbranch_vccz .LBB111_1377
; %bb.1360:
	s_cmp_lt_i32 s0, 27
	s_cbranch_scc1 .LBB111_1363
; %bb.1361:
	s_cmp_gt_i32 s0, 27
	s_cbranch_scc0 .LBB111_1364
; %bb.1362:
	global_load_b32 v3, v[0:1], off
	s_mov_b32 s37, 0
	s_wait_loadcnt 0x0
	s_wait_xcnt 0x1
	v_cvt_f64_u32_e32 v[10:11], v3
	s_branch .LBB111_1365
.LBB111_1363:
	s_mov_b32 s37, -1
                                        ; implicit-def: $vgpr10_vgpr11
	s_branch .LBB111_1368
.LBB111_1364:
	s_mov_b32 s37, -1
                                        ; implicit-def: $vgpr10_vgpr11
.LBB111_1365:
	s_delay_alu instid0(SALU_CYCLE_1)
	s_and_not1_b32 vcc_lo, exec_lo, s37
	s_cbranch_vccnz .LBB111_1367
; %bb.1366:
	global_load_u16 v3, v[0:1], off
	s_wait_loadcnt 0x0
	s_wait_xcnt 0x1
	v_cvt_f64_u32_e32 v[10:11], v3
.LBB111_1367:
	s_mov_b32 s37, 0
.LBB111_1368:
	s_delay_alu instid0(SALU_CYCLE_1)
	s_and_not1_b32 vcc_lo, exec_lo, s37
	s_cbranch_vccnz .LBB111_1376
; %bb.1369:
	global_load_u8 v3, v[0:1], off
	s_mov_b32 s37, 0
	s_mov_b32 s60, exec_lo
	s_wait_loadcnt 0x0
	v_cmpx_lt_i16_e32 0x7f, v3
	s_xor_b32 s60, exec_lo, s60
	s_cbranch_execz .LBB111_1390
; %bb.1370:
	s_mov_b32 s37, -1
	s_mov_b32 s61, exec_lo
	v_cmpx_eq_u16_e32 0x80, v3
; %bb.1371:
	s_xor_b32 s37, exec_lo, -1
; %bb.1372:
	s_or_b32 exec_lo, exec_lo, s61
	s_delay_alu instid0(SALU_CYCLE_1)
	s_and_b32 s37, s37, exec_lo
	s_or_saveexec_b32 s60, s60
	v_mov_b64_e32 v[10:11], 0x7ff8000020000000
	s_xor_b32 exec_lo, exec_lo, s60
	s_cbranch_execnz .LBB111_1391
.LBB111_1373:
	s_or_b32 exec_lo, exec_lo, s60
	s_and_saveexec_b32 s60, s37
	s_cbranch_execz .LBB111_1375
.LBB111_1374:
	v_and_b32_e32 v5, 0xffff, v3
	s_delay_alu instid0(VALU_DEP_1) | instskip(SKIP_1) | instid1(VALU_DEP_2)
	v_and_b32_e32 v10, 7, v5
	v_bfe_u32 v13, v5, 3, 4
	v_clz_i32_u32_e32 v11, v10
	s_delay_alu instid0(VALU_DEP_2) | instskip(NEXT) | instid1(VALU_DEP_2)
	v_cmp_eq_u32_e32 vcc_lo, 0, v13
	v_min_u32_e32 v11, 32, v11
	s_delay_alu instid0(VALU_DEP_1) | instskip(NEXT) | instid1(VALU_DEP_1)
	v_subrev_nc_u32_e32 v12, 28, v11
	v_dual_lshlrev_b32 v5, v12, v5 :: v_dual_sub_nc_u32 v11, 29, v11
	s_delay_alu instid0(VALU_DEP_1) | instskip(NEXT) | instid1(VALU_DEP_1)
	v_dual_lshlrev_b32 v3, 24, v3 :: v_dual_bitop2_b32 v5, 7, v5 bitop3:0x40
	v_dual_cndmask_b32 v5, v10, v5, vcc_lo :: v_dual_cndmask_b32 v11, v13, v11, vcc_lo
	s_delay_alu instid0(VALU_DEP_2) | instskip(NEXT) | instid1(VALU_DEP_2)
	v_and_b32_e32 v3, 0x80000000, v3
	v_lshlrev_b32_e32 v5, 20, v5
	s_delay_alu instid0(VALU_DEP_3) | instskip(NEXT) | instid1(VALU_DEP_1)
	v_lshl_add_u32 v10, v11, 23, 0x3b800000
	v_or3_b32 v3, v3, v10, v5
	s_delay_alu instid0(VALU_DEP_1)
	v_cvt_f64_f32_e32 v[10:11], v3
.LBB111_1375:
	s_or_b32 exec_lo, exec_lo, s60
.LBB111_1376:
	s_mov_b32 s37, -1
.LBB111_1377:
	s_mov_b32 s60, 0
.LBB111_1378:
	s_delay_alu instid0(SALU_CYCLE_1)
	s_and_b32 vcc_lo, exec_lo, s60
	s_cbranch_vccz .LBB111_1413
; %bb.1379:
	s_cmp_gt_i32 s0, 22
	s_cbranch_scc0 .LBB111_1389
; %bb.1380:
	s_cmp_lt_i32 s0, 24
	s_cbranch_scc1 .LBB111_1392
; %bb.1381:
	s_cmp_gt_i32 s0, 24
	s_cbranch_scc0 .LBB111_1393
; %bb.1382:
	global_load_u8 v3, v[0:1], off
	s_mov_b32 s37, 0
	s_mov_b32 s60, exec_lo
	s_wait_loadcnt 0x0
	v_cmpx_lt_i16_e32 0x7f, v3
	s_xor_b32 s60, exec_lo, s60
	s_cbranch_execz .LBB111_1405
; %bb.1383:
	s_mov_b32 s37, -1
	s_mov_b32 s61, exec_lo
	v_cmpx_eq_u16_e32 0x80, v3
; %bb.1384:
	s_xor_b32 s37, exec_lo, -1
; %bb.1385:
	s_or_b32 exec_lo, exec_lo, s61
	s_delay_alu instid0(SALU_CYCLE_1)
	s_and_b32 s37, s37, exec_lo
	s_or_saveexec_b32 s60, s60
	v_mov_b64_e32 v[10:11], 0x7ff8000020000000
	s_xor_b32 exec_lo, exec_lo, s60
	s_cbranch_execnz .LBB111_1406
.LBB111_1386:
	s_or_b32 exec_lo, exec_lo, s60
	s_and_saveexec_b32 s60, s37
	s_cbranch_execz .LBB111_1388
.LBB111_1387:
	v_and_b32_e32 v5, 0xffff, v3
	s_delay_alu instid0(VALU_DEP_1) | instskip(SKIP_1) | instid1(VALU_DEP_2)
	v_and_b32_e32 v10, 3, v5
	v_bfe_u32 v13, v5, 2, 5
	v_clz_i32_u32_e32 v11, v10
	s_delay_alu instid0(VALU_DEP_2) | instskip(NEXT) | instid1(VALU_DEP_2)
	v_cmp_eq_u32_e32 vcc_lo, 0, v13
	v_min_u32_e32 v11, 32, v11
	s_delay_alu instid0(VALU_DEP_1) | instskip(NEXT) | instid1(VALU_DEP_1)
	v_subrev_nc_u32_e32 v12, 29, v11
	v_dual_lshlrev_b32 v5, v12, v5 :: v_dual_sub_nc_u32 v11, 30, v11
	s_delay_alu instid0(VALU_DEP_1) | instskip(NEXT) | instid1(VALU_DEP_1)
	v_dual_lshlrev_b32 v3, 24, v3 :: v_dual_bitop2_b32 v5, 3, v5 bitop3:0x40
	v_dual_cndmask_b32 v5, v10, v5, vcc_lo :: v_dual_cndmask_b32 v11, v13, v11, vcc_lo
	s_delay_alu instid0(VALU_DEP_2) | instskip(NEXT) | instid1(VALU_DEP_2)
	v_and_b32_e32 v3, 0x80000000, v3
	v_lshlrev_b32_e32 v5, 21, v5
	s_delay_alu instid0(VALU_DEP_3) | instskip(NEXT) | instid1(VALU_DEP_1)
	v_lshl_add_u32 v10, v11, 23, 0x37800000
	v_or3_b32 v3, v3, v10, v5
	s_delay_alu instid0(VALU_DEP_1)
	v_cvt_f64_f32_e32 v[10:11], v3
.LBB111_1388:
	s_or_b32 exec_lo, exec_lo, s60
	s_mov_b32 s37, 0
	s_branch .LBB111_1394
.LBB111_1389:
	s_mov_b32 s60, -1
                                        ; implicit-def: $vgpr10_vgpr11
	s_branch .LBB111_1400
.LBB111_1390:
	s_or_saveexec_b32 s60, s60
	v_mov_b64_e32 v[10:11], 0x7ff8000020000000
	s_xor_b32 exec_lo, exec_lo, s60
	s_cbranch_execz .LBB111_1373
.LBB111_1391:
	v_cmp_ne_u16_e32 vcc_lo, 0, v3
	v_mov_b64_e32 v[10:11], 0
	s_and_not1_b32 s37, s37, exec_lo
	s_and_b32 s61, vcc_lo, exec_lo
	s_delay_alu instid0(SALU_CYCLE_1)
	s_or_b32 s37, s37, s61
	s_or_b32 exec_lo, exec_lo, s60
	s_and_saveexec_b32 s60, s37
	s_cbranch_execnz .LBB111_1374
	s_branch .LBB111_1375
.LBB111_1392:
	s_mov_b32 s37, -1
                                        ; implicit-def: $vgpr10_vgpr11
	s_branch .LBB111_1397
.LBB111_1393:
	s_mov_b32 s37, -1
                                        ; implicit-def: $vgpr10_vgpr11
.LBB111_1394:
	s_delay_alu instid0(SALU_CYCLE_1)
	s_and_b32 vcc_lo, exec_lo, s37
	s_cbranch_vccz .LBB111_1396
; %bb.1395:
	global_load_u8 v3, v[0:1], off
	s_wait_loadcnt 0x0
	v_lshlrev_b32_e32 v3, 24, v3
	s_delay_alu instid0(VALU_DEP_1) | instskip(SKIP_1) | instid1(VALU_DEP_1)
	v_and_b32_e32 v5, 0x7f000000, v3
	s_wait_xcnt 0x1
	v_clz_i32_u32_e32 v10, v5
	v_cmp_ne_u32_e32 vcc_lo, 0, v5
	v_add_nc_u32_e32 v12, 0x1000000, v5
	s_delay_alu instid0(VALU_DEP_3) | instskip(NEXT) | instid1(VALU_DEP_1)
	v_min_u32_e32 v10, 32, v10
	v_sub_nc_u32_e64 v10, v10, 4 clamp
	s_delay_alu instid0(VALU_DEP_1) | instskip(NEXT) | instid1(VALU_DEP_1)
	v_dual_lshlrev_b32 v11, v10, v5 :: v_dual_lshlrev_b32 v10, 23, v10
	v_lshrrev_b32_e32 v11, 4, v11
	s_delay_alu instid0(VALU_DEP_1) | instskip(NEXT) | instid1(VALU_DEP_1)
	v_dual_sub_nc_u32 v10, v11, v10 :: v_dual_ashrrev_i32 v11, 8, v12
	v_add_nc_u32_e32 v10, 0x3c000000, v10
	s_delay_alu instid0(VALU_DEP_1) | instskip(NEXT) | instid1(VALU_DEP_1)
	v_and_or_b32 v10, 0x7f800000, v11, v10
	v_cndmask_b32_e32 v5, 0, v10, vcc_lo
	s_delay_alu instid0(VALU_DEP_1) | instskip(NEXT) | instid1(VALU_DEP_1)
	v_and_or_b32 v3, 0x80000000, v3, v5
	v_cvt_f64_f32_e32 v[10:11], v3
.LBB111_1396:
	s_mov_b32 s37, 0
.LBB111_1397:
	s_delay_alu instid0(SALU_CYCLE_1)
	s_and_not1_b32 vcc_lo, exec_lo, s37
	s_cbranch_vccnz .LBB111_1399
; %bb.1398:
	global_load_u8 v3, v[0:1], off
	s_wait_loadcnt 0x0
	v_lshlrev_b32_e32 v5, 25, v3
	v_lshlrev_b16 v3, 8, v3
	s_wait_xcnt 0x1
	s_delay_alu instid0(VALU_DEP_1) | instskip(NEXT) | instid1(VALU_DEP_3)
	v_and_or_b32 v11, 0x7f00, v3, 0.5
	v_lshrrev_b32_e32 v10, 4, v5
	v_bfe_i32 v3, v3, 0, 16
	s_delay_alu instid0(VALU_DEP_3) | instskip(NEXT) | instid1(VALU_DEP_3)
	v_add_f32_e32 v11, -0.5, v11
	v_or_b32_e32 v10, 0x70000000, v10
	s_delay_alu instid0(VALU_DEP_1) | instskip(SKIP_1) | instid1(VALU_DEP_2)
	v_mul_f32_e32 v10, 0x7800000, v10
	v_cmp_gt_u32_e32 vcc_lo, 0x8000000, v5
	v_cndmask_b32_e32 v5, v10, v11, vcc_lo
	s_delay_alu instid0(VALU_DEP_1) | instskip(NEXT) | instid1(VALU_DEP_1)
	v_and_or_b32 v3, 0x80000000, v3, v5
	v_cvt_f64_f32_e32 v[10:11], v3
.LBB111_1399:
	s_mov_b32 s60, 0
	s_mov_b32 s37, -1
.LBB111_1400:
	s_and_not1_b32 vcc_lo, exec_lo, s60
	s_cbranch_vccnz .LBB111_1413
; %bb.1401:
	s_cmp_gt_i32 s0, 14
	s_cbranch_scc0 .LBB111_1404
; %bb.1402:
	s_cmp_eq_u32 s0, 15
	s_cbranch_scc0 .LBB111_1407
; %bb.1403:
	global_load_u16 v3, v[0:1], off
	s_mov_b32 s37, -1
	s_mov_b32 s36, 0
	s_wait_loadcnt 0x0
	v_lshlrev_b32_e32 v3, 16, v3
	s_wait_xcnt 0x1
	s_delay_alu instid0(VALU_DEP_1)
	v_cvt_f64_f32_e32 v[10:11], v3
	s_branch .LBB111_1408
.LBB111_1404:
	s_mov_b32 s60, -1
                                        ; implicit-def: $vgpr10_vgpr11
	s_branch .LBB111_1409
.LBB111_1405:
	s_or_saveexec_b32 s60, s60
	v_mov_b64_e32 v[10:11], 0x7ff8000020000000
	s_xor_b32 exec_lo, exec_lo, s60
	s_cbranch_execz .LBB111_1386
.LBB111_1406:
	v_cmp_ne_u16_e32 vcc_lo, 0, v3
	v_mov_b64_e32 v[10:11], 0
	s_and_not1_b32 s37, s37, exec_lo
	s_and_b32 s61, vcc_lo, exec_lo
	s_delay_alu instid0(SALU_CYCLE_1)
	s_or_b32 s37, s37, s61
	s_or_b32 exec_lo, exec_lo, s60
	s_and_saveexec_b32 s60, s37
	s_cbranch_execnz .LBB111_1387
	s_branch .LBB111_1388
.LBB111_1407:
	s_mov_b32 s36, -1
                                        ; implicit-def: $vgpr10_vgpr11
.LBB111_1408:
	s_mov_b32 s60, 0
.LBB111_1409:
	s_delay_alu instid0(SALU_CYCLE_1)
	s_and_b32 vcc_lo, exec_lo, s60
	s_cbranch_vccz .LBB111_1413
; %bb.1410:
	s_cmp_eq_u32 s0, 11
	s_cbranch_scc0 .LBB111_1412
; %bb.1411:
	global_load_u8 v3, v[0:1], off
	s_wait_xcnt 0x1
	v_mov_b32_e32 v10, 0
	s_mov_b32 s36, 0
	s_mov_b32 s37, -1
	s_wait_loadcnt 0x0
	v_cmp_ne_u16_e32 vcc_lo, 0, v3
	v_cndmask_b32_e64 v11, 0, 0x3ff00000, vcc_lo
	s_branch .LBB111_1413
.LBB111_1412:
	s_mov_b32 s36, -1
                                        ; implicit-def: $vgpr10_vgpr11
.LBB111_1413:
	s_mov_b32 s60, 0
.LBB111_1414:
	s_delay_alu instid0(SALU_CYCLE_1)
	s_and_b32 vcc_lo, exec_lo, s60
	s_cbranch_vccz .LBB111_1463
; %bb.1415:
	s_cmp_lt_i32 s0, 5
	s_cbranch_scc1 .LBB111_1420
; %bb.1416:
	s_cmp_lt_i32 s0, 8
	s_cbranch_scc1 .LBB111_1421
	;; [unrolled: 3-line block ×3, first 2 shown]
; %bb.1418:
	s_cmp_gt_i32 s0, 9
	s_cbranch_scc0 .LBB111_1423
; %bb.1419:
	global_load_b64 v[10:11], v[0:1], off
	s_mov_b32 s37, 0
	s_branch .LBB111_1424
.LBB111_1420:
	s_mov_b32 s37, -1
                                        ; implicit-def: $vgpr10_vgpr11
	s_branch .LBB111_1442
.LBB111_1421:
	s_mov_b32 s37, -1
                                        ; implicit-def: $vgpr10_vgpr11
	s_branch .LBB111_1430
.LBB111_1422:
	s_mov_b32 s37, -1
                                        ; implicit-def: $vgpr10_vgpr11
	s_branch .LBB111_1427
.LBB111_1423:
	s_mov_b32 s37, -1
                                        ; implicit-def: $vgpr10_vgpr11
.LBB111_1424:
	s_delay_alu instid0(SALU_CYCLE_1)
	s_and_not1_b32 vcc_lo, exec_lo, s37
	s_cbranch_vccnz .LBB111_1426
; %bb.1425:
	global_load_b32 v3, v[0:1], off
	s_wait_loadcnt 0x0
	s_wait_xcnt 0x1
	v_cvt_f64_f32_e32 v[10:11], v3
.LBB111_1426:
	s_mov_b32 s37, 0
.LBB111_1427:
	s_delay_alu instid0(SALU_CYCLE_1)
	s_and_not1_b32 vcc_lo, exec_lo, s37
	s_cbranch_vccnz .LBB111_1429
; %bb.1428:
	global_load_b32 v3, v[0:1], off
	s_wait_loadcnt 0x0
	v_cvt_f32_f16_e32 v3, v3
	s_wait_xcnt 0x1
	s_delay_alu instid0(VALU_DEP_1)
	v_cvt_f64_f32_e32 v[10:11], v3
.LBB111_1429:
	s_mov_b32 s37, 0
.LBB111_1430:
	s_delay_alu instid0(SALU_CYCLE_1)
	s_and_not1_b32 vcc_lo, exec_lo, s37
	s_cbranch_vccnz .LBB111_1441
; %bb.1431:
	s_cmp_lt_i32 s0, 6
	s_cbranch_scc1 .LBB111_1434
; %bb.1432:
	s_cmp_gt_i32 s0, 6
	s_cbranch_scc0 .LBB111_1435
; %bb.1433:
	s_wait_loadcnt 0x0
	global_load_b64 v[10:11], v[0:1], off
	s_mov_b32 s37, 0
	s_branch .LBB111_1436
.LBB111_1434:
	s_mov_b32 s37, -1
                                        ; implicit-def: $vgpr10_vgpr11
	s_branch .LBB111_1439
.LBB111_1435:
	s_mov_b32 s37, -1
                                        ; implicit-def: $vgpr10_vgpr11
.LBB111_1436:
	s_delay_alu instid0(SALU_CYCLE_1)
	s_and_not1_b32 vcc_lo, exec_lo, s37
	s_cbranch_vccnz .LBB111_1438
; %bb.1437:
	global_load_b32 v3, v[0:1], off
	s_wait_loadcnt 0x0
	s_wait_xcnt 0x1
	v_cvt_f64_f32_e32 v[10:11], v3
.LBB111_1438:
	s_mov_b32 s37, 0
.LBB111_1439:
	s_delay_alu instid0(SALU_CYCLE_1)
	s_and_not1_b32 vcc_lo, exec_lo, s37
	s_cbranch_vccnz .LBB111_1441
; %bb.1440:
	global_load_u16 v3, v[0:1], off
	s_wait_loadcnt 0x0
	v_cvt_f32_f16_e32 v3, v3
	s_wait_xcnt 0x1
	s_delay_alu instid0(VALU_DEP_1)
	v_cvt_f64_f32_e32 v[10:11], v3
.LBB111_1441:
	s_mov_b32 s37, 0
.LBB111_1442:
	s_delay_alu instid0(SALU_CYCLE_1)
	s_and_not1_b32 vcc_lo, exec_lo, s37
	s_cbranch_vccnz .LBB111_1462
; %bb.1443:
	s_cmp_lt_i32 s0, 2
	s_cbranch_scc1 .LBB111_1447
; %bb.1444:
	s_cmp_lt_i32 s0, 3
	s_cbranch_scc1 .LBB111_1448
; %bb.1445:
	s_cmp_gt_i32 s0, 3
	s_cbranch_scc0 .LBB111_1449
; %bb.1446:
	s_wait_loadcnt 0x0
	global_load_b64 v[10:11], v[0:1], off
	s_mov_b32 s37, 0
	s_wait_loadcnt 0x0
	v_cvt_f64_i32_e32 v[12:13], v11
	v_cvt_f64_u32_e32 v[10:11], v10
	s_delay_alu instid0(VALU_DEP_2) | instskip(NEXT) | instid1(VALU_DEP_1)
	v_ldexp_f64 v[12:13], v[12:13], 32
	v_add_f64_e32 v[10:11], v[12:13], v[10:11]
	s_branch .LBB111_1450
.LBB111_1447:
	s_mov_b32 s37, -1
                                        ; implicit-def: $vgpr10_vgpr11
	s_branch .LBB111_1456
.LBB111_1448:
	s_mov_b32 s37, -1
                                        ; implicit-def: $vgpr10_vgpr11
	s_branch .LBB111_1453
.LBB111_1449:
	s_mov_b32 s37, -1
                                        ; implicit-def: $vgpr10_vgpr11
.LBB111_1450:
	s_delay_alu instid0(SALU_CYCLE_1)
	s_and_not1_b32 vcc_lo, exec_lo, s37
	s_cbranch_vccnz .LBB111_1452
; %bb.1451:
	global_load_b32 v3, v[0:1], off
	s_wait_loadcnt 0x0
	s_wait_xcnt 0x1
	v_cvt_f64_i32_e32 v[10:11], v3
.LBB111_1452:
	s_mov_b32 s37, 0
.LBB111_1453:
	s_delay_alu instid0(SALU_CYCLE_1)
	s_and_not1_b32 vcc_lo, exec_lo, s37
	s_cbranch_vccnz .LBB111_1455
; %bb.1454:
	global_load_i16 v3, v[0:1], off
	s_wait_loadcnt 0x0
	s_wait_xcnt 0x1
	v_cvt_f64_i32_e32 v[10:11], v3
.LBB111_1455:
	s_mov_b32 s37, 0
.LBB111_1456:
	s_delay_alu instid0(SALU_CYCLE_1)
	s_and_not1_b32 vcc_lo, exec_lo, s37
	s_cbranch_vccnz .LBB111_1462
; %bb.1457:
	s_cmp_gt_i32 s0, 0
	s_mov_b32 s0, 0
	s_cbranch_scc0 .LBB111_1459
; %bb.1458:
	global_load_i8 v3, v[0:1], off
	s_wait_loadcnt 0x0
	s_wait_xcnt 0x1
	v_cvt_f64_i32_e32 v[10:11], v3
	s_branch .LBB111_1460
.LBB111_1459:
	s_mov_b32 s0, -1
                                        ; implicit-def: $vgpr10_vgpr11
.LBB111_1460:
	s_delay_alu instid0(SALU_CYCLE_1)
	s_and_not1_b32 vcc_lo, exec_lo, s0
	s_cbranch_vccnz .LBB111_1462
; %bb.1461:
	global_load_u8 v0, v[0:1], off
	s_wait_loadcnt 0x0
	v_cvt_f64_u32_e32 v[10:11], v0
.LBB111_1462:
	s_mov_b32 s37, -1
.LBB111_1463:
	s_delay_alu instid0(SALU_CYCLE_1)
	s_and_not1_b32 vcc_lo, exec_lo, s37
	s_cbranch_vccnz .LBB111_1471
; %bb.1464:
	s_wait_loadcnt 0x0
	s_delay_alu instid0(VALU_DEP_3) | instskip(SKIP_1) | instid1(SALU_CYCLE_1)
	v_dual_mul_f64 v[0:1], s[22:23], v[8:9] :: v_dual_mov_b32 v3, 0
	s_and_b32 s37, s42, 0xff
	s_cmp_lt_i32 s37, 11
	s_delay_alu instid0(VALU_DEP_1) | instskip(NEXT) | instid1(VALU_DEP_1)
	v_mul_f64_e32 v[0:1], v[0:1], v[10:11]
	v_fmac_f64_e32 v[0:1], s[20:21], v[6:7]
	v_add_nc_u64_e32 v[6:7], s[4:5], v[2:3]
	s_cbranch_scc1 .LBB111_1472
; %bb.1465:
	s_and_b32 s60, 0xffff, s37
	s_delay_alu instid0(SALU_CYCLE_1)
	s_cmp_gt_i32 s60, 25
	s_cbranch_scc0 .LBB111_1473
; %bb.1466:
	s_cmp_gt_i32 s60, 28
	s_cbranch_scc0 .LBB111_1474
; %bb.1467:
	s_cmp_gt_i32 s60, 43
	s_cbranch_scc0 .LBB111_1475
; %bb.1468:
	s_cmp_gt_i32 s60, 45
	s_cbranch_scc0 .LBB111_1476
; %bb.1469:
	s_mov_b32 s62, 0
	s_mov_b32 s0, -1
	s_cmp_eq_u32 s60, 46
	s_mov_b32 s61, 0
	s_cbranch_scc0 .LBB111_1477
; %bb.1470:
	s_delay_alu instid0(VALU_DEP_2) | instskip(SKIP_2) | instid1(VALU_DEP_1)
	v_cvt_f32_f64_e32 v2, v[0:1]
	s_mov_b32 s61, -1
	s_mov_b32 s0, 0
	v_bfe_u32 v3, v2, 16, 1
	v_cmp_o_f32_e32 vcc_lo, v2, v2
	s_delay_alu instid0(VALU_DEP_2) | instskip(NEXT) | instid1(VALU_DEP_1)
	v_add3_u32 v3, v2, v3, 0x7fff
	v_lshrrev_b32_e32 v3, 16, v3
	s_delay_alu instid0(VALU_DEP_1)
	v_cndmask_b32_e32 v2, 0x7fc0, v3, vcc_lo
	global_store_b32 v[6:7], v2, off
	s_branch .LBB111_1477
.LBB111_1471:
	s_mov_b32 s37, 0
	s_mov_b32 s0, s55
	s_branch .LBB111_1588
.LBB111_1472:
	s_mov_b32 s60, -1
	s_mov_b32 s61, 0
	s_mov_b32 s0, s55
	s_branch .LBB111_1546
.LBB111_1473:
	s_mov_b32 s62, -1
	s_mov_b32 s61, 0
	s_mov_b32 s0, s55
	s_branch .LBB111_1504
.LBB111_1474:
	s_mov_b32 s62, -1
	s_mov_b32 s61, 0
	s_mov_b32 s0, s55
	s_branch .LBB111_1487
.LBB111_1475:
	s_mov_b32 s62, -1
	s_mov_b32 s61, 0
	s_mov_b32 s0, s55
	s_branch .LBB111_1483
.LBB111_1476:
	s_mov_b32 s62, -1
	s_mov_b32 s61, 0
	s_mov_b32 s0, s55
.LBB111_1477:
	s_and_b32 vcc_lo, exec_lo, s62
	s_cbranch_vccz .LBB111_1482
; %bb.1478:
	s_cmp_eq_u32 s60, 44
	s_mov_b32 s0, -1
	s_cbranch_scc0 .LBB111_1482
; %bb.1479:
	s_wait_xcnt 0x0
	s_delay_alu instid0(VALU_DEP_2) | instskip(SKIP_2) | instid1(VALU_DEP_2)
	v_cvt_f32_f64_e32 v2, v[0:1]
	v_mov_b32_e32 v3, 0xff
	s_mov_b32 s61, exec_lo
	v_bfe_u32 v5, v2, 23, 8
	s_delay_alu instid0(VALU_DEP_1)
	v_cmpx_ne_u32_e32 0xff, v5
	s_cbranch_execz .LBB111_1481
; %bb.1480:
	v_and_b32_e32 v3, 0x400000, v2
	v_and_or_b32 v5, 0x3fffff, v2, v5
	v_lshrrev_b32_e32 v2, 23, v2
	s_delay_alu instid0(VALU_DEP_3) | instskip(NEXT) | instid1(VALU_DEP_3)
	v_cmp_ne_u32_e32 vcc_lo, 0, v3
	v_cmp_ne_u32_e64 s0, 0, v5
	s_and_b32 s0, vcc_lo, s0
	s_delay_alu instid0(SALU_CYCLE_1) | instskip(NEXT) | instid1(VALU_DEP_1)
	v_cndmask_b32_e64 v3, 0, 1, s0
	v_add_nc_u32_e32 v3, v2, v3
.LBB111_1481:
	s_or_b32 exec_lo, exec_lo, s61
	s_mov_b32 s61, -1
	s_mov_b32 s0, 0
	global_store_b8 v[6:7], v3, off
.LBB111_1482:
	s_mov_b32 s62, 0
.LBB111_1483:
	s_delay_alu instid0(SALU_CYCLE_1)
	s_and_b32 vcc_lo, exec_lo, s62
	s_cbranch_vccz .LBB111_1486
; %bb.1484:
	s_cmp_eq_u32 s60, 29
	s_mov_b32 s0, -1
	s_cbranch_scc0 .LBB111_1486
; %bb.1485:
	s_wait_xcnt 0x0
	s_delay_alu instid0(VALU_DEP_2) | instskip(SKIP_3) | instid1(VALU_DEP_1)
	v_trunc_f64_e32 v[2:3], v[0:1]
	s_mov_b32 s61, -1
	s_mov_b32 s0, 0
	s_mov_b32 s62, 0
	v_ldexp_f64 v[8:9], v[2:3], 0xffffffe0
	s_delay_alu instid0(VALU_DEP_1) | instskip(NEXT) | instid1(VALU_DEP_1)
	v_floor_f64_e32 v[8:9], v[8:9]
	v_fmamk_f64 v[2:3], v[8:9], 0xc1f00000, v[2:3]
	v_cvt_u32_f64_e32 v9, v[8:9]
	s_delay_alu instid0(VALU_DEP_2)
	v_cvt_u32_f64_e32 v8, v[2:3]
	global_store_b64 v[6:7], v[8:9], off
	s_branch .LBB111_1487
.LBB111_1486:
	s_mov_b32 s62, 0
.LBB111_1487:
	s_delay_alu instid0(SALU_CYCLE_1)
	s_and_b32 vcc_lo, exec_lo, s62
	s_cbranch_vccz .LBB111_1503
; %bb.1488:
	s_cmp_lt_i32 s60, 27
	s_mov_b32 s61, -1
	s_cbranch_scc1 .LBB111_1494
; %bb.1489:
	s_cmp_gt_i32 s60, 27
	s_cbranch_scc0 .LBB111_1491
; %bb.1490:
	s_wait_xcnt 0x0
	s_delay_alu instid0(VALU_DEP_2)
	v_cvt_u32_f64_e32 v2, v[0:1]
	s_mov_b32 s61, 0
	global_store_b32 v[6:7], v2, off
.LBB111_1491:
	s_and_not1_b32 vcc_lo, exec_lo, s61
	s_cbranch_vccnz .LBB111_1493
; %bb.1492:
	s_wait_xcnt 0x0
	s_delay_alu instid0(VALU_DEP_2)
	v_cvt_u32_f64_e32 v2, v[0:1]
	global_store_b16 v[6:7], v2, off
.LBB111_1493:
	s_mov_b32 s61, 0
.LBB111_1494:
	s_delay_alu instid0(SALU_CYCLE_1)
	s_and_not1_b32 vcc_lo, exec_lo, s61
	s_cbranch_vccnz .LBB111_1502
; %bb.1495:
	s_wait_xcnt 0x0
	s_delay_alu instid0(VALU_DEP_2) | instskip(SKIP_2) | instid1(VALU_DEP_2)
	v_cvt_f32_f64_e32 v2, v[0:1]
	v_mov_b32_e32 v5, 0x80
	s_mov_b32 s61, exec_lo
	v_and_b32_e32 v3, 0x7fffffff, v2
	s_delay_alu instid0(VALU_DEP_1)
	v_cmpx_gt_u32_e32 0x43800000, v3
	s_cbranch_execz .LBB111_1501
; %bb.1496:
	v_cmp_lt_u32_e32 vcc_lo, 0x3bffffff, v3
	s_mov_b32 s62, 0
                                        ; implicit-def: $vgpr3
	s_and_saveexec_b32 s63, vcc_lo
	s_delay_alu instid0(SALU_CYCLE_1)
	s_xor_b32 s63, exec_lo, s63
	s_cbranch_execz .LBB111_2814
; %bb.1497:
	v_bfe_u32 v3, v2, 20, 1
	s_mov_b32 s62, exec_lo
	s_delay_alu instid0(VALU_DEP_1) | instskip(NEXT) | instid1(VALU_DEP_1)
	v_add3_u32 v3, v2, v3, 0x487ffff
	v_lshrrev_b32_e32 v3, 20, v3
	s_and_not1_saveexec_b32 s63, s63
	s_cbranch_execnz .LBB111_2815
.LBB111_1498:
	s_or_b32 exec_lo, exec_lo, s63
	v_mov_b32_e32 v5, 0
	s_and_saveexec_b32 s63, s62
.LBB111_1499:
	v_lshrrev_b32_e32 v2, 24, v2
	s_delay_alu instid0(VALU_DEP_1)
	v_and_or_b32 v5, 0x80, v2, v3
.LBB111_1500:
	s_or_b32 exec_lo, exec_lo, s63
.LBB111_1501:
	s_delay_alu instid0(SALU_CYCLE_1)
	s_or_b32 exec_lo, exec_lo, s61
	global_store_b8 v[6:7], v5, off
.LBB111_1502:
	s_mov_b32 s61, -1
.LBB111_1503:
	s_mov_b32 s62, 0
.LBB111_1504:
	s_delay_alu instid0(SALU_CYCLE_1)
	s_and_b32 vcc_lo, exec_lo, s62
	s_cbranch_vccz .LBB111_1545
; %bb.1505:
	s_cmp_gt_i32 s60, 22
	s_mov_b32 s62, -1
	s_cbranch_scc0 .LBB111_1537
; %bb.1506:
	s_cmp_lt_i32 s60, 24
	s_mov_b32 s61, -1
	s_cbranch_scc1 .LBB111_1526
; %bb.1507:
	s_cmp_gt_i32 s60, 24
	s_cbranch_scc0 .LBB111_1515
; %bb.1508:
	s_wait_xcnt 0x0
	s_delay_alu instid0(VALU_DEP_2) | instskip(SKIP_2) | instid1(VALU_DEP_2)
	v_cvt_f32_f64_e32 v2, v[0:1]
	v_mov_b32_e32 v5, 0x80
	s_mov_b32 s61, exec_lo
	v_and_b32_e32 v3, 0x7fffffff, v2
	s_delay_alu instid0(VALU_DEP_1)
	v_cmpx_gt_u32_e32 0x47800000, v3
	s_cbranch_execz .LBB111_1514
; %bb.1509:
	v_cmp_lt_u32_e32 vcc_lo, 0x37ffffff, v3
	s_mov_b32 s62, 0
                                        ; implicit-def: $vgpr3
	s_and_saveexec_b32 s63, vcc_lo
	s_delay_alu instid0(SALU_CYCLE_1)
	s_xor_b32 s63, exec_lo, s63
	s_cbranch_execz .LBB111_2947
; %bb.1510:
	v_bfe_u32 v3, v2, 21, 1
	s_mov_b32 s62, exec_lo
	s_delay_alu instid0(VALU_DEP_1) | instskip(NEXT) | instid1(VALU_DEP_1)
	v_add3_u32 v3, v2, v3, 0x88fffff
	v_lshrrev_b32_e32 v3, 21, v3
	s_and_not1_saveexec_b32 s63, s63
	s_cbranch_execnz .LBB111_2948
.LBB111_1511:
	s_or_b32 exec_lo, exec_lo, s63
	v_mov_b32_e32 v5, 0
	s_and_saveexec_b32 s63, s62
.LBB111_1512:
	v_lshrrev_b32_e32 v2, 24, v2
	s_delay_alu instid0(VALU_DEP_1)
	v_and_or_b32 v5, 0x80, v2, v3
.LBB111_1513:
	s_or_b32 exec_lo, exec_lo, s63
.LBB111_1514:
	s_delay_alu instid0(SALU_CYCLE_1)
	s_or_b32 exec_lo, exec_lo, s61
	s_mov_b32 s61, 0
	global_store_b8 v[6:7], v5, off
.LBB111_1515:
	s_and_b32 vcc_lo, exec_lo, s61
	s_cbranch_vccz .LBB111_1525
; %bb.1516:
	s_wait_xcnt 0x0
	s_delay_alu instid0(VALU_DEP_2) | instskip(SKIP_1) | instid1(VALU_DEP_1)
	v_cvt_f32_f64_e32 v2, v[0:1]
	s_mov_b32 s61, exec_lo
                                        ; implicit-def: $vgpr3
	v_and_b32_e32 v5, 0x7fffffff, v2
	s_delay_alu instid0(VALU_DEP_1)
	v_cmpx_gt_u32_e32 0x43f00000, v5
	s_xor_b32 s61, exec_lo, s61
	s_cbranch_execz .LBB111_1522
; %bb.1517:
	s_mov_b32 s62, exec_lo
                                        ; implicit-def: $vgpr3
	v_cmpx_lt_u32_e32 0x3c7fffff, v5
	s_xor_b32 s62, exec_lo, s62
; %bb.1518:
	v_bfe_u32 v3, v2, 20, 1
	s_delay_alu instid0(VALU_DEP_1) | instskip(NEXT) | instid1(VALU_DEP_1)
	v_add3_u32 v3, v2, v3, 0x407ffff
	v_and_b32_e32 v5, 0xff00000, v3
	v_lshrrev_b32_e32 v3, 20, v3
	s_delay_alu instid0(VALU_DEP_2) | instskip(NEXT) | instid1(VALU_DEP_2)
	v_cmp_ne_u32_e32 vcc_lo, 0x7f00000, v5
	v_cndmask_b32_e32 v3, 0x7e, v3, vcc_lo
; %bb.1519:
	s_and_not1_saveexec_b32 s62, s62
; %bb.1520:
	v_add_f32_e64 v3, 0x46800000, |v2|
; %bb.1521:
	s_or_b32 exec_lo, exec_lo, s62
                                        ; implicit-def: $vgpr5
.LBB111_1522:
	s_and_not1_saveexec_b32 s61, s61
; %bb.1523:
	v_mov_b32_e32 v3, 0x7f
	v_cmp_lt_u32_e32 vcc_lo, 0x7f800000, v5
	s_delay_alu instid0(VALU_DEP_2)
	v_cndmask_b32_e32 v3, 0x7e, v3, vcc_lo
; %bb.1524:
	s_or_b32 exec_lo, exec_lo, s61
	v_lshrrev_b32_e32 v2, 24, v2
	s_delay_alu instid0(VALU_DEP_1)
	v_and_or_b32 v2, 0x80, v2, v3
	global_store_b8 v[6:7], v2, off
.LBB111_1525:
	s_mov_b32 s61, 0
.LBB111_1526:
	s_delay_alu instid0(SALU_CYCLE_1)
	s_and_not1_b32 vcc_lo, exec_lo, s61
	s_cbranch_vccnz .LBB111_1536
; %bb.1527:
	s_wait_xcnt 0x0
	s_delay_alu instid0(VALU_DEP_2) | instskip(SKIP_1) | instid1(VALU_DEP_1)
	v_cvt_f32_f64_e32 v2, v[0:1]
	s_mov_b32 s61, exec_lo
                                        ; implicit-def: $vgpr3
	v_and_b32_e32 v5, 0x7fffffff, v2
	s_delay_alu instid0(VALU_DEP_1)
	v_cmpx_gt_u32_e32 0x47800000, v5
	s_xor_b32 s61, exec_lo, s61
	s_cbranch_execz .LBB111_1533
; %bb.1528:
	s_mov_b32 s62, exec_lo
                                        ; implicit-def: $vgpr3
	v_cmpx_lt_u32_e32 0x387fffff, v5
	s_xor_b32 s62, exec_lo, s62
; %bb.1529:
	v_bfe_u32 v3, v2, 21, 1
	s_delay_alu instid0(VALU_DEP_1) | instskip(NEXT) | instid1(VALU_DEP_1)
	v_add3_u32 v3, v2, v3, 0x80fffff
	v_lshrrev_b32_e32 v3, 21, v3
; %bb.1530:
	s_and_not1_saveexec_b32 s62, s62
; %bb.1531:
	v_add_f32_e64 v3, 0x43000000, |v2|
; %bb.1532:
	s_or_b32 exec_lo, exec_lo, s62
                                        ; implicit-def: $vgpr5
.LBB111_1533:
	s_and_not1_saveexec_b32 s61, s61
; %bb.1534:
	v_mov_b32_e32 v3, 0x7f
	v_cmp_lt_u32_e32 vcc_lo, 0x7f800000, v5
	s_delay_alu instid0(VALU_DEP_2)
	v_cndmask_b32_e32 v3, 0x7c, v3, vcc_lo
; %bb.1535:
	s_or_b32 exec_lo, exec_lo, s61
	v_lshrrev_b32_e32 v2, 24, v2
	s_delay_alu instid0(VALU_DEP_1)
	v_and_or_b32 v2, 0x80, v2, v3
	global_store_b8 v[6:7], v2, off
.LBB111_1536:
	s_mov_b32 s62, 0
	s_mov_b32 s61, -1
.LBB111_1537:
	s_and_not1_b32 vcc_lo, exec_lo, s62
	s_cbranch_vccnz .LBB111_1545
; %bb.1538:
	s_cmp_gt_i32 s60, 14
	s_mov_b32 s62, -1
	s_cbranch_scc0 .LBB111_1542
; %bb.1539:
	s_cmp_eq_u32 s60, 15
	s_mov_b32 s0, -1
	s_cbranch_scc0 .LBB111_1541
; %bb.1540:
	s_wait_xcnt 0x0
	s_delay_alu instid0(VALU_DEP_2) | instskip(SKIP_2) | instid1(VALU_DEP_1)
	v_cvt_f32_f64_e32 v2, v[0:1]
	s_mov_b32 s61, -1
	s_mov_b32 s0, 0
	v_bfe_u32 v3, v2, 16, 1
	v_cmp_o_f32_e32 vcc_lo, v2, v2
	s_delay_alu instid0(VALU_DEP_2) | instskip(NEXT) | instid1(VALU_DEP_1)
	v_add3_u32 v3, v2, v3, 0x7fff
	v_lshrrev_b32_e32 v3, 16, v3
	s_delay_alu instid0(VALU_DEP_1)
	v_cndmask_b32_e32 v2, 0x7fc0, v3, vcc_lo
	global_store_b16 v[6:7], v2, off
.LBB111_1541:
	s_mov_b32 s62, 0
.LBB111_1542:
	s_delay_alu instid0(SALU_CYCLE_1)
	s_and_b32 vcc_lo, exec_lo, s62
	s_cbranch_vccz .LBB111_1545
; %bb.1543:
	s_cmp_eq_u32 s60, 11
	s_mov_b32 s0, -1
	s_cbranch_scc0 .LBB111_1545
; %bb.1544:
	s_delay_alu instid0(VALU_DEP_2)
	v_cmp_neq_f64_e32 vcc_lo, 0, v[0:1]
	s_mov_b32 s61, -1
	s_mov_b32 s0, 0
	s_wait_xcnt 0x0
	v_cndmask_b32_e64 v2, 0, 1, vcc_lo
	global_store_b8 v[6:7], v2, off
.LBB111_1545:
	s_mov_b32 s60, 0
.LBB111_1546:
	s_delay_alu instid0(SALU_CYCLE_1)
	s_and_b32 vcc_lo, exec_lo, s60
	s_cbranch_vccz .LBB111_1585
; %bb.1547:
	s_and_b32 s37, 0xffff, s37
	s_mov_b32 s60, -1
	s_cmp_lt_i32 s37, 5
	s_cbranch_scc1 .LBB111_1568
; %bb.1548:
	s_cmp_lt_i32 s37, 8
	s_cbranch_scc1 .LBB111_1558
; %bb.1549:
	;; [unrolled: 3-line block ×3, first 2 shown]
	s_cmp_gt_i32 s37, 9
	s_cbranch_scc0 .LBB111_1552
; %bb.1551:
	s_wait_xcnt 0x0
	v_mov_b32_e32 v2, 0
	s_mov_b32 s60, 0
	s_delay_alu instid0(VALU_DEP_1)
	v_mov_b32_e32 v3, v2
	global_store_b128 v[6:7], v[0:3], off
.LBB111_1552:
	s_and_not1_b32 vcc_lo, exec_lo, s60
	s_cbranch_vccnz .LBB111_1554
; %bb.1553:
	s_wait_xcnt 0x0
	s_delay_alu instid0(VALU_DEP_2)
	v_cvt_f32_f64_e32 v2, v[0:1]
	v_mov_b32_e32 v3, 0
	global_store_b64 v[6:7], v[2:3], off
.LBB111_1554:
	s_mov_b32 s60, 0
.LBB111_1555:
	s_delay_alu instid0(SALU_CYCLE_1)
	s_and_not1_b32 vcc_lo, exec_lo, s60
	s_cbranch_vccnz .LBB111_1557
; %bb.1556:
	s_wait_xcnt 0x0
	s_delay_alu instid0(VALU_DEP_2) | instskip(SKIP_2) | instid1(VALU_DEP_3)
	v_and_or_b32 v2, 0x1ff, v1, v0
	v_lshrrev_b32_e32 v3, 8, v1
	v_bfe_u32 v5, v1, 20, 11
	v_cmp_ne_u32_e32 vcc_lo, 0, v2
	s_delay_alu instid0(VALU_DEP_2) | instskip(SKIP_2) | instid1(VALU_DEP_1)
	v_sub_nc_u32_e32 v8, 0x3f1, v5
	v_add_nc_u32_e32 v5, 0xfffffc10, v5
	v_cndmask_b32_e64 v2, 0, 1, vcc_lo
	v_and_or_b32 v2, 0xffe, v3, v2
	s_delay_alu instid0(VALU_DEP_4) | instskip(NEXT) | instid1(VALU_DEP_2)
	v_med3_i32 v3, v8, 0, 13
	v_or_b32_e32 v8, 0x1000, v2
	s_delay_alu instid0(VALU_DEP_1) | instskip(NEXT) | instid1(VALU_DEP_1)
	v_lshrrev_b32_e32 v9, v3, v8
	v_lshlrev_b32_e32 v3, v3, v9
	s_delay_alu instid0(VALU_DEP_1) | instskip(SKIP_3) | instid1(VALU_DEP_2)
	v_cmp_ne_u32_e32 vcc_lo, v3, v8
	v_lshl_or_b32 v8, v5, 12, v2
	v_cndmask_b32_e64 v3, 0, 1, vcc_lo
	v_cmp_gt_i32_e32 vcc_lo, 1, v5
	v_or_b32_e32 v3, v9, v3
	s_delay_alu instid0(VALU_DEP_1) | instskip(NEXT) | instid1(VALU_DEP_1)
	v_cndmask_b32_e32 v3, v8, v3, vcc_lo
	v_dual_lshrrev_b32 v3, 2, v3 :: v_dual_bitop2_b32 v8, 7, v3 bitop3:0x40
	s_delay_alu instid0(VALU_DEP_1) | instskip(SKIP_4) | instid1(VALU_DEP_2)
	v_cmp_lt_i32_e32 vcc_lo, 5, v8
	v_cndmask_b32_e64 v9, 0, 1, vcc_lo
	v_cmp_eq_u32_e32 vcc_lo, 3, v8
	v_cndmask_b32_e64 v8, 0, 1, vcc_lo
	v_cmp_ne_u32_e32 vcc_lo, 0, v2
	v_or_b32_e32 v8, v8, v9
	v_mov_b32_e32 v9, 0x7e00
	s_delay_alu instid0(VALU_DEP_1) | instskip(SKIP_1) | instid1(VALU_DEP_2)
	v_dual_cndmask_b32 v2, 0x7c00, v9 :: v_dual_add_nc_u32 v3, v3, v8
	v_cmp_gt_i32_e32 vcc_lo, 31, v5
	v_dual_cndmask_b32 v3, 0x7c00, v3 :: v_dual_lshrrev_b32 v8, 16, v1
	v_cmp_eq_u32_e32 vcc_lo, 0x40f, v5
	s_delay_alu instid0(VALU_DEP_2) | instskip(NEXT) | instid1(VALU_DEP_3)
	v_cndmask_b32_e32 v2, v3, v2, vcc_lo
	v_and_b32_e32 v3, 0x8000, v8
	s_delay_alu instid0(VALU_DEP_1)
	v_bitop3_b32 v2, v3, 0xffff, v2 bitop3:0xc8
	global_store_b32 v[6:7], v2, off
.LBB111_1557:
	s_mov_b32 s60, 0
.LBB111_1558:
	s_delay_alu instid0(SALU_CYCLE_1)
	s_and_not1_b32 vcc_lo, exec_lo, s60
	s_cbranch_vccnz .LBB111_1567
; %bb.1559:
	s_cmp_lt_i32 s37, 6
	s_mov_b32 s60, -1
	s_cbranch_scc1 .LBB111_1565
; %bb.1560:
	s_cmp_gt_i32 s37, 6
	s_cbranch_scc0 .LBB111_1562
; %bb.1561:
	s_mov_b32 s60, 0
	global_store_b64 v[6:7], v[0:1], off
.LBB111_1562:
	s_and_not1_b32 vcc_lo, exec_lo, s60
	s_cbranch_vccnz .LBB111_1564
; %bb.1563:
	s_wait_xcnt 0x0
	s_delay_alu instid0(VALU_DEP_2)
	v_cvt_f32_f64_e32 v2, v[0:1]
	global_store_b32 v[6:7], v2, off
.LBB111_1564:
	s_mov_b32 s60, 0
.LBB111_1565:
	s_delay_alu instid0(SALU_CYCLE_1)
	s_and_not1_b32 vcc_lo, exec_lo, s60
	s_cbranch_vccnz .LBB111_1567
; %bb.1566:
	s_wait_xcnt 0x0
	s_delay_alu instid0(VALU_DEP_2) | instskip(SKIP_2) | instid1(VALU_DEP_3)
	v_and_or_b32 v2, 0x1ff, v1, v0
	v_lshrrev_b32_e32 v3, 8, v1
	v_bfe_u32 v5, v1, 20, 11
	v_cmp_ne_u32_e32 vcc_lo, 0, v2
	s_delay_alu instid0(VALU_DEP_2) | instskip(SKIP_2) | instid1(VALU_DEP_1)
	v_sub_nc_u32_e32 v8, 0x3f1, v5
	v_add_nc_u32_e32 v5, 0xfffffc10, v5
	v_cndmask_b32_e64 v2, 0, 1, vcc_lo
	v_and_or_b32 v2, 0xffe, v3, v2
	s_delay_alu instid0(VALU_DEP_4) | instskip(NEXT) | instid1(VALU_DEP_2)
	v_med3_i32 v3, v8, 0, 13
	v_or_b32_e32 v8, 0x1000, v2
	s_delay_alu instid0(VALU_DEP_1) | instskip(NEXT) | instid1(VALU_DEP_1)
	v_lshrrev_b32_e32 v9, v3, v8
	v_lshlrev_b32_e32 v3, v3, v9
	s_delay_alu instid0(VALU_DEP_1) | instskip(SKIP_3) | instid1(VALU_DEP_2)
	v_cmp_ne_u32_e32 vcc_lo, v3, v8
	v_lshl_or_b32 v8, v5, 12, v2
	v_cndmask_b32_e64 v3, 0, 1, vcc_lo
	v_cmp_gt_i32_e32 vcc_lo, 1, v5
	v_or_b32_e32 v3, v9, v3
	s_delay_alu instid0(VALU_DEP_1) | instskip(NEXT) | instid1(VALU_DEP_1)
	v_cndmask_b32_e32 v3, v8, v3, vcc_lo
	v_dual_lshrrev_b32 v3, 2, v3 :: v_dual_bitop2_b32 v8, 7, v3 bitop3:0x40
	s_delay_alu instid0(VALU_DEP_1) | instskip(SKIP_4) | instid1(VALU_DEP_2)
	v_cmp_lt_i32_e32 vcc_lo, 5, v8
	v_cndmask_b32_e64 v9, 0, 1, vcc_lo
	v_cmp_eq_u32_e32 vcc_lo, 3, v8
	v_cndmask_b32_e64 v8, 0, 1, vcc_lo
	v_cmp_ne_u32_e32 vcc_lo, 0, v2
	v_or_b32_e32 v8, v8, v9
	v_mov_b32_e32 v9, 0x7e00
	s_delay_alu instid0(VALU_DEP_1) | instskip(SKIP_1) | instid1(VALU_DEP_2)
	v_dual_cndmask_b32 v2, 0x7c00, v9 :: v_dual_add_nc_u32 v3, v3, v8
	v_cmp_gt_i32_e32 vcc_lo, 31, v5
	v_cndmask_b32_e32 v3, 0x7c00, v3, vcc_lo
	v_cmp_eq_u32_e32 vcc_lo, 0x40f, v5
	s_delay_alu instid0(VALU_DEP_2) | instskip(NEXT) | instid1(VALU_DEP_1)
	v_dual_cndmask_b32 v2, v3, v2 :: v_dual_lshrrev_b32 v3, 16, v1
	v_and_or_b32 v2, 0x8000, v3, v2
	global_store_b16 v[6:7], v2, off
.LBB111_1567:
	s_mov_b32 s60, 0
.LBB111_1568:
	s_delay_alu instid0(SALU_CYCLE_1)
	s_and_not1_b32 vcc_lo, exec_lo, s60
	s_cbranch_vccnz .LBB111_1584
; %bb.1569:
	s_cmp_lt_i32 s37, 2
	s_mov_b32 s60, -1
	s_cbranch_scc1 .LBB111_1579
; %bb.1570:
	s_cmp_lt_i32 s37, 3
	s_cbranch_scc1 .LBB111_1576
; %bb.1571:
	s_cmp_gt_i32 s37, 3
	s_cbranch_scc0 .LBB111_1573
; %bb.1572:
	s_wait_xcnt 0x0
	s_delay_alu instid0(VALU_DEP_2) | instskip(SKIP_1) | instid1(VALU_DEP_1)
	v_trunc_f64_e32 v[2:3], v[0:1]
	s_mov_b32 s60, 0
	v_ldexp_f64 v[8:9], v[2:3], 0xffffffe0
	s_delay_alu instid0(VALU_DEP_1) | instskip(NEXT) | instid1(VALU_DEP_1)
	v_floor_f64_e32 v[8:9], v[8:9]
	v_fmamk_f64 v[2:3], v[8:9], 0xc1f00000, v[2:3]
	v_cvt_i32_f64_e32 v9, v[8:9]
	s_delay_alu instid0(VALU_DEP_2)
	v_cvt_u32_f64_e32 v8, v[2:3]
	global_store_b64 v[6:7], v[8:9], off
.LBB111_1573:
	s_and_not1_b32 vcc_lo, exec_lo, s60
	s_cbranch_vccnz .LBB111_1575
; %bb.1574:
	s_wait_xcnt 0x0
	s_delay_alu instid0(VALU_DEP_2)
	v_cvt_i32_f64_e32 v2, v[0:1]
	global_store_b32 v[6:7], v2, off
.LBB111_1575:
	s_mov_b32 s60, 0
.LBB111_1576:
	s_delay_alu instid0(SALU_CYCLE_1)
	s_and_not1_b32 vcc_lo, exec_lo, s60
	s_cbranch_vccnz .LBB111_1578
; %bb.1577:
	s_wait_xcnt 0x0
	s_delay_alu instid0(VALU_DEP_2)
	v_cvt_i32_f64_e32 v2, v[0:1]
	global_store_b16 v[6:7], v2, off
.LBB111_1578:
	s_mov_b32 s60, 0
.LBB111_1579:
	s_delay_alu instid0(SALU_CYCLE_1)
	s_and_not1_b32 vcc_lo, exec_lo, s60
	s_cbranch_vccnz .LBB111_1584
; %bb.1580:
	s_cmp_gt_i32 s37, 0
	s_mov_b32 s37, -1
	s_cbranch_scc0 .LBB111_1582
; %bb.1581:
	s_wait_xcnt 0x0
	s_delay_alu instid0(VALU_DEP_2)
	v_cvt_i32_f64_e32 v2, v[0:1]
	s_mov_b32 s37, 0
	global_store_b8 v[6:7], v2, off
.LBB111_1582:
	s_and_not1_b32 vcc_lo, exec_lo, s37
	s_cbranch_vccnz .LBB111_1584
; %bb.1583:
	s_wait_xcnt 0x0
	s_delay_alu instid0(VALU_DEP_2) | instskip(NEXT) | instid1(VALU_DEP_1)
	v_trunc_f64_e32 v[0:1], v[0:1]
	v_ldexp_f64 v[2:3], v[0:1], 0xffffffe0
	s_delay_alu instid0(VALU_DEP_1) | instskip(NEXT) | instid1(VALU_DEP_1)
	v_floor_f64_e32 v[2:3], v[2:3]
	v_fmamk_f64 v[0:1], v[2:3], 0xc1f00000, v[0:1]
	s_delay_alu instid0(VALU_DEP_1)
	v_cvt_u32_f64_e32 v0, v[0:1]
	global_store_b8 v[6:7], v0, off
.LBB111_1584:
	s_mov_b32 s61, -1
.LBB111_1585:
	s_delay_alu instid0(SALU_CYCLE_1)
	s_and_not1_b32 vcc_lo, exec_lo, s61
	s_cbranch_vccnz .LBB111_1587
; %bb.1586:
	v_add_nc_u32_e32 v4, 0x80, v4
	s_mov_b32 s37, -1
	s_branch .LBB111_1589
.LBB111_1587:
	s_mov_b32 s37, 0
.LBB111_1588:
                                        ; implicit-def: $vgpr4
.LBB111_1589:
	s_and_not1_b32 s60, s55, exec_lo
	s_and_b32 s0, s0, exec_lo
	s_and_not1_b32 s61, s56, exec_lo
	s_and_b32 s36, s36, exec_lo
	s_or_b32 s63, s60, s0
	s_or_b32 s61, s61, s36
	s_and_not1_b32 s0, s57, exec_lo
	s_and_b32 s35, s35, exec_lo
	s_and_not1_b32 s36, s54, exec_lo
	s_and_b32 s34, s34, exec_lo
	s_or_b32 s62, s0, s35
	s_or_b32 s60, s36, s34
	s_or_not1_b32 s37, s37, exec_lo
.LBB111_1590:
	s_wait_xcnt 0x0
	s_or_b32 exec_lo, exec_lo, s59
	s_mov_b32 s35, 0
	s_mov_b32 s36, 0
	;; [unrolled: 1-line block ×3, first 2 shown]
                                        ; implicit-def: $sgpr0
                                        ; implicit-def: $vgpr10_vgpr11
                                        ; implicit-def: $vgpr2
                                        ; implicit-def: $vgpr0
                                        ; implicit-def: $vgpr8
                                        ; implicit-def: $vgpr6_vgpr7
	s_and_saveexec_b32 s59, s37
	s_cbranch_execz .LBB111_1683
; %bb.1591:
	v_cmp_gt_i32_e32 vcc_lo, s47, v4
	s_mov_b32 s37, s60
                                        ; implicit-def: $sgpr0
                                        ; implicit-def: $vgpr10_vgpr11
                                        ; implicit-def: $vgpr2
                                        ; implicit-def: $vgpr0
                                        ; implicit-def: $vgpr8
                                        ; implicit-def: $vgpr6_vgpr7
	s_and_saveexec_b32 s47, vcc_lo
	s_cbranch_execz .LBB111_1682
; %bb.1592:
	s_and_not1_b32 vcc_lo, exec_lo, s40
	s_cbranch_vccnz .LBB111_1598
; %bb.1593:
	s_and_not1_b32 vcc_lo, exec_lo, s48
	s_cbranch_vccnz .LBB111_1599
; %bb.1594:
	s_wait_loadcnt 0x0
	v_dual_mov_b32 v8, 0 :: v_dual_mov_b32 v1, v4
	v_dual_mov_b32 v0, 0 :: v_dual_mov_b32 v2, 0
	v_mov_b32_e32 v6, 0
	s_add_co_i32 s0, s46, 1
	s_mov_b64 s[34:35], 0xffffffffffffffe0
	s_and_b32 s0, s0, 30
	s_add_nc_u64 s[34:35], s[2:3], s[34:35]
	s_mov_b64 s[36:37], s[2:3]
.LBB111_1595:                           ; =>This Inner Loop Header: Depth=1
	s_clause 0x1
	s_load_b128 s[72:75], s[36:37], 0x4
	s_load_b64 s[76:77], s[36:37], 0x14
	s_load_b256 s[64:71], s[34:35], 0xe4
	s_add_co_i32 s0, s0, -2
	s_wait_xcnt 0x0
	s_add_nc_u64 s[36:37], s[36:37], 24
	s_cmp_eq_u32 s0, 0
	s_add_nc_u64 s[34:35], s[34:35], 32
	s_wait_kmcnt 0x0
	v_mul_hi_u32 v3, s73, v1
	s_delay_alu instid0(VALU_DEP_1) | instskip(NEXT) | instid1(VALU_DEP_1)
	v_add_nc_u32_e32 v3, v1, v3
	v_lshrrev_b32_e32 v3, s74, v3
	s_delay_alu instid0(VALU_DEP_1) | instskip(SKIP_1) | instid1(VALU_DEP_1)
	v_mul_hi_u32 v5, s76, v3
	v_mul_lo_u32 v7, v3, s72
	v_dual_add_nc_u32 v5, v3, v5 :: v_dual_sub_nc_u32 v7, v1, v7
	s_delay_alu instid0(VALU_DEP_1) | instskip(NEXT) | instid1(VALU_DEP_2)
	v_lshrrev_b32_e32 v1, s77, v5
	v_mad_u32 v6, v7, s65, v6
	v_mad_u32 v2, v7, s64, v2
	;; [unrolled: 1-line block ×4, first 2 shown]
	v_mul_lo_u32 v5, v1, s75
	s_delay_alu instid0(VALU_DEP_1) | instskip(NEXT) | instid1(VALU_DEP_1)
	v_sub_nc_u32_e32 v3, v3, v5
	v_mad_u32 v6, v3, s69, v6
	v_mad_u32 v2, v3, s68, v2
	;; [unrolled: 1-line block ×4, first 2 shown]
	s_cbranch_scc0 .LBB111_1595
; %bb.1596:
	s_bitcmp1_b32 s46, 0
	s_cselect_b32 s0, -1, 0
	s_delay_alu instid0(SALU_CYCLE_1)
	s_and_b32 vcc_lo, exec_lo, s0
	s_cbranch_vccnz .LBB111_1600
; %bb.1597:
	s_load_b96 s[68:70], s[36:37], 0x4
	s_load_b128 s[64:67], s[34:35], 0xe4
	s_wait_kmcnt 0x0
	v_mul_hi_u32 v3, s69, v1
	s_delay_alu instid0(VALU_DEP_1) | instskip(NEXT) | instid1(VALU_DEP_1)
	v_add_nc_u32_e32 v3, v1, v3
	v_lshrrev_b32_e32 v3, s70, v3
	s_delay_alu instid0(VALU_DEP_1) | instskip(NEXT) | instid1(VALU_DEP_1)
	v_mul_lo_u32 v3, v3, s68
	v_sub_nc_u32_e32 v1, v1, v3
	s_delay_alu instid0(VALU_DEP_1)
	v_mad_u32 v2, v1, s64, v2
	v_mad_u32 v6, v1, s65, v6
	;; [unrolled: 1-line block ×4, first 2 shown]
	s_branch .LBB111_1600
.LBB111_1598:
	s_mov_b32 s0, -1
                                        ; implicit-def: $vgpr6
                                        ; implicit-def: $vgpr2
                                        ; implicit-def: $vgpr0
                                        ; implicit-def: $vgpr8
	s_branch .LBB111_1601
.LBB111_1599:
	s_wait_loadcnt 0x0
	v_dual_mov_b32 v6, 0 :: v_dual_mov_b32 v2, 0
	v_dual_mov_b32 v0, 0 :: v_dual_mov_b32 v8, 0
.LBB111_1600:
	s_mov_b32 s0, 0
.LBB111_1601:
	s_delay_alu instid0(SALU_CYCLE_1)
	s_and_not1_b32 vcc_lo, exec_lo, s0
	s_cbranch_vccnz .LBB111_1604
; %bb.1602:
	v_mov_b32_e32 v5, 0
	s_and_not1_b32 vcc_lo, exec_lo, s45
	s_delay_alu instid0(VALU_DEP_1) | instskip(NEXT) | instid1(VALU_DEP_1)
	v_mul_u64_e32 v[0:1], s[28:29], v[4:5]
	v_add_nc_u32_e32 v0, v4, v1
	s_wait_loadcnt 0x0
	s_delay_alu instid0(VALU_DEP_1) | instskip(NEXT) | instid1(VALU_DEP_1)
	v_lshrrev_b32_e32 v10, s26, v0
	v_mul_lo_u32 v0, v10, s24
	s_delay_alu instid0(VALU_DEP_1) | instskip(NEXT) | instid1(VALU_DEP_1)
	v_sub_nc_u32_e32 v1, v4, v0
	v_mul_lo_u32 v6, v1, s13
	v_mul_lo_u32 v2, v1, s12
	;; [unrolled: 1-line block ×4, first 2 shown]
	s_cbranch_vccnz .LBB111_1604
; %bb.1603:
	v_mov_b32_e32 v11, v5
	s_delay_alu instid0(VALU_DEP_1) | instskip(NEXT) | instid1(VALU_DEP_1)
	v_mul_u64_e32 v[4:5], s[30:31], v[10:11]
	v_add_nc_u32_e32 v1, v10, v5
	s_delay_alu instid0(VALU_DEP_1) | instskip(NEXT) | instid1(VALU_DEP_1)
	v_lshrrev_b32_e32 v1, s1, v1
	v_mul_lo_u32 v1, v1, s27
	s_delay_alu instid0(VALU_DEP_1) | instskip(NEXT) | instid1(VALU_DEP_1)
	v_sub_nc_u32_e32 v1, v10, v1
	v_mad_u32 v2, v1, s16, v2
	v_mad_u32 v6, v1, s17, v6
	;; [unrolled: 1-line block ×4, first 2 shown]
.LBB111_1604:
	s_wait_loadcnt 0x0
	v_mov_b32_e32 v7, 0
	s_and_b32 s0, s44, 0xff
	s_delay_alu instid0(SALU_CYCLE_1) | instskip(NEXT) | instid1(VALU_DEP_1)
	s_cmp_lt_i32 s0, 11
	v_add_nc_u64_e32 v[10:11], s[6:7], v[6:7]
	s_cbranch_scc1 .LBB111_1611
; %bb.1605:
	s_and_b32 s1, 0xffff, s0
	s_mov_b32 s7, 0
	s_cmp_gt_i32 s1, 25
	s_cbranch_scc0 .LBB111_1612
; %bb.1606:
	s_cmp_gt_i32 s1, 28
	s_cbranch_scc0 .LBB111_1613
; %bb.1607:
	;; [unrolled: 3-line block ×4, first 2 shown]
	s_cmp_eq_u32 s1, 46
	s_mov_b32 s13, 0
	s_cbranch_scc0 .LBB111_1616
; %bb.1610:
	global_load_b32 v1, v[10:11], off
	s_mov_b32 s6, 0
	s_mov_b32 s12, -1
	s_wait_loadcnt 0x0
	v_lshlrev_b32_e32 v1, 16, v1
	s_delay_alu instid0(VALU_DEP_1)
	v_cvt_f64_f32_e32 v[6:7], v1
	s_branch .LBB111_1618
.LBB111_1611:
	s_mov_b32 s1, -1
	s_mov_b32 s12, 0
	s_mov_b32 s7, 0
	;; [unrolled: 1-line block ×3, first 2 shown]
                                        ; implicit-def: $vgpr6_vgpr7
	s_branch .LBB111_1681
.LBB111_1612:
	s_mov_b32 s13, -1
	s_mov_b32 s12, 0
	s_mov_b32 s6, s60
                                        ; implicit-def: $vgpr6_vgpr7
	s_branch .LBB111_1647
.LBB111_1613:
	s_mov_b32 s13, -1
	s_mov_b32 s12, 0
	s_mov_b32 s6, s60
                                        ; implicit-def: $vgpr6_vgpr7
	s_branch .LBB111_1628
.LBB111_1614:
	s_mov_b32 s13, -1
	s_mov_b32 s12, 0
	s_mov_b32 s6, s60
                                        ; implicit-def: $vgpr6_vgpr7
	s_branch .LBB111_1623
.LBB111_1615:
	s_mov_b32 s13, -1
	s_mov_b32 s12, 0
	s_mov_b32 s6, s60
	s_branch .LBB111_1617
.LBB111_1616:
	s_mov_b32 s6, -1
	s_mov_b32 s12, 0
.LBB111_1617:
                                        ; implicit-def: $vgpr6_vgpr7
.LBB111_1618:
	s_and_b32 vcc_lo, exec_lo, s13
	s_cbranch_vccz .LBB111_1622
; %bb.1619:
	s_cmp_eq_u32 s1, 44
	s_cbranch_scc0 .LBB111_1621
; %bb.1620:
	global_load_u8 v1, v[10:11], off
	s_mov_b32 s6, 0
	s_mov_b32 s12, -1
	s_wait_loadcnt 0x0
	v_lshlrev_b32_e32 v3, 23, v1
	v_cmp_ne_u32_e32 vcc_lo, 0xff, v1
	s_delay_alu instid0(VALU_DEP_2) | instskip(NEXT) | instid1(VALU_DEP_1)
	v_cvt_f64_f32_e32 v[4:5], v3
	v_cndmask_b32_e32 v3, 0x20000000, v4, vcc_lo
	s_delay_alu instid0(VALU_DEP_2) | instskip(SKIP_1) | instid1(VALU_DEP_2)
	v_cndmask_b32_e32 v4, 0x7ff80000, v5, vcc_lo
	v_cmp_ne_u32_e32 vcc_lo, 0, v1
	v_cndmask_b32_e32 v7, 0x38000000, v4, vcc_lo
	s_delay_alu instid0(VALU_DEP_4)
	v_cndmask_b32_e32 v6, 0, v3, vcc_lo
	s_branch .LBB111_1622
.LBB111_1621:
	s_mov_b32 s6, -1
                                        ; implicit-def: $vgpr6_vgpr7
.LBB111_1622:
	s_mov_b32 s13, 0
.LBB111_1623:
	s_delay_alu instid0(SALU_CYCLE_1)
	s_and_b32 vcc_lo, exec_lo, s13
	s_cbranch_vccz .LBB111_1627
; %bb.1624:
	s_cmp_eq_u32 s1, 29
	s_cbranch_scc0 .LBB111_1626
; %bb.1625:
	global_load_b64 v[4:5], v[10:11], off
	s_mov_b32 s6, 0
	s_mov_b32 s12, -1
	s_mov_b32 s13, 0
	s_wait_loadcnt 0x0
	v_cvt_f64_u32_e32 v[6:7], v5
	v_cvt_f64_u32_e32 v[4:5], v4
	s_delay_alu instid0(VALU_DEP_2) | instskip(NEXT) | instid1(VALU_DEP_1)
	v_ldexp_f64 v[6:7], v[6:7], 32
	v_add_f64_e32 v[6:7], v[6:7], v[4:5]
	s_branch .LBB111_1628
.LBB111_1626:
	s_mov_b32 s6, -1
                                        ; implicit-def: $vgpr6_vgpr7
.LBB111_1627:
	s_mov_b32 s13, 0
.LBB111_1628:
	s_delay_alu instid0(SALU_CYCLE_1)
	s_and_b32 vcc_lo, exec_lo, s13
	s_cbranch_vccz .LBB111_1646
; %bb.1629:
	s_cmp_lt_i32 s1, 27
	s_cbranch_scc1 .LBB111_1632
; %bb.1630:
	s_cmp_gt_i32 s1, 27
	s_cbranch_scc0 .LBB111_1633
; %bb.1631:
	global_load_b32 v1, v[10:11], off
	s_mov_b32 s12, 0
	s_wait_loadcnt 0x0
	v_cvt_f64_u32_e32 v[6:7], v1
	s_branch .LBB111_1634
.LBB111_1632:
	s_mov_b32 s12, -1
                                        ; implicit-def: $vgpr6_vgpr7
	s_branch .LBB111_1637
.LBB111_1633:
	s_mov_b32 s12, -1
                                        ; implicit-def: $vgpr6_vgpr7
.LBB111_1634:
	s_delay_alu instid0(SALU_CYCLE_1)
	s_and_not1_b32 vcc_lo, exec_lo, s12
	s_cbranch_vccnz .LBB111_1636
; %bb.1635:
	global_load_u16 v1, v[10:11], off
	s_wait_loadcnt 0x0
	v_cvt_f64_u32_e32 v[6:7], v1
.LBB111_1636:
	s_mov_b32 s12, 0
.LBB111_1637:
	s_delay_alu instid0(SALU_CYCLE_1)
	s_and_not1_b32 vcc_lo, exec_lo, s12
	s_cbranch_vccnz .LBB111_1645
; %bb.1638:
	global_load_u8 v1, v[10:11], off
	s_mov_b32 s12, 0
	s_mov_b32 s13, exec_lo
	s_wait_loadcnt 0x0
	v_cmpx_lt_i16_e32 0x7f, v1
	s_xor_b32 s13, exec_lo, s13
	s_cbranch_execz .LBB111_1659
; %bb.1639:
	s_mov_b32 s12, -1
	s_mov_b32 s14, exec_lo
	v_cmpx_eq_u16_e32 0x80, v1
; %bb.1640:
	s_xor_b32 s12, exec_lo, -1
; %bb.1641:
	s_or_b32 exec_lo, exec_lo, s14
	s_delay_alu instid0(SALU_CYCLE_1)
	s_and_b32 s12, s12, exec_lo
	s_or_saveexec_b32 s13, s13
	v_mov_b64_e32 v[6:7], 0x7ff8000020000000
	s_xor_b32 exec_lo, exec_lo, s13
	s_cbranch_execnz .LBB111_1660
.LBB111_1642:
	s_or_b32 exec_lo, exec_lo, s13
	s_and_saveexec_b32 s13, s12
	s_cbranch_execz .LBB111_1644
.LBB111_1643:
	v_and_b32_e32 v3, 0xffff, v1
	s_delay_alu instid0(VALU_DEP_1) | instskip(SKIP_1) | instid1(VALU_DEP_2)
	v_and_b32_e32 v4, 7, v3
	v_bfe_u32 v7, v3, 3, 4
	v_clz_i32_u32_e32 v5, v4
	s_delay_alu instid0(VALU_DEP_2) | instskip(NEXT) | instid1(VALU_DEP_2)
	v_cmp_eq_u32_e32 vcc_lo, 0, v7
	v_min_u32_e32 v5, 32, v5
	s_delay_alu instid0(VALU_DEP_1) | instskip(NEXT) | instid1(VALU_DEP_1)
	v_subrev_nc_u32_e32 v6, 28, v5
	v_dual_lshlrev_b32 v3, v6, v3 :: v_dual_sub_nc_u32 v5, 29, v5
	s_delay_alu instid0(VALU_DEP_1) | instskip(NEXT) | instid1(VALU_DEP_1)
	v_dual_lshlrev_b32 v1, 24, v1 :: v_dual_bitop2_b32 v3, 7, v3 bitop3:0x40
	v_dual_cndmask_b32 v3, v4, v3, vcc_lo :: v_dual_cndmask_b32 v5, v7, v5, vcc_lo
	s_delay_alu instid0(VALU_DEP_2) | instskip(NEXT) | instid1(VALU_DEP_2)
	v_and_b32_e32 v1, 0x80000000, v1
	v_lshlrev_b32_e32 v3, 20, v3
	s_delay_alu instid0(VALU_DEP_3) | instskip(NEXT) | instid1(VALU_DEP_1)
	v_lshl_add_u32 v4, v5, 23, 0x3b800000
	v_or3_b32 v1, v1, v4, v3
	s_delay_alu instid0(VALU_DEP_1)
	v_cvt_f64_f32_e32 v[6:7], v1
.LBB111_1644:
	s_or_b32 exec_lo, exec_lo, s13
.LBB111_1645:
	s_mov_b32 s12, -1
.LBB111_1646:
	s_mov_b32 s13, 0
.LBB111_1647:
	s_delay_alu instid0(SALU_CYCLE_1)
	s_and_b32 vcc_lo, exec_lo, s13
	s_cbranch_vccz .LBB111_1680
; %bb.1648:
	s_cmp_gt_i32 s1, 22
	s_cbranch_scc0 .LBB111_1658
; %bb.1649:
	s_cmp_lt_i32 s1, 24
	s_cbranch_scc1 .LBB111_1661
; %bb.1650:
	s_cmp_gt_i32 s1, 24
	s_cbranch_scc0 .LBB111_1662
; %bb.1651:
	global_load_u8 v1, v[10:11], off
	s_mov_b32 s12, exec_lo
	s_wait_loadcnt 0x0
	v_cmpx_lt_i16_e32 0x7f, v1
	s_xor_b32 s12, exec_lo, s12
	s_cbranch_execz .LBB111_1674
; %bb.1652:
	s_mov_b32 s7, -1
	s_mov_b32 s13, exec_lo
	v_cmpx_eq_u16_e32 0x80, v1
; %bb.1653:
	s_xor_b32 s7, exec_lo, -1
; %bb.1654:
	s_or_b32 exec_lo, exec_lo, s13
	s_delay_alu instid0(SALU_CYCLE_1)
	s_and_b32 s7, s7, exec_lo
	s_or_saveexec_b32 s12, s12
	v_mov_b64_e32 v[6:7], 0x7ff8000020000000
	s_xor_b32 exec_lo, exec_lo, s12
	s_cbranch_execnz .LBB111_1675
.LBB111_1655:
	s_or_b32 exec_lo, exec_lo, s12
	s_and_saveexec_b32 s12, s7
	s_cbranch_execz .LBB111_1657
.LBB111_1656:
	v_and_b32_e32 v3, 0xffff, v1
	s_delay_alu instid0(VALU_DEP_1) | instskip(SKIP_1) | instid1(VALU_DEP_2)
	v_and_b32_e32 v4, 3, v3
	v_bfe_u32 v7, v3, 2, 5
	v_clz_i32_u32_e32 v5, v4
	s_delay_alu instid0(VALU_DEP_2) | instskip(NEXT) | instid1(VALU_DEP_2)
	v_cmp_eq_u32_e32 vcc_lo, 0, v7
	v_min_u32_e32 v5, 32, v5
	s_delay_alu instid0(VALU_DEP_1) | instskip(NEXT) | instid1(VALU_DEP_1)
	v_subrev_nc_u32_e32 v6, 29, v5
	v_dual_lshlrev_b32 v3, v6, v3 :: v_dual_sub_nc_u32 v5, 30, v5
	s_delay_alu instid0(VALU_DEP_1) | instskip(NEXT) | instid1(VALU_DEP_1)
	v_dual_lshlrev_b32 v1, 24, v1 :: v_dual_bitop2_b32 v3, 3, v3 bitop3:0x40
	v_dual_cndmask_b32 v3, v4, v3, vcc_lo :: v_dual_cndmask_b32 v5, v7, v5, vcc_lo
	s_delay_alu instid0(VALU_DEP_2) | instskip(NEXT) | instid1(VALU_DEP_2)
	v_and_b32_e32 v1, 0x80000000, v1
	v_lshlrev_b32_e32 v3, 21, v3
	s_delay_alu instid0(VALU_DEP_3) | instskip(NEXT) | instid1(VALU_DEP_1)
	v_lshl_add_u32 v4, v5, 23, 0x37800000
	v_or3_b32 v1, v1, v4, v3
	s_delay_alu instid0(VALU_DEP_1)
	v_cvt_f64_f32_e32 v[6:7], v1
.LBB111_1657:
	s_or_b32 exec_lo, exec_lo, s12
	s_mov_b32 s7, 0
	s_branch .LBB111_1663
.LBB111_1658:
	s_mov_b32 s7, -1
                                        ; implicit-def: $vgpr6_vgpr7
	s_branch .LBB111_1669
.LBB111_1659:
	s_or_saveexec_b32 s13, s13
	v_mov_b64_e32 v[6:7], 0x7ff8000020000000
	s_xor_b32 exec_lo, exec_lo, s13
	s_cbranch_execz .LBB111_1642
.LBB111_1660:
	v_cmp_ne_u16_e32 vcc_lo, 0, v1
	v_mov_b64_e32 v[6:7], 0
	s_and_not1_b32 s12, s12, exec_lo
	s_and_b32 s14, vcc_lo, exec_lo
	s_delay_alu instid0(SALU_CYCLE_1)
	s_or_b32 s12, s12, s14
	s_or_b32 exec_lo, exec_lo, s13
	s_and_saveexec_b32 s13, s12
	s_cbranch_execnz .LBB111_1643
	s_branch .LBB111_1644
.LBB111_1661:
	s_mov_b32 s7, -1
                                        ; implicit-def: $vgpr6_vgpr7
	s_branch .LBB111_1666
.LBB111_1662:
	s_mov_b32 s7, -1
                                        ; implicit-def: $vgpr6_vgpr7
.LBB111_1663:
	s_delay_alu instid0(SALU_CYCLE_1)
	s_and_b32 vcc_lo, exec_lo, s7
	s_cbranch_vccz .LBB111_1665
; %bb.1664:
	global_load_u8 v1, v[10:11], off
	s_wait_loadcnt 0x0
	v_lshlrev_b32_e32 v1, 24, v1
	s_delay_alu instid0(VALU_DEP_1) | instskip(NEXT) | instid1(VALU_DEP_1)
	v_and_b32_e32 v3, 0x7f000000, v1
	v_clz_i32_u32_e32 v4, v3
	v_cmp_ne_u32_e32 vcc_lo, 0, v3
	v_add_nc_u32_e32 v6, 0x1000000, v3
	s_delay_alu instid0(VALU_DEP_3) | instskip(NEXT) | instid1(VALU_DEP_1)
	v_min_u32_e32 v4, 32, v4
	v_sub_nc_u32_e64 v4, v4, 4 clamp
	s_delay_alu instid0(VALU_DEP_1) | instskip(NEXT) | instid1(VALU_DEP_1)
	v_dual_lshlrev_b32 v5, v4, v3 :: v_dual_lshlrev_b32 v4, 23, v4
	v_lshrrev_b32_e32 v5, 4, v5
	s_delay_alu instid0(VALU_DEP_1) | instskip(NEXT) | instid1(VALU_DEP_1)
	v_dual_sub_nc_u32 v4, v5, v4 :: v_dual_ashrrev_i32 v5, 8, v6
	v_add_nc_u32_e32 v4, 0x3c000000, v4
	s_delay_alu instid0(VALU_DEP_1) | instskip(NEXT) | instid1(VALU_DEP_1)
	v_and_or_b32 v4, 0x7f800000, v5, v4
	v_cndmask_b32_e32 v3, 0, v4, vcc_lo
	s_delay_alu instid0(VALU_DEP_1) | instskip(NEXT) | instid1(VALU_DEP_1)
	v_and_or_b32 v1, 0x80000000, v1, v3
	v_cvt_f64_f32_e32 v[6:7], v1
.LBB111_1665:
	s_mov_b32 s7, 0
.LBB111_1666:
	s_delay_alu instid0(SALU_CYCLE_1)
	s_and_not1_b32 vcc_lo, exec_lo, s7
	s_cbranch_vccnz .LBB111_1668
; %bb.1667:
	global_load_u8 v1, v[10:11], off
	s_wait_loadcnt 0x0
	v_lshlrev_b32_e32 v3, 25, v1
	v_lshlrev_b16 v1, 8, v1
	s_delay_alu instid0(VALU_DEP_1) | instskip(NEXT) | instid1(VALU_DEP_3)
	v_and_or_b32 v5, 0x7f00, v1, 0.5
	v_lshrrev_b32_e32 v4, 4, v3
	v_bfe_i32 v1, v1, 0, 16
	s_delay_alu instid0(VALU_DEP_3) | instskip(NEXT) | instid1(VALU_DEP_3)
	v_add_f32_e32 v5, -0.5, v5
	v_or_b32_e32 v4, 0x70000000, v4
	s_delay_alu instid0(VALU_DEP_1) | instskip(SKIP_1) | instid1(VALU_DEP_2)
	v_mul_f32_e32 v4, 0x7800000, v4
	v_cmp_gt_u32_e32 vcc_lo, 0x8000000, v3
	v_cndmask_b32_e32 v3, v4, v5, vcc_lo
	s_delay_alu instid0(VALU_DEP_1) | instskip(NEXT) | instid1(VALU_DEP_1)
	v_and_or_b32 v1, 0x80000000, v1, v3
	v_cvt_f64_f32_e32 v[6:7], v1
.LBB111_1668:
	s_mov_b32 s7, 0
	s_mov_b32 s12, -1
.LBB111_1669:
	s_and_not1_b32 vcc_lo, exec_lo, s7
	s_mov_b32 s7, 0
	s_cbranch_vccnz .LBB111_1680
; %bb.1670:
	s_cmp_gt_i32 s1, 14
	s_cbranch_scc0 .LBB111_1673
; %bb.1671:
	s_cmp_eq_u32 s1, 15
	s_cbranch_scc0 .LBB111_1676
; %bb.1672:
	global_load_u16 v1, v[10:11], off
	s_mov_b32 s6, 0
	s_mov_b32 s12, -1
	s_wait_loadcnt 0x0
	v_lshlrev_b32_e32 v1, 16, v1
	s_delay_alu instid0(VALU_DEP_1)
	v_cvt_f64_f32_e32 v[6:7], v1
	s_branch .LBB111_1678
.LBB111_1673:
	s_mov_b32 s7, -1
	s_branch .LBB111_1677
.LBB111_1674:
	s_or_saveexec_b32 s12, s12
	v_mov_b64_e32 v[6:7], 0x7ff8000020000000
	s_xor_b32 exec_lo, exec_lo, s12
	s_cbranch_execz .LBB111_1655
.LBB111_1675:
	v_cmp_ne_u16_e32 vcc_lo, 0, v1
	v_mov_b64_e32 v[6:7], 0
	s_and_not1_b32 s7, s7, exec_lo
	s_and_b32 s13, vcc_lo, exec_lo
	s_delay_alu instid0(SALU_CYCLE_1)
	s_or_b32 s7, s7, s13
	s_or_b32 exec_lo, exec_lo, s12
	s_and_saveexec_b32 s12, s7
	s_cbranch_execnz .LBB111_1656
	s_branch .LBB111_1657
.LBB111_1676:
	s_mov_b32 s6, -1
.LBB111_1677:
                                        ; implicit-def: $vgpr6_vgpr7
.LBB111_1678:
	s_and_b32 vcc_lo, exec_lo, s7
	s_mov_b32 s7, 0
	s_cbranch_vccz .LBB111_1680
; %bb.1679:
	s_cmp_lg_u32 s1, 11
	s_mov_b32 s7, -1
	s_cselect_b32 s1, -1, 0
	s_and_not1_b32 s6, s6, exec_lo
	s_and_b32 s1, s1, exec_lo
	s_delay_alu instid0(SALU_CYCLE_1)
	s_or_b32 s6, s6, s1
.LBB111_1680:
	s_mov_b32 s1, 0
.LBB111_1681:
	s_delay_alu instid0(SALU_CYCLE_1)
	s_and_b32 s36, s1, exec_lo
	s_and_not1_b32 s1, s60, exec_lo
	s_and_b32 s6, s6, exec_lo
	s_and_b32 s34, s12, exec_lo
	;; [unrolled: 1-line block ×3, first 2 shown]
	s_or_b32 s37, s1, s6
.LBB111_1682:
	s_wait_xcnt 0x0
	s_or_b32 exec_lo, exec_lo, s47
	s_delay_alu instid0(SALU_CYCLE_1)
	s_and_not1_b32 s1, s60, exec_lo
	s_and_b32 s6, s37, exec_lo
	s_and_b32 s34, s34, exec_lo
	;; [unrolled: 1-line block ×4, first 2 shown]
	s_or_b32 s60, s1, s6
.LBB111_1683:
	s_or_b32 exec_lo, exec_lo, s59
	s_delay_alu instid0(SALU_CYCLE_1)
	s_and_not1_b32 s1, s55, exec_lo
	s_and_b32 s6, s63, exec_lo
	s_and_not1_b32 s7, s57, exec_lo
	s_or_b32 s55, s1, s6
	s_and_not1_b32 s1, s56, exec_lo
	s_and_b32 s6, s61, exec_lo
	s_and_b32 s12, s62, exec_lo
	s_or_b32 s56, s1, s6
	s_and_not1_b32 s1, s54, exec_lo
	s_and_b32 s6, s60, exec_lo
	s_or_b32 s57, s7, s12
	s_and_b32 s34, s34, exec_lo
	s_and_b32 s36, s36, exec_lo
	;; [unrolled: 1-line block ×3, first 2 shown]
	s_or_b32 s54, s1, s6
.LBB111_1684:
	s_or_b32 exec_lo, exec_lo, s58
	s_delay_alu instid0(SALU_CYCLE_1)
	s_and_not1_b32 s1, s49, exec_lo
	s_and_b32 s6, s55, exec_lo
	s_and_not1_b32 s7, s51, exec_lo
	s_or_b32 s49, s1, s6
	s_and_not1_b32 s1, s50, exec_lo
	s_and_b32 s6, s56, exec_lo
	s_and_b32 s12, s57, exec_lo
	s_or_b32 s50, s1, s6
	s_and_not1_b32 s1, s52, exec_lo
	s_and_b32 s6, s54, exec_lo
	s_or_b32 s51, s7, s12
	s_and_b32 s34, s34, exec_lo
	s_and_b32 s36, s36, exec_lo
	s_and_b32 s29, s35, exec_lo
	s_or_b32 s52, s1, s6
	s_or_b32 exec_lo, exec_lo, s53
	s_mov_b32 s1, 0
	s_and_saveexec_b32 s6, s52
	s_cbranch_execz .LBB111_532
.LBB111_1685:
	s_mov_b32 s1, exec_lo
	s_and_not1_b32 s29, s29, exec_lo
	s_trap 2
	s_or_b32 exec_lo, exec_lo, s6
	s_and_saveexec_b32 s6, s29
	s_delay_alu instid0(SALU_CYCLE_1)
	s_xor_b32 s6, exec_lo, s6
	s_cbranch_execnz .LBB111_533
.LBB111_1686:
	s_or_b32 exec_lo, exec_lo, s6
	s_and_saveexec_b32 s6, s36
	s_cbranch_execz .LBB111_1732
.LBB111_1687:
	s_sext_i32_i16 s7, s0
	s_delay_alu instid0(SALU_CYCLE_1)
	s_cmp_lt_i32 s7, 5
	s_cbranch_scc1 .LBB111_1692
; %bb.1688:
	s_cmp_lt_i32 s7, 8
	s_cbranch_scc1 .LBB111_1693
; %bb.1689:
	;; [unrolled: 3-line block ×3, first 2 shown]
	s_cmp_gt_i32 s7, 9
	s_cbranch_scc0 .LBB111_1695
; %bb.1691:
	s_wait_loadcnt 0x0
	global_load_b64 v[6:7], v[10:11], off
	s_mov_b32 s7, 0
	s_branch .LBB111_1696
.LBB111_1692:
                                        ; implicit-def: $vgpr6_vgpr7
	s_branch .LBB111_1713
.LBB111_1693:
                                        ; implicit-def: $vgpr6_vgpr7
	s_branch .LBB111_1702
.LBB111_1694:
	s_mov_b32 s7, -1
                                        ; implicit-def: $vgpr6_vgpr7
	s_branch .LBB111_1699
.LBB111_1695:
	s_mov_b32 s7, -1
                                        ; implicit-def: $vgpr6_vgpr7
.LBB111_1696:
	s_delay_alu instid0(SALU_CYCLE_1)
	s_and_not1_b32 vcc_lo, exec_lo, s7
	s_cbranch_vccnz .LBB111_1698
; %bb.1697:
	s_wait_loadcnt 0x0
	global_load_b32 v1, v[10:11], off
	s_wait_loadcnt 0x0
	v_cvt_f64_f32_e32 v[6:7], v1
.LBB111_1698:
	s_mov_b32 s7, 0
.LBB111_1699:
	s_delay_alu instid0(SALU_CYCLE_1)
	s_and_not1_b32 vcc_lo, exec_lo, s7
	s_cbranch_vccnz .LBB111_1701
; %bb.1700:
	s_wait_loadcnt 0x0
	global_load_b32 v1, v[10:11], off
	s_wait_loadcnt 0x0
	v_cvt_f32_f16_e32 v1, v1
	s_delay_alu instid0(VALU_DEP_1)
	v_cvt_f64_f32_e32 v[6:7], v1
.LBB111_1701:
	s_cbranch_execnz .LBB111_1712
.LBB111_1702:
	s_sext_i32_i16 s7, s0
	s_delay_alu instid0(SALU_CYCLE_1)
	s_cmp_lt_i32 s7, 6
	s_cbranch_scc1 .LBB111_1705
; %bb.1703:
	s_cmp_gt_i32 s7, 6
	s_cbranch_scc0 .LBB111_1706
; %bb.1704:
	s_wait_loadcnt 0x0
	global_load_b64 v[6:7], v[10:11], off
	s_mov_b32 s7, 0
	s_branch .LBB111_1707
.LBB111_1705:
	s_mov_b32 s7, -1
                                        ; implicit-def: $vgpr6_vgpr7
	s_branch .LBB111_1710
.LBB111_1706:
	s_mov_b32 s7, -1
                                        ; implicit-def: $vgpr6_vgpr7
.LBB111_1707:
	s_delay_alu instid0(SALU_CYCLE_1)
	s_and_not1_b32 vcc_lo, exec_lo, s7
	s_cbranch_vccnz .LBB111_1709
; %bb.1708:
	s_wait_loadcnt 0x0
	global_load_b32 v1, v[10:11], off
	s_wait_loadcnt 0x0
	v_cvt_f64_f32_e32 v[6:7], v1
.LBB111_1709:
	s_mov_b32 s7, 0
.LBB111_1710:
	s_delay_alu instid0(SALU_CYCLE_1)
	s_and_not1_b32 vcc_lo, exec_lo, s7
	s_cbranch_vccnz .LBB111_1712
; %bb.1711:
	s_wait_loadcnt 0x0
	global_load_u16 v1, v[10:11], off
	s_wait_loadcnt 0x0
	v_cvt_f32_f16_e32 v1, v1
	s_delay_alu instid0(VALU_DEP_1)
	v_cvt_f64_f32_e32 v[6:7], v1
.LBB111_1712:
	s_cbranch_execnz .LBB111_1731
.LBB111_1713:
	s_sext_i32_i16 s7, s0
	s_delay_alu instid0(SALU_CYCLE_1)
	s_cmp_lt_i32 s7, 2
	s_cbranch_scc1 .LBB111_1717
; %bb.1714:
	s_cmp_lt_i32 s7, 3
	s_cbranch_scc1 .LBB111_1718
; %bb.1715:
	s_cmp_gt_i32 s7, 3
	s_cbranch_scc0 .LBB111_1719
; %bb.1716:
	s_wait_loadcnt 0x0
	global_load_b64 v[4:5], v[10:11], off
	s_mov_b32 s7, 0
	s_wait_loadcnt 0x0
	v_cvt_f64_i32_e32 v[6:7], v5
	v_cvt_f64_u32_e32 v[4:5], v4
	s_delay_alu instid0(VALU_DEP_2) | instskip(NEXT) | instid1(VALU_DEP_1)
	v_ldexp_f64 v[6:7], v[6:7], 32
	v_add_f64_e32 v[6:7], v[6:7], v[4:5]
	s_branch .LBB111_1720
.LBB111_1717:
                                        ; implicit-def: $vgpr6_vgpr7
	s_branch .LBB111_1726
.LBB111_1718:
	s_mov_b32 s7, -1
                                        ; implicit-def: $vgpr6_vgpr7
	s_branch .LBB111_1723
.LBB111_1719:
	s_mov_b32 s7, -1
                                        ; implicit-def: $vgpr6_vgpr7
.LBB111_1720:
	s_delay_alu instid0(SALU_CYCLE_1)
	s_and_not1_b32 vcc_lo, exec_lo, s7
	s_cbranch_vccnz .LBB111_1722
; %bb.1721:
	s_wait_loadcnt 0x0
	global_load_b32 v1, v[10:11], off
	s_wait_loadcnt 0x0
	v_cvt_f64_i32_e32 v[6:7], v1
.LBB111_1722:
	s_mov_b32 s7, 0
.LBB111_1723:
	s_delay_alu instid0(SALU_CYCLE_1)
	s_and_not1_b32 vcc_lo, exec_lo, s7
	s_cbranch_vccnz .LBB111_1725
; %bb.1724:
	s_wait_loadcnt 0x0
	global_load_i16 v1, v[10:11], off
	s_wait_loadcnt 0x0
	v_cvt_f64_i32_e32 v[6:7], v1
.LBB111_1725:
	s_cbranch_execnz .LBB111_1731
.LBB111_1726:
	s_sext_i32_i16 s0, s0
	s_delay_alu instid0(SALU_CYCLE_1)
	s_cmp_gt_i32 s0, 0
	s_mov_b32 s0, 0
	s_cbranch_scc0 .LBB111_1728
; %bb.1727:
	s_wait_loadcnt 0x0
	global_load_i8 v1, v[10:11], off
	s_wait_loadcnt 0x0
	v_cvt_f64_i32_e32 v[6:7], v1
	s_branch .LBB111_1729
.LBB111_1728:
	s_mov_b32 s0, -1
                                        ; implicit-def: $vgpr6_vgpr7
.LBB111_1729:
	s_delay_alu instid0(SALU_CYCLE_1)
	s_and_not1_b32 vcc_lo, exec_lo, s0
	s_cbranch_vccnz .LBB111_1731
; %bb.1730:
	s_wait_loadcnt 0x0
	global_load_u8 v1, v[10:11], off
	s_wait_loadcnt 0x0
	v_cvt_f64_u32_e32 v[6:7], v1
.LBB111_1731:
	s_or_b32 s34, s34, exec_lo
.LBB111_1732:
	s_wait_xcnt 0x0
	s_or_b32 exec_lo, exec_lo, s6
	s_mov_b32 s13, 0
	s_mov_b32 s12, 0
	;; [unrolled: 1-line block ×3, first 2 shown]
                                        ; implicit-def: $sgpr0
                                        ; implicit-def: $vgpr10_vgpr11
                                        ; implicit-def: $vgpr4_vgpr5
	s_and_saveexec_b32 s6, s34
	s_cbranch_execz .LBB111_1740
; %bb.1733:
	s_wait_loadcnt 0x0
	v_mov_b32_e32 v9, 0
	s_and_b32 s0, s43, 0xff
	s_delay_alu instid0(SALU_CYCLE_1) | instskip(NEXT) | instid1(VALU_DEP_1)
	s_cmp_lt_i32 s0, 11
	v_add_nc_u64_e32 v[10:11], s[8:9], v[8:9]
	s_cbranch_scc1 .LBB111_1743
; %bb.1734:
	s_and_b32 s7, 0xffff, s0
	s_mov_b32 s9, 0
	s_cmp_gt_i32 s7, 25
	s_cbranch_scc0 .LBB111_1744
; %bb.1735:
	s_cmp_gt_i32 s7, 28
	s_cbranch_scc0 .LBB111_1745
; %bb.1736:
	;; [unrolled: 3-line block ×4, first 2 shown]
	s_cmp_eq_u32 s7, 46
	s_cbranch_scc0 .LBB111_1748
; %bb.1739:
	global_load_b32 v1, v[10:11], off
	s_mov_b32 s8, 0
	s_mov_b32 s12, -1
	s_wait_loadcnt 0x0
	v_lshlrev_b32_e32 v1, 16, v1
	s_delay_alu instid0(VALU_DEP_1)
	v_cvt_f64_f32_e32 v[4:5], v1
	s_branch .LBB111_1750
.LBB111_1740:
	s_or_b32 exec_lo, exec_lo, s6
	s_and_saveexec_b32 s6, s51
	s_cbranch_execnz .LBB111_1813
.LBB111_1741:
	s_or_b32 exec_lo, exec_lo, s6
	s_and_saveexec_b32 s6, s13
	s_delay_alu instid0(SALU_CYCLE_1)
	s_xor_b32 s6, exec_lo, s6
	s_cbranch_execz .LBB111_1814
.LBB111_1742:
	s_wait_loadcnt 0x0
	global_load_u8 v1, v[10:11], off
	v_mov_b32_e32 v4, 0
	s_or_b32 s7, s7, exec_lo
	s_wait_loadcnt 0x0
	v_cmp_ne_u16_e32 vcc_lo, 0, v1
	v_cndmask_b32_e64 v5, 0, 0x3ff00000, vcc_lo
	s_wait_xcnt 0x0
	s_or_b32 exec_lo, exec_lo, s6
	s_and_saveexec_b32 s6, s12
	s_cbranch_execz .LBB111_1860
	s_branch .LBB111_1815
.LBB111_1743:
	s_mov_b32 s13, -1
	s_mov_b32 s9, 0
	s_mov_b32 s8, s51
                                        ; implicit-def: $vgpr4_vgpr5
	s_branch .LBB111_1812
.LBB111_1744:
	s_mov_b32 s8, s51
                                        ; implicit-def: $vgpr4_vgpr5
	s_cbranch_execnz .LBB111_1779
	s_branch .LBB111_1811
.LBB111_1745:
	s_mov_b32 s13, -1
	s_mov_b32 s8, s51
                                        ; implicit-def: $vgpr4_vgpr5
	s_branch .LBB111_1760
.LBB111_1746:
	s_mov_b32 s13, -1
	s_mov_b32 s8, s51
                                        ; implicit-def: $vgpr4_vgpr5
	s_branch .LBB111_1755
.LBB111_1747:
	s_mov_b32 s13, -1
	s_mov_b32 s8, s51
	s_branch .LBB111_1749
.LBB111_1748:
	s_mov_b32 s8, -1
.LBB111_1749:
                                        ; implicit-def: $vgpr4_vgpr5
.LBB111_1750:
	s_and_b32 vcc_lo, exec_lo, s13
	s_cbranch_vccz .LBB111_1754
; %bb.1751:
	s_cmp_eq_u32 s7, 44
	s_cbranch_scc0 .LBB111_1753
; %bb.1752:
	global_load_u8 v1, v[10:11], off
	s_mov_b32 s8, 0
	s_mov_b32 s12, -1
	s_wait_loadcnt 0x0
	v_lshlrev_b32_e32 v3, 23, v1
	v_cmp_ne_u32_e32 vcc_lo, 0xff, v1
	s_delay_alu instid0(VALU_DEP_2) | instskip(NEXT) | instid1(VALU_DEP_1)
	v_cvt_f64_f32_e32 v[4:5], v3
	v_cndmask_b32_e32 v3, 0x20000000, v4, vcc_lo
	s_delay_alu instid0(VALU_DEP_2) | instskip(SKIP_1) | instid1(VALU_DEP_2)
	v_cndmask_b32_e32 v4, 0x7ff80000, v5, vcc_lo
	v_cmp_ne_u32_e32 vcc_lo, 0, v1
	v_cndmask_b32_e32 v5, 0x38000000, v4, vcc_lo
	s_delay_alu instid0(VALU_DEP_4)
	v_cndmask_b32_e32 v4, 0, v3, vcc_lo
	s_branch .LBB111_1754
.LBB111_1753:
	s_mov_b32 s8, -1
                                        ; implicit-def: $vgpr4_vgpr5
.LBB111_1754:
	s_mov_b32 s13, 0
.LBB111_1755:
	s_delay_alu instid0(SALU_CYCLE_1)
	s_and_b32 vcc_lo, exec_lo, s13
	s_cbranch_vccz .LBB111_1759
; %bb.1756:
	s_cmp_eq_u32 s7, 29
	s_cbranch_scc0 .LBB111_1758
; %bb.1757:
	global_load_b64 v[4:5], v[10:11], off
	s_mov_b32 s8, 0
	s_mov_b32 s12, -1
	s_mov_b32 s13, 0
	s_wait_loadcnt 0x0
	v_cvt_f64_u32_e32 v[8:9], v5
	v_cvt_f64_u32_e32 v[4:5], v4
	s_delay_alu instid0(VALU_DEP_2) | instskip(NEXT) | instid1(VALU_DEP_1)
	v_ldexp_f64 v[8:9], v[8:9], 32
	v_add_f64_e32 v[4:5], v[8:9], v[4:5]
	s_branch .LBB111_1760
.LBB111_1758:
	s_mov_b32 s8, -1
                                        ; implicit-def: $vgpr4_vgpr5
.LBB111_1759:
	s_mov_b32 s13, 0
.LBB111_1760:
	s_delay_alu instid0(SALU_CYCLE_1)
	s_and_b32 vcc_lo, exec_lo, s13
	s_cbranch_vccz .LBB111_1778
; %bb.1761:
	s_cmp_lt_i32 s7, 27
	s_cbranch_scc1 .LBB111_1764
; %bb.1762:
	s_cmp_gt_i32 s7, 27
	s_cbranch_scc0 .LBB111_1765
; %bb.1763:
	global_load_b32 v1, v[10:11], off
	s_mov_b32 s12, 0
	s_wait_loadcnt 0x0
	v_cvt_f64_u32_e32 v[4:5], v1
	s_branch .LBB111_1766
.LBB111_1764:
	s_mov_b32 s12, -1
                                        ; implicit-def: $vgpr4_vgpr5
	s_branch .LBB111_1769
.LBB111_1765:
	s_mov_b32 s12, -1
                                        ; implicit-def: $vgpr4_vgpr5
.LBB111_1766:
	s_delay_alu instid0(SALU_CYCLE_1)
	s_and_not1_b32 vcc_lo, exec_lo, s12
	s_cbranch_vccnz .LBB111_1768
; %bb.1767:
	global_load_u16 v1, v[10:11], off
	s_wait_loadcnt 0x0
	v_cvt_f64_u32_e32 v[4:5], v1
.LBB111_1768:
	s_mov_b32 s12, 0
.LBB111_1769:
	s_delay_alu instid0(SALU_CYCLE_1)
	s_and_not1_b32 vcc_lo, exec_lo, s12
	s_cbranch_vccnz .LBB111_1777
; %bb.1770:
	global_load_u8 v1, v[10:11], off
	s_mov_b32 s12, 0
	s_mov_b32 s13, exec_lo
	s_wait_loadcnt 0x0
	v_cmpx_lt_i16_e32 0x7f, v1
	s_xor_b32 s13, exec_lo, s13
	s_cbranch_execz .LBB111_1790
; %bb.1771:
	s_mov_b32 s12, -1
	s_mov_b32 s14, exec_lo
	v_cmpx_eq_u16_e32 0x80, v1
; %bb.1772:
	s_xor_b32 s12, exec_lo, -1
; %bb.1773:
	s_or_b32 exec_lo, exec_lo, s14
	s_delay_alu instid0(SALU_CYCLE_1)
	s_and_b32 s12, s12, exec_lo
	s_or_saveexec_b32 s13, s13
	v_mov_b64_e32 v[4:5], 0x7ff8000020000000
	s_xor_b32 exec_lo, exec_lo, s13
	s_cbranch_execnz .LBB111_1791
.LBB111_1774:
	s_or_b32 exec_lo, exec_lo, s13
	s_and_saveexec_b32 s13, s12
	s_cbranch_execz .LBB111_1776
.LBB111_1775:
	v_and_b32_e32 v3, 0xffff, v1
	s_delay_alu instid0(VALU_DEP_1) | instskip(SKIP_1) | instid1(VALU_DEP_2)
	v_and_b32_e32 v4, 7, v3
	v_bfe_u32 v9, v3, 3, 4
	v_clz_i32_u32_e32 v5, v4
	s_delay_alu instid0(VALU_DEP_2) | instskip(NEXT) | instid1(VALU_DEP_2)
	v_cmp_eq_u32_e32 vcc_lo, 0, v9
	v_min_u32_e32 v5, 32, v5
	s_delay_alu instid0(VALU_DEP_1) | instskip(NEXT) | instid1(VALU_DEP_1)
	v_subrev_nc_u32_e32 v8, 28, v5
	v_dual_lshlrev_b32 v3, v8, v3 :: v_dual_sub_nc_u32 v5, 29, v5
	s_delay_alu instid0(VALU_DEP_1) | instskip(NEXT) | instid1(VALU_DEP_1)
	v_dual_lshlrev_b32 v1, 24, v1 :: v_dual_bitop2_b32 v3, 7, v3 bitop3:0x40
	v_dual_cndmask_b32 v3, v4, v3, vcc_lo :: v_dual_cndmask_b32 v5, v9, v5, vcc_lo
	s_delay_alu instid0(VALU_DEP_2) | instskip(NEXT) | instid1(VALU_DEP_2)
	v_and_b32_e32 v1, 0x80000000, v1
	v_lshlrev_b32_e32 v3, 20, v3
	s_delay_alu instid0(VALU_DEP_3) | instskip(NEXT) | instid1(VALU_DEP_1)
	v_lshl_add_u32 v4, v5, 23, 0x3b800000
	v_or3_b32 v1, v1, v4, v3
	s_delay_alu instid0(VALU_DEP_1)
	v_cvt_f64_f32_e32 v[4:5], v1
.LBB111_1776:
	s_or_b32 exec_lo, exec_lo, s13
.LBB111_1777:
	s_mov_b32 s12, -1
.LBB111_1778:
	s_branch .LBB111_1811
.LBB111_1779:
	s_cmp_gt_i32 s7, 22
	s_cbranch_scc0 .LBB111_1789
; %bb.1780:
	s_cmp_lt_i32 s7, 24
	s_cbranch_scc1 .LBB111_1792
; %bb.1781:
	s_cmp_gt_i32 s7, 24
	s_cbranch_scc0 .LBB111_1793
; %bb.1782:
	global_load_u8 v1, v[10:11], off
	s_mov_b32 s12, exec_lo
	s_wait_loadcnt 0x0
	v_cmpx_lt_i16_e32 0x7f, v1
	s_xor_b32 s12, exec_lo, s12
	s_cbranch_execz .LBB111_1805
; %bb.1783:
	s_mov_b32 s9, -1
	s_mov_b32 s13, exec_lo
	v_cmpx_eq_u16_e32 0x80, v1
; %bb.1784:
	s_xor_b32 s9, exec_lo, -1
; %bb.1785:
	s_or_b32 exec_lo, exec_lo, s13
	s_delay_alu instid0(SALU_CYCLE_1)
	s_and_b32 s9, s9, exec_lo
	s_or_saveexec_b32 s12, s12
	v_mov_b64_e32 v[4:5], 0x7ff8000020000000
	s_xor_b32 exec_lo, exec_lo, s12
	s_cbranch_execnz .LBB111_1806
.LBB111_1786:
	s_or_b32 exec_lo, exec_lo, s12
	s_and_saveexec_b32 s12, s9
	s_cbranch_execz .LBB111_1788
.LBB111_1787:
	v_and_b32_e32 v3, 0xffff, v1
	s_delay_alu instid0(VALU_DEP_1) | instskip(SKIP_1) | instid1(VALU_DEP_2)
	v_and_b32_e32 v4, 3, v3
	v_bfe_u32 v9, v3, 2, 5
	v_clz_i32_u32_e32 v5, v4
	s_delay_alu instid0(VALU_DEP_2) | instskip(NEXT) | instid1(VALU_DEP_2)
	v_cmp_eq_u32_e32 vcc_lo, 0, v9
	v_min_u32_e32 v5, 32, v5
	s_delay_alu instid0(VALU_DEP_1) | instskip(NEXT) | instid1(VALU_DEP_1)
	v_subrev_nc_u32_e32 v8, 29, v5
	v_dual_lshlrev_b32 v3, v8, v3 :: v_dual_sub_nc_u32 v5, 30, v5
	s_delay_alu instid0(VALU_DEP_1) | instskip(NEXT) | instid1(VALU_DEP_1)
	v_dual_lshlrev_b32 v1, 24, v1 :: v_dual_bitop2_b32 v3, 3, v3 bitop3:0x40
	v_dual_cndmask_b32 v3, v4, v3, vcc_lo :: v_dual_cndmask_b32 v5, v9, v5, vcc_lo
	s_delay_alu instid0(VALU_DEP_2) | instskip(NEXT) | instid1(VALU_DEP_2)
	v_and_b32_e32 v1, 0x80000000, v1
	v_lshlrev_b32_e32 v3, 21, v3
	s_delay_alu instid0(VALU_DEP_3) | instskip(NEXT) | instid1(VALU_DEP_1)
	v_lshl_add_u32 v4, v5, 23, 0x37800000
	v_or3_b32 v1, v1, v4, v3
	s_delay_alu instid0(VALU_DEP_1)
	v_cvt_f64_f32_e32 v[4:5], v1
.LBB111_1788:
	s_or_b32 exec_lo, exec_lo, s12
	s_mov_b32 s9, 0
	s_branch .LBB111_1794
.LBB111_1789:
	s_mov_b32 s9, -1
                                        ; implicit-def: $vgpr4_vgpr5
	s_branch .LBB111_1800
.LBB111_1790:
	s_or_saveexec_b32 s13, s13
	v_mov_b64_e32 v[4:5], 0x7ff8000020000000
	s_xor_b32 exec_lo, exec_lo, s13
	s_cbranch_execz .LBB111_1774
.LBB111_1791:
	v_cmp_ne_u16_e32 vcc_lo, 0, v1
	v_mov_b64_e32 v[4:5], 0
	s_and_not1_b32 s12, s12, exec_lo
	s_and_b32 s14, vcc_lo, exec_lo
	s_delay_alu instid0(SALU_CYCLE_1)
	s_or_b32 s12, s12, s14
	s_or_b32 exec_lo, exec_lo, s13
	s_and_saveexec_b32 s13, s12
	s_cbranch_execnz .LBB111_1775
	s_branch .LBB111_1776
.LBB111_1792:
	s_mov_b32 s9, -1
                                        ; implicit-def: $vgpr4_vgpr5
	s_branch .LBB111_1797
.LBB111_1793:
	s_mov_b32 s9, -1
                                        ; implicit-def: $vgpr4_vgpr5
.LBB111_1794:
	s_delay_alu instid0(SALU_CYCLE_1)
	s_and_b32 vcc_lo, exec_lo, s9
	s_cbranch_vccz .LBB111_1796
; %bb.1795:
	global_load_u8 v1, v[10:11], off
	s_wait_loadcnt 0x0
	v_lshlrev_b32_e32 v1, 24, v1
	s_delay_alu instid0(VALU_DEP_1) | instskip(NEXT) | instid1(VALU_DEP_1)
	v_and_b32_e32 v3, 0x7f000000, v1
	v_clz_i32_u32_e32 v4, v3
	v_cmp_ne_u32_e32 vcc_lo, 0, v3
	v_add_nc_u32_e32 v8, 0x1000000, v3
	s_delay_alu instid0(VALU_DEP_3) | instskip(NEXT) | instid1(VALU_DEP_1)
	v_min_u32_e32 v4, 32, v4
	v_sub_nc_u32_e64 v4, v4, 4 clamp
	s_delay_alu instid0(VALU_DEP_1) | instskip(NEXT) | instid1(VALU_DEP_1)
	v_dual_lshlrev_b32 v5, v4, v3 :: v_dual_lshlrev_b32 v4, 23, v4
	v_lshrrev_b32_e32 v5, 4, v5
	s_delay_alu instid0(VALU_DEP_1) | instskip(SKIP_1) | instid1(VALU_DEP_2)
	v_sub_nc_u32_e32 v4, v5, v4
	v_ashrrev_i32_e32 v5, 8, v8
	v_add_nc_u32_e32 v4, 0x3c000000, v4
	s_delay_alu instid0(VALU_DEP_1) | instskip(NEXT) | instid1(VALU_DEP_1)
	v_and_or_b32 v4, 0x7f800000, v5, v4
	v_cndmask_b32_e32 v3, 0, v4, vcc_lo
	s_delay_alu instid0(VALU_DEP_1) | instskip(NEXT) | instid1(VALU_DEP_1)
	v_and_or_b32 v1, 0x80000000, v1, v3
	v_cvt_f64_f32_e32 v[4:5], v1
.LBB111_1796:
	s_mov_b32 s9, 0
.LBB111_1797:
	s_delay_alu instid0(SALU_CYCLE_1)
	s_and_not1_b32 vcc_lo, exec_lo, s9
	s_cbranch_vccnz .LBB111_1799
; %bb.1798:
	global_load_u8 v1, v[10:11], off
	s_wait_loadcnt 0x0
	v_lshlrev_b32_e32 v3, 25, v1
	v_lshlrev_b16 v1, 8, v1
	s_delay_alu instid0(VALU_DEP_1) | instskip(NEXT) | instid1(VALU_DEP_3)
	v_and_or_b32 v5, 0x7f00, v1, 0.5
	v_lshrrev_b32_e32 v4, 4, v3
	v_bfe_i32 v1, v1, 0, 16
	s_delay_alu instid0(VALU_DEP_3) | instskip(NEXT) | instid1(VALU_DEP_3)
	v_add_f32_e32 v5, -0.5, v5
	v_or_b32_e32 v4, 0x70000000, v4
	s_delay_alu instid0(VALU_DEP_1) | instskip(SKIP_1) | instid1(VALU_DEP_2)
	v_mul_f32_e32 v4, 0x7800000, v4
	v_cmp_gt_u32_e32 vcc_lo, 0x8000000, v3
	v_cndmask_b32_e32 v3, v4, v5, vcc_lo
	s_delay_alu instid0(VALU_DEP_1) | instskip(NEXT) | instid1(VALU_DEP_1)
	v_and_or_b32 v1, 0x80000000, v1, v3
	v_cvt_f64_f32_e32 v[4:5], v1
.LBB111_1799:
	s_mov_b32 s9, 0
	s_mov_b32 s12, -1
.LBB111_1800:
	s_and_not1_b32 vcc_lo, exec_lo, s9
	s_mov_b32 s9, 0
	s_cbranch_vccnz .LBB111_1811
; %bb.1801:
	s_cmp_gt_i32 s7, 14
	s_cbranch_scc0 .LBB111_1804
; %bb.1802:
	s_cmp_eq_u32 s7, 15
	s_cbranch_scc0 .LBB111_1807
; %bb.1803:
	global_load_u16 v1, v[10:11], off
	s_mov_b32 s8, 0
	s_mov_b32 s12, -1
	s_wait_loadcnt 0x0
	v_lshlrev_b32_e32 v1, 16, v1
	s_delay_alu instid0(VALU_DEP_1)
	v_cvt_f64_f32_e32 v[4:5], v1
	s_branch .LBB111_1809
.LBB111_1804:
	s_mov_b32 s9, -1
	s_branch .LBB111_1808
.LBB111_1805:
	s_or_saveexec_b32 s12, s12
	v_mov_b64_e32 v[4:5], 0x7ff8000020000000
	s_xor_b32 exec_lo, exec_lo, s12
	s_cbranch_execz .LBB111_1786
.LBB111_1806:
	v_cmp_ne_u16_e32 vcc_lo, 0, v1
	v_mov_b64_e32 v[4:5], 0
	s_and_not1_b32 s9, s9, exec_lo
	s_and_b32 s13, vcc_lo, exec_lo
	s_delay_alu instid0(SALU_CYCLE_1)
	s_or_b32 s9, s9, s13
	s_or_b32 exec_lo, exec_lo, s12
	s_and_saveexec_b32 s12, s9
	s_cbranch_execnz .LBB111_1787
	s_branch .LBB111_1788
.LBB111_1807:
	s_mov_b32 s8, -1
.LBB111_1808:
                                        ; implicit-def: $vgpr4_vgpr5
.LBB111_1809:
	s_and_b32 vcc_lo, exec_lo, s9
	s_mov_b32 s9, 0
	s_cbranch_vccz .LBB111_1811
; %bb.1810:
	s_cmp_lg_u32 s7, 11
	s_mov_b32 s9, -1
	s_cselect_b32 s7, -1, 0
	s_and_not1_b32 s8, s8, exec_lo
	s_and_b32 s7, s7, exec_lo
	s_delay_alu instid0(SALU_CYCLE_1)
	s_or_b32 s8, s8, s7
.LBB111_1811:
	s_mov_b32 s13, 0
.LBB111_1812:
	s_and_not1_b32 s14, s51, exec_lo
	s_and_b32 s8, s8, exec_lo
	s_and_b32 s7, s12, exec_lo
	;; [unrolled: 1-line block ×4, first 2 shown]
	s_or_b32 s51, s14, s8
	s_wait_xcnt 0x0
	s_or_b32 exec_lo, exec_lo, s6
	s_and_saveexec_b32 s6, s51
	s_cbranch_execz .LBB111_1741
.LBB111_1813:
	s_or_b32 s1, s1, exec_lo
	s_and_not1_b32 s13, s13, exec_lo
	s_trap 2
	s_or_b32 exec_lo, exec_lo, s6
	s_and_saveexec_b32 s6, s13
	s_delay_alu instid0(SALU_CYCLE_1)
	s_xor_b32 s6, exec_lo, s6
	s_cbranch_execnz .LBB111_1742
.LBB111_1814:
	s_or_b32 exec_lo, exec_lo, s6
	s_and_saveexec_b32 s6, s12
	s_cbranch_execz .LBB111_1860
.LBB111_1815:
	s_sext_i32_i16 s8, s0
	s_delay_alu instid0(SALU_CYCLE_1)
	s_cmp_lt_i32 s8, 5
	s_cbranch_scc1 .LBB111_1820
; %bb.1816:
	s_cmp_lt_i32 s8, 8
	s_cbranch_scc1 .LBB111_1821
; %bb.1817:
	;; [unrolled: 3-line block ×3, first 2 shown]
	s_cmp_gt_i32 s8, 9
	s_cbranch_scc0 .LBB111_1823
; %bb.1819:
	s_wait_loadcnt 0x0
	global_load_b64 v[4:5], v[10:11], off
	s_mov_b32 s8, 0
	s_branch .LBB111_1824
.LBB111_1820:
                                        ; implicit-def: $vgpr4_vgpr5
	s_branch .LBB111_1841
.LBB111_1821:
                                        ; implicit-def: $vgpr4_vgpr5
	s_branch .LBB111_1830
.LBB111_1822:
	s_mov_b32 s8, -1
                                        ; implicit-def: $vgpr4_vgpr5
	s_branch .LBB111_1827
.LBB111_1823:
	s_mov_b32 s8, -1
                                        ; implicit-def: $vgpr4_vgpr5
.LBB111_1824:
	s_delay_alu instid0(SALU_CYCLE_1)
	s_and_not1_b32 vcc_lo, exec_lo, s8
	s_cbranch_vccnz .LBB111_1826
; %bb.1825:
	s_wait_loadcnt 0x0
	global_load_b32 v1, v[10:11], off
	s_wait_loadcnt 0x0
	v_cvt_f64_f32_e32 v[4:5], v1
.LBB111_1826:
	s_mov_b32 s8, 0
.LBB111_1827:
	s_delay_alu instid0(SALU_CYCLE_1)
	s_and_not1_b32 vcc_lo, exec_lo, s8
	s_cbranch_vccnz .LBB111_1829
; %bb.1828:
	s_wait_loadcnt 0x0
	global_load_b32 v1, v[10:11], off
	s_wait_loadcnt 0x0
	v_cvt_f32_f16_e32 v1, v1
	s_delay_alu instid0(VALU_DEP_1)
	v_cvt_f64_f32_e32 v[4:5], v1
.LBB111_1829:
	s_cbranch_execnz .LBB111_1840
.LBB111_1830:
	s_sext_i32_i16 s8, s0
	s_delay_alu instid0(SALU_CYCLE_1)
	s_cmp_lt_i32 s8, 6
	s_cbranch_scc1 .LBB111_1833
; %bb.1831:
	s_cmp_gt_i32 s8, 6
	s_cbranch_scc0 .LBB111_1834
; %bb.1832:
	s_wait_loadcnt 0x0
	global_load_b64 v[4:5], v[10:11], off
	s_mov_b32 s8, 0
	s_branch .LBB111_1835
.LBB111_1833:
	s_mov_b32 s8, -1
                                        ; implicit-def: $vgpr4_vgpr5
	s_branch .LBB111_1838
.LBB111_1834:
	s_mov_b32 s8, -1
                                        ; implicit-def: $vgpr4_vgpr5
.LBB111_1835:
	s_delay_alu instid0(SALU_CYCLE_1)
	s_and_not1_b32 vcc_lo, exec_lo, s8
	s_cbranch_vccnz .LBB111_1837
; %bb.1836:
	s_wait_loadcnt 0x0
	global_load_b32 v1, v[10:11], off
	s_wait_loadcnt 0x0
	v_cvt_f64_f32_e32 v[4:5], v1
.LBB111_1837:
	s_mov_b32 s8, 0
.LBB111_1838:
	s_delay_alu instid0(SALU_CYCLE_1)
	s_and_not1_b32 vcc_lo, exec_lo, s8
	s_cbranch_vccnz .LBB111_1840
; %bb.1839:
	s_wait_loadcnt 0x0
	global_load_u16 v1, v[10:11], off
	s_wait_loadcnt 0x0
	v_cvt_f32_f16_e32 v1, v1
	s_delay_alu instid0(VALU_DEP_1)
	v_cvt_f64_f32_e32 v[4:5], v1
.LBB111_1840:
	s_cbranch_execnz .LBB111_1859
.LBB111_1841:
	s_sext_i32_i16 s8, s0
	s_delay_alu instid0(SALU_CYCLE_1)
	s_cmp_lt_i32 s8, 2
	s_cbranch_scc1 .LBB111_1845
; %bb.1842:
	s_cmp_lt_i32 s8, 3
	s_cbranch_scc1 .LBB111_1846
; %bb.1843:
	s_cmp_gt_i32 s8, 3
	s_cbranch_scc0 .LBB111_1847
; %bb.1844:
	s_wait_loadcnt 0x0
	global_load_b64 v[4:5], v[10:11], off
	s_mov_b32 s8, 0
	s_wait_loadcnt 0x0
	v_cvt_f64_i32_e32 v[8:9], v5
	v_cvt_f64_u32_e32 v[4:5], v4
	s_delay_alu instid0(VALU_DEP_2) | instskip(NEXT) | instid1(VALU_DEP_1)
	v_ldexp_f64 v[8:9], v[8:9], 32
	v_add_f64_e32 v[4:5], v[8:9], v[4:5]
	s_branch .LBB111_1848
.LBB111_1845:
                                        ; implicit-def: $vgpr4_vgpr5
	s_branch .LBB111_1854
.LBB111_1846:
	s_mov_b32 s8, -1
                                        ; implicit-def: $vgpr4_vgpr5
	s_branch .LBB111_1851
.LBB111_1847:
	s_mov_b32 s8, -1
                                        ; implicit-def: $vgpr4_vgpr5
.LBB111_1848:
	s_delay_alu instid0(SALU_CYCLE_1)
	s_and_not1_b32 vcc_lo, exec_lo, s8
	s_cbranch_vccnz .LBB111_1850
; %bb.1849:
	s_wait_loadcnt 0x0
	global_load_b32 v1, v[10:11], off
	s_wait_loadcnt 0x0
	v_cvt_f64_i32_e32 v[4:5], v1
.LBB111_1850:
	s_mov_b32 s8, 0
.LBB111_1851:
	s_delay_alu instid0(SALU_CYCLE_1)
	s_and_not1_b32 vcc_lo, exec_lo, s8
	s_cbranch_vccnz .LBB111_1853
; %bb.1852:
	s_wait_loadcnt 0x0
	global_load_i16 v1, v[10:11], off
	s_wait_loadcnt 0x0
	v_cvt_f64_i32_e32 v[4:5], v1
.LBB111_1853:
	s_cbranch_execnz .LBB111_1859
.LBB111_1854:
	s_sext_i32_i16 s0, s0
	s_delay_alu instid0(SALU_CYCLE_1)
	s_cmp_gt_i32 s0, 0
	s_mov_b32 s0, 0
	s_cbranch_scc0 .LBB111_1856
; %bb.1855:
	s_wait_loadcnt 0x0
	global_load_i8 v1, v[10:11], off
	s_wait_loadcnt 0x0
	v_cvt_f64_i32_e32 v[4:5], v1
	s_branch .LBB111_1857
.LBB111_1856:
	s_mov_b32 s0, -1
                                        ; implicit-def: $vgpr4_vgpr5
.LBB111_1857:
	s_delay_alu instid0(SALU_CYCLE_1)
	s_and_not1_b32 vcc_lo, exec_lo, s0
	s_cbranch_vccnz .LBB111_1859
; %bb.1858:
	s_wait_loadcnt 0x0
	global_load_u8 v1, v[10:11], off
	s_wait_loadcnt 0x0
	v_cvt_f64_u32_e32 v[4:5], v1
.LBB111_1859:
	s_or_b32 s7, s7, exec_lo
.LBB111_1860:
	s_wait_xcnt 0x0
	s_or_b32 exec_lo, exec_lo, s6
	s_mov_b32 s8, 0
	s_mov_b32 s6, 0
	;; [unrolled: 1-line block ×3, first 2 shown]
                                        ; implicit-def: $vgpr8_vgpr9
                                        ; implicit-def: $vgpr10_vgpr11
	s_and_saveexec_b32 s0, s7
	s_cbranch_execz .LBB111_1868
; %bb.1861:
	v_mov_b32_e32 v1, 0
	s_and_b32 s6, 0xffff, s25
	s_delay_alu instid0(SALU_CYCLE_1) | instskip(SKIP_1) | instid1(VALU_DEP_1)
	s_cmp_lt_i32 s6, 11
	s_wait_loadcnt 0x0
	v_add_nc_u64_e32 v[8:9], s[10:11], v[0:1]
	s_cbranch_scc1 .LBB111_1871
; %bb.1862:
	s_cmp_gt_i32 s6, 25
	s_cbranch_scc0 .LBB111_1872
; %bb.1863:
	s_cmp_gt_i32 s6, 28
	s_cbranch_scc0 .LBB111_1873
	;; [unrolled: 3-line block ×4, first 2 shown]
; %bb.1866:
	s_cmp_eq_u32 s6, 46
	s_mov_b32 s10, 0
	s_cbranch_scc0 .LBB111_1876
; %bb.1867:
	global_load_b32 v0, v[8:9], off
	s_mov_b32 s7, 0
	s_mov_b32 s9, -1
	s_wait_loadcnt 0x0
	v_lshlrev_b32_e32 v0, 16, v0
	s_delay_alu instid0(VALU_DEP_1)
	v_cvt_f64_f32_e32 v[10:11], v0
	s_branch .LBB111_1878
.LBB111_1868:
	s_or_b32 exec_lo, exec_lo, s0
	s_and_saveexec_b32 s0, s50
	s_cbranch_execnz .LBB111_1941
.LBB111_1869:
	s_or_b32 exec_lo, exec_lo, s0
	s_and_saveexec_b32 s0, s8
	s_delay_alu instid0(SALU_CYCLE_1)
	s_xor_b32 s0, exec_lo, s0
	s_cbranch_execz .LBB111_1942
.LBB111_1870:
	s_wait_loadcnt 0x0
	global_load_u8 v0, v[8:9], off
	v_mov_b32_e32 v10, 0
	s_or_b32 s9, s9, exec_lo
	s_wait_loadcnt 0x0
	v_cmp_ne_u16_e32 vcc_lo, 0, v0
	v_cndmask_b32_e64 v11, 0, 0x3ff00000, vcc_lo
	s_wait_xcnt 0x0
	s_or_b32 exec_lo, exec_lo, s0
	s_and_saveexec_b32 s0, s6
	s_cbranch_execz .LBB111_1988
	s_branch .LBB111_1943
.LBB111_1871:
	s_mov_b32 s6, -1
	s_mov_b32 s7, s50
                                        ; implicit-def: $vgpr10_vgpr11
	s_branch .LBB111_1940
.LBB111_1872:
	s_mov_b32 s7, s50
                                        ; implicit-def: $vgpr10_vgpr11
	s_cbranch_execnz .LBB111_1907
	s_branch .LBB111_1939
.LBB111_1873:
	s_mov_b32 s10, -1
	s_mov_b32 s7, s50
                                        ; implicit-def: $vgpr10_vgpr11
	s_branch .LBB111_1888
.LBB111_1874:
	s_mov_b32 s10, -1
	s_mov_b32 s7, s50
                                        ; implicit-def: $vgpr10_vgpr11
	s_branch .LBB111_1883
.LBB111_1875:
	s_mov_b32 s10, -1
	s_mov_b32 s7, s50
	s_branch .LBB111_1877
.LBB111_1876:
	s_mov_b32 s7, -1
.LBB111_1877:
                                        ; implicit-def: $vgpr10_vgpr11
.LBB111_1878:
	s_and_b32 vcc_lo, exec_lo, s10
	s_cbranch_vccz .LBB111_1882
; %bb.1879:
	s_cmp_eq_u32 s6, 44
	s_cbranch_scc0 .LBB111_1881
; %bb.1880:
	global_load_u8 v3, v[8:9], off
	s_mov_b32 s7, 0
	s_mov_b32 s9, -1
	s_wait_loadcnt 0x0
	v_cmp_ne_u32_e32 vcc_lo, 0xff, v3
	v_lshlrev_b32_e32 v0, 23, v3
	s_delay_alu instid0(VALU_DEP_1) | instskip(NEXT) | instid1(VALU_DEP_1)
	v_cvt_f64_f32_e32 v[0:1], v0
	v_cndmask_b32_e32 v0, 0x20000000, v0, vcc_lo
	s_delay_alu instid0(VALU_DEP_2) | instskip(SKIP_1) | instid1(VALU_DEP_2)
	v_cndmask_b32_e32 v1, 0x7ff80000, v1, vcc_lo
	v_cmp_ne_u32_e32 vcc_lo, 0, v3
	v_cndmask_b32_e32 v11, 0x38000000, v1, vcc_lo
	s_delay_alu instid0(VALU_DEP_4)
	v_cndmask_b32_e32 v10, 0, v0, vcc_lo
	s_branch .LBB111_1882
.LBB111_1881:
	s_mov_b32 s7, -1
                                        ; implicit-def: $vgpr10_vgpr11
.LBB111_1882:
	s_mov_b32 s10, 0
.LBB111_1883:
	s_delay_alu instid0(SALU_CYCLE_1)
	s_and_b32 vcc_lo, exec_lo, s10
	s_cbranch_vccz .LBB111_1887
; %bb.1884:
	s_cmp_eq_u32 s6, 29
	s_cbranch_scc0 .LBB111_1886
; %bb.1885:
	global_load_b64 v[0:1], v[8:9], off
	s_mov_b32 s7, 0
	s_mov_b32 s9, -1
	s_mov_b32 s10, 0
	s_wait_loadcnt 0x0
	v_cvt_f64_u32_e32 v[10:11], v1
	v_cvt_f64_u32_e32 v[0:1], v0
	s_delay_alu instid0(VALU_DEP_2) | instskip(NEXT) | instid1(VALU_DEP_1)
	v_ldexp_f64 v[10:11], v[10:11], 32
	v_add_f64_e32 v[10:11], v[10:11], v[0:1]
	s_branch .LBB111_1888
.LBB111_1886:
	s_mov_b32 s7, -1
                                        ; implicit-def: $vgpr10_vgpr11
.LBB111_1887:
	s_mov_b32 s10, 0
.LBB111_1888:
	s_delay_alu instid0(SALU_CYCLE_1)
	s_and_b32 vcc_lo, exec_lo, s10
	s_cbranch_vccz .LBB111_1906
; %bb.1889:
	s_cmp_lt_i32 s6, 27
	s_cbranch_scc1 .LBB111_1892
; %bb.1890:
	s_cmp_gt_i32 s6, 27
	s_cbranch_scc0 .LBB111_1893
; %bb.1891:
	global_load_b32 v0, v[8:9], off
	s_mov_b32 s9, 0
	s_wait_loadcnt 0x0
	v_cvt_f64_u32_e32 v[10:11], v0
	s_branch .LBB111_1894
.LBB111_1892:
	s_mov_b32 s9, -1
                                        ; implicit-def: $vgpr10_vgpr11
	s_branch .LBB111_1897
.LBB111_1893:
	s_mov_b32 s9, -1
                                        ; implicit-def: $vgpr10_vgpr11
.LBB111_1894:
	s_delay_alu instid0(SALU_CYCLE_1)
	s_and_not1_b32 vcc_lo, exec_lo, s9
	s_cbranch_vccnz .LBB111_1896
; %bb.1895:
	global_load_u16 v0, v[8:9], off
	s_wait_loadcnt 0x0
	v_cvt_f64_u32_e32 v[10:11], v0
.LBB111_1896:
	s_mov_b32 s9, 0
.LBB111_1897:
	s_delay_alu instid0(SALU_CYCLE_1)
	s_and_not1_b32 vcc_lo, exec_lo, s9
	s_cbranch_vccnz .LBB111_1905
; %bb.1898:
	global_load_u8 v0, v[8:9], off
	s_mov_b32 s9, 0
	s_mov_b32 s10, exec_lo
	s_wait_loadcnt 0x0
	v_cmpx_lt_i16_e32 0x7f, v0
	s_xor_b32 s10, exec_lo, s10
	s_cbranch_execz .LBB111_1918
; %bb.1899:
	s_mov_b32 s9, -1
	s_mov_b32 s11, exec_lo
	v_cmpx_eq_u16_e32 0x80, v0
; %bb.1900:
	s_xor_b32 s9, exec_lo, -1
; %bb.1901:
	s_or_b32 exec_lo, exec_lo, s11
	s_delay_alu instid0(SALU_CYCLE_1)
	s_and_b32 s9, s9, exec_lo
	s_or_saveexec_b32 s10, s10
	v_mov_b64_e32 v[10:11], 0x7ff8000020000000
	s_xor_b32 exec_lo, exec_lo, s10
	s_cbranch_execnz .LBB111_1919
.LBB111_1902:
	s_or_b32 exec_lo, exec_lo, s10
	s_and_saveexec_b32 s10, s9
	s_cbranch_execz .LBB111_1904
.LBB111_1903:
	v_and_b32_e32 v1, 0xffff, v0
	s_delay_alu instid0(VALU_DEP_1) | instskip(SKIP_1) | instid1(VALU_DEP_2)
	v_and_b32_e32 v3, 7, v1
	v_bfe_u32 v12, v1, 3, 4
	v_clz_i32_u32_e32 v10, v3
	s_delay_alu instid0(VALU_DEP_2) | instskip(NEXT) | instid1(VALU_DEP_2)
	v_cmp_eq_u32_e32 vcc_lo, 0, v12
	v_min_u32_e32 v10, 32, v10
	s_delay_alu instid0(VALU_DEP_1) | instskip(NEXT) | instid1(VALU_DEP_1)
	v_subrev_nc_u32_e32 v11, 28, v10
	v_dual_lshlrev_b32 v1, v11, v1 :: v_dual_sub_nc_u32 v10, 29, v10
	s_delay_alu instid0(VALU_DEP_1) | instskip(NEXT) | instid1(VALU_DEP_1)
	v_dual_lshlrev_b32 v0, 24, v0 :: v_dual_bitop2_b32 v1, 7, v1 bitop3:0x40
	v_dual_cndmask_b32 v10, v12, v10 :: v_dual_cndmask_b32 v1, v3, v1
	s_delay_alu instid0(VALU_DEP_2) | instskip(NEXT) | instid1(VALU_DEP_2)
	v_and_b32_e32 v0, 0x80000000, v0
	v_lshl_add_u32 v3, v10, 23, 0x3b800000
	s_delay_alu instid0(VALU_DEP_3) | instskip(NEXT) | instid1(VALU_DEP_1)
	v_lshlrev_b32_e32 v1, 20, v1
	v_or3_b32 v0, v0, v3, v1
	s_delay_alu instid0(VALU_DEP_1)
	v_cvt_f64_f32_e32 v[10:11], v0
.LBB111_1904:
	s_or_b32 exec_lo, exec_lo, s10
.LBB111_1905:
	s_mov_b32 s9, -1
.LBB111_1906:
	s_branch .LBB111_1939
.LBB111_1907:
	s_cmp_gt_i32 s6, 22
	s_cbranch_scc0 .LBB111_1917
; %bb.1908:
	s_cmp_lt_i32 s6, 24
	s_cbranch_scc1 .LBB111_1920
; %bb.1909:
	s_cmp_gt_i32 s6, 24
	s_cbranch_scc0 .LBB111_1921
; %bb.1910:
	global_load_u8 v0, v[8:9], off
	s_mov_b32 s9, exec_lo
	s_wait_loadcnt 0x0
	v_cmpx_lt_i16_e32 0x7f, v0
	s_xor_b32 s9, exec_lo, s9
	s_cbranch_execz .LBB111_1933
; %bb.1911:
	s_mov_b32 s8, -1
	s_mov_b32 s10, exec_lo
	v_cmpx_eq_u16_e32 0x80, v0
; %bb.1912:
	s_xor_b32 s8, exec_lo, -1
; %bb.1913:
	s_or_b32 exec_lo, exec_lo, s10
	s_delay_alu instid0(SALU_CYCLE_1)
	s_and_b32 s8, s8, exec_lo
	s_or_saveexec_b32 s9, s9
	v_mov_b64_e32 v[10:11], 0x7ff8000020000000
	s_xor_b32 exec_lo, exec_lo, s9
	s_cbranch_execnz .LBB111_1934
.LBB111_1914:
	s_or_b32 exec_lo, exec_lo, s9
	s_and_saveexec_b32 s9, s8
	s_cbranch_execz .LBB111_1916
.LBB111_1915:
	v_and_b32_e32 v1, 0xffff, v0
	s_delay_alu instid0(VALU_DEP_1) | instskip(SKIP_1) | instid1(VALU_DEP_2)
	v_and_b32_e32 v3, 3, v1
	v_bfe_u32 v12, v1, 2, 5
	v_clz_i32_u32_e32 v10, v3
	s_delay_alu instid0(VALU_DEP_2) | instskip(NEXT) | instid1(VALU_DEP_2)
	v_cmp_eq_u32_e32 vcc_lo, 0, v12
	v_min_u32_e32 v10, 32, v10
	s_delay_alu instid0(VALU_DEP_1) | instskip(NEXT) | instid1(VALU_DEP_1)
	v_subrev_nc_u32_e32 v11, 29, v10
	v_dual_lshlrev_b32 v1, v11, v1 :: v_dual_sub_nc_u32 v10, 30, v10
	s_delay_alu instid0(VALU_DEP_1) | instskip(NEXT) | instid1(VALU_DEP_1)
	v_dual_lshlrev_b32 v0, 24, v0 :: v_dual_bitop2_b32 v1, 3, v1 bitop3:0x40
	v_dual_cndmask_b32 v10, v12, v10 :: v_dual_cndmask_b32 v1, v3, v1
	s_delay_alu instid0(VALU_DEP_2) | instskip(NEXT) | instid1(VALU_DEP_2)
	v_and_b32_e32 v0, 0x80000000, v0
	v_lshl_add_u32 v3, v10, 23, 0x37800000
	s_delay_alu instid0(VALU_DEP_3) | instskip(NEXT) | instid1(VALU_DEP_1)
	v_lshlrev_b32_e32 v1, 21, v1
	v_or3_b32 v0, v0, v3, v1
	s_delay_alu instid0(VALU_DEP_1)
	v_cvt_f64_f32_e32 v[10:11], v0
.LBB111_1916:
	s_or_b32 exec_lo, exec_lo, s9
	s_mov_b32 s8, 0
	s_branch .LBB111_1922
.LBB111_1917:
	s_mov_b32 s8, -1
                                        ; implicit-def: $vgpr10_vgpr11
	s_branch .LBB111_1928
.LBB111_1918:
	s_or_saveexec_b32 s10, s10
	v_mov_b64_e32 v[10:11], 0x7ff8000020000000
	s_xor_b32 exec_lo, exec_lo, s10
	s_cbranch_execz .LBB111_1902
.LBB111_1919:
	v_cmp_ne_u16_e32 vcc_lo, 0, v0
	v_mov_b64_e32 v[10:11], 0
	s_and_not1_b32 s9, s9, exec_lo
	s_and_b32 s11, vcc_lo, exec_lo
	s_delay_alu instid0(SALU_CYCLE_1)
	s_or_b32 s9, s9, s11
	s_or_b32 exec_lo, exec_lo, s10
	s_and_saveexec_b32 s10, s9
	s_cbranch_execnz .LBB111_1903
	s_branch .LBB111_1904
.LBB111_1920:
	s_mov_b32 s8, -1
                                        ; implicit-def: $vgpr10_vgpr11
	s_branch .LBB111_1925
.LBB111_1921:
	s_mov_b32 s8, -1
                                        ; implicit-def: $vgpr10_vgpr11
.LBB111_1922:
	s_delay_alu instid0(SALU_CYCLE_1)
	s_and_b32 vcc_lo, exec_lo, s8
	s_cbranch_vccz .LBB111_1924
; %bb.1923:
	global_load_u8 v0, v[8:9], off
	s_wait_loadcnt 0x0
	v_lshlrev_b32_e32 v0, 24, v0
	s_delay_alu instid0(VALU_DEP_1) | instskip(NEXT) | instid1(VALU_DEP_1)
	v_and_b32_e32 v1, 0x7f000000, v0
	v_clz_i32_u32_e32 v3, v1
	v_add_nc_u32_e32 v11, 0x1000000, v1
	v_cmp_ne_u32_e32 vcc_lo, 0, v1
	s_delay_alu instid0(VALU_DEP_3) | instskip(NEXT) | instid1(VALU_DEP_1)
	v_min_u32_e32 v3, 32, v3
	v_sub_nc_u32_e64 v3, v3, 4 clamp
	s_delay_alu instid0(VALU_DEP_1) | instskip(NEXT) | instid1(VALU_DEP_1)
	v_dual_lshlrev_b32 v10, v3, v1 :: v_dual_lshlrev_b32 v3, 23, v3
	v_lshrrev_b32_e32 v10, 4, v10
	s_delay_alu instid0(VALU_DEP_1) | instskip(SKIP_1) | instid1(VALU_DEP_2)
	v_sub_nc_u32_e32 v3, v10, v3
	v_ashrrev_i32_e32 v10, 8, v11
	v_add_nc_u32_e32 v3, 0x3c000000, v3
	s_delay_alu instid0(VALU_DEP_1) | instskip(NEXT) | instid1(VALU_DEP_1)
	v_and_or_b32 v3, 0x7f800000, v10, v3
	v_cndmask_b32_e32 v1, 0, v3, vcc_lo
	s_delay_alu instid0(VALU_DEP_1) | instskip(NEXT) | instid1(VALU_DEP_1)
	v_and_or_b32 v0, 0x80000000, v0, v1
	v_cvt_f64_f32_e32 v[10:11], v0
.LBB111_1924:
	s_mov_b32 s8, 0
.LBB111_1925:
	s_delay_alu instid0(SALU_CYCLE_1)
	s_and_not1_b32 vcc_lo, exec_lo, s8
	s_cbranch_vccnz .LBB111_1927
; %bb.1926:
	global_load_u8 v0, v[8:9], off
	s_wait_loadcnt 0x0
	v_lshlrev_b32_e32 v1, 25, v0
	v_lshlrev_b16 v0, 8, v0
	s_delay_alu instid0(VALU_DEP_1) | instskip(SKIP_1) | instid1(VALU_DEP_2)
	v_and_or_b32 v10, 0x7f00, v0, 0.5
	v_bfe_i32 v0, v0, 0, 16
	v_dual_add_f32 v10, -0.5, v10 :: v_dual_lshrrev_b32 v3, 4, v1
	v_cmp_gt_u32_e32 vcc_lo, 0x8000000, v1
	s_delay_alu instid0(VALU_DEP_2) | instskip(NEXT) | instid1(VALU_DEP_1)
	v_or_b32_e32 v3, 0x70000000, v3
	v_mul_f32_e32 v3, 0x7800000, v3
	s_delay_alu instid0(VALU_DEP_1) | instskip(NEXT) | instid1(VALU_DEP_1)
	v_cndmask_b32_e32 v1, v3, v10, vcc_lo
	v_and_or_b32 v0, 0x80000000, v0, v1
	s_delay_alu instid0(VALU_DEP_1)
	v_cvt_f64_f32_e32 v[10:11], v0
.LBB111_1927:
	s_mov_b32 s8, 0
	s_mov_b32 s9, -1
.LBB111_1928:
	s_and_not1_b32 vcc_lo, exec_lo, s8
	s_mov_b32 s8, 0
	s_cbranch_vccnz .LBB111_1939
; %bb.1929:
	s_cmp_gt_i32 s6, 14
	s_cbranch_scc0 .LBB111_1932
; %bb.1930:
	s_cmp_eq_u32 s6, 15
	s_cbranch_scc0 .LBB111_1935
; %bb.1931:
	global_load_u16 v0, v[8:9], off
	s_mov_b32 s7, 0
	s_mov_b32 s9, -1
	s_wait_loadcnt 0x0
	v_lshlrev_b32_e32 v0, 16, v0
	s_delay_alu instid0(VALU_DEP_1)
	v_cvt_f64_f32_e32 v[10:11], v0
	s_branch .LBB111_1937
.LBB111_1932:
	s_mov_b32 s8, -1
	s_branch .LBB111_1936
.LBB111_1933:
	s_or_saveexec_b32 s9, s9
	v_mov_b64_e32 v[10:11], 0x7ff8000020000000
	s_xor_b32 exec_lo, exec_lo, s9
	s_cbranch_execz .LBB111_1914
.LBB111_1934:
	v_cmp_ne_u16_e32 vcc_lo, 0, v0
	v_mov_b64_e32 v[10:11], 0
	s_and_not1_b32 s8, s8, exec_lo
	s_and_b32 s10, vcc_lo, exec_lo
	s_delay_alu instid0(SALU_CYCLE_1)
	s_or_b32 s8, s8, s10
	s_or_b32 exec_lo, exec_lo, s9
	s_and_saveexec_b32 s9, s8
	s_cbranch_execnz .LBB111_1915
	s_branch .LBB111_1916
.LBB111_1935:
	s_mov_b32 s7, -1
.LBB111_1936:
                                        ; implicit-def: $vgpr10_vgpr11
.LBB111_1937:
	s_and_b32 vcc_lo, exec_lo, s8
	s_mov_b32 s8, 0
	s_cbranch_vccz .LBB111_1939
; %bb.1938:
	s_cmp_lg_u32 s6, 11
	s_mov_b32 s8, -1
	s_cselect_b32 s6, -1, 0
	s_and_not1_b32 s7, s7, exec_lo
	s_and_b32 s6, s6, exec_lo
	s_delay_alu instid0(SALU_CYCLE_1)
	s_or_b32 s7, s7, s6
.LBB111_1939:
	s_mov_b32 s6, 0
.LBB111_1940:
	s_and_not1_b32 s10, s50, exec_lo
	s_and_b32 s7, s7, exec_lo
	s_and_b32 s9, s9, exec_lo
	s_and_b32 s6, s6, exec_lo
	s_and_b32 s8, s8, exec_lo
	s_or_b32 s50, s10, s7
	s_wait_xcnt 0x0
	s_or_b32 exec_lo, exec_lo, s0
	s_and_saveexec_b32 s0, s50
	s_cbranch_execz .LBB111_1869
.LBB111_1941:
	s_or_b32 s1, s1, exec_lo
	s_and_not1_b32 s8, s8, exec_lo
	s_trap 2
	s_or_b32 exec_lo, exec_lo, s0
	s_and_saveexec_b32 s0, s8
	s_delay_alu instid0(SALU_CYCLE_1)
	s_xor_b32 s0, exec_lo, s0
	s_cbranch_execnz .LBB111_1870
.LBB111_1942:
	s_or_b32 exec_lo, exec_lo, s0
	s_and_saveexec_b32 s0, s6
	s_cbranch_execz .LBB111_1988
.LBB111_1943:
	s_sext_i32_i16 s6, s25
	s_delay_alu instid0(SALU_CYCLE_1)
	s_cmp_lt_i32 s6, 5
	s_cbranch_scc1 .LBB111_1948
; %bb.1944:
	s_cmp_lt_i32 s6, 8
	s_cbranch_scc1 .LBB111_1949
; %bb.1945:
	;; [unrolled: 3-line block ×3, first 2 shown]
	s_cmp_gt_i32 s6, 9
	s_cbranch_scc0 .LBB111_1951
; %bb.1947:
	s_wait_loadcnt 0x0
	global_load_b64 v[10:11], v[8:9], off
	s_mov_b32 s6, 0
	s_branch .LBB111_1952
.LBB111_1948:
                                        ; implicit-def: $vgpr10_vgpr11
	s_branch .LBB111_1969
.LBB111_1949:
                                        ; implicit-def: $vgpr10_vgpr11
	s_branch .LBB111_1958
.LBB111_1950:
	s_mov_b32 s6, -1
                                        ; implicit-def: $vgpr10_vgpr11
	s_branch .LBB111_1955
.LBB111_1951:
	s_mov_b32 s6, -1
                                        ; implicit-def: $vgpr10_vgpr11
.LBB111_1952:
	s_delay_alu instid0(SALU_CYCLE_1)
	s_and_not1_b32 vcc_lo, exec_lo, s6
	s_cbranch_vccnz .LBB111_1954
; %bb.1953:
	s_wait_loadcnt 0x0
	global_load_b32 v0, v[8:9], off
	s_wait_loadcnt 0x0
	v_cvt_f64_f32_e32 v[10:11], v0
.LBB111_1954:
	s_mov_b32 s6, 0
.LBB111_1955:
	s_delay_alu instid0(SALU_CYCLE_1)
	s_and_not1_b32 vcc_lo, exec_lo, s6
	s_cbranch_vccnz .LBB111_1957
; %bb.1956:
	s_wait_loadcnt 0x0
	global_load_b32 v0, v[8:9], off
	s_wait_loadcnt 0x0
	v_cvt_f32_f16_e32 v0, v0
	s_delay_alu instid0(VALU_DEP_1)
	v_cvt_f64_f32_e32 v[10:11], v0
.LBB111_1957:
	s_cbranch_execnz .LBB111_1968
.LBB111_1958:
	s_sext_i32_i16 s6, s25
	s_delay_alu instid0(SALU_CYCLE_1)
	s_cmp_lt_i32 s6, 6
	s_cbranch_scc1 .LBB111_1961
; %bb.1959:
	s_cmp_gt_i32 s6, 6
	s_cbranch_scc0 .LBB111_1962
; %bb.1960:
	s_wait_loadcnt 0x0
	global_load_b64 v[10:11], v[8:9], off
	s_mov_b32 s6, 0
	s_branch .LBB111_1963
.LBB111_1961:
	s_mov_b32 s6, -1
                                        ; implicit-def: $vgpr10_vgpr11
	s_branch .LBB111_1966
.LBB111_1962:
	s_mov_b32 s6, -1
                                        ; implicit-def: $vgpr10_vgpr11
.LBB111_1963:
	s_delay_alu instid0(SALU_CYCLE_1)
	s_and_not1_b32 vcc_lo, exec_lo, s6
	s_cbranch_vccnz .LBB111_1965
; %bb.1964:
	s_wait_loadcnt 0x0
	global_load_b32 v0, v[8:9], off
	s_wait_loadcnt 0x0
	v_cvt_f64_f32_e32 v[10:11], v0
.LBB111_1965:
	s_mov_b32 s6, 0
.LBB111_1966:
	s_delay_alu instid0(SALU_CYCLE_1)
	s_and_not1_b32 vcc_lo, exec_lo, s6
	s_cbranch_vccnz .LBB111_1968
; %bb.1967:
	s_wait_loadcnt 0x0
	global_load_u16 v0, v[8:9], off
	s_wait_loadcnt 0x0
	v_cvt_f32_f16_e32 v0, v0
	s_delay_alu instid0(VALU_DEP_1)
	v_cvt_f64_f32_e32 v[10:11], v0
.LBB111_1968:
	s_cbranch_execnz .LBB111_1987
.LBB111_1969:
	s_sext_i32_i16 s6, s25
	s_delay_alu instid0(SALU_CYCLE_1)
	s_cmp_lt_i32 s6, 2
	s_cbranch_scc1 .LBB111_1973
; %bb.1970:
	s_cmp_lt_i32 s6, 3
	s_cbranch_scc1 .LBB111_1974
; %bb.1971:
	s_cmp_gt_i32 s6, 3
	s_cbranch_scc0 .LBB111_1975
; %bb.1972:
	s_wait_loadcnt 0x0
	global_load_b64 v[0:1], v[8:9], off
	s_mov_b32 s6, 0
	s_wait_loadcnt 0x0
	v_cvt_f64_i32_e32 v[10:11], v1
	v_cvt_f64_u32_e32 v[0:1], v0
	s_delay_alu instid0(VALU_DEP_2) | instskip(NEXT) | instid1(VALU_DEP_1)
	v_ldexp_f64 v[10:11], v[10:11], 32
	v_add_f64_e32 v[10:11], v[10:11], v[0:1]
	s_branch .LBB111_1976
.LBB111_1973:
                                        ; implicit-def: $vgpr10_vgpr11
	s_branch .LBB111_1982
.LBB111_1974:
	s_mov_b32 s6, -1
                                        ; implicit-def: $vgpr10_vgpr11
	s_branch .LBB111_1979
.LBB111_1975:
	s_mov_b32 s6, -1
                                        ; implicit-def: $vgpr10_vgpr11
.LBB111_1976:
	s_delay_alu instid0(SALU_CYCLE_1)
	s_and_not1_b32 vcc_lo, exec_lo, s6
	s_cbranch_vccnz .LBB111_1978
; %bb.1977:
	s_wait_loadcnt 0x0
	global_load_b32 v0, v[8:9], off
	s_wait_loadcnt 0x0
	v_cvt_f64_i32_e32 v[10:11], v0
.LBB111_1978:
	s_mov_b32 s6, 0
.LBB111_1979:
	s_delay_alu instid0(SALU_CYCLE_1)
	s_and_not1_b32 vcc_lo, exec_lo, s6
	s_cbranch_vccnz .LBB111_1981
; %bb.1980:
	s_wait_loadcnt 0x0
	global_load_i16 v0, v[8:9], off
	s_wait_loadcnt 0x0
	v_cvt_f64_i32_e32 v[10:11], v0
.LBB111_1981:
	s_cbranch_execnz .LBB111_1987
.LBB111_1982:
	s_sext_i32_i16 s6, s25
	s_delay_alu instid0(SALU_CYCLE_1)
	s_cmp_gt_i32 s6, 0
	s_mov_b32 s6, 0
	s_cbranch_scc0 .LBB111_1984
; %bb.1983:
	s_wait_loadcnt 0x0
	global_load_i8 v0, v[8:9], off
	s_wait_loadcnt 0x0
	v_cvt_f64_i32_e32 v[10:11], v0
	s_branch .LBB111_1985
.LBB111_1984:
	s_mov_b32 s6, -1
                                        ; implicit-def: $vgpr10_vgpr11
.LBB111_1985:
	s_delay_alu instid0(SALU_CYCLE_1)
	s_and_not1_b32 vcc_lo, exec_lo, s6
	s_cbranch_vccnz .LBB111_1987
; %bb.1986:
	s_wait_loadcnt 0x0
	global_load_u8 v0, v[8:9], off
	s_wait_loadcnt 0x0
	v_cvt_f64_u32_e32 v[10:11], v0
.LBB111_1987:
	s_or_b32 s9, s9, exec_lo
.LBB111_1988:
	s_wait_xcnt 0x0
	s_or_b32 exec_lo, exec_lo, s0
	s_mov_b32 s0, 0
	s_mov_b32 s8, 0
                                        ; implicit-def: $sgpr6
                                        ; implicit-def: $vgpr8_vgpr9
                                        ; implicit-def: $vgpr0_vgpr1
	s_and_saveexec_b32 s7, s9
	s_cbranch_execz .LBB111_1996
; %bb.1989:
	s_wait_loadcnt 0x0
	s_delay_alu instid0(VALU_DEP_1) | instskip(SKIP_1) | instid1(SALU_CYCLE_1)
	v_dual_mul_f64 v[0:1], s[22:23], v[4:5] :: v_dual_mov_b32 v3, 0
	s_and_b32 s6, s42, 0xff
	s_cmp_lt_i32 s6, 11
	s_delay_alu instid0(VALU_DEP_1) | instskip(NEXT) | instid1(VALU_DEP_2)
	v_add_nc_u64_e32 v[8:9], s[4:5], v[2:3]
	v_mul_f64_e32 v[0:1], v[0:1], v[10:11]
	s_delay_alu instid0(VALU_DEP_1)
	v_fmac_f64_e32 v[0:1], s[20:21], v[6:7]
	s_cbranch_scc1 .LBB111_1999
; %bb.1990:
	s_and_b32 s4, 0xffff, s6
	s_mov_b32 s5, -1
	s_cmp_gt_i32 s4, 25
	s_mov_b32 s0, s49
	s_cbranch_scc0 .LBB111_2027
; %bb.1991:
	s_cmp_gt_i32 s4, 28
	s_mov_b32 s0, s49
	s_cbranch_scc0 .LBB111_2011
; %bb.1992:
	;; [unrolled: 4-line block ×4, first 2 shown]
	s_cmp_eq_u32 s4, 46
	s_mov_b32 s0, -1
	s_cbranch_scc0 .LBB111_2000
; %bb.1995:
	s_delay_alu instid0(VALU_DEP_1) | instskip(SKIP_2) | instid1(VALU_DEP_1)
	v_cvt_f32_f64_e32 v2, v[0:1]
	s_mov_b32 s0, 0
	s_mov_b32 s5, 0
	v_bfe_u32 v3, v2, 16, 1
	v_cmp_o_f32_e32 vcc_lo, v2, v2
	s_delay_alu instid0(VALU_DEP_2) | instskip(NEXT) | instid1(VALU_DEP_1)
	v_add3_u32 v3, v2, v3, 0x7fff
	v_lshrrev_b32_e32 v3, 16, v3
	s_delay_alu instid0(VALU_DEP_1)
	v_cndmask_b32_e32 v2, 0x7fc0, v3, vcc_lo
	global_store_b32 v[8:9], v2, off
	s_branch .LBB111_2001
.LBB111_1996:
	s_or_b32 exec_lo, exec_lo, s7
	s_and_saveexec_b32 s4, s49
	s_cbranch_execnz .LBB111_2069
.LBB111_1997:
	s_or_b32 exec_lo, exec_lo, s4
	s_and_saveexec_b32 s4, s0
	s_delay_alu instid0(SALU_CYCLE_1)
	s_xor_b32 s0, exec_lo, s4
	s_cbranch_execz .LBB111_2070
.LBB111_1998:
	s_delay_alu instid0(VALU_DEP_1)
	v_cmp_neq_f64_e32 vcc_lo, 0, v[0:1]
	v_cndmask_b32_e64 v2, 0, 1, vcc_lo
	s_wait_loadcnt 0x0
	global_store_b8 v[8:9], v2, off
	s_wait_xcnt 0x0
	s_or_b32 exec_lo, exec_lo, s0
	s_and_saveexec_b32 s0, s8
	s_delay_alu instid0(SALU_CYCLE_1)
	s_xor_b32 s0, exec_lo, s0
	s_cbranch_execz .LBB111_2108
	s_branch .LBB111_2071
.LBB111_1999:
	s_mov_b32 s9, 0
	s_mov_b32 s5, -1
	s_mov_b32 s0, s49
	s_branch .LBB111_2068
.LBB111_2000:
	s_mov_b32 s5, 0
.LBB111_2001:
	s_delay_alu instid0(SALU_CYCLE_1)
	s_and_b32 vcc_lo, exec_lo, s5
	s_cbranch_vccz .LBB111_2006
; %bb.2002:
	s_cmp_eq_u32 s4, 44
	s_mov_b32 s0, -1
	s_cbranch_scc0 .LBB111_2006
; %bb.2003:
	s_wait_xcnt 0x0
	s_delay_alu instid0(VALU_DEP_1) | instskip(SKIP_2) | instid1(VALU_DEP_2)
	v_cvt_f32_f64_e32 v2, v[0:1]
	v_mov_b32_e32 v3, 0xff
	s_mov_b32 s5, exec_lo
	v_bfe_u32 v4, v2, 23, 8
	s_delay_alu instid0(VALU_DEP_1)
	v_cmpx_ne_u32_e32 0xff, v4
	s_cbranch_execz .LBB111_2005
; %bb.2004:
	v_and_b32_e32 v3, 0x400000, v2
	v_and_or_b32 v4, 0x3fffff, v2, v4
	v_lshrrev_b32_e32 v2, 23, v2
	s_delay_alu instid0(VALU_DEP_3) | instskip(NEXT) | instid1(VALU_DEP_3)
	v_cmp_ne_u32_e32 vcc_lo, 0, v3
	v_cmp_ne_u32_e64 s0, 0, v4
	s_and_b32 s0, vcc_lo, s0
	s_delay_alu instid0(SALU_CYCLE_1) | instskip(NEXT) | instid1(VALU_DEP_1)
	v_cndmask_b32_e64 v3, 0, 1, s0
	v_add_nc_u32_e32 v3, v2, v3
.LBB111_2005:
	s_or_b32 exec_lo, exec_lo, s5
	s_mov_b32 s0, 0
	global_store_b8 v[8:9], v3, off
.LBB111_2006:
	s_mov_b32 s5, 0
.LBB111_2007:
	s_delay_alu instid0(SALU_CYCLE_1)
	s_and_b32 vcc_lo, exec_lo, s5
	s_cbranch_vccz .LBB111_2010
; %bb.2008:
	s_cmp_eq_u32 s4, 29
	s_mov_b32 s0, -1
	s_cbranch_scc0 .LBB111_2010
; %bb.2009:
	s_wait_xcnt 0x0
	s_delay_alu instid0(VALU_DEP_1) | instskip(SKIP_2) | instid1(VALU_DEP_1)
	v_trunc_f64_e32 v[2:3], v[0:1]
	s_mov_b32 s0, 0
	s_mov_b32 s5, 0
	v_ldexp_f64 v[4:5], v[2:3], 0xffffffe0
	s_delay_alu instid0(VALU_DEP_1) | instskip(NEXT) | instid1(VALU_DEP_1)
	v_floor_f64_e32 v[4:5], v[4:5]
	v_fmamk_f64 v[2:3], v[4:5], 0xc1f00000, v[2:3]
	v_cvt_u32_f64_e32 v5, v[4:5]
	s_delay_alu instid0(VALU_DEP_2)
	v_cvt_u32_f64_e32 v4, v[2:3]
	global_store_b64 v[8:9], v[4:5], off
	s_branch .LBB111_2011
.LBB111_2010:
	s_mov_b32 s5, 0
.LBB111_2011:
	s_delay_alu instid0(SALU_CYCLE_1)
	s_and_b32 vcc_lo, exec_lo, s5
	s_cbranch_vccz .LBB111_2026
; %bb.2012:
	s_cmp_lt_i32 s4, 27
	s_mov_b32 s5, -1
	s_cbranch_scc1 .LBB111_2018
; %bb.2013:
	s_cmp_gt_i32 s4, 27
	s_cbranch_scc0 .LBB111_2015
; %bb.2014:
	s_wait_xcnt 0x0
	s_delay_alu instid0(VALU_DEP_1)
	v_cvt_u32_f64_e32 v2, v[0:1]
	s_mov_b32 s5, 0
	global_store_b32 v[8:9], v2, off
.LBB111_2015:
	s_and_not1_b32 vcc_lo, exec_lo, s5
	s_cbranch_vccnz .LBB111_2017
; %bb.2016:
	s_wait_xcnt 0x0
	s_delay_alu instid0(VALU_DEP_1)
	v_cvt_u32_f64_e32 v2, v[0:1]
	global_store_b16 v[8:9], v2, off
.LBB111_2017:
	s_mov_b32 s5, 0
.LBB111_2018:
	s_delay_alu instid0(SALU_CYCLE_1)
	s_and_not1_b32 vcc_lo, exec_lo, s5
	s_cbranch_vccnz .LBB111_2026
; %bb.2019:
	s_wait_xcnt 0x0
	s_delay_alu instid0(VALU_DEP_1) | instskip(SKIP_2) | instid1(VALU_DEP_2)
	v_cvt_f32_f64_e32 v2, v[0:1]
	v_mov_b32_e32 v4, 0x80
	s_mov_b32 s5, exec_lo
	v_and_b32_e32 v3, 0x7fffffff, v2
	s_delay_alu instid0(VALU_DEP_1)
	v_cmpx_gt_u32_e32 0x43800000, v3
	s_cbranch_execz .LBB111_2025
; %bb.2020:
	v_cmp_lt_u32_e32 vcc_lo, 0x3bffffff, v3
                                        ; implicit-def: $vgpr3
	s_and_saveexec_b32 s9, vcc_lo
	s_delay_alu instid0(SALU_CYCLE_1)
	s_xor_b32 s9, exec_lo, s9
	s_cbranch_execz .LBB111_2167
; %bb.2021:
	v_bfe_u32 v3, v2, 20, 1
	s_mov_b32 s8, exec_lo
	s_delay_alu instid0(VALU_DEP_1) | instskip(NEXT) | instid1(VALU_DEP_1)
	v_add3_u32 v3, v2, v3, 0x487ffff
	v_lshrrev_b32_e32 v3, 20, v3
	s_and_not1_saveexec_b32 s9, s9
	s_cbranch_execnz .LBB111_2168
.LBB111_2022:
	s_or_b32 exec_lo, exec_lo, s9
	v_mov_b32_e32 v4, 0
	s_and_saveexec_b32 s9, s8
.LBB111_2023:
	v_lshrrev_b32_e32 v2, 24, v2
	s_delay_alu instid0(VALU_DEP_1)
	v_and_or_b32 v4, 0x80, v2, v3
.LBB111_2024:
	s_or_b32 exec_lo, exec_lo, s9
.LBB111_2025:
	s_delay_alu instid0(SALU_CYCLE_1)
	s_or_b32 exec_lo, exec_lo, s5
	global_store_b8 v[8:9], v4, off
.LBB111_2026:
	s_mov_b32 s5, 0
.LBB111_2027:
	s_delay_alu instid0(SALU_CYCLE_1)
	s_and_b32 vcc_lo, exec_lo, s5
	s_mov_b32 s5, 0
	s_cbranch_vccz .LBB111_2067
; %bb.2028:
	s_cmp_gt_i32 s4, 22
	s_mov_b32 s8, -1
	s_cbranch_scc0 .LBB111_2060
; %bb.2029:
	s_cmp_lt_i32 s4, 24
	s_cbranch_scc1 .LBB111_2049
; %bb.2030:
	s_cmp_gt_i32 s4, 24
	s_cbranch_scc0 .LBB111_2038
; %bb.2031:
	s_wait_xcnt 0x0
	s_delay_alu instid0(VALU_DEP_1) | instskip(SKIP_2) | instid1(VALU_DEP_2)
	v_cvt_f32_f64_e32 v2, v[0:1]
	v_mov_b32_e32 v4, 0x80
	s_mov_b32 s8, exec_lo
	v_and_b32_e32 v3, 0x7fffffff, v2
	s_delay_alu instid0(VALU_DEP_1)
	v_cmpx_gt_u32_e32 0x47800000, v3
	s_cbranch_execz .LBB111_2037
; %bb.2032:
	v_cmp_lt_u32_e32 vcc_lo, 0x37ffffff, v3
	s_mov_b32 s9, 0
                                        ; implicit-def: $vgpr3
	s_and_saveexec_b32 s10, vcc_lo
	s_delay_alu instid0(SALU_CYCLE_1)
	s_xor_b32 s10, exec_lo, s10
	s_cbranch_execz .LBB111_2293
; %bb.2033:
	v_bfe_u32 v3, v2, 21, 1
	s_mov_b32 s9, exec_lo
	s_delay_alu instid0(VALU_DEP_1) | instskip(NEXT) | instid1(VALU_DEP_1)
	v_add3_u32 v3, v2, v3, 0x88fffff
	v_lshrrev_b32_e32 v3, 21, v3
	s_and_not1_saveexec_b32 s10, s10
	s_cbranch_execnz .LBB111_2294
.LBB111_2034:
	s_or_b32 exec_lo, exec_lo, s10
	v_mov_b32_e32 v4, 0
	s_and_saveexec_b32 s10, s9
.LBB111_2035:
	v_lshrrev_b32_e32 v2, 24, v2
	s_delay_alu instid0(VALU_DEP_1)
	v_and_or_b32 v4, 0x80, v2, v3
.LBB111_2036:
	s_or_b32 exec_lo, exec_lo, s10
.LBB111_2037:
	s_delay_alu instid0(SALU_CYCLE_1)
	s_or_b32 exec_lo, exec_lo, s8
	s_mov_b32 s8, 0
	global_store_b8 v[8:9], v4, off
.LBB111_2038:
	s_and_b32 vcc_lo, exec_lo, s8
	s_cbranch_vccz .LBB111_2048
; %bb.2039:
	s_wait_xcnt 0x0
	s_delay_alu instid0(VALU_DEP_1) | instskip(SKIP_1) | instid1(VALU_DEP_1)
	v_cvt_f32_f64_e32 v2, v[0:1]
	s_mov_b32 s8, exec_lo
                                        ; implicit-def: $vgpr3
	v_and_b32_e32 v4, 0x7fffffff, v2
	s_delay_alu instid0(VALU_DEP_1)
	v_cmpx_gt_u32_e32 0x43f00000, v4
	s_xor_b32 s8, exec_lo, s8
	s_cbranch_execz .LBB111_2045
; %bb.2040:
	s_mov_b32 s9, exec_lo
                                        ; implicit-def: $vgpr3
	v_cmpx_lt_u32_e32 0x3c7fffff, v4
	s_xor_b32 s9, exec_lo, s9
; %bb.2041:
	v_bfe_u32 v3, v2, 20, 1
	s_delay_alu instid0(VALU_DEP_1) | instskip(NEXT) | instid1(VALU_DEP_1)
	v_add3_u32 v3, v2, v3, 0x407ffff
	v_and_b32_e32 v4, 0xff00000, v3
	v_lshrrev_b32_e32 v3, 20, v3
	s_delay_alu instid0(VALU_DEP_2) | instskip(NEXT) | instid1(VALU_DEP_2)
	v_cmp_ne_u32_e32 vcc_lo, 0x7f00000, v4
	v_cndmask_b32_e32 v3, 0x7e, v3, vcc_lo
; %bb.2042:
	s_and_not1_saveexec_b32 s9, s9
; %bb.2043:
	v_add_f32_e64 v3, 0x46800000, |v2|
; %bb.2044:
	s_or_b32 exec_lo, exec_lo, s9
                                        ; implicit-def: $vgpr4
.LBB111_2045:
	s_and_not1_saveexec_b32 s8, s8
; %bb.2046:
	v_mov_b32_e32 v3, 0x7f
	v_cmp_lt_u32_e32 vcc_lo, 0x7f800000, v4
	s_delay_alu instid0(VALU_DEP_2)
	v_cndmask_b32_e32 v3, 0x7e, v3, vcc_lo
; %bb.2047:
	s_or_b32 exec_lo, exec_lo, s8
	v_lshrrev_b32_e32 v2, 24, v2
	s_delay_alu instid0(VALU_DEP_1)
	v_and_or_b32 v2, 0x80, v2, v3
	global_store_b8 v[8:9], v2, off
.LBB111_2048:
	s_mov_b32 s8, 0
.LBB111_2049:
	s_delay_alu instid0(SALU_CYCLE_1)
	s_and_not1_b32 vcc_lo, exec_lo, s8
	s_cbranch_vccnz .LBB111_2059
; %bb.2050:
	s_wait_xcnt 0x0
	s_delay_alu instid0(VALU_DEP_1) | instskip(SKIP_1) | instid1(VALU_DEP_1)
	v_cvt_f32_f64_e32 v2, v[0:1]
	s_mov_b32 s8, exec_lo
                                        ; implicit-def: $vgpr3
	v_and_b32_e32 v4, 0x7fffffff, v2
	s_delay_alu instid0(VALU_DEP_1)
	v_cmpx_gt_u32_e32 0x47800000, v4
	s_xor_b32 s8, exec_lo, s8
	s_cbranch_execz .LBB111_2056
; %bb.2051:
	s_mov_b32 s9, exec_lo
                                        ; implicit-def: $vgpr3
	v_cmpx_lt_u32_e32 0x387fffff, v4
	s_xor_b32 s9, exec_lo, s9
; %bb.2052:
	v_bfe_u32 v3, v2, 21, 1
	s_delay_alu instid0(VALU_DEP_1) | instskip(NEXT) | instid1(VALU_DEP_1)
	v_add3_u32 v3, v2, v3, 0x80fffff
	v_lshrrev_b32_e32 v3, 21, v3
; %bb.2053:
	s_and_not1_saveexec_b32 s9, s9
; %bb.2054:
	v_add_f32_e64 v3, 0x43000000, |v2|
; %bb.2055:
	s_or_b32 exec_lo, exec_lo, s9
                                        ; implicit-def: $vgpr4
.LBB111_2056:
	s_and_not1_saveexec_b32 s8, s8
; %bb.2057:
	v_mov_b32_e32 v3, 0x7f
	v_cmp_lt_u32_e32 vcc_lo, 0x7f800000, v4
	s_delay_alu instid0(VALU_DEP_2)
	v_cndmask_b32_e32 v3, 0x7c, v3, vcc_lo
; %bb.2058:
	s_or_b32 exec_lo, exec_lo, s8
	v_lshrrev_b32_e32 v2, 24, v2
	s_delay_alu instid0(VALU_DEP_1)
	v_and_or_b32 v2, 0x80, v2, v3
	global_store_b8 v[8:9], v2, off
.LBB111_2059:
	s_mov_b32 s8, 0
.LBB111_2060:
	s_delay_alu instid0(SALU_CYCLE_1)
	s_and_not1_b32 vcc_lo, exec_lo, s8
	s_mov_b32 s9, 0
	s_cbranch_vccnz .LBB111_2068
; %bb.2061:
	s_cmp_gt_i32 s4, 14
	s_mov_b32 s8, -1
	s_cbranch_scc0 .LBB111_2065
; %bb.2062:
	s_cmp_eq_u32 s4, 15
	s_mov_b32 s0, -1
	s_cbranch_scc0 .LBB111_2064
; %bb.2063:
	s_wait_xcnt 0x0
	s_delay_alu instid0(VALU_DEP_1) | instskip(SKIP_1) | instid1(VALU_DEP_1)
	v_cvt_f32_f64_e32 v2, v[0:1]
	s_mov_b32 s0, 0
	v_bfe_u32 v3, v2, 16, 1
	v_cmp_o_f32_e32 vcc_lo, v2, v2
	s_delay_alu instid0(VALU_DEP_2) | instskip(NEXT) | instid1(VALU_DEP_1)
	v_add3_u32 v3, v2, v3, 0x7fff
	v_lshrrev_b32_e32 v3, 16, v3
	s_delay_alu instid0(VALU_DEP_1)
	v_cndmask_b32_e32 v2, 0x7fc0, v3, vcc_lo
	global_store_b16 v[8:9], v2, off
.LBB111_2064:
	s_mov_b32 s8, 0
.LBB111_2065:
	s_delay_alu instid0(SALU_CYCLE_1)
	s_and_b32 vcc_lo, exec_lo, s8
	s_cbranch_vccz .LBB111_2068
; %bb.2066:
	s_cmp_lg_u32 s4, 11
	s_mov_b32 s9, -1
	s_cselect_b32 s4, -1, 0
	s_and_not1_b32 s0, s0, exec_lo
	s_and_b32 s4, s4, exec_lo
	s_delay_alu instid0(SALU_CYCLE_1)
	s_or_b32 s0, s0, s4
	s_branch .LBB111_2068
.LBB111_2067:
	s_mov_b32 s9, 0
.LBB111_2068:
	s_and_b32 s8, s5, exec_lo
	s_and_not1_b32 s4, s49, exec_lo
	s_and_b32 s5, s0, exec_lo
	s_and_b32 s0, s9, exec_lo
	s_or_b32 s49, s4, s5
	s_wait_xcnt 0x0
	s_or_b32 exec_lo, exec_lo, s7
	s_and_saveexec_b32 s4, s49
	s_cbranch_execz .LBB111_1997
.LBB111_2069:
	s_or_b32 s1, s1, exec_lo
	s_and_not1_b32 s0, s0, exec_lo
	s_trap 2
	s_or_b32 exec_lo, exec_lo, s4
	s_and_saveexec_b32 s4, s0
	s_delay_alu instid0(SALU_CYCLE_1)
	s_xor_b32 s0, exec_lo, s4
	s_cbranch_execnz .LBB111_1998
.LBB111_2070:
	s_or_b32 exec_lo, exec_lo, s0
	s_and_saveexec_b32 s0, s8
	s_delay_alu instid0(SALU_CYCLE_1)
	s_xor_b32 s0, exec_lo, s0
	s_cbranch_execz .LBB111_2108
.LBB111_2071:
	s_sext_i32_i16 s5, s6
	s_mov_b32 s4, -1
	s_cmp_lt_i32 s5, 5
	s_cbranch_scc1 .LBB111_2092
; %bb.2072:
	s_cmp_lt_i32 s5, 8
	s_cbranch_scc1 .LBB111_2082
; %bb.2073:
	;; [unrolled: 3-line block ×3, first 2 shown]
	s_cmp_gt_i32 s5, 9
	s_cbranch_scc0 .LBB111_2076
; %bb.2075:
	v_mov_b32_e32 v2, 0
	s_mov_b32 s4, 0
	s_delay_alu instid0(VALU_DEP_1)
	v_mov_b32_e32 v3, v2
	s_wait_loadcnt 0x0
	global_store_b128 v[8:9], v[0:3], off
.LBB111_2076:
	s_and_not1_b32 vcc_lo, exec_lo, s4
	s_cbranch_vccnz .LBB111_2078
; %bb.2077:
	s_wait_xcnt 0x0
	v_cvt_f32_f64_e32 v2, v[0:1]
	v_mov_b32_e32 v3, 0
	s_wait_loadcnt 0x0
	global_store_b64 v[8:9], v[2:3], off
.LBB111_2078:
	s_mov_b32 s4, 0
.LBB111_2079:
	s_delay_alu instid0(SALU_CYCLE_1)
	s_and_not1_b32 vcc_lo, exec_lo, s4
	s_cbranch_vccnz .LBB111_2081
; %bb.2080:
	s_wait_xcnt 0x0
	v_and_or_b32 v2, 0x1ff, v1, v0
	v_lshrrev_b32_e32 v3, 8, v1
	s_wait_loadcnt 0x0
	v_bfe_u32 v4, v1, 20, 11
	s_delay_alu instid0(VALU_DEP_3) | instskip(NEXT) | instid1(VALU_DEP_2)
	v_cmp_ne_u32_e32 vcc_lo, 0, v2
	v_sub_nc_u32_e32 v5, 0x3f1, v4
	v_add_nc_u32_e32 v4, 0xfffffc10, v4
	v_cndmask_b32_e64 v2, 0, 1, vcc_lo
	s_delay_alu instid0(VALU_DEP_1) | instskip(NEXT) | instid1(VALU_DEP_4)
	v_and_or_b32 v2, 0xffe, v3, v2
	v_med3_i32 v3, v5, 0, 13
	s_delay_alu instid0(VALU_DEP_2) | instskip(NEXT) | instid1(VALU_DEP_1)
	v_or_b32_e32 v5, 0x1000, v2
	v_lshrrev_b32_e32 v6, v3, v5
	s_delay_alu instid0(VALU_DEP_1) | instskip(NEXT) | instid1(VALU_DEP_1)
	v_lshlrev_b32_e32 v3, v3, v6
	v_cmp_ne_u32_e32 vcc_lo, v3, v5
	v_lshl_or_b32 v5, v4, 12, v2
	v_cndmask_b32_e64 v3, 0, 1, vcc_lo
	v_cmp_gt_i32_e32 vcc_lo, 1, v4
	s_delay_alu instid0(VALU_DEP_2) | instskip(NEXT) | instid1(VALU_DEP_1)
	v_or_b32_e32 v3, v6, v3
	v_cndmask_b32_e32 v3, v5, v3, vcc_lo
	s_delay_alu instid0(VALU_DEP_1) | instskip(NEXT) | instid1(VALU_DEP_1)
	v_dual_lshrrev_b32 v3, 2, v3 :: v_dual_bitop2_b32 v5, 7, v3 bitop3:0x40
	v_cmp_lt_i32_e32 vcc_lo, 5, v5
	v_cndmask_b32_e64 v6, 0, 1, vcc_lo
	v_cmp_eq_u32_e32 vcc_lo, 3, v5
	v_cndmask_b32_e64 v5, 0, 1, vcc_lo
	v_cmp_ne_u32_e32 vcc_lo, 0, v2
	s_delay_alu instid0(VALU_DEP_2) | instskip(NEXT) | instid1(VALU_DEP_1)
	v_or_b32_e32 v5, v5, v6
	v_dual_mov_b32 v6, 0x7e00 :: v_dual_add_nc_u32 v3, v3, v5
	s_delay_alu instid0(VALU_DEP_1) | instskip(SKIP_2) | instid1(VALU_DEP_4)
	v_cndmask_b32_e32 v2, 0x7c00, v6, vcc_lo
	v_cmp_gt_i32_e32 vcc_lo, 31, v4
	v_lshrrev_b32_e32 v5, 16, v1
	v_cndmask_b32_e32 v3, 0x7c00, v3, vcc_lo
	v_cmp_eq_u32_e32 vcc_lo, 0x40f, v4
	s_delay_alu instid0(VALU_DEP_2) | instskip(NEXT) | instid1(VALU_DEP_4)
	v_cndmask_b32_e32 v2, v3, v2, vcc_lo
	v_and_b32_e32 v3, 0x8000, v5
	s_delay_alu instid0(VALU_DEP_1)
	v_bitop3_b32 v2, v3, 0xffff, v2 bitop3:0xc8
	global_store_b32 v[8:9], v2, off
.LBB111_2081:
	s_mov_b32 s4, 0
.LBB111_2082:
	s_delay_alu instid0(SALU_CYCLE_1)
	s_and_not1_b32 vcc_lo, exec_lo, s4
	s_cbranch_vccnz .LBB111_2091
; %bb.2083:
	s_sext_i32_i16 s5, s6
	s_mov_b32 s4, -1
	s_cmp_lt_i32 s5, 6
	s_cbranch_scc1 .LBB111_2089
; %bb.2084:
	s_cmp_gt_i32 s5, 6
	s_cbranch_scc0 .LBB111_2086
; %bb.2085:
	s_mov_b32 s4, 0
	s_wait_loadcnt 0x0
	global_store_b64 v[8:9], v[0:1], off
.LBB111_2086:
	s_and_not1_b32 vcc_lo, exec_lo, s4
	s_cbranch_vccnz .LBB111_2088
; %bb.2087:
	s_wait_xcnt 0x0
	v_cvt_f32_f64_e32 v2, v[0:1]
	s_wait_loadcnt 0x0
	global_store_b32 v[8:9], v2, off
.LBB111_2088:
	s_mov_b32 s4, 0
.LBB111_2089:
	s_delay_alu instid0(SALU_CYCLE_1)
	s_and_not1_b32 vcc_lo, exec_lo, s4
	s_cbranch_vccnz .LBB111_2091
; %bb.2090:
	s_wait_xcnt 0x0
	v_and_or_b32 v2, 0x1ff, v1, v0
	v_lshrrev_b32_e32 v3, 8, v1
	s_wait_loadcnt 0x0
	v_bfe_u32 v4, v1, 20, 11
	s_delay_alu instid0(VALU_DEP_3) | instskip(NEXT) | instid1(VALU_DEP_2)
	v_cmp_ne_u32_e32 vcc_lo, 0, v2
	v_sub_nc_u32_e32 v5, 0x3f1, v4
	v_add_nc_u32_e32 v4, 0xfffffc10, v4
	v_cndmask_b32_e64 v2, 0, 1, vcc_lo
	s_delay_alu instid0(VALU_DEP_1) | instskip(NEXT) | instid1(VALU_DEP_4)
	v_and_or_b32 v2, 0xffe, v3, v2
	v_med3_i32 v3, v5, 0, 13
	s_delay_alu instid0(VALU_DEP_2) | instskip(NEXT) | instid1(VALU_DEP_1)
	v_or_b32_e32 v5, 0x1000, v2
	v_lshrrev_b32_e32 v6, v3, v5
	s_delay_alu instid0(VALU_DEP_1) | instskip(NEXT) | instid1(VALU_DEP_1)
	v_lshlrev_b32_e32 v3, v3, v6
	v_cmp_ne_u32_e32 vcc_lo, v3, v5
	v_lshl_or_b32 v5, v4, 12, v2
	v_cndmask_b32_e64 v3, 0, 1, vcc_lo
	v_cmp_gt_i32_e32 vcc_lo, 1, v4
	s_delay_alu instid0(VALU_DEP_2) | instskip(NEXT) | instid1(VALU_DEP_1)
	v_or_b32_e32 v3, v6, v3
	v_cndmask_b32_e32 v3, v5, v3, vcc_lo
	s_delay_alu instid0(VALU_DEP_1) | instskip(NEXT) | instid1(VALU_DEP_1)
	v_dual_lshrrev_b32 v3, 2, v3 :: v_dual_bitop2_b32 v5, 7, v3 bitop3:0x40
	v_cmp_lt_i32_e32 vcc_lo, 5, v5
	v_cndmask_b32_e64 v6, 0, 1, vcc_lo
	v_cmp_eq_u32_e32 vcc_lo, 3, v5
	v_cndmask_b32_e64 v5, 0, 1, vcc_lo
	v_cmp_ne_u32_e32 vcc_lo, 0, v2
	s_delay_alu instid0(VALU_DEP_2) | instskip(NEXT) | instid1(VALU_DEP_1)
	v_or_b32_e32 v5, v5, v6
	v_dual_mov_b32 v6, 0x7e00 :: v_dual_add_nc_u32 v3, v3, v5
	s_delay_alu instid0(VALU_DEP_1) | instskip(SKIP_1) | instid1(VALU_DEP_3)
	v_cndmask_b32_e32 v2, 0x7c00, v6, vcc_lo
	v_cmp_gt_i32_e32 vcc_lo, 31, v4
	v_cndmask_b32_e32 v3, 0x7c00, v3, vcc_lo
	v_cmp_eq_u32_e32 vcc_lo, 0x40f, v4
	s_delay_alu instid0(VALU_DEP_2) | instskip(NEXT) | instid1(VALU_DEP_1)
	v_dual_cndmask_b32 v2, v3, v2 :: v_dual_lshrrev_b32 v3, 16, v1
	v_and_or_b32 v2, 0x8000, v3, v2
	global_store_b16 v[8:9], v2, off
.LBB111_2091:
	s_mov_b32 s4, 0
.LBB111_2092:
	s_delay_alu instid0(SALU_CYCLE_1)
	s_and_not1_b32 vcc_lo, exec_lo, s4
	s_cbranch_vccnz .LBB111_2108
; %bb.2093:
	s_sext_i32_i16 s5, s6
	s_mov_b32 s4, -1
	s_cmp_lt_i32 s5, 2
	s_cbranch_scc1 .LBB111_2103
; %bb.2094:
	s_cmp_lt_i32 s5, 3
	s_cbranch_scc1 .LBB111_2100
; %bb.2095:
	s_cmp_gt_i32 s5, 3
	s_cbranch_scc0 .LBB111_2097
; %bb.2096:
	s_wait_xcnt 0x0
	v_trunc_f64_e32 v[2:3], v[0:1]
	s_mov_b32 s4, 0
	s_wait_loadcnt 0x0
	s_delay_alu instid0(VALU_DEP_1) | instskip(NEXT) | instid1(VALU_DEP_1)
	v_ldexp_f64 v[4:5], v[2:3], 0xffffffe0
	v_floor_f64_e32 v[4:5], v[4:5]
	s_delay_alu instid0(VALU_DEP_1) | instskip(SKIP_1) | instid1(VALU_DEP_2)
	v_fmamk_f64 v[2:3], v[4:5], 0xc1f00000, v[2:3]
	v_cvt_i32_f64_e32 v5, v[4:5]
	v_cvt_u32_f64_e32 v4, v[2:3]
	global_store_b64 v[8:9], v[4:5], off
.LBB111_2097:
	s_and_not1_b32 vcc_lo, exec_lo, s4
	s_cbranch_vccnz .LBB111_2099
; %bb.2098:
	s_wait_xcnt 0x0
	v_cvt_i32_f64_e32 v2, v[0:1]
	s_wait_loadcnt 0x0
	global_store_b32 v[8:9], v2, off
.LBB111_2099:
	s_mov_b32 s4, 0
.LBB111_2100:
	s_delay_alu instid0(SALU_CYCLE_1)
	s_and_not1_b32 vcc_lo, exec_lo, s4
	s_cbranch_vccnz .LBB111_2102
; %bb.2101:
	s_wait_xcnt 0x0
	v_cvt_i32_f64_e32 v2, v[0:1]
	s_wait_loadcnt 0x0
	global_store_b16 v[8:9], v2, off
.LBB111_2102:
	s_mov_b32 s4, 0
.LBB111_2103:
	s_delay_alu instid0(SALU_CYCLE_1)
	s_and_not1_b32 vcc_lo, exec_lo, s4
	s_cbranch_vccnz .LBB111_2108
; %bb.2104:
	s_sext_i32_i16 s4, s6
	s_delay_alu instid0(SALU_CYCLE_1)
	s_cmp_gt_i32 s4, 0
	s_mov_b32 s4, -1
	s_cbranch_scc0 .LBB111_2106
; %bb.2105:
	s_wait_xcnt 0x0
	v_cvt_i32_f64_e32 v2, v[0:1]
	s_mov_b32 s4, 0
	s_wait_loadcnt 0x0
	global_store_b8 v[8:9], v2, off
.LBB111_2106:
	s_and_not1_b32 vcc_lo, exec_lo, s4
	s_cbranch_vccnz .LBB111_2108
; %bb.2107:
	s_wait_xcnt 0x0
	v_trunc_f64_e32 v[0:1], v[0:1]
	s_delay_alu instid0(VALU_DEP_1) | instskip(NEXT) | instid1(VALU_DEP_1)
	v_ldexp_f64 v[2:3], v[0:1], 0xffffffe0
	v_floor_f64_e32 v[2:3], v[2:3]
	s_delay_alu instid0(VALU_DEP_1) | instskip(NEXT) | instid1(VALU_DEP_1)
	v_fmamk_f64 v[0:1], v[2:3], 0xc1f00000, v[0:1]
	v_cvt_u32_f64_e32 v0, v[0:1]
	s_wait_loadcnt 0x0
	global_store_b8 v[8:9], v0, off
.LBB111_2108:
	s_wait_xcnt 0x0
	s_or_b32 exec_lo, exec_lo, s0
	s_delay_alu instid0(SALU_CYCLE_1)
	s_and_b32 s12, s1, exec_lo
                                        ; implicit-def: $vgpr3
                                        ; implicit-def: $vgpr4
.LBB111_2109:
	s_or_saveexec_b32 s13, s41
	s_mov_b32 s0, 0
                                        ; implicit-def: $vgpr6_vgpr7
                                        ; implicit-def: $sgpr1
                                        ; implicit-def: $vgpr0_vgpr1
	s_xor_b32 exec_lo, exec_lo, s13
	s_cbranch_execz .LBB111_4157
; %bb.2110:
	v_cndmask_b32_e64 v0, 0, 1, s40
	s_and_not1_b32 vcc_lo, exec_lo, s40
	s_cbranch_vccnz .LBB111_2116
; %bb.2111:
	s_cmp_lg_u32 s33, 0
	s_mov_b32 s6, 0
	s_cbranch_scc0 .LBB111_2120
; %bb.2112:
	s_min_u32 s7, s38, 15
	s_wait_loadcnt 0x0
	v_dual_mov_b32 v12, 0 :: v_dual_mov_b32 v1, v4
	v_dual_mov_b32 v18, 0 :: v_dual_mov_b32 v2, 0
	v_mov_b32_e32 v10, 0
	s_add_co_i32 s4, s7, 1
	s_mov_b64 s[0:1], 0xffffffffffffffe0
	s_and_b32 s8, s4, 30
	s_add_nc_u64 s[0:1], s[2:3], s[0:1]
	s_mov_b64 s[4:5], s[2:3]
.LBB111_2113:                           ; =>This Inner Loop Header: Depth=1
	s_clause 0x1
	s_load_b128 s[24:27], s[4:5], 0x4
	s_load_b64 s[10:11], s[4:5], 0x14
	s_load_b256 s[16:23], s[0:1], 0xe4
	s_add_co_i32 s8, s8, -2
	s_wait_xcnt 0x0
	s_add_nc_u64 s[4:5], s[4:5], 24
	s_cmp_lg_u32 s8, 0
	s_add_nc_u64 s[0:1], s[0:1], 32
	s_wait_kmcnt 0x0
	v_mul_hi_u32 v5, s25, v1
	s_delay_alu instid0(VALU_DEP_1) | instskip(NEXT) | instid1(VALU_DEP_1)
	v_add_nc_u32_e32 v5, v1, v5
	v_lshrrev_b32_e32 v5, s26, v5
	s_delay_alu instid0(VALU_DEP_1) | instskip(SKIP_1) | instid1(VALU_DEP_2)
	v_mul_hi_u32 v6, s10, v5
	v_mul_lo_u32 v7, v5, s24
	v_add_nc_u32_e32 v6, v5, v6
	s_delay_alu instid0(VALU_DEP_1) | instskip(NEXT) | instid1(VALU_DEP_1)
	v_dual_sub_nc_u32 v7, v1, v7 :: v_dual_lshrrev_b32 v1, s11, v6
	v_mad_u32 v8, v7, s17, v10
	v_mad_u32 v2, v7, s16, v2
	;; [unrolled: 1-line block ×4, first 2 shown]
	v_mul_lo_u32 v6, v1, s27
	s_delay_alu instid0(VALU_DEP_1) | instskip(NEXT) | instid1(VALU_DEP_1)
	v_sub_nc_u32_e32 v5, v5, v6
	v_mad_u32 v10, v5, s21, v8
	v_mad_u32 v2, v5, s20, v2
	v_mad_u32 v18, v5, s23, v9
	v_mad_u32 v12, v5, s22, v7
	s_cbranch_scc1 .LBB111_2113
; %bb.2114:
	s_bitcmp1_b32 s7, 0
	s_cselect_b32 s7, -1, 0
	s_delay_alu instid0(SALU_CYCLE_1)
	s_and_b32 vcc_lo, exec_lo, s7
	s_cbranch_vccnz .LBB111_2117
; %bb.2115:
	s_load_b96 s[16:18], s[4:5], 0x4
	s_load_b128 s[8:11], s[0:1], 0xe4
	s_wait_kmcnt 0x0
	v_mul_hi_u32 v5, s17, v1
	s_delay_alu instid0(VALU_DEP_1) | instskip(NEXT) | instid1(VALU_DEP_1)
	v_add_nc_u32_e32 v5, v1, v5
	v_lshrrev_b32_e32 v5, s18, v5
	s_delay_alu instid0(VALU_DEP_1) | instskip(NEXT) | instid1(VALU_DEP_1)
	v_mul_lo_u32 v5, v5, s16
	v_sub_nc_u32_e32 v1, v1, v5
	s_delay_alu instid0(VALU_DEP_1)
	v_mad_u32 v2, v1, s8, v2
	v_mad_u32 v10, v1, s9, v10
	;; [unrolled: 1-line block ×4, first 2 shown]
	s_and_not1_b32 vcc_lo, exec_lo, s6
	s_cbranch_vccz .LBB111_2118
	s_branch .LBB111_2121
.LBB111_2116:
	s_mov_b32 s6, -1
                                        ; implicit-def: $vgpr10
                                        ; implicit-def: $vgpr2
                                        ; implicit-def: $vgpr18
                                        ; implicit-def: $vgpr12
.LBB111_2117:
	s_delay_alu instid0(SALU_CYCLE_1)
	s_and_not1_b32 vcc_lo, exec_lo, s6
	s_cbranch_vccnz .LBB111_2121
.LBB111_2118:
	s_clause 0x1
	s_load_b96 s[8:10], s[2:3], 0x4
	s_load_b128 s[4:7], s[2:3], 0xc4
	s_cmp_lt_u32 s33, 2
	s_wait_loadcnt 0x0
	s_wait_kmcnt 0x0
	v_mul_hi_u32 v1, s9, v4
	s_delay_alu instid0(VALU_DEP_1) | instskip(NEXT) | instid1(VALU_DEP_1)
	v_add_nc_u32_e32 v1, v4, v1
	v_lshrrev_b32_e32 v1, s10, v1
	s_delay_alu instid0(VALU_DEP_1) | instskip(NEXT) | instid1(VALU_DEP_1)
	v_mul_lo_u32 v2, v1, s8
	v_sub_nc_u32_e32 v5, v4, v2
	s_delay_alu instid0(VALU_DEP_1)
	v_mul_lo_u32 v10, v5, s5
	v_mul_lo_u32 v2, v5, s4
	;; [unrolled: 1-line block ×4, first 2 shown]
	s_cbranch_scc1 .LBB111_2121
; %bb.2119:
	s_clause 0x1
	s_load_b96 s[8:10], s[2:3], 0x10
	s_load_b128 s[4:7], s[2:3], 0xd4
	s_wait_kmcnt 0x0
	v_mul_hi_u32 v5, s9, v1
	s_delay_alu instid0(VALU_DEP_1) | instskip(NEXT) | instid1(VALU_DEP_1)
	v_add_nc_u32_e32 v5, v1, v5
	v_lshrrev_b32_e32 v5, s10, v5
	s_delay_alu instid0(VALU_DEP_1) | instskip(NEXT) | instid1(VALU_DEP_1)
	v_mul_lo_u32 v5, v5, s8
	v_sub_nc_u32_e32 v1, v1, v5
	s_delay_alu instid0(VALU_DEP_1)
	v_mad_u32 v2, v1, s4, v2
	v_mad_u32 v10, v1, s5, v10
	;; [unrolled: 1-line block ×4, first 2 shown]
	s_branch .LBB111_2121
.LBB111_2120:
	s_wait_loadcnt 0x0
	v_dual_mov_b32 v10, 0 :: v_dual_mov_b32 v2, 0
	v_dual_mov_b32 v18, 0 :: v_dual_mov_b32 v12, 0
	s_and_not1_b32 vcc_lo, exec_lo, s6
	s_cbranch_vccz .LBB111_2118
.LBB111_2121:
	v_cmp_ne_u32_e32 vcc_lo, 1, v0
	s_wait_loadcnt 0x0
	v_add_nc_u32_e32 v1, 0x80, v4
	s_cbranch_vccnz .LBB111_2127
; %bb.2122:
	s_cmp_lg_u32 s33, 0
	s_mov_b32 s6, 0
	s_cbranch_scc0 .LBB111_2131
; %bb.2123:
	s_min_u32 s7, s38, 15
	v_dual_mov_b32 v22, 0 :: v_dual_mov_b32 v5, v1
	v_dual_mov_b32 v28, 0 :: v_dual_mov_b32 v8, 0
	v_mov_b32_e32 v16, 0
	s_add_co_i32 s4, s7, 1
	s_mov_b64 s[0:1], 0xffffffffffffffe0
	s_and_b32 s8, s4, 30
	s_add_nc_u64 s[0:1], s[2:3], s[0:1]
	s_mov_b64 s[4:5], s[2:3]
.LBB111_2124:                           ; =>This Inner Loop Header: Depth=1
	s_clause 0x1
	s_load_b128 s[24:27], s[4:5], 0x4
	s_load_b64 s[10:11], s[4:5], 0x14
	s_load_b256 s[16:23], s[0:1], 0xe4
	s_add_co_i32 s8, s8, -2
	s_wait_xcnt 0x0
	s_add_nc_u64 s[4:5], s[4:5], 24
	s_cmp_lg_u32 s8, 0
	s_add_nc_u64 s[0:1], s[0:1], 32
	s_wait_kmcnt 0x0
	v_mul_hi_u32 v6, s25, v5
	s_delay_alu instid0(VALU_DEP_1) | instskip(NEXT) | instid1(VALU_DEP_1)
	v_add_nc_u32_e32 v6, v5, v6
	v_lshrrev_b32_e32 v6, s26, v6
	s_delay_alu instid0(VALU_DEP_1) | instskip(SKIP_1) | instid1(VALU_DEP_1)
	v_mul_hi_u32 v7, s10, v6
	v_mul_lo_u32 v9, v6, s24
	v_dual_add_nc_u32 v7, v6, v7 :: v_dual_sub_nc_u32 v9, v5, v9
	s_delay_alu instid0(VALU_DEP_1) | instskip(NEXT) | instid1(VALU_DEP_2)
	v_lshrrev_b32_e32 v5, s11, v7
	v_mad_u32 v11, v9, s17, v16
	v_mad_u32 v8, v9, s16, v8
	;; [unrolled: 1-line block ×4, first 2 shown]
	v_mul_lo_u32 v7, v5, s27
	s_delay_alu instid0(VALU_DEP_1) | instskip(NEXT) | instid1(VALU_DEP_1)
	v_sub_nc_u32_e32 v6, v6, v7
	v_mad_u32 v16, v6, s21, v11
	v_mad_u32 v8, v6, s20, v8
	;; [unrolled: 1-line block ×4, first 2 shown]
	s_cbranch_scc1 .LBB111_2124
; %bb.2125:
	s_bitcmp1_b32 s7, 0
	s_cselect_b32 s7, -1, 0
	s_delay_alu instid0(SALU_CYCLE_1)
	s_and_b32 vcc_lo, exec_lo, s7
	s_cbranch_vccnz .LBB111_2128
; %bb.2126:
	s_load_b96 s[16:18], s[4:5], 0x4
	s_load_b128 s[8:11], s[0:1], 0xe4
	s_wait_kmcnt 0x0
	v_mul_hi_u32 v6, s17, v5
	s_delay_alu instid0(VALU_DEP_1) | instskip(NEXT) | instid1(VALU_DEP_1)
	v_add_nc_u32_e32 v6, v5, v6
	v_lshrrev_b32_e32 v6, s18, v6
	s_delay_alu instid0(VALU_DEP_1) | instskip(NEXT) | instid1(VALU_DEP_1)
	v_mul_lo_u32 v6, v6, s16
	v_sub_nc_u32_e32 v5, v5, v6
	s_delay_alu instid0(VALU_DEP_1)
	v_mad_u32 v8, v5, s8, v8
	v_mad_u32 v16, v5, s9, v16
	;; [unrolled: 1-line block ×4, first 2 shown]
	s_and_not1_b32 vcc_lo, exec_lo, s6
	s_cbranch_vccz .LBB111_2129
	s_branch .LBB111_2132
.LBB111_2127:
	s_mov_b32 s6, -1
                                        ; implicit-def: $vgpr16
                                        ; implicit-def: $vgpr8
                                        ; implicit-def: $vgpr28
                                        ; implicit-def: $vgpr22
.LBB111_2128:
	s_delay_alu instid0(SALU_CYCLE_1)
	s_and_not1_b32 vcc_lo, exec_lo, s6
	s_cbranch_vccnz .LBB111_2132
.LBB111_2129:
	s_clause 0x1
	s_load_b96 s[8:10], s[2:3], 0x4
	s_load_b128 s[4:7], s[2:3], 0xc4
	s_cmp_lt_u32 s33, 2
	s_wait_kmcnt 0x0
	v_mul_hi_u32 v5, s9, v1
	s_delay_alu instid0(VALU_DEP_1) | instskip(NEXT) | instid1(VALU_DEP_1)
	v_add_nc_u32_e32 v5, v1, v5
	v_lshrrev_b32_e32 v5, s10, v5
	s_delay_alu instid0(VALU_DEP_1) | instskip(NEXT) | instid1(VALU_DEP_1)
	v_mul_lo_u32 v6, v5, s8
	v_sub_nc_u32_e32 v1, v1, v6
	s_delay_alu instid0(VALU_DEP_1)
	v_mul_lo_u32 v16, v1, s5
	v_mul_lo_u32 v8, v1, s4
	;; [unrolled: 1-line block ×4, first 2 shown]
	s_cbranch_scc1 .LBB111_2132
; %bb.2130:
	s_clause 0x1
	s_load_b96 s[8:10], s[2:3], 0x10
	s_load_b128 s[4:7], s[2:3], 0xd4
	s_wait_kmcnt 0x0
	v_mul_hi_u32 v1, s9, v5
	s_delay_alu instid0(VALU_DEP_1) | instskip(NEXT) | instid1(VALU_DEP_1)
	v_add_nc_u32_e32 v1, v5, v1
	v_lshrrev_b32_e32 v1, s10, v1
	s_delay_alu instid0(VALU_DEP_1) | instskip(NEXT) | instid1(VALU_DEP_1)
	v_mul_lo_u32 v1, v1, s8
	v_sub_nc_u32_e32 v1, v5, v1
	s_delay_alu instid0(VALU_DEP_1)
	v_mad_u32 v8, v1, s4, v8
	v_mad_u32 v16, v1, s5, v16
	;; [unrolled: 1-line block ×4, first 2 shown]
	s_branch .LBB111_2132
.LBB111_2131:
	v_dual_mov_b32 v16, 0 :: v_dual_mov_b32 v8, 0
	v_dual_mov_b32 v28, 0 :: v_dual_mov_b32 v22, 0
	s_and_not1_b32 vcc_lo, exec_lo, s6
	s_cbranch_vccz .LBB111_2129
.LBB111_2132:
	v_cmp_ne_u32_e32 vcc_lo, 1, v0
	v_add_nc_u32_e32 v1, 0x100, v4
	s_cbranch_vccnz .LBB111_2138
; %bb.2133:
	s_cmp_lg_u32 s33, 0
	s_mov_b32 s6, 0
	s_cbranch_scc0 .LBB111_2142
; %bb.2134:
	s_min_u32 s7, s38, 15
	v_dual_mov_b32 v30, 0 :: v_dual_mov_b32 v4, v1
	v_dual_mov_b32 v24, 0 :: v_dual_mov_b32 v6, 0
	v_mov_b32_e32 v26, 0
	s_add_co_i32 s4, s7, 1
	s_mov_b64 s[0:1], 0xffffffffffffffe0
	s_and_b32 s8, s4, 30
	s_add_nc_u64 s[0:1], s[2:3], s[0:1]
	s_mov_b64 s[4:5], s[2:3]
.LBB111_2135:                           ; =>This Inner Loop Header: Depth=1
	s_clause 0x1
	s_load_b128 s[24:27], s[4:5], 0x4
	s_load_b64 s[10:11], s[4:5], 0x14
	s_load_b256 s[16:23], s[0:1], 0xe4
	s_add_co_i32 s8, s8, -2
	s_wait_xcnt 0x0
	s_add_nc_u64 s[4:5], s[4:5], 24
	s_cmp_lg_u32 s8, 0
	s_add_nc_u64 s[0:1], s[0:1], 32
	s_wait_kmcnt 0x0
	v_mul_hi_u32 v5, s25, v4
	s_delay_alu instid0(VALU_DEP_1) | instskip(NEXT) | instid1(VALU_DEP_1)
	v_add_nc_u32_e32 v5, v4, v5
	v_lshrrev_b32_e32 v5, s26, v5
	s_delay_alu instid0(VALU_DEP_1) | instskip(SKIP_1) | instid1(VALU_DEP_1)
	v_mul_hi_u32 v7, s10, v5
	v_mul_lo_u32 v9, v5, s24
	v_dual_add_nc_u32 v7, v5, v7 :: v_dual_sub_nc_u32 v9, v4, v9
	s_delay_alu instid0(VALU_DEP_1) | instskip(NEXT) | instid1(VALU_DEP_2)
	v_lshrrev_b32_e32 v4, s11, v7
	v_mad_u32 v11, v9, s17, v26
	v_mad_u32 v6, v9, s16, v6
	;; [unrolled: 1-line block ×4, first 2 shown]
	v_mul_lo_u32 v7, v4, s27
	s_delay_alu instid0(VALU_DEP_1) | instskip(NEXT) | instid1(VALU_DEP_1)
	v_sub_nc_u32_e32 v5, v5, v7
	v_mad_u32 v26, v5, s21, v11
	v_mad_u32 v6, v5, s20, v6
	;; [unrolled: 1-line block ×4, first 2 shown]
	s_cbranch_scc1 .LBB111_2135
; %bb.2136:
	s_bitcmp1_b32 s7, 0
	s_cselect_b32 s7, -1, 0
	s_delay_alu instid0(SALU_CYCLE_1)
	s_and_b32 vcc_lo, exec_lo, s7
	s_cbranch_vccnz .LBB111_2139
; %bb.2137:
	s_load_b96 s[16:18], s[4:5], 0x4
	s_load_b128 s[8:11], s[0:1], 0xe4
	s_wait_kmcnt 0x0
	v_mul_hi_u32 v5, s17, v4
	s_delay_alu instid0(VALU_DEP_1) | instskip(NEXT) | instid1(VALU_DEP_1)
	v_add_nc_u32_e32 v5, v4, v5
	v_lshrrev_b32_e32 v5, s18, v5
	s_delay_alu instid0(VALU_DEP_1) | instskip(NEXT) | instid1(VALU_DEP_1)
	v_mul_lo_u32 v5, v5, s16
	v_sub_nc_u32_e32 v4, v4, v5
	s_delay_alu instid0(VALU_DEP_1)
	v_mad_u32 v6, v4, s8, v6
	v_mad_u32 v26, v4, s9, v26
	v_mad_u32 v30, v4, s10, v30
	v_mad_u32 v24, v4, s11, v24
	s_and_not1_b32 vcc_lo, exec_lo, s6
	s_cbranch_vccz .LBB111_2140
	s_branch .LBB111_2143
.LBB111_2138:
	s_mov_b32 s6, -1
                                        ; implicit-def: $vgpr26
                                        ; implicit-def: $vgpr6
                                        ; implicit-def: $vgpr24
                                        ; implicit-def: $vgpr30
.LBB111_2139:
	s_delay_alu instid0(SALU_CYCLE_1)
	s_and_not1_b32 vcc_lo, exec_lo, s6
	s_cbranch_vccnz .LBB111_2143
.LBB111_2140:
	s_clause 0x1
	s_load_b96 s[8:10], s[2:3], 0x4
	s_load_b128 s[4:7], s[2:3], 0xc4
	s_cmp_lt_u32 s33, 2
	s_wait_kmcnt 0x0
	v_mul_hi_u32 v4, s9, v1
	s_delay_alu instid0(VALU_DEP_1) | instskip(NEXT) | instid1(VALU_DEP_1)
	v_add_nc_u32_e32 v4, v1, v4
	v_lshrrev_b32_e32 v4, s10, v4
	s_delay_alu instid0(VALU_DEP_1) | instskip(NEXT) | instid1(VALU_DEP_1)
	v_mul_lo_u32 v5, v4, s8
	v_sub_nc_u32_e32 v1, v1, v5
	s_delay_alu instid0(VALU_DEP_1)
	v_mul_lo_u32 v26, v1, s5
	v_mul_lo_u32 v6, v1, s4
	;; [unrolled: 1-line block ×4, first 2 shown]
	s_cbranch_scc1 .LBB111_2143
; %bb.2141:
	s_clause 0x1
	s_load_b96 s[8:10], s[2:3], 0x10
	s_load_b128 s[4:7], s[2:3], 0xd4
	s_wait_kmcnt 0x0
	v_mul_hi_u32 v1, s9, v4
	s_delay_alu instid0(VALU_DEP_1) | instskip(NEXT) | instid1(VALU_DEP_1)
	v_add_nc_u32_e32 v1, v4, v1
	v_lshrrev_b32_e32 v1, s10, v1
	s_delay_alu instid0(VALU_DEP_1) | instskip(NEXT) | instid1(VALU_DEP_1)
	v_mul_lo_u32 v1, v1, s8
	v_sub_nc_u32_e32 v1, v4, v1
	s_delay_alu instid0(VALU_DEP_1)
	v_mad_u32 v6, v1, s4, v6
	v_mad_u32 v26, v1, s5, v26
	;; [unrolled: 1-line block ×4, first 2 shown]
	s_branch .LBB111_2143
.LBB111_2142:
	v_dual_mov_b32 v26, 0 :: v_dual_mov_b32 v6, 0
	v_dual_mov_b32 v24, 0 :: v_dual_mov_b32 v30, 0
	s_and_not1_b32 vcc_lo, exec_lo, s6
	s_cbranch_vccz .LBB111_2140
.LBB111_2143:
	v_cmp_ne_u32_e32 vcc_lo, 1, v0
	s_cbranch_vccnz .LBB111_2149
; %bb.2144:
	s_cmp_lg_u32 s33, 0
	s_mov_b32 s6, 0
	s_cbranch_scc0 .LBB111_2153
; %bb.2145:
	s_min_u32 s7, s38, 15
	v_dual_mov_b32 v14, 0 :: v_dual_mov_b32 v1, v3
	v_dual_mov_b32 v0, 0 :: v_dual_mov_b32 v4, 0
	v_mov_b32_e32 v20, 0
	s_add_co_i32 s4, s7, 1
	s_mov_b64 s[0:1], 0xffffffffffffffe0
	s_and_b32 s8, s4, 30
	s_add_nc_u64 s[0:1], s[2:3], s[0:1]
	s_mov_b64 s[4:5], s[2:3]
.LBB111_2146:                           ; =>This Inner Loop Header: Depth=1
	s_clause 0x1
	s_load_b128 s[24:27], s[4:5], 0x4
	s_load_b64 s[10:11], s[4:5], 0x14
	s_load_b256 s[16:23], s[0:1], 0xe4
	s_add_co_i32 s8, s8, -2
	s_wait_xcnt 0x0
	s_add_nc_u64 s[4:5], s[4:5], 24
	s_cmp_lg_u32 s8, 0
	s_add_nc_u64 s[0:1], s[0:1], 32
	s_wait_kmcnt 0x0
	v_mul_hi_u32 v5, s25, v1
	s_delay_alu instid0(VALU_DEP_1) | instskip(NEXT) | instid1(VALU_DEP_1)
	v_add_nc_u32_e32 v5, v1, v5
	v_lshrrev_b32_e32 v5, s26, v5
	s_delay_alu instid0(VALU_DEP_1) | instskip(SKIP_1) | instid1(VALU_DEP_2)
	v_mul_hi_u32 v7, s10, v5
	v_mul_lo_u32 v9, v5, s24
	v_add_nc_u32_e32 v7, v5, v7
	s_delay_alu instid0(VALU_DEP_1) | instskip(NEXT) | instid1(VALU_DEP_1)
	v_dual_sub_nc_u32 v9, v1, v9 :: v_dual_lshrrev_b32 v1, s11, v7
	v_mad_u32 v11, v9, s17, v20
	v_mad_u32 v4, v9, s16, v4
	;; [unrolled: 1-line block ×4, first 2 shown]
	v_mul_lo_u32 v7, v1, s27
	s_delay_alu instid0(VALU_DEP_1) | instskip(NEXT) | instid1(VALU_DEP_1)
	v_sub_nc_u32_e32 v5, v5, v7
	v_mad_u32 v20, v5, s21, v11
	v_mad_u32 v4, v5, s20, v4
	v_mad_u32 v0, v5, s23, v0
	v_mad_u32 v14, v5, s22, v9
	s_cbranch_scc1 .LBB111_2146
; %bb.2147:
	s_bitcmp1_b32 s7, 0
	s_cselect_b32 s7, -1, 0
	s_delay_alu instid0(SALU_CYCLE_1)
	s_and_b32 vcc_lo, exec_lo, s7
	s_cbranch_vccnz .LBB111_2150
; %bb.2148:
	s_load_b96 s[16:18], s[4:5], 0x4
	s_load_b128 s[8:11], s[0:1], 0xe4
	s_wait_kmcnt 0x0
	v_mul_hi_u32 v5, s17, v1
	s_delay_alu instid0(VALU_DEP_1) | instskip(NEXT) | instid1(VALU_DEP_1)
	v_add_nc_u32_e32 v5, v1, v5
	v_lshrrev_b32_e32 v5, s18, v5
	s_delay_alu instid0(VALU_DEP_1) | instskip(NEXT) | instid1(VALU_DEP_1)
	v_mul_lo_u32 v5, v5, s16
	v_sub_nc_u32_e32 v1, v1, v5
	s_delay_alu instid0(VALU_DEP_1)
	v_mad_u32 v4, v1, s8, v4
	v_mad_u32 v20, v1, s9, v20
	;; [unrolled: 1-line block ×4, first 2 shown]
	s_and_not1_b32 vcc_lo, exec_lo, s6
	s_cbranch_vccz .LBB111_2151
	s_branch .LBB111_2154
.LBB111_2149:
	s_mov_b32 s6, -1
                                        ; implicit-def: $vgpr20
                                        ; implicit-def: $vgpr4
                                        ; implicit-def: $vgpr0
                                        ; implicit-def: $vgpr14
.LBB111_2150:
	s_delay_alu instid0(SALU_CYCLE_1)
	s_and_not1_b32 vcc_lo, exec_lo, s6
	s_cbranch_vccnz .LBB111_2154
.LBB111_2151:
	s_clause 0x1
	s_load_b96 s[8:10], s[2:3], 0x4
	s_load_b128 s[4:7], s[2:3], 0xc4
	s_cmp_lt_u32 s33, 2
	s_wait_kmcnt 0x0
	v_mul_hi_u32 v0, s9, v3
	s_delay_alu instid0(VALU_DEP_1) | instskip(NEXT) | instid1(VALU_DEP_1)
	v_add_nc_u32_e32 v0, v3, v0
	v_lshrrev_b32_e32 v1, s10, v0
	s_delay_alu instid0(VALU_DEP_1) | instskip(NEXT) | instid1(VALU_DEP_1)
	v_mul_lo_u32 v0, v1, s8
	v_sub_nc_u32_e32 v3, v3, v0
	s_delay_alu instid0(VALU_DEP_1)
	v_mul_lo_u32 v20, v3, s5
	v_mul_lo_u32 v4, v3, s4
	;; [unrolled: 1-line block ×4, first 2 shown]
	s_cbranch_scc1 .LBB111_2154
; %bb.2152:
	s_clause 0x1
	s_load_b96 s[8:10], s[2:3], 0x10
	s_load_b128 s[4:7], s[2:3], 0xd4
	s_wait_kmcnt 0x0
	v_mul_hi_u32 v3, s9, v1
	s_delay_alu instid0(VALU_DEP_1) | instskip(NEXT) | instid1(VALU_DEP_1)
	v_add_nc_u32_e32 v3, v1, v3
	v_lshrrev_b32_e32 v3, s10, v3
	s_delay_alu instid0(VALU_DEP_1) | instskip(NEXT) | instid1(VALU_DEP_1)
	v_mul_lo_u32 v3, v3, s8
	v_sub_nc_u32_e32 v1, v1, v3
	s_delay_alu instid0(VALU_DEP_1)
	v_mad_u32 v4, v1, s4, v4
	v_mad_u32 v20, v1, s5, v20
	v_mad_u32 v14, v1, s6, v14
	v_mad_u32 v0, v1, s7, v0
	s_branch .LBB111_2154
.LBB111_2153:
	v_dual_mov_b32 v20, 0 :: v_dual_mov_b32 v4, 0
	v_dual_mov_b32 v0, 0 :: v_dual_mov_b32 v14, 0
	s_and_not1_b32 vcc_lo, exec_lo, s6
	s_cbranch_vccz .LBB111_2151
.LBB111_2154:
	v_mov_b32_e32 v11, 0
	s_load_b128 s[4:7], s[2:3], 0x1c8
	global_load_u8 v1, v11, s[2:3] offset:505
	s_wait_kmcnt 0x0
	v_add_nc_u64_e32 v[32:33], s[6:7], v[10:11]
	s_wait_loadcnt 0x0
	v_and_b32_e32 v3, 0xffff, v1
	v_readfirstlane_b32 s10, v1
	s_delay_alu instid0(VALU_DEP_2)
	v_cmp_gt_i32_e32 vcc_lo, 11, v3
	s_cbranch_vccnz .LBB111_2161
; %bb.2155:
	s_and_b32 s0, 0xffff, s10
	s_mov_b32 s8, 0
	s_cmp_gt_i32 s0, 25
	s_cbranch_scc0 .LBB111_2163
; %bb.2156:
	s_cmp_gt_i32 s0, 28
	s_cbranch_scc0 .LBB111_2164
; %bb.2157:
	;; [unrolled: 3-line block ×4, first 2 shown]
	s_cmp_eq_u32 s0, 46
	s_mov_b32 s11, 0
	s_cbranch_scc0 .LBB111_2169
; %bb.2160:
	global_load_b32 v1, v[32:33], off
	s_mov_b32 s1, 0
	s_mov_b32 s9, -1
	s_wait_loadcnt 0x0
	v_lshlrev_b32_e32 v1, 16, v1
	s_wait_xcnt 0x1
	s_delay_alu instid0(VALU_DEP_1)
	v_cvt_f64_f32_e32 v[10:11], v1
	s_branch .LBB111_2171
.LBB111_2161:
	s_mov_b32 s9, 0
	s_mov_b32 s14, s12
                                        ; implicit-def: $vgpr10_vgpr11
	s_cbranch_execnz .LBB111_2234
.LBB111_2162:
	s_and_not1_b32 vcc_lo, exec_lo, s9
	s_cbranch_vccz .LBB111_2279
	s_branch .LBB111_4155
.LBB111_2163:
	s_mov_b32 s9, 0
	s_mov_b32 s1, 0
                                        ; implicit-def: $vgpr10_vgpr11
	s_cbranch_execnz .LBB111_2199
	s_branch .LBB111_2230
.LBB111_2164:
	s_mov_b32 s11, -1
	s_mov_b32 s9, 0
	s_mov_b32 s1, 0
                                        ; implicit-def: $vgpr10_vgpr11
	s_branch .LBB111_2180
.LBB111_2165:
	s_mov_b32 s9, 0
	s_mov_b32 s1, 0
                                        ; implicit-def: $vgpr10_vgpr11
	s_cbranch_execnz .LBB111_2176
	s_branch .LBB111_2179
.LBB111_2166:
	s_mov_b32 s11, -1
	s_mov_b32 s9, 0
	s_mov_b32 s1, 0
	s_branch .LBB111_2170
.LBB111_2167:
	s_and_not1_saveexec_b32 s9, s9
	s_cbranch_execz .LBB111_2022
.LBB111_2168:
	v_add_f32_e64 v3, 0x46000000, |v2|
	s_and_not1_b32 s8, s8, exec_lo
	s_delay_alu instid0(VALU_DEP_1) | instskip(NEXT) | instid1(VALU_DEP_1)
	v_and_b32_e32 v3, 0xff, v3
	v_cmp_ne_u32_e32 vcc_lo, 0, v3
	s_and_b32 s10, vcc_lo, exec_lo
	s_delay_alu instid0(SALU_CYCLE_1)
	s_or_b32 s8, s8, s10
	s_or_b32 exec_lo, exec_lo, s9
	v_mov_b32_e32 v4, 0
	s_and_saveexec_b32 s9, s8
	s_cbranch_execnz .LBB111_2023
	s_branch .LBB111_2024
.LBB111_2169:
	s_mov_b32 s1, -1
	s_mov_b32 s9, 0
.LBB111_2170:
                                        ; implicit-def: $vgpr10_vgpr11
.LBB111_2171:
	s_and_b32 vcc_lo, exec_lo, s11
	s_cbranch_vccz .LBB111_2174
; %bb.2172:
	s_cmp_eq_u32 s0, 44
	s_cbranch_scc0 .LBB111_2175
; %bb.2173:
	global_load_u8 v1, v[32:33], off
	s_mov_b32 s1, 0
	s_mov_b32 s9, -1
	s_wait_loadcnt 0x0
	v_lshlrev_b32_e32 v3, 23, v1
	v_cmp_ne_u32_e32 vcc_lo, 0xff, v1
	s_wait_xcnt 0x1
	s_delay_alu instid0(VALU_DEP_2) | instskip(NEXT) | instid1(VALU_DEP_1)
	v_cvt_f64_f32_e32 v[10:11], v3
	v_cndmask_b32_e32 v3, 0x20000000, v10, vcc_lo
	s_delay_alu instid0(VALU_DEP_2) | instskip(SKIP_1) | instid1(VALU_DEP_2)
	v_cndmask_b32_e32 v5, 0x7ff80000, v11, vcc_lo
	v_cmp_ne_u32_e32 vcc_lo, 0, v1
	v_cndmask_b32_e32 v11, 0x38000000, v5, vcc_lo
	s_delay_alu instid0(VALU_DEP_4)
	v_cndmask_b32_e32 v10, 0, v3, vcc_lo
.LBB111_2174:
	s_branch .LBB111_2179
.LBB111_2175:
	s_mov_b32 s1, -1
                                        ; implicit-def: $vgpr10_vgpr11
	s_branch .LBB111_2179
.LBB111_2176:
	s_cmp_eq_u32 s0, 29
	s_cbranch_scc0 .LBB111_2178
; %bb.2177:
	global_load_b64 v[10:11], v[32:33], off
	s_mov_b32 s1, 0
	s_mov_b32 s9, -1
	s_mov_b32 s11, 0
	s_wait_loadcnt 0x0
	v_cvt_f64_u32_e32 v[34:35], v11
	v_cvt_f64_u32_e32 v[10:11], v10
	s_delay_alu instid0(VALU_DEP_2) | instskip(NEXT) | instid1(VALU_DEP_1)
	v_ldexp_f64 v[34:35], v[34:35], 32
	v_add_f64_e32 v[10:11], v[34:35], v[10:11]
	s_branch .LBB111_2180
.LBB111_2178:
	s_mov_b32 s1, -1
                                        ; implicit-def: $vgpr10_vgpr11
.LBB111_2179:
	s_mov_b32 s11, 0
.LBB111_2180:
	s_delay_alu instid0(SALU_CYCLE_1)
	s_and_b32 vcc_lo, exec_lo, s11
	s_cbranch_vccz .LBB111_2198
; %bb.2181:
	s_cmp_lt_i32 s0, 27
	s_cbranch_scc1 .LBB111_2184
; %bb.2182:
	s_cmp_gt_i32 s0, 27
	s_cbranch_scc0 .LBB111_2185
; %bb.2183:
	global_load_b32 v1, v[32:33], off
	s_mov_b32 s9, 0
	s_wait_loadcnt 0x0
	s_wait_xcnt 0x1
	v_cvt_f64_u32_e32 v[10:11], v1
	s_branch .LBB111_2186
.LBB111_2184:
	s_mov_b32 s9, -1
                                        ; implicit-def: $vgpr10_vgpr11
	s_branch .LBB111_2189
.LBB111_2185:
	s_mov_b32 s9, -1
                                        ; implicit-def: $vgpr10_vgpr11
.LBB111_2186:
	s_delay_alu instid0(SALU_CYCLE_1)
	s_and_not1_b32 vcc_lo, exec_lo, s9
	s_cbranch_vccnz .LBB111_2188
; %bb.2187:
	global_load_u16 v1, v[32:33], off
	s_wait_loadcnt 0x0
	s_wait_xcnt 0x1
	v_cvt_f64_u32_e32 v[10:11], v1
.LBB111_2188:
	s_mov_b32 s9, 0
.LBB111_2189:
	s_delay_alu instid0(SALU_CYCLE_1)
	s_and_not1_b32 vcc_lo, exec_lo, s9
	s_cbranch_vccnz .LBB111_2197
; %bb.2190:
	global_load_u8 v1, v[32:33], off
	s_mov_b32 s9, 0
	s_mov_b32 s11, exec_lo
	s_wait_loadcnt 0x0
	v_cmpx_lt_i16_e32 0x7f, v1
	s_xor_b32 s11, exec_lo, s11
	s_cbranch_execz .LBB111_2210
; %bb.2191:
	s_mov_b32 s9, -1
	s_mov_b32 s14, exec_lo
	v_cmpx_eq_u16_e32 0x80, v1
; %bb.2192:
	s_xor_b32 s9, exec_lo, -1
; %bb.2193:
	s_or_b32 exec_lo, exec_lo, s14
	s_delay_alu instid0(SALU_CYCLE_1)
	s_and_b32 s9, s9, exec_lo
	s_or_saveexec_b32 s11, s11
	v_mov_b64_e32 v[10:11], 0x7ff8000020000000
	s_xor_b32 exec_lo, exec_lo, s11
	s_cbranch_execnz .LBB111_2211
.LBB111_2194:
	s_or_b32 exec_lo, exec_lo, s11
	s_and_saveexec_b32 s11, s9
	s_cbranch_execz .LBB111_2196
.LBB111_2195:
	v_and_b32_e32 v3, 0xffff, v1
	s_delay_alu instid0(VALU_DEP_1) | instskip(SKIP_1) | instid1(VALU_DEP_2)
	v_dual_lshlrev_b32 v1, 24, v1 :: v_dual_bitop2_b32 v5, 7, v3 bitop3:0x40
	v_bfe_u32 v10, v3, 3, 4
	v_and_b32_e32 v1, 0x80000000, v1
	s_delay_alu instid0(VALU_DEP_3) | instskip(NEXT) | instid1(VALU_DEP_3)
	v_clz_i32_u32_e32 v7, v5
	v_cmp_eq_u32_e32 vcc_lo, 0, v10
	s_delay_alu instid0(VALU_DEP_2) | instskip(NEXT) | instid1(VALU_DEP_1)
	v_min_u32_e32 v7, 32, v7
	v_subrev_nc_u32_e32 v9, 28, v7
	v_sub_nc_u32_e32 v7, 29, v7
	s_delay_alu instid0(VALU_DEP_2) | instskip(NEXT) | instid1(VALU_DEP_2)
	v_lshlrev_b32_e32 v3, v9, v3
	v_cndmask_b32_e32 v7, v10, v7, vcc_lo
	s_delay_alu instid0(VALU_DEP_2) | instskip(NEXT) | instid1(VALU_DEP_1)
	v_and_b32_e32 v3, 7, v3
	v_cndmask_b32_e32 v3, v5, v3, vcc_lo
	s_delay_alu instid0(VALU_DEP_3) | instskip(NEXT) | instid1(VALU_DEP_2)
	v_lshl_add_u32 v5, v7, 23, 0x3b800000
	v_lshlrev_b32_e32 v3, 20, v3
	s_delay_alu instid0(VALU_DEP_1) | instskip(NEXT) | instid1(VALU_DEP_1)
	v_or3_b32 v1, v1, v5, v3
	v_cvt_f64_f32_e32 v[10:11], v1
.LBB111_2196:
	s_or_b32 exec_lo, exec_lo, s11
.LBB111_2197:
	s_mov_b32 s9, -1
.LBB111_2198:
	s_branch .LBB111_2230
.LBB111_2199:
	s_cmp_gt_i32 s0, 22
	s_cbranch_scc0 .LBB111_2209
; %bb.2200:
	s_cmp_lt_i32 s0, 24
	s_cbranch_scc1 .LBB111_2212
; %bb.2201:
	s_cmp_gt_i32 s0, 24
	s_cbranch_scc0 .LBB111_2213
; %bb.2202:
	global_load_u8 v1, v[32:33], off
	s_mov_b32 s9, exec_lo
	s_wait_loadcnt 0x0
	v_cmpx_lt_i16_e32 0x7f, v1
	s_xor_b32 s9, exec_lo, s9
	s_cbranch_execz .LBB111_2224
; %bb.2203:
	s_mov_b32 s8, -1
	s_mov_b32 s11, exec_lo
	v_cmpx_eq_u16_e32 0x80, v1
; %bb.2204:
	s_xor_b32 s8, exec_lo, -1
; %bb.2205:
	s_or_b32 exec_lo, exec_lo, s11
	s_delay_alu instid0(SALU_CYCLE_1)
	s_and_b32 s8, s8, exec_lo
	s_or_saveexec_b32 s9, s9
	v_mov_b64_e32 v[10:11], 0x7ff8000020000000
	s_xor_b32 exec_lo, exec_lo, s9
	s_cbranch_execnz .LBB111_2225
.LBB111_2206:
	s_or_b32 exec_lo, exec_lo, s9
	s_and_saveexec_b32 s9, s8
	s_cbranch_execz .LBB111_2208
.LBB111_2207:
	v_and_b32_e32 v3, 0xffff, v1
	s_delay_alu instid0(VALU_DEP_1) | instskip(SKIP_1) | instid1(VALU_DEP_2)
	v_dual_lshlrev_b32 v1, 24, v1 :: v_dual_bitop2_b32 v5, 3, v3 bitop3:0x40
	v_bfe_u32 v10, v3, 2, 5
	v_and_b32_e32 v1, 0x80000000, v1
	s_delay_alu instid0(VALU_DEP_3) | instskip(NEXT) | instid1(VALU_DEP_3)
	v_clz_i32_u32_e32 v7, v5
	v_cmp_eq_u32_e32 vcc_lo, 0, v10
	s_delay_alu instid0(VALU_DEP_2) | instskip(NEXT) | instid1(VALU_DEP_1)
	v_min_u32_e32 v7, 32, v7
	v_subrev_nc_u32_e32 v9, 29, v7
	v_sub_nc_u32_e32 v7, 30, v7
	s_delay_alu instid0(VALU_DEP_2) | instskip(NEXT) | instid1(VALU_DEP_2)
	v_lshlrev_b32_e32 v3, v9, v3
	v_cndmask_b32_e32 v7, v10, v7, vcc_lo
	s_delay_alu instid0(VALU_DEP_2) | instskip(NEXT) | instid1(VALU_DEP_1)
	v_and_b32_e32 v3, 3, v3
	v_cndmask_b32_e32 v3, v5, v3, vcc_lo
	s_delay_alu instid0(VALU_DEP_3) | instskip(NEXT) | instid1(VALU_DEP_2)
	v_lshl_add_u32 v5, v7, 23, 0x37800000
	v_lshlrev_b32_e32 v3, 21, v3
	s_delay_alu instid0(VALU_DEP_1) | instskip(NEXT) | instid1(VALU_DEP_1)
	v_or3_b32 v1, v1, v5, v3
	v_cvt_f64_f32_e32 v[10:11], v1
.LBB111_2208:
	s_or_b32 exec_lo, exec_lo, s9
	s_mov_b32 s8, 0
	s_branch .LBB111_2214
.LBB111_2209:
                                        ; implicit-def: $vgpr10_vgpr11
	s_mov_b32 s8, 0
	s_branch .LBB111_2220
.LBB111_2210:
	s_or_saveexec_b32 s11, s11
	v_mov_b64_e32 v[10:11], 0x7ff8000020000000
	s_xor_b32 exec_lo, exec_lo, s11
	s_cbranch_execz .LBB111_2194
.LBB111_2211:
	v_cmp_ne_u16_e32 vcc_lo, 0, v1
	v_mov_b64_e32 v[10:11], 0
	s_and_not1_b32 s9, s9, exec_lo
	s_and_b32 s14, vcc_lo, exec_lo
	s_delay_alu instid0(SALU_CYCLE_1)
	s_or_b32 s9, s9, s14
	s_or_b32 exec_lo, exec_lo, s11
	s_and_saveexec_b32 s11, s9
	s_cbranch_execnz .LBB111_2195
	s_branch .LBB111_2196
.LBB111_2212:
	s_mov_b32 s8, -1
                                        ; implicit-def: $vgpr10_vgpr11
	s_branch .LBB111_2217
.LBB111_2213:
	s_mov_b32 s8, -1
                                        ; implicit-def: $vgpr10_vgpr11
.LBB111_2214:
	s_delay_alu instid0(SALU_CYCLE_1)
	s_and_b32 vcc_lo, exec_lo, s8
	s_cbranch_vccz .LBB111_2216
; %bb.2215:
	global_load_u8 v1, v[32:33], off
	s_wait_loadcnt 0x0
	v_lshlrev_b32_e32 v1, 24, v1
	s_delay_alu instid0(VALU_DEP_1) | instskip(NEXT) | instid1(VALU_DEP_1)
	v_and_b32_e32 v3, 0x7f000000, v1
	v_clz_i32_u32_e32 v5, v3
	v_add_nc_u32_e32 v9, 0x1000000, v3
	v_cmp_ne_u32_e32 vcc_lo, 0, v3
	s_delay_alu instid0(VALU_DEP_3) | instskip(NEXT) | instid1(VALU_DEP_1)
	v_min_u32_e32 v5, 32, v5
	v_sub_nc_u32_e64 v5, v5, 4 clamp
	s_delay_alu instid0(VALU_DEP_1) | instskip(NEXT) | instid1(VALU_DEP_1)
	v_dual_lshlrev_b32 v7, v5, v3 :: v_dual_lshlrev_b32 v5, 23, v5
	v_lshrrev_b32_e32 v7, 4, v7
	s_delay_alu instid0(VALU_DEP_1) | instskip(SKIP_1) | instid1(VALU_DEP_2)
	v_sub_nc_u32_e32 v5, v7, v5
	v_ashrrev_i32_e32 v7, 8, v9
	v_add_nc_u32_e32 v5, 0x3c000000, v5
	s_delay_alu instid0(VALU_DEP_1) | instskip(NEXT) | instid1(VALU_DEP_1)
	v_and_or_b32 v5, 0x7f800000, v7, v5
	v_cndmask_b32_e32 v3, 0, v5, vcc_lo
	s_delay_alu instid0(VALU_DEP_1) | instskip(SKIP_1) | instid1(VALU_DEP_1)
	v_and_or_b32 v1, 0x80000000, v1, v3
	s_wait_xcnt 0x1
	v_cvt_f64_f32_e32 v[10:11], v1
.LBB111_2216:
	s_mov_b32 s8, 0
.LBB111_2217:
	s_delay_alu instid0(SALU_CYCLE_1)
	s_and_not1_b32 vcc_lo, exec_lo, s8
	s_cbranch_vccnz .LBB111_2219
; %bb.2218:
	global_load_u8 v1, v[32:33], off
	s_wait_loadcnt 0x0
	v_lshlrev_b32_e32 v3, 25, v1
	v_lshlrev_b16 v1, 8, v1
	s_delay_alu instid0(VALU_DEP_1) | instskip(SKIP_1) | instid1(VALU_DEP_2)
	v_and_or_b32 v7, 0x7f00, v1, 0.5
	v_bfe_i32 v1, v1, 0, 16
	v_add_f32_e32 v7, -0.5, v7
	v_lshrrev_b32_e32 v5, 4, v3
	v_cmp_gt_u32_e32 vcc_lo, 0x8000000, v3
	s_delay_alu instid0(VALU_DEP_2) | instskip(NEXT) | instid1(VALU_DEP_1)
	v_or_b32_e32 v5, 0x70000000, v5
	v_mul_f32_e32 v5, 0x7800000, v5
	s_delay_alu instid0(VALU_DEP_1) | instskip(NEXT) | instid1(VALU_DEP_1)
	v_cndmask_b32_e32 v3, v5, v7, vcc_lo
	v_and_or_b32 v1, 0x80000000, v1, v3
	s_wait_xcnt 0x1
	s_delay_alu instid0(VALU_DEP_1)
	v_cvt_f64_f32_e32 v[10:11], v1
.LBB111_2219:
	s_mov_b32 s9, -1
	s_mov_b32 s8, 0
	s_cbranch_execnz .LBB111_2230
.LBB111_2220:
	s_cmp_gt_i32 s0, 14
	s_cbranch_scc0 .LBB111_2223
; %bb.2221:
	s_cmp_eq_u32 s0, 15
	s_cbranch_scc0 .LBB111_2226
; %bb.2222:
	global_load_u16 v1, v[32:33], off
	s_mov_b32 s1, 0
	s_mov_b32 s9, -1
	s_wait_loadcnt 0x0
	v_lshlrev_b32_e32 v1, 16, v1
	s_wait_xcnt 0x1
	s_delay_alu instid0(VALU_DEP_1)
	v_cvt_f64_f32_e32 v[10:11], v1
	s_branch .LBB111_2228
.LBB111_2223:
	s_mov_b32 s8, -1
	s_branch .LBB111_2227
.LBB111_2224:
	s_or_saveexec_b32 s9, s9
	v_mov_b64_e32 v[10:11], 0x7ff8000020000000
	s_xor_b32 exec_lo, exec_lo, s9
	s_cbranch_execz .LBB111_2206
.LBB111_2225:
	v_cmp_ne_u16_e32 vcc_lo, 0, v1
	v_mov_b64_e32 v[10:11], 0
	s_and_not1_b32 s8, s8, exec_lo
	s_and_b32 s11, vcc_lo, exec_lo
	s_delay_alu instid0(SALU_CYCLE_1)
	s_or_b32 s8, s8, s11
	s_or_b32 exec_lo, exec_lo, s9
	s_and_saveexec_b32 s9, s8
	s_cbranch_execnz .LBB111_2207
	s_branch .LBB111_2208
.LBB111_2226:
	s_mov_b32 s1, -1
.LBB111_2227:
                                        ; implicit-def: $vgpr10_vgpr11
.LBB111_2228:
	s_and_b32 vcc_lo, exec_lo, s8
	s_mov_b32 s8, 0
	s_cbranch_vccz .LBB111_2230
; %bb.2229:
	s_cmp_lg_u32 s0, 11
	s_mov_b32 s8, -1
	s_cselect_b32 s1, -1, 0
.LBB111_2230:
	s_delay_alu instid0(SALU_CYCLE_1)
	s_and_b32 vcc_lo, exec_lo, s1
	s_mov_b32 s14, s12
	s_cbranch_vccnz .LBB111_2291
; %bb.2231:
	s_and_not1_b32 vcc_lo, exec_lo, s8
	s_cbranch_vccnz .LBB111_2233
.LBB111_2232:
	global_load_u8 v1, v[32:33], off
	v_mov_b32_e32 v10, 0
	s_mov_b32 s9, -1
	s_wait_loadcnt 0x0
	v_cmp_ne_u16_e32 vcc_lo, 0, v1
	s_wait_xcnt 0x1
	v_cndmask_b32_e64 v11, 0, 0x3ff00000, vcc_lo
.LBB111_2233:
	s_branch .LBB111_2162
.LBB111_2234:
	s_and_b32 s0, 0xffff, s10
	s_delay_alu instid0(SALU_CYCLE_1)
	s_cmp_lt_i32 s0, 5
	s_cbranch_scc1 .LBB111_2239
; %bb.2235:
	s_cmp_lt_i32 s0, 8
	s_cbranch_scc1 .LBB111_2240
; %bb.2236:
	;; [unrolled: 3-line block ×3, first 2 shown]
	s_cmp_gt_i32 s0, 9
	s_cbranch_scc0 .LBB111_2242
; %bb.2238:
	global_load_b64 v[10:11], v[32:33], off
	s_mov_b32 s1, 0
	s_branch .LBB111_2243
.LBB111_2239:
                                        ; implicit-def: $vgpr10_vgpr11
	s_branch .LBB111_2260
.LBB111_2240:
                                        ; implicit-def: $vgpr10_vgpr11
	s_branch .LBB111_2249
.LBB111_2241:
	s_mov_b32 s1, -1
                                        ; implicit-def: $vgpr10_vgpr11
	s_branch .LBB111_2246
.LBB111_2242:
	s_mov_b32 s1, -1
                                        ; implicit-def: $vgpr10_vgpr11
.LBB111_2243:
	s_delay_alu instid0(SALU_CYCLE_1)
	s_and_not1_b32 vcc_lo, exec_lo, s1
	s_cbranch_vccnz .LBB111_2245
; %bb.2244:
	global_load_b32 v1, v[32:33], off
	s_wait_loadcnt 0x0
	s_wait_xcnt 0x1
	v_cvt_f64_f32_e32 v[10:11], v1
.LBB111_2245:
	s_mov_b32 s1, 0
.LBB111_2246:
	s_delay_alu instid0(SALU_CYCLE_1)
	s_and_not1_b32 vcc_lo, exec_lo, s1
	s_cbranch_vccnz .LBB111_2248
; %bb.2247:
	global_load_b32 v1, v[32:33], off
	s_wait_loadcnt 0x0
	v_cvt_f32_f16_e32 v1, v1
	s_wait_xcnt 0x1
	s_delay_alu instid0(VALU_DEP_1)
	v_cvt_f64_f32_e32 v[10:11], v1
.LBB111_2248:
	s_cbranch_execnz .LBB111_2259
.LBB111_2249:
	s_cmp_lt_i32 s0, 6
	s_cbranch_scc1 .LBB111_2252
; %bb.2250:
	s_cmp_gt_i32 s0, 6
	s_cbranch_scc0 .LBB111_2253
; %bb.2251:
	s_wait_loadcnt 0x0
	global_load_b64 v[10:11], v[32:33], off
	s_mov_b32 s1, 0
	s_branch .LBB111_2254
.LBB111_2252:
	s_mov_b32 s1, -1
                                        ; implicit-def: $vgpr10_vgpr11
	s_branch .LBB111_2257
.LBB111_2253:
	s_mov_b32 s1, -1
                                        ; implicit-def: $vgpr10_vgpr11
.LBB111_2254:
	s_delay_alu instid0(SALU_CYCLE_1)
	s_and_not1_b32 vcc_lo, exec_lo, s1
	s_cbranch_vccnz .LBB111_2256
; %bb.2255:
	global_load_b32 v1, v[32:33], off
	s_wait_loadcnt 0x0
	s_wait_xcnt 0x1
	v_cvt_f64_f32_e32 v[10:11], v1
.LBB111_2256:
	s_mov_b32 s1, 0
.LBB111_2257:
	s_delay_alu instid0(SALU_CYCLE_1)
	s_and_not1_b32 vcc_lo, exec_lo, s1
	s_cbranch_vccnz .LBB111_2259
; %bb.2258:
	global_load_u16 v1, v[32:33], off
	s_wait_loadcnt 0x0
	v_cvt_f32_f16_e32 v1, v1
	s_wait_xcnt 0x1
	s_delay_alu instid0(VALU_DEP_1)
	v_cvt_f64_f32_e32 v[10:11], v1
.LBB111_2259:
	s_cbranch_execnz .LBB111_2278
.LBB111_2260:
	s_cmp_lt_i32 s0, 2
	s_cbranch_scc1 .LBB111_2264
; %bb.2261:
	s_cmp_lt_i32 s0, 3
	s_cbranch_scc1 .LBB111_2265
; %bb.2262:
	s_cmp_gt_i32 s0, 3
	s_cbranch_scc0 .LBB111_2266
; %bb.2263:
	s_wait_loadcnt 0x0
	global_load_b64 v[10:11], v[32:33], off
	s_mov_b32 s1, 0
	s_wait_loadcnt 0x0
	v_cvt_f64_i32_e32 v[34:35], v11
	v_cvt_f64_u32_e32 v[10:11], v10
	s_delay_alu instid0(VALU_DEP_2) | instskip(NEXT) | instid1(VALU_DEP_1)
	v_ldexp_f64 v[34:35], v[34:35], 32
	v_add_f64_e32 v[10:11], v[34:35], v[10:11]
	s_branch .LBB111_2267
.LBB111_2264:
                                        ; implicit-def: $vgpr10_vgpr11
	s_branch .LBB111_2273
.LBB111_2265:
	s_mov_b32 s1, -1
                                        ; implicit-def: $vgpr10_vgpr11
	s_branch .LBB111_2270
.LBB111_2266:
	s_mov_b32 s1, -1
                                        ; implicit-def: $vgpr10_vgpr11
.LBB111_2267:
	s_delay_alu instid0(SALU_CYCLE_1)
	s_and_not1_b32 vcc_lo, exec_lo, s1
	s_cbranch_vccnz .LBB111_2269
; %bb.2268:
	global_load_b32 v1, v[32:33], off
	s_wait_loadcnt 0x0
	s_wait_xcnt 0x1
	v_cvt_f64_i32_e32 v[10:11], v1
.LBB111_2269:
	s_mov_b32 s1, 0
.LBB111_2270:
	s_delay_alu instid0(SALU_CYCLE_1)
	s_and_not1_b32 vcc_lo, exec_lo, s1
	s_cbranch_vccnz .LBB111_2272
; %bb.2271:
	global_load_i16 v1, v[32:33], off
	s_wait_loadcnt 0x0
	s_wait_xcnt 0x1
	v_cvt_f64_i32_e32 v[10:11], v1
.LBB111_2272:
	s_cbranch_execnz .LBB111_2278
.LBB111_2273:
	s_cmp_gt_i32 s0, 0
	s_mov_b32 s0, 0
	s_cbranch_scc0 .LBB111_2275
; %bb.2274:
	global_load_i8 v1, v[32:33], off
	s_wait_loadcnt 0x0
	s_wait_xcnt 0x1
	v_cvt_f64_i32_e32 v[10:11], v1
	s_branch .LBB111_2276
.LBB111_2275:
	s_mov_b32 s0, -1
                                        ; implicit-def: $vgpr10_vgpr11
.LBB111_2276:
	s_delay_alu instid0(SALU_CYCLE_1)
	s_and_not1_b32 vcc_lo, exec_lo, s0
	s_cbranch_vccnz .LBB111_2278
; %bb.2277:
	global_load_u8 v1, v[32:33], off
	s_wait_loadcnt 0x0
	s_wait_xcnt 0x1
	v_cvt_f64_u32_e32 v[10:11], v1
.LBB111_2278:
.LBB111_2279:
	v_mov_b32_e32 v13, 0
	s_load_b64 s[0:1], s[2:3], 0x1d8
	global_load_u8 v1, v13, s[2:3] offset:506
	s_wait_kmcnt 0x0
	v_add_nc_u64_e32 v[32:33], s[0:1], v[12:13]
	s_wait_loadcnt 0x0
	v_and_b32_e32 v3, 0xffff, v1
	v_readfirstlane_b32 s11, v1
	s_delay_alu instid0(VALU_DEP_2)
	v_cmp_gt_i32_e32 vcc_lo, 11, v3
	s_cbranch_vccnz .LBB111_2286
; %bb.2280:
	s_and_b32 s8, 0xffff, s11
	s_mov_b32 s15, 0
	s_cmp_gt_i32 s8, 25
	s_cbranch_scc0 .LBB111_2288
; %bb.2281:
	s_cmp_gt_i32 s8, 28
	s_cbranch_scc0 .LBB111_2289
; %bb.2282:
	;; [unrolled: 3-line block ×4, first 2 shown]
	s_cmp_eq_u32 s8, 46
	s_mov_b32 s17, 0
	s_cbranch_scc0 .LBB111_2295
; %bb.2285:
	global_load_b32 v1, v[32:33], off
	s_mov_b32 s9, 0
	s_mov_b32 s16, -1
	s_wait_loadcnt 0x0
	v_lshlrev_b32_e32 v1, 16, v1
	s_wait_xcnt 0x1
	s_delay_alu instid0(VALU_DEP_1)
	v_cvt_f64_f32_e32 v[12:13], v1
	s_branch .LBB111_2297
.LBB111_2286:
	s_mov_b32 s16, 0
                                        ; implicit-def: $vgpr12_vgpr13
	s_cbranch_execnz .LBB111_2362
.LBB111_2287:
	s_and_not1_b32 vcc_lo, exec_lo, s16
	s_cbranch_vccnz .LBB111_4155
	s_branch .LBB111_2409
.LBB111_2288:
	s_mov_b32 s16, 0
	s_mov_b32 s9, 0
                                        ; implicit-def: $vgpr12_vgpr13
	s_cbranch_execnz .LBB111_2326
	s_branch .LBB111_2358
.LBB111_2289:
	s_mov_b32 s17, -1
	s_mov_b32 s16, 0
	s_mov_b32 s9, 0
                                        ; implicit-def: $vgpr12_vgpr13
	s_branch .LBB111_2307
.LBB111_2290:
	s_mov_b32 s17, -1
	s_mov_b32 s16, 0
	s_mov_b32 s9, 0
                                        ; implicit-def: $vgpr12_vgpr13
	s_branch .LBB111_2302
.LBB111_2291:
	s_or_b32 s14, s12, exec_lo
	s_trap 2
	s_cbranch_execz .LBB111_2232
	s_branch .LBB111_2233
.LBB111_2292:
	s_mov_b32 s17, -1
	s_mov_b32 s16, 0
	s_mov_b32 s9, 0
	s_branch .LBB111_2296
.LBB111_2293:
	s_and_not1_saveexec_b32 s10, s10
	s_cbranch_execz .LBB111_2034
.LBB111_2294:
	v_add_f32_e64 v3, 0x42800000, |v2|
	s_and_not1_b32 s9, s9, exec_lo
	s_delay_alu instid0(VALU_DEP_1) | instskip(NEXT) | instid1(VALU_DEP_1)
	v_and_b32_e32 v3, 0xff, v3
	v_cmp_ne_u32_e32 vcc_lo, 0, v3
	s_and_b32 s11, vcc_lo, exec_lo
	s_delay_alu instid0(SALU_CYCLE_1)
	s_or_b32 s9, s9, s11
	s_or_b32 exec_lo, exec_lo, s10
	v_mov_b32_e32 v4, 0
	s_and_saveexec_b32 s10, s9
	s_cbranch_execnz .LBB111_2035
	s_branch .LBB111_2036
.LBB111_2295:
	s_mov_b32 s9, -1
	s_mov_b32 s16, 0
.LBB111_2296:
                                        ; implicit-def: $vgpr12_vgpr13
.LBB111_2297:
	s_and_b32 vcc_lo, exec_lo, s17
	s_cbranch_vccz .LBB111_2301
; %bb.2298:
	s_cmp_eq_u32 s8, 44
	s_cbranch_scc0 .LBB111_2300
; %bb.2299:
	global_load_u8 v1, v[32:33], off
	s_mov_b32 s9, 0
	s_mov_b32 s16, -1
	s_wait_loadcnt 0x0
	v_lshlrev_b32_e32 v3, 23, v1
	v_cmp_ne_u32_e32 vcc_lo, 0xff, v1
	s_wait_xcnt 0x1
	s_delay_alu instid0(VALU_DEP_2) | instskip(NEXT) | instid1(VALU_DEP_1)
	v_cvt_f64_f32_e32 v[12:13], v3
	v_cndmask_b32_e32 v3, 0x20000000, v12, vcc_lo
	s_delay_alu instid0(VALU_DEP_2) | instskip(SKIP_1) | instid1(VALU_DEP_2)
	v_cndmask_b32_e32 v5, 0x7ff80000, v13, vcc_lo
	v_cmp_ne_u32_e32 vcc_lo, 0, v1
	v_cndmask_b32_e32 v13, 0x38000000, v5, vcc_lo
	s_delay_alu instid0(VALU_DEP_4)
	v_cndmask_b32_e32 v12, 0, v3, vcc_lo
	s_branch .LBB111_2301
.LBB111_2300:
	s_mov_b32 s9, -1
                                        ; implicit-def: $vgpr12_vgpr13
.LBB111_2301:
	s_mov_b32 s17, 0
.LBB111_2302:
	s_delay_alu instid0(SALU_CYCLE_1)
	s_and_b32 vcc_lo, exec_lo, s17
	s_cbranch_vccz .LBB111_2306
; %bb.2303:
	s_cmp_eq_u32 s8, 29
	s_cbranch_scc0 .LBB111_2305
; %bb.2304:
	global_load_b64 v[12:13], v[32:33], off
	s_mov_b32 s9, 0
	s_mov_b32 s16, -1
	s_mov_b32 s17, 0
	s_wait_loadcnt 0x0
	v_cvt_f64_u32_e32 v[34:35], v13
	v_cvt_f64_u32_e32 v[12:13], v12
	s_delay_alu instid0(VALU_DEP_2) | instskip(NEXT) | instid1(VALU_DEP_1)
	v_ldexp_f64 v[34:35], v[34:35], 32
	v_add_f64_e32 v[12:13], v[34:35], v[12:13]
	s_branch .LBB111_2307
.LBB111_2305:
	s_mov_b32 s9, -1
                                        ; implicit-def: $vgpr12_vgpr13
.LBB111_2306:
	s_mov_b32 s17, 0
.LBB111_2307:
	s_delay_alu instid0(SALU_CYCLE_1)
	s_and_b32 vcc_lo, exec_lo, s17
	s_cbranch_vccz .LBB111_2325
; %bb.2308:
	s_cmp_lt_i32 s8, 27
	s_cbranch_scc1 .LBB111_2311
; %bb.2309:
	s_cmp_gt_i32 s8, 27
	s_cbranch_scc0 .LBB111_2312
; %bb.2310:
	global_load_b32 v1, v[32:33], off
	s_mov_b32 s16, 0
	s_wait_loadcnt 0x0
	s_wait_xcnt 0x1
	v_cvt_f64_u32_e32 v[12:13], v1
	s_branch .LBB111_2313
.LBB111_2311:
	s_mov_b32 s16, -1
                                        ; implicit-def: $vgpr12_vgpr13
	s_branch .LBB111_2316
.LBB111_2312:
	s_mov_b32 s16, -1
                                        ; implicit-def: $vgpr12_vgpr13
.LBB111_2313:
	s_delay_alu instid0(SALU_CYCLE_1)
	s_and_not1_b32 vcc_lo, exec_lo, s16
	s_cbranch_vccnz .LBB111_2315
; %bb.2314:
	global_load_u16 v1, v[32:33], off
	s_wait_loadcnt 0x0
	s_wait_xcnt 0x1
	v_cvt_f64_u32_e32 v[12:13], v1
.LBB111_2315:
	s_mov_b32 s16, 0
.LBB111_2316:
	s_delay_alu instid0(SALU_CYCLE_1)
	s_and_not1_b32 vcc_lo, exec_lo, s16
	s_cbranch_vccnz .LBB111_2324
; %bb.2317:
	global_load_u8 v1, v[32:33], off
	s_mov_b32 s16, 0
	s_mov_b32 s17, exec_lo
	s_wait_loadcnt 0x0
	v_cmpx_lt_i16_e32 0x7f, v1
	s_xor_b32 s17, exec_lo, s17
	s_cbranch_execz .LBB111_2337
; %bb.2318:
	s_mov_b32 s16, -1
	s_mov_b32 s18, exec_lo
	v_cmpx_eq_u16_e32 0x80, v1
; %bb.2319:
	s_xor_b32 s16, exec_lo, -1
; %bb.2320:
	s_or_b32 exec_lo, exec_lo, s18
	s_delay_alu instid0(SALU_CYCLE_1)
	s_and_b32 s16, s16, exec_lo
	s_or_saveexec_b32 s17, s17
	v_mov_b64_e32 v[12:13], 0x7ff8000020000000
	s_xor_b32 exec_lo, exec_lo, s17
	s_cbranch_execnz .LBB111_2338
.LBB111_2321:
	s_or_b32 exec_lo, exec_lo, s17
	s_and_saveexec_b32 s17, s16
	s_cbranch_execz .LBB111_2323
.LBB111_2322:
	v_and_b32_e32 v3, 0xffff, v1
	s_delay_alu instid0(VALU_DEP_1) | instskip(SKIP_1) | instid1(VALU_DEP_2)
	v_dual_lshlrev_b32 v1, 24, v1 :: v_dual_bitop2_b32 v5, 7, v3 bitop3:0x40
	v_bfe_u32 v12, v3, 3, 4
	v_and_b32_e32 v1, 0x80000000, v1
	s_delay_alu instid0(VALU_DEP_3) | instskip(NEXT) | instid1(VALU_DEP_3)
	v_clz_i32_u32_e32 v7, v5
	v_cmp_eq_u32_e32 vcc_lo, 0, v12
	s_delay_alu instid0(VALU_DEP_2) | instskip(NEXT) | instid1(VALU_DEP_1)
	v_min_u32_e32 v7, 32, v7
	v_subrev_nc_u32_e32 v9, 28, v7
	v_sub_nc_u32_e32 v7, 29, v7
	s_delay_alu instid0(VALU_DEP_2) | instskip(NEXT) | instid1(VALU_DEP_2)
	v_lshlrev_b32_e32 v3, v9, v3
	v_cndmask_b32_e32 v7, v12, v7, vcc_lo
	s_delay_alu instid0(VALU_DEP_2) | instskip(NEXT) | instid1(VALU_DEP_1)
	v_and_b32_e32 v3, 7, v3
	v_cndmask_b32_e32 v3, v5, v3, vcc_lo
	s_delay_alu instid0(VALU_DEP_3) | instskip(NEXT) | instid1(VALU_DEP_2)
	v_lshl_add_u32 v5, v7, 23, 0x3b800000
	v_lshlrev_b32_e32 v3, 20, v3
	s_delay_alu instid0(VALU_DEP_1) | instskip(NEXT) | instid1(VALU_DEP_1)
	v_or3_b32 v1, v1, v5, v3
	v_cvt_f64_f32_e32 v[12:13], v1
.LBB111_2323:
	s_or_b32 exec_lo, exec_lo, s17
.LBB111_2324:
	s_mov_b32 s16, -1
.LBB111_2325:
	s_branch .LBB111_2358
.LBB111_2326:
	s_cmp_gt_i32 s8, 22
	s_cbranch_scc0 .LBB111_2336
; %bb.2327:
	s_cmp_lt_i32 s8, 24
	s_cbranch_scc1 .LBB111_2339
; %bb.2328:
	s_cmp_gt_i32 s8, 24
	s_cbranch_scc0 .LBB111_2340
; %bb.2329:
	global_load_u8 v1, v[32:33], off
	s_mov_b32 s16, exec_lo
	s_wait_loadcnt 0x0
	v_cmpx_lt_i16_e32 0x7f, v1
	s_xor_b32 s16, exec_lo, s16
	s_cbranch_execz .LBB111_2352
; %bb.2330:
	s_mov_b32 s15, -1
	s_mov_b32 s17, exec_lo
	v_cmpx_eq_u16_e32 0x80, v1
; %bb.2331:
	s_xor_b32 s15, exec_lo, -1
; %bb.2332:
	s_or_b32 exec_lo, exec_lo, s17
	s_delay_alu instid0(SALU_CYCLE_1)
	s_and_b32 s15, s15, exec_lo
	s_or_saveexec_b32 s16, s16
	v_mov_b64_e32 v[12:13], 0x7ff8000020000000
	s_xor_b32 exec_lo, exec_lo, s16
	s_cbranch_execnz .LBB111_2353
.LBB111_2333:
	s_or_b32 exec_lo, exec_lo, s16
	s_and_saveexec_b32 s16, s15
	s_cbranch_execz .LBB111_2335
.LBB111_2334:
	v_and_b32_e32 v3, 0xffff, v1
	s_delay_alu instid0(VALU_DEP_1) | instskip(SKIP_1) | instid1(VALU_DEP_2)
	v_dual_lshlrev_b32 v1, 24, v1 :: v_dual_bitop2_b32 v5, 3, v3 bitop3:0x40
	v_bfe_u32 v12, v3, 2, 5
	v_and_b32_e32 v1, 0x80000000, v1
	s_delay_alu instid0(VALU_DEP_3) | instskip(NEXT) | instid1(VALU_DEP_3)
	v_clz_i32_u32_e32 v7, v5
	v_cmp_eq_u32_e32 vcc_lo, 0, v12
	s_delay_alu instid0(VALU_DEP_2) | instskip(NEXT) | instid1(VALU_DEP_1)
	v_min_u32_e32 v7, 32, v7
	v_subrev_nc_u32_e32 v9, 29, v7
	v_sub_nc_u32_e32 v7, 30, v7
	s_delay_alu instid0(VALU_DEP_2) | instskip(NEXT) | instid1(VALU_DEP_2)
	v_lshlrev_b32_e32 v3, v9, v3
	v_cndmask_b32_e32 v7, v12, v7, vcc_lo
	s_delay_alu instid0(VALU_DEP_2) | instskip(NEXT) | instid1(VALU_DEP_1)
	v_and_b32_e32 v3, 3, v3
	v_cndmask_b32_e32 v3, v5, v3, vcc_lo
	s_delay_alu instid0(VALU_DEP_3) | instskip(NEXT) | instid1(VALU_DEP_2)
	v_lshl_add_u32 v5, v7, 23, 0x37800000
	v_lshlrev_b32_e32 v3, 21, v3
	s_delay_alu instid0(VALU_DEP_1) | instskip(NEXT) | instid1(VALU_DEP_1)
	v_or3_b32 v1, v1, v5, v3
	v_cvt_f64_f32_e32 v[12:13], v1
.LBB111_2335:
	s_or_b32 exec_lo, exec_lo, s16
	s_mov_b32 s15, 0
	s_branch .LBB111_2341
.LBB111_2336:
	s_mov_b32 s15, -1
                                        ; implicit-def: $vgpr12_vgpr13
	s_branch .LBB111_2347
.LBB111_2337:
	s_or_saveexec_b32 s17, s17
	v_mov_b64_e32 v[12:13], 0x7ff8000020000000
	s_xor_b32 exec_lo, exec_lo, s17
	s_cbranch_execz .LBB111_2321
.LBB111_2338:
	v_cmp_ne_u16_e32 vcc_lo, 0, v1
	v_mov_b64_e32 v[12:13], 0
	s_and_not1_b32 s16, s16, exec_lo
	s_and_b32 s18, vcc_lo, exec_lo
	s_delay_alu instid0(SALU_CYCLE_1)
	s_or_b32 s16, s16, s18
	s_or_b32 exec_lo, exec_lo, s17
	s_and_saveexec_b32 s17, s16
	s_cbranch_execnz .LBB111_2322
	s_branch .LBB111_2323
.LBB111_2339:
	s_mov_b32 s15, -1
                                        ; implicit-def: $vgpr12_vgpr13
	s_branch .LBB111_2344
.LBB111_2340:
	s_mov_b32 s15, -1
                                        ; implicit-def: $vgpr12_vgpr13
.LBB111_2341:
	s_delay_alu instid0(SALU_CYCLE_1)
	s_and_b32 vcc_lo, exec_lo, s15
	s_cbranch_vccz .LBB111_2343
; %bb.2342:
	global_load_u8 v1, v[32:33], off
	s_wait_loadcnt 0x0
	v_lshlrev_b32_e32 v1, 24, v1
	s_delay_alu instid0(VALU_DEP_1) | instskip(NEXT) | instid1(VALU_DEP_1)
	v_and_b32_e32 v3, 0x7f000000, v1
	v_clz_i32_u32_e32 v5, v3
	v_add_nc_u32_e32 v9, 0x1000000, v3
	v_cmp_ne_u32_e32 vcc_lo, 0, v3
	s_delay_alu instid0(VALU_DEP_3) | instskip(NEXT) | instid1(VALU_DEP_1)
	v_min_u32_e32 v5, 32, v5
	v_sub_nc_u32_e64 v5, v5, 4 clamp
	s_delay_alu instid0(VALU_DEP_1) | instskip(NEXT) | instid1(VALU_DEP_1)
	v_dual_lshlrev_b32 v7, v5, v3 :: v_dual_lshlrev_b32 v5, 23, v5
	v_lshrrev_b32_e32 v7, 4, v7
	s_delay_alu instid0(VALU_DEP_1) | instskip(SKIP_1) | instid1(VALU_DEP_2)
	v_sub_nc_u32_e32 v5, v7, v5
	v_ashrrev_i32_e32 v7, 8, v9
	v_add_nc_u32_e32 v5, 0x3c000000, v5
	s_delay_alu instid0(VALU_DEP_1) | instskip(NEXT) | instid1(VALU_DEP_1)
	v_and_or_b32 v5, 0x7f800000, v7, v5
	v_cndmask_b32_e32 v3, 0, v5, vcc_lo
	s_delay_alu instid0(VALU_DEP_1) | instskip(SKIP_1) | instid1(VALU_DEP_1)
	v_and_or_b32 v1, 0x80000000, v1, v3
	s_wait_xcnt 0x1
	v_cvt_f64_f32_e32 v[12:13], v1
.LBB111_2343:
	s_mov_b32 s15, 0
.LBB111_2344:
	s_delay_alu instid0(SALU_CYCLE_1)
	s_and_not1_b32 vcc_lo, exec_lo, s15
	s_cbranch_vccnz .LBB111_2346
; %bb.2345:
	global_load_u8 v1, v[32:33], off
	s_wait_loadcnt 0x0
	v_lshlrev_b32_e32 v3, 25, v1
	v_lshlrev_b16 v1, 8, v1
	s_delay_alu instid0(VALU_DEP_1) | instskip(SKIP_1) | instid1(VALU_DEP_2)
	v_and_or_b32 v7, 0x7f00, v1, 0.5
	v_bfe_i32 v1, v1, 0, 16
	v_add_f32_e32 v7, -0.5, v7
	v_lshrrev_b32_e32 v5, 4, v3
	v_cmp_gt_u32_e32 vcc_lo, 0x8000000, v3
	s_delay_alu instid0(VALU_DEP_2) | instskip(NEXT) | instid1(VALU_DEP_1)
	v_or_b32_e32 v5, 0x70000000, v5
	v_mul_f32_e32 v5, 0x7800000, v5
	s_delay_alu instid0(VALU_DEP_1) | instskip(NEXT) | instid1(VALU_DEP_1)
	v_cndmask_b32_e32 v3, v5, v7, vcc_lo
	v_and_or_b32 v1, 0x80000000, v1, v3
	s_wait_xcnt 0x1
	s_delay_alu instid0(VALU_DEP_1)
	v_cvt_f64_f32_e32 v[12:13], v1
.LBB111_2346:
	s_mov_b32 s15, 0
	s_mov_b32 s16, -1
.LBB111_2347:
	s_and_not1_b32 vcc_lo, exec_lo, s15
	s_mov_b32 s15, 0
	s_cbranch_vccnz .LBB111_2358
; %bb.2348:
	s_cmp_gt_i32 s8, 14
	s_cbranch_scc0 .LBB111_2351
; %bb.2349:
	s_cmp_eq_u32 s8, 15
	s_cbranch_scc0 .LBB111_2354
; %bb.2350:
	global_load_u16 v1, v[32:33], off
	s_mov_b32 s9, 0
	s_mov_b32 s16, -1
	s_wait_loadcnt 0x0
	v_lshlrev_b32_e32 v1, 16, v1
	s_wait_xcnt 0x1
	s_delay_alu instid0(VALU_DEP_1)
	v_cvt_f64_f32_e32 v[12:13], v1
	s_branch .LBB111_2356
.LBB111_2351:
	s_mov_b32 s15, -1
	s_branch .LBB111_2355
.LBB111_2352:
	s_or_saveexec_b32 s16, s16
	v_mov_b64_e32 v[12:13], 0x7ff8000020000000
	s_xor_b32 exec_lo, exec_lo, s16
	s_cbranch_execz .LBB111_2333
.LBB111_2353:
	v_cmp_ne_u16_e32 vcc_lo, 0, v1
	v_mov_b64_e32 v[12:13], 0
	s_and_not1_b32 s15, s15, exec_lo
	s_and_b32 s17, vcc_lo, exec_lo
	s_delay_alu instid0(SALU_CYCLE_1)
	s_or_b32 s15, s15, s17
	s_or_b32 exec_lo, exec_lo, s16
	s_and_saveexec_b32 s16, s15
	s_cbranch_execnz .LBB111_2334
	s_branch .LBB111_2335
.LBB111_2354:
	s_mov_b32 s9, -1
.LBB111_2355:
                                        ; implicit-def: $vgpr12_vgpr13
.LBB111_2356:
	s_and_b32 vcc_lo, exec_lo, s15
	s_mov_b32 s15, 0
	s_cbranch_vccz .LBB111_2358
; %bb.2357:
	s_cmp_lg_u32 s8, 11
	s_mov_b32 s15, -1
	s_cselect_b32 s9, -1, 0
.LBB111_2358:
	s_delay_alu instid0(SALU_CYCLE_1)
	s_and_b32 vcc_lo, exec_lo, s9
	s_cbranch_vccnz .LBB111_2421
; %bb.2359:
	s_and_not1_b32 vcc_lo, exec_lo, s15
	s_cbranch_vccnz .LBB111_2361
.LBB111_2360:
	global_load_u8 v1, v[32:33], off
	v_mov_b32_e32 v12, 0
	s_mov_b32 s16, -1
	s_wait_loadcnt 0x0
	v_cmp_ne_u16_e32 vcc_lo, 0, v1
	s_wait_xcnt 0x1
	v_cndmask_b32_e64 v13, 0, 0x3ff00000, vcc_lo
.LBB111_2361:
	s_branch .LBB111_2287
.LBB111_2362:
	s_and_b32 s8, 0xffff, s11
	s_delay_alu instid0(SALU_CYCLE_1)
	s_cmp_lt_i32 s8, 5
	s_cbranch_scc1 .LBB111_2367
; %bb.2363:
	s_cmp_lt_i32 s8, 8
	s_cbranch_scc1 .LBB111_2368
; %bb.2364:
	;; [unrolled: 3-line block ×3, first 2 shown]
	s_cmp_gt_i32 s8, 9
	s_cbranch_scc0 .LBB111_2370
; %bb.2366:
	global_load_b64 v[12:13], v[32:33], off
	s_mov_b32 s9, 0
	s_branch .LBB111_2371
.LBB111_2367:
                                        ; implicit-def: $vgpr12_vgpr13
	s_branch .LBB111_2389
.LBB111_2368:
	s_mov_b32 s9, -1
                                        ; implicit-def: $vgpr12_vgpr13
	s_branch .LBB111_2377
.LBB111_2369:
	s_mov_b32 s9, -1
                                        ; implicit-def: $vgpr12_vgpr13
	s_branch .LBB111_2374
.LBB111_2370:
	s_mov_b32 s9, -1
                                        ; implicit-def: $vgpr12_vgpr13
.LBB111_2371:
	s_delay_alu instid0(SALU_CYCLE_1)
	s_and_not1_b32 vcc_lo, exec_lo, s9
	s_cbranch_vccnz .LBB111_2373
; %bb.2372:
	global_load_b32 v1, v[32:33], off
	s_wait_loadcnt 0x0
	s_wait_xcnt 0x1
	v_cvt_f64_f32_e32 v[12:13], v1
.LBB111_2373:
	s_mov_b32 s9, 0
.LBB111_2374:
	s_delay_alu instid0(SALU_CYCLE_1)
	s_and_not1_b32 vcc_lo, exec_lo, s9
	s_cbranch_vccnz .LBB111_2376
; %bb.2375:
	global_load_b32 v1, v[32:33], off
	s_wait_loadcnt 0x0
	v_cvt_f32_f16_e32 v1, v1
	s_wait_xcnt 0x1
	s_delay_alu instid0(VALU_DEP_1)
	v_cvt_f64_f32_e32 v[12:13], v1
.LBB111_2376:
	s_mov_b32 s9, 0
.LBB111_2377:
	s_delay_alu instid0(SALU_CYCLE_1)
	s_and_not1_b32 vcc_lo, exec_lo, s9
	s_cbranch_vccnz .LBB111_2388
; %bb.2378:
	s_cmp_lt_i32 s8, 6
	s_cbranch_scc1 .LBB111_2381
; %bb.2379:
	s_cmp_gt_i32 s8, 6
	s_cbranch_scc0 .LBB111_2382
; %bb.2380:
	s_wait_loadcnt 0x0
	global_load_b64 v[12:13], v[32:33], off
	s_mov_b32 s9, 0
	s_branch .LBB111_2383
.LBB111_2381:
	s_mov_b32 s9, -1
                                        ; implicit-def: $vgpr12_vgpr13
	s_branch .LBB111_2386
.LBB111_2382:
	s_mov_b32 s9, -1
                                        ; implicit-def: $vgpr12_vgpr13
.LBB111_2383:
	s_delay_alu instid0(SALU_CYCLE_1)
	s_and_not1_b32 vcc_lo, exec_lo, s9
	s_cbranch_vccnz .LBB111_2385
; %bb.2384:
	global_load_b32 v1, v[32:33], off
	s_wait_loadcnt 0x0
	s_wait_xcnt 0x1
	v_cvt_f64_f32_e32 v[12:13], v1
.LBB111_2385:
	s_mov_b32 s9, 0
.LBB111_2386:
	s_delay_alu instid0(SALU_CYCLE_1)
	s_and_not1_b32 vcc_lo, exec_lo, s9
	s_cbranch_vccnz .LBB111_2388
; %bb.2387:
	global_load_u16 v1, v[32:33], off
	s_wait_loadcnt 0x0
	v_cvt_f32_f16_e32 v1, v1
	s_wait_xcnt 0x1
	s_delay_alu instid0(VALU_DEP_1)
	v_cvt_f64_f32_e32 v[12:13], v1
.LBB111_2388:
	s_cbranch_execnz .LBB111_2408
.LBB111_2389:
	s_cmp_lt_i32 s8, 2
	s_cbranch_scc1 .LBB111_2393
; %bb.2390:
	s_cmp_lt_i32 s8, 3
	s_cbranch_scc1 .LBB111_2394
; %bb.2391:
	s_cmp_gt_i32 s8, 3
	s_cbranch_scc0 .LBB111_2395
; %bb.2392:
	s_wait_loadcnt 0x0
	global_load_b64 v[12:13], v[32:33], off
	s_mov_b32 s9, 0
	s_wait_loadcnt 0x0
	v_cvt_f64_i32_e32 v[34:35], v13
	v_cvt_f64_u32_e32 v[12:13], v12
	s_delay_alu instid0(VALU_DEP_2) | instskip(NEXT) | instid1(VALU_DEP_1)
	v_ldexp_f64 v[34:35], v[34:35], 32
	v_add_f64_e32 v[12:13], v[34:35], v[12:13]
	s_branch .LBB111_2396
.LBB111_2393:
	s_mov_b32 s9, -1
                                        ; implicit-def: $vgpr12_vgpr13
	s_branch .LBB111_2402
.LBB111_2394:
	s_mov_b32 s9, -1
                                        ; implicit-def: $vgpr12_vgpr13
	s_branch .LBB111_2399
.LBB111_2395:
	s_mov_b32 s9, -1
                                        ; implicit-def: $vgpr12_vgpr13
.LBB111_2396:
	s_delay_alu instid0(SALU_CYCLE_1)
	s_and_not1_b32 vcc_lo, exec_lo, s9
	s_cbranch_vccnz .LBB111_2398
; %bb.2397:
	global_load_b32 v1, v[32:33], off
	s_wait_loadcnt 0x0
	s_wait_xcnt 0x1
	v_cvt_f64_i32_e32 v[12:13], v1
.LBB111_2398:
	s_mov_b32 s9, 0
.LBB111_2399:
	s_delay_alu instid0(SALU_CYCLE_1)
	s_and_not1_b32 vcc_lo, exec_lo, s9
	s_cbranch_vccnz .LBB111_2401
; %bb.2400:
	global_load_i16 v1, v[32:33], off
	s_wait_loadcnt 0x0
	s_wait_xcnt 0x1
	v_cvt_f64_i32_e32 v[12:13], v1
.LBB111_2401:
	s_mov_b32 s9, 0
.LBB111_2402:
	s_delay_alu instid0(SALU_CYCLE_1)
	s_and_not1_b32 vcc_lo, exec_lo, s9
	s_cbranch_vccnz .LBB111_2408
; %bb.2403:
	s_cmp_gt_i32 s8, 0
	s_mov_b32 s8, 0
	s_cbranch_scc0 .LBB111_2405
; %bb.2404:
	global_load_i8 v1, v[32:33], off
	s_wait_loadcnt 0x0
	s_wait_xcnt 0x1
	v_cvt_f64_i32_e32 v[12:13], v1
	s_branch .LBB111_2406
.LBB111_2405:
	s_mov_b32 s8, -1
                                        ; implicit-def: $vgpr12_vgpr13
.LBB111_2406:
	s_delay_alu instid0(SALU_CYCLE_1)
	s_and_not1_b32 vcc_lo, exec_lo, s8
	s_cbranch_vccnz .LBB111_2408
; %bb.2407:
	global_load_u8 v1, v[32:33], off
	s_wait_loadcnt 0x0
	s_wait_xcnt 0x1
	v_cvt_f64_u32_e32 v[12:13], v1
.LBB111_2408:
.LBB111_2409:
	v_mov_b32_e32 v19, 0
	s_load_b64 s[8:9], s[2:3], 0x1e0
	global_load_u8 v1, v19, s[2:3] offset:507
	s_wait_kmcnt 0x0
	v_add_nc_u64_e32 v[32:33], s[8:9], v[18:19]
	s_wait_loadcnt 0x0
	v_and_b32_e32 v3, 0xffff, v1
	v_readfirstlane_b32 s15, v1
	s_delay_alu instid0(VALU_DEP_2)
	v_cmp_gt_i32_e32 vcc_lo, 11, v3
	s_cbranch_vccnz .LBB111_2416
; %bb.2410:
	s_and_b32 s16, 0xffff, s15
	s_mov_b32 s18, 0
	s_cmp_gt_i32 s16, 25
	s_cbranch_scc0 .LBB111_2418
; %bb.2411:
	s_cmp_gt_i32 s16, 28
	s_cbranch_scc0 .LBB111_2419
; %bb.2412:
	;; [unrolled: 3-line block ×4, first 2 shown]
	s_cmp_eq_u32 s16, 46
	s_mov_b32 s20, 0
	s_cbranch_scc0 .LBB111_2423
; %bb.2415:
	global_load_b32 v1, v[32:33], off
	s_mov_b32 s17, 0
	s_mov_b32 s19, -1
	s_wait_loadcnt 0x0
	v_lshlrev_b32_e32 v1, 16, v1
	s_wait_xcnt 0x1
	s_delay_alu instid0(VALU_DEP_1)
	v_cvt_f64_f32_e32 v[18:19], v1
	s_branch .LBB111_2425
.LBB111_2416:
	s_mov_b32 s19, 0
                                        ; implicit-def: $vgpr18_vgpr19
	s_cbranch_execnz .LBB111_2491
.LBB111_2417:
	s_and_not1_b32 vcc_lo, exec_lo, s19
	s_cbranch_vccnz .LBB111_4155
	s_branch .LBB111_2539
.LBB111_2418:
	s_mov_b32 s20, -1
	s_mov_b32 s19, 0
	s_mov_b32 s17, 0
                                        ; implicit-def: $vgpr18_vgpr19
	s_branch .LBB111_2454
.LBB111_2419:
	s_mov_b32 s20, -1
	s_mov_b32 s19, 0
	s_mov_b32 s17, 0
                                        ; implicit-def: $vgpr18_vgpr19
	s_branch .LBB111_2435
.LBB111_2420:
	s_mov_b32 s20, -1
	s_mov_b32 s19, 0
	s_mov_b32 s17, 0
                                        ; implicit-def: $vgpr18_vgpr19
	s_branch .LBB111_2430
.LBB111_2421:
	s_or_b32 s14, s14, exec_lo
	s_trap 2
	s_cbranch_execz .LBB111_2360
	s_branch .LBB111_2361
.LBB111_2422:
	s_mov_b32 s20, -1
	s_mov_b32 s19, 0
	s_mov_b32 s17, 0
	s_branch .LBB111_2424
.LBB111_2423:
	s_mov_b32 s17, -1
	s_mov_b32 s19, 0
.LBB111_2424:
                                        ; implicit-def: $vgpr18_vgpr19
.LBB111_2425:
	s_and_b32 vcc_lo, exec_lo, s20
	s_cbranch_vccz .LBB111_2429
; %bb.2426:
	s_cmp_eq_u32 s16, 44
	s_cbranch_scc0 .LBB111_2428
; %bb.2427:
	global_load_u8 v1, v[32:33], off
	s_mov_b32 s17, 0
	s_mov_b32 s19, -1
	s_wait_loadcnt 0x0
	v_lshlrev_b32_e32 v3, 23, v1
	v_cmp_ne_u32_e32 vcc_lo, 0xff, v1
	s_wait_xcnt 0x1
	s_delay_alu instid0(VALU_DEP_2) | instskip(NEXT) | instid1(VALU_DEP_1)
	v_cvt_f64_f32_e32 v[18:19], v3
	v_cndmask_b32_e32 v3, 0x20000000, v18, vcc_lo
	s_delay_alu instid0(VALU_DEP_2) | instskip(SKIP_1) | instid1(VALU_DEP_2)
	v_cndmask_b32_e32 v5, 0x7ff80000, v19, vcc_lo
	v_cmp_ne_u32_e32 vcc_lo, 0, v1
	v_cndmask_b32_e32 v19, 0x38000000, v5, vcc_lo
	s_delay_alu instid0(VALU_DEP_4)
	v_cndmask_b32_e32 v18, 0, v3, vcc_lo
	s_branch .LBB111_2429
.LBB111_2428:
	s_mov_b32 s17, -1
                                        ; implicit-def: $vgpr18_vgpr19
.LBB111_2429:
	s_mov_b32 s20, 0
.LBB111_2430:
	s_delay_alu instid0(SALU_CYCLE_1)
	s_and_b32 vcc_lo, exec_lo, s20
	s_cbranch_vccz .LBB111_2434
; %bb.2431:
	s_cmp_eq_u32 s16, 29
	s_cbranch_scc0 .LBB111_2433
; %bb.2432:
	global_load_b64 v[18:19], v[32:33], off
	s_mov_b32 s17, 0
	s_mov_b32 s19, -1
	s_mov_b32 s20, 0
	s_wait_loadcnt 0x0
	v_cvt_f64_u32_e32 v[34:35], v19
	v_cvt_f64_u32_e32 v[18:19], v18
	s_delay_alu instid0(VALU_DEP_2) | instskip(NEXT) | instid1(VALU_DEP_1)
	v_ldexp_f64 v[34:35], v[34:35], 32
	v_add_f64_e32 v[18:19], v[34:35], v[18:19]
	s_branch .LBB111_2435
.LBB111_2433:
	s_mov_b32 s17, -1
                                        ; implicit-def: $vgpr18_vgpr19
.LBB111_2434:
	s_mov_b32 s20, 0
.LBB111_2435:
	s_delay_alu instid0(SALU_CYCLE_1)
	s_and_b32 vcc_lo, exec_lo, s20
	s_cbranch_vccz .LBB111_2453
; %bb.2436:
	s_cmp_lt_i32 s16, 27
	s_cbranch_scc1 .LBB111_2439
; %bb.2437:
	s_cmp_gt_i32 s16, 27
	s_cbranch_scc0 .LBB111_2440
; %bb.2438:
	global_load_b32 v1, v[32:33], off
	s_mov_b32 s19, 0
	s_wait_loadcnt 0x0
	s_wait_xcnt 0x1
	v_cvt_f64_u32_e32 v[18:19], v1
	s_branch .LBB111_2441
.LBB111_2439:
	s_mov_b32 s19, -1
                                        ; implicit-def: $vgpr18_vgpr19
	s_branch .LBB111_2444
.LBB111_2440:
	s_mov_b32 s19, -1
                                        ; implicit-def: $vgpr18_vgpr19
.LBB111_2441:
	s_delay_alu instid0(SALU_CYCLE_1)
	s_and_not1_b32 vcc_lo, exec_lo, s19
	s_cbranch_vccnz .LBB111_2443
; %bb.2442:
	global_load_u16 v1, v[32:33], off
	s_wait_loadcnt 0x0
	s_wait_xcnt 0x1
	v_cvt_f64_u32_e32 v[18:19], v1
.LBB111_2443:
	s_mov_b32 s19, 0
.LBB111_2444:
	s_delay_alu instid0(SALU_CYCLE_1)
	s_and_not1_b32 vcc_lo, exec_lo, s19
	s_cbranch_vccnz .LBB111_2452
; %bb.2445:
	global_load_u8 v1, v[32:33], off
	s_mov_b32 s19, 0
	s_mov_b32 s20, exec_lo
	s_wait_loadcnt 0x0
	v_cmpx_lt_i16_e32 0x7f, v1
	s_xor_b32 s20, exec_lo, s20
	s_cbranch_execz .LBB111_2466
; %bb.2446:
	s_mov_b32 s19, -1
	s_mov_b32 s21, exec_lo
	v_cmpx_eq_u16_e32 0x80, v1
; %bb.2447:
	s_xor_b32 s19, exec_lo, -1
; %bb.2448:
	s_or_b32 exec_lo, exec_lo, s21
	s_delay_alu instid0(SALU_CYCLE_1)
	s_and_b32 s19, s19, exec_lo
	s_or_saveexec_b32 s20, s20
	v_mov_b64_e32 v[18:19], 0x7ff8000020000000
	s_xor_b32 exec_lo, exec_lo, s20
	s_cbranch_execnz .LBB111_2467
.LBB111_2449:
	s_or_b32 exec_lo, exec_lo, s20
	s_and_saveexec_b32 s20, s19
	s_cbranch_execz .LBB111_2451
.LBB111_2450:
	v_and_b32_e32 v3, 0xffff, v1
	s_delay_alu instid0(VALU_DEP_1) | instskip(SKIP_1) | instid1(VALU_DEP_2)
	v_dual_lshlrev_b32 v1, 24, v1 :: v_dual_bitop2_b32 v5, 7, v3 bitop3:0x40
	v_bfe_u32 v15, v3, 3, 4
	v_and_b32_e32 v1, 0x80000000, v1
	s_delay_alu instid0(VALU_DEP_3) | instskip(NEXT) | instid1(VALU_DEP_3)
	v_clz_i32_u32_e32 v7, v5
	v_cmp_eq_u32_e32 vcc_lo, 0, v15
	s_delay_alu instid0(VALU_DEP_2) | instskip(NEXT) | instid1(VALU_DEP_1)
	v_min_u32_e32 v7, 32, v7
	v_subrev_nc_u32_e32 v9, 28, v7
	v_sub_nc_u32_e32 v7, 29, v7
	s_delay_alu instid0(VALU_DEP_2) | instskip(NEXT) | instid1(VALU_DEP_2)
	v_lshlrev_b32_e32 v3, v9, v3
	v_cndmask_b32_e32 v7, v15, v7, vcc_lo
	s_delay_alu instid0(VALU_DEP_2) | instskip(NEXT) | instid1(VALU_DEP_1)
	v_and_b32_e32 v3, 7, v3
	v_cndmask_b32_e32 v3, v5, v3, vcc_lo
	s_delay_alu instid0(VALU_DEP_3) | instskip(NEXT) | instid1(VALU_DEP_2)
	v_lshl_add_u32 v5, v7, 23, 0x3b800000
	v_lshlrev_b32_e32 v3, 20, v3
	s_delay_alu instid0(VALU_DEP_1) | instskip(NEXT) | instid1(VALU_DEP_1)
	v_or3_b32 v1, v1, v5, v3
	v_cvt_f64_f32_e32 v[18:19], v1
.LBB111_2451:
	s_or_b32 exec_lo, exec_lo, s20
.LBB111_2452:
	s_mov_b32 s19, -1
.LBB111_2453:
	s_mov_b32 s20, 0
.LBB111_2454:
	s_delay_alu instid0(SALU_CYCLE_1)
	s_and_b32 vcc_lo, exec_lo, s20
	s_cbranch_vccz .LBB111_2487
; %bb.2455:
	s_cmp_gt_i32 s16, 22
	s_cbranch_scc0 .LBB111_2465
; %bb.2456:
	s_cmp_lt_i32 s16, 24
	s_cbranch_scc1 .LBB111_2468
; %bb.2457:
	s_cmp_gt_i32 s16, 24
	s_cbranch_scc0 .LBB111_2469
; %bb.2458:
	global_load_u8 v1, v[32:33], off
	s_mov_b32 s19, exec_lo
	s_wait_loadcnt 0x0
	v_cmpx_lt_i16_e32 0x7f, v1
	s_xor_b32 s19, exec_lo, s19
	s_cbranch_execz .LBB111_2481
; %bb.2459:
	s_mov_b32 s18, -1
	s_mov_b32 s20, exec_lo
	v_cmpx_eq_u16_e32 0x80, v1
; %bb.2460:
	s_xor_b32 s18, exec_lo, -1
; %bb.2461:
	s_or_b32 exec_lo, exec_lo, s20
	s_delay_alu instid0(SALU_CYCLE_1)
	s_and_b32 s18, s18, exec_lo
	s_or_saveexec_b32 s19, s19
	v_mov_b64_e32 v[18:19], 0x7ff8000020000000
	s_xor_b32 exec_lo, exec_lo, s19
	s_cbranch_execnz .LBB111_2482
.LBB111_2462:
	s_or_b32 exec_lo, exec_lo, s19
	s_and_saveexec_b32 s19, s18
	s_cbranch_execz .LBB111_2464
.LBB111_2463:
	v_and_b32_e32 v3, 0xffff, v1
	s_delay_alu instid0(VALU_DEP_1) | instskip(SKIP_1) | instid1(VALU_DEP_2)
	v_dual_lshlrev_b32 v1, 24, v1 :: v_dual_bitop2_b32 v5, 3, v3 bitop3:0x40
	v_bfe_u32 v15, v3, 2, 5
	v_and_b32_e32 v1, 0x80000000, v1
	s_delay_alu instid0(VALU_DEP_3) | instskip(NEXT) | instid1(VALU_DEP_3)
	v_clz_i32_u32_e32 v7, v5
	v_cmp_eq_u32_e32 vcc_lo, 0, v15
	s_delay_alu instid0(VALU_DEP_2) | instskip(NEXT) | instid1(VALU_DEP_1)
	v_min_u32_e32 v7, 32, v7
	v_subrev_nc_u32_e32 v9, 29, v7
	v_sub_nc_u32_e32 v7, 30, v7
	s_delay_alu instid0(VALU_DEP_2) | instskip(NEXT) | instid1(VALU_DEP_2)
	v_lshlrev_b32_e32 v3, v9, v3
	v_cndmask_b32_e32 v7, v15, v7, vcc_lo
	s_delay_alu instid0(VALU_DEP_2) | instskip(NEXT) | instid1(VALU_DEP_1)
	v_and_b32_e32 v3, 3, v3
	v_cndmask_b32_e32 v3, v5, v3, vcc_lo
	s_delay_alu instid0(VALU_DEP_3) | instskip(NEXT) | instid1(VALU_DEP_2)
	v_lshl_add_u32 v5, v7, 23, 0x37800000
	v_lshlrev_b32_e32 v3, 21, v3
	s_delay_alu instid0(VALU_DEP_1) | instskip(NEXT) | instid1(VALU_DEP_1)
	v_or3_b32 v1, v1, v5, v3
	v_cvt_f64_f32_e32 v[18:19], v1
.LBB111_2464:
	s_or_b32 exec_lo, exec_lo, s19
	s_mov_b32 s18, 0
	s_branch .LBB111_2470
.LBB111_2465:
	s_mov_b32 s18, -1
                                        ; implicit-def: $vgpr18_vgpr19
	s_branch .LBB111_2476
.LBB111_2466:
	s_or_saveexec_b32 s20, s20
	v_mov_b64_e32 v[18:19], 0x7ff8000020000000
	s_xor_b32 exec_lo, exec_lo, s20
	s_cbranch_execz .LBB111_2449
.LBB111_2467:
	v_cmp_ne_u16_e32 vcc_lo, 0, v1
	v_mov_b64_e32 v[18:19], 0
	s_and_not1_b32 s19, s19, exec_lo
	s_and_b32 s21, vcc_lo, exec_lo
	s_delay_alu instid0(SALU_CYCLE_1)
	s_or_b32 s19, s19, s21
	s_or_b32 exec_lo, exec_lo, s20
	s_and_saveexec_b32 s20, s19
	s_cbranch_execnz .LBB111_2450
	s_branch .LBB111_2451
.LBB111_2468:
	s_mov_b32 s18, -1
                                        ; implicit-def: $vgpr18_vgpr19
	s_branch .LBB111_2473
.LBB111_2469:
	s_mov_b32 s18, -1
                                        ; implicit-def: $vgpr18_vgpr19
.LBB111_2470:
	s_delay_alu instid0(SALU_CYCLE_1)
	s_and_b32 vcc_lo, exec_lo, s18
	s_cbranch_vccz .LBB111_2472
; %bb.2471:
	global_load_u8 v1, v[32:33], off
	s_wait_loadcnt 0x0
	v_lshlrev_b32_e32 v1, 24, v1
	s_delay_alu instid0(VALU_DEP_1) | instskip(NEXT) | instid1(VALU_DEP_1)
	v_and_b32_e32 v3, 0x7f000000, v1
	v_clz_i32_u32_e32 v5, v3
	v_add_nc_u32_e32 v9, 0x1000000, v3
	v_cmp_ne_u32_e32 vcc_lo, 0, v3
	s_delay_alu instid0(VALU_DEP_3) | instskip(NEXT) | instid1(VALU_DEP_1)
	v_min_u32_e32 v5, 32, v5
	v_sub_nc_u32_e64 v5, v5, 4 clamp
	s_delay_alu instid0(VALU_DEP_1) | instskip(NEXT) | instid1(VALU_DEP_1)
	v_dual_lshlrev_b32 v7, v5, v3 :: v_dual_lshlrev_b32 v5, 23, v5
	v_lshrrev_b32_e32 v7, 4, v7
	s_delay_alu instid0(VALU_DEP_1) | instskip(SKIP_1) | instid1(VALU_DEP_2)
	v_sub_nc_u32_e32 v5, v7, v5
	v_ashrrev_i32_e32 v7, 8, v9
	v_add_nc_u32_e32 v5, 0x3c000000, v5
	s_delay_alu instid0(VALU_DEP_1) | instskip(NEXT) | instid1(VALU_DEP_1)
	v_and_or_b32 v5, 0x7f800000, v7, v5
	v_cndmask_b32_e32 v3, 0, v5, vcc_lo
	s_delay_alu instid0(VALU_DEP_1) | instskip(SKIP_1) | instid1(VALU_DEP_1)
	v_and_or_b32 v1, 0x80000000, v1, v3
	s_wait_xcnt 0x1
	v_cvt_f64_f32_e32 v[18:19], v1
.LBB111_2472:
	s_mov_b32 s18, 0
.LBB111_2473:
	s_delay_alu instid0(SALU_CYCLE_1)
	s_and_not1_b32 vcc_lo, exec_lo, s18
	s_cbranch_vccnz .LBB111_2475
; %bb.2474:
	global_load_u8 v1, v[32:33], off
	s_wait_loadcnt 0x0
	v_lshlrev_b32_e32 v3, 25, v1
	v_lshlrev_b16 v1, 8, v1
	s_delay_alu instid0(VALU_DEP_1) | instskip(SKIP_1) | instid1(VALU_DEP_2)
	v_and_or_b32 v7, 0x7f00, v1, 0.5
	v_bfe_i32 v1, v1, 0, 16
	v_add_f32_e32 v7, -0.5, v7
	v_lshrrev_b32_e32 v5, 4, v3
	v_cmp_gt_u32_e32 vcc_lo, 0x8000000, v3
	s_delay_alu instid0(VALU_DEP_2) | instskip(NEXT) | instid1(VALU_DEP_1)
	v_or_b32_e32 v5, 0x70000000, v5
	v_mul_f32_e32 v5, 0x7800000, v5
	s_delay_alu instid0(VALU_DEP_1) | instskip(NEXT) | instid1(VALU_DEP_1)
	v_cndmask_b32_e32 v3, v5, v7, vcc_lo
	v_and_or_b32 v1, 0x80000000, v1, v3
	s_wait_xcnt 0x1
	s_delay_alu instid0(VALU_DEP_1)
	v_cvt_f64_f32_e32 v[18:19], v1
.LBB111_2475:
	s_mov_b32 s18, 0
	s_mov_b32 s19, -1
.LBB111_2476:
	s_and_not1_b32 vcc_lo, exec_lo, s18
	s_mov_b32 s18, 0
	s_cbranch_vccnz .LBB111_2487
; %bb.2477:
	s_cmp_gt_i32 s16, 14
	s_cbranch_scc0 .LBB111_2480
; %bb.2478:
	s_cmp_eq_u32 s16, 15
	s_cbranch_scc0 .LBB111_2483
; %bb.2479:
	global_load_u16 v1, v[32:33], off
	s_mov_b32 s17, 0
	s_mov_b32 s19, -1
	s_wait_loadcnt 0x0
	v_lshlrev_b32_e32 v1, 16, v1
	s_wait_xcnt 0x1
	s_delay_alu instid0(VALU_DEP_1)
	v_cvt_f64_f32_e32 v[18:19], v1
	s_branch .LBB111_2485
.LBB111_2480:
	s_mov_b32 s18, -1
	s_branch .LBB111_2484
.LBB111_2481:
	s_or_saveexec_b32 s19, s19
	v_mov_b64_e32 v[18:19], 0x7ff8000020000000
	s_xor_b32 exec_lo, exec_lo, s19
	s_cbranch_execz .LBB111_2462
.LBB111_2482:
	v_cmp_ne_u16_e32 vcc_lo, 0, v1
	v_mov_b64_e32 v[18:19], 0
	s_and_not1_b32 s18, s18, exec_lo
	s_and_b32 s20, vcc_lo, exec_lo
	s_delay_alu instid0(SALU_CYCLE_1)
	s_or_b32 s18, s18, s20
	s_or_b32 exec_lo, exec_lo, s19
	s_and_saveexec_b32 s19, s18
	s_cbranch_execnz .LBB111_2463
	s_branch .LBB111_2464
.LBB111_2483:
	s_mov_b32 s17, -1
.LBB111_2484:
                                        ; implicit-def: $vgpr18_vgpr19
.LBB111_2485:
	s_and_b32 vcc_lo, exec_lo, s18
	s_mov_b32 s18, 0
	s_cbranch_vccz .LBB111_2487
; %bb.2486:
	s_cmp_lg_u32 s16, 11
	s_mov_b32 s18, -1
	s_cselect_b32 s17, -1, 0
.LBB111_2487:
	s_delay_alu instid0(SALU_CYCLE_1)
	s_and_b32 vcc_lo, exec_lo, s17
	s_cbranch_vccnz .LBB111_2550
; %bb.2488:
	s_and_not1_b32 vcc_lo, exec_lo, s18
	s_cbranch_vccnz .LBB111_2490
.LBB111_2489:
	global_load_u8 v1, v[32:33], off
	v_mov_b32_e32 v18, 0
	s_mov_b32 s19, -1
	s_wait_loadcnt 0x0
	v_cmp_ne_u16_e32 vcc_lo, 0, v1
	s_wait_xcnt 0x1
	v_cndmask_b32_e64 v19, 0, 0x3ff00000, vcc_lo
.LBB111_2490:
	s_branch .LBB111_2417
.LBB111_2491:
	s_and_b32 s16, 0xffff, s15
	s_delay_alu instid0(SALU_CYCLE_1)
	s_cmp_lt_i32 s16, 5
	s_cbranch_scc1 .LBB111_2496
; %bb.2492:
	s_cmp_lt_i32 s16, 8
	s_cbranch_scc1 .LBB111_2497
; %bb.2493:
	;; [unrolled: 3-line block ×3, first 2 shown]
	s_cmp_gt_i32 s16, 9
	s_cbranch_scc0 .LBB111_2499
; %bb.2495:
	global_load_b64 v[18:19], v[32:33], off
	s_mov_b32 s17, 0
	s_branch .LBB111_2500
.LBB111_2496:
	s_mov_b32 s17, -1
                                        ; implicit-def: $vgpr18_vgpr19
	s_branch .LBB111_2518
.LBB111_2497:
	s_mov_b32 s17, -1
                                        ; implicit-def: $vgpr18_vgpr19
	s_branch .LBB111_2506
.LBB111_2498:
	s_mov_b32 s17, -1
                                        ; implicit-def: $vgpr18_vgpr19
	s_branch .LBB111_2503
.LBB111_2499:
	s_mov_b32 s17, -1
                                        ; implicit-def: $vgpr18_vgpr19
.LBB111_2500:
	s_delay_alu instid0(SALU_CYCLE_1)
	s_and_not1_b32 vcc_lo, exec_lo, s17
	s_cbranch_vccnz .LBB111_2502
; %bb.2501:
	global_load_b32 v1, v[32:33], off
	s_wait_loadcnt 0x0
	s_wait_xcnt 0x1
	v_cvt_f64_f32_e32 v[18:19], v1
.LBB111_2502:
	s_mov_b32 s17, 0
.LBB111_2503:
	s_delay_alu instid0(SALU_CYCLE_1)
	s_and_not1_b32 vcc_lo, exec_lo, s17
	s_cbranch_vccnz .LBB111_2505
; %bb.2504:
	global_load_b32 v1, v[32:33], off
	s_wait_loadcnt 0x0
	v_cvt_f32_f16_e32 v1, v1
	s_wait_xcnt 0x1
	s_delay_alu instid0(VALU_DEP_1)
	v_cvt_f64_f32_e32 v[18:19], v1
.LBB111_2505:
	s_mov_b32 s17, 0
.LBB111_2506:
	s_delay_alu instid0(SALU_CYCLE_1)
	s_and_not1_b32 vcc_lo, exec_lo, s17
	s_cbranch_vccnz .LBB111_2517
; %bb.2507:
	s_cmp_lt_i32 s16, 6
	s_cbranch_scc1 .LBB111_2510
; %bb.2508:
	s_cmp_gt_i32 s16, 6
	s_cbranch_scc0 .LBB111_2511
; %bb.2509:
	s_wait_loadcnt 0x0
	global_load_b64 v[18:19], v[32:33], off
	s_mov_b32 s17, 0
	s_branch .LBB111_2512
.LBB111_2510:
	s_mov_b32 s17, -1
                                        ; implicit-def: $vgpr18_vgpr19
	s_branch .LBB111_2515
.LBB111_2511:
	s_mov_b32 s17, -1
                                        ; implicit-def: $vgpr18_vgpr19
.LBB111_2512:
	s_delay_alu instid0(SALU_CYCLE_1)
	s_and_not1_b32 vcc_lo, exec_lo, s17
	s_cbranch_vccnz .LBB111_2514
; %bb.2513:
	global_load_b32 v1, v[32:33], off
	s_wait_loadcnt 0x0
	s_wait_xcnt 0x1
	v_cvt_f64_f32_e32 v[18:19], v1
.LBB111_2514:
	s_mov_b32 s17, 0
.LBB111_2515:
	s_delay_alu instid0(SALU_CYCLE_1)
	s_and_not1_b32 vcc_lo, exec_lo, s17
	s_cbranch_vccnz .LBB111_2517
; %bb.2516:
	global_load_u16 v1, v[32:33], off
	s_wait_loadcnt 0x0
	v_cvt_f32_f16_e32 v1, v1
	s_wait_xcnt 0x1
	s_delay_alu instid0(VALU_DEP_1)
	v_cvt_f64_f32_e32 v[18:19], v1
.LBB111_2517:
	s_mov_b32 s17, 0
.LBB111_2518:
	s_delay_alu instid0(SALU_CYCLE_1)
	s_and_not1_b32 vcc_lo, exec_lo, s17
	s_cbranch_vccnz .LBB111_2538
; %bb.2519:
	s_cmp_lt_i32 s16, 2
	s_cbranch_scc1 .LBB111_2523
; %bb.2520:
	s_cmp_lt_i32 s16, 3
	s_cbranch_scc1 .LBB111_2524
; %bb.2521:
	s_cmp_gt_i32 s16, 3
	s_cbranch_scc0 .LBB111_2525
; %bb.2522:
	s_wait_loadcnt 0x0
	global_load_b64 v[18:19], v[32:33], off
	s_mov_b32 s17, 0
	s_wait_loadcnt 0x0
	v_cvt_f64_i32_e32 v[34:35], v19
	v_cvt_f64_u32_e32 v[18:19], v18
	s_delay_alu instid0(VALU_DEP_2) | instskip(NEXT) | instid1(VALU_DEP_1)
	v_ldexp_f64 v[34:35], v[34:35], 32
	v_add_f64_e32 v[18:19], v[34:35], v[18:19]
	s_branch .LBB111_2526
.LBB111_2523:
	s_mov_b32 s17, -1
                                        ; implicit-def: $vgpr18_vgpr19
	s_branch .LBB111_2532
.LBB111_2524:
	s_mov_b32 s17, -1
                                        ; implicit-def: $vgpr18_vgpr19
	s_branch .LBB111_2529
.LBB111_2525:
	s_mov_b32 s17, -1
                                        ; implicit-def: $vgpr18_vgpr19
.LBB111_2526:
	s_delay_alu instid0(SALU_CYCLE_1)
	s_and_not1_b32 vcc_lo, exec_lo, s17
	s_cbranch_vccnz .LBB111_2528
; %bb.2527:
	global_load_b32 v1, v[32:33], off
	s_wait_loadcnt 0x0
	s_wait_xcnt 0x1
	v_cvt_f64_i32_e32 v[18:19], v1
.LBB111_2528:
	s_mov_b32 s17, 0
.LBB111_2529:
	s_delay_alu instid0(SALU_CYCLE_1)
	s_and_not1_b32 vcc_lo, exec_lo, s17
	s_cbranch_vccnz .LBB111_2531
; %bb.2530:
	global_load_i16 v1, v[32:33], off
	s_wait_loadcnt 0x0
	s_wait_xcnt 0x1
	v_cvt_f64_i32_e32 v[18:19], v1
.LBB111_2531:
	s_mov_b32 s17, 0
.LBB111_2532:
	s_delay_alu instid0(SALU_CYCLE_1)
	s_and_not1_b32 vcc_lo, exec_lo, s17
	s_cbranch_vccnz .LBB111_2538
; %bb.2533:
	s_cmp_gt_i32 s16, 0
	s_mov_b32 s16, 0
	s_cbranch_scc0 .LBB111_2535
; %bb.2534:
	global_load_i8 v1, v[32:33], off
	s_wait_loadcnt 0x0
	s_wait_xcnt 0x1
	v_cvt_f64_i32_e32 v[18:19], v1
	s_branch .LBB111_2536
.LBB111_2535:
	s_mov_b32 s16, -1
                                        ; implicit-def: $vgpr18_vgpr19
.LBB111_2536:
	s_delay_alu instid0(SALU_CYCLE_1)
	s_and_not1_b32 vcc_lo, exec_lo, s16
	s_cbranch_vccnz .LBB111_2538
; %bb.2537:
	global_load_u8 v1, v[32:33], off
	s_wait_loadcnt 0x0
	s_wait_xcnt 0x1
	v_cvt_f64_u32_e32 v[18:19], v1
.LBB111_2538:
.LBB111_2539:
	v_mov_b32_e32 v17, 0
	s_and_b32 s10, 0xffff, s10
	s_delay_alu instid0(SALU_CYCLE_1) | instskip(SKIP_1) | instid1(VALU_DEP_1)
	s_cmp_lt_i32 s10, 11
	s_wait_xcnt 0x0
	v_add_nc_u64_e32 v[32:33], s[6:7], v[16:17]
	s_cbranch_scc1 .LBB111_2546
; %bb.2540:
	s_cmp_gt_i32 s10, 25
	s_mov_b32 s17, 0
	s_cbranch_scc0 .LBB111_2547
; %bb.2541:
	s_cmp_gt_i32 s10, 28
	s_cbranch_scc0 .LBB111_2548
; %bb.2542:
	s_cmp_gt_i32 s10, 43
	;; [unrolled: 3-line block ×3, first 2 shown]
	s_cbranch_scc0 .LBB111_2551
; %bb.2544:
	s_cmp_eq_u32 s10, 46
	s_mov_b32 s19, 0
	s_cbranch_scc0 .LBB111_2552
; %bb.2545:
	global_load_b32 v1, v[32:33], off
	s_mov_b32 s16, 0
	s_mov_b32 s18, -1
	s_wait_loadcnt 0x0
	v_lshlrev_b32_e32 v1, 16, v1
	s_delay_alu instid0(VALU_DEP_1)
	v_cvt_f64_f32_e32 v[16:17], v1
	s_branch .LBB111_2554
.LBB111_2546:
	s_mov_b32 s16, -1
	s_mov_b32 s18, 0
                                        ; implicit-def: $vgpr16_vgpr17
	s_branch .LBB111_2620
.LBB111_2547:
	s_mov_b32 s19, -1
	s_mov_b32 s18, 0
	s_mov_b32 s16, 0
                                        ; implicit-def: $vgpr16_vgpr17
	s_branch .LBB111_2583
.LBB111_2548:
	s_mov_b32 s19, -1
	s_mov_b32 s18, 0
	s_mov_b32 s16, 0
                                        ; implicit-def: $vgpr16_vgpr17
	s_branch .LBB111_2564
.LBB111_2549:
	s_mov_b32 s19, -1
	s_mov_b32 s18, 0
	s_mov_b32 s16, 0
                                        ; implicit-def: $vgpr16_vgpr17
	s_branch .LBB111_2559
.LBB111_2550:
	s_or_b32 s14, s14, exec_lo
	s_trap 2
	s_cbranch_execz .LBB111_2489
	s_branch .LBB111_2490
.LBB111_2551:
	s_mov_b32 s19, -1
	s_mov_b32 s18, 0
	s_mov_b32 s16, 0
	s_branch .LBB111_2553
.LBB111_2552:
	s_mov_b32 s16, -1
	s_mov_b32 s18, 0
.LBB111_2553:
                                        ; implicit-def: $vgpr16_vgpr17
.LBB111_2554:
	s_and_b32 vcc_lo, exec_lo, s19
	s_cbranch_vccz .LBB111_2558
; %bb.2555:
	s_cmp_eq_u32 s10, 44
	s_cbranch_scc0 .LBB111_2557
; %bb.2556:
	global_load_u8 v1, v[32:33], off
	s_mov_b32 s16, 0
	s_mov_b32 s18, -1
	s_wait_loadcnt 0x0
	v_lshlrev_b32_e32 v3, 23, v1
	v_cmp_ne_u32_e32 vcc_lo, 0xff, v1
	s_delay_alu instid0(VALU_DEP_2) | instskip(NEXT) | instid1(VALU_DEP_1)
	v_cvt_f64_f32_e32 v[16:17], v3
	v_cndmask_b32_e32 v3, 0x20000000, v16, vcc_lo
	s_delay_alu instid0(VALU_DEP_2) | instskip(SKIP_1) | instid1(VALU_DEP_2)
	v_cndmask_b32_e32 v5, 0x7ff80000, v17, vcc_lo
	v_cmp_ne_u32_e32 vcc_lo, 0, v1
	v_cndmask_b32_e32 v17, 0x38000000, v5, vcc_lo
	s_delay_alu instid0(VALU_DEP_4)
	v_cndmask_b32_e32 v16, 0, v3, vcc_lo
	s_branch .LBB111_2558
.LBB111_2557:
	s_mov_b32 s16, -1
                                        ; implicit-def: $vgpr16_vgpr17
.LBB111_2558:
	s_mov_b32 s19, 0
.LBB111_2559:
	s_delay_alu instid0(SALU_CYCLE_1)
	s_and_b32 vcc_lo, exec_lo, s19
	s_cbranch_vccz .LBB111_2563
; %bb.2560:
	s_cmp_eq_u32 s10, 29
	s_cbranch_scc0 .LBB111_2562
; %bb.2561:
	global_load_b64 v[16:17], v[32:33], off
	s_mov_b32 s16, 0
	s_mov_b32 s18, -1
	s_mov_b32 s19, 0
	s_wait_loadcnt 0x0
	v_cvt_f64_u32_e32 v[34:35], v17
	v_cvt_f64_u32_e32 v[16:17], v16
	s_delay_alu instid0(VALU_DEP_2) | instskip(NEXT) | instid1(VALU_DEP_1)
	v_ldexp_f64 v[34:35], v[34:35], 32
	v_add_f64_e32 v[16:17], v[34:35], v[16:17]
	s_branch .LBB111_2564
.LBB111_2562:
	s_mov_b32 s16, -1
                                        ; implicit-def: $vgpr16_vgpr17
.LBB111_2563:
	s_mov_b32 s19, 0
.LBB111_2564:
	s_delay_alu instid0(SALU_CYCLE_1)
	s_and_b32 vcc_lo, exec_lo, s19
	s_cbranch_vccz .LBB111_2582
; %bb.2565:
	s_cmp_lt_i32 s10, 27
	s_cbranch_scc1 .LBB111_2568
; %bb.2566:
	s_cmp_gt_i32 s10, 27
	s_cbranch_scc0 .LBB111_2569
; %bb.2567:
	global_load_b32 v1, v[32:33], off
	s_mov_b32 s18, 0
	s_wait_loadcnt 0x0
	v_cvt_f64_u32_e32 v[16:17], v1
	s_branch .LBB111_2570
.LBB111_2568:
	s_mov_b32 s18, -1
                                        ; implicit-def: $vgpr16_vgpr17
	s_branch .LBB111_2573
.LBB111_2569:
	s_mov_b32 s18, -1
                                        ; implicit-def: $vgpr16_vgpr17
.LBB111_2570:
	s_delay_alu instid0(SALU_CYCLE_1)
	s_and_not1_b32 vcc_lo, exec_lo, s18
	s_cbranch_vccnz .LBB111_2572
; %bb.2571:
	global_load_u16 v1, v[32:33], off
	s_wait_loadcnt 0x0
	v_cvt_f64_u32_e32 v[16:17], v1
.LBB111_2572:
	s_mov_b32 s18, 0
.LBB111_2573:
	s_delay_alu instid0(SALU_CYCLE_1)
	s_and_not1_b32 vcc_lo, exec_lo, s18
	s_cbranch_vccnz .LBB111_2581
; %bb.2574:
	global_load_u8 v1, v[32:33], off
	s_mov_b32 s18, 0
	s_mov_b32 s19, exec_lo
	s_wait_loadcnt 0x0
	v_cmpx_lt_i16_e32 0x7f, v1
	s_xor_b32 s19, exec_lo, s19
	s_cbranch_execz .LBB111_2595
; %bb.2575:
	s_mov_b32 s18, -1
	s_mov_b32 s20, exec_lo
	v_cmpx_eq_u16_e32 0x80, v1
; %bb.2576:
	s_xor_b32 s18, exec_lo, -1
; %bb.2577:
	s_or_b32 exec_lo, exec_lo, s20
	s_delay_alu instid0(SALU_CYCLE_1)
	s_and_b32 s18, s18, exec_lo
	s_or_saveexec_b32 s19, s19
	v_mov_b64_e32 v[16:17], 0x7ff8000020000000
	s_xor_b32 exec_lo, exec_lo, s19
	s_cbranch_execnz .LBB111_2596
.LBB111_2578:
	s_or_b32 exec_lo, exec_lo, s19
	s_and_saveexec_b32 s19, s18
	s_cbranch_execz .LBB111_2580
.LBB111_2579:
	v_and_b32_e32 v3, 0xffff, v1
	s_delay_alu instid0(VALU_DEP_1) | instskip(SKIP_1) | instid1(VALU_DEP_2)
	v_dual_lshlrev_b32 v1, 24, v1 :: v_dual_bitop2_b32 v5, 7, v3 bitop3:0x40
	v_bfe_u32 v15, v3, 3, 4
	v_and_b32_e32 v1, 0x80000000, v1
	s_delay_alu instid0(VALU_DEP_3) | instskip(NEXT) | instid1(VALU_DEP_3)
	v_clz_i32_u32_e32 v7, v5
	v_cmp_eq_u32_e32 vcc_lo, 0, v15
	s_delay_alu instid0(VALU_DEP_2) | instskip(NEXT) | instid1(VALU_DEP_1)
	v_min_u32_e32 v7, 32, v7
	v_subrev_nc_u32_e32 v9, 28, v7
	v_sub_nc_u32_e32 v7, 29, v7
	s_delay_alu instid0(VALU_DEP_2) | instskip(NEXT) | instid1(VALU_DEP_2)
	v_lshlrev_b32_e32 v3, v9, v3
	v_cndmask_b32_e32 v7, v15, v7, vcc_lo
	s_delay_alu instid0(VALU_DEP_2) | instskip(NEXT) | instid1(VALU_DEP_1)
	v_and_b32_e32 v3, 7, v3
	v_cndmask_b32_e32 v3, v5, v3, vcc_lo
	s_delay_alu instid0(VALU_DEP_3) | instskip(NEXT) | instid1(VALU_DEP_2)
	v_lshl_add_u32 v5, v7, 23, 0x3b800000
	v_lshlrev_b32_e32 v3, 20, v3
	s_delay_alu instid0(VALU_DEP_1) | instskip(NEXT) | instid1(VALU_DEP_1)
	v_or3_b32 v1, v1, v5, v3
	v_cvt_f64_f32_e32 v[16:17], v1
.LBB111_2580:
	s_or_b32 exec_lo, exec_lo, s19
.LBB111_2581:
	s_mov_b32 s18, -1
.LBB111_2582:
	s_mov_b32 s19, 0
.LBB111_2583:
	s_delay_alu instid0(SALU_CYCLE_1)
	s_and_b32 vcc_lo, exec_lo, s19
	s_cbranch_vccz .LBB111_2616
; %bb.2584:
	s_cmp_gt_i32 s10, 22
	s_cbranch_scc0 .LBB111_2594
; %bb.2585:
	s_cmp_lt_i32 s10, 24
	s_cbranch_scc1 .LBB111_2597
; %bb.2586:
	s_cmp_gt_i32 s10, 24
	s_cbranch_scc0 .LBB111_2598
; %bb.2587:
	global_load_u8 v1, v[32:33], off
	s_mov_b32 s18, exec_lo
	s_wait_loadcnt 0x0
	v_cmpx_lt_i16_e32 0x7f, v1
	s_xor_b32 s18, exec_lo, s18
	s_cbranch_execz .LBB111_2610
; %bb.2588:
	s_mov_b32 s17, -1
	s_mov_b32 s19, exec_lo
	v_cmpx_eq_u16_e32 0x80, v1
; %bb.2589:
	s_xor_b32 s17, exec_lo, -1
; %bb.2590:
	s_or_b32 exec_lo, exec_lo, s19
	s_delay_alu instid0(SALU_CYCLE_1)
	s_and_b32 s17, s17, exec_lo
	s_or_saveexec_b32 s18, s18
	v_mov_b64_e32 v[16:17], 0x7ff8000020000000
	s_xor_b32 exec_lo, exec_lo, s18
	s_cbranch_execnz .LBB111_2611
.LBB111_2591:
	s_or_b32 exec_lo, exec_lo, s18
	s_and_saveexec_b32 s18, s17
	s_cbranch_execz .LBB111_2593
.LBB111_2592:
	v_and_b32_e32 v3, 0xffff, v1
	s_delay_alu instid0(VALU_DEP_1) | instskip(SKIP_1) | instid1(VALU_DEP_2)
	v_dual_lshlrev_b32 v1, 24, v1 :: v_dual_bitop2_b32 v5, 3, v3 bitop3:0x40
	v_bfe_u32 v15, v3, 2, 5
	v_and_b32_e32 v1, 0x80000000, v1
	s_delay_alu instid0(VALU_DEP_3) | instskip(NEXT) | instid1(VALU_DEP_3)
	v_clz_i32_u32_e32 v7, v5
	v_cmp_eq_u32_e32 vcc_lo, 0, v15
	s_delay_alu instid0(VALU_DEP_2) | instskip(NEXT) | instid1(VALU_DEP_1)
	v_min_u32_e32 v7, 32, v7
	v_subrev_nc_u32_e32 v9, 29, v7
	v_sub_nc_u32_e32 v7, 30, v7
	s_delay_alu instid0(VALU_DEP_2) | instskip(NEXT) | instid1(VALU_DEP_2)
	v_lshlrev_b32_e32 v3, v9, v3
	v_cndmask_b32_e32 v7, v15, v7, vcc_lo
	s_delay_alu instid0(VALU_DEP_2) | instskip(NEXT) | instid1(VALU_DEP_1)
	v_and_b32_e32 v3, 3, v3
	v_cndmask_b32_e32 v3, v5, v3, vcc_lo
	s_delay_alu instid0(VALU_DEP_3) | instskip(NEXT) | instid1(VALU_DEP_2)
	v_lshl_add_u32 v5, v7, 23, 0x37800000
	v_lshlrev_b32_e32 v3, 21, v3
	s_delay_alu instid0(VALU_DEP_1) | instskip(NEXT) | instid1(VALU_DEP_1)
	v_or3_b32 v1, v1, v5, v3
	v_cvt_f64_f32_e32 v[16:17], v1
.LBB111_2593:
	s_or_b32 exec_lo, exec_lo, s18
	s_mov_b32 s17, 0
	s_branch .LBB111_2599
.LBB111_2594:
	s_mov_b32 s17, -1
                                        ; implicit-def: $vgpr16_vgpr17
	s_branch .LBB111_2605
.LBB111_2595:
	s_or_saveexec_b32 s19, s19
	v_mov_b64_e32 v[16:17], 0x7ff8000020000000
	s_xor_b32 exec_lo, exec_lo, s19
	s_cbranch_execz .LBB111_2578
.LBB111_2596:
	v_cmp_ne_u16_e32 vcc_lo, 0, v1
	v_mov_b64_e32 v[16:17], 0
	s_and_not1_b32 s18, s18, exec_lo
	s_and_b32 s20, vcc_lo, exec_lo
	s_delay_alu instid0(SALU_CYCLE_1)
	s_or_b32 s18, s18, s20
	s_or_b32 exec_lo, exec_lo, s19
	s_and_saveexec_b32 s19, s18
	s_cbranch_execnz .LBB111_2579
	s_branch .LBB111_2580
.LBB111_2597:
	s_mov_b32 s17, -1
                                        ; implicit-def: $vgpr16_vgpr17
	s_branch .LBB111_2602
.LBB111_2598:
	s_mov_b32 s17, -1
                                        ; implicit-def: $vgpr16_vgpr17
.LBB111_2599:
	s_delay_alu instid0(SALU_CYCLE_1)
	s_and_b32 vcc_lo, exec_lo, s17
	s_cbranch_vccz .LBB111_2601
; %bb.2600:
	global_load_u8 v1, v[32:33], off
	s_wait_loadcnt 0x0
	v_lshlrev_b32_e32 v1, 24, v1
	s_delay_alu instid0(VALU_DEP_1) | instskip(NEXT) | instid1(VALU_DEP_1)
	v_and_b32_e32 v3, 0x7f000000, v1
	v_clz_i32_u32_e32 v5, v3
	v_add_nc_u32_e32 v9, 0x1000000, v3
	v_cmp_ne_u32_e32 vcc_lo, 0, v3
	s_delay_alu instid0(VALU_DEP_3) | instskip(NEXT) | instid1(VALU_DEP_1)
	v_min_u32_e32 v5, 32, v5
	v_sub_nc_u32_e64 v5, v5, 4 clamp
	s_delay_alu instid0(VALU_DEP_1) | instskip(NEXT) | instid1(VALU_DEP_1)
	v_dual_lshlrev_b32 v7, v5, v3 :: v_dual_lshlrev_b32 v5, 23, v5
	v_lshrrev_b32_e32 v7, 4, v7
	s_delay_alu instid0(VALU_DEP_1) | instskip(SKIP_1) | instid1(VALU_DEP_2)
	v_sub_nc_u32_e32 v5, v7, v5
	v_ashrrev_i32_e32 v7, 8, v9
	v_add_nc_u32_e32 v5, 0x3c000000, v5
	s_delay_alu instid0(VALU_DEP_1) | instskip(NEXT) | instid1(VALU_DEP_1)
	v_and_or_b32 v5, 0x7f800000, v7, v5
	v_cndmask_b32_e32 v3, 0, v5, vcc_lo
	s_delay_alu instid0(VALU_DEP_1) | instskip(NEXT) | instid1(VALU_DEP_1)
	v_and_or_b32 v1, 0x80000000, v1, v3
	v_cvt_f64_f32_e32 v[16:17], v1
.LBB111_2601:
	s_mov_b32 s17, 0
.LBB111_2602:
	s_delay_alu instid0(SALU_CYCLE_1)
	s_and_not1_b32 vcc_lo, exec_lo, s17
	s_cbranch_vccnz .LBB111_2604
; %bb.2603:
	global_load_u8 v1, v[32:33], off
	s_wait_loadcnt 0x0
	v_lshlrev_b32_e32 v3, 25, v1
	v_lshlrev_b16 v1, 8, v1
	s_delay_alu instid0(VALU_DEP_1) | instskip(SKIP_1) | instid1(VALU_DEP_2)
	v_and_or_b32 v7, 0x7f00, v1, 0.5
	v_bfe_i32 v1, v1, 0, 16
	v_add_f32_e32 v7, -0.5, v7
	v_lshrrev_b32_e32 v5, 4, v3
	v_cmp_gt_u32_e32 vcc_lo, 0x8000000, v3
	s_delay_alu instid0(VALU_DEP_2) | instskip(NEXT) | instid1(VALU_DEP_1)
	v_or_b32_e32 v5, 0x70000000, v5
	v_mul_f32_e32 v5, 0x7800000, v5
	s_delay_alu instid0(VALU_DEP_1) | instskip(NEXT) | instid1(VALU_DEP_1)
	v_cndmask_b32_e32 v3, v5, v7, vcc_lo
	v_and_or_b32 v1, 0x80000000, v1, v3
	s_delay_alu instid0(VALU_DEP_1)
	v_cvt_f64_f32_e32 v[16:17], v1
.LBB111_2604:
	s_mov_b32 s17, 0
	s_mov_b32 s18, -1
.LBB111_2605:
	s_and_not1_b32 vcc_lo, exec_lo, s17
	s_mov_b32 s17, 0
	s_cbranch_vccnz .LBB111_2616
; %bb.2606:
	s_cmp_gt_i32 s10, 14
	s_cbranch_scc0 .LBB111_2609
; %bb.2607:
	s_cmp_eq_u32 s10, 15
	s_cbranch_scc0 .LBB111_2612
; %bb.2608:
	global_load_u16 v1, v[32:33], off
	s_mov_b32 s16, 0
	s_mov_b32 s18, -1
	s_wait_loadcnt 0x0
	v_lshlrev_b32_e32 v1, 16, v1
	s_delay_alu instid0(VALU_DEP_1)
	v_cvt_f64_f32_e32 v[16:17], v1
	s_branch .LBB111_2614
.LBB111_2609:
	s_mov_b32 s17, -1
	s_branch .LBB111_2613
.LBB111_2610:
	s_or_saveexec_b32 s18, s18
	v_mov_b64_e32 v[16:17], 0x7ff8000020000000
	s_xor_b32 exec_lo, exec_lo, s18
	s_cbranch_execz .LBB111_2591
.LBB111_2611:
	v_cmp_ne_u16_e32 vcc_lo, 0, v1
	v_mov_b64_e32 v[16:17], 0
	s_and_not1_b32 s17, s17, exec_lo
	s_and_b32 s19, vcc_lo, exec_lo
	s_delay_alu instid0(SALU_CYCLE_1)
	s_or_b32 s17, s17, s19
	s_or_b32 exec_lo, exec_lo, s18
	s_and_saveexec_b32 s18, s17
	s_cbranch_execnz .LBB111_2592
	s_branch .LBB111_2593
.LBB111_2612:
	s_mov_b32 s16, -1
.LBB111_2613:
                                        ; implicit-def: $vgpr16_vgpr17
.LBB111_2614:
	s_and_b32 vcc_lo, exec_lo, s17
	s_mov_b32 s17, 0
	s_cbranch_vccz .LBB111_2616
; %bb.2615:
	s_cmp_lg_u32 s10, 11
	s_mov_b32 s17, -1
	s_cselect_b32 s16, -1, 0
.LBB111_2616:
	s_delay_alu instid0(SALU_CYCLE_1)
	s_and_b32 vcc_lo, exec_lo, s16
	s_cbranch_vccnz .LBB111_2681
; %bb.2617:
	s_and_not1_b32 vcc_lo, exec_lo, s17
	s_cbranch_vccnz .LBB111_2619
.LBB111_2618:
	global_load_u8 v1, v[32:33], off
	v_mov_b32_e32 v16, 0
	s_mov_b32 s18, -1
	s_wait_loadcnt 0x0
	v_cmp_ne_u16_e32 vcc_lo, 0, v1
	v_cndmask_b32_e64 v17, 0, 0x3ff00000, vcc_lo
.LBB111_2619:
	s_mov_b32 s16, 0
.LBB111_2620:
	s_delay_alu instid0(SALU_CYCLE_1)
	s_and_b32 vcc_lo, exec_lo, s16
	s_cbranch_vccz .LBB111_2669
; %bb.2621:
	s_cmp_lt_i32 s10, 5
	s_cbranch_scc1 .LBB111_2626
; %bb.2622:
	s_cmp_lt_i32 s10, 8
	s_cbranch_scc1 .LBB111_2627
	;; [unrolled: 3-line block ×3, first 2 shown]
; %bb.2624:
	s_cmp_gt_i32 s10, 9
	s_cbranch_scc0 .LBB111_2629
; %bb.2625:
	global_load_b64 v[16:17], v[32:33], off
	s_mov_b32 s16, 0
	s_branch .LBB111_2630
.LBB111_2626:
	s_mov_b32 s16, -1
                                        ; implicit-def: $vgpr16_vgpr17
	s_branch .LBB111_2648
.LBB111_2627:
	s_mov_b32 s16, -1
                                        ; implicit-def: $vgpr16_vgpr17
	s_branch .LBB111_2636
.LBB111_2628:
	s_mov_b32 s16, -1
                                        ; implicit-def: $vgpr16_vgpr17
	s_branch .LBB111_2633
.LBB111_2629:
	s_mov_b32 s16, -1
                                        ; implicit-def: $vgpr16_vgpr17
.LBB111_2630:
	s_delay_alu instid0(SALU_CYCLE_1)
	s_and_not1_b32 vcc_lo, exec_lo, s16
	s_cbranch_vccnz .LBB111_2632
; %bb.2631:
	global_load_b32 v1, v[32:33], off
	s_wait_loadcnt 0x0
	v_cvt_f64_f32_e32 v[16:17], v1
.LBB111_2632:
	s_mov_b32 s16, 0
.LBB111_2633:
	s_delay_alu instid0(SALU_CYCLE_1)
	s_and_not1_b32 vcc_lo, exec_lo, s16
	s_cbranch_vccnz .LBB111_2635
; %bb.2634:
	global_load_b32 v1, v[32:33], off
	s_wait_loadcnt 0x0
	v_cvt_f32_f16_e32 v1, v1
	s_delay_alu instid0(VALU_DEP_1)
	v_cvt_f64_f32_e32 v[16:17], v1
.LBB111_2635:
	s_mov_b32 s16, 0
.LBB111_2636:
	s_delay_alu instid0(SALU_CYCLE_1)
	s_and_not1_b32 vcc_lo, exec_lo, s16
	s_cbranch_vccnz .LBB111_2647
; %bb.2637:
	s_cmp_lt_i32 s10, 6
	s_cbranch_scc1 .LBB111_2640
; %bb.2638:
	s_cmp_gt_i32 s10, 6
	s_cbranch_scc0 .LBB111_2641
; %bb.2639:
	s_wait_loadcnt 0x0
	global_load_b64 v[16:17], v[32:33], off
	s_mov_b32 s16, 0
	s_branch .LBB111_2642
.LBB111_2640:
	s_mov_b32 s16, -1
                                        ; implicit-def: $vgpr16_vgpr17
	s_branch .LBB111_2645
.LBB111_2641:
	s_mov_b32 s16, -1
                                        ; implicit-def: $vgpr16_vgpr17
.LBB111_2642:
	s_delay_alu instid0(SALU_CYCLE_1)
	s_and_not1_b32 vcc_lo, exec_lo, s16
	s_cbranch_vccnz .LBB111_2644
; %bb.2643:
	global_load_b32 v1, v[32:33], off
	s_wait_loadcnt 0x0
	v_cvt_f64_f32_e32 v[16:17], v1
.LBB111_2644:
	s_mov_b32 s16, 0
.LBB111_2645:
	s_delay_alu instid0(SALU_CYCLE_1)
	s_and_not1_b32 vcc_lo, exec_lo, s16
	s_cbranch_vccnz .LBB111_2647
; %bb.2646:
	global_load_u16 v1, v[32:33], off
	s_wait_loadcnt 0x0
	v_cvt_f32_f16_e32 v1, v1
	s_delay_alu instid0(VALU_DEP_1)
	v_cvt_f64_f32_e32 v[16:17], v1
.LBB111_2647:
	s_mov_b32 s16, 0
.LBB111_2648:
	s_delay_alu instid0(SALU_CYCLE_1)
	s_and_not1_b32 vcc_lo, exec_lo, s16
	s_cbranch_vccnz .LBB111_2668
; %bb.2649:
	s_cmp_lt_i32 s10, 2
	s_cbranch_scc1 .LBB111_2653
; %bb.2650:
	s_cmp_lt_i32 s10, 3
	s_cbranch_scc1 .LBB111_2654
; %bb.2651:
	s_cmp_gt_i32 s10, 3
	s_cbranch_scc0 .LBB111_2655
; %bb.2652:
	s_wait_loadcnt 0x0
	global_load_b64 v[16:17], v[32:33], off
	s_mov_b32 s16, 0
	s_wait_loadcnt 0x0
	v_cvt_f64_i32_e32 v[34:35], v17
	v_cvt_f64_u32_e32 v[16:17], v16
	s_delay_alu instid0(VALU_DEP_2) | instskip(NEXT) | instid1(VALU_DEP_1)
	v_ldexp_f64 v[34:35], v[34:35], 32
	v_add_f64_e32 v[16:17], v[34:35], v[16:17]
	s_branch .LBB111_2656
.LBB111_2653:
	s_mov_b32 s16, -1
                                        ; implicit-def: $vgpr16_vgpr17
	s_branch .LBB111_2662
.LBB111_2654:
	s_mov_b32 s16, -1
                                        ; implicit-def: $vgpr16_vgpr17
	s_branch .LBB111_2659
.LBB111_2655:
	s_mov_b32 s16, -1
                                        ; implicit-def: $vgpr16_vgpr17
.LBB111_2656:
	s_delay_alu instid0(SALU_CYCLE_1)
	s_and_not1_b32 vcc_lo, exec_lo, s16
	s_cbranch_vccnz .LBB111_2658
; %bb.2657:
	global_load_b32 v1, v[32:33], off
	s_wait_loadcnt 0x0
	v_cvt_f64_i32_e32 v[16:17], v1
.LBB111_2658:
	s_mov_b32 s16, 0
.LBB111_2659:
	s_delay_alu instid0(SALU_CYCLE_1)
	s_and_not1_b32 vcc_lo, exec_lo, s16
	s_cbranch_vccnz .LBB111_2661
; %bb.2660:
	global_load_i16 v1, v[32:33], off
	s_wait_loadcnt 0x0
	v_cvt_f64_i32_e32 v[16:17], v1
.LBB111_2661:
	s_mov_b32 s16, 0
.LBB111_2662:
	s_delay_alu instid0(SALU_CYCLE_1)
	s_and_not1_b32 vcc_lo, exec_lo, s16
	s_cbranch_vccnz .LBB111_2668
; %bb.2663:
	s_cmp_gt_i32 s10, 0
	s_mov_b32 s16, 0
	s_cbranch_scc0 .LBB111_2665
; %bb.2664:
	global_load_i8 v1, v[32:33], off
	s_wait_loadcnt 0x0
	v_cvt_f64_i32_e32 v[16:17], v1
	s_branch .LBB111_2666
.LBB111_2665:
	s_mov_b32 s16, -1
                                        ; implicit-def: $vgpr16_vgpr17
.LBB111_2666:
	s_delay_alu instid0(SALU_CYCLE_1)
	s_and_not1_b32 vcc_lo, exec_lo, s16
	s_cbranch_vccnz .LBB111_2668
; %bb.2667:
	global_load_u8 v1, v[32:33], off
	s_wait_loadcnt 0x0
	v_cvt_f64_u32_e32 v[16:17], v1
.LBB111_2668:
	s_mov_b32 s18, -1
.LBB111_2669:
	s_delay_alu instid0(SALU_CYCLE_1)
	s_and_not1_b32 vcc_lo, exec_lo, s18
	s_cbranch_vccnz .LBB111_4155
; %bb.2670:
	v_mov_b32_e32 v23, 0
	s_and_b32 s11, 0xffff, s11
	s_delay_alu instid0(SALU_CYCLE_1) | instskip(SKIP_1) | instid1(VALU_DEP_1)
	s_cmp_lt_i32 s11, 11
	s_wait_xcnt 0x0
	v_add_nc_u64_e32 v[32:33], s[0:1], v[22:23]
	s_cbranch_scc1 .LBB111_2677
; %bb.2671:
	s_cmp_gt_i32 s11, 25
	s_mov_b32 s17, 0
	s_cbranch_scc0 .LBB111_2678
; %bb.2672:
	s_cmp_gt_i32 s11, 28
	s_cbranch_scc0 .LBB111_2679
; %bb.2673:
	s_cmp_gt_i32 s11, 43
	;; [unrolled: 3-line block ×3, first 2 shown]
	s_cbranch_scc0 .LBB111_2682
; %bb.2675:
	s_cmp_eq_u32 s11, 46
	s_mov_b32 s19, 0
	s_cbranch_scc0 .LBB111_2683
; %bb.2676:
	global_load_b32 v1, v[32:33], off
	s_mov_b32 s16, 0
	s_mov_b32 s18, -1
	s_wait_loadcnt 0x0
	v_lshlrev_b32_e32 v1, 16, v1
	s_delay_alu instid0(VALU_DEP_1)
	v_cvt_f64_f32_e32 v[22:23], v1
	s_branch .LBB111_2685
.LBB111_2677:
	s_mov_b32 s16, -1
	s_mov_b32 s18, 0
                                        ; implicit-def: $vgpr22_vgpr23
	s_branch .LBB111_2751
.LBB111_2678:
	s_mov_b32 s19, -1
	s_mov_b32 s18, 0
	s_mov_b32 s16, 0
                                        ; implicit-def: $vgpr22_vgpr23
	s_branch .LBB111_2714
.LBB111_2679:
	s_mov_b32 s19, -1
	s_mov_b32 s18, 0
	s_mov_b32 s16, 0
                                        ; implicit-def: $vgpr22_vgpr23
	s_branch .LBB111_2695
.LBB111_2680:
	s_mov_b32 s19, -1
	s_mov_b32 s18, 0
	s_mov_b32 s16, 0
                                        ; implicit-def: $vgpr22_vgpr23
	s_branch .LBB111_2690
.LBB111_2681:
	s_or_b32 s14, s14, exec_lo
	s_trap 2
	s_cbranch_execz .LBB111_2618
	s_branch .LBB111_2619
.LBB111_2682:
	s_mov_b32 s19, -1
	s_mov_b32 s18, 0
	s_mov_b32 s16, 0
	s_branch .LBB111_2684
.LBB111_2683:
	s_mov_b32 s16, -1
	s_mov_b32 s18, 0
.LBB111_2684:
                                        ; implicit-def: $vgpr22_vgpr23
.LBB111_2685:
	s_and_b32 vcc_lo, exec_lo, s19
	s_cbranch_vccz .LBB111_2689
; %bb.2686:
	s_cmp_eq_u32 s11, 44
	s_cbranch_scc0 .LBB111_2688
; %bb.2687:
	global_load_u8 v1, v[32:33], off
	s_mov_b32 s16, 0
	s_mov_b32 s18, -1
	s_wait_loadcnt 0x0
	v_lshlrev_b32_e32 v3, 23, v1
	v_cmp_ne_u32_e32 vcc_lo, 0xff, v1
	s_delay_alu instid0(VALU_DEP_2) | instskip(NEXT) | instid1(VALU_DEP_1)
	v_cvt_f64_f32_e32 v[22:23], v3
	v_cndmask_b32_e32 v3, 0x20000000, v22, vcc_lo
	s_delay_alu instid0(VALU_DEP_2) | instskip(SKIP_1) | instid1(VALU_DEP_2)
	v_cndmask_b32_e32 v5, 0x7ff80000, v23, vcc_lo
	v_cmp_ne_u32_e32 vcc_lo, 0, v1
	v_cndmask_b32_e32 v23, 0x38000000, v5, vcc_lo
	s_delay_alu instid0(VALU_DEP_4)
	v_cndmask_b32_e32 v22, 0, v3, vcc_lo
	s_branch .LBB111_2689
.LBB111_2688:
	s_mov_b32 s16, -1
                                        ; implicit-def: $vgpr22_vgpr23
.LBB111_2689:
	s_mov_b32 s19, 0
.LBB111_2690:
	s_delay_alu instid0(SALU_CYCLE_1)
	s_and_b32 vcc_lo, exec_lo, s19
	s_cbranch_vccz .LBB111_2694
; %bb.2691:
	s_cmp_eq_u32 s11, 29
	s_cbranch_scc0 .LBB111_2693
; %bb.2692:
	global_load_b64 v[22:23], v[32:33], off
	s_mov_b32 s16, 0
	s_mov_b32 s18, -1
	s_mov_b32 s19, 0
	s_wait_loadcnt 0x0
	v_cvt_f64_u32_e32 v[34:35], v23
	v_cvt_f64_u32_e32 v[22:23], v22
	s_delay_alu instid0(VALU_DEP_2) | instskip(NEXT) | instid1(VALU_DEP_1)
	v_ldexp_f64 v[34:35], v[34:35], 32
	v_add_f64_e32 v[22:23], v[34:35], v[22:23]
	s_branch .LBB111_2695
.LBB111_2693:
	s_mov_b32 s16, -1
                                        ; implicit-def: $vgpr22_vgpr23
.LBB111_2694:
	s_mov_b32 s19, 0
.LBB111_2695:
	s_delay_alu instid0(SALU_CYCLE_1)
	s_and_b32 vcc_lo, exec_lo, s19
	s_cbranch_vccz .LBB111_2713
; %bb.2696:
	s_cmp_lt_i32 s11, 27
	s_cbranch_scc1 .LBB111_2699
; %bb.2697:
	s_cmp_gt_i32 s11, 27
	s_cbranch_scc0 .LBB111_2700
; %bb.2698:
	global_load_b32 v1, v[32:33], off
	s_mov_b32 s18, 0
	s_wait_loadcnt 0x0
	v_cvt_f64_u32_e32 v[22:23], v1
	s_branch .LBB111_2701
.LBB111_2699:
	s_mov_b32 s18, -1
                                        ; implicit-def: $vgpr22_vgpr23
	s_branch .LBB111_2704
.LBB111_2700:
	s_mov_b32 s18, -1
                                        ; implicit-def: $vgpr22_vgpr23
.LBB111_2701:
	s_delay_alu instid0(SALU_CYCLE_1)
	s_and_not1_b32 vcc_lo, exec_lo, s18
	s_cbranch_vccnz .LBB111_2703
; %bb.2702:
	global_load_u16 v1, v[32:33], off
	s_wait_loadcnt 0x0
	v_cvt_f64_u32_e32 v[22:23], v1
.LBB111_2703:
	s_mov_b32 s18, 0
.LBB111_2704:
	s_delay_alu instid0(SALU_CYCLE_1)
	s_and_not1_b32 vcc_lo, exec_lo, s18
	s_cbranch_vccnz .LBB111_2712
; %bb.2705:
	global_load_u8 v1, v[32:33], off
	s_mov_b32 s18, 0
	s_mov_b32 s19, exec_lo
	s_wait_loadcnt 0x0
	v_cmpx_lt_i16_e32 0x7f, v1
	s_xor_b32 s19, exec_lo, s19
	s_cbranch_execz .LBB111_2726
; %bb.2706:
	s_mov_b32 s18, -1
	s_mov_b32 s20, exec_lo
	v_cmpx_eq_u16_e32 0x80, v1
; %bb.2707:
	s_xor_b32 s18, exec_lo, -1
; %bb.2708:
	s_or_b32 exec_lo, exec_lo, s20
	s_delay_alu instid0(SALU_CYCLE_1)
	s_and_b32 s18, s18, exec_lo
	s_or_saveexec_b32 s19, s19
	v_mov_b64_e32 v[22:23], 0x7ff8000020000000
	s_xor_b32 exec_lo, exec_lo, s19
	s_cbranch_execnz .LBB111_2727
.LBB111_2709:
	s_or_b32 exec_lo, exec_lo, s19
	s_and_saveexec_b32 s19, s18
	s_cbranch_execz .LBB111_2711
.LBB111_2710:
	v_and_b32_e32 v3, 0xffff, v1
	s_delay_alu instid0(VALU_DEP_1) | instskip(SKIP_1) | instid1(VALU_DEP_2)
	v_dual_lshlrev_b32 v1, 24, v1 :: v_dual_bitop2_b32 v5, 7, v3 bitop3:0x40
	v_bfe_u32 v15, v3, 3, 4
	v_and_b32_e32 v1, 0x80000000, v1
	s_delay_alu instid0(VALU_DEP_3) | instskip(NEXT) | instid1(VALU_DEP_3)
	v_clz_i32_u32_e32 v7, v5
	v_cmp_eq_u32_e32 vcc_lo, 0, v15
	s_delay_alu instid0(VALU_DEP_2) | instskip(NEXT) | instid1(VALU_DEP_1)
	v_min_u32_e32 v7, 32, v7
	v_subrev_nc_u32_e32 v9, 28, v7
	v_sub_nc_u32_e32 v7, 29, v7
	s_delay_alu instid0(VALU_DEP_2) | instskip(NEXT) | instid1(VALU_DEP_2)
	v_lshlrev_b32_e32 v3, v9, v3
	v_cndmask_b32_e32 v7, v15, v7, vcc_lo
	s_delay_alu instid0(VALU_DEP_2) | instskip(NEXT) | instid1(VALU_DEP_1)
	v_and_b32_e32 v3, 7, v3
	v_cndmask_b32_e32 v3, v5, v3, vcc_lo
	s_delay_alu instid0(VALU_DEP_3) | instskip(NEXT) | instid1(VALU_DEP_2)
	v_lshl_add_u32 v5, v7, 23, 0x3b800000
	v_lshlrev_b32_e32 v3, 20, v3
	s_delay_alu instid0(VALU_DEP_1) | instskip(NEXT) | instid1(VALU_DEP_1)
	v_or3_b32 v1, v1, v5, v3
	v_cvt_f64_f32_e32 v[22:23], v1
.LBB111_2711:
	s_or_b32 exec_lo, exec_lo, s19
.LBB111_2712:
	s_mov_b32 s18, -1
.LBB111_2713:
	s_mov_b32 s19, 0
.LBB111_2714:
	s_delay_alu instid0(SALU_CYCLE_1)
	s_and_b32 vcc_lo, exec_lo, s19
	s_cbranch_vccz .LBB111_2747
; %bb.2715:
	s_cmp_gt_i32 s11, 22
	s_cbranch_scc0 .LBB111_2725
; %bb.2716:
	s_cmp_lt_i32 s11, 24
	s_cbranch_scc1 .LBB111_2728
; %bb.2717:
	s_cmp_gt_i32 s11, 24
	s_cbranch_scc0 .LBB111_2729
; %bb.2718:
	global_load_u8 v1, v[32:33], off
	s_mov_b32 s18, exec_lo
	s_wait_loadcnt 0x0
	v_cmpx_lt_i16_e32 0x7f, v1
	s_xor_b32 s18, exec_lo, s18
	s_cbranch_execz .LBB111_2741
; %bb.2719:
	s_mov_b32 s17, -1
	s_mov_b32 s19, exec_lo
	v_cmpx_eq_u16_e32 0x80, v1
; %bb.2720:
	s_xor_b32 s17, exec_lo, -1
; %bb.2721:
	s_or_b32 exec_lo, exec_lo, s19
	s_delay_alu instid0(SALU_CYCLE_1)
	s_and_b32 s17, s17, exec_lo
	s_or_saveexec_b32 s18, s18
	v_mov_b64_e32 v[22:23], 0x7ff8000020000000
	s_xor_b32 exec_lo, exec_lo, s18
	s_cbranch_execnz .LBB111_2742
.LBB111_2722:
	s_or_b32 exec_lo, exec_lo, s18
	s_and_saveexec_b32 s18, s17
	s_cbranch_execz .LBB111_2724
.LBB111_2723:
	v_and_b32_e32 v3, 0xffff, v1
	s_delay_alu instid0(VALU_DEP_1) | instskip(SKIP_1) | instid1(VALU_DEP_2)
	v_dual_lshlrev_b32 v1, 24, v1 :: v_dual_bitop2_b32 v5, 3, v3 bitop3:0x40
	v_bfe_u32 v15, v3, 2, 5
	v_and_b32_e32 v1, 0x80000000, v1
	s_delay_alu instid0(VALU_DEP_3) | instskip(NEXT) | instid1(VALU_DEP_3)
	v_clz_i32_u32_e32 v7, v5
	v_cmp_eq_u32_e32 vcc_lo, 0, v15
	s_delay_alu instid0(VALU_DEP_2) | instskip(NEXT) | instid1(VALU_DEP_1)
	v_min_u32_e32 v7, 32, v7
	v_subrev_nc_u32_e32 v9, 29, v7
	v_sub_nc_u32_e32 v7, 30, v7
	s_delay_alu instid0(VALU_DEP_2) | instskip(NEXT) | instid1(VALU_DEP_2)
	v_lshlrev_b32_e32 v3, v9, v3
	v_cndmask_b32_e32 v7, v15, v7, vcc_lo
	s_delay_alu instid0(VALU_DEP_2) | instskip(NEXT) | instid1(VALU_DEP_1)
	v_and_b32_e32 v3, 3, v3
	v_cndmask_b32_e32 v3, v5, v3, vcc_lo
	s_delay_alu instid0(VALU_DEP_3) | instskip(NEXT) | instid1(VALU_DEP_2)
	v_lshl_add_u32 v5, v7, 23, 0x37800000
	v_lshlrev_b32_e32 v3, 21, v3
	s_delay_alu instid0(VALU_DEP_1) | instskip(NEXT) | instid1(VALU_DEP_1)
	v_or3_b32 v1, v1, v5, v3
	v_cvt_f64_f32_e32 v[22:23], v1
.LBB111_2724:
	s_or_b32 exec_lo, exec_lo, s18
	s_mov_b32 s17, 0
	s_branch .LBB111_2730
.LBB111_2725:
	s_mov_b32 s17, -1
                                        ; implicit-def: $vgpr22_vgpr23
	s_branch .LBB111_2736
.LBB111_2726:
	s_or_saveexec_b32 s19, s19
	v_mov_b64_e32 v[22:23], 0x7ff8000020000000
	s_xor_b32 exec_lo, exec_lo, s19
	s_cbranch_execz .LBB111_2709
.LBB111_2727:
	v_cmp_ne_u16_e32 vcc_lo, 0, v1
	v_mov_b64_e32 v[22:23], 0
	s_and_not1_b32 s18, s18, exec_lo
	s_and_b32 s20, vcc_lo, exec_lo
	s_delay_alu instid0(SALU_CYCLE_1)
	s_or_b32 s18, s18, s20
	s_or_b32 exec_lo, exec_lo, s19
	s_and_saveexec_b32 s19, s18
	s_cbranch_execnz .LBB111_2710
	s_branch .LBB111_2711
.LBB111_2728:
	s_mov_b32 s17, -1
                                        ; implicit-def: $vgpr22_vgpr23
	s_branch .LBB111_2733
.LBB111_2729:
	s_mov_b32 s17, -1
                                        ; implicit-def: $vgpr22_vgpr23
.LBB111_2730:
	s_delay_alu instid0(SALU_CYCLE_1)
	s_and_b32 vcc_lo, exec_lo, s17
	s_cbranch_vccz .LBB111_2732
; %bb.2731:
	global_load_u8 v1, v[32:33], off
	s_wait_loadcnt 0x0
	v_lshlrev_b32_e32 v1, 24, v1
	s_delay_alu instid0(VALU_DEP_1) | instskip(NEXT) | instid1(VALU_DEP_1)
	v_and_b32_e32 v3, 0x7f000000, v1
	v_clz_i32_u32_e32 v5, v3
	v_add_nc_u32_e32 v9, 0x1000000, v3
	v_cmp_ne_u32_e32 vcc_lo, 0, v3
	s_delay_alu instid0(VALU_DEP_3) | instskip(NEXT) | instid1(VALU_DEP_1)
	v_min_u32_e32 v5, 32, v5
	v_sub_nc_u32_e64 v5, v5, 4 clamp
	s_delay_alu instid0(VALU_DEP_1) | instskip(NEXT) | instid1(VALU_DEP_1)
	v_dual_lshlrev_b32 v7, v5, v3 :: v_dual_lshlrev_b32 v5, 23, v5
	v_lshrrev_b32_e32 v7, 4, v7
	s_delay_alu instid0(VALU_DEP_1) | instskip(SKIP_1) | instid1(VALU_DEP_2)
	v_sub_nc_u32_e32 v5, v7, v5
	v_ashrrev_i32_e32 v7, 8, v9
	v_add_nc_u32_e32 v5, 0x3c000000, v5
	s_delay_alu instid0(VALU_DEP_1) | instskip(NEXT) | instid1(VALU_DEP_1)
	v_and_or_b32 v5, 0x7f800000, v7, v5
	v_cndmask_b32_e32 v3, 0, v5, vcc_lo
	s_delay_alu instid0(VALU_DEP_1) | instskip(NEXT) | instid1(VALU_DEP_1)
	v_and_or_b32 v1, 0x80000000, v1, v3
	v_cvt_f64_f32_e32 v[22:23], v1
.LBB111_2732:
	s_mov_b32 s17, 0
.LBB111_2733:
	s_delay_alu instid0(SALU_CYCLE_1)
	s_and_not1_b32 vcc_lo, exec_lo, s17
	s_cbranch_vccnz .LBB111_2735
; %bb.2734:
	global_load_u8 v1, v[32:33], off
	s_wait_loadcnt 0x0
	v_lshlrev_b32_e32 v3, 25, v1
	v_lshlrev_b16 v1, 8, v1
	s_delay_alu instid0(VALU_DEP_1) | instskip(SKIP_1) | instid1(VALU_DEP_2)
	v_and_or_b32 v7, 0x7f00, v1, 0.5
	v_bfe_i32 v1, v1, 0, 16
	v_add_f32_e32 v7, -0.5, v7
	v_lshrrev_b32_e32 v5, 4, v3
	v_cmp_gt_u32_e32 vcc_lo, 0x8000000, v3
	s_delay_alu instid0(VALU_DEP_2) | instskip(NEXT) | instid1(VALU_DEP_1)
	v_or_b32_e32 v5, 0x70000000, v5
	v_mul_f32_e32 v5, 0x7800000, v5
	s_delay_alu instid0(VALU_DEP_1) | instskip(NEXT) | instid1(VALU_DEP_1)
	v_cndmask_b32_e32 v3, v5, v7, vcc_lo
	v_and_or_b32 v1, 0x80000000, v1, v3
	s_delay_alu instid0(VALU_DEP_1)
	v_cvt_f64_f32_e32 v[22:23], v1
.LBB111_2735:
	s_mov_b32 s17, 0
	s_mov_b32 s18, -1
.LBB111_2736:
	s_and_not1_b32 vcc_lo, exec_lo, s17
	s_mov_b32 s17, 0
	s_cbranch_vccnz .LBB111_2747
; %bb.2737:
	s_cmp_gt_i32 s11, 14
	s_cbranch_scc0 .LBB111_2740
; %bb.2738:
	s_cmp_eq_u32 s11, 15
	s_cbranch_scc0 .LBB111_2743
; %bb.2739:
	global_load_u16 v1, v[32:33], off
	s_mov_b32 s16, 0
	s_mov_b32 s18, -1
	s_wait_loadcnt 0x0
	v_lshlrev_b32_e32 v1, 16, v1
	s_delay_alu instid0(VALU_DEP_1)
	v_cvt_f64_f32_e32 v[22:23], v1
	s_branch .LBB111_2745
.LBB111_2740:
	s_mov_b32 s17, -1
	s_branch .LBB111_2744
.LBB111_2741:
	s_or_saveexec_b32 s18, s18
	v_mov_b64_e32 v[22:23], 0x7ff8000020000000
	s_xor_b32 exec_lo, exec_lo, s18
	s_cbranch_execz .LBB111_2722
.LBB111_2742:
	v_cmp_ne_u16_e32 vcc_lo, 0, v1
	v_mov_b64_e32 v[22:23], 0
	s_and_not1_b32 s17, s17, exec_lo
	s_and_b32 s19, vcc_lo, exec_lo
	s_delay_alu instid0(SALU_CYCLE_1)
	s_or_b32 s17, s17, s19
	s_or_b32 exec_lo, exec_lo, s18
	s_and_saveexec_b32 s18, s17
	s_cbranch_execnz .LBB111_2723
	s_branch .LBB111_2724
.LBB111_2743:
	s_mov_b32 s16, -1
.LBB111_2744:
                                        ; implicit-def: $vgpr22_vgpr23
.LBB111_2745:
	s_and_b32 vcc_lo, exec_lo, s17
	s_mov_b32 s17, 0
	s_cbranch_vccz .LBB111_2747
; %bb.2746:
	s_cmp_lg_u32 s11, 11
	s_mov_b32 s17, -1
	s_cselect_b32 s16, -1, 0
.LBB111_2747:
	s_delay_alu instid0(SALU_CYCLE_1)
	s_and_b32 vcc_lo, exec_lo, s16
	s_cbranch_vccnz .LBB111_2812
; %bb.2748:
	s_and_not1_b32 vcc_lo, exec_lo, s17
	s_cbranch_vccnz .LBB111_2750
.LBB111_2749:
	global_load_u8 v1, v[32:33], off
	v_mov_b32_e32 v22, 0
	s_mov_b32 s18, -1
	s_wait_loadcnt 0x0
	v_cmp_ne_u16_e32 vcc_lo, 0, v1
	v_cndmask_b32_e64 v23, 0, 0x3ff00000, vcc_lo
.LBB111_2750:
	s_mov_b32 s16, 0
.LBB111_2751:
	s_delay_alu instid0(SALU_CYCLE_1)
	s_and_b32 vcc_lo, exec_lo, s16
	s_cbranch_vccz .LBB111_2800
; %bb.2752:
	s_cmp_lt_i32 s11, 5
	s_cbranch_scc1 .LBB111_2757
; %bb.2753:
	s_cmp_lt_i32 s11, 8
	s_cbranch_scc1 .LBB111_2758
	;; [unrolled: 3-line block ×3, first 2 shown]
; %bb.2755:
	s_cmp_gt_i32 s11, 9
	s_cbranch_scc0 .LBB111_2760
; %bb.2756:
	global_load_b64 v[22:23], v[32:33], off
	s_mov_b32 s16, 0
	s_branch .LBB111_2761
.LBB111_2757:
	s_mov_b32 s16, -1
                                        ; implicit-def: $vgpr22_vgpr23
	s_branch .LBB111_2779
.LBB111_2758:
	s_mov_b32 s16, -1
                                        ; implicit-def: $vgpr22_vgpr23
	s_branch .LBB111_2767
.LBB111_2759:
	s_mov_b32 s16, -1
                                        ; implicit-def: $vgpr22_vgpr23
	s_branch .LBB111_2764
.LBB111_2760:
	s_mov_b32 s16, -1
                                        ; implicit-def: $vgpr22_vgpr23
.LBB111_2761:
	s_delay_alu instid0(SALU_CYCLE_1)
	s_and_not1_b32 vcc_lo, exec_lo, s16
	s_cbranch_vccnz .LBB111_2763
; %bb.2762:
	global_load_b32 v1, v[32:33], off
	s_wait_loadcnt 0x0
	v_cvt_f64_f32_e32 v[22:23], v1
.LBB111_2763:
	s_mov_b32 s16, 0
.LBB111_2764:
	s_delay_alu instid0(SALU_CYCLE_1)
	s_and_not1_b32 vcc_lo, exec_lo, s16
	s_cbranch_vccnz .LBB111_2766
; %bb.2765:
	global_load_b32 v1, v[32:33], off
	s_wait_loadcnt 0x0
	v_cvt_f32_f16_e32 v1, v1
	s_delay_alu instid0(VALU_DEP_1)
	v_cvt_f64_f32_e32 v[22:23], v1
.LBB111_2766:
	s_mov_b32 s16, 0
.LBB111_2767:
	s_delay_alu instid0(SALU_CYCLE_1)
	s_and_not1_b32 vcc_lo, exec_lo, s16
	s_cbranch_vccnz .LBB111_2778
; %bb.2768:
	s_cmp_lt_i32 s11, 6
	s_cbranch_scc1 .LBB111_2771
; %bb.2769:
	s_cmp_gt_i32 s11, 6
	s_cbranch_scc0 .LBB111_2772
; %bb.2770:
	s_wait_loadcnt 0x0
	global_load_b64 v[22:23], v[32:33], off
	s_mov_b32 s16, 0
	s_branch .LBB111_2773
.LBB111_2771:
	s_mov_b32 s16, -1
                                        ; implicit-def: $vgpr22_vgpr23
	s_branch .LBB111_2776
.LBB111_2772:
	s_mov_b32 s16, -1
                                        ; implicit-def: $vgpr22_vgpr23
.LBB111_2773:
	s_delay_alu instid0(SALU_CYCLE_1)
	s_and_not1_b32 vcc_lo, exec_lo, s16
	s_cbranch_vccnz .LBB111_2775
; %bb.2774:
	global_load_b32 v1, v[32:33], off
	s_wait_loadcnt 0x0
	v_cvt_f64_f32_e32 v[22:23], v1
.LBB111_2775:
	s_mov_b32 s16, 0
.LBB111_2776:
	s_delay_alu instid0(SALU_CYCLE_1)
	s_and_not1_b32 vcc_lo, exec_lo, s16
	s_cbranch_vccnz .LBB111_2778
; %bb.2777:
	global_load_u16 v1, v[32:33], off
	s_wait_loadcnt 0x0
	v_cvt_f32_f16_e32 v1, v1
	s_delay_alu instid0(VALU_DEP_1)
	v_cvt_f64_f32_e32 v[22:23], v1
.LBB111_2778:
	s_mov_b32 s16, 0
.LBB111_2779:
	s_delay_alu instid0(SALU_CYCLE_1)
	s_and_not1_b32 vcc_lo, exec_lo, s16
	s_cbranch_vccnz .LBB111_2799
; %bb.2780:
	s_cmp_lt_i32 s11, 2
	s_cbranch_scc1 .LBB111_2784
; %bb.2781:
	s_cmp_lt_i32 s11, 3
	s_cbranch_scc1 .LBB111_2785
; %bb.2782:
	s_cmp_gt_i32 s11, 3
	s_cbranch_scc0 .LBB111_2786
; %bb.2783:
	s_wait_loadcnt 0x0
	global_load_b64 v[22:23], v[32:33], off
	s_mov_b32 s16, 0
	s_wait_loadcnt 0x0
	v_cvt_f64_i32_e32 v[34:35], v23
	v_cvt_f64_u32_e32 v[22:23], v22
	s_delay_alu instid0(VALU_DEP_2) | instskip(NEXT) | instid1(VALU_DEP_1)
	v_ldexp_f64 v[34:35], v[34:35], 32
	v_add_f64_e32 v[22:23], v[34:35], v[22:23]
	s_branch .LBB111_2787
.LBB111_2784:
	s_mov_b32 s16, -1
                                        ; implicit-def: $vgpr22_vgpr23
	s_branch .LBB111_2793
.LBB111_2785:
	s_mov_b32 s16, -1
                                        ; implicit-def: $vgpr22_vgpr23
	s_branch .LBB111_2790
.LBB111_2786:
	s_mov_b32 s16, -1
                                        ; implicit-def: $vgpr22_vgpr23
.LBB111_2787:
	s_delay_alu instid0(SALU_CYCLE_1)
	s_and_not1_b32 vcc_lo, exec_lo, s16
	s_cbranch_vccnz .LBB111_2789
; %bb.2788:
	global_load_b32 v1, v[32:33], off
	s_wait_loadcnt 0x0
	v_cvt_f64_i32_e32 v[22:23], v1
.LBB111_2789:
	s_mov_b32 s16, 0
.LBB111_2790:
	s_delay_alu instid0(SALU_CYCLE_1)
	s_and_not1_b32 vcc_lo, exec_lo, s16
	s_cbranch_vccnz .LBB111_2792
; %bb.2791:
	global_load_i16 v1, v[32:33], off
	s_wait_loadcnt 0x0
	v_cvt_f64_i32_e32 v[22:23], v1
.LBB111_2792:
	s_mov_b32 s16, 0
.LBB111_2793:
	s_delay_alu instid0(SALU_CYCLE_1)
	s_and_not1_b32 vcc_lo, exec_lo, s16
	s_cbranch_vccnz .LBB111_2799
; %bb.2794:
	s_cmp_gt_i32 s11, 0
	s_mov_b32 s16, 0
	s_cbranch_scc0 .LBB111_2796
; %bb.2795:
	global_load_i8 v1, v[32:33], off
	s_wait_loadcnt 0x0
	v_cvt_f64_i32_e32 v[22:23], v1
	s_branch .LBB111_2797
.LBB111_2796:
	s_mov_b32 s16, -1
                                        ; implicit-def: $vgpr22_vgpr23
.LBB111_2797:
	s_delay_alu instid0(SALU_CYCLE_1)
	s_and_not1_b32 vcc_lo, exec_lo, s16
	s_cbranch_vccnz .LBB111_2799
; %bb.2798:
	global_load_u8 v1, v[32:33], off
	s_wait_loadcnt 0x0
	v_cvt_f64_u32_e32 v[22:23], v1
.LBB111_2799:
	s_mov_b32 s18, -1
.LBB111_2800:
	s_delay_alu instid0(SALU_CYCLE_1)
	s_and_not1_b32 vcc_lo, exec_lo, s18
	s_cbranch_vccnz .LBB111_4155
; %bb.2801:
	v_mov_b32_e32 v29, 0
	s_and_b32 s15, 0xffff, s15
	s_delay_alu instid0(SALU_CYCLE_1) | instskip(SKIP_1) | instid1(VALU_DEP_1)
	s_cmp_lt_i32 s15, 11
	s_wait_xcnt 0x0
	v_add_nc_u64_e32 v[32:33], s[8:9], v[28:29]
	s_cbranch_scc1 .LBB111_2808
; %bb.2802:
	s_cmp_gt_i32 s15, 25
	s_mov_b32 s17, 0
	s_cbranch_scc0 .LBB111_2809
; %bb.2803:
	s_cmp_gt_i32 s15, 28
	s_cbranch_scc0 .LBB111_2810
; %bb.2804:
	s_cmp_gt_i32 s15, 43
	;; [unrolled: 3-line block ×3, first 2 shown]
	s_cbranch_scc0 .LBB111_2813
; %bb.2806:
	s_cmp_eq_u32 s15, 46
	s_mov_b32 s19, 0
	s_cbranch_scc0 .LBB111_2816
; %bb.2807:
	global_load_b32 v1, v[32:33], off
	s_mov_b32 s16, 0
	s_mov_b32 s18, -1
	s_wait_loadcnt 0x0
	v_lshlrev_b32_e32 v1, 16, v1
	s_delay_alu instid0(VALU_DEP_1)
	v_cvt_f64_f32_e32 v[28:29], v1
	s_branch .LBB111_2818
.LBB111_2808:
	s_mov_b32 s16, -1
	s_mov_b32 s18, 0
                                        ; implicit-def: $vgpr28_vgpr29
	s_branch .LBB111_2884
.LBB111_2809:
	s_mov_b32 s19, -1
	s_mov_b32 s18, 0
	s_mov_b32 s16, 0
                                        ; implicit-def: $vgpr28_vgpr29
	s_branch .LBB111_2847
.LBB111_2810:
	s_mov_b32 s19, -1
	s_mov_b32 s18, 0
	s_mov_b32 s16, 0
                                        ; implicit-def: $vgpr28_vgpr29
	s_branch .LBB111_2828
.LBB111_2811:
	s_mov_b32 s19, -1
	s_mov_b32 s18, 0
	s_mov_b32 s16, 0
                                        ; implicit-def: $vgpr28_vgpr29
	s_branch .LBB111_2823
.LBB111_2812:
	s_or_b32 s14, s14, exec_lo
	s_trap 2
	s_cbranch_execz .LBB111_2749
	s_branch .LBB111_2750
.LBB111_2813:
	s_mov_b32 s19, -1
	s_mov_b32 s18, 0
	s_mov_b32 s16, 0
	s_branch .LBB111_2817
.LBB111_2814:
	s_and_not1_saveexec_b32 s63, s63
	s_cbranch_execz .LBB111_1498
.LBB111_2815:
	v_add_f32_e64 v3, 0x46000000, |v2|
	s_and_not1_b32 s62, s62, exec_lo
	s_delay_alu instid0(VALU_DEP_1) | instskip(NEXT) | instid1(VALU_DEP_1)
	v_and_b32_e32 v3, 0xff, v3
	v_cmp_ne_u32_e32 vcc_lo, 0, v3
	s_and_b32 s64, vcc_lo, exec_lo
	s_delay_alu instid0(SALU_CYCLE_1)
	s_or_b32 s62, s62, s64
	s_or_b32 exec_lo, exec_lo, s63
	v_mov_b32_e32 v5, 0
	s_and_saveexec_b32 s63, s62
	s_cbranch_execnz .LBB111_1499
	s_branch .LBB111_1500
.LBB111_2816:
	s_mov_b32 s16, -1
	s_mov_b32 s18, 0
.LBB111_2817:
                                        ; implicit-def: $vgpr28_vgpr29
.LBB111_2818:
	s_and_b32 vcc_lo, exec_lo, s19
	s_cbranch_vccz .LBB111_2822
; %bb.2819:
	s_cmp_eq_u32 s15, 44
	s_cbranch_scc0 .LBB111_2821
; %bb.2820:
	global_load_u8 v1, v[32:33], off
	s_mov_b32 s16, 0
	s_mov_b32 s18, -1
	s_wait_loadcnt 0x0
	v_lshlrev_b32_e32 v3, 23, v1
	v_cmp_ne_u32_e32 vcc_lo, 0xff, v1
	s_delay_alu instid0(VALU_DEP_2) | instskip(NEXT) | instid1(VALU_DEP_1)
	v_cvt_f64_f32_e32 v[28:29], v3
	v_cndmask_b32_e32 v3, 0x20000000, v28, vcc_lo
	s_delay_alu instid0(VALU_DEP_2) | instskip(SKIP_1) | instid1(VALU_DEP_2)
	v_cndmask_b32_e32 v5, 0x7ff80000, v29, vcc_lo
	v_cmp_ne_u32_e32 vcc_lo, 0, v1
	v_cndmask_b32_e32 v29, 0x38000000, v5, vcc_lo
	s_delay_alu instid0(VALU_DEP_4)
	v_cndmask_b32_e32 v28, 0, v3, vcc_lo
	s_branch .LBB111_2822
.LBB111_2821:
	s_mov_b32 s16, -1
                                        ; implicit-def: $vgpr28_vgpr29
.LBB111_2822:
	s_mov_b32 s19, 0
.LBB111_2823:
	s_delay_alu instid0(SALU_CYCLE_1)
	s_and_b32 vcc_lo, exec_lo, s19
	s_cbranch_vccz .LBB111_2827
; %bb.2824:
	s_cmp_eq_u32 s15, 29
	s_cbranch_scc0 .LBB111_2826
; %bb.2825:
	global_load_b64 v[28:29], v[32:33], off
	s_mov_b32 s16, 0
	s_mov_b32 s18, -1
	s_mov_b32 s19, 0
	s_wait_loadcnt 0x0
	v_cvt_f64_u32_e32 v[34:35], v29
	v_cvt_f64_u32_e32 v[28:29], v28
	s_delay_alu instid0(VALU_DEP_2) | instskip(NEXT) | instid1(VALU_DEP_1)
	v_ldexp_f64 v[34:35], v[34:35], 32
	v_add_f64_e32 v[28:29], v[34:35], v[28:29]
	s_branch .LBB111_2828
.LBB111_2826:
	s_mov_b32 s16, -1
                                        ; implicit-def: $vgpr28_vgpr29
.LBB111_2827:
	s_mov_b32 s19, 0
.LBB111_2828:
	s_delay_alu instid0(SALU_CYCLE_1)
	s_and_b32 vcc_lo, exec_lo, s19
	s_cbranch_vccz .LBB111_2846
; %bb.2829:
	s_cmp_lt_i32 s15, 27
	s_cbranch_scc1 .LBB111_2832
; %bb.2830:
	s_cmp_gt_i32 s15, 27
	s_cbranch_scc0 .LBB111_2833
; %bb.2831:
	global_load_b32 v1, v[32:33], off
	s_mov_b32 s18, 0
	s_wait_loadcnt 0x0
	v_cvt_f64_u32_e32 v[28:29], v1
	s_branch .LBB111_2834
.LBB111_2832:
	s_mov_b32 s18, -1
                                        ; implicit-def: $vgpr28_vgpr29
	s_branch .LBB111_2837
.LBB111_2833:
	s_mov_b32 s18, -1
                                        ; implicit-def: $vgpr28_vgpr29
.LBB111_2834:
	s_delay_alu instid0(SALU_CYCLE_1)
	s_and_not1_b32 vcc_lo, exec_lo, s18
	s_cbranch_vccnz .LBB111_2836
; %bb.2835:
	global_load_u16 v1, v[32:33], off
	s_wait_loadcnt 0x0
	v_cvt_f64_u32_e32 v[28:29], v1
.LBB111_2836:
	s_mov_b32 s18, 0
.LBB111_2837:
	s_delay_alu instid0(SALU_CYCLE_1)
	s_and_not1_b32 vcc_lo, exec_lo, s18
	s_cbranch_vccnz .LBB111_2845
; %bb.2838:
	global_load_u8 v1, v[32:33], off
	s_mov_b32 s18, 0
	s_mov_b32 s19, exec_lo
	s_wait_loadcnt 0x0
	v_cmpx_lt_i16_e32 0x7f, v1
	s_xor_b32 s19, exec_lo, s19
	s_cbranch_execz .LBB111_2859
; %bb.2839:
	s_mov_b32 s18, -1
	s_mov_b32 s20, exec_lo
	v_cmpx_eq_u16_e32 0x80, v1
; %bb.2840:
	s_xor_b32 s18, exec_lo, -1
; %bb.2841:
	s_or_b32 exec_lo, exec_lo, s20
	s_delay_alu instid0(SALU_CYCLE_1)
	s_and_b32 s18, s18, exec_lo
	s_or_saveexec_b32 s19, s19
	v_mov_b64_e32 v[28:29], 0x7ff8000020000000
	s_xor_b32 exec_lo, exec_lo, s19
	s_cbranch_execnz .LBB111_2860
.LBB111_2842:
	s_or_b32 exec_lo, exec_lo, s19
	s_and_saveexec_b32 s19, s18
	s_cbranch_execz .LBB111_2844
.LBB111_2843:
	v_and_b32_e32 v3, 0xffff, v1
	s_delay_alu instid0(VALU_DEP_1) | instskip(SKIP_1) | instid1(VALU_DEP_2)
	v_dual_lshlrev_b32 v1, 24, v1 :: v_dual_bitop2_b32 v5, 7, v3 bitop3:0x40
	v_bfe_u32 v15, v3, 3, 4
	v_and_b32_e32 v1, 0x80000000, v1
	s_delay_alu instid0(VALU_DEP_3) | instskip(NEXT) | instid1(VALU_DEP_3)
	v_clz_i32_u32_e32 v7, v5
	v_cmp_eq_u32_e32 vcc_lo, 0, v15
	s_delay_alu instid0(VALU_DEP_2) | instskip(NEXT) | instid1(VALU_DEP_1)
	v_min_u32_e32 v7, 32, v7
	v_subrev_nc_u32_e32 v9, 28, v7
	v_sub_nc_u32_e32 v7, 29, v7
	s_delay_alu instid0(VALU_DEP_2) | instskip(NEXT) | instid1(VALU_DEP_2)
	v_lshlrev_b32_e32 v3, v9, v3
	v_cndmask_b32_e32 v7, v15, v7, vcc_lo
	s_delay_alu instid0(VALU_DEP_2) | instskip(NEXT) | instid1(VALU_DEP_1)
	v_and_b32_e32 v3, 7, v3
	v_cndmask_b32_e32 v3, v5, v3, vcc_lo
	s_delay_alu instid0(VALU_DEP_3) | instskip(NEXT) | instid1(VALU_DEP_2)
	v_lshl_add_u32 v5, v7, 23, 0x3b800000
	v_lshlrev_b32_e32 v3, 20, v3
	s_delay_alu instid0(VALU_DEP_1) | instskip(NEXT) | instid1(VALU_DEP_1)
	v_or3_b32 v1, v1, v5, v3
	v_cvt_f64_f32_e32 v[28:29], v1
.LBB111_2844:
	s_or_b32 exec_lo, exec_lo, s19
.LBB111_2845:
	s_mov_b32 s18, -1
.LBB111_2846:
	s_mov_b32 s19, 0
.LBB111_2847:
	s_delay_alu instid0(SALU_CYCLE_1)
	s_and_b32 vcc_lo, exec_lo, s19
	s_cbranch_vccz .LBB111_2880
; %bb.2848:
	s_cmp_gt_i32 s15, 22
	s_cbranch_scc0 .LBB111_2858
; %bb.2849:
	s_cmp_lt_i32 s15, 24
	s_cbranch_scc1 .LBB111_2861
; %bb.2850:
	s_cmp_gt_i32 s15, 24
	s_cbranch_scc0 .LBB111_2862
; %bb.2851:
	global_load_u8 v1, v[32:33], off
	s_mov_b32 s18, exec_lo
	s_wait_loadcnt 0x0
	v_cmpx_lt_i16_e32 0x7f, v1
	s_xor_b32 s18, exec_lo, s18
	s_cbranch_execz .LBB111_2874
; %bb.2852:
	s_mov_b32 s17, -1
	s_mov_b32 s19, exec_lo
	v_cmpx_eq_u16_e32 0x80, v1
; %bb.2853:
	s_xor_b32 s17, exec_lo, -1
; %bb.2854:
	s_or_b32 exec_lo, exec_lo, s19
	s_delay_alu instid0(SALU_CYCLE_1)
	s_and_b32 s17, s17, exec_lo
	s_or_saveexec_b32 s18, s18
	v_mov_b64_e32 v[28:29], 0x7ff8000020000000
	s_xor_b32 exec_lo, exec_lo, s18
	s_cbranch_execnz .LBB111_2875
.LBB111_2855:
	s_or_b32 exec_lo, exec_lo, s18
	s_and_saveexec_b32 s18, s17
	s_cbranch_execz .LBB111_2857
.LBB111_2856:
	v_and_b32_e32 v3, 0xffff, v1
	s_delay_alu instid0(VALU_DEP_1) | instskip(SKIP_1) | instid1(VALU_DEP_2)
	v_dual_lshlrev_b32 v1, 24, v1 :: v_dual_bitop2_b32 v5, 3, v3 bitop3:0x40
	v_bfe_u32 v15, v3, 2, 5
	v_and_b32_e32 v1, 0x80000000, v1
	s_delay_alu instid0(VALU_DEP_3) | instskip(NEXT) | instid1(VALU_DEP_3)
	v_clz_i32_u32_e32 v7, v5
	v_cmp_eq_u32_e32 vcc_lo, 0, v15
	s_delay_alu instid0(VALU_DEP_2) | instskip(NEXT) | instid1(VALU_DEP_1)
	v_min_u32_e32 v7, 32, v7
	v_subrev_nc_u32_e32 v9, 29, v7
	v_sub_nc_u32_e32 v7, 30, v7
	s_delay_alu instid0(VALU_DEP_2) | instskip(NEXT) | instid1(VALU_DEP_2)
	v_lshlrev_b32_e32 v3, v9, v3
	v_cndmask_b32_e32 v7, v15, v7, vcc_lo
	s_delay_alu instid0(VALU_DEP_2) | instskip(NEXT) | instid1(VALU_DEP_1)
	v_and_b32_e32 v3, 3, v3
	v_cndmask_b32_e32 v3, v5, v3, vcc_lo
	s_delay_alu instid0(VALU_DEP_3) | instskip(NEXT) | instid1(VALU_DEP_2)
	v_lshl_add_u32 v5, v7, 23, 0x37800000
	v_lshlrev_b32_e32 v3, 21, v3
	s_delay_alu instid0(VALU_DEP_1) | instskip(NEXT) | instid1(VALU_DEP_1)
	v_or3_b32 v1, v1, v5, v3
	v_cvt_f64_f32_e32 v[28:29], v1
.LBB111_2857:
	s_or_b32 exec_lo, exec_lo, s18
	s_mov_b32 s17, 0
	s_branch .LBB111_2863
.LBB111_2858:
	s_mov_b32 s17, -1
                                        ; implicit-def: $vgpr28_vgpr29
	s_branch .LBB111_2869
.LBB111_2859:
	s_or_saveexec_b32 s19, s19
	v_mov_b64_e32 v[28:29], 0x7ff8000020000000
	s_xor_b32 exec_lo, exec_lo, s19
	s_cbranch_execz .LBB111_2842
.LBB111_2860:
	v_cmp_ne_u16_e32 vcc_lo, 0, v1
	v_mov_b64_e32 v[28:29], 0
	s_and_not1_b32 s18, s18, exec_lo
	s_and_b32 s20, vcc_lo, exec_lo
	s_delay_alu instid0(SALU_CYCLE_1)
	s_or_b32 s18, s18, s20
	s_or_b32 exec_lo, exec_lo, s19
	s_and_saveexec_b32 s19, s18
	s_cbranch_execnz .LBB111_2843
	s_branch .LBB111_2844
.LBB111_2861:
	s_mov_b32 s17, -1
                                        ; implicit-def: $vgpr28_vgpr29
	s_branch .LBB111_2866
.LBB111_2862:
	s_mov_b32 s17, -1
                                        ; implicit-def: $vgpr28_vgpr29
.LBB111_2863:
	s_delay_alu instid0(SALU_CYCLE_1)
	s_and_b32 vcc_lo, exec_lo, s17
	s_cbranch_vccz .LBB111_2865
; %bb.2864:
	global_load_u8 v1, v[32:33], off
	s_wait_loadcnt 0x0
	v_lshlrev_b32_e32 v1, 24, v1
	s_delay_alu instid0(VALU_DEP_1) | instskip(NEXT) | instid1(VALU_DEP_1)
	v_and_b32_e32 v3, 0x7f000000, v1
	v_clz_i32_u32_e32 v5, v3
	v_add_nc_u32_e32 v9, 0x1000000, v3
	v_cmp_ne_u32_e32 vcc_lo, 0, v3
	s_delay_alu instid0(VALU_DEP_3) | instskip(NEXT) | instid1(VALU_DEP_1)
	v_min_u32_e32 v5, 32, v5
	v_sub_nc_u32_e64 v5, v5, 4 clamp
	s_delay_alu instid0(VALU_DEP_1) | instskip(NEXT) | instid1(VALU_DEP_1)
	v_dual_lshlrev_b32 v7, v5, v3 :: v_dual_lshlrev_b32 v5, 23, v5
	v_lshrrev_b32_e32 v7, 4, v7
	s_delay_alu instid0(VALU_DEP_1) | instskip(SKIP_1) | instid1(VALU_DEP_2)
	v_sub_nc_u32_e32 v5, v7, v5
	v_ashrrev_i32_e32 v7, 8, v9
	v_add_nc_u32_e32 v5, 0x3c000000, v5
	s_delay_alu instid0(VALU_DEP_1) | instskip(NEXT) | instid1(VALU_DEP_1)
	v_and_or_b32 v5, 0x7f800000, v7, v5
	v_cndmask_b32_e32 v3, 0, v5, vcc_lo
	s_delay_alu instid0(VALU_DEP_1) | instskip(NEXT) | instid1(VALU_DEP_1)
	v_and_or_b32 v1, 0x80000000, v1, v3
	v_cvt_f64_f32_e32 v[28:29], v1
.LBB111_2865:
	s_mov_b32 s17, 0
.LBB111_2866:
	s_delay_alu instid0(SALU_CYCLE_1)
	s_and_not1_b32 vcc_lo, exec_lo, s17
	s_cbranch_vccnz .LBB111_2868
; %bb.2867:
	global_load_u8 v1, v[32:33], off
	s_wait_loadcnt 0x0
	v_lshlrev_b32_e32 v3, 25, v1
	v_lshlrev_b16 v1, 8, v1
	s_delay_alu instid0(VALU_DEP_1) | instskip(SKIP_1) | instid1(VALU_DEP_2)
	v_and_or_b32 v7, 0x7f00, v1, 0.5
	v_bfe_i32 v1, v1, 0, 16
	v_add_f32_e32 v7, -0.5, v7
	v_lshrrev_b32_e32 v5, 4, v3
	v_cmp_gt_u32_e32 vcc_lo, 0x8000000, v3
	s_delay_alu instid0(VALU_DEP_2) | instskip(NEXT) | instid1(VALU_DEP_1)
	v_or_b32_e32 v5, 0x70000000, v5
	v_mul_f32_e32 v5, 0x7800000, v5
	s_delay_alu instid0(VALU_DEP_1) | instskip(NEXT) | instid1(VALU_DEP_1)
	v_cndmask_b32_e32 v3, v5, v7, vcc_lo
	v_and_or_b32 v1, 0x80000000, v1, v3
	s_delay_alu instid0(VALU_DEP_1)
	v_cvt_f64_f32_e32 v[28:29], v1
.LBB111_2868:
	s_mov_b32 s17, 0
	s_mov_b32 s18, -1
.LBB111_2869:
	s_and_not1_b32 vcc_lo, exec_lo, s17
	s_mov_b32 s17, 0
	s_cbranch_vccnz .LBB111_2880
; %bb.2870:
	s_cmp_gt_i32 s15, 14
	s_cbranch_scc0 .LBB111_2873
; %bb.2871:
	s_cmp_eq_u32 s15, 15
	s_cbranch_scc0 .LBB111_2876
; %bb.2872:
	global_load_u16 v1, v[32:33], off
	s_mov_b32 s16, 0
	s_mov_b32 s18, -1
	s_wait_loadcnt 0x0
	v_lshlrev_b32_e32 v1, 16, v1
	s_delay_alu instid0(VALU_DEP_1)
	v_cvt_f64_f32_e32 v[28:29], v1
	s_branch .LBB111_2878
.LBB111_2873:
	s_mov_b32 s17, -1
	s_branch .LBB111_2877
.LBB111_2874:
	s_or_saveexec_b32 s18, s18
	v_mov_b64_e32 v[28:29], 0x7ff8000020000000
	s_xor_b32 exec_lo, exec_lo, s18
	s_cbranch_execz .LBB111_2855
.LBB111_2875:
	v_cmp_ne_u16_e32 vcc_lo, 0, v1
	v_mov_b64_e32 v[28:29], 0
	s_and_not1_b32 s17, s17, exec_lo
	s_and_b32 s19, vcc_lo, exec_lo
	s_delay_alu instid0(SALU_CYCLE_1)
	s_or_b32 s17, s17, s19
	s_or_b32 exec_lo, exec_lo, s18
	s_and_saveexec_b32 s18, s17
	s_cbranch_execnz .LBB111_2856
	s_branch .LBB111_2857
.LBB111_2876:
	s_mov_b32 s16, -1
.LBB111_2877:
                                        ; implicit-def: $vgpr28_vgpr29
.LBB111_2878:
	s_and_b32 vcc_lo, exec_lo, s17
	s_mov_b32 s17, 0
	s_cbranch_vccz .LBB111_2880
; %bb.2879:
	s_cmp_lg_u32 s15, 11
	s_mov_b32 s17, -1
	s_cselect_b32 s16, -1, 0
.LBB111_2880:
	s_delay_alu instid0(SALU_CYCLE_1)
	s_and_b32 vcc_lo, exec_lo, s16
	s_cbranch_vccnz .LBB111_2945
; %bb.2881:
	s_and_not1_b32 vcc_lo, exec_lo, s17
	s_cbranch_vccnz .LBB111_2883
.LBB111_2882:
	global_load_u8 v1, v[32:33], off
	v_mov_b32_e32 v28, 0
	s_mov_b32 s18, -1
	s_wait_loadcnt 0x0
	v_cmp_ne_u16_e32 vcc_lo, 0, v1
	v_cndmask_b32_e64 v29, 0, 0x3ff00000, vcc_lo
.LBB111_2883:
	s_mov_b32 s16, 0
.LBB111_2884:
	s_delay_alu instid0(SALU_CYCLE_1)
	s_and_b32 vcc_lo, exec_lo, s16
	s_cbranch_vccz .LBB111_2933
; %bb.2885:
	s_cmp_lt_i32 s15, 5
	s_cbranch_scc1 .LBB111_2890
; %bb.2886:
	s_cmp_lt_i32 s15, 8
	s_cbranch_scc1 .LBB111_2891
	;; [unrolled: 3-line block ×3, first 2 shown]
; %bb.2888:
	s_cmp_gt_i32 s15, 9
	s_cbranch_scc0 .LBB111_2893
; %bb.2889:
	global_load_b64 v[28:29], v[32:33], off
	s_mov_b32 s16, 0
	s_branch .LBB111_2894
.LBB111_2890:
	s_mov_b32 s16, -1
                                        ; implicit-def: $vgpr28_vgpr29
	s_branch .LBB111_2912
.LBB111_2891:
	s_mov_b32 s16, -1
                                        ; implicit-def: $vgpr28_vgpr29
	s_branch .LBB111_2900
.LBB111_2892:
	s_mov_b32 s16, -1
                                        ; implicit-def: $vgpr28_vgpr29
	s_branch .LBB111_2897
.LBB111_2893:
	s_mov_b32 s16, -1
                                        ; implicit-def: $vgpr28_vgpr29
.LBB111_2894:
	s_delay_alu instid0(SALU_CYCLE_1)
	s_and_not1_b32 vcc_lo, exec_lo, s16
	s_cbranch_vccnz .LBB111_2896
; %bb.2895:
	global_load_b32 v1, v[32:33], off
	s_wait_loadcnt 0x0
	v_cvt_f64_f32_e32 v[28:29], v1
.LBB111_2896:
	s_mov_b32 s16, 0
.LBB111_2897:
	s_delay_alu instid0(SALU_CYCLE_1)
	s_and_not1_b32 vcc_lo, exec_lo, s16
	s_cbranch_vccnz .LBB111_2899
; %bb.2898:
	global_load_b32 v1, v[32:33], off
	s_wait_loadcnt 0x0
	v_cvt_f32_f16_e32 v1, v1
	s_delay_alu instid0(VALU_DEP_1)
	v_cvt_f64_f32_e32 v[28:29], v1
.LBB111_2899:
	s_mov_b32 s16, 0
.LBB111_2900:
	s_delay_alu instid0(SALU_CYCLE_1)
	s_and_not1_b32 vcc_lo, exec_lo, s16
	s_cbranch_vccnz .LBB111_2911
; %bb.2901:
	s_cmp_lt_i32 s15, 6
	s_cbranch_scc1 .LBB111_2904
; %bb.2902:
	s_cmp_gt_i32 s15, 6
	s_cbranch_scc0 .LBB111_2905
; %bb.2903:
	s_wait_loadcnt 0x0
	global_load_b64 v[28:29], v[32:33], off
	s_mov_b32 s16, 0
	s_branch .LBB111_2906
.LBB111_2904:
	s_mov_b32 s16, -1
                                        ; implicit-def: $vgpr28_vgpr29
	s_branch .LBB111_2909
.LBB111_2905:
	s_mov_b32 s16, -1
                                        ; implicit-def: $vgpr28_vgpr29
.LBB111_2906:
	s_delay_alu instid0(SALU_CYCLE_1)
	s_and_not1_b32 vcc_lo, exec_lo, s16
	s_cbranch_vccnz .LBB111_2908
; %bb.2907:
	global_load_b32 v1, v[32:33], off
	s_wait_loadcnt 0x0
	v_cvt_f64_f32_e32 v[28:29], v1
.LBB111_2908:
	s_mov_b32 s16, 0
.LBB111_2909:
	s_delay_alu instid0(SALU_CYCLE_1)
	s_and_not1_b32 vcc_lo, exec_lo, s16
	s_cbranch_vccnz .LBB111_2911
; %bb.2910:
	global_load_u16 v1, v[32:33], off
	s_wait_loadcnt 0x0
	v_cvt_f32_f16_e32 v1, v1
	s_delay_alu instid0(VALU_DEP_1)
	v_cvt_f64_f32_e32 v[28:29], v1
.LBB111_2911:
	s_mov_b32 s16, 0
.LBB111_2912:
	s_delay_alu instid0(SALU_CYCLE_1)
	s_and_not1_b32 vcc_lo, exec_lo, s16
	s_cbranch_vccnz .LBB111_2932
; %bb.2913:
	s_cmp_lt_i32 s15, 2
	s_cbranch_scc1 .LBB111_2917
; %bb.2914:
	s_cmp_lt_i32 s15, 3
	s_cbranch_scc1 .LBB111_2918
; %bb.2915:
	s_cmp_gt_i32 s15, 3
	s_cbranch_scc0 .LBB111_2919
; %bb.2916:
	s_wait_loadcnt 0x0
	global_load_b64 v[28:29], v[32:33], off
	s_mov_b32 s16, 0
	s_wait_loadcnt 0x0
	v_cvt_f64_i32_e32 v[34:35], v29
	v_cvt_f64_u32_e32 v[28:29], v28
	s_delay_alu instid0(VALU_DEP_2) | instskip(NEXT) | instid1(VALU_DEP_1)
	v_ldexp_f64 v[34:35], v[34:35], 32
	v_add_f64_e32 v[28:29], v[34:35], v[28:29]
	s_branch .LBB111_2920
.LBB111_2917:
	s_mov_b32 s16, -1
                                        ; implicit-def: $vgpr28_vgpr29
	s_branch .LBB111_2926
.LBB111_2918:
	s_mov_b32 s16, -1
                                        ; implicit-def: $vgpr28_vgpr29
	s_branch .LBB111_2923
.LBB111_2919:
	s_mov_b32 s16, -1
                                        ; implicit-def: $vgpr28_vgpr29
.LBB111_2920:
	s_delay_alu instid0(SALU_CYCLE_1)
	s_and_not1_b32 vcc_lo, exec_lo, s16
	s_cbranch_vccnz .LBB111_2922
; %bb.2921:
	global_load_b32 v1, v[32:33], off
	s_wait_loadcnt 0x0
	v_cvt_f64_i32_e32 v[28:29], v1
.LBB111_2922:
	s_mov_b32 s16, 0
.LBB111_2923:
	s_delay_alu instid0(SALU_CYCLE_1)
	s_and_not1_b32 vcc_lo, exec_lo, s16
	s_cbranch_vccnz .LBB111_2925
; %bb.2924:
	global_load_i16 v1, v[32:33], off
	s_wait_loadcnt 0x0
	v_cvt_f64_i32_e32 v[28:29], v1
.LBB111_2925:
	s_mov_b32 s16, 0
.LBB111_2926:
	s_delay_alu instid0(SALU_CYCLE_1)
	s_and_not1_b32 vcc_lo, exec_lo, s16
	s_cbranch_vccnz .LBB111_2932
; %bb.2927:
	s_cmp_gt_i32 s15, 0
	s_mov_b32 s16, 0
	s_cbranch_scc0 .LBB111_2929
; %bb.2928:
	global_load_i8 v1, v[32:33], off
	s_wait_loadcnt 0x0
	v_cvt_f64_i32_e32 v[28:29], v1
	s_branch .LBB111_2930
.LBB111_2929:
	s_mov_b32 s16, -1
                                        ; implicit-def: $vgpr28_vgpr29
.LBB111_2930:
	s_delay_alu instid0(SALU_CYCLE_1)
	s_and_not1_b32 vcc_lo, exec_lo, s16
	s_cbranch_vccnz .LBB111_2932
; %bb.2931:
	global_load_u8 v1, v[32:33], off
	s_wait_loadcnt 0x0
	v_cvt_f64_u32_e32 v[28:29], v1
.LBB111_2932:
	s_mov_b32 s18, -1
.LBB111_2933:
	s_delay_alu instid0(SALU_CYCLE_1)
	s_and_not1_b32 vcc_lo, exec_lo, s18
	s_cbranch_vccnz .LBB111_4155
; %bb.2934:
	v_mov_b32_e32 v27, 0
	s_cmp_lt_i32 s10, 11
	s_wait_xcnt 0x0
	s_delay_alu instid0(VALU_DEP_1)
	v_add_nc_u64_e32 v[32:33], s[6:7], v[26:27]
	s_cbranch_scc1 .LBB111_2941
; %bb.2935:
	s_cmp_gt_i32 s10, 25
	s_mov_b32 s17, 0
	s_cbranch_scc0 .LBB111_2942
; %bb.2936:
	s_cmp_gt_i32 s10, 28
	s_cbranch_scc0 .LBB111_2943
; %bb.2937:
	s_cmp_gt_i32 s10, 43
	;; [unrolled: 3-line block ×3, first 2 shown]
	s_cbranch_scc0 .LBB111_2946
; %bb.2939:
	s_cmp_eq_u32 s10, 46
	s_mov_b32 s19, 0
	s_cbranch_scc0 .LBB111_2949
; %bb.2940:
	global_load_b32 v1, v[32:33], off
	s_mov_b32 s16, 0
	s_mov_b32 s18, -1
	s_wait_loadcnt 0x0
	v_lshlrev_b32_e32 v1, 16, v1
	s_delay_alu instid0(VALU_DEP_1)
	v_cvt_f64_f32_e32 v[26:27], v1
	s_branch .LBB111_2951
.LBB111_2941:
	s_mov_b32 s16, -1
	s_mov_b32 s18, 0
                                        ; implicit-def: $vgpr26_vgpr27
	s_branch .LBB111_3017
.LBB111_2942:
	s_mov_b32 s19, -1
	s_mov_b32 s18, 0
	s_mov_b32 s16, 0
                                        ; implicit-def: $vgpr26_vgpr27
	s_branch .LBB111_2980
.LBB111_2943:
	s_mov_b32 s19, -1
	s_mov_b32 s18, 0
	s_mov_b32 s16, 0
                                        ; implicit-def: $vgpr26_vgpr27
	s_branch .LBB111_2961
.LBB111_2944:
	s_mov_b32 s19, -1
	s_mov_b32 s18, 0
	s_mov_b32 s16, 0
                                        ; implicit-def: $vgpr26_vgpr27
	s_branch .LBB111_2956
.LBB111_2945:
	s_or_b32 s14, s14, exec_lo
	s_trap 2
	s_cbranch_execz .LBB111_2882
	s_branch .LBB111_2883
.LBB111_2946:
	s_mov_b32 s19, -1
	s_mov_b32 s18, 0
	s_mov_b32 s16, 0
	s_branch .LBB111_2950
.LBB111_2947:
	s_and_not1_saveexec_b32 s63, s63
	s_cbranch_execz .LBB111_1511
.LBB111_2948:
	v_add_f32_e64 v3, 0x42800000, |v2|
	s_and_not1_b32 s62, s62, exec_lo
	s_delay_alu instid0(VALU_DEP_1) | instskip(NEXT) | instid1(VALU_DEP_1)
	v_and_b32_e32 v3, 0xff, v3
	v_cmp_ne_u32_e32 vcc_lo, 0, v3
	s_and_b32 s64, vcc_lo, exec_lo
	s_delay_alu instid0(SALU_CYCLE_1)
	s_or_b32 s62, s62, s64
	s_or_b32 exec_lo, exec_lo, s63
	v_mov_b32_e32 v5, 0
	s_and_saveexec_b32 s63, s62
	s_cbranch_execnz .LBB111_1512
	s_branch .LBB111_1513
.LBB111_2949:
	s_mov_b32 s16, -1
	s_mov_b32 s18, 0
.LBB111_2950:
                                        ; implicit-def: $vgpr26_vgpr27
.LBB111_2951:
	s_and_b32 vcc_lo, exec_lo, s19
	s_cbranch_vccz .LBB111_2955
; %bb.2952:
	s_cmp_eq_u32 s10, 44
	s_cbranch_scc0 .LBB111_2954
; %bb.2953:
	global_load_u8 v1, v[32:33], off
	s_mov_b32 s16, 0
	s_mov_b32 s18, -1
	s_wait_loadcnt 0x0
	v_lshlrev_b32_e32 v3, 23, v1
	v_cmp_ne_u32_e32 vcc_lo, 0xff, v1
	s_delay_alu instid0(VALU_DEP_2) | instskip(NEXT) | instid1(VALU_DEP_1)
	v_cvt_f64_f32_e32 v[26:27], v3
	v_cndmask_b32_e32 v3, 0x20000000, v26, vcc_lo
	s_delay_alu instid0(VALU_DEP_2) | instskip(SKIP_1) | instid1(VALU_DEP_2)
	v_cndmask_b32_e32 v5, 0x7ff80000, v27, vcc_lo
	v_cmp_ne_u32_e32 vcc_lo, 0, v1
	v_cndmask_b32_e32 v27, 0x38000000, v5, vcc_lo
	s_delay_alu instid0(VALU_DEP_4)
	v_cndmask_b32_e32 v26, 0, v3, vcc_lo
	s_branch .LBB111_2955
.LBB111_2954:
	s_mov_b32 s16, -1
                                        ; implicit-def: $vgpr26_vgpr27
.LBB111_2955:
	s_mov_b32 s19, 0
.LBB111_2956:
	s_delay_alu instid0(SALU_CYCLE_1)
	s_and_b32 vcc_lo, exec_lo, s19
	s_cbranch_vccz .LBB111_2960
; %bb.2957:
	s_cmp_eq_u32 s10, 29
	s_cbranch_scc0 .LBB111_2959
; %bb.2958:
	global_load_b64 v[26:27], v[32:33], off
	s_mov_b32 s16, 0
	s_mov_b32 s18, -1
	s_mov_b32 s19, 0
	s_wait_loadcnt 0x0
	v_cvt_f64_u32_e32 v[34:35], v27
	v_cvt_f64_u32_e32 v[26:27], v26
	s_delay_alu instid0(VALU_DEP_2) | instskip(NEXT) | instid1(VALU_DEP_1)
	v_ldexp_f64 v[34:35], v[34:35], 32
	v_add_f64_e32 v[26:27], v[34:35], v[26:27]
	s_branch .LBB111_2961
.LBB111_2959:
	s_mov_b32 s16, -1
                                        ; implicit-def: $vgpr26_vgpr27
.LBB111_2960:
	s_mov_b32 s19, 0
.LBB111_2961:
	s_delay_alu instid0(SALU_CYCLE_1)
	s_and_b32 vcc_lo, exec_lo, s19
	s_cbranch_vccz .LBB111_2979
; %bb.2962:
	s_cmp_lt_i32 s10, 27
	s_cbranch_scc1 .LBB111_2965
; %bb.2963:
	s_cmp_gt_i32 s10, 27
	s_cbranch_scc0 .LBB111_2966
; %bb.2964:
	global_load_b32 v1, v[32:33], off
	s_mov_b32 s18, 0
	s_wait_loadcnt 0x0
	v_cvt_f64_u32_e32 v[26:27], v1
	s_branch .LBB111_2967
.LBB111_2965:
	s_mov_b32 s18, -1
                                        ; implicit-def: $vgpr26_vgpr27
	s_branch .LBB111_2970
.LBB111_2966:
	s_mov_b32 s18, -1
                                        ; implicit-def: $vgpr26_vgpr27
.LBB111_2967:
	s_delay_alu instid0(SALU_CYCLE_1)
	s_and_not1_b32 vcc_lo, exec_lo, s18
	s_cbranch_vccnz .LBB111_2969
; %bb.2968:
	global_load_u16 v1, v[32:33], off
	s_wait_loadcnt 0x0
	v_cvt_f64_u32_e32 v[26:27], v1
.LBB111_2969:
	s_mov_b32 s18, 0
.LBB111_2970:
	s_delay_alu instid0(SALU_CYCLE_1)
	s_and_not1_b32 vcc_lo, exec_lo, s18
	s_cbranch_vccnz .LBB111_2978
; %bb.2971:
	global_load_u8 v1, v[32:33], off
	s_mov_b32 s18, 0
	s_mov_b32 s19, exec_lo
	s_wait_loadcnt 0x0
	v_cmpx_lt_i16_e32 0x7f, v1
	s_xor_b32 s19, exec_lo, s19
	s_cbranch_execz .LBB111_2992
; %bb.2972:
	s_mov_b32 s18, -1
	s_mov_b32 s20, exec_lo
	v_cmpx_eq_u16_e32 0x80, v1
; %bb.2973:
	s_xor_b32 s18, exec_lo, -1
; %bb.2974:
	s_or_b32 exec_lo, exec_lo, s20
	s_delay_alu instid0(SALU_CYCLE_1)
	s_and_b32 s18, s18, exec_lo
	s_or_saveexec_b32 s19, s19
	v_mov_b64_e32 v[26:27], 0x7ff8000020000000
	s_xor_b32 exec_lo, exec_lo, s19
	s_cbranch_execnz .LBB111_2993
.LBB111_2975:
	s_or_b32 exec_lo, exec_lo, s19
	s_and_saveexec_b32 s19, s18
	s_cbranch_execz .LBB111_2977
.LBB111_2976:
	v_and_b32_e32 v3, 0xffff, v1
	s_delay_alu instid0(VALU_DEP_1) | instskip(SKIP_1) | instid1(VALU_DEP_2)
	v_dual_lshlrev_b32 v1, 24, v1 :: v_dual_bitop2_b32 v5, 7, v3 bitop3:0x40
	v_bfe_u32 v15, v3, 3, 4
	v_and_b32_e32 v1, 0x80000000, v1
	s_delay_alu instid0(VALU_DEP_3) | instskip(NEXT) | instid1(VALU_DEP_3)
	v_clz_i32_u32_e32 v7, v5
	v_cmp_eq_u32_e32 vcc_lo, 0, v15
	s_delay_alu instid0(VALU_DEP_2) | instskip(NEXT) | instid1(VALU_DEP_1)
	v_min_u32_e32 v7, 32, v7
	v_subrev_nc_u32_e32 v9, 28, v7
	v_sub_nc_u32_e32 v7, 29, v7
	s_delay_alu instid0(VALU_DEP_2) | instskip(NEXT) | instid1(VALU_DEP_2)
	v_lshlrev_b32_e32 v3, v9, v3
	v_cndmask_b32_e32 v7, v15, v7, vcc_lo
	s_delay_alu instid0(VALU_DEP_2) | instskip(NEXT) | instid1(VALU_DEP_1)
	v_and_b32_e32 v3, 7, v3
	v_cndmask_b32_e32 v3, v5, v3, vcc_lo
	s_delay_alu instid0(VALU_DEP_3) | instskip(NEXT) | instid1(VALU_DEP_2)
	v_lshl_add_u32 v5, v7, 23, 0x3b800000
	v_lshlrev_b32_e32 v3, 20, v3
	s_delay_alu instid0(VALU_DEP_1) | instskip(NEXT) | instid1(VALU_DEP_1)
	v_or3_b32 v1, v1, v5, v3
	v_cvt_f64_f32_e32 v[26:27], v1
.LBB111_2977:
	s_or_b32 exec_lo, exec_lo, s19
.LBB111_2978:
	s_mov_b32 s18, -1
.LBB111_2979:
	s_mov_b32 s19, 0
.LBB111_2980:
	s_delay_alu instid0(SALU_CYCLE_1)
	s_and_b32 vcc_lo, exec_lo, s19
	s_cbranch_vccz .LBB111_3013
; %bb.2981:
	s_cmp_gt_i32 s10, 22
	s_cbranch_scc0 .LBB111_2991
; %bb.2982:
	s_cmp_lt_i32 s10, 24
	s_cbranch_scc1 .LBB111_2994
; %bb.2983:
	s_cmp_gt_i32 s10, 24
	s_cbranch_scc0 .LBB111_2995
; %bb.2984:
	global_load_u8 v1, v[32:33], off
	s_mov_b32 s18, exec_lo
	s_wait_loadcnt 0x0
	v_cmpx_lt_i16_e32 0x7f, v1
	s_xor_b32 s18, exec_lo, s18
	s_cbranch_execz .LBB111_3007
; %bb.2985:
	s_mov_b32 s17, -1
	s_mov_b32 s19, exec_lo
	v_cmpx_eq_u16_e32 0x80, v1
; %bb.2986:
	s_xor_b32 s17, exec_lo, -1
; %bb.2987:
	s_or_b32 exec_lo, exec_lo, s19
	s_delay_alu instid0(SALU_CYCLE_1)
	s_and_b32 s17, s17, exec_lo
	s_or_saveexec_b32 s18, s18
	v_mov_b64_e32 v[26:27], 0x7ff8000020000000
	s_xor_b32 exec_lo, exec_lo, s18
	s_cbranch_execnz .LBB111_3008
.LBB111_2988:
	s_or_b32 exec_lo, exec_lo, s18
	s_and_saveexec_b32 s18, s17
	s_cbranch_execz .LBB111_2990
.LBB111_2989:
	v_and_b32_e32 v3, 0xffff, v1
	s_delay_alu instid0(VALU_DEP_1) | instskip(SKIP_1) | instid1(VALU_DEP_2)
	v_dual_lshlrev_b32 v1, 24, v1 :: v_dual_bitop2_b32 v5, 3, v3 bitop3:0x40
	v_bfe_u32 v15, v3, 2, 5
	v_and_b32_e32 v1, 0x80000000, v1
	s_delay_alu instid0(VALU_DEP_3) | instskip(NEXT) | instid1(VALU_DEP_3)
	v_clz_i32_u32_e32 v7, v5
	v_cmp_eq_u32_e32 vcc_lo, 0, v15
	s_delay_alu instid0(VALU_DEP_2) | instskip(NEXT) | instid1(VALU_DEP_1)
	v_min_u32_e32 v7, 32, v7
	v_subrev_nc_u32_e32 v9, 29, v7
	v_sub_nc_u32_e32 v7, 30, v7
	s_delay_alu instid0(VALU_DEP_2) | instskip(NEXT) | instid1(VALU_DEP_2)
	v_lshlrev_b32_e32 v3, v9, v3
	v_cndmask_b32_e32 v7, v15, v7, vcc_lo
	s_delay_alu instid0(VALU_DEP_2) | instskip(NEXT) | instid1(VALU_DEP_1)
	v_and_b32_e32 v3, 3, v3
	v_cndmask_b32_e32 v3, v5, v3, vcc_lo
	s_delay_alu instid0(VALU_DEP_3) | instskip(NEXT) | instid1(VALU_DEP_2)
	v_lshl_add_u32 v5, v7, 23, 0x37800000
	v_lshlrev_b32_e32 v3, 21, v3
	s_delay_alu instid0(VALU_DEP_1) | instskip(NEXT) | instid1(VALU_DEP_1)
	v_or3_b32 v1, v1, v5, v3
	v_cvt_f64_f32_e32 v[26:27], v1
.LBB111_2990:
	s_or_b32 exec_lo, exec_lo, s18
	s_mov_b32 s17, 0
	s_branch .LBB111_2996
.LBB111_2991:
	s_mov_b32 s17, -1
                                        ; implicit-def: $vgpr26_vgpr27
	s_branch .LBB111_3002
.LBB111_2992:
	s_or_saveexec_b32 s19, s19
	v_mov_b64_e32 v[26:27], 0x7ff8000020000000
	s_xor_b32 exec_lo, exec_lo, s19
	s_cbranch_execz .LBB111_2975
.LBB111_2993:
	v_cmp_ne_u16_e32 vcc_lo, 0, v1
	v_mov_b64_e32 v[26:27], 0
	s_and_not1_b32 s18, s18, exec_lo
	s_and_b32 s20, vcc_lo, exec_lo
	s_delay_alu instid0(SALU_CYCLE_1)
	s_or_b32 s18, s18, s20
	s_or_b32 exec_lo, exec_lo, s19
	s_and_saveexec_b32 s19, s18
	s_cbranch_execnz .LBB111_2976
	s_branch .LBB111_2977
.LBB111_2994:
	s_mov_b32 s17, -1
                                        ; implicit-def: $vgpr26_vgpr27
	s_branch .LBB111_2999
.LBB111_2995:
	s_mov_b32 s17, -1
                                        ; implicit-def: $vgpr26_vgpr27
.LBB111_2996:
	s_delay_alu instid0(SALU_CYCLE_1)
	s_and_b32 vcc_lo, exec_lo, s17
	s_cbranch_vccz .LBB111_2998
; %bb.2997:
	global_load_u8 v1, v[32:33], off
	s_wait_loadcnt 0x0
	v_lshlrev_b32_e32 v1, 24, v1
	s_delay_alu instid0(VALU_DEP_1) | instskip(NEXT) | instid1(VALU_DEP_1)
	v_and_b32_e32 v3, 0x7f000000, v1
	v_clz_i32_u32_e32 v5, v3
	v_add_nc_u32_e32 v9, 0x1000000, v3
	v_cmp_ne_u32_e32 vcc_lo, 0, v3
	s_delay_alu instid0(VALU_DEP_3) | instskip(NEXT) | instid1(VALU_DEP_1)
	v_min_u32_e32 v5, 32, v5
	v_sub_nc_u32_e64 v5, v5, 4 clamp
	s_delay_alu instid0(VALU_DEP_1) | instskip(NEXT) | instid1(VALU_DEP_1)
	v_dual_lshlrev_b32 v7, v5, v3 :: v_dual_lshlrev_b32 v5, 23, v5
	v_lshrrev_b32_e32 v7, 4, v7
	s_delay_alu instid0(VALU_DEP_1) | instskip(SKIP_1) | instid1(VALU_DEP_2)
	v_sub_nc_u32_e32 v5, v7, v5
	v_ashrrev_i32_e32 v7, 8, v9
	v_add_nc_u32_e32 v5, 0x3c000000, v5
	s_delay_alu instid0(VALU_DEP_1) | instskip(NEXT) | instid1(VALU_DEP_1)
	v_and_or_b32 v5, 0x7f800000, v7, v5
	v_cndmask_b32_e32 v3, 0, v5, vcc_lo
	s_delay_alu instid0(VALU_DEP_1) | instskip(NEXT) | instid1(VALU_DEP_1)
	v_and_or_b32 v1, 0x80000000, v1, v3
	v_cvt_f64_f32_e32 v[26:27], v1
.LBB111_2998:
	s_mov_b32 s17, 0
.LBB111_2999:
	s_delay_alu instid0(SALU_CYCLE_1)
	s_and_not1_b32 vcc_lo, exec_lo, s17
	s_cbranch_vccnz .LBB111_3001
; %bb.3000:
	global_load_u8 v1, v[32:33], off
	s_wait_loadcnt 0x0
	v_lshlrev_b32_e32 v3, 25, v1
	v_lshlrev_b16 v1, 8, v1
	s_delay_alu instid0(VALU_DEP_1) | instskip(SKIP_1) | instid1(VALU_DEP_2)
	v_and_or_b32 v7, 0x7f00, v1, 0.5
	v_bfe_i32 v1, v1, 0, 16
	v_add_f32_e32 v7, -0.5, v7
	v_lshrrev_b32_e32 v5, 4, v3
	v_cmp_gt_u32_e32 vcc_lo, 0x8000000, v3
	s_delay_alu instid0(VALU_DEP_2) | instskip(NEXT) | instid1(VALU_DEP_1)
	v_or_b32_e32 v5, 0x70000000, v5
	v_mul_f32_e32 v5, 0x7800000, v5
	s_delay_alu instid0(VALU_DEP_1) | instskip(NEXT) | instid1(VALU_DEP_1)
	v_cndmask_b32_e32 v3, v5, v7, vcc_lo
	v_and_or_b32 v1, 0x80000000, v1, v3
	s_delay_alu instid0(VALU_DEP_1)
	v_cvt_f64_f32_e32 v[26:27], v1
.LBB111_3001:
	s_mov_b32 s17, 0
	s_mov_b32 s18, -1
.LBB111_3002:
	s_and_not1_b32 vcc_lo, exec_lo, s17
	s_mov_b32 s17, 0
	s_cbranch_vccnz .LBB111_3013
; %bb.3003:
	s_cmp_gt_i32 s10, 14
	s_cbranch_scc0 .LBB111_3006
; %bb.3004:
	s_cmp_eq_u32 s10, 15
	s_cbranch_scc0 .LBB111_3009
; %bb.3005:
	global_load_u16 v1, v[32:33], off
	s_mov_b32 s16, 0
	s_mov_b32 s18, -1
	s_wait_loadcnt 0x0
	v_lshlrev_b32_e32 v1, 16, v1
	s_delay_alu instid0(VALU_DEP_1)
	v_cvt_f64_f32_e32 v[26:27], v1
	s_branch .LBB111_3011
.LBB111_3006:
	s_mov_b32 s17, -1
	s_branch .LBB111_3010
.LBB111_3007:
	s_or_saveexec_b32 s18, s18
	v_mov_b64_e32 v[26:27], 0x7ff8000020000000
	s_xor_b32 exec_lo, exec_lo, s18
	s_cbranch_execz .LBB111_2988
.LBB111_3008:
	v_cmp_ne_u16_e32 vcc_lo, 0, v1
	v_mov_b64_e32 v[26:27], 0
	s_and_not1_b32 s17, s17, exec_lo
	s_and_b32 s19, vcc_lo, exec_lo
	s_delay_alu instid0(SALU_CYCLE_1)
	s_or_b32 s17, s17, s19
	s_or_b32 exec_lo, exec_lo, s18
	s_and_saveexec_b32 s18, s17
	s_cbranch_execnz .LBB111_2989
	s_branch .LBB111_2990
.LBB111_3009:
	s_mov_b32 s16, -1
.LBB111_3010:
                                        ; implicit-def: $vgpr26_vgpr27
.LBB111_3011:
	s_and_b32 vcc_lo, exec_lo, s17
	s_mov_b32 s17, 0
	s_cbranch_vccz .LBB111_3013
; %bb.3012:
	s_cmp_lg_u32 s10, 11
	s_mov_b32 s17, -1
	s_cselect_b32 s16, -1, 0
.LBB111_3013:
	s_delay_alu instid0(SALU_CYCLE_1)
	s_and_b32 vcc_lo, exec_lo, s16
	s_cbranch_vccnz .LBB111_3078
; %bb.3014:
	s_and_not1_b32 vcc_lo, exec_lo, s17
	s_cbranch_vccnz .LBB111_3016
.LBB111_3015:
	global_load_u8 v1, v[32:33], off
	v_mov_b32_e32 v26, 0
	s_mov_b32 s18, -1
	s_wait_loadcnt 0x0
	v_cmp_ne_u16_e32 vcc_lo, 0, v1
	v_cndmask_b32_e64 v27, 0, 0x3ff00000, vcc_lo
.LBB111_3016:
	s_mov_b32 s16, 0
.LBB111_3017:
	s_delay_alu instid0(SALU_CYCLE_1)
	s_and_b32 vcc_lo, exec_lo, s16
	s_cbranch_vccz .LBB111_3066
; %bb.3018:
	s_cmp_lt_i32 s10, 5
	s_cbranch_scc1 .LBB111_3023
; %bb.3019:
	s_cmp_lt_i32 s10, 8
	s_cbranch_scc1 .LBB111_3024
	;; [unrolled: 3-line block ×3, first 2 shown]
; %bb.3021:
	s_cmp_gt_i32 s10, 9
	s_cbranch_scc0 .LBB111_3026
; %bb.3022:
	global_load_b64 v[26:27], v[32:33], off
	s_mov_b32 s16, 0
	s_branch .LBB111_3027
.LBB111_3023:
	s_mov_b32 s16, -1
                                        ; implicit-def: $vgpr26_vgpr27
	s_branch .LBB111_3045
.LBB111_3024:
	s_mov_b32 s16, -1
                                        ; implicit-def: $vgpr26_vgpr27
	s_branch .LBB111_3033
.LBB111_3025:
	s_mov_b32 s16, -1
                                        ; implicit-def: $vgpr26_vgpr27
	s_branch .LBB111_3030
.LBB111_3026:
	s_mov_b32 s16, -1
                                        ; implicit-def: $vgpr26_vgpr27
.LBB111_3027:
	s_delay_alu instid0(SALU_CYCLE_1)
	s_and_not1_b32 vcc_lo, exec_lo, s16
	s_cbranch_vccnz .LBB111_3029
; %bb.3028:
	global_load_b32 v1, v[32:33], off
	s_wait_loadcnt 0x0
	v_cvt_f64_f32_e32 v[26:27], v1
.LBB111_3029:
	s_mov_b32 s16, 0
.LBB111_3030:
	s_delay_alu instid0(SALU_CYCLE_1)
	s_and_not1_b32 vcc_lo, exec_lo, s16
	s_cbranch_vccnz .LBB111_3032
; %bb.3031:
	global_load_b32 v1, v[32:33], off
	s_wait_loadcnt 0x0
	v_cvt_f32_f16_e32 v1, v1
	s_delay_alu instid0(VALU_DEP_1)
	v_cvt_f64_f32_e32 v[26:27], v1
.LBB111_3032:
	s_mov_b32 s16, 0
.LBB111_3033:
	s_delay_alu instid0(SALU_CYCLE_1)
	s_and_not1_b32 vcc_lo, exec_lo, s16
	s_cbranch_vccnz .LBB111_3044
; %bb.3034:
	s_cmp_lt_i32 s10, 6
	s_cbranch_scc1 .LBB111_3037
; %bb.3035:
	s_cmp_gt_i32 s10, 6
	s_cbranch_scc0 .LBB111_3038
; %bb.3036:
	s_wait_loadcnt 0x0
	global_load_b64 v[26:27], v[32:33], off
	s_mov_b32 s16, 0
	s_branch .LBB111_3039
.LBB111_3037:
	s_mov_b32 s16, -1
                                        ; implicit-def: $vgpr26_vgpr27
	s_branch .LBB111_3042
.LBB111_3038:
	s_mov_b32 s16, -1
                                        ; implicit-def: $vgpr26_vgpr27
.LBB111_3039:
	s_delay_alu instid0(SALU_CYCLE_1)
	s_and_not1_b32 vcc_lo, exec_lo, s16
	s_cbranch_vccnz .LBB111_3041
; %bb.3040:
	global_load_b32 v1, v[32:33], off
	s_wait_loadcnt 0x0
	v_cvt_f64_f32_e32 v[26:27], v1
.LBB111_3041:
	s_mov_b32 s16, 0
.LBB111_3042:
	s_delay_alu instid0(SALU_CYCLE_1)
	s_and_not1_b32 vcc_lo, exec_lo, s16
	s_cbranch_vccnz .LBB111_3044
; %bb.3043:
	global_load_u16 v1, v[32:33], off
	s_wait_loadcnt 0x0
	v_cvt_f32_f16_e32 v1, v1
	s_delay_alu instid0(VALU_DEP_1)
	v_cvt_f64_f32_e32 v[26:27], v1
.LBB111_3044:
	s_mov_b32 s16, 0
.LBB111_3045:
	s_delay_alu instid0(SALU_CYCLE_1)
	s_and_not1_b32 vcc_lo, exec_lo, s16
	s_cbranch_vccnz .LBB111_3065
; %bb.3046:
	s_cmp_lt_i32 s10, 2
	s_cbranch_scc1 .LBB111_3050
; %bb.3047:
	s_cmp_lt_i32 s10, 3
	s_cbranch_scc1 .LBB111_3051
; %bb.3048:
	s_cmp_gt_i32 s10, 3
	s_cbranch_scc0 .LBB111_3052
; %bb.3049:
	s_wait_loadcnt 0x0
	global_load_b64 v[26:27], v[32:33], off
	s_mov_b32 s16, 0
	s_wait_loadcnt 0x0
	v_cvt_f64_i32_e32 v[34:35], v27
	v_cvt_f64_u32_e32 v[26:27], v26
	s_delay_alu instid0(VALU_DEP_2) | instskip(NEXT) | instid1(VALU_DEP_1)
	v_ldexp_f64 v[34:35], v[34:35], 32
	v_add_f64_e32 v[26:27], v[34:35], v[26:27]
	s_branch .LBB111_3053
.LBB111_3050:
	s_mov_b32 s16, -1
                                        ; implicit-def: $vgpr26_vgpr27
	s_branch .LBB111_3059
.LBB111_3051:
	s_mov_b32 s16, -1
                                        ; implicit-def: $vgpr26_vgpr27
	s_branch .LBB111_3056
.LBB111_3052:
	s_mov_b32 s16, -1
                                        ; implicit-def: $vgpr26_vgpr27
.LBB111_3053:
	s_delay_alu instid0(SALU_CYCLE_1)
	s_and_not1_b32 vcc_lo, exec_lo, s16
	s_cbranch_vccnz .LBB111_3055
; %bb.3054:
	global_load_b32 v1, v[32:33], off
	s_wait_loadcnt 0x0
	v_cvt_f64_i32_e32 v[26:27], v1
.LBB111_3055:
	s_mov_b32 s16, 0
.LBB111_3056:
	s_delay_alu instid0(SALU_CYCLE_1)
	s_and_not1_b32 vcc_lo, exec_lo, s16
	s_cbranch_vccnz .LBB111_3058
; %bb.3057:
	global_load_i16 v1, v[32:33], off
	s_wait_loadcnt 0x0
	v_cvt_f64_i32_e32 v[26:27], v1
.LBB111_3058:
	s_mov_b32 s16, 0
.LBB111_3059:
	s_delay_alu instid0(SALU_CYCLE_1)
	s_and_not1_b32 vcc_lo, exec_lo, s16
	s_cbranch_vccnz .LBB111_3065
; %bb.3060:
	s_cmp_gt_i32 s10, 0
	s_mov_b32 s16, 0
	s_cbranch_scc0 .LBB111_3062
; %bb.3061:
	global_load_i8 v1, v[32:33], off
	s_wait_loadcnt 0x0
	v_cvt_f64_i32_e32 v[26:27], v1
	s_branch .LBB111_3063
.LBB111_3062:
	s_mov_b32 s16, -1
                                        ; implicit-def: $vgpr26_vgpr27
.LBB111_3063:
	s_delay_alu instid0(SALU_CYCLE_1)
	s_and_not1_b32 vcc_lo, exec_lo, s16
	s_cbranch_vccnz .LBB111_3065
; %bb.3064:
	global_load_u8 v1, v[32:33], off
	s_wait_loadcnt 0x0
	v_cvt_f64_u32_e32 v[26:27], v1
.LBB111_3065:
	s_mov_b32 s18, -1
.LBB111_3066:
	s_delay_alu instid0(SALU_CYCLE_1)
	s_and_not1_b32 vcc_lo, exec_lo, s18
	s_cbranch_vccnz .LBB111_4155
; %bb.3067:
	v_mov_b32_e32 v31, 0
	s_cmp_lt_i32 s11, 11
	s_wait_xcnt 0x0
	s_delay_alu instid0(VALU_DEP_1)
	v_add_nc_u64_e32 v[32:33], s[0:1], v[30:31]
	s_cbranch_scc1 .LBB111_3074
; %bb.3068:
	s_cmp_gt_i32 s11, 25
	s_mov_b32 s17, 0
	s_cbranch_scc0 .LBB111_3075
; %bb.3069:
	s_cmp_gt_i32 s11, 28
	s_cbranch_scc0 .LBB111_3076
; %bb.3070:
	s_cmp_gt_i32 s11, 43
	;; [unrolled: 3-line block ×3, first 2 shown]
	s_cbranch_scc0 .LBB111_3079
; %bb.3072:
	s_cmp_eq_u32 s11, 46
	s_mov_b32 s19, 0
	s_cbranch_scc0 .LBB111_3080
; %bb.3073:
	global_load_b32 v1, v[32:33], off
	s_mov_b32 s16, 0
	s_mov_b32 s18, -1
	s_wait_loadcnt 0x0
	v_lshlrev_b32_e32 v1, 16, v1
	s_delay_alu instid0(VALU_DEP_1)
	v_cvt_f64_f32_e32 v[30:31], v1
	s_branch .LBB111_3082
.LBB111_3074:
	s_mov_b32 s16, -1
	s_mov_b32 s18, 0
                                        ; implicit-def: $vgpr30_vgpr31
	s_branch .LBB111_3148
.LBB111_3075:
	s_mov_b32 s19, -1
	s_mov_b32 s18, 0
	s_mov_b32 s16, 0
                                        ; implicit-def: $vgpr30_vgpr31
	s_branch .LBB111_3111
.LBB111_3076:
	s_mov_b32 s19, -1
	s_mov_b32 s18, 0
	s_mov_b32 s16, 0
                                        ; implicit-def: $vgpr30_vgpr31
	s_branch .LBB111_3092
.LBB111_3077:
	s_mov_b32 s19, -1
	s_mov_b32 s18, 0
	s_mov_b32 s16, 0
                                        ; implicit-def: $vgpr30_vgpr31
	s_branch .LBB111_3087
.LBB111_3078:
	s_or_b32 s14, s14, exec_lo
	s_trap 2
	s_cbranch_execz .LBB111_3015
	s_branch .LBB111_3016
.LBB111_3079:
	s_mov_b32 s19, -1
	s_mov_b32 s18, 0
	s_mov_b32 s16, 0
	s_branch .LBB111_3081
.LBB111_3080:
	s_mov_b32 s16, -1
	s_mov_b32 s18, 0
.LBB111_3081:
                                        ; implicit-def: $vgpr30_vgpr31
.LBB111_3082:
	s_and_b32 vcc_lo, exec_lo, s19
	s_cbranch_vccz .LBB111_3086
; %bb.3083:
	s_cmp_eq_u32 s11, 44
	s_cbranch_scc0 .LBB111_3085
; %bb.3084:
	global_load_u8 v1, v[32:33], off
	s_mov_b32 s16, 0
	s_mov_b32 s18, -1
	s_wait_loadcnt 0x0
	v_lshlrev_b32_e32 v3, 23, v1
	v_cmp_ne_u32_e32 vcc_lo, 0xff, v1
	s_delay_alu instid0(VALU_DEP_2) | instskip(NEXT) | instid1(VALU_DEP_1)
	v_cvt_f64_f32_e32 v[30:31], v3
	v_cndmask_b32_e32 v3, 0x20000000, v30, vcc_lo
	s_delay_alu instid0(VALU_DEP_2) | instskip(SKIP_1) | instid1(VALU_DEP_2)
	v_cndmask_b32_e32 v5, 0x7ff80000, v31, vcc_lo
	v_cmp_ne_u32_e32 vcc_lo, 0, v1
	v_cndmask_b32_e32 v31, 0x38000000, v5, vcc_lo
	s_delay_alu instid0(VALU_DEP_4)
	v_cndmask_b32_e32 v30, 0, v3, vcc_lo
	s_branch .LBB111_3086
.LBB111_3085:
	s_mov_b32 s16, -1
                                        ; implicit-def: $vgpr30_vgpr31
.LBB111_3086:
	s_mov_b32 s19, 0
.LBB111_3087:
	s_delay_alu instid0(SALU_CYCLE_1)
	s_and_b32 vcc_lo, exec_lo, s19
	s_cbranch_vccz .LBB111_3091
; %bb.3088:
	s_cmp_eq_u32 s11, 29
	s_cbranch_scc0 .LBB111_3090
; %bb.3089:
	global_load_b64 v[30:31], v[32:33], off
	s_mov_b32 s16, 0
	s_mov_b32 s18, -1
	s_mov_b32 s19, 0
	s_wait_loadcnt 0x0
	v_cvt_f64_u32_e32 v[34:35], v31
	v_cvt_f64_u32_e32 v[30:31], v30
	s_delay_alu instid0(VALU_DEP_2) | instskip(NEXT) | instid1(VALU_DEP_1)
	v_ldexp_f64 v[34:35], v[34:35], 32
	v_add_f64_e32 v[30:31], v[34:35], v[30:31]
	s_branch .LBB111_3092
.LBB111_3090:
	s_mov_b32 s16, -1
                                        ; implicit-def: $vgpr30_vgpr31
.LBB111_3091:
	s_mov_b32 s19, 0
.LBB111_3092:
	s_delay_alu instid0(SALU_CYCLE_1)
	s_and_b32 vcc_lo, exec_lo, s19
	s_cbranch_vccz .LBB111_3110
; %bb.3093:
	s_cmp_lt_i32 s11, 27
	s_cbranch_scc1 .LBB111_3096
; %bb.3094:
	s_cmp_gt_i32 s11, 27
	s_cbranch_scc0 .LBB111_3097
; %bb.3095:
	global_load_b32 v1, v[32:33], off
	s_mov_b32 s18, 0
	s_wait_loadcnt 0x0
	v_cvt_f64_u32_e32 v[30:31], v1
	s_branch .LBB111_3098
.LBB111_3096:
	s_mov_b32 s18, -1
                                        ; implicit-def: $vgpr30_vgpr31
	s_branch .LBB111_3101
.LBB111_3097:
	s_mov_b32 s18, -1
                                        ; implicit-def: $vgpr30_vgpr31
.LBB111_3098:
	s_delay_alu instid0(SALU_CYCLE_1)
	s_and_not1_b32 vcc_lo, exec_lo, s18
	s_cbranch_vccnz .LBB111_3100
; %bb.3099:
	global_load_u16 v1, v[32:33], off
	s_wait_loadcnt 0x0
	v_cvt_f64_u32_e32 v[30:31], v1
.LBB111_3100:
	s_mov_b32 s18, 0
.LBB111_3101:
	s_delay_alu instid0(SALU_CYCLE_1)
	s_and_not1_b32 vcc_lo, exec_lo, s18
	s_cbranch_vccnz .LBB111_3109
; %bb.3102:
	global_load_u8 v1, v[32:33], off
	s_mov_b32 s18, 0
	s_mov_b32 s19, exec_lo
	s_wait_loadcnt 0x0
	v_cmpx_lt_i16_e32 0x7f, v1
	s_xor_b32 s19, exec_lo, s19
	s_cbranch_execz .LBB111_3123
; %bb.3103:
	s_mov_b32 s18, -1
	s_mov_b32 s20, exec_lo
	v_cmpx_eq_u16_e32 0x80, v1
; %bb.3104:
	s_xor_b32 s18, exec_lo, -1
; %bb.3105:
	s_or_b32 exec_lo, exec_lo, s20
	s_delay_alu instid0(SALU_CYCLE_1)
	s_and_b32 s18, s18, exec_lo
	s_or_saveexec_b32 s19, s19
	v_mov_b64_e32 v[30:31], 0x7ff8000020000000
	s_xor_b32 exec_lo, exec_lo, s19
	s_cbranch_execnz .LBB111_3124
.LBB111_3106:
	s_or_b32 exec_lo, exec_lo, s19
	s_and_saveexec_b32 s19, s18
	s_cbranch_execz .LBB111_3108
.LBB111_3107:
	v_and_b32_e32 v3, 0xffff, v1
	s_delay_alu instid0(VALU_DEP_1) | instskip(SKIP_1) | instid1(VALU_DEP_2)
	v_dual_lshlrev_b32 v1, 24, v1 :: v_dual_bitop2_b32 v5, 7, v3 bitop3:0x40
	v_bfe_u32 v15, v3, 3, 4
	v_and_b32_e32 v1, 0x80000000, v1
	s_delay_alu instid0(VALU_DEP_3) | instskip(NEXT) | instid1(VALU_DEP_3)
	v_clz_i32_u32_e32 v7, v5
	v_cmp_eq_u32_e32 vcc_lo, 0, v15
	s_delay_alu instid0(VALU_DEP_2) | instskip(NEXT) | instid1(VALU_DEP_1)
	v_min_u32_e32 v7, 32, v7
	v_subrev_nc_u32_e32 v9, 28, v7
	v_sub_nc_u32_e32 v7, 29, v7
	s_delay_alu instid0(VALU_DEP_2) | instskip(NEXT) | instid1(VALU_DEP_2)
	v_lshlrev_b32_e32 v3, v9, v3
	v_cndmask_b32_e32 v7, v15, v7, vcc_lo
	s_delay_alu instid0(VALU_DEP_2) | instskip(NEXT) | instid1(VALU_DEP_1)
	v_and_b32_e32 v3, 7, v3
	v_cndmask_b32_e32 v3, v5, v3, vcc_lo
	s_delay_alu instid0(VALU_DEP_3) | instskip(NEXT) | instid1(VALU_DEP_2)
	v_lshl_add_u32 v5, v7, 23, 0x3b800000
	v_lshlrev_b32_e32 v3, 20, v3
	s_delay_alu instid0(VALU_DEP_1) | instskip(NEXT) | instid1(VALU_DEP_1)
	v_or3_b32 v1, v1, v5, v3
	v_cvt_f64_f32_e32 v[30:31], v1
.LBB111_3108:
	s_or_b32 exec_lo, exec_lo, s19
.LBB111_3109:
	s_mov_b32 s18, -1
.LBB111_3110:
	s_mov_b32 s19, 0
.LBB111_3111:
	s_delay_alu instid0(SALU_CYCLE_1)
	s_and_b32 vcc_lo, exec_lo, s19
	s_cbranch_vccz .LBB111_3144
; %bb.3112:
	s_cmp_gt_i32 s11, 22
	s_cbranch_scc0 .LBB111_3122
; %bb.3113:
	s_cmp_lt_i32 s11, 24
	s_cbranch_scc1 .LBB111_3125
; %bb.3114:
	s_cmp_gt_i32 s11, 24
	s_cbranch_scc0 .LBB111_3126
; %bb.3115:
	global_load_u8 v1, v[32:33], off
	s_mov_b32 s18, exec_lo
	s_wait_loadcnt 0x0
	v_cmpx_lt_i16_e32 0x7f, v1
	s_xor_b32 s18, exec_lo, s18
	s_cbranch_execz .LBB111_3138
; %bb.3116:
	s_mov_b32 s17, -1
	s_mov_b32 s19, exec_lo
	v_cmpx_eq_u16_e32 0x80, v1
; %bb.3117:
	s_xor_b32 s17, exec_lo, -1
; %bb.3118:
	s_or_b32 exec_lo, exec_lo, s19
	s_delay_alu instid0(SALU_CYCLE_1)
	s_and_b32 s17, s17, exec_lo
	s_or_saveexec_b32 s18, s18
	v_mov_b64_e32 v[30:31], 0x7ff8000020000000
	s_xor_b32 exec_lo, exec_lo, s18
	s_cbranch_execnz .LBB111_3139
.LBB111_3119:
	s_or_b32 exec_lo, exec_lo, s18
	s_and_saveexec_b32 s18, s17
	s_cbranch_execz .LBB111_3121
.LBB111_3120:
	v_and_b32_e32 v3, 0xffff, v1
	s_delay_alu instid0(VALU_DEP_1) | instskip(SKIP_1) | instid1(VALU_DEP_2)
	v_dual_lshlrev_b32 v1, 24, v1 :: v_dual_bitop2_b32 v5, 3, v3 bitop3:0x40
	v_bfe_u32 v15, v3, 2, 5
	v_and_b32_e32 v1, 0x80000000, v1
	s_delay_alu instid0(VALU_DEP_3) | instskip(NEXT) | instid1(VALU_DEP_3)
	v_clz_i32_u32_e32 v7, v5
	v_cmp_eq_u32_e32 vcc_lo, 0, v15
	s_delay_alu instid0(VALU_DEP_2) | instskip(NEXT) | instid1(VALU_DEP_1)
	v_min_u32_e32 v7, 32, v7
	v_subrev_nc_u32_e32 v9, 29, v7
	v_sub_nc_u32_e32 v7, 30, v7
	s_delay_alu instid0(VALU_DEP_2) | instskip(NEXT) | instid1(VALU_DEP_2)
	v_lshlrev_b32_e32 v3, v9, v3
	v_cndmask_b32_e32 v7, v15, v7, vcc_lo
	s_delay_alu instid0(VALU_DEP_2) | instskip(NEXT) | instid1(VALU_DEP_1)
	v_and_b32_e32 v3, 3, v3
	v_cndmask_b32_e32 v3, v5, v3, vcc_lo
	s_delay_alu instid0(VALU_DEP_3) | instskip(NEXT) | instid1(VALU_DEP_2)
	v_lshl_add_u32 v5, v7, 23, 0x37800000
	v_lshlrev_b32_e32 v3, 21, v3
	s_delay_alu instid0(VALU_DEP_1) | instskip(NEXT) | instid1(VALU_DEP_1)
	v_or3_b32 v1, v1, v5, v3
	v_cvt_f64_f32_e32 v[30:31], v1
.LBB111_3121:
	s_or_b32 exec_lo, exec_lo, s18
	s_mov_b32 s17, 0
	s_branch .LBB111_3127
.LBB111_3122:
	s_mov_b32 s17, -1
                                        ; implicit-def: $vgpr30_vgpr31
	s_branch .LBB111_3133
.LBB111_3123:
	s_or_saveexec_b32 s19, s19
	v_mov_b64_e32 v[30:31], 0x7ff8000020000000
	s_xor_b32 exec_lo, exec_lo, s19
	s_cbranch_execz .LBB111_3106
.LBB111_3124:
	v_cmp_ne_u16_e32 vcc_lo, 0, v1
	v_mov_b64_e32 v[30:31], 0
	s_and_not1_b32 s18, s18, exec_lo
	s_and_b32 s20, vcc_lo, exec_lo
	s_delay_alu instid0(SALU_CYCLE_1)
	s_or_b32 s18, s18, s20
	s_or_b32 exec_lo, exec_lo, s19
	s_and_saveexec_b32 s19, s18
	s_cbranch_execnz .LBB111_3107
	s_branch .LBB111_3108
.LBB111_3125:
	s_mov_b32 s17, -1
                                        ; implicit-def: $vgpr30_vgpr31
	s_branch .LBB111_3130
.LBB111_3126:
	s_mov_b32 s17, -1
                                        ; implicit-def: $vgpr30_vgpr31
.LBB111_3127:
	s_delay_alu instid0(SALU_CYCLE_1)
	s_and_b32 vcc_lo, exec_lo, s17
	s_cbranch_vccz .LBB111_3129
; %bb.3128:
	global_load_u8 v1, v[32:33], off
	s_wait_loadcnt 0x0
	v_lshlrev_b32_e32 v1, 24, v1
	s_delay_alu instid0(VALU_DEP_1) | instskip(NEXT) | instid1(VALU_DEP_1)
	v_and_b32_e32 v3, 0x7f000000, v1
	v_clz_i32_u32_e32 v5, v3
	v_add_nc_u32_e32 v9, 0x1000000, v3
	v_cmp_ne_u32_e32 vcc_lo, 0, v3
	s_delay_alu instid0(VALU_DEP_3) | instskip(NEXT) | instid1(VALU_DEP_1)
	v_min_u32_e32 v5, 32, v5
	v_sub_nc_u32_e64 v5, v5, 4 clamp
	s_delay_alu instid0(VALU_DEP_1) | instskip(NEXT) | instid1(VALU_DEP_1)
	v_dual_lshlrev_b32 v7, v5, v3 :: v_dual_lshlrev_b32 v5, 23, v5
	v_lshrrev_b32_e32 v7, 4, v7
	s_delay_alu instid0(VALU_DEP_1) | instskip(SKIP_1) | instid1(VALU_DEP_2)
	v_sub_nc_u32_e32 v5, v7, v5
	v_ashrrev_i32_e32 v7, 8, v9
	v_add_nc_u32_e32 v5, 0x3c000000, v5
	s_delay_alu instid0(VALU_DEP_1) | instskip(NEXT) | instid1(VALU_DEP_1)
	v_and_or_b32 v5, 0x7f800000, v7, v5
	v_cndmask_b32_e32 v3, 0, v5, vcc_lo
	s_delay_alu instid0(VALU_DEP_1) | instskip(NEXT) | instid1(VALU_DEP_1)
	v_and_or_b32 v1, 0x80000000, v1, v3
	v_cvt_f64_f32_e32 v[30:31], v1
.LBB111_3129:
	s_mov_b32 s17, 0
.LBB111_3130:
	s_delay_alu instid0(SALU_CYCLE_1)
	s_and_not1_b32 vcc_lo, exec_lo, s17
	s_cbranch_vccnz .LBB111_3132
; %bb.3131:
	global_load_u8 v1, v[32:33], off
	s_wait_loadcnt 0x0
	v_lshlrev_b32_e32 v3, 25, v1
	v_lshlrev_b16 v1, 8, v1
	s_delay_alu instid0(VALU_DEP_1) | instskip(SKIP_1) | instid1(VALU_DEP_2)
	v_and_or_b32 v7, 0x7f00, v1, 0.5
	v_bfe_i32 v1, v1, 0, 16
	v_add_f32_e32 v7, -0.5, v7
	v_lshrrev_b32_e32 v5, 4, v3
	v_cmp_gt_u32_e32 vcc_lo, 0x8000000, v3
	s_delay_alu instid0(VALU_DEP_2) | instskip(NEXT) | instid1(VALU_DEP_1)
	v_or_b32_e32 v5, 0x70000000, v5
	v_mul_f32_e32 v5, 0x7800000, v5
	s_delay_alu instid0(VALU_DEP_1) | instskip(NEXT) | instid1(VALU_DEP_1)
	v_cndmask_b32_e32 v3, v5, v7, vcc_lo
	v_and_or_b32 v1, 0x80000000, v1, v3
	s_delay_alu instid0(VALU_DEP_1)
	v_cvt_f64_f32_e32 v[30:31], v1
.LBB111_3132:
	s_mov_b32 s17, 0
	s_mov_b32 s18, -1
.LBB111_3133:
	s_and_not1_b32 vcc_lo, exec_lo, s17
	s_mov_b32 s17, 0
	s_cbranch_vccnz .LBB111_3144
; %bb.3134:
	s_cmp_gt_i32 s11, 14
	s_cbranch_scc0 .LBB111_3137
; %bb.3135:
	s_cmp_eq_u32 s11, 15
	s_cbranch_scc0 .LBB111_3140
; %bb.3136:
	global_load_u16 v1, v[32:33], off
	s_mov_b32 s16, 0
	s_mov_b32 s18, -1
	s_wait_loadcnt 0x0
	v_lshlrev_b32_e32 v1, 16, v1
	s_delay_alu instid0(VALU_DEP_1)
	v_cvt_f64_f32_e32 v[30:31], v1
	s_branch .LBB111_3142
.LBB111_3137:
	s_mov_b32 s17, -1
	s_branch .LBB111_3141
.LBB111_3138:
	s_or_saveexec_b32 s18, s18
	v_mov_b64_e32 v[30:31], 0x7ff8000020000000
	s_xor_b32 exec_lo, exec_lo, s18
	s_cbranch_execz .LBB111_3119
.LBB111_3139:
	v_cmp_ne_u16_e32 vcc_lo, 0, v1
	v_mov_b64_e32 v[30:31], 0
	s_and_not1_b32 s17, s17, exec_lo
	s_and_b32 s19, vcc_lo, exec_lo
	s_delay_alu instid0(SALU_CYCLE_1)
	s_or_b32 s17, s17, s19
	s_or_b32 exec_lo, exec_lo, s18
	s_and_saveexec_b32 s18, s17
	s_cbranch_execnz .LBB111_3120
	s_branch .LBB111_3121
.LBB111_3140:
	s_mov_b32 s16, -1
.LBB111_3141:
                                        ; implicit-def: $vgpr30_vgpr31
.LBB111_3142:
	s_and_b32 vcc_lo, exec_lo, s17
	s_mov_b32 s17, 0
	s_cbranch_vccz .LBB111_3144
; %bb.3143:
	s_cmp_lg_u32 s11, 11
	s_mov_b32 s17, -1
	s_cselect_b32 s16, -1, 0
.LBB111_3144:
	s_delay_alu instid0(SALU_CYCLE_1)
	s_and_b32 vcc_lo, exec_lo, s16
	s_cbranch_vccnz .LBB111_3209
; %bb.3145:
	s_and_not1_b32 vcc_lo, exec_lo, s17
	s_cbranch_vccnz .LBB111_3147
.LBB111_3146:
	global_load_u8 v1, v[32:33], off
	v_mov_b32_e32 v30, 0
	s_mov_b32 s18, -1
	s_wait_loadcnt 0x0
	v_cmp_ne_u16_e32 vcc_lo, 0, v1
	v_cndmask_b32_e64 v31, 0, 0x3ff00000, vcc_lo
.LBB111_3147:
	s_mov_b32 s16, 0
.LBB111_3148:
	s_delay_alu instid0(SALU_CYCLE_1)
	s_and_b32 vcc_lo, exec_lo, s16
	s_cbranch_vccz .LBB111_3197
; %bb.3149:
	s_cmp_lt_i32 s11, 5
	s_cbranch_scc1 .LBB111_3154
; %bb.3150:
	s_cmp_lt_i32 s11, 8
	s_cbranch_scc1 .LBB111_3155
	;; [unrolled: 3-line block ×3, first 2 shown]
; %bb.3152:
	s_cmp_gt_i32 s11, 9
	s_cbranch_scc0 .LBB111_3157
; %bb.3153:
	global_load_b64 v[30:31], v[32:33], off
	s_mov_b32 s16, 0
	s_branch .LBB111_3158
.LBB111_3154:
	s_mov_b32 s16, -1
                                        ; implicit-def: $vgpr30_vgpr31
	s_branch .LBB111_3176
.LBB111_3155:
	s_mov_b32 s16, -1
                                        ; implicit-def: $vgpr30_vgpr31
	s_branch .LBB111_3164
.LBB111_3156:
	s_mov_b32 s16, -1
                                        ; implicit-def: $vgpr30_vgpr31
	s_branch .LBB111_3161
.LBB111_3157:
	s_mov_b32 s16, -1
                                        ; implicit-def: $vgpr30_vgpr31
.LBB111_3158:
	s_delay_alu instid0(SALU_CYCLE_1)
	s_and_not1_b32 vcc_lo, exec_lo, s16
	s_cbranch_vccnz .LBB111_3160
; %bb.3159:
	global_load_b32 v1, v[32:33], off
	s_wait_loadcnt 0x0
	v_cvt_f64_f32_e32 v[30:31], v1
.LBB111_3160:
	s_mov_b32 s16, 0
.LBB111_3161:
	s_delay_alu instid0(SALU_CYCLE_1)
	s_and_not1_b32 vcc_lo, exec_lo, s16
	s_cbranch_vccnz .LBB111_3163
; %bb.3162:
	global_load_b32 v1, v[32:33], off
	s_wait_loadcnt 0x0
	v_cvt_f32_f16_e32 v1, v1
	s_delay_alu instid0(VALU_DEP_1)
	v_cvt_f64_f32_e32 v[30:31], v1
.LBB111_3163:
	s_mov_b32 s16, 0
.LBB111_3164:
	s_delay_alu instid0(SALU_CYCLE_1)
	s_and_not1_b32 vcc_lo, exec_lo, s16
	s_cbranch_vccnz .LBB111_3175
; %bb.3165:
	s_cmp_lt_i32 s11, 6
	s_cbranch_scc1 .LBB111_3168
; %bb.3166:
	s_cmp_gt_i32 s11, 6
	s_cbranch_scc0 .LBB111_3169
; %bb.3167:
	s_wait_loadcnt 0x0
	global_load_b64 v[30:31], v[32:33], off
	s_mov_b32 s16, 0
	s_branch .LBB111_3170
.LBB111_3168:
	s_mov_b32 s16, -1
                                        ; implicit-def: $vgpr30_vgpr31
	s_branch .LBB111_3173
.LBB111_3169:
	s_mov_b32 s16, -1
                                        ; implicit-def: $vgpr30_vgpr31
.LBB111_3170:
	s_delay_alu instid0(SALU_CYCLE_1)
	s_and_not1_b32 vcc_lo, exec_lo, s16
	s_cbranch_vccnz .LBB111_3172
; %bb.3171:
	global_load_b32 v1, v[32:33], off
	s_wait_loadcnt 0x0
	v_cvt_f64_f32_e32 v[30:31], v1
.LBB111_3172:
	s_mov_b32 s16, 0
.LBB111_3173:
	s_delay_alu instid0(SALU_CYCLE_1)
	s_and_not1_b32 vcc_lo, exec_lo, s16
	s_cbranch_vccnz .LBB111_3175
; %bb.3174:
	global_load_u16 v1, v[32:33], off
	s_wait_loadcnt 0x0
	v_cvt_f32_f16_e32 v1, v1
	s_delay_alu instid0(VALU_DEP_1)
	v_cvt_f64_f32_e32 v[30:31], v1
.LBB111_3175:
	s_mov_b32 s16, 0
.LBB111_3176:
	s_delay_alu instid0(SALU_CYCLE_1)
	s_and_not1_b32 vcc_lo, exec_lo, s16
	s_cbranch_vccnz .LBB111_3196
; %bb.3177:
	s_cmp_lt_i32 s11, 2
	s_cbranch_scc1 .LBB111_3181
; %bb.3178:
	s_cmp_lt_i32 s11, 3
	s_cbranch_scc1 .LBB111_3182
; %bb.3179:
	s_cmp_gt_i32 s11, 3
	s_cbranch_scc0 .LBB111_3183
; %bb.3180:
	s_wait_loadcnt 0x0
	global_load_b64 v[30:31], v[32:33], off
	s_mov_b32 s16, 0
	s_wait_loadcnt 0x0
	v_cvt_f64_i32_e32 v[34:35], v31
	v_cvt_f64_u32_e32 v[30:31], v30
	s_delay_alu instid0(VALU_DEP_2) | instskip(NEXT) | instid1(VALU_DEP_1)
	v_ldexp_f64 v[34:35], v[34:35], 32
	v_add_f64_e32 v[30:31], v[34:35], v[30:31]
	s_branch .LBB111_3184
.LBB111_3181:
	s_mov_b32 s16, -1
                                        ; implicit-def: $vgpr30_vgpr31
	s_branch .LBB111_3190
.LBB111_3182:
	s_mov_b32 s16, -1
                                        ; implicit-def: $vgpr30_vgpr31
	s_branch .LBB111_3187
.LBB111_3183:
	s_mov_b32 s16, -1
                                        ; implicit-def: $vgpr30_vgpr31
.LBB111_3184:
	s_delay_alu instid0(SALU_CYCLE_1)
	s_and_not1_b32 vcc_lo, exec_lo, s16
	s_cbranch_vccnz .LBB111_3186
; %bb.3185:
	global_load_b32 v1, v[32:33], off
	s_wait_loadcnt 0x0
	v_cvt_f64_i32_e32 v[30:31], v1
.LBB111_3186:
	s_mov_b32 s16, 0
.LBB111_3187:
	s_delay_alu instid0(SALU_CYCLE_1)
	s_and_not1_b32 vcc_lo, exec_lo, s16
	s_cbranch_vccnz .LBB111_3189
; %bb.3188:
	global_load_i16 v1, v[32:33], off
	s_wait_loadcnt 0x0
	v_cvt_f64_i32_e32 v[30:31], v1
.LBB111_3189:
	s_mov_b32 s16, 0
.LBB111_3190:
	s_delay_alu instid0(SALU_CYCLE_1)
	s_and_not1_b32 vcc_lo, exec_lo, s16
	s_cbranch_vccnz .LBB111_3196
; %bb.3191:
	s_cmp_gt_i32 s11, 0
	s_mov_b32 s16, 0
	s_cbranch_scc0 .LBB111_3193
; %bb.3192:
	global_load_i8 v1, v[32:33], off
	s_wait_loadcnt 0x0
	v_cvt_f64_i32_e32 v[30:31], v1
	s_branch .LBB111_3194
.LBB111_3193:
	s_mov_b32 s16, -1
                                        ; implicit-def: $vgpr30_vgpr31
.LBB111_3194:
	s_delay_alu instid0(SALU_CYCLE_1)
	s_and_not1_b32 vcc_lo, exec_lo, s16
	s_cbranch_vccnz .LBB111_3196
; %bb.3195:
	global_load_u8 v1, v[32:33], off
	s_wait_loadcnt 0x0
	v_cvt_f64_u32_e32 v[30:31], v1
.LBB111_3196:
	s_mov_b32 s18, -1
.LBB111_3197:
	s_delay_alu instid0(SALU_CYCLE_1)
	s_and_not1_b32 vcc_lo, exec_lo, s18
	s_cbranch_vccnz .LBB111_4155
; %bb.3198:
	v_mov_b32_e32 v25, 0
	s_cmp_lt_i32 s15, 11
	s_wait_xcnt 0x0
	s_delay_alu instid0(VALU_DEP_1)
	v_add_nc_u64_e32 v[32:33], s[8:9], v[24:25]
	s_cbranch_scc1 .LBB111_3205
; %bb.3199:
	s_cmp_gt_i32 s15, 25
	s_mov_b32 s17, 0
	s_cbranch_scc0 .LBB111_3206
; %bb.3200:
	s_cmp_gt_i32 s15, 28
	s_cbranch_scc0 .LBB111_3207
; %bb.3201:
	s_cmp_gt_i32 s15, 43
	;; [unrolled: 3-line block ×3, first 2 shown]
	s_cbranch_scc0 .LBB111_3210
; %bb.3203:
	s_cmp_eq_u32 s15, 46
	s_mov_b32 s19, 0
	s_cbranch_scc0 .LBB111_3211
; %bb.3204:
	global_load_b32 v1, v[32:33], off
	s_mov_b32 s16, 0
	s_mov_b32 s18, -1
	s_wait_loadcnt 0x0
	v_lshlrev_b32_e32 v1, 16, v1
	s_delay_alu instid0(VALU_DEP_1)
	v_cvt_f64_f32_e32 v[24:25], v1
	s_branch .LBB111_3213
.LBB111_3205:
	s_mov_b32 s16, -1
	s_mov_b32 s18, 0
                                        ; implicit-def: $vgpr24_vgpr25
	s_branch .LBB111_3279
.LBB111_3206:
	s_mov_b32 s19, -1
	s_mov_b32 s18, 0
	s_mov_b32 s16, 0
                                        ; implicit-def: $vgpr24_vgpr25
	s_branch .LBB111_3242
.LBB111_3207:
	s_mov_b32 s19, -1
	s_mov_b32 s18, 0
	s_mov_b32 s16, 0
                                        ; implicit-def: $vgpr24_vgpr25
	s_branch .LBB111_3223
.LBB111_3208:
	s_mov_b32 s19, -1
	s_mov_b32 s18, 0
	s_mov_b32 s16, 0
                                        ; implicit-def: $vgpr24_vgpr25
	s_branch .LBB111_3218
.LBB111_3209:
	s_or_b32 s14, s14, exec_lo
	s_trap 2
	s_cbranch_execz .LBB111_3146
	s_branch .LBB111_3147
.LBB111_3210:
	s_mov_b32 s19, -1
	s_mov_b32 s18, 0
	s_mov_b32 s16, 0
	s_branch .LBB111_3212
.LBB111_3211:
	s_mov_b32 s16, -1
	s_mov_b32 s18, 0
.LBB111_3212:
                                        ; implicit-def: $vgpr24_vgpr25
.LBB111_3213:
	s_and_b32 vcc_lo, exec_lo, s19
	s_cbranch_vccz .LBB111_3217
; %bb.3214:
	s_cmp_eq_u32 s15, 44
	s_cbranch_scc0 .LBB111_3216
; %bb.3215:
	global_load_u8 v1, v[32:33], off
	s_mov_b32 s16, 0
	s_mov_b32 s18, -1
	s_wait_loadcnt 0x0
	v_lshlrev_b32_e32 v3, 23, v1
	v_cmp_ne_u32_e32 vcc_lo, 0xff, v1
	s_delay_alu instid0(VALU_DEP_2) | instskip(NEXT) | instid1(VALU_DEP_1)
	v_cvt_f64_f32_e32 v[24:25], v3
	v_cndmask_b32_e32 v3, 0x20000000, v24, vcc_lo
	s_delay_alu instid0(VALU_DEP_2) | instskip(SKIP_1) | instid1(VALU_DEP_2)
	v_cndmask_b32_e32 v5, 0x7ff80000, v25, vcc_lo
	v_cmp_ne_u32_e32 vcc_lo, 0, v1
	v_cndmask_b32_e32 v25, 0x38000000, v5, vcc_lo
	s_delay_alu instid0(VALU_DEP_4)
	v_cndmask_b32_e32 v24, 0, v3, vcc_lo
	s_branch .LBB111_3217
.LBB111_3216:
	s_mov_b32 s16, -1
                                        ; implicit-def: $vgpr24_vgpr25
.LBB111_3217:
	s_mov_b32 s19, 0
.LBB111_3218:
	s_delay_alu instid0(SALU_CYCLE_1)
	s_and_b32 vcc_lo, exec_lo, s19
	s_cbranch_vccz .LBB111_3222
; %bb.3219:
	s_cmp_eq_u32 s15, 29
	s_cbranch_scc0 .LBB111_3221
; %bb.3220:
	global_load_b64 v[24:25], v[32:33], off
	s_mov_b32 s16, 0
	s_mov_b32 s18, -1
	s_mov_b32 s19, 0
	s_wait_loadcnt 0x0
	v_cvt_f64_u32_e32 v[34:35], v25
	v_cvt_f64_u32_e32 v[24:25], v24
	s_delay_alu instid0(VALU_DEP_2) | instskip(NEXT) | instid1(VALU_DEP_1)
	v_ldexp_f64 v[34:35], v[34:35], 32
	v_add_f64_e32 v[24:25], v[34:35], v[24:25]
	s_branch .LBB111_3223
.LBB111_3221:
	s_mov_b32 s16, -1
                                        ; implicit-def: $vgpr24_vgpr25
.LBB111_3222:
	s_mov_b32 s19, 0
.LBB111_3223:
	s_delay_alu instid0(SALU_CYCLE_1)
	s_and_b32 vcc_lo, exec_lo, s19
	s_cbranch_vccz .LBB111_3241
; %bb.3224:
	s_cmp_lt_i32 s15, 27
	s_cbranch_scc1 .LBB111_3227
; %bb.3225:
	s_cmp_gt_i32 s15, 27
	s_cbranch_scc0 .LBB111_3228
; %bb.3226:
	global_load_b32 v1, v[32:33], off
	s_mov_b32 s18, 0
	s_wait_loadcnt 0x0
	v_cvt_f64_u32_e32 v[24:25], v1
	s_branch .LBB111_3229
.LBB111_3227:
	s_mov_b32 s18, -1
                                        ; implicit-def: $vgpr24_vgpr25
	s_branch .LBB111_3232
.LBB111_3228:
	s_mov_b32 s18, -1
                                        ; implicit-def: $vgpr24_vgpr25
.LBB111_3229:
	s_delay_alu instid0(SALU_CYCLE_1)
	s_and_not1_b32 vcc_lo, exec_lo, s18
	s_cbranch_vccnz .LBB111_3231
; %bb.3230:
	global_load_u16 v1, v[32:33], off
	s_wait_loadcnt 0x0
	v_cvt_f64_u32_e32 v[24:25], v1
.LBB111_3231:
	s_mov_b32 s18, 0
.LBB111_3232:
	s_delay_alu instid0(SALU_CYCLE_1)
	s_and_not1_b32 vcc_lo, exec_lo, s18
	s_cbranch_vccnz .LBB111_3240
; %bb.3233:
	global_load_u8 v1, v[32:33], off
	s_mov_b32 s18, 0
	s_mov_b32 s19, exec_lo
	s_wait_loadcnt 0x0
	v_cmpx_lt_i16_e32 0x7f, v1
	s_xor_b32 s19, exec_lo, s19
	s_cbranch_execz .LBB111_3254
; %bb.3234:
	s_mov_b32 s18, -1
	s_mov_b32 s20, exec_lo
	v_cmpx_eq_u16_e32 0x80, v1
; %bb.3235:
	s_xor_b32 s18, exec_lo, -1
; %bb.3236:
	s_or_b32 exec_lo, exec_lo, s20
	s_delay_alu instid0(SALU_CYCLE_1)
	s_and_b32 s18, s18, exec_lo
	s_or_saveexec_b32 s19, s19
	v_mov_b64_e32 v[24:25], 0x7ff8000020000000
	s_xor_b32 exec_lo, exec_lo, s19
	s_cbranch_execnz .LBB111_3255
.LBB111_3237:
	s_or_b32 exec_lo, exec_lo, s19
	s_and_saveexec_b32 s19, s18
	s_cbranch_execz .LBB111_3239
.LBB111_3238:
	v_and_b32_e32 v3, 0xffff, v1
	s_delay_alu instid0(VALU_DEP_1) | instskip(SKIP_1) | instid1(VALU_DEP_2)
	v_dual_lshlrev_b32 v1, 24, v1 :: v_dual_bitop2_b32 v5, 7, v3 bitop3:0x40
	v_bfe_u32 v15, v3, 3, 4
	v_and_b32_e32 v1, 0x80000000, v1
	s_delay_alu instid0(VALU_DEP_3) | instskip(NEXT) | instid1(VALU_DEP_3)
	v_clz_i32_u32_e32 v7, v5
	v_cmp_eq_u32_e32 vcc_lo, 0, v15
	s_delay_alu instid0(VALU_DEP_2) | instskip(NEXT) | instid1(VALU_DEP_1)
	v_min_u32_e32 v7, 32, v7
	v_subrev_nc_u32_e32 v9, 28, v7
	v_sub_nc_u32_e32 v7, 29, v7
	s_delay_alu instid0(VALU_DEP_2) | instskip(NEXT) | instid1(VALU_DEP_2)
	v_lshlrev_b32_e32 v3, v9, v3
	v_cndmask_b32_e32 v7, v15, v7, vcc_lo
	s_delay_alu instid0(VALU_DEP_2) | instskip(NEXT) | instid1(VALU_DEP_1)
	v_and_b32_e32 v3, 7, v3
	v_cndmask_b32_e32 v3, v5, v3, vcc_lo
	s_delay_alu instid0(VALU_DEP_3) | instskip(NEXT) | instid1(VALU_DEP_2)
	v_lshl_add_u32 v5, v7, 23, 0x3b800000
	v_lshlrev_b32_e32 v3, 20, v3
	s_delay_alu instid0(VALU_DEP_1) | instskip(NEXT) | instid1(VALU_DEP_1)
	v_or3_b32 v1, v1, v5, v3
	v_cvt_f64_f32_e32 v[24:25], v1
.LBB111_3239:
	s_or_b32 exec_lo, exec_lo, s19
.LBB111_3240:
	s_mov_b32 s18, -1
.LBB111_3241:
	s_mov_b32 s19, 0
.LBB111_3242:
	s_delay_alu instid0(SALU_CYCLE_1)
	s_and_b32 vcc_lo, exec_lo, s19
	s_cbranch_vccz .LBB111_3275
; %bb.3243:
	s_cmp_gt_i32 s15, 22
	s_cbranch_scc0 .LBB111_3253
; %bb.3244:
	s_cmp_lt_i32 s15, 24
	s_cbranch_scc1 .LBB111_3256
; %bb.3245:
	s_cmp_gt_i32 s15, 24
	s_cbranch_scc0 .LBB111_3257
; %bb.3246:
	global_load_u8 v1, v[32:33], off
	s_mov_b32 s18, exec_lo
	s_wait_loadcnt 0x0
	v_cmpx_lt_i16_e32 0x7f, v1
	s_xor_b32 s18, exec_lo, s18
	s_cbranch_execz .LBB111_3269
; %bb.3247:
	s_mov_b32 s17, -1
	s_mov_b32 s19, exec_lo
	v_cmpx_eq_u16_e32 0x80, v1
; %bb.3248:
	s_xor_b32 s17, exec_lo, -1
; %bb.3249:
	s_or_b32 exec_lo, exec_lo, s19
	s_delay_alu instid0(SALU_CYCLE_1)
	s_and_b32 s17, s17, exec_lo
	s_or_saveexec_b32 s18, s18
	v_mov_b64_e32 v[24:25], 0x7ff8000020000000
	s_xor_b32 exec_lo, exec_lo, s18
	s_cbranch_execnz .LBB111_3270
.LBB111_3250:
	s_or_b32 exec_lo, exec_lo, s18
	s_and_saveexec_b32 s18, s17
	s_cbranch_execz .LBB111_3252
.LBB111_3251:
	v_and_b32_e32 v3, 0xffff, v1
	s_delay_alu instid0(VALU_DEP_1) | instskip(SKIP_1) | instid1(VALU_DEP_2)
	v_dual_lshlrev_b32 v1, 24, v1 :: v_dual_bitop2_b32 v5, 3, v3 bitop3:0x40
	v_bfe_u32 v15, v3, 2, 5
	v_and_b32_e32 v1, 0x80000000, v1
	s_delay_alu instid0(VALU_DEP_3) | instskip(NEXT) | instid1(VALU_DEP_3)
	v_clz_i32_u32_e32 v7, v5
	v_cmp_eq_u32_e32 vcc_lo, 0, v15
	s_delay_alu instid0(VALU_DEP_2) | instskip(NEXT) | instid1(VALU_DEP_1)
	v_min_u32_e32 v7, 32, v7
	v_subrev_nc_u32_e32 v9, 29, v7
	v_sub_nc_u32_e32 v7, 30, v7
	s_delay_alu instid0(VALU_DEP_2) | instskip(NEXT) | instid1(VALU_DEP_2)
	v_lshlrev_b32_e32 v3, v9, v3
	v_cndmask_b32_e32 v7, v15, v7, vcc_lo
	s_delay_alu instid0(VALU_DEP_2) | instskip(NEXT) | instid1(VALU_DEP_1)
	v_and_b32_e32 v3, 3, v3
	v_cndmask_b32_e32 v3, v5, v3, vcc_lo
	s_delay_alu instid0(VALU_DEP_3) | instskip(NEXT) | instid1(VALU_DEP_2)
	v_lshl_add_u32 v5, v7, 23, 0x37800000
	v_lshlrev_b32_e32 v3, 21, v3
	s_delay_alu instid0(VALU_DEP_1) | instskip(NEXT) | instid1(VALU_DEP_1)
	v_or3_b32 v1, v1, v5, v3
	v_cvt_f64_f32_e32 v[24:25], v1
.LBB111_3252:
	s_or_b32 exec_lo, exec_lo, s18
	s_mov_b32 s17, 0
	s_branch .LBB111_3258
.LBB111_3253:
	s_mov_b32 s17, -1
                                        ; implicit-def: $vgpr24_vgpr25
	s_branch .LBB111_3264
.LBB111_3254:
	s_or_saveexec_b32 s19, s19
	v_mov_b64_e32 v[24:25], 0x7ff8000020000000
	s_xor_b32 exec_lo, exec_lo, s19
	s_cbranch_execz .LBB111_3237
.LBB111_3255:
	v_cmp_ne_u16_e32 vcc_lo, 0, v1
	v_mov_b64_e32 v[24:25], 0
	s_and_not1_b32 s18, s18, exec_lo
	s_and_b32 s20, vcc_lo, exec_lo
	s_delay_alu instid0(SALU_CYCLE_1)
	s_or_b32 s18, s18, s20
	s_or_b32 exec_lo, exec_lo, s19
	s_and_saveexec_b32 s19, s18
	s_cbranch_execnz .LBB111_3238
	s_branch .LBB111_3239
.LBB111_3256:
	s_mov_b32 s17, -1
                                        ; implicit-def: $vgpr24_vgpr25
	s_branch .LBB111_3261
.LBB111_3257:
	s_mov_b32 s17, -1
                                        ; implicit-def: $vgpr24_vgpr25
.LBB111_3258:
	s_delay_alu instid0(SALU_CYCLE_1)
	s_and_b32 vcc_lo, exec_lo, s17
	s_cbranch_vccz .LBB111_3260
; %bb.3259:
	global_load_u8 v1, v[32:33], off
	s_wait_loadcnt 0x0
	v_lshlrev_b32_e32 v1, 24, v1
	s_delay_alu instid0(VALU_DEP_1) | instskip(NEXT) | instid1(VALU_DEP_1)
	v_and_b32_e32 v3, 0x7f000000, v1
	v_clz_i32_u32_e32 v5, v3
	v_add_nc_u32_e32 v9, 0x1000000, v3
	v_cmp_ne_u32_e32 vcc_lo, 0, v3
	s_delay_alu instid0(VALU_DEP_3) | instskip(NEXT) | instid1(VALU_DEP_1)
	v_min_u32_e32 v5, 32, v5
	v_sub_nc_u32_e64 v5, v5, 4 clamp
	s_delay_alu instid0(VALU_DEP_1) | instskip(NEXT) | instid1(VALU_DEP_1)
	v_dual_lshlrev_b32 v7, v5, v3 :: v_dual_lshlrev_b32 v5, 23, v5
	v_lshrrev_b32_e32 v7, 4, v7
	s_delay_alu instid0(VALU_DEP_1) | instskip(SKIP_1) | instid1(VALU_DEP_2)
	v_sub_nc_u32_e32 v5, v7, v5
	v_ashrrev_i32_e32 v7, 8, v9
	v_add_nc_u32_e32 v5, 0x3c000000, v5
	s_delay_alu instid0(VALU_DEP_1) | instskip(NEXT) | instid1(VALU_DEP_1)
	v_and_or_b32 v5, 0x7f800000, v7, v5
	v_cndmask_b32_e32 v3, 0, v5, vcc_lo
	s_delay_alu instid0(VALU_DEP_1) | instskip(NEXT) | instid1(VALU_DEP_1)
	v_and_or_b32 v1, 0x80000000, v1, v3
	v_cvt_f64_f32_e32 v[24:25], v1
.LBB111_3260:
	s_mov_b32 s17, 0
.LBB111_3261:
	s_delay_alu instid0(SALU_CYCLE_1)
	s_and_not1_b32 vcc_lo, exec_lo, s17
	s_cbranch_vccnz .LBB111_3263
; %bb.3262:
	global_load_u8 v1, v[32:33], off
	s_wait_loadcnt 0x0
	v_lshlrev_b32_e32 v3, 25, v1
	v_lshlrev_b16 v1, 8, v1
	s_delay_alu instid0(VALU_DEP_1) | instskip(SKIP_1) | instid1(VALU_DEP_2)
	v_and_or_b32 v7, 0x7f00, v1, 0.5
	v_bfe_i32 v1, v1, 0, 16
	v_add_f32_e32 v7, -0.5, v7
	v_lshrrev_b32_e32 v5, 4, v3
	v_cmp_gt_u32_e32 vcc_lo, 0x8000000, v3
	s_delay_alu instid0(VALU_DEP_2) | instskip(NEXT) | instid1(VALU_DEP_1)
	v_or_b32_e32 v5, 0x70000000, v5
	v_mul_f32_e32 v5, 0x7800000, v5
	s_delay_alu instid0(VALU_DEP_1) | instskip(NEXT) | instid1(VALU_DEP_1)
	v_cndmask_b32_e32 v3, v5, v7, vcc_lo
	v_and_or_b32 v1, 0x80000000, v1, v3
	s_delay_alu instid0(VALU_DEP_1)
	v_cvt_f64_f32_e32 v[24:25], v1
.LBB111_3263:
	s_mov_b32 s17, 0
	s_mov_b32 s18, -1
.LBB111_3264:
	s_and_not1_b32 vcc_lo, exec_lo, s17
	s_mov_b32 s17, 0
	s_cbranch_vccnz .LBB111_3275
; %bb.3265:
	s_cmp_gt_i32 s15, 14
	s_cbranch_scc0 .LBB111_3268
; %bb.3266:
	s_cmp_eq_u32 s15, 15
	s_cbranch_scc0 .LBB111_3271
; %bb.3267:
	global_load_u16 v1, v[32:33], off
	s_mov_b32 s16, 0
	s_mov_b32 s18, -1
	s_wait_loadcnt 0x0
	v_lshlrev_b32_e32 v1, 16, v1
	s_delay_alu instid0(VALU_DEP_1)
	v_cvt_f64_f32_e32 v[24:25], v1
	s_branch .LBB111_3273
.LBB111_3268:
	s_mov_b32 s17, -1
	s_branch .LBB111_3272
.LBB111_3269:
	s_or_saveexec_b32 s18, s18
	v_mov_b64_e32 v[24:25], 0x7ff8000020000000
	s_xor_b32 exec_lo, exec_lo, s18
	s_cbranch_execz .LBB111_3250
.LBB111_3270:
	v_cmp_ne_u16_e32 vcc_lo, 0, v1
	v_mov_b64_e32 v[24:25], 0
	s_and_not1_b32 s17, s17, exec_lo
	s_and_b32 s19, vcc_lo, exec_lo
	s_delay_alu instid0(SALU_CYCLE_1)
	s_or_b32 s17, s17, s19
	s_or_b32 exec_lo, exec_lo, s18
	s_and_saveexec_b32 s18, s17
	s_cbranch_execnz .LBB111_3251
	s_branch .LBB111_3252
.LBB111_3271:
	s_mov_b32 s16, -1
.LBB111_3272:
                                        ; implicit-def: $vgpr24_vgpr25
.LBB111_3273:
	s_and_b32 vcc_lo, exec_lo, s17
	s_mov_b32 s17, 0
	s_cbranch_vccz .LBB111_3275
; %bb.3274:
	s_cmp_lg_u32 s15, 11
	s_mov_b32 s17, -1
	s_cselect_b32 s16, -1, 0
.LBB111_3275:
	s_delay_alu instid0(SALU_CYCLE_1)
	s_and_b32 vcc_lo, exec_lo, s16
	s_cbranch_vccnz .LBB111_3340
; %bb.3276:
	s_and_not1_b32 vcc_lo, exec_lo, s17
	s_cbranch_vccnz .LBB111_3278
.LBB111_3277:
	global_load_u8 v1, v[32:33], off
	v_mov_b32_e32 v24, 0
	s_mov_b32 s18, -1
	s_wait_loadcnt 0x0
	v_cmp_ne_u16_e32 vcc_lo, 0, v1
	v_cndmask_b32_e64 v25, 0, 0x3ff00000, vcc_lo
.LBB111_3278:
	s_mov_b32 s16, 0
.LBB111_3279:
	s_delay_alu instid0(SALU_CYCLE_1)
	s_and_b32 vcc_lo, exec_lo, s16
	s_cbranch_vccz .LBB111_3328
; %bb.3280:
	s_cmp_lt_i32 s15, 5
	s_cbranch_scc1 .LBB111_3285
; %bb.3281:
	s_cmp_lt_i32 s15, 8
	s_cbranch_scc1 .LBB111_3286
	;; [unrolled: 3-line block ×3, first 2 shown]
; %bb.3283:
	s_cmp_gt_i32 s15, 9
	s_cbranch_scc0 .LBB111_3288
; %bb.3284:
	global_load_b64 v[24:25], v[32:33], off
	s_mov_b32 s16, 0
	s_branch .LBB111_3289
.LBB111_3285:
	s_mov_b32 s16, -1
                                        ; implicit-def: $vgpr24_vgpr25
	s_branch .LBB111_3307
.LBB111_3286:
	s_mov_b32 s16, -1
                                        ; implicit-def: $vgpr24_vgpr25
	s_branch .LBB111_3295
.LBB111_3287:
	s_mov_b32 s16, -1
                                        ; implicit-def: $vgpr24_vgpr25
	s_branch .LBB111_3292
.LBB111_3288:
	s_mov_b32 s16, -1
                                        ; implicit-def: $vgpr24_vgpr25
.LBB111_3289:
	s_delay_alu instid0(SALU_CYCLE_1)
	s_and_not1_b32 vcc_lo, exec_lo, s16
	s_cbranch_vccnz .LBB111_3291
; %bb.3290:
	global_load_b32 v1, v[32:33], off
	s_wait_loadcnt 0x0
	v_cvt_f64_f32_e32 v[24:25], v1
.LBB111_3291:
	s_mov_b32 s16, 0
.LBB111_3292:
	s_delay_alu instid0(SALU_CYCLE_1)
	s_and_not1_b32 vcc_lo, exec_lo, s16
	s_cbranch_vccnz .LBB111_3294
; %bb.3293:
	global_load_b32 v1, v[32:33], off
	s_wait_loadcnt 0x0
	v_cvt_f32_f16_e32 v1, v1
	s_delay_alu instid0(VALU_DEP_1)
	v_cvt_f64_f32_e32 v[24:25], v1
.LBB111_3294:
	s_mov_b32 s16, 0
.LBB111_3295:
	s_delay_alu instid0(SALU_CYCLE_1)
	s_and_not1_b32 vcc_lo, exec_lo, s16
	s_cbranch_vccnz .LBB111_3306
; %bb.3296:
	s_cmp_lt_i32 s15, 6
	s_cbranch_scc1 .LBB111_3299
; %bb.3297:
	s_cmp_gt_i32 s15, 6
	s_cbranch_scc0 .LBB111_3300
; %bb.3298:
	s_wait_loadcnt 0x0
	global_load_b64 v[24:25], v[32:33], off
	s_mov_b32 s16, 0
	s_branch .LBB111_3301
.LBB111_3299:
	s_mov_b32 s16, -1
                                        ; implicit-def: $vgpr24_vgpr25
	s_branch .LBB111_3304
.LBB111_3300:
	s_mov_b32 s16, -1
                                        ; implicit-def: $vgpr24_vgpr25
.LBB111_3301:
	s_delay_alu instid0(SALU_CYCLE_1)
	s_and_not1_b32 vcc_lo, exec_lo, s16
	s_cbranch_vccnz .LBB111_3303
; %bb.3302:
	global_load_b32 v1, v[32:33], off
	s_wait_loadcnt 0x0
	v_cvt_f64_f32_e32 v[24:25], v1
.LBB111_3303:
	s_mov_b32 s16, 0
.LBB111_3304:
	s_delay_alu instid0(SALU_CYCLE_1)
	s_and_not1_b32 vcc_lo, exec_lo, s16
	s_cbranch_vccnz .LBB111_3306
; %bb.3305:
	global_load_u16 v1, v[32:33], off
	s_wait_loadcnt 0x0
	v_cvt_f32_f16_e32 v1, v1
	s_delay_alu instid0(VALU_DEP_1)
	v_cvt_f64_f32_e32 v[24:25], v1
.LBB111_3306:
	s_mov_b32 s16, 0
.LBB111_3307:
	s_delay_alu instid0(SALU_CYCLE_1)
	s_and_not1_b32 vcc_lo, exec_lo, s16
	s_cbranch_vccnz .LBB111_3327
; %bb.3308:
	s_cmp_lt_i32 s15, 2
	s_cbranch_scc1 .LBB111_3312
; %bb.3309:
	s_cmp_lt_i32 s15, 3
	s_cbranch_scc1 .LBB111_3313
; %bb.3310:
	s_cmp_gt_i32 s15, 3
	s_cbranch_scc0 .LBB111_3314
; %bb.3311:
	s_wait_loadcnt 0x0
	global_load_b64 v[24:25], v[32:33], off
	s_mov_b32 s16, 0
	s_wait_loadcnt 0x0
	v_cvt_f64_i32_e32 v[34:35], v25
	v_cvt_f64_u32_e32 v[24:25], v24
	s_delay_alu instid0(VALU_DEP_2) | instskip(NEXT) | instid1(VALU_DEP_1)
	v_ldexp_f64 v[34:35], v[34:35], 32
	v_add_f64_e32 v[24:25], v[34:35], v[24:25]
	s_branch .LBB111_3315
.LBB111_3312:
	s_mov_b32 s16, -1
                                        ; implicit-def: $vgpr24_vgpr25
	s_branch .LBB111_3321
.LBB111_3313:
	s_mov_b32 s16, -1
                                        ; implicit-def: $vgpr24_vgpr25
	s_branch .LBB111_3318
.LBB111_3314:
	s_mov_b32 s16, -1
                                        ; implicit-def: $vgpr24_vgpr25
.LBB111_3315:
	s_delay_alu instid0(SALU_CYCLE_1)
	s_and_not1_b32 vcc_lo, exec_lo, s16
	s_cbranch_vccnz .LBB111_3317
; %bb.3316:
	global_load_b32 v1, v[32:33], off
	s_wait_loadcnt 0x0
	v_cvt_f64_i32_e32 v[24:25], v1
.LBB111_3317:
	s_mov_b32 s16, 0
.LBB111_3318:
	s_delay_alu instid0(SALU_CYCLE_1)
	s_and_not1_b32 vcc_lo, exec_lo, s16
	s_cbranch_vccnz .LBB111_3320
; %bb.3319:
	global_load_i16 v1, v[32:33], off
	s_wait_loadcnt 0x0
	v_cvt_f64_i32_e32 v[24:25], v1
.LBB111_3320:
	s_mov_b32 s16, 0
.LBB111_3321:
	s_delay_alu instid0(SALU_CYCLE_1)
	s_and_not1_b32 vcc_lo, exec_lo, s16
	s_cbranch_vccnz .LBB111_3327
; %bb.3322:
	s_cmp_gt_i32 s15, 0
	s_mov_b32 s16, 0
	s_cbranch_scc0 .LBB111_3324
; %bb.3323:
	global_load_i8 v1, v[32:33], off
	s_wait_loadcnt 0x0
	v_cvt_f64_i32_e32 v[24:25], v1
	s_branch .LBB111_3325
.LBB111_3324:
	s_mov_b32 s16, -1
                                        ; implicit-def: $vgpr24_vgpr25
.LBB111_3325:
	s_delay_alu instid0(SALU_CYCLE_1)
	s_and_not1_b32 vcc_lo, exec_lo, s16
	s_cbranch_vccnz .LBB111_3327
; %bb.3326:
	global_load_u8 v1, v[32:33], off
	s_wait_loadcnt 0x0
	v_cvt_f64_u32_e32 v[24:25], v1
.LBB111_3327:
	s_mov_b32 s18, -1
.LBB111_3328:
	s_delay_alu instid0(SALU_CYCLE_1)
	s_and_not1_b32 vcc_lo, exec_lo, s18
	s_cbranch_vccnz .LBB111_4155
; %bb.3329:
	v_mov_b32_e32 v21, 0
	s_cmp_lt_i32 s10, 11
	s_wait_xcnt 0x0
	s_delay_alu instid0(VALU_DEP_1)
	v_add_nc_u64_e32 v[32:33], s[6:7], v[20:21]
	s_cbranch_scc1 .LBB111_3336
; %bb.3330:
	s_cmp_gt_i32 s10, 25
	s_mov_b32 s7, 0
	s_cbranch_scc0 .LBB111_3337
; %bb.3331:
	s_cmp_gt_i32 s10, 28
	s_cbranch_scc0 .LBB111_3338
; %bb.3332:
	s_cmp_gt_i32 s10, 43
	s_cbranch_scc0 .LBB111_3339
; %bb.3333:
	s_cmp_gt_i32 s10, 45
	s_cbranch_scc0 .LBB111_3341
; %bb.3334:
	s_cmp_eq_u32 s10, 46
	s_mov_b32 s17, 0
	s_cbranch_scc0 .LBB111_3342
; %bb.3335:
	global_load_b32 v1, v[32:33], off
	s_mov_b32 s6, 0
	s_mov_b32 s16, -1
	s_wait_loadcnt 0x0
	v_lshlrev_b32_e32 v1, 16, v1
	s_delay_alu instid0(VALU_DEP_1)
	v_cvt_f64_f32_e32 v[20:21], v1
	s_branch .LBB111_3344
.LBB111_3336:
	s_mov_b32 s6, -1
	s_mov_b32 s16, 0
                                        ; implicit-def: $vgpr20_vgpr21
	s_branch .LBB111_3410
.LBB111_3337:
	s_mov_b32 s17, -1
	s_mov_b32 s16, 0
	s_mov_b32 s6, 0
                                        ; implicit-def: $vgpr20_vgpr21
	s_branch .LBB111_3373
.LBB111_3338:
	s_mov_b32 s17, -1
	s_mov_b32 s16, 0
	s_mov_b32 s6, 0
                                        ; implicit-def: $vgpr20_vgpr21
	s_branch .LBB111_3354
.LBB111_3339:
	s_mov_b32 s17, -1
	s_mov_b32 s16, 0
	s_mov_b32 s6, 0
                                        ; implicit-def: $vgpr20_vgpr21
	s_branch .LBB111_3349
.LBB111_3340:
	s_or_b32 s14, s14, exec_lo
	s_trap 2
	s_cbranch_execz .LBB111_3277
	s_branch .LBB111_3278
.LBB111_3341:
	s_mov_b32 s17, -1
	s_mov_b32 s16, 0
	s_mov_b32 s6, 0
	s_branch .LBB111_3343
.LBB111_3342:
	s_mov_b32 s6, -1
	s_mov_b32 s16, 0
.LBB111_3343:
                                        ; implicit-def: $vgpr20_vgpr21
.LBB111_3344:
	s_and_b32 vcc_lo, exec_lo, s17
	s_cbranch_vccz .LBB111_3348
; %bb.3345:
	s_cmp_eq_u32 s10, 44
	s_cbranch_scc0 .LBB111_3347
; %bb.3346:
	global_load_u8 v1, v[32:33], off
	s_mov_b32 s6, 0
	s_mov_b32 s16, -1
	s_wait_loadcnt 0x0
	v_lshlrev_b32_e32 v3, 23, v1
	v_cmp_ne_u32_e32 vcc_lo, 0xff, v1
	s_delay_alu instid0(VALU_DEP_2) | instskip(NEXT) | instid1(VALU_DEP_1)
	v_cvt_f64_f32_e32 v[20:21], v3
	v_cndmask_b32_e32 v3, 0x20000000, v20, vcc_lo
	s_delay_alu instid0(VALU_DEP_2) | instskip(SKIP_1) | instid1(VALU_DEP_2)
	v_cndmask_b32_e32 v5, 0x7ff80000, v21, vcc_lo
	v_cmp_ne_u32_e32 vcc_lo, 0, v1
	v_cndmask_b32_e32 v21, 0x38000000, v5, vcc_lo
	s_delay_alu instid0(VALU_DEP_4)
	v_cndmask_b32_e32 v20, 0, v3, vcc_lo
	s_branch .LBB111_3348
.LBB111_3347:
	s_mov_b32 s6, -1
                                        ; implicit-def: $vgpr20_vgpr21
.LBB111_3348:
	s_mov_b32 s17, 0
.LBB111_3349:
	s_delay_alu instid0(SALU_CYCLE_1)
	s_and_b32 vcc_lo, exec_lo, s17
	s_cbranch_vccz .LBB111_3353
; %bb.3350:
	s_cmp_eq_u32 s10, 29
	s_cbranch_scc0 .LBB111_3352
; %bb.3351:
	global_load_b64 v[20:21], v[32:33], off
	s_mov_b32 s6, 0
	s_mov_b32 s16, -1
	s_mov_b32 s17, 0
	s_wait_loadcnt 0x0
	v_cvt_f64_u32_e32 v[34:35], v21
	v_cvt_f64_u32_e32 v[20:21], v20
	s_delay_alu instid0(VALU_DEP_2) | instskip(NEXT) | instid1(VALU_DEP_1)
	v_ldexp_f64 v[34:35], v[34:35], 32
	v_add_f64_e32 v[20:21], v[34:35], v[20:21]
	s_branch .LBB111_3354
.LBB111_3352:
	s_mov_b32 s6, -1
                                        ; implicit-def: $vgpr20_vgpr21
.LBB111_3353:
	s_mov_b32 s17, 0
.LBB111_3354:
	s_delay_alu instid0(SALU_CYCLE_1)
	s_and_b32 vcc_lo, exec_lo, s17
	s_cbranch_vccz .LBB111_3372
; %bb.3355:
	s_cmp_lt_i32 s10, 27
	s_cbranch_scc1 .LBB111_3358
; %bb.3356:
	s_cmp_gt_i32 s10, 27
	s_cbranch_scc0 .LBB111_3359
; %bb.3357:
	global_load_b32 v1, v[32:33], off
	s_mov_b32 s16, 0
	s_wait_loadcnt 0x0
	v_cvt_f64_u32_e32 v[20:21], v1
	s_branch .LBB111_3360
.LBB111_3358:
	s_mov_b32 s16, -1
                                        ; implicit-def: $vgpr20_vgpr21
	s_branch .LBB111_3363
.LBB111_3359:
	s_mov_b32 s16, -1
                                        ; implicit-def: $vgpr20_vgpr21
.LBB111_3360:
	s_delay_alu instid0(SALU_CYCLE_1)
	s_and_not1_b32 vcc_lo, exec_lo, s16
	s_cbranch_vccnz .LBB111_3362
; %bb.3361:
	global_load_u16 v1, v[32:33], off
	s_wait_loadcnt 0x0
	v_cvt_f64_u32_e32 v[20:21], v1
.LBB111_3362:
	s_mov_b32 s16, 0
.LBB111_3363:
	s_delay_alu instid0(SALU_CYCLE_1)
	s_and_not1_b32 vcc_lo, exec_lo, s16
	s_cbranch_vccnz .LBB111_3371
; %bb.3364:
	global_load_u8 v1, v[32:33], off
	s_mov_b32 s16, 0
	s_mov_b32 s17, exec_lo
	s_wait_loadcnt 0x0
	v_cmpx_lt_i16_e32 0x7f, v1
	s_xor_b32 s17, exec_lo, s17
	s_cbranch_execz .LBB111_3385
; %bb.3365:
	s_mov_b32 s16, -1
	s_mov_b32 s18, exec_lo
	v_cmpx_eq_u16_e32 0x80, v1
; %bb.3366:
	s_xor_b32 s16, exec_lo, -1
; %bb.3367:
	s_or_b32 exec_lo, exec_lo, s18
	s_delay_alu instid0(SALU_CYCLE_1)
	s_and_b32 s16, s16, exec_lo
	s_or_saveexec_b32 s17, s17
	v_mov_b64_e32 v[20:21], 0x7ff8000020000000
	s_xor_b32 exec_lo, exec_lo, s17
	s_cbranch_execnz .LBB111_3386
.LBB111_3368:
	s_or_b32 exec_lo, exec_lo, s17
	s_and_saveexec_b32 s17, s16
	s_cbranch_execz .LBB111_3370
.LBB111_3369:
	v_and_b32_e32 v3, 0xffff, v1
	s_delay_alu instid0(VALU_DEP_1) | instskip(SKIP_1) | instid1(VALU_DEP_2)
	v_dual_lshlrev_b32 v1, 24, v1 :: v_dual_bitop2_b32 v5, 7, v3 bitop3:0x40
	v_bfe_u32 v15, v3, 3, 4
	v_and_b32_e32 v1, 0x80000000, v1
	s_delay_alu instid0(VALU_DEP_3) | instskip(NEXT) | instid1(VALU_DEP_3)
	v_clz_i32_u32_e32 v7, v5
	v_cmp_eq_u32_e32 vcc_lo, 0, v15
	s_delay_alu instid0(VALU_DEP_2) | instskip(NEXT) | instid1(VALU_DEP_1)
	v_min_u32_e32 v7, 32, v7
	v_subrev_nc_u32_e32 v9, 28, v7
	v_sub_nc_u32_e32 v7, 29, v7
	s_delay_alu instid0(VALU_DEP_2) | instskip(NEXT) | instid1(VALU_DEP_2)
	v_lshlrev_b32_e32 v3, v9, v3
	v_cndmask_b32_e32 v7, v15, v7, vcc_lo
	s_delay_alu instid0(VALU_DEP_2) | instskip(NEXT) | instid1(VALU_DEP_1)
	v_and_b32_e32 v3, 7, v3
	v_cndmask_b32_e32 v3, v5, v3, vcc_lo
	s_delay_alu instid0(VALU_DEP_3) | instskip(NEXT) | instid1(VALU_DEP_2)
	v_lshl_add_u32 v5, v7, 23, 0x3b800000
	v_lshlrev_b32_e32 v3, 20, v3
	s_delay_alu instid0(VALU_DEP_1) | instskip(NEXT) | instid1(VALU_DEP_1)
	v_or3_b32 v1, v1, v5, v3
	v_cvt_f64_f32_e32 v[20:21], v1
.LBB111_3370:
	s_or_b32 exec_lo, exec_lo, s17
.LBB111_3371:
	s_mov_b32 s16, -1
.LBB111_3372:
	s_mov_b32 s17, 0
.LBB111_3373:
	s_delay_alu instid0(SALU_CYCLE_1)
	s_and_b32 vcc_lo, exec_lo, s17
	s_cbranch_vccz .LBB111_3406
; %bb.3374:
	s_cmp_gt_i32 s10, 22
	s_cbranch_scc0 .LBB111_3384
; %bb.3375:
	s_cmp_lt_i32 s10, 24
	s_cbranch_scc1 .LBB111_3387
; %bb.3376:
	s_cmp_gt_i32 s10, 24
	s_cbranch_scc0 .LBB111_3388
; %bb.3377:
	global_load_u8 v1, v[32:33], off
	s_mov_b32 s16, exec_lo
	s_wait_loadcnt 0x0
	v_cmpx_lt_i16_e32 0x7f, v1
	s_xor_b32 s16, exec_lo, s16
	s_cbranch_execz .LBB111_3400
; %bb.3378:
	s_mov_b32 s7, -1
	s_mov_b32 s17, exec_lo
	v_cmpx_eq_u16_e32 0x80, v1
; %bb.3379:
	s_xor_b32 s7, exec_lo, -1
; %bb.3380:
	s_or_b32 exec_lo, exec_lo, s17
	s_delay_alu instid0(SALU_CYCLE_1)
	s_and_b32 s7, s7, exec_lo
	s_or_saveexec_b32 s16, s16
	v_mov_b64_e32 v[20:21], 0x7ff8000020000000
	s_xor_b32 exec_lo, exec_lo, s16
	s_cbranch_execnz .LBB111_3401
.LBB111_3381:
	s_or_b32 exec_lo, exec_lo, s16
	s_and_saveexec_b32 s16, s7
	s_cbranch_execz .LBB111_3383
.LBB111_3382:
	v_and_b32_e32 v3, 0xffff, v1
	s_delay_alu instid0(VALU_DEP_1) | instskip(SKIP_1) | instid1(VALU_DEP_2)
	v_dual_lshlrev_b32 v1, 24, v1 :: v_dual_bitop2_b32 v5, 3, v3 bitop3:0x40
	v_bfe_u32 v15, v3, 2, 5
	v_and_b32_e32 v1, 0x80000000, v1
	s_delay_alu instid0(VALU_DEP_3) | instskip(NEXT) | instid1(VALU_DEP_3)
	v_clz_i32_u32_e32 v7, v5
	v_cmp_eq_u32_e32 vcc_lo, 0, v15
	s_delay_alu instid0(VALU_DEP_2) | instskip(NEXT) | instid1(VALU_DEP_1)
	v_min_u32_e32 v7, 32, v7
	v_subrev_nc_u32_e32 v9, 29, v7
	v_sub_nc_u32_e32 v7, 30, v7
	s_delay_alu instid0(VALU_DEP_2) | instskip(NEXT) | instid1(VALU_DEP_2)
	v_lshlrev_b32_e32 v3, v9, v3
	v_cndmask_b32_e32 v7, v15, v7, vcc_lo
	s_delay_alu instid0(VALU_DEP_2) | instskip(NEXT) | instid1(VALU_DEP_1)
	v_and_b32_e32 v3, 3, v3
	v_cndmask_b32_e32 v3, v5, v3, vcc_lo
	s_delay_alu instid0(VALU_DEP_3) | instskip(NEXT) | instid1(VALU_DEP_2)
	v_lshl_add_u32 v5, v7, 23, 0x37800000
	v_lshlrev_b32_e32 v3, 21, v3
	s_delay_alu instid0(VALU_DEP_1) | instskip(NEXT) | instid1(VALU_DEP_1)
	v_or3_b32 v1, v1, v5, v3
	v_cvt_f64_f32_e32 v[20:21], v1
.LBB111_3383:
	s_or_b32 exec_lo, exec_lo, s16
	s_mov_b32 s7, 0
	s_branch .LBB111_3389
.LBB111_3384:
	s_mov_b32 s7, -1
                                        ; implicit-def: $vgpr20_vgpr21
	s_branch .LBB111_3395
.LBB111_3385:
	s_or_saveexec_b32 s17, s17
	v_mov_b64_e32 v[20:21], 0x7ff8000020000000
	s_xor_b32 exec_lo, exec_lo, s17
	s_cbranch_execz .LBB111_3368
.LBB111_3386:
	v_cmp_ne_u16_e32 vcc_lo, 0, v1
	v_mov_b64_e32 v[20:21], 0
	s_and_not1_b32 s16, s16, exec_lo
	s_and_b32 s18, vcc_lo, exec_lo
	s_delay_alu instid0(SALU_CYCLE_1)
	s_or_b32 s16, s16, s18
	s_or_b32 exec_lo, exec_lo, s17
	s_and_saveexec_b32 s17, s16
	s_cbranch_execnz .LBB111_3369
	s_branch .LBB111_3370
.LBB111_3387:
	s_mov_b32 s7, -1
                                        ; implicit-def: $vgpr20_vgpr21
	s_branch .LBB111_3392
.LBB111_3388:
	s_mov_b32 s7, -1
                                        ; implicit-def: $vgpr20_vgpr21
.LBB111_3389:
	s_delay_alu instid0(SALU_CYCLE_1)
	s_and_b32 vcc_lo, exec_lo, s7
	s_cbranch_vccz .LBB111_3391
; %bb.3390:
	global_load_u8 v1, v[32:33], off
	s_wait_loadcnt 0x0
	v_lshlrev_b32_e32 v1, 24, v1
	s_delay_alu instid0(VALU_DEP_1) | instskip(NEXT) | instid1(VALU_DEP_1)
	v_and_b32_e32 v3, 0x7f000000, v1
	v_clz_i32_u32_e32 v5, v3
	v_add_nc_u32_e32 v9, 0x1000000, v3
	v_cmp_ne_u32_e32 vcc_lo, 0, v3
	s_delay_alu instid0(VALU_DEP_3) | instskip(NEXT) | instid1(VALU_DEP_1)
	v_min_u32_e32 v5, 32, v5
	v_sub_nc_u32_e64 v5, v5, 4 clamp
	s_delay_alu instid0(VALU_DEP_1) | instskip(NEXT) | instid1(VALU_DEP_1)
	v_dual_lshlrev_b32 v7, v5, v3 :: v_dual_lshlrev_b32 v5, 23, v5
	v_lshrrev_b32_e32 v7, 4, v7
	s_delay_alu instid0(VALU_DEP_1) | instskip(SKIP_1) | instid1(VALU_DEP_2)
	v_sub_nc_u32_e32 v5, v7, v5
	v_ashrrev_i32_e32 v7, 8, v9
	v_add_nc_u32_e32 v5, 0x3c000000, v5
	s_delay_alu instid0(VALU_DEP_1) | instskip(NEXT) | instid1(VALU_DEP_1)
	v_and_or_b32 v5, 0x7f800000, v7, v5
	v_cndmask_b32_e32 v3, 0, v5, vcc_lo
	s_delay_alu instid0(VALU_DEP_1) | instskip(NEXT) | instid1(VALU_DEP_1)
	v_and_or_b32 v1, 0x80000000, v1, v3
	v_cvt_f64_f32_e32 v[20:21], v1
.LBB111_3391:
	s_mov_b32 s7, 0
.LBB111_3392:
	s_delay_alu instid0(SALU_CYCLE_1)
	s_and_not1_b32 vcc_lo, exec_lo, s7
	s_cbranch_vccnz .LBB111_3394
; %bb.3393:
	global_load_u8 v1, v[32:33], off
	s_wait_loadcnt 0x0
	v_lshlrev_b32_e32 v3, 25, v1
	v_lshlrev_b16 v1, 8, v1
	s_delay_alu instid0(VALU_DEP_1) | instskip(SKIP_1) | instid1(VALU_DEP_2)
	v_and_or_b32 v7, 0x7f00, v1, 0.5
	v_bfe_i32 v1, v1, 0, 16
	v_add_f32_e32 v7, -0.5, v7
	v_lshrrev_b32_e32 v5, 4, v3
	v_cmp_gt_u32_e32 vcc_lo, 0x8000000, v3
	s_delay_alu instid0(VALU_DEP_2) | instskip(NEXT) | instid1(VALU_DEP_1)
	v_or_b32_e32 v5, 0x70000000, v5
	v_mul_f32_e32 v5, 0x7800000, v5
	s_delay_alu instid0(VALU_DEP_1) | instskip(NEXT) | instid1(VALU_DEP_1)
	v_cndmask_b32_e32 v3, v5, v7, vcc_lo
	v_and_or_b32 v1, 0x80000000, v1, v3
	s_delay_alu instid0(VALU_DEP_1)
	v_cvt_f64_f32_e32 v[20:21], v1
.LBB111_3394:
	s_mov_b32 s7, 0
	s_mov_b32 s16, -1
.LBB111_3395:
	s_and_not1_b32 vcc_lo, exec_lo, s7
	s_mov_b32 s7, 0
	s_cbranch_vccnz .LBB111_3406
; %bb.3396:
	s_cmp_gt_i32 s10, 14
	s_cbranch_scc0 .LBB111_3399
; %bb.3397:
	s_cmp_eq_u32 s10, 15
	s_cbranch_scc0 .LBB111_3402
; %bb.3398:
	global_load_u16 v1, v[32:33], off
	s_mov_b32 s6, 0
	s_mov_b32 s16, -1
	s_wait_loadcnt 0x0
	v_lshlrev_b32_e32 v1, 16, v1
	s_delay_alu instid0(VALU_DEP_1)
	v_cvt_f64_f32_e32 v[20:21], v1
	s_branch .LBB111_3404
.LBB111_3399:
	s_mov_b32 s7, -1
	s_branch .LBB111_3403
.LBB111_3400:
	s_or_saveexec_b32 s16, s16
	v_mov_b64_e32 v[20:21], 0x7ff8000020000000
	s_xor_b32 exec_lo, exec_lo, s16
	s_cbranch_execz .LBB111_3381
.LBB111_3401:
	v_cmp_ne_u16_e32 vcc_lo, 0, v1
	v_mov_b64_e32 v[20:21], 0
	s_and_not1_b32 s7, s7, exec_lo
	s_and_b32 s17, vcc_lo, exec_lo
	s_delay_alu instid0(SALU_CYCLE_1)
	s_or_b32 s7, s7, s17
	s_or_b32 exec_lo, exec_lo, s16
	s_and_saveexec_b32 s16, s7
	s_cbranch_execnz .LBB111_3382
	s_branch .LBB111_3383
.LBB111_3402:
	s_mov_b32 s6, -1
.LBB111_3403:
                                        ; implicit-def: $vgpr20_vgpr21
.LBB111_3404:
	s_and_b32 vcc_lo, exec_lo, s7
	s_mov_b32 s7, 0
	s_cbranch_vccz .LBB111_3406
; %bb.3405:
	s_cmp_lg_u32 s10, 11
	s_mov_b32 s7, -1
	s_cselect_b32 s6, -1, 0
.LBB111_3406:
	s_delay_alu instid0(SALU_CYCLE_1)
	s_and_b32 vcc_lo, exec_lo, s6
	s_cbranch_vccnz .LBB111_3471
; %bb.3407:
	s_and_not1_b32 vcc_lo, exec_lo, s7
	s_cbranch_vccnz .LBB111_3409
.LBB111_3408:
	global_load_u8 v1, v[32:33], off
	v_mov_b32_e32 v20, 0
	s_mov_b32 s16, -1
	s_wait_loadcnt 0x0
	v_cmp_ne_u16_e32 vcc_lo, 0, v1
	v_cndmask_b32_e64 v21, 0, 0x3ff00000, vcc_lo
.LBB111_3409:
	s_mov_b32 s6, 0
.LBB111_3410:
	s_delay_alu instid0(SALU_CYCLE_1)
	s_and_b32 vcc_lo, exec_lo, s6
	s_cbranch_vccz .LBB111_3459
; %bb.3411:
	s_cmp_lt_i32 s10, 5
	s_cbranch_scc1 .LBB111_3416
; %bb.3412:
	s_cmp_lt_i32 s10, 8
	s_cbranch_scc1 .LBB111_3417
; %bb.3413:
	s_cmp_lt_i32 s10, 9
	s_cbranch_scc1 .LBB111_3418
; %bb.3414:
	s_cmp_gt_i32 s10, 9
	s_cbranch_scc0 .LBB111_3419
; %bb.3415:
	global_load_b64 v[20:21], v[32:33], off
	s_mov_b32 s6, 0
	s_branch .LBB111_3420
.LBB111_3416:
	s_mov_b32 s6, -1
                                        ; implicit-def: $vgpr20_vgpr21
	s_branch .LBB111_3438
.LBB111_3417:
	s_mov_b32 s6, -1
                                        ; implicit-def: $vgpr20_vgpr21
	s_branch .LBB111_3426
.LBB111_3418:
	s_mov_b32 s6, -1
                                        ; implicit-def: $vgpr20_vgpr21
	s_branch .LBB111_3423
.LBB111_3419:
	s_mov_b32 s6, -1
                                        ; implicit-def: $vgpr20_vgpr21
.LBB111_3420:
	s_delay_alu instid0(SALU_CYCLE_1)
	s_and_not1_b32 vcc_lo, exec_lo, s6
	s_cbranch_vccnz .LBB111_3422
; %bb.3421:
	global_load_b32 v1, v[32:33], off
	s_wait_loadcnt 0x0
	v_cvt_f64_f32_e32 v[20:21], v1
.LBB111_3422:
	s_mov_b32 s6, 0
.LBB111_3423:
	s_delay_alu instid0(SALU_CYCLE_1)
	s_and_not1_b32 vcc_lo, exec_lo, s6
	s_cbranch_vccnz .LBB111_3425
; %bb.3424:
	global_load_b32 v1, v[32:33], off
	s_wait_loadcnt 0x0
	v_cvt_f32_f16_e32 v1, v1
	s_delay_alu instid0(VALU_DEP_1)
	v_cvt_f64_f32_e32 v[20:21], v1
.LBB111_3425:
	s_mov_b32 s6, 0
.LBB111_3426:
	s_delay_alu instid0(SALU_CYCLE_1)
	s_and_not1_b32 vcc_lo, exec_lo, s6
	s_cbranch_vccnz .LBB111_3437
; %bb.3427:
	s_cmp_lt_i32 s10, 6
	s_cbranch_scc1 .LBB111_3430
; %bb.3428:
	s_cmp_gt_i32 s10, 6
	s_cbranch_scc0 .LBB111_3431
; %bb.3429:
	s_wait_loadcnt 0x0
	global_load_b64 v[20:21], v[32:33], off
	s_mov_b32 s6, 0
	s_branch .LBB111_3432
.LBB111_3430:
	s_mov_b32 s6, -1
                                        ; implicit-def: $vgpr20_vgpr21
	s_branch .LBB111_3435
.LBB111_3431:
	s_mov_b32 s6, -1
                                        ; implicit-def: $vgpr20_vgpr21
.LBB111_3432:
	s_delay_alu instid0(SALU_CYCLE_1)
	s_and_not1_b32 vcc_lo, exec_lo, s6
	s_cbranch_vccnz .LBB111_3434
; %bb.3433:
	global_load_b32 v1, v[32:33], off
	s_wait_loadcnt 0x0
	v_cvt_f64_f32_e32 v[20:21], v1
.LBB111_3434:
	s_mov_b32 s6, 0
.LBB111_3435:
	s_delay_alu instid0(SALU_CYCLE_1)
	s_and_not1_b32 vcc_lo, exec_lo, s6
	s_cbranch_vccnz .LBB111_3437
; %bb.3436:
	global_load_u16 v1, v[32:33], off
	s_wait_loadcnt 0x0
	v_cvt_f32_f16_e32 v1, v1
	s_delay_alu instid0(VALU_DEP_1)
	v_cvt_f64_f32_e32 v[20:21], v1
.LBB111_3437:
	s_mov_b32 s6, 0
.LBB111_3438:
	s_delay_alu instid0(SALU_CYCLE_1)
	s_and_not1_b32 vcc_lo, exec_lo, s6
	s_cbranch_vccnz .LBB111_3458
; %bb.3439:
	s_cmp_lt_i32 s10, 2
	s_cbranch_scc1 .LBB111_3443
; %bb.3440:
	s_cmp_lt_i32 s10, 3
	s_cbranch_scc1 .LBB111_3444
; %bb.3441:
	s_cmp_gt_i32 s10, 3
	s_cbranch_scc0 .LBB111_3445
; %bb.3442:
	s_wait_loadcnt 0x0
	global_load_b64 v[20:21], v[32:33], off
	s_mov_b32 s6, 0
	s_wait_loadcnt 0x0
	v_cvt_f64_i32_e32 v[34:35], v21
	v_cvt_f64_u32_e32 v[20:21], v20
	s_delay_alu instid0(VALU_DEP_2) | instskip(NEXT) | instid1(VALU_DEP_1)
	v_ldexp_f64 v[34:35], v[34:35], 32
	v_add_f64_e32 v[20:21], v[34:35], v[20:21]
	s_branch .LBB111_3446
.LBB111_3443:
	s_mov_b32 s6, -1
                                        ; implicit-def: $vgpr20_vgpr21
	s_branch .LBB111_3452
.LBB111_3444:
	s_mov_b32 s6, -1
                                        ; implicit-def: $vgpr20_vgpr21
	s_branch .LBB111_3449
.LBB111_3445:
	s_mov_b32 s6, -1
                                        ; implicit-def: $vgpr20_vgpr21
.LBB111_3446:
	s_delay_alu instid0(SALU_CYCLE_1)
	s_and_not1_b32 vcc_lo, exec_lo, s6
	s_cbranch_vccnz .LBB111_3448
; %bb.3447:
	global_load_b32 v1, v[32:33], off
	s_wait_loadcnt 0x0
	v_cvt_f64_i32_e32 v[20:21], v1
.LBB111_3448:
	s_mov_b32 s6, 0
.LBB111_3449:
	s_delay_alu instid0(SALU_CYCLE_1)
	s_and_not1_b32 vcc_lo, exec_lo, s6
	s_cbranch_vccnz .LBB111_3451
; %bb.3450:
	global_load_i16 v1, v[32:33], off
	s_wait_loadcnt 0x0
	v_cvt_f64_i32_e32 v[20:21], v1
.LBB111_3451:
	s_mov_b32 s6, 0
.LBB111_3452:
	s_delay_alu instid0(SALU_CYCLE_1)
	s_and_not1_b32 vcc_lo, exec_lo, s6
	s_cbranch_vccnz .LBB111_3458
; %bb.3453:
	s_cmp_gt_i32 s10, 0
	s_mov_b32 s6, 0
	s_cbranch_scc0 .LBB111_3455
; %bb.3454:
	global_load_i8 v1, v[32:33], off
	s_wait_loadcnt 0x0
	v_cvt_f64_i32_e32 v[20:21], v1
	s_branch .LBB111_3456
.LBB111_3455:
	s_mov_b32 s6, -1
                                        ; implicit-def: $vgpr20_vgpr21
.LBB111_3456:
	s_delay_alu instid0(SALU_CYCLE_1)
	s_and_not1_b32 vcc_lo, exec_lo, s6
	s_cbranch_vccnz .LBB111_3458
; %bb.3457:
	global_load_u8 v1, v[32:33], off
	s_wait_loadcnt 0x0
	v_cvt_f64_u32_e32 v[20:21], v1
.LBB111_3458:
	s_mov_b32 s16, -1
.LBB111_3459:
	s_delay_alu instid0(SALU_CYCLE_1)
	s_and_not1_b32 vcc_lo, exec_lo, s16
	s_cbranch_vccnz .LBB111_4155
; %bb.3460:
	v_mov_b32_e32 v15, 0
	s_cmp_lt_i32 s11, 11
	s_wait_xcnt 0x0
	s_delay_alu instid0(VALU_DEP_1)
	v_add_nc_u64_e32 v[32:33], s[0:1], v[14:15]
	s_cbranch_scc1 .LBB111_3467
; %bb.3461:
	s_cmp_gt_i32 s11, 25
	s_mov_b32 s1, 0
	s_cbranch_scc0 .LBB111_3468
; %bb.3462:
	s_cmp_gt_i32 s11, 28
	s_cbranch_scc0 .LBB111_3469
; %bb.3463:
	s_cmp_gt_i32 s11, 43
	;; [unrolled: 3-line block ×3, first 2 shown]
	s_cbranch_scc0 .LBB111_3472
; %bb.3465:
	s_cmp_eq_u32 s11, 46
	s_mov_b32 s7, 0
	s_cbranch_scc0 .LBB111_3473
; %bb.3466:
	global_load_b32 v1, v[32:33], off
	s_mov_b32 s0, 0
	s_mov_b32 s6, -1
	s_wait_loadcnt 0x0
	v_lshlrev_b32_e32 v1, 16, v1
	s_delay_alu instid0(VALU_DEP_1)
	v_cvt_f64_f32_e32 v[14:15], v1
	s_branch .LBB111_3475
.LBB111_3467:
	s_mov_b32 s0, -1
	s_mov_b32 s6, 0
                                        ; implicit-def: $vgpr14_vgpr15
	s_branch .LBB111_3541
.LBB111_3468:
	s_mov_b32 s7, -1
	s_mov_b32 s6, 0
	s_mov_b32 s0, 0
                                        ; implicit-def: $vgpr14_vgpr15
	s_branch .LBB111_3504
.LBB111_3469:
	s_mov_b32 s7, -1
	s_mov_b32 s6, 0
	s_mov_b32 s0, 0
                                        ; implicit-def: $vgpr14_vgpr15
	s_branch .LBB111_3485
.LBB111_3470:
	s_mov_b32 s7, -1
	s_mov_b32 s6, 0
	s_mov_b32 s0, 0
                                        ; implicit-def: $vgpr14_vgpr15
	s_branch .LBB111_3480
.LBB111_3471:
	s_or_b32 s14, s14, exec_lo
	s_trap 2
	s_cbranch_execz .LBB111_3408
	s_branch .LBB111_3409
.LBB111_3472:
	s_mov_b32 s7, -1
	s_mov_b32 s6, 0
	s_mov_b32 s0, 0
	s_branch .LBB111_3474
.LBB111_3473:
	s_mov_b32 s0, -1
	s_mov_b32 s6, 0
.LBB111_3474:
                                        ; implicit-def: $vgpr14_vgpr15
.LBB111_3475:
	s_and_b32 vcc_lo, exec_lo, s7
	s_cbranch_vccz .LBB111_3479
; %bb.3476:
	s_cmp_eq_u32 s11, 44
	s_cbranch_scc0 .LBB111_3478
; %bb.3477:
	global_load_u8 v1, v[32:33], off
	s_mov_b32 s0, 0
	s_mov_b32 s6, -1
	s_wait_loadcnt 0x0
	v_lshlrev_b32_e32 v3, 23, v1
	v_cmp_ne_u32_e32 vcc_lo, 0xff, v1
	s_delay_alu instid0(VALU_DEP_2) | instskip(NEXT) | instid1(VALU_DEP_1)
	v_cvt_f64_f32_e32 v[14:15], v3
	v_cndmask_b32_e32 v3, 0x20000000, v14, vcc_lo
	s_delay_alu instid0(VALU_DEP_2) | instskip(SKIP_1) | instid1(VALU_DEP_2)
	v_cndmask_b32_e32 v5, 0x7ff80000, v15, vcc_lo
	v_cmp_ne_u32_e32 vcc_lo, 0, v1
	v_cndmask_b32_e32 v15, 0x38000000, v5, vcc_lo
	s_delay_alu instid0(VALU_DEP_4)
	v_cndmask_b32_e32 v14, 0, v3, vcc_lo
	s_branch .LBB111_3479
.LBB111_3478:
	s_mov_b32 s0, -1
                                        ; implicit-def: $vgpr14_vgpr15
.LBB111_3479:
	s_mov_b32 s7, 0
.LBB111_3480:
	s_delay_alu instid0(SALU_CYCLE_1)
	s_and_b32 vcc_lo, exec_lo, s7
	s_cbranch_vccz .LBB111_3484
; %bb.3481:
	s_cmp_eq_u32 s11, 29
	s_cbranch_scc0 .LBB111_3483
; %bb.3482:
	global_load_b64 v[14:15], v[32:33], off
	s_mov_b32 s0, 0
	s_mov_b32 s6, -1
	s_mov_b32 s7, 0
	s_wait_loadcnt 0x0
	v_cvt_f64_u32_e32 v[34:35], v15
	v_cvt_f64_u32_e32 v[14:15], v14
	s_delay_alu instid0(VALU_DEP_2) | instskip(NEXT) | instid1(VALU_DEP_1)
	v_ldexp_f64 v[34:35], v[34:35], 32
	v_add_f64_e32 v[14:15], v[34:35], v[14:15]
	s_branch .LBB111_3485
.LBB111_3483:
	s_mov_b32 s0, -1
                                        ; implicit-def: $vgpr14_vgpr15
.LBB111_3484:
	s_mov_b32 s7, 0
.LBB111_3485:
	s_delay_alu instid0(SALU_CYCLE_1)
	s_and_b32 vcc_lo, exec_lo, s7
	s_cbranch_vccz .LBB111_3503
; %bb.3486:
	s_cmp_lt_i32 s11, 27
	s_cbranch_scc1 .LBB111_3489
; %bb.3487:
	s_cmp_gt_i32 s11, 27
	s_cbranch_scc0 .LBB111_3490
; %bb.3488:
	global_load_b32 v1, v[32:33], off
	s_mov_b32 s6, 0
	s_wait_loadcnt 0x0
	v_cvt_f64_u32_e32 v[14:15], v1
	s_branch .LBB111_3491
.LBB111_3489:
	s_mov_b32 s6, -1
                                        ; implicit-def: $vgpr14_vgpr15
	s_branch .LBB111_3494
.LBB111_3490:
	s_mov_b32 s6, -1
                                        ; implicit-def: $vgpr14_vgpr15
.LBB111_3491:
	s_delay_alu instid0(SALU_CYCLE_1)
	s_and_not1_b32 vcc_lo, exec_lo, s6
	s_cbranch_vccnz .LBB111_3493
; %bb.3492:
	global_load_u16 v1, v[32:33], off
	s_wait_loadcnt 0x0
	v_cvt_f64_u32_e32 v[14:15], v1
.LBB111_3493:
	s_mov_b32 s6, 0
.LBB111_3494:
	s_delay_alu instid0(SALU_CYCLE_1)
	s_and_not1_b32 vcc_lo, exec_lo, s6
	s_cbranch_vccnz .LBB111_3502
; %bb.3495:
	global_load_u8 v1, v[32:33], off
	s_mov_b32 s6, 0
	s_mov_b32 s7, exec_lo
	s_wait_loadcnt 0x0
	v_cmpx_lt_i16_e32 0x7f, v1
	s_xor_b32 s7, exec_lo, s7
	s_cbranch_execz .LBB111_3516
; %bb.3496:
	s_mov_b32 s6, -1
	s_mov_b32 s10, exec_lo
	v_cmpx_eq_u16_e32 0x80, v1
; %bb.3497:
	s_xor_b32 s6, exec_lo, -1
; %bb.3498:
	s_or_b32 exec_lo, exec_lo, s10
	s_delay_alu instid0(SALU_CYCLE_1)
	s_and_b32 s6, s6, exec_lo
	s_or_saveexec_b32 s7, s7
	v_mov_b64_e32 v[14:15], 0x7ff8000020000000
	s_xor_b32 exec_lo, exec_lo, s7
	s_cbranch_execnz .LBB111_3517
.LBB111_3499:
	s_or_b32 exec_lo, exec_lo, s7
	s_and_saveexec_b32 s7, s6
	s_cbranch_execz .LBB111_3501
.LBB111_3500:
	v_and_b32_e32 v3, 0xffff, v1
	s_delay_alu instid0(VALU_DEP_1) | instskip(SKIP_1) | instid1(VALU_DEP_2)
	v_dual_lshlrev_b32 v1, 24, v1 :: v_dual_bitop2_b32 v5, 7, v3 bitop3:0x40
	v_bfe_u32 v14, v3, 3, 4
	v_and_b32_e32 v1, 0x80000000, v1
	s_delay_alu instid0(VALU_DEP_3) | instskip(NEXT) | instid1(VALU_DEP_3)
	v_clz_i32_u32_e32 v7, v5
	v_cmp_eq_u32_e32 vcc_lo, 0, v14
	s_delay_alu instid0(VALU_DEP_2) | instskip(NEXT) | instid1(VALU_DEP_1)
	v_min_u32_e32 v7, 32, v7
	v_subrev_nc_u32_e32 v9, 28, v7
	v_sub_nc_u32_e32 v7, 29, v7
	s_delay_alu instid0(VALU_DEP_2) | instskip(NEXT) | instid1(VALU_DEP_2)
	v_lshlrev_b32_e32 v3, v9, v3
	v_cndmask_b32_e32 v7, v14, v7, vcc_lo
	s_delay_alu instid0(VALU_DEP_2) | instskip(NEXT) | instid1(VALU_DEP_1)
	v_and_b32_e32 v3, 7, v3
	v_cndmask_b32_e32 v3, v5, v3, vcc_lo
	s_delay_alu instid0(VALU_DEP_3) | instskip(NEXT) | instid1(VALU_DEP_2)
	v_lshl_add_u32 v5, v7, 23, 0x3b800000
	v_lshlrev_b32_e32 v3, 20, v3
	s_delay_alu instid0(VALU_DEP_1) | instskip(NEXT) | instid1(VALU_DEP_1)
	v_or3_b32 v1, v1, v5, v3
	v_cvt_f64_f32_e32 v[14:15], v1
.LBB111_3501:
	s_or_b32 exec_lo, exec_lo, s7
.LBB111_3502:
	s_mov_b32 s6, -1
.LBB111_3503:
	s_mov_b32 s7, 0
.LBB111_3504:
	s_delay_alu instid0(SALU_CYCLE_1)
	s_and_b32 vcc_lo, exec_lo, s7
	s_cbranch_vccz .LBB111_3537
; %bb.3505:
	s_cmp_gt_i32 s11, 22
	s_cbranch_scc0 .LBB111_3515
; %bb.3506:
	s_cmp_lt_i32 s11, 24
	s_cbranch_scc1 .LBB111_3518
; %bb.3507:
	s_cmp_gt_i32 s11, 24
	s_cbranch_scc0 .LBB111_3519
; %bb.3508:
	global_load_u8 v1, v[32:33], off
	s_mov_b32 s6, exec_lo
	s_wait_loadcnt 0x0
	v_cmpx_lt_i16_e32 0x7f, v1
	s_xor_b32 s6, exec_lo, s6
	s_cbranch_execz .LBB111_3531
; %bb.3509:
	s_mov_b32 s1, -1
	s_mov_b32 s7, exec_lo
	v_cmpx_eq_u16_e32 0x80, v1
; %bb.3510:
	s_xor_b32 s1, exec_lo, -1
; %bb.3511:
	s_or_b32 exec_lo, exec_lo, s7
	s_delay_alu instid0(SALU_CYCLE_1)
	s_and_b32 s1, s1, exec_lo
	s_or_saveexec_b32 s6, s6
	v_mov_b64_e32 v[14:15], 0x7ff8000020000000
	s_xor_b32 exec_lo, exec_lo, s6
	s_cbranch_execnz .LBB111_3532
.LBB111_3512:
	s_or_b32 exec_lo, exec_lo, s6
	s_and_saveexec_b32 s6, s1
	s_cbranch_execz .LBB111_3514
.LBB111_3513:
	v_and_b32_e32 v3, 0xffff, v1
	s_delay_alu instid0(VALU_DEP_1) | instskip(SKIP_1) | instid1(VALU_DEP_2)
	v_dual_lshlrev_b32 v1, 24, v1 :: v_dual_bitop2_b32 v5, 3, v3 bitop3:0x40
	v_bfe_u32 v14, v3, 2, 5
	v_and_b32_e32 v1, 0x80000000, v1
	s_delay_alu instid0(VALU_DEP_3) | instskip(NEXT) | instid1(VALU_DEP_3)
	v_clz_i32_u32_e32 v7, v5
	v_cmp_eq_u32_e32 vcc_lo, 0, v14
	s_delay_alu instid0(VALU_DEP_2) | instskip(NEXT) | instid1(VALU_DEP_1)
	v_min_u32_e32 v7, 32, v7
	v_subrev_nc_u32_e32 v9, 29, v7
	v_sub_nc_u32_e32 v7, 30, v7
	s_delay_alu instid0(VALU_DEP_2) | instskip(NEXT) | instid1(VALU_DEP_2)
	v_lshlrev_b32_e32 v3, v9, v3
	v_cndmask_b32_e32 v7, v14, v7, vcc_lo
	s_delay_alu instid0(VALU_DEP_2) | instskip(NEXT) | instid1(VALU_DEP_1)
	v_and_b32_e32 v3, 3, v3
	v_cndmask_b32_e32 v3, v5, v3, vcc_lo
	s_delay_alu instid0(VALU_DEP_3) | instskip(NEXT) | instid1(VALU_DEP_2)
	v_lshl_add_u32 v5, v7, 23, 0x37800000
	v_lshlrev_b32_e32 v3, 21, v3
	s_delay_alu instid0(VALU_DEP_1) | instskip(NEXT) | instid1(VALU_DEP_1)
	v_or3_b32 v1, v1, v5, v3
	v_cvt_f64_f32_e32 v[14:15], v1
.LBB111_3514:
	s_or_b32 exec_lo, exec_lo, s6
	s_mov_b32 s1, 0
	s_branch .LBB111_3520
.LBB111_3515:
	s_mov_b32 s1, -1
                                        ; implicit-def: $vgpr14_vgpr15
	s_branch .LBB111_3526
.LBB111_3516:
	s_or_saveexec_b32 s7, s7
	v_mov_b64_e32 v[14:15], 0x7ff8000020000000
	s_xor_b32 exec_lo, exec_lo, s7
	s_cbranch_execz .LBB111_3499
.LBB111_3517:
	v_cmp_ne_u16_e32 vcc_lo, 0, v1
	v_mov_b64_e32 v[14:15], 0
	s_and_not1_b32 s6, s6, exec_lo
	s_and_b32 s10, vcc_lo, exec_lo
	s_delay_alu instid0(SALU_CYCLE_1)
	s_or_b32 s6, s6, s10
	s_or_b32 exec_lo, exec_lo, s7
	s_and_saveexec_b32 s7, s6
	s_cbranch_execnz .LBB111_3500
	s_branch .LBB111_3501
.LBB111_3518:
	s_mov_b32 s1, -1
                                        ; implicit-def: $vgpr14_vgpr15
	s_branch .LBB111_3523
.LBB111_3519:
	s_mov_b32 s1, -1
                                        ; implicit-def: $vgpr14_vgpr15
.LBB111_3520:
	s_delay_alu instid0(SALU_CYCLE_1)
	s_and_b32 vcc_lo, exec_lo, s1
	s_cbranch_vccz .LBB111_3522
; %bb.3521:
	global_load_u8 v1, v[32:33], off
	s_wait_loadcnt 0x0
	v_lshlrev_b32_e32 v1, 24, v1
	s_delay_alu instid0(VALU_DEP_1) | instskip(NEXT) | instid1(VALU_DEP_1)
	v_and_b32_e32 v3, 0x7f000000, v1
	v_clz_i32_u32_e32 v5, v3
	v_add_nc_u32_e32 v9, 0x1000000, v3
	v_cmp_ne_u32_e32 vcc_lo, 0, v3
	s_delay_alu instid0(VALU_DEP_3) | instskip(NEXT) | instid1(VALU_DEP_1)
	v_min_u32_e32 v5, 32, v5
	v_sub_nc_u32_e64 v5, v5, 4 clamp
	s_delay_alu instid0(VALU_DEP_1) | instskip(NEXT) | instid1(VALU_DEP_1)
	v_dual_lshlrev_b32 v7, v5, v3 :: v_dual_lshlrev_b32 v5, 23, v5
	v_lshrrev_b32_e32 v7, 4, v7
	s_delay_alu instid0(VALU_DEP_1) | instskip(SKIP_1) | instid1(VALU_DEP_2)
	v_sub_nc_u32_e32 v5, v7, v5
	v_ashrrev_i32_e32 v7, 8, v9
	v_add_nc_u32_e32 v5, 0x3c000000, v5
	s_delay_alu instid0(VALU_DEP_1) | instskip(NEXT) | instid1(VALU_DEP_1)
	v_and_or_b32 v5, 0x7f800000, v7, v5
	v_cndmask_b32_e32 v3, 0, v5, vcc_lo
	s_delay_alu instid0(VALU_DEP_1) | instskip(NEXT) | instid1(VALU_DEP_1)
	v_and_or_b32 v1, 0x80000000, v1, v3
	v_cvt_f64_f32_e32 v[14:15], v1
.LBB111_3522:
	s_mov_b32 s1, 0
.LBB111_3523:
	s_delay_alu instid0(SALU_CYCLE_1)
	s_and_not1_b32 vcc_lo, exec_lo, s1
	s_cbranch_vccnz .LBB111_3525
; %bb.3524:
	global_load_u8 v1, v[32:33], off
	s_wait_loadcnt 0x0
	v_lshlrev_b32_e32 v3, 25, v1
	v_lshlrev_b16 v1, 8, v1
	s_delay_alu instid0(VALU_DEP_1) | instskip(SKIP_1) | instid1(VALU_DEP_2)
	v_and_or_b32 v7, 0x7f00, v1, 0.5
	v_bfe_i32 v1, v1, 0, 16
	v_add_f32_e32 v7, -0.5, v7
	v_lshrrev_b32_e32 v5, 4, v3
	v_cmp_gt_u32_e32 vcc_lo, 0x8000000, v3
	s_delay_alu instid0(VALU_DEP_2) | instskip(NEXT) | instid1(VALU_DEP_1)
	v_or_b32_e32 v5, 0x70000000, v5
	v_mul_f32_e32 v5, 0x7800000, v5
	s_delay_alu instid0(VALU_DEP_1) | instskip(NEXT) | instid1(VALU_DEP_1)
	v_cndmask_b32_e32 v3, v5, v7, vcc_lo
	v_and_or_b32 v1, 0x80000000, v1, v3
	s_delay_alu instid0(VALU_DEP_1)
	v_cvt_f64_f32_e32 v[14:15], v1
.LBB111_3525:
	s_mov_b32 s1, 0
	s_mov_b32 s6, -1
.LBB111_3526:
	s_and_not1_b32 vcc_lo, exec_lo, s1
	s_mov_b32 s1, 0
	s_cbranch_vccnz .LBB111_3537
; %bb.3527:
	s_cmp_gt_i32 s11, 14
	s_cbranch_scc0 .LBB111_3530
; %bb.3528:
	s_cmp_eq_u32 s11, 15
	s_cbranch_scc0 .LBB111_3533
; %bb.3529:
	global_load_u16 v1, v[32:33], off
	s_mov_b32 s0, 0
	s_mov_b32 s6, -1
	s_wait_loadcnt 0x0
	v_lshlrev_b32_e32 v1, 16, v1
	s_delay_alu instid0(VALU_DEP_1)
	v_cvt_f64_f32_e32 v[14:15], v1
	s_branch .LBB111_3535
.LBB111_3530:
	s_mov_b32 s1, -1
	s_branch .LBB111_3534
.LBB111_3531:
	s_or_saveexec_b32 s6, s6
	v_mov_b64_e32 v[14:15], 0x7ff8000020000000
	s_xor_b32 exec_lo, exec_lo, s6
	s_cbranch_execz .LBB111_3512
.LBB111_3532:
	v_cmp_ne_u16_e32 vcc_lo, 0, v1
	v_mov_b64_e32 v[14:15], 0
	s_and_not1_b32 s1, s1, exec_lo
	s_and_b32 s7, vcc_lo, exec_lo
	s_delay_alu instid0(SALU_CYCLE_1)
	s_or_b32 s1, s1, s7
	s_or_b32 exec_lo, exec_lo, s6
	s_and_saveexec_b32 s6, s1
	s_cbranch_execnz .LBB111_3513
	s_branch .LBB111_3514
.LBB111_3533:
	s_mov_b32 s0, -1
.LBB111_3534:
                                        ; implicit-def: $vgpr14_vgpr15
.LBB111_3535:
	s_and_b32 vcc_lo, exec_lo, s1
	s_mov_b32 s1, 0
	s_cbranch_vccz .LBB111_3537
; %bb.3536:
	s_cmp_lg_u32 s11, 11
	s_mov_b32 s1, -1
	s_cselect_b32 s0, -1, 0
.LBB111_3537:
	s_delay_alu instid0(SALU_CYCLE_1)
	s_and_b32 vcc_lo, exec_lo, s0
	s_cbranch_vccnz .LBB111_3602
; %bb.3538:
	s_and_not1_b32 vcc_lo, exec_lo, s1
	s_cbranch_vccnz .LBB111_3540
.LBB111_3539:
	global_load_u8 v1, v[32:33], off
	v_mov_b32_e32 v14, 0
	s_mov_b32 s6, -1
	s_wait_loadcnt 0x0
	v_cmp_ne_u16_e32 vcc_lo, 0, v1
	v_cndmask_b32_e64 v15, 0, 0x3ff00000, vcc_lo
.LBB111_3540:
	s_mov_b32 s0, 0
.LBB111_3541:
	s_delay_alu instid0(SALU_CYCLE_1)
	s_and_b32 vcc_lo, exec_lo, s0
	s_cbranch_vccz .LBB111_3590
; %bb.3542:
	s_cmp_lt_i32 s11, 5
	s_cbranch_scc1 .LBB111_3547
; %bb.3543:
	s_cmp_lt_i32 s11, 8
	s_cbranch_scc1 .LBB111_3548
	;; [unrolled: 3-line block ×3, first 2 shown]
; %bb.3545:
	s_cmp_gt_i32 s11, 9
	s_cbranch_scc0 .LBB111_3550
; %bb.3546:
	global_load_b64 v[14:15], v[32:33], off
	s_mov_b32 s0, 0
	s_branch .LBB111_3551
.LBB111_3547:
	s_mov_b32 s0, -1
                                        ; implicit-def: $vgpr14_vgpr15
	s_branch .LBB111_3569
.LBB111_3548:
	s_mov_b32 s0, -1
                                        ; implicit-def: $vgpr14_vgpr15
	s_branch .LBB111_3557
.LBB111_3549:
	s_mov_b32 s0, -1
                                        ; implicit-def: $vgpr14_vgpr15
	s_branch .LBB111_3554
.LBB111_3550:
	s_mov_b32 s0, -1
                                        ; implicit-def: $vgpr14_vgpr15
.LBB111_3551:
	s_delay_alu instid0(SALU_CYCLE_1)
	s_and_not1_b32 vcc_lo, exec_lo, s0
	s_cbranch_vccnz .LBB111_3553
; %bb.3552:
	global_load_b32 v1, v[32:33], off
	s_wait_loadcnt 0x0
	v_cvt_f64_f32_e32 v[14:15], v1
.LBB111_3553:
	s_mov_b32 s0, 0
.LBB111_3554:
	s_delay_alu instid0(SALU_CYCLE_1)
	s_and_not1_b32 vcc_lo, exec_lo, s0
	s_cbranch_vccnz .LBB111_3556
; %bb.3555:
	global_load_b32 v1, v[32:33], off
	s_wait_loadcnt 0x0
	v_cvt_f32_f16_e32 v1, v1
	s_delay_alu instid0(VALU_DEP_1)
	v_cvt_f64_f32_e32 v[14:15], v1
.LBB111_3556:
	s_mov_b32 s0, 0
.LBB111_3557:
	s_delay_alu instid0(SALU_CYCLE_1)
	s_and_not1_b32 vcc_lo, exec_lo, s0
	s_cbranch_vccnz .LBB111_3568
; %bb.3558:
	s_cmp_lt_i32 s11, 6
	s_cbranch_scc1 .LBB111_3561
; %bb.3559:
	s_cmp_gt_i32 s11, 6
	s_cbranch_scc0 .LBB111_3562
; %bb.3560:
	s_wait_loadcnt 0x0
	global_load_b64 v[14:15], v[32:33], off
	s_mov_b32 s0, 0
	s_branch .LBB111_3563
.LBB111_3561:
	s_mov_b32 s0, -1
                                        ; implicit-def: $vgpr14_vgpr15
	s_branch .LBB111_3566
.LBB111_3562:
	s_mov_b32 s0, -1
                                        ; implicit-def: $vgpr14_vgpr15
.LBB111_3563:
	s_delay_alu instid0(SALU_CYCLE_1)
	s_and_not1_b32 vcc_lo, exec_lo, s0
	s_cbranch_vccnz .LBB111_3565
; %bb.3564:
	global_load_b32 v1, v[32:33], off
	s_wait_loadcnt 0x0
	v_cvt_f64_f32_e32 v[14:15], v1
.LBB111_3565:
	s_mov_b32 s0, 0
.LBB111_3566:
	s_delay_alu instid0(SALU_CYCLE_1)
	s_and_not1_b32 vcc_lo, exec_lo, s0
	s_cbranch_vccnz .LBB111_3568
; %bb.3567:
	global_load_u16 v1, v[32:33], off
	s_wait_loadcnt 0x0
	v_cvt_f32_f16_e32 v1, v1
	s_delay_alu instid0(VALU_DEP_1)
	v_cvt_f64_f32_e32 v[14:15], v1
.LBB111_3568:
	s_mov_b32 s0, 0
.LBB111_3569:
	s_delay_alu instid0(SALU_CYCLE_1)
	s_and_not1_b32 vcc_lo, exec_lo, s0
	s_cbranch_vccnz .LBB111_3589
; %bb.3570:
	s_cmp_lt_i32 s11, 2
	s_cbranch_scc1 .LBB111_3574
; %bb.3571:
	s_cmp_lt_i32 s11, 3
	s_cbranch_scc1 .LBB111_3575
; %bb.3572:
	s_cmp_gt_i32 s11, 3
	s_cbranch_scc0 .LBB111_3576
; %bb.3573:
	s_wait_loadcnt 0x0
	global_load_b64 v[14:15], v[32:33], off
	s_mov_b32 s0, 0
	s_wait_loadcnt 0x0
	v_cvt_f64_i32_e32 v[34:35], v15
	v_cvt_f64_u32_e32 v[14:15], v14
	s_delay_alu instid0(VALU_DEP_2) | instskip(NEXT) | instid1(VALU_DEP_1)
	v_ldexp_f64 v[34:35], v[34:35], 32
	v_add_f64_e32 v[14:15], v[34:35], v[14:15]
	s_branch .LBB111_3577
.LBB111_3574:
	s_mov_b32 s0, -1
                                        ; implicit-def: $vgpr14_vgpr15
	s_branch .LBB111_3583
.LBB111_3575:
	s_mov_b32 s0, -1
                                        ; implicit-def: $vgpr14_vgpr15
	s_branch .LBB111_3580
.LBB111_3576:
	s_mov_b32 s0, -1
                                        ; implicit-def: $vgpr14_vgpr15
.LBB111_3577:
	s_delay_alu instid0(SALU_CYCLE_1)
	s_and_not1_b32 vcc_lo, exec_lo, s0
	s_cbranch_vccnz .LBB111_3579
; %bb.3578:
	global_load_b32 v1, v[32:33], off
	s_wait_loadcnt 0x0
	v_cvt_f64_i32_e32 v[14:15], v1
.LBB111_3579:
	s_mov_b32 s0, 0
.LBB111_3580:
	s_delay_alu instid0(SALU_CYCLE_1)
	s_and_not1_b32 vcc_lo, exec_lo, s0
	s_cbranch_vccnz .LBB111_3582
; %bb.3581:
	global_load_i16 v1, v[32:33], off
	s_wait_loadcnt 0x0
	v_cvt_f64_i32_e32 v[14:15], v1
.LBB111_3582:
	s_mov_b32 s0, 0
.LBB111_3583:
	s_delay_alu instid0(SALU_CYCLE_1)
	s_and_not1_b32 vcc_lo, exec_lo, s0
	s_cbranch_vccnz .LBB111_3589
; %bb.3584:
	s_cmp_gt_i32 s11, 0
	s_mov_b32 s0, 0
	s_cbranch_scc0 .LBB111_3586
; %bb.3585:
	global_load_i8 v1, v[32:33], off
	s_wait_loadcnt 0x0
	v_cvt_f64_i32_e32 v[14:15], v1
	s_branch .LBB111_3587
.LBB111_3586:
	s_mov_b32 s0, -1
                                        ; implicit-def: $vgpr14_vgpr15
.LBB111_3587:
	s_delay_alu instid0(SALU_CYCLE_1)
	s_and_not1_b32 vcc_lo, exec_lo, s0
	s_cbranch_vccnz .LBB111_3589
; %bb.3588:
	global_load_u8 v1, v[32:33], off
	s_wait_loadcnt 0x0
	v_cvt_f64_u32_e32 v[14:15], v1
.LBB111_3589:
	s_mov_b32 s6, -1
.LBB111_3590:
	s_delay_alu instid0(SALU_CYCLE_1)
	s_and_not1_b32 vcc_lo, exec_lo, s6
	s_cbranch_vccnz .LBB111_4155
; %bb.3591:
	v_mov_b32_e32 v1, 0
	s_cmp_lt_i32 s15, 11
	s_delay_alu instid0(VALU_DEP_1)
	v_add_nc_u64_e32 v[0:1], s[8:9], v[0:1]
	s_cbranch_scc1 .LBB111_3598
; %bb.3592:
	s_cmp_gt_i32 s15, 25
	s_mov_b32 s1, 0
	s_cbranch_scc0 .LBB111_3599
; %bb.3593:
	s_cmp_gt_i32 s15, 28
	s_cbranch_scc0 .LBB111_3600
; %bb.3594:
	s_cmp_gt_i32 s15, 43
	;; [unrolled: 3-line block ×3, first 2 shown]
	s_cbranch_scc0 .LBB111_3603
; %bb.3596:
	s_cmp_eq_u32 s15, 46
	s_mov_b32 s7, 0
	s_cbranch_scc0 .LBB111_3604
; %bb.3597:
	global_load_b32 v3, v[0:1], off
	s_mov_b32 s0, 0
	s_mov_b32 s6, -1
	s_wait_loadcnt 0x0
	v_lshlrev_b32_e32 v3, 16, v3
	s_wait_xcnt 0x1
	s_delay_alu instid0(VALU_DEP_1)
	v_cvt_f64_f32_e32 v[32:33], v3
	s_branch .LBB111_3606
.LBB111_3598:
	s_mov_b32 s0, -1
	s_mov_b32 s6, 0
                                        ; implicit-def: $vgpr32_vgpr33
	s_branch .LBB111_3672
.LBB111_3599:
	s_mov_b32 s7, -1
	s_mov_b32 s6, 0
	s_mov_b32 s0, 0
                                        ; implicit-def: $vgpr32_vgpr33
	s_branch .LBB111_3635
.LBB111_3600:
	s_mov_b32 s7, -1
	s_mov_b32 s6, 0
	s_mov_b32 s0, 0
                                        ; implicit-def: $vgpr32_vgpr33
	s_branch .LBB111_3616
.LBB111_3601:
	s_mov_b32 s7, -1
	s_mov_b32 s6, 0
	s_mov_b32 s0, 0
                                        ; implicit-def: $vgpr32_vgpr33
	s_branch .LBB111_3611
.LBB111_3602:
	s_or_b32 s14, s14, exec_lo
	s_trap 2
	s_cbranch_execz .LBB111_3539
	s_branch .LBB111_3540
.LBB111_3603:
	s_mov_b32 s7, -1
	s_mov_b32 s6, 0
	s_mov_b32 s0, 0
	s_branch .LBB111_3605
.LBB111_3604:
	s_mov_b32 s0, -1
	s_mov_b32 s6, 0
.LBB111_3605:
                                        ; implicit-def: $vgpr32_vgpr33
.LBB111_3606:
	s_and_b32 vcc_lo, exec_lo, s7
	s_cbranch_vccz .LBB111_3610
; %bb.3607:
	s_cmp_eq_u32 s15, 44
	s_cbranch_scc0 .LBB111_3609
; %bb.3608:
	global_load_u8 v3, v[0:1], off
	s_mov_b32 s0, 0
	s_mov_b32 s6, -1
	s_wait_loadcnt 0x0
	v_lshlrev_b32_e32 v5, 23, v3
	v_cmp_ne_u32_e32 vcc_lo, 0xff, v3
	s_wait_xcnt 0x1
	s_delay_alu instid0(VALU_DEP_2) | instskip(NEXT) | instid1(VALU_DEP_1)
	v_cvt_f64_f32_e32 v[32:33], v5
	v_cndmask_b32_e32 v5, 0x20000000, v32, vcc_lo
	s_delay_alu instid0(VALU_DEP_2) | instskip(SKIP_1) | instid1(VALU_DEP_2)
	v_cndmask_b32_e32 v7, 0x7ff80000, v33, vcc_lo
	v_cmp_ne_u32_e32 vcc_lo, 0, v3
	v_cndmask_b32_e32 v33, 0x38000000, v7, vcc_lo
	s_delay_alu instid0(VALU_DEP_4)
	v_cndmask_b32_e32 v32, 0, v5, vcc_lo
	s_branch .LBB111_3610
.LBB111_3609:
	s_mov_b32 s0, -1
                                        ; implicit-def: $vgpr32_vgpr33
.LBB111_3610:
	s_mov_b32 s7, 0
.LBB111_3611:
	s_delay_alu instid0(SALU_CYCLE_1)
	s_and_b32 vcc_lo, exec_lo, s7
	s_cbranch_vccz .LBB111_3615
; %bb.3612:
	s_cmp_eq_u32 s15, 29
	s_cbranch_scc0 .LBB111_3614
; %bb.3613:
	global_load_b64 v[32:33], v[0:1], off
	s_mov_b32 s0, 0
	s_mov_b32 s6, -1
	s_mov_b32 s7, 0
	s_wait_loadcnt 0x0
	v_cvt_f64_u32_e32 v[34:35], v33
	v_cvt_f64_u32_e32 v[32:33], v32
	s_delay_alu instid0(VALU_DEP_2) | instskip(NEXT) | instid1(VALU_DEP_1)
	v_ldexp_f64 v[34:35], v[34:35], 32
	v_add_f64_e32 v[32:33], v[34:35], v[32:33]
	s_branch .LBB111_3616
.LBB111_3614:
	s_mov_b32 s0, -1
                                        ; implicit-def: $vgpr32_vgpr33
.LBB111_3615:
	s_mov_b32 s7, 0
.LBB111_3616:
	s_delay_alu instid0(SALU_CYCLE_1)
	s_and_b32 vcc_lo, exec_lo, s7
	s_cbranch_vccz .LBB111_3634
; %bb.3617:
	s_cmp_lt_i32 s15, 27
	s_cbranch_scc1 .LBB111_3620
; %bb.3618:
	s_cmp_gt_i32 s15, 27
	s_cbranch_scc0 .LBB111_3621
; %bb.3619:
	global_load_b32 v3, v[0:1], off
	s_mov_b32 s6, 0
	s_wait_loadcnt 0x0
	s_wait_xcnt 0x1
	v_cvt_f64_u32_e32 v[32:33], v3
	s_branch .LBB111_3622
.LBB111_3620:
	s_mov_b32 s6, -1
                                        ; implicit-def: $vgpr32_vgpr33
	s_branch .LBB111_3625
.LBB111_3621:
	s_mov_b32 s6, -1
                                        ; implicit-def: $vgpr32_vgpr33
.LBB111_3622:
	s_delay_alu instid0(SALU_CYCLE_1)
	s_and_not1_b32 vcc_lo, exec_lo, s6
	s_cbranch_vccnz .LBB111_3624
; %bb.3623:
	global_load_u16 v3, v[0:1], off
	s_wait_loadcnt 0x0
	s_wait_xcnt 0x1
	v_cvt_f64_u32_e32 v[32:33], v3
.LBB111_3624:
	s_mov_b32 s6, 0
.LBB111_3625:
	s_delay_alu instid0(SALU_CYCLE_1)
	s_and_not1_b32 vcc_lo, exec_lo, s6
	s_cbranch_vccnz .LBB111_3633
; %bb.3626:
	global_load_u8 v3, v[0:1], off
	s_mov_b32 s6, 0
	s_mov_b32 s7, exec_lo
	s_wait_loadcnt 0x0
	v_cmpx_lt_i16_e32 0x7f, v3
	s_xor_b32 s7, exec_lo, s7
	s_cbranch_execz .LBB111_3647
; %bb.3627:
	s_mov_b32 s6, -1
	s_mov_b32 s8, exec_lo
	v_cmpx_eq_u16_e32 0x80, v3
; %bb.3628:
	s_xor_b32 s6, exec_lo, -1
; %bb.3629:
	s_or_b32 exec_lo, exec_lo, s8
	s_delay_alu instid0(SALU_CYCLE_1)
	s_and_b32 s6, s6, exec_lo
	s_or_saveexec_b32 s7, s7
	v_mov_b64_e32 v[32:33], 0x7ff8000020000000
	s_xor_b32 exec_lo, exec_lo, s7
	s_cbranch_execnz .LBB111_3648
.LBB111_3630:
	s_or_b32 exec_lo, exec_lo, s7
	s_and_saveexec_b32 s7, s6
	s_cbranch_execz .LBB111_3632
.LBB111_3631:
	v_and_b32_e32 v5, 0xffff, v3
	s_delay_alu instid0(VALU_DEP_1) | instskip(SKIP_1) | instid1(VALU_DEP_2)
	v_dual_lshlrev_b32 v3, 24, v3 :: v_dual_bitop2_b32 v7, 7, v5 bitop3:0x40
	v_bfe_u32 v33, v5, 3, 4
	v_and_b32_e32 v3, 0x80000000, v3
	s_delay_alu instid0(VALU_DEP_3) | instskip(NEXT) | instid1(VALU_DEP_3)
	v_clz_i32_u32_e32 v9, v7
	v_cmp_eq_u32_e32 vcc_lo, 0, v33
	s_delay_alu instid0(VALU_DEP_2) | instskip(NEXT) | instid1(VALU_DEP_1)
	v_min_u32_e32 v9, 32, v9
	v_subrev_nc_u32_e32 v32, 28, v9
	v_sub_nc_u32_e32 v9, 29, v9
	s_delay_alu instid0(VALU_DEP_2) | instskip(NEXT) | instid1(VALU_DEP_2)
	v_lshlrev_b32_e32 v5, v32, v5
	v_cndmask_b32_e32 v9, v33, v9, vcc_lo
	s_delay_alu instid0(VALU_DEP_2) | instskip(NEXT) | instid1(VALU_DEP_1)
	v_and_b32_e32 v5, 7, v5
	v_cndmask_b32_e32 v5, v7, v5, vcc_lo
	s_delay_alu instid0(VALU_DEP_3) | instskip(NEXT) | instid1(VALU_DEP_2)
	v_lshl_add_u32 v7, v9, 23, 0x3b800000
	v_lshlrev_b32_e32 v5, 20, v5
	s_delay_alu instid0(VALU_DEP_1) | instskip(NEXT) | instid1(VALU_DEP_1)
	v_or3_b32 v3, v3, v7, v5
	v_cvt_f64_f32_e32 v[32:33], v3
.LBB111_3632:
	s_or_b32 exec_lo, exec_lo, s7
.LBB111_3633:
	s_mov_b32 s6, -1
.LBB111_3634:
	s_mov_b32 s7, 0
.LBB111_3635:
	s_delay_alu instid0(SALU_CYCLE_1)
	s_and_b32 vcc_lo, exec_lo, s7
	s_cbranch_vccz .LBB111_3668
; %bb.3636:
	s_cmp_gt_i32 s15, 22
	s_cbranch_scc0 .LBB111_3646
; %bb.3637:
	s_cmp_lt_i32 s15, 24
	s_cbranch_scc1 .LBB111_3649
; %bb.3638:
	s_cmp_gt_i32 s15, 24
	s_cbranch_scc0 .LBB111_3650
; %bb.3639:
	global_load_u8 v3, v[0:1], off
	s_mov_b32 s6, exec_lo
	s_wait_loadcnt 0x0
	v_cmpx_lt_i16_e32 0x7f, v3
	s_xor_b32 s6, exec_lo, s6
	s_cbranch_execz .LBB111_3662
; %bb.3640:
	s_mov_b32 s1, -1
	s_mov_b32 s7, exec_lo
	v_cmpx_eq_u16_e32 0x80, v3
; %bb.3641:
	s_xor_b32 s1, exec_lo, -1
; %bb.3642:
	s_or_b32 exec_lo, exec_lo, s7
	s_delay_alu instid0(SALU_CYCLE_1)
	s_and_b32 s1, s1, exec_lo
	s_or_saveexec_b32 s6, s6
	v_mov_b64_e32 v[32:33], 0x7ff8000020000000
	s_xor_b32 exec_lo, exec_lo, s6
	s_cbranch_execnz .LBB111_3663
.LBB111_3643:
	s_or_b32 exec_lo, exec_lo, s6
	s_and_saveexec_b32 s6, s1
	s_cbranch_execz .LBB111_3645
.LBB111_3644:
	v_and_b32_e32 v5, 0xffff, v3
	s_delay_alu instid0(VALU_DEP_1) | instskip(SKIP_1) | instid1(VALU_DEP_2)
	v_dual_lshlrev_b32 v3, 24, v3 :: v_dual_bitop2_b32 v7, 3, v5 bitop3:0x40
	v_bfe_u32 v33, v5, 2, 5
	v_and_b32_e32 v3, 0x80000000, v3
	s_delay_alu instid0(VALU_DEP_3) | instskip(NEXT) | instid1(VALU_DEP_3)
	v_clz_i32_u32_e32 v9, v7
	v_cmp_eq_u32_e32 vcc_lo, 0, v33
	s_delay_alu instid0(VALU_DEP_2) | instskip(NEXT) | instid1(VALU_DEP_1)
	v_min_u32_e32 v9, 32, v9
	v_subrev_nc_u32_e32 v32, 29, v9
	v_sub_nc_u32_e32 v9, 30, v9
	s_delay_alu instid0(VALU_DEP_2) | instskip(NEXT) | instid1(VALU_DEP_2)
	v_lshlrev_b32_e32 v5, v32, v5
	v_cndmask_b32_e32 v9, v33, v9, vcc_lo
	s_delay_alu instid0(VALU_DEP_2) | instskip(NEXT) | instid1(VALU_DEP_1)
	v_and_b32_e32 v5, 3, v5
	v_cndmask_b32_e32 v5, v7, v5, vcc_lo
	s_delay_alu instid0(VALU_DEP_3) | instskip(NEXT) | instid1(VALU_DEP_2)
	v_lshl_add_u32 v7, v9, 23, 0x37800000
	v_lshlrev_b32_e32 v5, 21, v5
	s_delay_alu instid0(VALU_DEP_1) | instskip(NEXT) | instid1(VALU_DEP_1)
	v_or3_b32 v3, v3, v7, v5
	v_cvt_f64_f32_e32 v[32:33], v3
.LBB111_3645:
	s_or_b32 exec_lo, exec_lo, s6
	s_mov_b32 s1, 0
	s_branch .LBB111_3651
.LBB111_3646:
	s_mov_b32 s1, -1
                                        ; implicit-def: $vgpr32_vgpr33
	s_branch .LBB111_3657
.LBB111_3647:
	s_or_saveexec_b32 s7, s7
	v_mov_b64_e32 v[32:33], 0x7ff8000020000000
	s_xor_b32 exec_lo, exec_lo, s7
	s_cbranch_execz .LBB111_3630
.LBB111_3648:
	v_cmp_ne_u16_e32 vcc_lo, 0, v3
	v_mov_b64_e32 v[32:33], 0
	s_and_not1_b32 s6, s6, exec_lo
	s_and_b32 s8, vcc_lo, exec_lo
	s_delay_alu instid0(SALU_CYCLE_1)
	s_or_b32 s6, s6, s8
	s_or_b32 exec_lo, exec_lo, s7
	s_and_saveexec_b32 s7, s6
	s_cbranch_execnz .LBB111_3631
	s_branch .LBB111_3632
.LBB111_3649:
	s_mov_b32 s1, -1
                                        ; implicit-def: $vgpr32_vgpr33
	s_branch .LBB111_3654
.LBB111_3650:
	s_mov_b32 s1, -1
                                        ; implicit-def: $vgpr32_vgpr33
.LBB111_3651:
	s_delay_alu instid0(SALU_CYCLE_1)
	s_and_b32 vcc_lo, exec_lo, s1
	s_cbranch_vccz .LBB111_3653
; %bb.3652:
	global_load_u8 v3, v[0:1], off
	s_wait_loadcnt 0x0
	v_lshlrev_b32_e32 v3, 24, v3
	s_delay_alu instid0(VALU_DEP_1) | instskip(NEXT) | instid1(VALU_DEP_1)
	v_and_b32_e32 v5, 0x7f000000, v3
	v_clz_i32_u32_e32 v7, v5
	v_cmp_ne_u32_e32 vcc_lo, 0, v5
	s_wait_xcnt 0x1
	v_add_nc_u32_e32 v32, 0x1000000, v5
	s_delay_alu instid0(VALU_DEP_3) | instskip(NEXT) | instid1(VALU_DEP_1)
	v_min_u32_e32 v7, 32, v7
	v_sub_nc_u32_e64 v7, v7, 4 clamp
	s_delay_alu instid0(VALU_DEP_1) | instskip(NEXT) | instid1(VALU_DEP_1)
	v_dual_lshlrev_b32 v9, v7, v5 :: v_dual_lshlrev_b32 v7, 23, v7
	v_lshrrev_b32_e32 v9, 4, v9
	s_delay_alu instid0(VALU_DEP_1) | instskip(NEXT) | instid1(VALU_DEP_1)
	v_dual_sub_nc_u32 v7, v9, v7 :: v_dual_ashrrev_i32 v9, 8, v32
	v_add_nc_u32_e32 v7, 0x3c000000, v7
	s_delay_alu instid0(VALU_DEP_1) | instskip(NEXT) | instid1(VALU_DEP_1)
	v_and_or_b32 v7, 0x7f800000, v9, v7
	v_cndmask_b32_e32 v5, 0, v7, vcc_lo
	s_delay_alu instid0(VALU_DEP_1) | instskip(NEXT) | instid1(VALU_DEP_1)
	v_and_or_b32 v3, 0x80000000, v3, v5
	v_cvt_f64_f32_e32 v[32:33], v3
.LBB111_3653:
	s_mov_b32 s1, 0
.LBB111_3654:
	s_delay_alu instid0(SALU_CYCLE_1)
	s_and_not1_b32 vcc_lo, exec_lo, s1
	s_cbranch_vccnz .LBB111_3656
; %bb.3655:
	global_load_u8 v3, v[0:1], off
	s_wait_loadcnt 0x0
	v_lshlrev_b32_e32 v5, 25, v3
	v_lshlrev_b16 v3, 8, v3
	s_delay_alu instid0(VALU_DEP_1) | instskip(SKIP_1) | instid1(VALU_DEP_2)
	v_and_or_b32 v9, 0x7f00, v3, 0.5
	v_bfe_i32 v3, v3, 0, 16
	v_add_f32_e32 v9, -0.5, v9
	v_lshrrev_b32_e32 v7, 4, v5
	v_cmp_gt_u32_e32 vcc_lo, 0x8000000, v5
	s_delay_alu instid0(VALU_DEP_2) | instskip(NEXT) | instid1(VALU_DEP_1)
	v_or_b32_e32 v7, 0x70000000, v7
	v_mul_f32_e32 v7, 0x7800000, v7
	s_delay_alu instid0(VALU_DEP_1) | instskip(NEXT) | instid1(VALU_DEP_1)
	v_cndmask_b32_e32 v5, v7, v9, vcc_lo
	v_and_or_b32 v3, 0x80000000, v3, v5
	s_wait_xcnt 0x1
	s_delay_alu instid0(VALU_DEP_1)
	v_cvt_f64_f32_e32 v[32:33], v3
.LBB111_3656:
	s_mov_b32 s1, 0
	s_mov_b32 s6, -1
.LBB111_3657:
	s_and_not1_b32 vcc_lo, exec_lo, s1
	s_mov_b32 s1, 0
	s_cbranch_vccnz .LBB111_3668
; %bb.3658:
	s_cmp_gt_i32 s15, 14
	s_cbranch_scc0 .LBB111_3661
; %bb.3659:
	s_cmp_eq_u32 s15, 15
	s_cbranch_scc0 .LBB111_3664
; %bb.3660:
	global_load_u16 v3, v[0:1], off
	s_mov_b32 s0, 0
	s_mov_b32 s6, -1
	s_wait_loadcnt 0x0
	v_lshlrev_b32_e32 v3, 16, v3
	s_wait_xcnt 0x1
	s_delay_alu instid0(VALU_DEP_1)
	v_cvt_f64_f32_e32 v[32:33], v3
	s_branch .LBB111_3666
.LBB111_3661:
	s_mov_b32 s1, -1
	s_branch .LBB111_3665
.LBB111_3662:
	s_or_saveexec_b32 s6, s6
	v_mov_b64_e32 v[32:33], 0x7ff8000020000000
	s_xor_b32 exec_lo, exec_lo, s6
	s_cbranch_execz .LBB111_3643
.LBB111_3663:
	v_cmp_ne_u16_e32 vcc_lo, 0, v3
	v_mov_b64_e32 v[32:33], 0
	s_and_not1_b32 s1, s1, exec_lo
	s_and_b32 s7, vcc_lo, exec_lo
	s_delay_alu instid0(SALU_CYCLE_1)
	s_or_b32 s1, s1, s7
	s_or_b32 exec_lo, exec_lo, s6
	s_and_saveexec_b32 s6, s1
	s_cbranch_execnz .LBB111_3644
	s_branch .LBB111_3645
.LBB111_3664:
	s_mov_b32 s0, -1
.LBB111_3665:
                                        ; implicit-def: $vgpr32_vgpr33
.LBB111_3666:
	s_and_b32 vcc_lo, exec_lo, s1
	s_mov_b32 s1, 0
	s_cbranch_vccz .LBB111_3668
; %bb.3667:
	s_cmp_lg_u32 s15, 11
	s_mov_b32 s1, -1
	s_cselect_b32 s0, -1, 0
.LBB111_3668:
	s_delay_alu instid0(SALU_CYCLE_1)
	s_and_b32 vcc_lo, exec_lo, s0
	s_cbranch_vccnz .LBB111_4201
; %bb.3669:
	s_and_not1_b32 vcc_lo, exec_lo, s1
	s_cbranch_vccnz .LBB111_3671
.LBB111_3670:
	global_load_u8 v3, v[0:1], off
	s_wait_xcnt 0x1
	v_mov_b32_e32 v32, 0
	s_mov_b32 s6, -1
	s_wait_loadcnt 0x0
	v_cmp_ne_u16_e32 vcc_lo, 0, v3
	v_cndmask_b32_e64 v33, 0, 0x3ff00000, vcc_lo
.LBB111_3671:
	s_mov_b32 s0, 0
.LBB111_3672:
	s_delay_alu instid0(SALU_CYCLE_1)
	s_and_b32 vcc_lo, exec_lo, s0
	s_cbranch_vccz .LBB111_3721
; %bb.3673:
	s_cmp_lt_i32 s15, 5
	s_cbranch_scc1 .LBB111_3678
; %bb.3674:
	s_cmp_lt_i32 s15, 8
	s_cbranch_scc1 .LBB111_3679
	;; [unrolled: 3-line block ×3, first 2 shown]
; %bb.3676:
	s_cmp_gt_i32 s15, 9
	s_cbranch_scc0 .LBB111_3681
; %bb.3677:
	global_load_b64 v[32:33], v[0:1], off
	s_mov_b32 s0, 0
	s_branch .LBB111_3682
.LBB111_3678:
	s_mov_b32 s0, -1
                                        ; implicit-def: $vgpr32_vgpr33
	s_branch .LBB111_3700
.LBB111_3679:
	s_mov_b32 s0, -1
                                        ; implicit-def: $vgpr32_vgpr33
	s_branch .LBB111_3688
.LBB111_3680:
	s_mov_b32 s0, -1
                                        ; implicit-def: $vgpr32_vgpr33
	s_branch .LBB111_3685
.LBB111_3681:
	s_mov_b32 s0, -1
                                        ; implicit-def: $vgpr32_vgpr33
.LBB111_3682:
	s_delay_alu instid0(SALU_CYCLE_1)
	s_and_not1_b32 vcc_lo, exec_lo, s0
	s_cbranch_vccnz .LBB111_3684
; %bb.3683:
	global_load_b32 v3, v[0:1], off
	s_wait_loadcnt 0x0
	s_wait_xcnt 0x1
	v_cvt_f64_f32_e32 v[32:33], v3
.LBB111_3684:
	s_mov_b32 s0, 0
.LBB111_3685:
	s_delay_alu instid0(SALU_CYCLE_1)
	s_and_not1_b32 vcc_lo, exec_lo, s0
	s_cbranch_vccnz .LBB111_3687
; %bb.3686:
	global_load_b32 v3, v[0:1], off
	s_wait_loadcnt 0x0
	v_cvt_f32_f16_e32 v3, v3
	s_wait_xcnt 0x1
	s_delay_alu instid0(VALU_DEP_1)
	v_cvt_f64_f32_e32 v[32:33], v3
.LBB111_3687:
	s_mov_b32 s0, 0
.LBB111_3688:
	s_delay_alu instid0(SALU_CYCLE_1)
	s_and_not1_b32 vcc_lo, exec_lo, s0
	s_cbranch_vccnz .LBB111_3699
; %bb.3689:
	s_cmp_lt_i32 s15, 6
	s_cbranch_scc1 .LBB111_3692
; %bb.3690:
	s_cmp_gt_i32 s15, 6
	s_cbranch_scc0 .LBB111_3693
; %bb.3691:
	s_wait_loadcnt 0x0
	global_load_b64 v[32:33], v[0:1], off
	s_mov_b32 s0, 0
	s_branch .LBB111_3694
.LBB111_3692:
	s_mov_b32 s0, -1
                                        ; implicit-def: $vgpr32_vgpr33
	s_branch .LBB111_3697
.LBB111_3693:
	s_mov_b32 s0, -1
                                        ; implicit-def: $vgpr32_vgpr33
.LBB111_3694:
	s_delay_alu instid0(SALU_CYCLE_1)
	s_and_not1_b32 vcc_lo, exec_lo, s0
	s_cbranch_vccnz .LBB111_3696
; %bb.3695:
	global_load_b32 v3, v[0:1], off
	s_wait_loadcnt 0x0
	s_wait_xcnt 0x1
	v_cvt_f64_f32_e32 v[32:33], v3
.LBB111_3696:
	s_mov_b32 s0, 0
.LBB111_3697:
	s_delay_alu instid0(SALU_CYCLE_1)
	s_and_not1_b32 vcc_lo, exec_lo, s0
	s_cbranch_vccnz .LBB111_3699
; %bb.3698:
	global_load_u16 v3, v[0:1], off
	s_wait_loadcnt 0x0
	v_cvt_f32_f16_e32 v3, v3
	s_wait_xcnt 0x1
	s_delay_alu instid0(VALU_DEP_1)
	v_cvt_f64_f32_e32 v[32:33], v3
.LBB111_3699:
	s_mov_b32 s0, 0
.LBB111_3700:
	s_delay_alu instid0(SALU_CYCLE_1)
	s_and_not1_b32 vcc_lo, exec_lo, s0
	s_cbranch_vccnz .LBB111_3720
; %bb.3701:
	s_cmp_lt_i32 s15, 2
	s_cbranch_scc1 .LBB111_3705
; %bb.3702:
	s_cmp_lt_i32 s15, 3
	s_cbranch_scc1 .LBB111_3706
; %bb.3703:
	s_cmp_gt_i32 s15, 3
	s_cbranch_scc0 .LBB111_3707
; %bb.3704:
	s_wait_loadcnt 0x0
	global_load_b64 v[32:33], v[0:1], off
	s_mov_b32 s0, 0
	s_wait_loadcnt 0x0
	v_cvt_f64_i32_e32 v[34:35], v33
	v_cvt_f64_u32_e32 v[32:33], v32
	s_delay_alu instid0(VALU_DEP_2) | instskip(NEXT) | instid1(VALU_DEP_1)
	v_ldexp_f64 v[34:35], v[34:35], 32
	v_add_f64_e32 v[32:33], v[34:35], v[32:33]
	s_branch .LBB111_3708
.LBB111_3705:
	s_mov_b32 s0, -1
                                        ; implicit-def: $vgpr32_vgpr33
	s_branch .LBB111_3714
.LBB111_3706:
	s_mov_b32 s0, -1
                                        ; implicit-def: $vgpr32_vgpr33
	s_branch .LBB111_3711
.LBB111_3707:
	s_mov_b32 s0, -1
                                        ; implicit-def: $vgpr32_vgpr33
.LBB111_3708:
	s_delay_alu instid0(SALU_CYCLE_1)
	s_and_not1_b32 vcc_lo, exec_lo, s0
	s_cbranch_vccnz .LBB111_3710
; %bb.3709:
	global_load_b32 v3, v[0:1], off
	s_wait_loadcnt 0x0
	s_wait_xcnt 0x1
	v_cvt_f64_i32_e32 v[32:33], v3
.LBB111_3710:
	s_mov_b32 s0, 0
.LBB111_3711:
	s_delay_alu instid0(SALU_CYCLE_1)
	s_and_not1_b32 vcc_lo, exec_lo, s0
	s_cbranch_vccnz .LBB111_3713
; %bb.3712:
	global_load_i16 v3, v[0:1], off
	s_wait_loadcnt 0x0
	s_wait_xcnt 0x1
	v_cvt_f64_i32_e32 v[32:33], v3
.LBB111_3713:
	s_mov_b32 s0, 0
.LBB111_3714:
	s_delay_alu instid0(SALU_CYCLE_1)
	s_and_not1_b32 vcc_lo, exec_lo, s0
	s_cbranch_vccnz .LBB111_3720
; %bb.3715:
	s_cmp_gt_i32 s15, 0
	s_mov_b32 s0, 0
	s_cbranch_scc0 .LBB111_3717
; %bb.3716:
	global_load_i8 v3, v[0:1], off
	s_wait_loadcnt 0x0
	s_wait_xcnt 0x1
	v_cvt_f64_i32_e32 v[32:33], v3
	s_branch .LBB111_3718
.LBB111_3717:
	s_mov_b32 s0, -1
                                        ; implicit-def: $vgpr32_vgpr33
.LBB111_3718:
	s_delay_alu instid0(SALU_CYCLE_1)
	s_and_not1_b32 vcc_lo, exec_lo, s0
	s_cbranch_vccnz .LBB111_3720
; %bb.3719:
	global_load_u8 v0, v[0:1], off
	s_wait_loadcnt 0x0
	v_cvt_f64_u32_e32 v[32:33], v0
.LBB111_3720:
	s_mov_b32 s6, -1
.LBB111_3721:
	s_delay_alu instid0(SALU_CYCLE_1)
	s_and_not1_b32 vcc_lo, exec_lo, s6
	s_cbranch_vccnz .LBB111_4155
; %bb.3722:
	s_clause 0x1
	s_load_b128 s[8:11], s[2:3], 0x1e8
	s_load_b32 s0, s[2:3], 0x1f8
	s_wait_kmcnt 0x0
	v_dual_mul_f64 v[0:1], s[10:11], v[12:13] :: v_dual_mov_b32 v3, 0
	s_and_b32 s1, s0, 0xff
	s_delay_alu instid0(SALU_CYCLE_1) | instskip(SKIP_1) | instid1(VALU_DEP_1)
	s_cmp_lt_i32 s1, 11
	s_wait_loadcnt 0x0
	v_mul_f64_e32 v[0:1], v[0:1], v[18:19]
	s_delay_alu instid0(VALU_DEP_1)
	v_fmac_f64_e32 v[0:1], s[8:9], v[10:11]
	v_add_nc_u64_e32 v[10:11], s[4:5], v[2:3]
	s_cbranch_scc1 .LBB111_3800
; %bb.3723:
	s_and_b32 s2, 0xffff, s1
	s_mov_b32 s7, -1
	s_mov_b32 s3, 0
	s_cmp_gt_i32 s2, 25
	s_mov_b32 s6, 0
	s_mov_b32 s0, 0
	s_cbranch_scc0 .LBB111_3756
; %bb.3724:
	s_cmp_gt_i32 s2, 28
	s_cbranch_scc0 .LBB111_3739
; %bb.3725:
	s_cmp_gt_i32 s2, 43
	;; [unrolled: 3-line block ×3, first 2 shown]
	s_cbranch_scc0 .LBB111_3729
; %bb.3727:
	s_mov_b32 s0, -1
	s_mov_b32 s7, 0
	s_cmp_eq_u32 s2, 46
	s_cbranch_scc0 .LBB111_3729
; %bb.3728:
	s_delay_alu instid0(VALU_DEP_2) | instskip(SKIP_2) | instid1(VALU_DEP_1)
	v_cvt_f32_f64_e32 v2, v[0:1]
	s_mov_b32 s0, 0
	s_mov_b32 s6, -1
	v_bfe_u32 v3, v2, 16, 1
	v_cmp_o_f32_e32 vcc_lo, v2, v2
	s_delay_alu instid0(VALU_DEP_2) | instskip(NEXT) | instid1(VALU_DEP_1)
	v_add3_u32 v3, v2, v3, 0x7fff
	v_lshrrev_b32_e32 v3, 16, v3
	s_delay_alu instid0(VALU_DEP_1)
	v_cndmask_b32_e32 v2, 0x7fc0, v3, vcc_lo
	global_store_b32 v[10:11], v2, off
.LBB111_3729:
	s_and_b32 vcc_lo, exec_lo, s7
	s_cbranch_vccz .LBB111_3734
; %bb.3730:
	s_cmp_eq_u32 s2, 44
	s_mov_b32 s0, -1
	s_cbranch_scc0 .LBB111_3734
; %bb.3731:
	s_wait_xcnt 0x0
	s_delay_alu instid0(VALU_DEP_2) | instskip(SKIP_2) | instid1(VALU_DEP_2)
	v_cvt_f32_f64_e32 v2, v[0:1]
	v_mov_b32_e32 v3, 0xff
	s_mov_b32 s6, exec_lo
	v_bfe_u32 v5, v2, 23, 8
	s_delay_alu instid0(VALU_DEP_1)
	v_cmpx_ne_u32_e32 0xff, v5
	s_cbranch_execz .LBB111_3733
; %bb.3732:
	v_and_b32_e32 v3, 0x400000, v2
	v_and_or_b32 v5, 0x3fffff, v2, v5
	v_lshrrev_b32_e32 v2, 23, v2
	s_delay_alu instid0(VALU_DEP_3) | instskip(NEXT) | instid1(VALU_DEP_3)
	v_cmp_ne_u32_e32 vcc_lo, 0, v3
	v_cmp_ne_u32_e64 s0, 0, v5
	s_and_b32 s0, vcc_lo, s0
	s_delay_alu instid0(SALU_CYCLE_1) | instskip(NEXT) | instid1(VALU_DEP_1)
	v_cndmask_b32_e64 v3, 0, 1, s0
	v_add_nc_u32_e32 v3, v2, v3
.LBB111_3733:
	s_or_b32 exec_lo, exec_lo, s6
	s_mov_b32 s0, 0
	s_mov_b32 s6, -1
	global_store_b8 v[10:11], v3, off
.LBB111_3734:
	s_mov_b32 s7, 0
.LBB111_3735:
	s_delay_alu instid0(SALU_CYCLE_1)
	s_and_b32 vcc_lo, exec_lo, s7
	s_cbranch_vccz .LBB111_3738
; %bb.3736:
	s_cmp_eq_u32 s2, 29
	s_mov_b32 s0, -1
	s_cbranch_scc0 .LBB111_3738
; %bb.3737:
	s_wait_xcnt 0x0
	s_delay_alu instid0(VALU_DEP_2) | instskip(SKIP_2) | instid1(VALU_DEP_1)
	v_trunc_f64_e32 v[2:3], v[0:1]
	s_mov_b32 s0, 0
	s_mov_b32 s6, -1
	v_ldexp_f64 v[12:13], v[2:3], 0xffffffe0
	s_delay_alu instid0(VALU_DEP_1) | instskip(NEXT) | instid1(VALU_DEP_1)
	v_floor_f64_e32 v[12:13], v[12:13]
	v_fmamk_f64 v[2:3], v[12:13], 0xc1f00000, v[2:3]
	v_cvt_u32_f64_e32 v13, v[12:13]
	s_delay_alu instid0(VALU_DEP_2)
	v_cvt_u32_f64_e32 v12, v[2:3]
	global_store_b64 v[10:11], v[12:13], off
.LBB111_3738:
	s_mov_b32 s7, 0
.LBB111_3739:
	s_delay_alu instid0(SALU_CYCLE_1)
	s_and_b32 vcc_lo, exec_lo, s7
	s_cbranch_vccz .LBB111_3755
; %bb.3740:
	s_cmp_lt_i32 s2, 27
	s_mov_b32 s6, -1
	s_cbranch_scc1 .LBB111_3746
; %bb.3741:
	s_wait_xcnt 0x0
	s_delay_alu instid0(VALU_DEP_2)
	v_cvt_u32_f64_e32 v2, v[0:1]
	s_cmp_gt_i32 s2, 27
	s_cbranch_scc0 .LBB111_3743
; %bb.3742:
	s_mov_b32 s6, 0
	global_store_b32 v[10:11], v2, off
.LBB111_3743:
	s_and_not1_b32 vcc_lo, exec_lo, s6
	s_cbranch_vccnz .LBB111_3745
; %bb.3744:
	global_store_b16 v[10:11], v2, off
.LBB111_3745:
	s_mov_b32 s6, 0
.LBB111_3746:
	s_delay_alu instid0(SALU_CYCLE_1)
	s_and_not1_b32 vcc_lo, exec_lo, s6
	s_cbranch_vccnz .LBB111_3754
; %bb.3747:
	s_wait_xcnt 0x0
	s_delay_alu instid0(VALU_DEP_2) | instskip(SKIP_2) | instid1(VALU_DEP_2)
	v_cvt_f32_f64_e32 v2, v[0:1]
	v_mov_b32_e32 v5, 0x80
	s_mov_b32 s6, exec_lo
	v_and_b32_e32 v3, 0x7fffffff, v2
	s_delay_alu instid0(VALU_DEP_1)
	v_cmpx_gt_u32_e32 0x43800000, v3
	s_cbranch_execz .LBB111_3753
; %bb.3748:
	v_cmp_lt_u32_e32 vcc_lo, 0x3bffffff, v3
	s_mov_b32 s7, 0
                                        ; implicit-def: $vgpr3
	s_and_saveexec_b32 s15, vcc_lo
	s_delay_alu instid0(SALU_CYCLE_1)
	s_xor_b32 s15, exec_lo, s15
	s_cbranch_execz .LBB111_4202
; %bb.3749:
	v_bfe_u32 v3, v2, 20, 1
	s_mov_b32 s7, exec_lo
	s_delay_alu instid0(VALU_DEP_1) | instskip(NEXT) | instid1(VALU_DEP_1)
	v_add3_u32 v3, v2, v3, 0x487ffff
	v_lshrrev_b32_e32 v3, 20, v3
	s_and_not1_saveexec_b32 s15, s15
	s_cbranch_execnz .LBB111_4203
.LBB111_3750:
	s_or_b32 exec_lo, exec_lo, s15
	v_mov_b32_e32 v5, 0
	s_and_saveexec_b32 s15, s7
.LBB111_3751:
	v_lshrrev_b32_e32 v2, 24, v2
	s_delay_alu instid0(VALU_DEP_1)
	v_and_or_b32 v5, 0x80, v2, v3
.LBB111_3752:
	s_or_b32 exec_lo, exec_lo, s15
.LBB111_3753:
	s_delay_alu instid0(SALU_CYCLE_1)
	s_or_b32 exec_lo, exec_lo, s6
	global_store_b8 v[10:11], v5, off
.LBB111_3754:
	s_mov_b32 s6, -1
.LBB111_3755:
	s_mov_b32 s7, 0
.LBB111_3756:
	s_delay_alu instid0(SALU_CYCLE_1)
	s_and_b32 vcc_lo, exec_lo, s7
	s_cbranch_vccz .LBB111_3796
; %bb.3757:
	s_cmp_gt_i32 s2, 22
	s_mov_b32 s3, -1
	s_cbranch_scc0 .LBB111_3789
; %bb.3758:
	s_cmp_lt_i32 s2, 24
	s_cbranch_scc1 .LBB111_3778
; %bb.3759:
	s_cmp_gt_i32 s2, 24
	s_cbranch_scc0 .LBB111_3767
; %bb.3760:
	s_wait_xcnt 0x0
	s_delay_alu instid0(VALU_DEP_2) | instskip(SKIP_2) | instid1(VALU_DEP_2)
	v_cvt_f32_f64_e32 v2, v[0:1]
	v_mov_b32_e32 v5, 0x80
	s_mov_b32 s3, exec_lo
	v_and_b32_e32 v3, 0x7fffffff, v2
	s_delay_alu instid0(VALU_DEP_1)
	v_cmpx_gt_u32_e32 0x47800000, v3
	s_cbranch_execz .LBB111_3766
; %bb.3761:
	v_cmp_lt_u32_e32 vcc_lo, 0x37ffffff, v3
	s_mov_b32 s6, 0
                                        ; implicit-def: $vgpr3
	s_and_saveexec_b32 s7, vcc_lo
	s_delay_alu instid0(SALU_CYCLE_1)
	s_xor_b32 s7, exec_lo, s7
	s_cbranch_execz .LBB111_4205
; %bb.3762:
	v_bfe_u32 v3, v2, 21, 1
	s_mov_b32 s6, exec_lo
	s_delay_alu instid0(VALU_DEP_1) | instskip(NEXT) | instid1(VALU_DEP_1)
	v_add3_u32 v3, v2, v3, 0x88fffff
	v_lshrrev_b32_e32 v3, 21, v3
	s_and_not1_saveexec_b32 s7, s7
	s_cbranch_execnz .LBB111_4206
.LBB111_3763:
	s_or_b32 exec_lo, exec_lo, s7
	v_mov_b32_e32 v5, 0
	s_and_saveexec_b32 s7, s6
.LBB111_3764:
	v_lshrrev_b32_e32 v2, 24, v2
	s_delay_alu instid0(VALU_DEP_1)
	v_and_or_b32 v5, 0x80, v2, v3
.LBB111_3765:
	s_or_b32 exec_lo, exec_lo, s7
.LBB111_3766:
	s_delay_alu instid0(SALU_CYCLE_1)
	s_or_b32 exec_lo, exec_lo, s3
	s_mov_b32 s3, 0
	global_store_b8 v[10:11], v5, off
.LBB111_3767:
	s_and_b32 vcc_lo, exec_lo, s3
	s_cbranch_vccz .LBB111_3777
; %bb.3768:
	s_wait_xcnt 0x0
	s_delay_alu instid0(VALU_DEP_2) | instskip(SKIP_1) | instid1(VALU_DEP_1)
	v_cvt_f32_f64_e32 v2, v[0:1]
	s_mov_b32 s3, exec_lo
                                        ; implicit-def: $vgpr3
	v_and_b32_e32 v5, 0x7fffffff, v2
	s_delay_alu instid0(VALU_DEP_1)
	v_cmpx_gt_u32_e32 0x43f00000, v5
	s_xor_b32 s3, exec_lo, s3
	s_cbranch_execz .LBB111_3774
; %bb.3769:
	s_mov_b32 s6, exec_lo
                                        ; implicit-def: $vgpr3
	v_cmpx_lt_u32_e32 0x3c7fffff, v5
	s_xor_b32 s6, exec_lo, s6
; %bb.3770:
	v_bfe_u32 v3, v2, 20, 1
	s_delay_alu instid0(VALU_DEP_1) | instskip(NEXT) | instid1(VALU_DEP_1)
	v_add3_u32 v3, v2, v3, 0x407ffff
	v_and_b32_e32 v5, 0xff00000, v3
	v_lshrrev_b32_e32 v3, 20, v3
	s_delay_alu instid0(VALU_DEP_2) | instskip(NEXT) | instid1(VALU_DEP_2)
	v_cmp_ne_u32_e32 vcc_lo, 0x7f00000, v5
	v_cndmask_b32_e32 v3, 0x7e, v3, vcc_lo
; %bb.3771:
	s_and_not1_saveexec_b32 s6, s6
; %bb.3772:
	v_add_f32_e64 v3, 0x46800000, |v2|
; %bb.3773:
	s_or_b32 exec_lo, exec_lo, s6
                                        ; implicit-def: $vgpr5
.LBB111_3774:
	s_and_not1_saveexec_b32 s3, s3
; %bb.3775:
	v_mov_b32_e32 v3, 0x7f
	v_cmp_lt_u32_e32 vcc_lo, 0x7f800000, v5
	s_delay_alu instid0(VALU_DEP_2)
	v_cndmask_b32_e32 v3, 0x7e, v3, vcc_lo
; %bb.3776:
	s_or_b32 exec_lo, exec_lo, s3
	v_lshrrev_b32_e32 v2, 24, v2
	s_delay_alu instid0(VALU_DEP_1)
	v_and_or_b32 v2, 0x80, v2, v3
	global_store_b8 v[10:11], v2, off
.LBB111_3777:
	s_mov_b32 s3, 0
.LBB111_3778:
	s_delay_alu instid0(SALU_CYCLE_1)
	s_and_not1_b32 vcc_lo, exec_lo, s3
	s_cbranch_vccnz .LBB111_3788
; %bb.3779:
	s_wait_xcnt 0x0
	s_delay_alu instid0(VALU_DEP_2) | instskip(SKIP_1) | instid1(VALU_DEP_1)
	v_cvt_f32_f64_e32 v2, v[0:1]
	s_mov_b32 s3, exec_lo
                                        ; implicit-def: $vgpr3
	v_and_b32_e32 v5, 0x7fffffff, v2
	s_delay_alu instid0(VALU_DEP_1)
	v_cmpx_gt_u32_e32 0x47800000, v5
	s_xor_b32 s3, exec_lo, s3
	s_cbranch_execz .LBB111_3785
; %bb.3780:
	s_mov_b32 s6, exec_lo
                                        ; implicit-def: $vgpr3
	v_cmpx_lt_u32_e32 0x387fffff, v5
	s_xor_b32 s6, exec_lo, s6
; %bb.3781:
	v_bfe_u32 v3, v2, 21, 1
	s_delay_alu instid0(VALU_DEP_1) | instskip(NEXT) | instid1(VALU_DEP_1)
	v_add3_u32 v3, v2, v3, 0x80fffff
	v_lshrrev_b32_e32 v3, 21, v3
; %bb.3782:
	s_and_not1_saveexec_b32 s6, s6
; %bb.3783:
	v_add_f32_e64 v3, 0x43000000, |v2|
; %bb.3784:
	s_or_b32 exec_lo, exec_lo, s6
                                        ; implicit-def: $vgpr5
.LBB111_3785:
	s_and_not1_saveexec_b32 s3, s3
; %bb.3786:
	v_mov_b32_e32 v3, 0x7f
	v_cmp_lt_u32_e32 vcc_lo, 0x7f800000, v5
	s_delay_alu instid0(VALU_DEP_2)
	v_cndmask_b32_e32 v3, 0x7c, v3, vcc_lo
; %bb.3787:
	s_or_b32 exec_lo, exec_lo, s3
	v_lshrrev_b32_e32 v2, 24, v2
	s_delay_alu instid0(VALU_DEP_1)
	v_and_or_b32 v2, 0x80, v2, v3
	global_store_b8 v[10:11], v2, off
.LBB111_3788:
	s_mov_b32 s3, 0
	s_mov_b32 s6, -1
.LBB111_3789:
	s_and_not1_b32 vcc_lo, exec_lo, s3
	s_mov_b32 s3, 0
	s_cbranch_vccnz .LBB111_3796
; %bb.3790:
	s_cmp_gt_i32 s2, 14
	s_mov_b32 s3, -1
	s_cbranch_scc0 .LBB111_3794
; %bb.3791:
	s_cmp_eq_u32 s2, 15
	s_mov_b32 s0, -1
	s_cbranch_scc0 .LBB111_3793
; %bb.3792:
	s_wait_xcnt 0x0
	s_delay_alu instid0(VALU_DEP_2) | instskip(SKIP_2) | instid1(VALU_DEP_1)
	v_cvt_f32_f64_e32 v2, v[0:1]
	s_mov_b32 s0, 0
	s_mov_b32 s6, -1
	v_bfe_u32 v3, v2, 16, 1
	v_cmp_o_f32_e32 vcc_lo, v2, v2
	s_delay_alu instid0(VALU_DEP_2) | instskip(NEXT) | instid1(VALU_DEP_1)
	v_add3_u32 v3, v2, v3, 0x7fff
	v_lshrrev_b32_e32 v3, 16, v3
	s_delay_alu instid0(VALU_DEP_1)
	v_cndmask_b32_e32 v2, 0x7fc0, v3, vcc_lo
	global_store_b16 v[10:11], v2, off
.LBB111_3793:
	s_mov_b32 s3, 0
.LBB111_3794:
	s_delay_alu instid0(SALU_CYCLE_1)
	s_and_b32 vcc_lo, exec_lo, s3
	s_mov_b32 s3, 0
	s_cbranch_vccz .LBB111_3796
; %bb.3795:
	s_cmp_lg_u32 s2, 11
	s_mov_b32 s3, -1
	s_cselect_b32 s0, -1, 0
.LBB111_3796:
	s_delay_alu instid0(SALU_CYCLE_1)
	s_and_b32 vcc_lo, exec_lo, s0
	s_cbranch_vccnz .LBB111_4204
; %bb.3797:
	s_and_not1_b32 vcc_lo, exec_lo, s3
	s_cbranch_vccnz .LBB111_3799
.LBB111_3798:
	s_delay_alu instid0(VALU_DEP_2)
	v_cmp_neq_f64_e32 vcc_lo, 0, v[0:1]
	s_mov_b32 s6, -1
	s_wait_xcnt 0x0
	v_cndmask_b32_e64 v2, 0, 1, vcc_lo
	global_store_b8 v[10:11], v2, off
.LBB111_3799:
	s_mov_b32 s0, 0
	s_branch .LBB111_3801
.LBB111_3800:
	s_mov_b32 s0, -1
	s_mov_b32 s6, 0
.LBB111_3801:
	s_and_b32 vcc_lo, exec_lo, s0
	s_cbranch_vccz .LBB111_3840
; %bb.3802:
	s_and_b32 s0, 0xffff, s1
	s_mov_b32 s2, -1
	s_cmp_lt_i32 s0, 5
	s_cbranch_scc1 .LBB111_3823
; %bb.3803:
	s_cmp_lt_i32 s0, 8
	s_cbranch_scc1 .LBB111_3813
; %bb.3804:
	;; [unrolled: 3-line block ×3, first 2 shown]
	s_cmp_gt_i32 s0, 9
	s_cbranch_scc0 .LBB111_3807
; %bb.3806:
	s_wait_xcnt 0x0
	v_mov_b32_e32 v2, 0
	s_mov_b32 s2, 0
	s_delay_alu instid0(VALU_DEP_1)
	v_mov_b32_e32 v3, v2
	global_store_b128 v[10:11], v[0:3], off
.LBB111_3807:
	s_and_not1_b32 vcc_lo, exec_lo, s2
	s_cbranch_vccnz .LBB111_3809
; %bb.3808:
	s_wait_xcnt 0x0
	s_delay_alu instid0(VALU_DEP_2)
	v_cvt_f32_f64_e32 v2, v[0:1]
	v_mov_b32_e32 v3, 0
	global_store_b64 v[10:11], v[2:3], off
.LBB111_3809:
	s_mov_b32 s2, 0
.LBB111_3810:
	s_delay_alu instid0(SALU_CYCLE_1)
	s_and_not1_b32 vcc_lo, exec_lo, s2
	s_cbranch_vccnz .LBB111_3812
; %bb.3811:
	s_wait_xcnt 0x0
	s_delay_alu instid0(VALU_DEP_2) | instskip(SKIP_2) | instid1(VALU_DEP_3)
	v_and_or_b32 v2, 0x1ff, v1, v0
	v_lshrrev_b32_e32 v3, 8, v1
	v_bfe_u32 v5, v1, 20, 11
	v_cmp_ne_u32_e32 vcc_lo, 0, v2
	s_delay_alu instid0(VALU_DEP_2) | instskip(SKIP_2) | instid1(VALU_DEP_1)
	v_sub_nc_u32_e32 v7, 0x3f1, v5
	v_add_nc_u32_e32 v5, 0xfffffc10, v5
	v_cndmask_b32_e64 v2, 0, 1, vcc_lo
	v_and_or_b32 v2, 0xffe, v3, v2
	s_delay_alu instid0(VALU_DEP_4) | instskip(NEXT) | instid1(VALU_DEP_2)
	v_med3_i32 v3, v7, 0, 13
	v_or_b32_e32 v7, 0x1000, v2
	s_delay_alu instid0(VALU_DEP_1) | instskip(NEXT) | instid1(VALU_DEP_1)
	v_lshrrev_b32_e32 v9, v3, v7
	v_lshlrev_b32_e32 v3, v3, v9
	s_delay_alu instid0(VALU_DEP_1) | instskip(SKIP_3) | instid1(VALU_DEP_2)
	v_cmp_ne_u32_e32 vcc_lo, v3, v7
	v_lshl_or_b32 v7, v5, 12, v2
	v_cndmask_b32_e64 v3, 0, 1, vcc_lo
	v_cmp_gt_i32_e32 vcc_lo, 1, v5
	v_or_b32_e32 v3, v9, v3
	s_delay_alu instid0(VALU_DEP_1) | instskip(NEXT) | instid1(VALU_DEP_1)
	v_cndmask_b32_e32 v3, v7, v3, vcc_lo
	v_and_b32_e32 v7, 7, v3
	s_delay_alu instid0(VALU_DEP_1) | instskip(SKIP_4) | instid1(VALU_DEP_2)
	v_cmp_lt_i32_e32 vcc_lo, 5, v7
	v_cndmask_b32_e64 v9, 0, 1, vcc_lo
	v_cmp_eq_u32_e32 vcc_lo, 3, v7
	v_cndmask_b32_e64 v7, 0, 1, vcc_lo
	v_cmp_ne_u32_e32 vcc_lo, 0, v2
	v_dual_lshrrev_b32 v3, 2, v3 :: v_dual_bitop2_b32 v7, v7, v9 bitop3:0x54
	v_mov_b32_e32 v9, 0x7e00
	s_delay_alu instid0(VALU_DEP_1) | instskip(SKIP_2) | instid1(VALU_DEP_3)
	v_dual_cndmask_b32 v2, 0x7c00, v9 :: v_dual_add_nc_u32 v3, v3, v7
	v_cmp_gt_i32_e32 vcc_lo, 31, v5
	v_lshrrev_b32_e32 v7, 16, v1
	v_cndmask_b32_e32 v3, 0x7c00, v3, vcc_lo
	v_cmp_eq_u32_e32 vcc_lo, 0x40f, v5
	s_delay_alu instid0(VALU_DEP_2) | instskip(NEXT) | instid1(VALU_DEP_4)
	v_cndmask_b32_e32 v2, v3, v2, vcc_lo
	v_and_b32_e32 v3, 0x8000, v7
	s_delay_alu instid0(VALU_DEP_1)
	v_bitop3_b32 v2, v3, 0xffff, v2 bitop3:0xc8
	global_store_b32 v[10:11], v2, off
.LBB111_3812:
	s_mov_b32 s2, 0
.LBB111_3813:
	s_delay_alu instid0(SALU_CYCLE_1)
	s_and_not1_b32 vcc_lo, exec_lo, s2
	s_cbranch_vccnz .LBB111_3822
; %bb.3814:
	s_cmp_lt_i32 s0, 6
	s_mov_b32 s2, -1
	s_cbranch_scc1 .LBB111_3820
; %bb.3815:
	s_cmp_gt_i32 s0, 6
	s_cbranch_scc0 .LBB111_3817
; %bb.3816:
	s_mov_b32 s2, 0
	global_store_b64 v[10:11], v[0:1], off
.LBB111_3817:
	s_and_not1_b32 vcc_lo, exec_lo, s2
	s_cbranch_vccnz .LBB111_3819
; %bb.3818:
	s_wait_xcnt 0x0
	s_delay_alu instid0(VALU_DEP_2)
	v_cvt_f32_f64_e32 v2, v[0:1]
	global_store_b32 v[10:11], v2, off
.LBB111_3819:
	s_mov_b32 s2, 0
.LBB111_3820:
	s_delay_alu instid0(SALU_CYCLE_1)
	s_and_not1_b32 vcc_lo, exec_lo, s2
	s_cbranch_vccnz .LBB111_3822
; %bb.3821:
	s_wait_xcnt 0x0
	s_delay_alu instid0(VALU_DEP_2) | instskip(SKIP_2) | instid1(VALU_DEP_3)
	v_and_or_b32 v2, 0x1ff, v1, v0
	v_lshrrev_b32_e32 v3, 8, v1
	v_bfe_u32 v5, v1, 20, 11
	v_cmp_ne_u32_e32 vcc_lo, 0, v2
	s_delay_alu instid0(VALU_DEP_2) | instskip(SKIP_2) | instid1(VALU_DEP_1)
	v_sub_nc_u32_e32 v7, 0x3f1, v5
	v_add_nc_u32_e32 v5, 0xfffffc10, v5
	v_cndmask_b32_e64 v2, 0, 1, vcc_lo
	v_and_or_b32 v2, 0xffe, v3, v2
	s_delay_alu instid0(VALU_DEP_4) | instskip(NEXT) | instid1(VALU_DEP_2)
	v_med3_i32 v3, v7, 0, 13
	v_or_b32_e32 v7, 0x1000, v2
	s_delay_alu instid0(VALU_DEP_1) | instskip(NEXT) | instid1(VALU_DEP_1)
	v_lshrrev_b32_e32 v9, v3, v7
	v_lshlrev_b32_e32 v3, v3, v9
	s_delay_alu instid0(VALU_DEP_1) | instskip(SKIP_3) | instid1(VALU_DEP_2)
	v_cmp_ne_u32_e32 vcc_lo, v3, v7
	v_lshl_or_b32 v7, v5, 12, v2
	v_cndmask_b32_e64 v3, 0, 1, vcc_lo
	v_cmp_gt_i32_e32 vcc_lo, 1, v5
	v_or_b32_e32 v3, v9, v3
	s_delay_alu instid0(VALU_DEP_1) | instskip(NEXT) | instid1(VALU_DEP_1)
	v_cndmask_b32_e32 v3, v7, v3, vcc_lo
	v_and_b32_e32 v7, 7, v3
	s_delay_alu instid0(VALU_DEP_1) | instskip(SKIP_4) | instid1(VALU_DEP_2)
	v_cmp_lt_i32_e32 vcc_lo, 5, v7
	v_cndmask_b32_e64 v9, 0, 1, vcc_lo
	v_cmp_eq_u32_e32 vcc_lo, 3, v7
	v_cndmask_b32_e64 v7, 0, 1, vcc_lo
	v_cmp_ne_u32_e32 vcc_lo, 0, v2
	v_dual_lshrrev_b32 v3, 2, v3 :: v_dual_bitop2_b32 v7, v7, v9 bitop3:0x54
	v_mov_b32_e32 v9, 0x7e00
	s_delay_alu instid0(VALU_DEP_1) | instskip(SKIP_1) | instid1(VALU_DEP_2)
	v_dual_cndmask_b32 v2, 0x7c00, v9 :: v_dual_add_nc_u32 v3, v3, v7
	v_cmp_gt_i32_e32 vcc_lo, 31, v5
	v_cndmask_b32_e32 v3, 0x7c00, v3, vcc_lo
	v_cmp_eq_u32_e32 vcc_lo, 0x40f, v5
	s_delay_alu instid0(VALU_DEP_2) | instskip(NEXT) | instid1(VALU_DEP_1)
	v_dual_cndmask_b32 v2, v3, v2 :: v_dual_lshrrev_b32 v3, 16, v1
	v_and_or_b32 v2, 0x8000, v3, v2
	global_store_b16 v[10:11], v2, off
.LBB111_3822:
	s_mov_b32 s2, 0
.LBB111_3823:
	s_delay_alu instid0(SALU_CYCLE_1)
	s_and_not1_b32 vcc_lo, exec_lo, s2
	s_cbranch_vccnz .LBB111_3839
; %bb.3824:
	s_cmp_lt_i32 s0, 2
	s_mov_b32 s2, -1
	s_cbranch_scc1 .LBB111_3834
; %bb.3825:
	s_cmp_lt_i32 s0, 3
	s_cbranch_scc1 .LBB111_3831
; %bb.3826:
	s_cmp_gt_i32 s0, 3
	s_cbranch_scc0 .LBB111_3828
; %bb.3827:
	s_wait_xcnt 0x0
	s_delay_alu instid0(VALU_DEP_2) | instskip(SKIP_1) | instid1(VALU_DEP_1)
	v_trunc_f64_e32 v[2:3], v[0:1]
	s_mov_b32 s2, 0
	v_ldexp_f64 v[12:13], v[2:3], 0xffffffe0
	s_delay_alu instid0(VALU_DEP_1) | instskip(NEXT) | instid1(VALU_DEP_1)
	v_floor_f64_e32 v[12:13], v[12:13]
	v_fmamk_f64 v[2:3], v[12:13], 0xc1f00000, v[2:3]
	v_cvt_i32_f64_e32 v13, v[12:13]
	s_delay_alu instid0(VALU_DEP_2)
	v_cvt_u32_f64_e32 v12, v[2:3]
	global_store_b64 v[10:11], v[12:13], off
.LBB111_3828:
	s_and_not1_b32 vcc_lo, exec_lo, s2
	s_cbranch_vccnz .LBB111_3830
; %bb.3829:
	s_wait_xcnt 0x0
	s_delay_alu instid0(VALU_DEP_2)
	v_cvt_i32_f64_e32 v2, v[0:1]
	global_store_b32 v[10:11], v2, off
.LBB111_3830:
	s_mov_b32 s2, 0
.LBB111_3831:
	s_delay_alu instid0(SALU_CYCLE_1)
	s_and_not1_b32 vcc_lo, exec_lo, s2
	s_cbranch_vccnz .LBB111_3833
; %bb.3832:
	s_wait_xcnt 0x0
	s_delay_alu instid0(VALU_DEP_2)
	v_cvt_i32_f64_e32 v2, v[0:1]
	global_store_b16 v[10:11], v2, off
.LBB111_3833:
	s_mov_b32 s2, 0
.LBB111_3834:
	s_delay_alu instid0(SALU_CYCLE_1)
	s_and_not1_b32 vcc_lo, exec_lo, s2
	s_cbranch_vccnz .LBB111_3839
; %bb.3835:
	s_cmp_gt_i32 s0, 0
	s_mov_b32 s0, -1
	s_cbranch_scc0 .LBB111_3837
; %bb.3836:
	s_wait_xcnt 0x0
	s_delay_alu instid0(VALU_DEP_2)
	v_cvt_i32_f64_e32 v2, v[0:1]
	s_mov_b32 s0, 0
	global_store_b8 v[10:11], v2, off
.LBB111_3837:
	s_and_not1_b32 vcc_lo, exec_lo, s0
	s_cbranch_vccnz .LBB111_3839
; %bb.3838:
	s_wait_xcnt 0x0
	s_delay_alu instid0(VALU_DEP_2) | instskip(NEXT) | instid1(VALU_DEP_1)
	v_trunc_f64_e32 v[0:1], v[0:1]
	v_ldexp_f64 v[2:3], v[0:1], 0xffffffe0
	s_delay_alu instid0(VALU_DEP_1) | instskip(NEXT) | instid1(VALU_DEP_1)
	v_floor_f64_e32 v[2:3], v[2:3]
	v_fmamk_f64 v[0:1], v[2:3], 0xc1f00000, v[0:1]
	s_delay_alu instid0(VALU_DEP_1)
	v_cvt_u32_f64_e32 v0, v[0:1]
	global_store_b8 v[10:11], v0, off
.LBB111_3839:
	s_mov_b32 s6, -1
.LBB111_3840:
	s_delay_alu instid0(SALU_CYCLE_1)
	s_and_not1_b32 vcc_lo, exec_lo, s6
	s_cbranch_vccnz .LBB111_4155
; %bb.3841:
	s_wait_xcnt 0x0
	v_dual_mul_f64 v[0:1], s[10:11], v[22:23] :: v_dual_mov_b32 v9, 0
	s_and_b32 s2, 0xffff, s1
	s_delay_alu instid0(SALU_CYCLE_1) | instskip(NEXT) | instid1(VALU_DEP_1)
	s_cmp_lt_i32 s2, 11
	v_add_nc_u64_e32 v[8:9], s[4:5], v[8:9]
	s_delay_alu instid0(VALU_DEP_2) | instskip(NEXT) | instid1(VALU_DEP_1)
	v_mul_f64_e32 v[0:1], v[0:1], v[28:29]
	v_fmac_f64_e32 v[0:1], s[8:9], v[16:17]
	s_cbranch_scc1 .LBB111_3919
; %bb.3842:
	s_mov_b32 s7, -1
	s_mov_b32 s3, 0
	s_cmp_gt_i32 s2, 25
	s_mov_b32 s6, 0
	s_mov_b32 s0, 0
	s_cbranch_scc0 .LBB111_3875
; %bb.3843:
	s_cmp_gt_i32 s2, 28
	s_cbranch_scc0 .LBB111_3858
; %bb.3844:
	s_cmp_gt_i32 s2, 43
	;; [unrolled: 3-line block ×3, first 2 shown]
	s_cbranch_scc0 .LBB111_3848
; %bb.3846:
	s_mov_b32 s0, -1
	s_mov_b32 s7, 0
	s_cmp_eq_u32 s2, 46
	s_cbranch_scc0 .LBB111_3848
; %bb.3847:
	s_delay_alu instid0(VALU_DEP_1) | instskip(SKIP_2) | instid1(VALU_DEP_1)
	v_cvt_f32_f64_e32 v2, v[0:1]
	s_mov_b32 s0, 0
	s_mov_b32 s6, -1
	v_bfe_u32 v3, v2, 16, 1
	v_cmp_o_f32_e32 vcc_lo, v2, v2
	s_delay_alu instid0(VALU_DEP_2) | instskip(NEXT) | instid1(VALU_DEP_1)
	v_add3_u32 v3, v2, v3, 0x7fff
	v_lshrrev_b32_e32 v3, 16, v3
	s_delay_alu instid0(VALU_DEP_1)
	v_cndmask_b32_e32 v2, 0x7fc0, v3, vcc_lo
	global_store_b32 v[8:9], v2, off
.LBB111_3848:
	s_and_b32 vcc_lo, exec_lo, s7
	s_cbranch_vccz .LBB111_3853
; %bb.3849:
	s_cmp_eq_u32 s2, 44
	s_mov_b32 s0, -1
	s_cbranch_scc0 .LBB111_3853
; %bb.3850:
	s_wait_xcnt 0x0
	s_delay_alu instid0(VALU_DEP_1) | instskip(SKIP_2) | instid1(VALU_DEP_2)
	v_cvt_f32_f64_e32 v2, v[0:1]
	v_mov_b32_e32 v3, 0xff
	s_mov_b32 s6, exec_lo
	v_bfe_u32 v5, v2, 23, 8
	s_delay_alu instid0(VALU_DEP_1)
	v_cmpx_ne_u32_e32 0xff, v5
	s_cbranch_execz .LBB111_3852
; %bb.3851:
	v_and_b32_e32 v3, 0x400000, v2
	v_and_or_b32 v5, 0x3fffff, v2, v5
	v_lshrrev_b32_e32 v2, 23, v2
	s_delay_alu instid0(VALU_DEP_3) | instskip(NEXT) | instid1(VALU_DEP_3)
	v_cmp_ne_u32_e32 vcc_lo, 0, v3
	v_cmp_ne_u32_e64 s0, 0, v5
	s_and_b32 s0, vcc_lo, s0
	s_delay_alu instid0(SALU_CYCLE_1) | instskip(NEXT) | instid1(VALU_DEP_1)
	v_cndmask_b32_e64 v3, 0, 1, s0
	v_add_nc_u32_e32 v3, v2, v3
.LBB111_3852:
	s_or_b32 exec_lo, exec_lo, s6
	s_mov_b32 s0, 0
	s_mov_b32 s6, -1
	global_store_b8 v[8:9], v3, off
.LBB111_3853:
	s_mov_b32 s7, 0
.LBB111_3854:
	s_delay_alu instid0(SALU_CYCLE_1)
	s_and_b32 vcc_lo, exec_lo, s7
	s_cbranch_vccz .LBB111_3857
; %bb.3855:
	s_cmp_eq_u32 s2, 29
	s_mov_b32 s0, -1
	s_cbranch_scc0 .LBB111_3857
; %bb.3856:
	s_wait_xcnt 0x0
	s_delay_alu instid0(VALU_DEP_1) | instskip(SKIP_2) | instid1(VALU_DEP_1)
	v_trunc_f64_e32 v[2:3], v[0:1]
	s_mov_b32 s0, 0
	s_mov_b32 s6, -1
	v_ldexp_f64 v[10:11], v[2:3], 0xffffffe0
	s_delay_alu instid0(VALU_DEP_1) | instskip(NEXT) | instid1(VALU_DEP_1)
	v_floor_f64_e32 v[10:11], v[10:11]
	v_fmamk_f64 v[2:3], v[10:11], 0xc1f00000, v[2:3]
	v_cvt_u32_f64_e32 v11, v[10:11]
	s_delay_alu instid0(VALU_DEP_2)
	v_cvt_u32_f64_e32 v10, v[2:3]
	global_store_b64 v[8:9], v[10:11], off
.LBB111_3857:
	s_mov_b32 s7, 0
.LBB111_3858:
	s_delay_alu instid0(SALU_CYCLE_1)
	s_and_b32 vcc_lo, exec_lo, s7
	s_cbranch_vccz .LBB111_3874
; %bb.3859:
	s_cmp_lt_i32 s2, 27
	s_mov_b32 s6, -1
	s_cbranch_scc1 .LBB111_3865
; %bb.3860:
	s_cmp_gt_i32 s2, 27
	s_cbranch_scc0 .LBB111_3862
; %bb.3861:
	s_wait_xcnt 0x0
	s_delay_alu instid0(VALU_DEP_1)
	v_cvt_u32_f64_e32 v2, v[0:1]
	s_mov_b32 s6, 0
	global_store_b32 v[8:9], v2, off
.LBB111_3862:
	s_and_not1_b32 vcc_lo, exec_lo, s6
	s_cbranch_vccnz .LBB111_3864
; %bb.3863:
	s_wait_xcnt 0x0
	s_delay_alu instid0(VALU_DEP_1)
	v_cvt_u32_f64_e32 v2, v[0:1]
	global_store_b16 v[8:9], v2, off
.LBB111_3864:
	s_mov_b32 s6, 0
.LBB111_3865:
	s_delay_alu instid0(SALU_CYCLE_1)
	s_and_not1_b32 vcc_lo, exec_lo, s6
	s_cbranch_vccnz .LBB111_3873
; %bb.3866:
	s_wait_xcnt 0x0
	s_delay_alu instid0(VALU_DEP_1) | instskip(SKIP_2) | instid1(VALU_DEP_2)
	v_cvt_f32_f64_e32 v2, v[0:1]
	v_mov_b32_e32 v5, 0x80
	s_mov_b32 s6, exec_lo
	v_and_b32_e32 v3, 0x7fffffff, v2
	s_delay_alu instid0(VALU_DEP_1)
	v_cmpx_gt_u32_e32 0x43800000, v3
	s_cbranch_execz .LBB111_3872
; %bb.3867:
	v_cmp_lt_u32_e32 vcc_lo, 0x3bffffff, v3
	s_mov_b32 s7, 0
                                        ; implicit-def: $vgpr3
	s_and_saveexec_b32 s15, vcc_lo
	s_delay_alu instid0(SALU_CYCLE_1)
	s_xor_b32 s15, exec_lo, s15
	s_cbranch_execz .LBB111_4207
; %bb.3868:
	v_bfe_u32 v3, v2, 20, 1
	s_mov_b32 s7, exec_lo
	s_delay_alu instid0(VALU_DEP_1) | instskip(NEXT) | instid1(VALU_DEP_1)
	v_add3_u32 v3, v2, v3, 0x487ffff
	v_lshrrev_b32_e32 v3, 20, v3
	s_and_not1_saveexec_b32 s15, s15
	s_cbranch_execnz .LBB111_4208
.LBB111_3869:
	s_or_b32 exec_lo, exec_lo, s15
	v_mov_b32_e32 v5, 0
	s_and_saveexec_b32 s15, s7
.LBB111_3870:
	v_lshrrev_b32_e32 v2, 24, v2
	s_delay_alu instid0(VALU_DEP_1)
	v_and_or_b32 v5, 0x80, v2, v3
.LBB111_3871:
	s_or_b32 exec_lo, exec_lo, s15
.LBB111_3872:
	s_delay_alu instid0(SALU_CYCLE_1)
	s_or_b32 exec_lo, exec_lo, s6
	global_store_b8 v[8:9], v5, off
.LBB111_3873:
	s_mov_b32 s6, -1
.LBB111_3874:
	s_mov_b32 s7, 0
.LBB111_3875:
	s_delay_alu instid0(SALU_CYCLE_1)
	s_and_b32 vcc_lo, exec_lo, s7
	s_cbranch_vccz .LBB111_3915
; %bb.3876:
	s_cmp_gt_i32 s2, 22
	s_mov_b32 s3, -1
	s_cbranch_scc0 .LBB111_3908
; %bb.3877:
	s_cmp_lt_i32 s2, 24
	s_cbranch_scc1 .LBB111_3897
; %bb.3878:
	s_cmp_gt_i32 s2, 24
	s_cbranch_scc0 .LBB111_3886
; %bb.3879:
	s_wait_xcnt 0x0
	s_delay_alu instid0(VALU_DEP_1) | instskip(SKIP_2) | instid1(VALU_DEP_2)
	v_cvt_f32_f64_e32 v2, v[0:1]
	v_mov_b32_e32 v5, 0x80
	s_mov_b32 s3, exec_lo
	v_and_b32_e32 v3, 0x7fffffff, v2
	s_delay_alu instid0(VALU_DEP_1)
	v_cmpx_gt_u32_e32 0x47800000, v3
	s_cbranch_execz .LBB111_3885
; %bb.3880:
	v_cmp_lt_u32_e32 vcc_lo, 0x37ffffff, v3
	s_mov_b32 s6, 0
                                        ; implicit-def: $vgpr3
	s_and_saveexec_b32 s7, vcc_lo
	s_delay_alu instid0(SALU_CYCLE_1)
	s_xor_b32 s7, exec_lo, s7
	s_cbranch_execz .LBB111_4210
; %bb.3881:
	v_bfe_u32 v3, v2, 21, 1
	s_mov_b32 s6, exec_lo
	s_delay_alu instid0(VALU_DEP_1) | instskip(NEXT) | instid1(VALU_DEP_1)
	v_add3_u32 v3, v2, v3, 0x88fffff
	v_lshrrev_b32_e32 v3, 21, v3
	s_and_not1_saveexec_b32 s7, s7
	s_cbranch_execnz .LBB111_4211
.LBB111_3882:
	s_or_b32 exec_lo, exec_lo, s7
	v_mov_b32_e32 v5, 0
	s_and_saveexec_b32 s7, s6
.LBB111_3883:
	v_lshrrev_b32_e32 v2, 24, v2
	s_delay_alu instid0(VALU_DEP_1)
	v_and_or_b32 v5, 0x80, v2, v3
.LBB111_3884:
	s_or_b32 exec_lo, exec_lo, s7
.LBB111_3885:
	s_delay_alu instid0(SALU_CYCLE_1)
	s_or_b32 exec_lo, exec_lo, s3
	s_mov_b32 s3, 0
	global_store_b8 v[8:9], v5, off
.LBB111_3886:
	s_and_b32 vcc_lo, exec_lo, s3
	s_cbranch_vccz .LBB111_3896
; %bb.3887:
	s_wait_xcnt 0x0
	s_delay_alu instid0(VALU_DEP_1) | instskip(SKIP_1) | instid1(VALU_DEP_1)
	v_cvt_f32_f64_e32 v2, v[0:1]
	s_mov_b32 s3, exec_lo
                                        ; implicit-def: $vgpr3
	v_and_b32_e32 v5, 0x7fffffff, v2
	s_delay_alu instid0(VALU_DEP_1)
	v_cmpx_gt_u32_e32 0x43f00000, v5
	s_xor_b32 s3, exec_lo, s3
	s_cbranch_execz .LBB111_3893
; %bb.3888:
	s_mov_b32 s6, exec_lo
                                        ; implicit-def: $vgpr3
	v_cmpx_lt_u32_e32 0x3c7fffff, v5
	s_xor_b32 s6, exec_lo, s6
; %bb.3889:
	v_bfe_u32 v3, v2, 20, 1
	s_delay_alu instid0(VALU_DEP_1) | instskip(NEXT) | instid1(VALU_DEP_1)
	v_add3_u32 v3, v2, v3, 0x407ffff
	v_and_b32_e32 v5, 0xff00000, v3
	v_lshrrev_b32_e32 v3, 20, v3
	s_delay_alu instid0(VALU_DEP_2) | instskip(NEXT) | instid1(VALU_DEP_2)
	v_cmp_ne_u32_e32 vcc_lo, 0x7f00000, v5
	v_cndmask_b32_e32 v3, 0x7e, v3, vcc_lo
; %bb.3890:
	s_and_not1_saveexec_b32 s6, s6
; %bb.3891:
	v_add_f32_e64 v3, 0x46800000, |v2|
; %bb.3892:
	s_or_b32 exec_lo, exec_lo, s6
                                        ; implicit-def: $vgpr5
.LBB111_3893:
	s_and_not1_saveexec_b32 s3, s3
; %bb.3894:
	v_mov_b32_e32 v3, 0x7f
	v_cmp_lt_u32_e32 vcc_lo, 0x7f800000, v5
	s_delay_alu instid0(VALU_DEP_2)
	v_cndmask_b32_e32 v3, 0x7e, v3, vcc_lo
; %bb.3895:
	s_or_b32 exec_lo, exec_lo, s3
	v_lshrrev_b32_e32 v2, 24, v2
	s_delay_alu instid0(VALU_DEP_1)
	v_and_or_b32 v2, 0x80, v2, v3
	global_store_b8 v[8:9], v2, off
.LBB111_3896:
	s_mov_b32 s3, 0
.LBB111_3897:
	s_delay_alu instid0(SALU_CYCLE_1)
	s_and_not1_b32 vcc_lo, exec_lo, s3
	s_cbranch_vccnz .LBB111_3907
; %bb.3898:
	s_wait_xcnt 0x0
	s_delay_alu instid0(VALU_DEP_1) | instskip(SKIP_1) | instid1(VALU_DEP_1)
	v_cvt_f32_f64_e32 v2, v[0:1]
	s_mov_b32 s3, exec_lo
                                        ; implicit-def: $vgpr3
	v_and_b32_e32 v5, 0x7fffffff, v2
	s_delay_alu instid0(VALU_DEP_1)
	v_cmpx_gt_u32_e32 0x47800000, v5
	s_xor_b32 s3, exec_lo, s3
	s_cbranch_execz .LBB111_3904
; %bb.3899:
	s_mov_b32 s6, exec_lo
                                        ; implicit-def: $vgpr3
	v_cmpx_lt_u32_e32 0x387fffff, v5
	s_xor_b32 s6, exec_lo, s6
; %bb.3900:
	v_bfe_u32 v3, v2, 21, 1
	s_delay_alu instid0(VALU_DEP_1) | instskip(NEXT) | instid1(VALU_DEP_1)
	v_add3_u32 v3, v2, v3, 0x80fffff
	v_lshrrev_b32_e32 v3, 21, v3
; %bb.3901:
	s_and_not1_saveexec_b32 s6, s6
; %bb.3902:
	v_add_f32_e64 v3, 0x43000000, |v2|
; %bb.3903:
	s_or_b32 exec_lo, exec_lo, s6
                                        ; implicit-def: $vgpr5
.LBB111_3904:
	s_and_not1_saveexec_b32 s3, s3
; %bb.3905:
	v_mov_b32_e32 v3, 0x7f
	v_cmp_lt_u32_e32 vcc_lo, 0x7f800000, v5
	s_delay_alu instid0(VALU_DEP_2)
	v_cndmask_b32_e32 v3, 0x7c, v3, vcc_lo
; %bb.3906:
	s_or_b32 exec_lo, exec_lo, s3
	v_lshrrev_b32_e32 v2, 24, v2
	s_delay_alu instid0(VALU_DEP_1)
	v_and_or_b32 v2, 0x80, v2, v3
	global_store_b8 v[8:9], v2, off
.LBB111_3907:
	s_mov_b32 s3, 0
	s_mov_b32 s6, -1
.LBB111_3908:
	s_and_not1_b32 vcc_lo, exec_lo, s3
	s_mov_b32 s3, 0
	s_cbranch_vccnz .LBB111_3915
; %bb.3909:
	s_cmp_gt_i32 s2, 14
	s_mov_b32 s3, -1
	s_cbranch_scc0 .LBB111_3913
; %bb.3910:
	s_cmp_eq_u32 s2, 15
	s_mov_b32 s0, -1
	s_cbranch_scc0 .LBB111_3912
; %bb.3911:
	s_wait_xcnt 0x0
	s_delay_alu instid0(VALU_DEP_1) | instskip(SKIP_2) | instid1(VALU_DEP_1)
	v_cvt_f32_f64_e32 v2, v[0:1]
	s_mov_b32 s0, 0
	s_mov_b32 s6, -1
	v_bfe_u32 v3, v2, 16, 1
	v_cmp_o_f32_e32 vcc_lo, v2, v2
	s_delay_alu instid0(VALU_DEP_2) | instskip(NEXT) | instid1(VALU_DEP_1)
	v_add3_u32 v3, v2, v3, 0x7fff
	v_lshrrev_b32_e32 v3, 16, v3
	s_delay_alu instid0(VALU_DEP_1)
	v_cndmask_b32_e32 v2, 0x7fc0, v3, vcc_lo
	global_store_b16 v[8:9], v2, off
.LBB111_3912:
	s_mov_b32 s3, 0
.LBB111_3913:
	s_delay_alu instid0(SALU_CYCLE_1)
	s_and_b32 vcc_lo, exec_lo, s3
	s_mov_b32 s3, 0
	s_cbranch_vccz .LBB111_3915
; %bb.3914:
	s_cmp_lg_u32 s2, 11
	s_mov_b32 s3, -1
	s_cselect_b32 s0, -1, 0
.LBB111_3915:
	s_delay_alu instid0(SALU_CYCLE_1)
	s_and_b32 vcc_lo, exec_lo, s0
	s_cbranch_vccnz .LBB111_4209
; %bb.3916:
	s_and_not1_b32 vcc_lo, exec_lo, s3
	s_cbranch_vccnz .LBB111_3918
.LBB111_3917:
	s_delay_alu instid0(VALU_DEP_1)
	v_cmp_neq_f64_e32 vcc_lo, 0, v[0:1]
	s_mov_b32 s6, -1
	s_wait_xcnt 0x0
	v_cndmask_b32_e64 v2, 0, 1, vcc_lo
	global_store_b8 v[8:9], v2, off
.LBB111_3918:
	s_mov_b32 s0, 0
	s_branch .LBB111_3920
.LBB111_3919:
	s_mov_b32 s0, -1
	s_mov_b32 s6, 0
.LBB111_3920:
	s_and_b32 vcc_lo, exec_lo, s0
	s_cbranch_vccz .LBB111_3959
; %bb.3921:
	s_cmp_lt_i32 s2, 5
	s_mov_b32 s0, -1
	s_cbranch_scc1 .LBB111_3942
; %bb.3922:
	s_cmp_lt_i32 s2, 8
	s_cbranch_scc1 .LBB111_3932
; %bb.3923:
	s_cmp_lt_i32 s2, 9
	s_cbranch_scc1 .LBB111_3929
; %bb.3924:
	s_cmp_gt_i32 s2, 9
	s_cbranch_scc0 .LBB111_3926
; %bb.3925:
	s_wait_xcnt 0x0
	v_mov_b32_e32 v2, 0
	s_mov_b32 s0, 0
	s_delay_alu instid0(VALU_DEP_1)
	v_mov_b32_e32 v3, v2
	global_store_b128 v[8:9], v[0:3], off
.LBB111_3926:
	s_and_not1_b32 vcc_lo, exec_lo, s0
	s_cbranch_vccnz .LBB111_3928
; %bb.3927:
	s_wait_xcnt 0x0
	s_delay_alu instid0(VALU_DEP_1)
	v_cvt_f32_f64_e32 v2, v[0:1]
	v_mov_b32_e32 v3, 0
	global_store_b64 v[8:9], v[2:3], off
.LBB111_3928:
	s_mov_b32 s0, 0
.LBB111_3929:
	s_delay_alu instid0(SALU_CYCLE_1)
	s_and_not1_b32 vcc_lo, exec_lo, s0
	s_cbranch_vccnz .LBB111_3931
; %bb.3930:
	s_wait_xcnt 0x0
	s_delay_alu instid0(VALU_DEP_1) | instskip(SKIP_2) | instid1(VALU_DEP_3)
	v_and_or_b32 v2, 0x1ff, v1, v0
	v_lshrrev_b32_e32 v3, 8, v1
	v_bfe_u32 v5, v1, 20, 11
	v_cmp_ne_u32_e32 vcc_lo, 0, v2
	s_delay_alu instid0(VALU_DEP_2) | instskip(SKIP_2) | instid1(VALU_DEP_1)
	v_sub_nc_u32_e32 v7, 0x3f1, v5
	v_add_nc_u32_e32 v5, 0xfffffc10, v5
	v_cndmask_b32_e64 v2, 0, 1, vcc_lo
	v_and_or_b32 v2, 0xffe, v3, v2
	s_delay_alu instid0(VALU_DEP_4) | instskip(NEXT) | instid1(VALU_DEP_2)
	v_med3_i32 v3, v7, 0, 13
	v_or_b32_e32 v7, 0x1000, v2
	s_delay_alu instid0(VALU_DEP_1) | instskip(NEXT) | instid1(VALU_DEP_1)
	v_lshrrev_b32_e32 v10, v3, v7
	v_lshlrev_b32_e32 v3, v3, v10
	s_delay_alu instid0(VALU_DEP_1) | instskip(SKIP_3) | instid1(VALU_DEP_2)
	v_cmp_ne_u32_e32 vcc_lo, v3, v7
	v_lshl_or_b32 v7, v5, 12, v2
	v_cndmask_b32_e64 v3, 0, 1, vcc_lo
	v_cmp_gt_i32_e32 vcc_lo, 1, v5
	v_or_b32_e32 v3, v10, v3
	s_delay_alu instid0(VALU_DEP_1) | instskip(NEXT) | instid1(VALU_DEP_1)
	v_cndmask_b32_e32 v3, v7, v3, vcc_lo
	v_dual_lshrrev_b32 v3, 2, v3 :: v_dual_bitop2_b32 v7, 7, v3 bitop3:0x40
	s_delay_alu instid0(VALU_DEP_1) | instskip(SKIP_4) | instid1(VALU_DEP_2)
	v_cmp_lt_i32_e32 vcc_lo, 5, v7
	v_cndmask_b32_e64 v10, 0, 1, vcc_lo
	v_cmp_eq_u32_e32 vcc_lo, 3, v7
	v_cndmask_b32_e64 v7, 0, 1, vcc_lo
	v_cmp_ne_u32_e32 vcc_lo, 0, v2
	v_or_b32_e32 v7, v7, v10
	s_delay_alu instid0(VALU_DEP_1) | instskip(NEXT) | instid1(VALU_DEP_1)
	v_dual_mov_b32 v10, 0x7e00 :: v_dual_add_nc_u32 v3, v3, v7
	v_cndmask_b32_e32 v2, 0x7c00, v10, vcc_lo
	v_cmp_gt_i32_e32 vcc_lo, 31, v5
	v_lshrrev_b32_e32 v7, 16, v1
	s_delay_alu instid0(VALU_DEP_4) | instskip(SKIP_1) | instid1(VALU_DEP_2)
	v_cndmask_b32_e32 v3, 0x7c00, v3, vcc_lo
	v_cmp_eq_u32_e32 vcc_lo, 0x40f, v5
	v_cndmask_b32_e32 v2, v3, v2, vcc_lo
	s_delay_alu instid0(VALU_DEP_4) | instskip(NEXT) | instid1(VALU_DEP_1)
	v_and_b32_e32 v3, 0x8000, v7
	v_bitop3_b32 v2, v3, 0xffff, v2 bitop3:0xc8
	global_store_b32 v[8:9], v2, off
.LBB111_3931:
	s_mov_b32 s0, 0
.LBB111_3932:
	s_delay_alu instid0(SALU_CYCLE_1)
	s_and_not1_b32 vcc_lo, exec_lo, s0
	s_cbranch_vccnz .LBB111_3941
; %bb.3933:
	s_cmp_lt_i32 s2, 6
	s_mov_b32 s0, -1
	s_cbranch_scc1 .LBB111_3939
; %bb.3934:
	s_cmp_gt_i32 s2, 6
	s_cbranch_scc0 .LBB111_3936
; %bb.3935:
	s_mov_b32 s0, 0
	global_store_b64 v[8:9], v[0:1], off
.LBB111_3936:
	s_and_not1_b32 vcc_lo, exec_lo, s0
	s_cbranch_vccnz .LBB111_3938
; %bb.3937:
	s_wait_xcnt 0x0
	s_delay_alu instid0(VALU_DEP_1)
	v_cvt_f32_f64_e32 v2, v[0:1]
	global_store_b32 v[8:9], v2, off
.LBB111_3938:
	s_mov_b32 s0, 0
.LBB111_3939:
	s_delay_alu instid0(SALU_CYCLE_1)
	s_and_not1_b32 vcc_lo, exec_lo, s0
	s_cbranch_vccnz .LBB111_3941
; %bb.3940:
	s_wait_xcnt 0x0
	s_delay_alu instid0(VALU_DEP_1) | instskip(SKIP_2) | instid1(VALU_DEP_3)
	v_and_or_b32 v2, 0x1ff, v1, v0
	v_lshrrev_b32_e32 v3, 8, v1
	v_bfe_u32 v5, v1, 20, 11
	v_cmp_ne_u32_e32 vcc_lo, 0, v2
	s_delay_alu instid0(VALU_DEP_2) | instskip(SKIP_2) | instid1(VALU_DEP_1)
	v_sub_nc_u32_e32 v7, 0x3f1, v5
	v_add_nc_u32_e32 v5, 0xfffffc10, v5
	v_cndmask_b32_e64 v2, 0, 1, vcc_lo
	v_and_or_b32 v2, 0xffe, v3, v2
	s_delay_alu instid0(VALU_DEP_4) | instskip(NEXT) | instid1(VALU_DEP_2)
	v_med3_i32 v3, v7, 0, 13
	v_or_b32_e32 v7, 0x1000, v2
	s_delay_alu instid0(VALU_DEP_1) | instskip(NEXT) | instid1(VALU_DEP_1)
	v_lshrrev_b32_e32 v10, v3, v7
	v_lshlrev_b32_e32 v3, v3, v10
	s_delay_alu instid0(VALU_DEP_1) | instskip(SKIP_3) | instid1(VALU_DEP_2)
	v_cmp_ne_u32_e32 vcc_lo, v3, v7
	v_lshl_or_b32 v7, v5, 12, v2
	v_cndmask_b32_e64 v3, 0, 1, vcc_lo
	v_cmp_gt_i32_e32 vcc_lo, 1, v5
	v_or_b32_e32 v3, v10, v3
	s_delay_alu instid0(VALU_DEP_1) | instskip(NEXT) | instid1(VALU_DEP_1)
	v_cndmask_b32_e32 v3, v7, v3, vcc_lo
	v_dual_lshrrev_b32 v3, 2, v3 :: v_dual_bitop2_b32 v7, 7, v3 bitop3:0x40
	s_delay_alu instid0(VALU_DEP_1) | instskip(SKIP_4) | instid1(VALU_DEP_2)
	v_cmp_lt_i32_e32 vcc_lo, 5, v7
	v_cndmask_b32_e64 v10, 0, 1, vcc_lo
	v_cmp_eq_u32_e32 vcc_lo, 3, v7
	v_cndmask_b32_e64 v7, 0, 1, vcc_lo
	v_cmp_ne_u32_e32 vcc_lo, 0, v2
	v_or_b32_e32 v7, v7, v10
	s_delay_alu instid0(VALU_DEP_1) | instskip(NEXT) | instid1(VALU_DEP_1)
	v_dual_mov_b32 v10, 0x7e00 :: v_dual_add_nc_u32 v3, v3, v7
	v_cndmask_b32_e32 v2, 0x7c00, v10, vcc_lo
	v_cmp_gt_i32_e32 vcc_lo, 31, v5
	s_delay_alu instid0(VALU_DEP_3) | instskip(SKIP_1) | instid1(VALU_DEP_2)
	v_cndmask_b32_e32 v3, 0x7c00, v3, vcc_lo
	v_cmp_eq_u32_e32 vcc_lo, 0x40f, v5
	v_dual_cndmask_b32 v2, v3, v2 :: v_dual_lshrrev_b32 v3, 16, v1
	s_delay_alu instid0(VALU_DEP_1)
	v_and_or_b32 v2, 0x8000, v3, v2
	global_store_b16 v[8:9], v2, off
.LBB111_3941:
	s_mov_b32 s0, 0
.LBB111_3942:
	s_delay_alu instid0(SALU_CYCLE_1)
	s_and_not1_b32 vcc_lo, exec_lo, s0
	s_cbranch_vccnz .LBB111_3958
; %bb.3943:
	s_cmp_lt_i32 s2, 2
	s_mov_b32 s0, -1
	s_cbranch_scc1 .LBB111_3953
; %bb.3944:
	s_cmp_lt_i32 s2, 3
	s_cbranch_scc1 .LBB111_3950
; %bb.3945:
	s_cmp_gt_i32 s2, 3
	s_cbranch_scc0 .LBB111_3947
; %bb.3946:
	s_wait_xcnt 0x0
	s_delay_alu instid0(VALU_DEP_1) | instskip(SKIP_1) | instid1(VALU_DEP_1)
	v_trunc_f64_e32 v[2:3], v[0:1]
	s_mov_b32 s0, 0
	v_ldexp_f64 v[10:11], v[2:3], 0xffffffe0
	s_delay_alu instid0(VALU_DEP_1) | instskip(NEXT) | instid1(VALU_DEP_1)
	v_floor_f64_e32 v[10:11], v[10:11]
	v_fmamk_f64 v[2:3], v[10:11], 0xc1f00000, v[2:3]
	v_cvt_i32_f64_e32 v11, v[10:11]
	s_delay_alu instid0(VALU_DEP_2)
	v_cvt_u32_f64_e32 v10, v[2:3]
	global_store_b64 v[8:9], v[10:11], off
.LBB111_3947:
	s_and_not1_b32 vcc_lo, exec_lo, s0
	s_cbranch_vccnz .LBB111_3949
; %bb.3948:
	s_wait_xcnt 0x0
	s_delay_alu instid0(VALU_DEP_1)
	v_cvt_i32_f64_e32 v2, v[0:1]
	global_store_b32 v[8:9], v2, off
.LBB111_3949:
	s_mov_b32 s0, 0
.LBB111_3950:
	s_delay_alu instid0(SALU_CYCLE_1)
	s_and_not1_b32 vcc_lo, exec_lo, s0
	s_cbranch_vccnz .LBB111_3952
; %bb.3951:
	s_wait_xcnt 0x0
	s_delay_alu instid0(VALU_DEP_1)
	v_cvt_i32_f64_e32 v2, v[0:1]
	global_store_b16 v[8:9], v2, off
.LBB111_3952:
	s_mov_b32 s0, 0
.LBB111_3953:
	s_delay_alu instid0(SALU_CYCLE_1)
	s_and_not1_b32 vcc_lo, exec_lo, s0
	s_cbranch_vccnz .LBB111_3958
; %bb.3954:
	s_cmp_gt_i32 s2, 0
	s_mov_b32 s0, -1
	s_cbranch_scc0 .LBB111_3956
; %bb.3955:
	s_wait_xcnt 0x0
	s_delay_alu instid0(VALU_DEP_1)
	v_cvt_i32_f64_e32 v2, v[0:1]
	s_mov_b32 s0, 0
	global_store_b8 v[8:9], v2, off
.LBB111_3956:
	s_and_not1_b32 vcc_lo, exec_lo, s0
	s_cbranch_vccnz .LBB111_3958
; %bb.3957:
	s_wait_xcnt 0x0
	s_delay_alu instid0(VALU_DEP_1) | instskip(NEXT) | instid1(VALU_DEP_1)
	v_trunc_f64_e32 v[0:1], v[0:1]
	v_ldexp_f64 v[2:3], v[0:1], 0xffffffe0
	s_delay_alu instid0(VALU_DEP_1) | instskip(NEXT) | instid1(VALU_DEP_1)
	v_floor_f64_e32 v[2:3], v[2:3]
	v_fmamk_f64 v[0:1], v[2:3], 0xc1f00000, v[0:1]
	s_delay_alu instid0(VALU_DEP_1)
	v_cvt_u32_f64_e32 v0, v[0:1]
	global_store_b8 v[8:9], v0, off
.LBB111_3958:
	s_mov_b32 s6, -1
.LBB111_3959:
	s_delay_alu instid0(SALU_CYCLE_1)
	s_and_not1_b32 vcc_lo, exec_lo, s6
	s_cbranch_vccnz .LBB111_4155
; %bb.3960:
	s_wait_xcnt 0x0
	v_dual_mul_f64 v[0:1], s[10:11], v[30:31] :: v_dual_mov_b32 v7, 0
	s_cmp_lt_i32 s2, 11
	s_delay_alu instid0(VALU_DEP_1) | instskip(NEXT) | instid1(VALU_DEP_2)
	v_add_nc_u64_e32 v[6:7], s[4:5], v[6:7]
	v_mul_f64_e32 v[0:1], v[0:1], v[24:25]
	s_delay_alu instid0(VALU_DEP_1)
	v_fmac_f64_e32 v[0:1], s[8:9], v[26:27]
	s_cbranch_scc1 .LBB111_4038
; %bb.3961:
	s_mov_b32 s7, -1
	s_mov_b32 s3, 0
	s_cmp_gt_i32 s2, 25
	s_mov_b32 s6, 0
	s_mov_b32 s0, 0
	s_cbranch_scc0 .LBB111_3994
; %bb.3962:
	s_cmp_gt_i32 s2, 28
	s_cbranch_scc0 .LBB111_3977
; %bb.3963:
	s_cmp_gt_i32 s2, 43
	;; [unrolled: 3-line block ×3, first 2 shown]
	s_cbranch_scc0 .LBB111_3967
; %bb.3965:
	s_mov_b32 s0, -1
	s_mov_b32 s7, 0
	s_cmp_eq_u32 s2, 46
	s_cbranch_scc0 .LBB111_3967
; %bb.3966:
	s_delay_alu instid0(VALU_DEP_1) | instskip(SKIP_2) | instid1(VALU_DEP_1)
	v_cvt_f32_f64_e32 v2, v[0:1]
	s_mov_b32 s0, 0
	s_mov_b32 s6, -1
	v_bfe_u32 v3, v2, 16, 1
	v_cmp_o_f32_e32 vcc_lo, v2, v2
	s_delay_alu instid0(VALU_DEP_2) | instskip(NEXT) | instid1(VALU_DEP_1)
	v_add3_u32 v3, v2, v3, 0x7fff
	v_lshrrev_b32_e32 v3, 16, v3
	s_delay_alu instid0(VALU_DEP_1)
	v_cndmask_b32_e32 v2, 0x7fc0, v3, vcc_lo
	global_store_b32 v[6:7], v2, off
.LBB111_3967:
	s_and_b32 vcc_lo, exec_lo, s7
	s_cbranch_vccz .LBB111_3972
; %bb.3968:
	s_cmp_eq_u32 s2, 44
	s_mov_b32 s0, -1
	s_cbranch_scc0 .LBB111_3972
; %bb.3969:
	s_wait_xcnt 0x0
	s_delay_alu instid0(VALU_DEP_1) | instskip(SKIP_2) | instid1(VALU_DEP_2)
	v_cvt_f32_f64_e32 v2, v[0:1]
	v_mov_b32_e32 v3, 0xff
	s_mov_b32 s6, exec_lo
	v_bfe_u32 v5, v2, 23, 8
	s_delay_alu instid0(VALU_DEP_1)
	v_cmpx_ne_u32_e32 0xff, v5
	s_cbranch_execz .LBB111_3971
; %bb.3970:
	v_and_b32_e32 v3, 0x400000, v2
	v_and_or_b32 v5, 0x3fffff, v2, v5
	v_lshrrev_b32_e32 v2, 23, v2
	s_delay_alu instid0(VALU_DEP_3) | instskip(NEXT) | instid1(VALU_DEP_3)
	v_cmp_ne_u32_e32 vcc_lo, 0, v3
	v_cmp_ne_u32_e64 s0, 0, v5
	s_and_b32 s0, vcc_lo, s0
	s_delay_alu instid0(SALU_CYCLE_1) | instskip(NEXT) | instid1(VALU_DEP_1)
	v_cndmask_b32_e64 v3, 0, 1, s0
	v_add_nc_u32_e32 v3, v2, v3
.LBB111_3971:
	s_or_b32 exec_lo, exec_lo, s6
	s_mov_b32 s0, 0
	s_mov_b32 s6, -1
	global_store_b8 v[6:7], v3, off
.LBB111_3972:
	s_mov_b32 s7, 0
.LBB111_3973:
	s_delay_alu instid0(SALU_CYCLE_1)
	s_and_b32 vcc_lo, exec_lo, s7
	s_cbranch_vccz .LBB111_3976
; %bb.3974:
	s_cmp_eq_u32 s2, 29
	s_mov_b32 s0, -1
	s_cbranch_scc0 .LBB111_3976
; %bb.3975:
	s_wait_xcnt 0x0
	s_delay_alu instid0(VALU_DEP_1) | instskip(SKIP_2) | instid1(VALU_DEP_1)
	v_trunc_f64_e32 v[2:3], v[0:1]
	s_mov_b32 s0, 0
	s_mov_b32 s6, -1
	v_ldexp_f64 v[8:9], v[2:3], 0xffffffe0
	s_delay_alu instid0(VALU_DEP_1) | instskip(NEXT) | instid1(VALU_DEP_1)
	v_floor_f64_e32 v[8:9], v[8:9]
	v_fmamk_f64 v[2:3], v[8:9], 0xc1f00000, v[2:3]
	v_cvt_u32_f64_e32 v9, v[8:9]
	s_delay_alu instid0(VALU_DEP_2)
	v_cvt_u32_f64_e32 v8, v[2:3]
	global_store_b64 v[6:7], v[8:9], off
.LBB111_3976:
	s_mov_b32 s7, 0
.LBB111_3977:
	s_delay_alu instid0(SALU_CYCLE_1)
	s_and_b32 vcc_lo, exec_lo, s7
	s_cbranch_vccz .LBB111_3993
; %bb.3978:
	s_cmp_lt_i32 s2, 27
	s_mov_b32 s6, -1
	s_cbranch_scc1 .LBB111_3984
; %bb.3979:
	s_cmp_gt_i32 s2, 27
	s_cbranch_scc0 .LBB111_3981
; %bb.3980:
	s_wait_xcnt 0x0
	s_delay_alu instid0(VALU_DEP_1)
	v_cvt_u32_f64_e32 v2, v[0:1]
	s_mov_b32 s6, 0
	global_store_b32 v[6:7], v2, off
.LBB111_3981:
	s_and_not1_b32 vcc_lo, exec_lo, s6
	s_cbranch_vccnz .LBB111_3983
; %bb.3982:
	s_wait_xcnt 0x0
	s_delay_alu instid0(VALU_DEP_1)
	v_cvt_u32_f64_e32 v2, v[0:1]
	global_store_b16 v[6:7], v2, off
.LBB111_3983:
	s_mov_b32 s6, 0
.LBB111_3984:
	s_delay_alu instid0(SALU_CYCLE_1)
	s_and_not1_b32 vcc_lo, exec_lo, s6
	s_cbranch_vccnz .LBB111_3992
; %bb.3985:
	s_wait_xcnt 0x0
	s_delay_alu instid0(VALU_DEP_1) | instskip(SKIP_2) | instid1(VALU_DEP_2)
	v_cvt_f32_f64_e32 v2, v[0:1]
	v_mov_b32_e32 v5, 0x80
	s_mov_b32 s6, exec_lo
	v_and_b32_e32 v3, 0x7fffffff, v2
	s_delay_alu instid0(VALU_DEP_1)
	v_cmpx_gt_u32_e32 0x43800000, v3
	s_cbranch_execz .LBB111_3991
; %bb.3986:
	v_cmp_lt_u32_e32 vcc_lo, 0x3bffffff, v3
	s_mov_b32 s7, 0
                                        ; implicit-def: $vgpr3
	s_and_saveexec_b32 s15, vcc_lo
	s_delay_alu instid0(SALU_CYCLE_1)
	s_xor_b32 s15, exec_lo, s15
	s_cbranch_execz .LBB111_4212
; %bb.3987:
	v_bfe_u32 v3, v2, 20, 1
	s_mov_b32 s7, exec_lo
	s_delay_alu instid0(VALU_DEP_1) | instskip(NEXT) | instid1(VALU_DEP_1)
	v_add3_u32 v3, v2, v3, 0x487ffff
	v_lshrrev_b32_e32 v3, 20, v3
	s_and_not1_saveexec_b32 s15, s15
	s_cbranch_execnz .LBB111_4213
.LBB111_3988:
	s_or_b32 exec_lo, exec_lo, s15
	v_mov_b32_e32 v5, 0
	s_and_saveexec_b32 s15, s7
.LBB111_3989:
	v_lshrrev_b32_e32 v2, 24, v2
	s_delay_alu instid0(VALU_DEP_1)
	v_and_or_b32 v5, 0x80, v2, v3
.LBB111_3990:
	s_or_b32 exec_lo, exec_lo, s15
.LBB111_3991:
	s_delay_alu instid0(SALU_CYCLE_1)
	s_or_b32 exec_lo, exec_lo, s6
	global_store_b8 v[6:7], v5, off
.LBB111_3992:
	s_mov_b32 s6, -1
.LBB111_3993:
	s_mov_b32 s7, 0
.LBB111_3994:
	s_delay_alu instid0(SALU_CYCLE_1)
	s_and_b32 vcc_lo, exec_lo, s7
	s_cbranch_vccz .LBB111_4034
; %bb.3995:
	s_cmp_gt_i32 s2, 22
	s_mov_b32 s3, -1
	s_cbranch_scc0 .LBB111_4027
; %bb.3996:
	s_cmp_lt_i32 s2, 24
	s_cbranch_scc1 .LBB111_4016
; %bb.3997:
	s_cmp_gt_i32 s2, 24
	s_cbranch_scc0 .LBB111_4005
; %bb.3998:
	s_wait_xcnt 0x0
	s_delay_alu instid0(VALU_DEP_1) | instskip(SKIP_2) | instid1(VALU_DEP_2)
	v_cvt_f32_f64_e32 v2, v[0:1]
	v_mov_b32_e32 v5, 0x80
	s_mov_b32 s3, exec_lo
	v_and_b32_e32 v3, 0x7fffffff, v2
	s_delay_alu instid0(VALU_DEP_1)
	v_cmpx_gt_u32_e32 0x47800000, v3
	s_cbranch_execz .LBB111_4004
; %bb.3999:
	v_cmp_lt_u32_e32 vcc_lo, 0x37ffffff, v3
	s_mov_b32 s6, 0
                                        ; implicit-def: $vgpr3
	s_and_saveexec_b32 s7, vcc_lo
	s_delay_alu instid0(SALU_CYCLE_1)
	s_xor_b32 s7, exec_lo, s7
	s_cbranch_execz .LBB111_4215
; %bb.4000:
	v_bfe_u32 v3, v2, 21, 1
	s_mov_b32 s6, exec_lo
	s_delay_alu instid0(VALU_DEP_1) | instskip(NEXT) | instid1(VALU_DEP_1)
	v_add3_u32 v3, v2, v3, 0x88fffff
	v_lshrrev_b32_e32 v3, 21, v3
	s_and_not1_saveexec_b32 s7, s7
	s_cbranch_execnz .LBB111_4216
.LBB111_4001:
	s_or_b32 exec_lo, exec_lo, s7
	v_mov_b32_e32 v5, 0
	s_and_saveexec_b32 s7, s6
.LBB111_4002:
	v_lshrrev_b32_e32 v2, 24, v2
	s_delay_alu instid0(VALU_DEP_1)
	v_and_or_b32 v5, 0x80, v2, v3
.LBB111_4003:
	s_or_b32 exec_lo, exec_lo, s7
.LBB111_4004:
	s_delay_alu instid0(SALU_CYCLE_1)
	s_or_b32 exec_lo, exec_lo, s3
	s_mov_b32 s3, 0
	global_store_b8 v[6:7], v5, off
.LBB111_4005:
	s_and_b32 vcc_lo, exec_lo, s3
	s_cbranch_vccz .LBB111_4015
; %bb.4006:
	s_wait_xcnt 0x0
	s_delay_alu instid0(VALU_DEP_1) | instskip(SKIP_1) | instid1(VALU_DEP_1)
	v_cvt_f32_f64_e32 v2, v[0:1]
	s_mov_b32 s3, exec_lo
                                        ; implicit-def: $vgpr3
	v_and_b32_e32 v5, 0x7fffffff, v2
	s_delay_alu instid0(VALU_DEP_1)
	v_cmpx_gt_u32_e32 0x43f00000, v5
	s_xor_b32 s3, exec_lo, s3
	s_cbranch_execz .LBB111_4012
; %bb.4007:
	s_mov_b32 s6, exec_lo
                                        ; implicit-def: $vgpr3
	v_cmpx_lt_u32_e32 0x3c7fffff, v5
	s_xor_b32 s6, exec_lo, s6
; %bb.4008:
	v_bfe_u32 v3, v2, 20, 1
	s_delay_alu instid0(VALU_DEP_1) | instskip(NEXT) | instid1(VALU_DEP_1)
	v_add3_u32 v3, v2, v3, 0x407ffff
	v_and_b32_e32 v5, 0xff00000, v3
	v_lshrrev_b32_e32 v3, 20, v3
	s_delay_alu instid0(VALU_DEP_2) | instskip(NEXT) | instid1(VALU_DEP_2)
	v_cmp_ne_u32_e32 vcc_lo, 0x7f00000, v5
	v_cndmask_b32_e32 v3, 0x7e, v3, vcc_lo
; %bb.4009:
	s_and_not1_saveexec_b32 s6, s6
; %bb.4010:
	v_add_f32_e64 v3, 0x46800000, |v2|
; %bb.4011:
	s_or_b32 exec_lo, exec_lo, s6
                                        ; implicit-def: $vgpr5
.LBB111_4012:
	s_and_not1_saveexec_b32 s3, s3
; %bb.4013:
	v_mov_b32_e32 v3, 0x7f
	v_cmp_lt_u32_e32 vcc_lo, 0x7f800000, v5
	s_delay_alu instid0(VALU_DEP_2)
	v_cndmask_b32_e32 v3, 0x7e, v3, vcc_lo
; %bb.4014:
	s_or_b32 exec_lo, exec_lo, s3
	v_lshrrev_b32_e32 v2, 24, v2
	s_delay_alu instid0(VALU_DEP_1)
	v_and_or_b32 v2, 0x80, v2, v3
	global_store_b8 v[6:7], v2, off
.LBB111_4015:
	s_mov_b32 s3, 0
.LBB111_4016:
	s_delay_alu instid0(SALU_CYCLE_1)
	s_and_not1_b32 vcc_lo, exec_lo, s3
	s_cbranch_vccnz .LBB111_4026
; %bb.4017:
	s_wait_xcnt 0x0
	s_delay_alu instid0(VALU_DEP_1) | instskip(SKIP_1) | instid1(VALU_DEP_1)
	v_cvt_f32_f64_e32 v2, v[0:1]
	s_mov_b32 s3, exec_lo
                                        ; implicit-def: $vgpr3
	v_and_b32_e32 v5, 0x7fffffff, v2
	s_delay_alu instid0(VALU_DEP_1)
	v_cmpx_gt_u32_e32 0x47800000, v5
	s_xor_b32 s3, exec_lo, s3
	s_cbranch_execz .LBB111_4023
; %bb.4018:
	s_mov_b32 s6, exec_lo
                                        ; implicit-def: $vgpr3
	v_cmpx_lt_u32_e32 0x387fffff, v5
	s_xor_b32 s6, exec_lo, s6
; %bb.4019:
	v_bfe_u32 v3, v2, 21, 1
	s_delay_alu instid0(VALU_DEP_1) | instskip(NEXT) | instid1(VALU_DEP_1)
	v_add3_u32 v3, v2, v3, 0x80fffff
	v_lshrrev_b32_e32 v3, 21, v3
; %bb.4020:
	s_and_not1_saveexec_b32 s6, s6
; %bb.4021:
	v_add_f32_e64 v3, 0x43000000, |v2|
; %bb.4022:
	s_or_b32 exec_lo, exec_lo, s6
                                        ; implicit-def: $vgpr5
.LBB111_4023:
	s_and_not1_saveexec_b32 s3, s3
; %bb.4024:
	v_mov_b32_e32 v3, 0x7f
	v_cmp_lt_u32_e32 vcc_lo, 0x7f800000, v5
	s_delay_alu instid0(VALU_DEP_2)
	v_cndmask_b32_e32 v3, 0x7c, v3, vcc_lo
; %bb.4025:
	s_or_b32 exec_lo, exec_lo, s3
	v_lshrrev_b32_e32 v2, 24, v2
	s_delay_alu instid0(VALU_DEP_1)
	v_and_or_b32 v2, 0x80, v2, v3
	global_store_b8 v[6:7], v2, off
.LBB111_4026:
	s_mov_b32 s3, 0
	s_mov_b32 s6, -1
.LBB111_4027:
	s_and_not1_b32 vcc_lo, exec_lo, s3
	s_mov_b32 s3, 0
	s_cbranch_vccnz .LBB111_4034
; %bb.4028:
	s_cmp_gt_i32 s2, 14
	s_mov_b32 s3, -1
	s_cbranch_scc0 .LBB111_4032
; %bb.4029:
	s_cmp_eq_u32 s2, 15
	s_mov_b32 s0, -1
	s_cbranch_scc0 .LBB111_4031
; %bb.4030:
	s_wait_xcnt 0x0
	s_delay_alu instid0(VALU_DEP_1) | instskip(SKIP_2) | instid1(VALU_DEP_1)
	v_cvt_f32_f64_e32 v2, v[0:1]
	s_mov_b32 s0, 0
	s_mov_b32 s6, -1
	v_bfe_u32 v3, v2, 16, 1
	v_cmp_o_f32_e32 vcc_lo, v2, v2
	s_delay_alu instid0(VALU_DEP_2) | instskip(NEXT) | instid1(VALU_DEP_1)
	v_add3_u32 v3, v2, v3, 0x7fff
	v_lshrrev_b32_e32 v3, 16, v3
	s_delay_alu instid0(VALU_DEP_1)
	v_cndmask_b32_e32 v2, 0x7fc0, v3, vcc_lo
	global_store_b16 v[6:7], v2, off
.LBB111_4031:
	s_mov_b32 s3, 0
.LBB111_4032:
	s_delay_alu instid0(SALU_CYCLE_1)
	s_and_b32 vcc_lo, exec_lo, s3
	s_mov_b32 s3, 0
	s_cbranch_vccz .LBB111_4034
; %bb.4033:
	s_cmp_lg_u32 s2, 11
	s_mov_b32 s3, -1
	s_cselect_b32 s0, -1, 0
.LBB111_4034:
	s_delay_alu instid0(SALU_CYCLE_1)
	s_and_b32 vcc_lo, exec_lo, s0
	s_cbranch_vccnz .LBB111_4214
; %bb.4035:
	s_and_not1_b32 vcc_lo, exec_lo, s3
	s_cbranch_vccnz .LBB111_4037
.LBB111_4036:
	s_delay_alu instid0(VALU_DEP_1)
	v_cmp_neq_f64_e32 vcc_lo, 0, v[0:1]
	s_mov_b32 s6, -1
	s_wait_xcnt 0x0
	v_cndmask_b32_e64 v2, 0, 1, vcc_lo
	global_store_b8 v[6:7], v2, off
.LBB111_4037:
	s_mov_b32 s0, 0
	s_branch .LBB111_4039
.LBB111_4038:
	s_mov_b32 s0, -1
	s_mov_b32 s6, 0
.LBB111_4039:
	s_and_b32 vcc_lo, exec_lo, s0
	s_cbranch_vccz .LBB111_4078
; %bb.4040:
	s_cmp_lt_i32 s2, 5
	s_mov_b32 s0, -1
	s_cbranch_scc1 .LBB111_4061
; %bb.4041:
	s_cmp_lt_i32 s2, 8
	s_cbranch_scc1 .LBB111_4051
; %bb.4042:
	s_cmp_lt_i32 s2, 9
	s_cbranch_scc1 .LBB111_4048
; %bb.4043:
	s_cmp_gt_i32 s2, 9
	s_cbranch_scc0 .LBB111_4045
; %bb.4044:
	s_wait_xcnt 0x0
	v_mov_b32_e32 v2, 0
	s_mov_b32 s0, 0
	s_delay_alu instid0(VALU_DEP_1)
	v_mov_b32_e32 v3, v2
	global_store_b128 v[6:7], v[0:3], off
.LBB111_4045:
	s_and_not1_b32 vcc_lo, exec_lo, s0
	s_cbranch_vccnz .LBB111_4047
; %bb.4046:
	s_wait_xcnt 0x0
	s_delay_alu instid0(VALU_DEP_1)
	v_cvt_f32_f64_e32 v2, v[0:1]
	v_mov_b32_e32 v3, 0
	global_store_b64 v[6:7], v[2:3], off
.LBB111_4047:
	s_mov_b32 s0, 0
.LBB111_4048:
	s_delay_alu instid0(SALU_CYCLE_1)
	s_and_not1_b32 vcc_lo, exec_lo, s0
	s_cbranch_vccnz .LBB111_4050
; %bb.4049:
	s_wait_xcnt 0x0
	s_delay_alu instid0(VALU_DEP_1) | instskip(SKIP_2) | instid1(VALU_DEP_3)
	v_and_or_b32 v2, 0x1ff, v1, v0
	v_lshrrev_b32_e32 v3, 8, v1
	v_bfe_u32 v5, v1, 20, 11
	v_cmp_ne_u32_e32 vcc_lo, 0, v2
	s_delay_alu instid0(VALU_DEP_2) | instskip(SKIP_2) | instid1(VALU_DEP_1)
	v_sub_nc_u32_e32 v8, 0x3f1, v5
	v_add_nc_u32_e32 v5, 0xfffffc10, v5
	v_cndmask_b32_e64 v2, 0, 1, vcc_lo
	v_and_or_b32 v2, 0xffe, v3, v2
	s_delay_alu instid0(VALU_DEP_4) | instskip(NEXT) | instid1(VALU_DEP_2)
	v_med3_i32 v3, v8, 0, 13
	v_or_b32_e32 v8, 0x1000, v2
	s_delay_alu instid0(VALU_DEP_1) | instskip(NEXT) | instid1(VALU_DEP_1)
	v_lshrrev_b32_e32 v9, v3, v8
	v_lshlrev_b32_e32 v3, v3, v9
	s_delay_alu instid0(VALU_DEP_1) | instskip(SKIP_3) | instid1(VALU_DEP_2)
	v_cmp_ne_u32_e32 vcc_lo, v3, v8
	v_lshl_or_b32 v8, v5, 12, v2
	v_cndmask_b32_e64 v3, 0, 1, vcc_lo
	v_cmp_gt_i32_e32 vcc_lo, 1, v5
	v_or_b32_e32 v3, v9, v3
	s_delay_alu instid0(VALU_DEP_1) | instskip(NEXT) | instid1(VALU_DEP_1)
	v_cndmask_b32_e32 v3, v8, v3, vcc_lo
	v_dual_lshrrev_b32 v3, 2, v3 :: v_dual_bitop2_b32 v8, 7, v3 bitop3:0x40
	s_delay_alu instid0(VALU_DEP_1) | instskip(SKIP_4) | instid1(VALU_DEP_2)
	v_cmp_lt_i32_e32 vcc_lo, 5, v8
	v_cndmask_b32_e64 v9, 0, 1, vcc_lo
	v_cmp_eq_u32_e32 vcc_lo, 3, v8
	v_cndmask_b32_e64 v8, 0, 1, vcc_lo
	v_cmp_ne_u32_e32 vcc_lo, 0, v2
	v_or_b32_e32 v8, v8, v9
	v_mov_b32_e32 v9, 0x7e00
	s_delay_alu instid0(VALU_DEP_1) | instskip(SKIP_1) | instid1(VALU_DEP_2)
	v_dual_cndmask_b32 v2, 0x7c00, v9 :: v_dual_add_nc_u32 v3, v3, v8
	v_cmp_gt_i32_e32 vcc_lo, 31, v5
	v_dual_cndmask_b32 v3, 0x7c00, v3 :: v_dual_lshrrev_b32 v8, 16, v1
	v_cmp_eq_u32_e32 vcc_lo, 0x40f, v5
	s_delay_alu instid0(VALU_DEP_2) | instskip(NEXT) | instid1(VALU_DEP_3)
	v_cndmask_b32_e32 v2, v3, v2, vcc_lo
	v_and_b32_e32 v3, 0x8000, v8
	s_delay_alu instid0(VALU_DEP_1)
	v_bitop3_b32 v2, v3, 0xffff, v2 bitop3:0xc8
	global_store_b32 v[6:7], v2, off
.LBB111_4050:
	s_mov_b32 s0, 0
.LBB111_4051:
	s_delay_alu instid0(SALU_CYCLE_1)
	s_and_not1_b32 vcc_lo, exec_lo, s0
	s_cbranch_vccnz .LBB111_4060
; %bb.4052:
	s_cmp_lt_i32 s2, 6
	s_mov_b32 s0, -1
	s_cbranch_scc1 .LBB111_4058
; %bb.4053:
	s_cmp_gt_i32 s2, 6
	s_cbranch_scc0 .LBB111_4055
; %bb.4054:
	s_mov_b32 s0, 0
	global_store_b64 v[6:7], v[0:1], off
.LBB111_4055:
	s_and_not1_b32 vcc_lo, exec_lo, s0
	s_cbranch_vccnz .LBB111_4057
; %bb.4056:
	s_wait_xcnt 0x0
	s_delay_alu instid0(VALU_DEP_1)
	v_cvt_f32_f64_e32 v2, v[0:1]
	global_store_b32 v[6:7], v2, off
.LBB111_4057:
	s_mov_b32 s0, 0
.LBB111_4058:
	s_delay_alu instid0(SALU_CYCLE_1)
	s_and_not1_b32 vcc_lo, exec_lo, s0
	s_cbranch_vccnz .LBB111_4060
; %bb.4059:
	s_wait_xcnt 0x0
	s_delay_alu instid0(VALU_DEP_1) | instskip(SKIP_2) | instid1(VALU_DEP_3)
	v_and_or_b32 v2, 0x1ff, v1, v0
	v_lshrrev_b32_e32 v3, 8, v1
	v_bfe_u32 v5, v1, 20, 11
	v_cmp_ne_u32_e32 vcc_lo, 0, v2
	s_delay_alu instid0(VALU_DEP_2) | instskip(SKIP_2) | instid1(VALU_DEP_1)
	v_sub_nc_u32_e32 v8, 0x3f1, v5
	v_add_nc_u32_e32 v5, 0xfffffc10, v5
	v_cndmask_b32_e64 v2, 0, 1, vcc_lo
	v_and_or_b32 v2, 0xffe, v3, v2
	s_delay_alu instid0(VALU_DEP_4) | instskip(NEXT) | instid1(VALU_DEP_2)
	v_med3_i32 v3, v8, 0, 13
	v_or_b32_e32 v8, 0x1000, v2
	s_delay_alu instid0(VALU_DEP_1) | instskip(NEXT) | instid1(VALU_DEP_1)
	v_lshrrev_b32_e32 v9, v3, v8
	v_lshlrev_b32_e32 v3, v3, v9
	s_delay_alu instid0(VALU_DEP_1) | instskip(SKIP_3) | instid1(VALU_DEP_2)
	v_cmp_ne_u32_e32 vcc_lo, v3, v8
	v_lshl_or_b32 v8, v5, 12, v2
	v_cndmask_b32_e64 v3, 0, 1, vcc_lo
	v_cmp_gt_i32_e32 vcc_lo, 1, v5
	v_or_b32_e32 v3, v9, v3
	s_delay_alu instid0(VALU_DEP_1) | instskip(NEXT) | instid1(VALU_DEP_1)
	v_cndmask_b32_e32 v3, v8, v3, vcc_lo
	v_dual_lshrrev_b32 v3, 2, v3 :: v_dual_bitop2_b32 v8, 7, v3 bitop3:0x40
	s_delay_alu instid0(VALU_DEP_1) | instskip(SKIP_4) | instid1(VALU_DEP_2)
	v_cmp_lt_i32_e32 vcc_lo, 5, v8
	v_cndmask_b32_e64 v9, 0, 1, vcc_lo
	v_cmp_eq_u32_e32 vcc_lo, 3, v8
	v_cndmask_b32_e64 v8, 0, 1, vcc_lo
	v_cmp_ne_u32_e32 vcc_lo, 0, v2
	v_or_b32_e32 v8, v8, v9
	v_mov_b32_e32 v9, 0x7e00
	s_delay_alu instid0(VALU_DEP_1) | instskip(SKIP_1) | instid1(VALU_DEP_2)
	v_dual_cndmask_b32 v2, 0x7c00, v9 :: v_dual_add_nc_u32 v3, v3, v8
	v_cmp_gt_i32_e32 vcc_lo, 31, v5
	v_cndmask_b32_e32 v3, 0x7c00, v3, vcc_lo
	v_cmp_eq_u32_e32 vcc_lo, 0x40f, v5
	s_delay_alu instid0(VALU_DEP_2) | instskip(NEXT) | instid1(VALU_DEP_1)
	v_dual_cndmask_b32 v2, v3, v2 :: v_dual_lshrrev_b32 v3, 16, v1
	v_and_or_b32 v2, 0x8000, v3, v2
	global_store_b16 v[6:7], v2, off
.LBB111_4060:
	s_mov_b32 s0, 0
.LBB111_4061:
	s_delay_alu instid0(SALU_CYCLE_1)
	s_and_not1_b32 vcc_lo, exec_lo, s0
	s_cbranch_vccnz .LBB111_4077
; %bb.4062:
	s_cmp_lt_i32 s2, 2
	s_mov_b32 s0, -1
	s_cbranch_scc1 .LBB111_4072
; %bb.4063:
	s_cmp_lt_i32 s2, 3
	s_cbranch_scc1 .LBB111_4069
; %bb.4064:
	s_cmp_gt_i32 s2, 3
	s_cbranch_scc0 .LBB111_4066
; %bb.4065:
	s_wait_xcnt 0x0
	s_delay_alu instid0(VALU_DEP_1) | instskip(SKIP_1) | instid1(VALU_DEP_1)
	v_trunc_f64_e32 v[2:3], v[0:1]
	s_mov_b32 s0, 0
	v_ldexp_f64 v[8:9], v[2:3], 0xffffffe0
	s_delay_alu instid0(VALU_DEP_1) | instskip(NEXT) | instid1(VALU_DEP_1)
	v_floor_f64_e32 v[8:9], v[8:9]
	v_fmamk_f64 v[2:3], v[8:9], 0xc1f00000, v[2:3]
	v_cvt_i32_f64_e32 v9, v[8:9]
	s_delay_alu instid0(VALU_DEP_2)
	v_cvt_u32_f64_e32 v8, v[2:3]
	global_store_b64 v[6:7], v[8:9], off
.LBB111_4066:
	s_and_not1_b32 vcc_lo, exec_lo, s0
	s_cbranch_vccnz .LBB111_4068
; %bb.4067:
	s_wait_xcnt 0x0
	s_delay_alu instid0(VALU_DEP_1)
	v_cvt_i32_f64_e32 v2, v[0:1]
	global_store_b32 v[6:7], v2, off
.LBB111_4068:
	s_mov_b32 s0, 0
.LBB111_4069:
	s_delay_alu instid0(SALU_CYCLE_1)
	s_and_not1_b32 vcc_lo, exec_lo, s0
	s_cbranch_vccnz .LBB111_4071
; %bb.4070:
	s_wait_xcnt 0x0
	s_delay_alu instid0(VALU_DEP_1)
	v_cvt_i32_f64_e32 v2, v[0:1]
	global_store_b16 v[6:7], v2, off
.LBB111_4071:
	s_mov_b32 s0, 0
.LBB111_4072:
	s_delay_alu instid0(SALU_CYCLE_1)
	s_and_not1_b32 vcc_lo, exec_lo, s0
	s_cbranch_vccnz .LBB111_4077
; %bb.4073:
	s_cmp_gt_i32 s2, 0
	s_mov_b32 s0, -1
	s_cbranch_scc0 .LBB111_4075
; %bb.4074:
	s_wait_xcnt 0x0
	s_delay_alu instid0(VALU_DEP_1)
	v_cvt_i32_f64_e32 v2, v[0:1]
	s_mov_b32 s0, 0
	global_store_b8 v[6:7], v2, off
.LBB111_4075:
	s_and_not1_b32 vcc_lo, exec_lo, s0
	s_cbranch_vccnz .LBB111_4077
; %bb.4076:
	s_wait_xcnt 0x0
	s_delay_alu instid0(VALU_DEP_1) | instskip(NEXT) | instid1(VALU_DEP_1)
	v_trunc_f64_e32 v[0:1], v[0:1]
	v_ldexp_f64 v[2:3], v[0:1], 0xffffffe0
	s_delay_alu instid0(VALU_DEP_1) | instskip(NEXT) | instid1(VALU_DEP_1)
	v_floor_f64_e32 v[2:3], v[2:3]
	v_fmamk_f64 v[0:1], v[2:3], 0xc1f00000, v[0:1]
	s_delay_alu instid0(VALU_DEP_1)
	v_cvt_u32_f64_e32 v0, v[0:1]
	global_store_b8 v[6:7], v0, off
.LBB111_4077:
	s_mov_b32 s6, -1
.LBB111_4078:
	s_delay_alu instid0(SALU_CYCLE_1)
	s_and_not1_b32 vcc_lo, exec_lo, s6
	s_cbranch_vccnz .LBB111_4155
; %bb.4079:
	s_wait_xcnt 0x0
	v_dual_mul_f64 v[0:1], s[10:11], v[14:15] :: v_dual_mov_b32 v5, 0
	s_cmp_lt_i32 s2, 11
	s_delay_alu instid0(VALU_DEP_1) | instskip(NEXT) | instid1(VALU_DEP_2)
	v_add_nc_u64_e32 v[6:7], s[4:5], v[4:5]
	v_mul_f64_e32 v[0:1], v[0:1], v[32:33]
	s_delay_alu instid0(VALU_DEP_1)
	v_fmac_f64_e32 v[0:1], s[8:9], v[20:21]
	s_cbranch_scc1 .LBB111_4200
; %bb.4080:
	s_mov_b32 s4, -1
	s_mov_b32 s3, 0
	s_cmp_gt_i32 s2, 25
	s_mov_b32 s0, 0
	s_cbranch_scc0 .LBB111_4113
; %bb.4081:
	s_cmp_gt_i32 s2, 28
	s_cbranch_scc0 .LBB111_4097
; %bb.4082:
	s_cmp_gt_i32 s2, 43
	;; [unrolled: 3-line block ×3, first 2 shown]
	s_cbranch_scc0 .LBB111_4087
; %bb.4084:
	s_cmp_eq_u32 s2, 46
	s_mov_b32 s0, -1
	s_cbranch_scc0 .LBB111_4086
; %bb.4085:
	s_delay_alu instid0(VALU_DEP_1) | instskip(SKIP_1) | instid1(VALU_DEP_1)
	v_cvt_f32_f64_e32 v2, v[0:1]
	s_mov_b32 s0, 0
	v_bfe_u32 v3, v2, 16, 1
	v_cmp_o_f32_e32 vcc_lo, v2, v2
	s_delay_alu instid0(VALU_DEP_2) | instskip(NEXT) | instid1(VALU_DEP_1)
	v_add3_u32 v3, v2, v3, 0x7fff
	v_lshrrev_b32_e32 v3, 16, v3
	s_delay_alu instid0(VALU_DEP_1)
	v_cndmask_b32_e32 v2, 0x7fc0, v3, vcc_lo
	global_store_b32 v[6:7], v2, off
.LBB111_4086:
	s_mov_b32 s4, 0
.LBB111_4087:
	s_delay_alu instid0(SALU_CYCLE_1)
	s_and_b32 vcc_lo, exec_lo, s4
	s_cbranch_vccz .LBB111_4092
; %bb.4088:
	s_cmp_eq_u32 s2, 44
	s_mov_b32 s0, -1
	s_cbranch_scc0 .LBB111_4092
; %bb.4089:
	s_wait_xcnt 0x0
	s_delay_alu instid0(VALU_DEP_1) | instskip(SKIP_2) | instid1(VALU_DEP_2)
	v_cvt_f32_f64_e32 v2, v[0:1]
	v_mov_b32_e32 v3, 0xff
	s_mov_b32 s4, exec_lo
	v_bfe_u32 v4, v2, 23, 8
	s_delay_alu instid0(VALU_DEP_1)
	v_cmpx_ne_u32_e32 0xff, v4
	s_cbranch_execz .LBB111_4091
; %bb.4090:
	v_and_b32_e32 v3, 0x400000, v2
	v_and_or_b32 v4, 0x3fffff, v2, v4
	v_lshrrev_b32_e32 v2, 23, v2
	s_delay_alu instid0(VALU_DEP_3) | instskip(NEXT) | instid1(VALU_DEP_3)
	v_cmp_ne_u32_e32 vcc_lo, 0, v3
	v_cmp_ne_u32_e64 s0, 0, v4
	s_and_b32 s0, vcc_lo, s0
	s_delay_alu instid0(SALU_CYCLE_1) | instskip(NEXT) | instid1(VALU_DEP_1)
	v_cndmask_b32_e64 v3, 0, 1, s0
	v_add_nc_u32_e32 v3, v2, v3
.LBB111_4091:
	s_or_b32 exec_lo, exec_lo, s4
	s_mov_b32 s0, 0
	global_store_b8 v[6:7], v3, off
.LBB111_4092:
	s_mov_b32 s4, 0
.LBB111_4093:
	s_delay_alu instid0(SALU_CYCLE_1)
	s_and_b32 vcc_lo, exec_lo, s4
	s_cbranch_vccz .LBB111_4096
; %bb.4094:
	s_cmp_eq_u32 s2, 29
	s_mov_b32 s0, -1
	s_cbranch_scc0 .LBB111_4096
; %bb.4095:
	s_wait_xcnt 0x0
	s_delay_alu instid0(VALU_DEP_1) | instskip(SKIP_1) | instid1(VALU_DEP_1)
	v_trunc_f64_e32 v[2:3], v[0:1]
	s_mov_b32 s0, 0
	v_ldexp_f64 v[4:5], v[2:3], 0xffffffe0
	s_delay_alu instid0(VALU_DEP_1) | instskip(NEXT) | instid1(VALU_DEP_1)
	v_floor_f64_e32 v[4:5], v[4:5]
	v_fmamk_f64 v[2:3], v[4:5], 0xc1f00000, v[2:3]
	v_cvt_u32_f64_e32 v5, v[4:5]
	s_delay_alu instid0(VALU_DEP_2)
	v_cvt_u32_f64_e32 v4, v[2:3]
	global_store_b64 v[6:7], v[4:5], off
.LBB111_4096:
	s_mov_b32 s4, 0
.LBB111_4097:
	s_delay_alu instid0(SALU_CYCLE_1)
	s_and_b32 vcc_lo, exec_lo, s4
	s_cbranch_vccz .LBB111_4112
; %bb.4098:
	s_cmp_lt_i32 s2, 27
	s_mov_b32 s4, -1
	s_cbranch_scc1 .LBB111_4104
; %bb.4099:
	s_wait_xcnt 0x0
	s_delay_alu instid0(VALU_DEP_1)
	v_cvt_u32_f64_e32 v2, v[0:1]
	s_cmp_gt_i32 s2, 27
	s_cbranch_scc0 .LBB111_4101
; %bb.4100:
	s_mov_b32 s4, 0
	global_store_b32 v[6:7], v2, off
.LBB111_4101:
	s_and_not1_b32 vcc_lo, exec_lo, s4
	s_cbranch_vccnz .LBB111_4103
; %bb.4102:
	global_store_b16 v[6:7], v2, off
.LBB111_4103:
	s_mov_b32 s4, 0
.LBB111_4104:
	s_delay_alu instid0(SALU_CYCLE_1)
	s_and_not1_b32 vcc_lo, exec_lo, s4
	s_cbranch_vccnz .LBB111_4112
; %bb.4105:
	s_wait_xcnt 0x0
	s_delay_alu instid0(VALU_DEP_1) | instskip(SKIP_2) | instid1(VALU_DEP_2)
	v_cvt_f32_f64_e32 v2, v[0:1]
	v_mov_b32_e32 v4, 0x80
	s_mov_b32 s4, exec_lo
	v_and_b32_e32 v3, 0x7fffffff, v2
	s_delay_alu instid0(VALU_DEP_1)
	v_cmpx_gt_u32_e32 0x43800000, v3
	s_cbranch_execz .LBB111_4111
; %bb.4106:
	v_cmp_lt_u32_e32 vcc_lo, 0x3bffffff, v3
	s_mov_b32 s5, 0
                                        ; implicit-def: $vgpr3
	s_and_saveexec_b32 s6, vcc_lo
	s_delay_alu instid0(SALU_CYCLE_1)
	s_xor_b32 s6, exec_lo, s6
	s_cbranch_execz .LBB111_4217
; %bb.4107:
	v_bfe_u32 v3, v2, 20, 1
	s_mov_b32 s5, exec_lo
	s_delay_alu instid0(VALU_DEP_1) | instskip(NEXT) | instid1(VALU_DEP_1)
	v_add3_u32 v3, v2, v3, 0x487ffff
	v_lshrrev_b32_e32 v3, 20, v3
	s_and_not1_saveexec_b32 s6, s6
	s_cbranch_execnz .LBB111_4218
.LBB111_4108:
	s_or_b32 exec_lo, exec_lo, s6
	v_mov_b32_e32 v4, 0
	s_and_saveexec_b32 s6, s5
.LBB111_4109:
	v_lshrrev_b32_e32 v2, 24, v2
	s_delay_alu instid0(VALU_DEP_1)
	v_and_or_b32 v4, 0x80, v2, v3
.LBB111_4110:
	s_or_b32 exec_lo, exec_lo, s6
.LBB111_4111:
	s_delay_alu instid0(SALU_CYCLE_1)
	s_or_b32 exec_lo, exec_lo, s4
	global_store_b8 v[6:7], v4, off
.LBB111_4112:
	s_mov_b32 s4, 0
.LBB111_4113:
	s_delay_alu instid0(SALU_CYCLE_1)
	s_and_b32 vcc_lo, exec_lo, s4
	s_cbranch_vccz .LBB111_4153
; %bb.4114:
	s_cmp_gt_i32 s2, 22
	s_mov_b32 s3, -1
	s_cbranch_scc0 .LBB111_4146
; %bb.4115:
	s_cmp_lt_i32 s2, 24
	s_cbranch_scc1 .LBB111_4135
; %bb.4116:
	s_cmp_gt_i32 s2, 24
	s_cbranch_scc0 .LBB111_4124
; %bb.4117:
	s_wait_xcnt 0x0
	s_delay_alu instid0(VALU_DEP_1) | instskip(SKIP_2) | instid1(VALU_DEP_2)
	v_cvt_f32_f64_e32 v2, v[0:1]
	v_mov_b32_e32 v4, 0x80
	s_mov_b32 s3, exec_lo
	v_and_b32_e32 v3, 0x7fffffff, v2
	s_delay_alu instid0(VALU_DEP_1)
	v_cmpx_gt_u32_e32 0x47800000, v3
	s_cbranch_execz .LBB111_4123
; %bb.4118:
	v_cmp_lt_u32_e32 vcc_lo, 0x37ffffff, v3
	s_mov_b32 s4, 0
                                        ; implicit-def: $vgpr3
	s_and_saveexec_b32 s5, vcc_lo
	s_delay_alu instid0(SALU_CYCLE_1)
	s_xor_b32 s5, exec_lo, s5
	s_cbranch_execz .LBB111_4220
; %bb.4119:
	v_bfe_u32 v3, v2, 21, 1
	s_mov_b32 s4, exec_lo
	s_delay_alu instid0(VALU_DEP_1) | instskip(NEXT) | instid1(VALU_DEP_1)
	v_add3_u32 v3, v2, v3, 0x88fffff
	v_lshrrev_b32_e32 v3, 21, v3
	s_and_not1_saveexec_b32 s5, s5
	s_cbranch_execnz .LBB111_4221
.LBB111_4120:
	s_or_b32 exec_lo, exec_lo, s5
	v_mov_b32_e32 v4, 0
	s_and_saveexec_b32 s5, s4
.LBB111_4121:
	v_lshrrev_b32_e32 v2, 24, v2
	s_delay_alu instid0(VALU_DEP_1)
	v_and_or_b32 v4, 0x80, v2, v3
.LBB111_4122:
	s_or_b32 exec_lo, exec_lo, s5
.LBB111_4123:
	s_delay_alu instid0(SALU_CYCLE_1)
	s_or_b32 exec_lo, exec_lo, s3
	s_mov_b32 s3, 0
	global_store_b8 v[6:7], v4, off
.LBB111_4124:
	s_and_b32 vcc_lo, exec_lo, s3
	s_cbranch_vccz .LBB111_4134
; %bb.4125:
	s_wait_xcnt 0x0
	s_delay_alu instid0(VALU_DEP_1) | instskip(SKIP_1) | instid1(VALU_DEP_1)
	v_cvt_f32_f64_e32 v2, v[0:1]
	s_mov_b32 s3, exec_lo
                                        ; implicit-def: $vgpr3
	v_and_b32_e32 v4, 0x7fffffff, v2
	s_delay_alu instid0(VALU_DEP_1)
	v_cmpx_gt_u32_e32 0x43f00000, v4
	s_xor_b32 s3, exec_lo, s3
	s_cbranch_execz .LBB111_4131
; %bb.4126:
	s_mov_b32 s4, exec_lo
                                        ; implicit-def: $vgpr3
	v_cmpx_lt_u32_e32 0x3c7fffff, v4
	s_xor_b32 s4, exec_lo, s4
; %bb.4127:
	v_bfe_u32 v3, v2, 20, 1
	s_delay_alu instid0(VALU_DEP_1) | instskip(NEXT) | instid1(VALU_DEP_1)
	v_add3_u32 v3, v2, v3, 0x407ffff
	v_and_b32_e32 v4, 0xff00000, v3
	v_lshrrev_b32_e32 v3, 20, v3
	s_delay_alu instid0(VALU_DEP_2) | instskip(NEXT) | instid1(VALU_DEP_2)
	v_cmp_ne_u32_e32 vcc_lo, 0x7f00000, v4
	v_cndmask_b32_e32 v3, 0x7e, v3, vcc_lo
; %bb.4128:
	s_and_not1_saveexec_b32 s4, s4
; %bb.4129:
	v_add_f32_e64 v3, 0x46800000, |v2|
; %bb.4130:
	s_or_b32 exec_lo, exec_lo, s4
                                        ; implicit-def: $vgpr4
.LBB111_4131:
	s_and_not1_saveexec_b32 s3, s3
; %bb.4132:
	v_mov_b32_e32 v3, 0x7f
	v_cmp_lt_u32_e32 vcc_lo, 0x7f800000, v4
	s_delay_alu instid0(VALU_DEP_2)
	v_cndmask_b32_e32 v3, 0x7e, v3, vcc_lo
; %bb.4133:
	s_or_b32 exec_lo, exec_lo, s3
	v_lshrrev_b32_e32 v2, 24, v2
	s_delay_alu instid0(VALU_DEP_1)
	v_and_or_b32 v2, 0x80, v2, v3
	global_store_b8 v[6:7], v2, off
.LBB111_4134:
	s_mov_b32 s3, 0
.LBB111_4135:
	s_delay_alu instid0(SALU_CYCLE_1)
	s_and_not1_b32 vcc_lo, exec_lo, s3
	s_cbranch_vccnz .LBB111_4145
; %bb.4136:
	s_wait_xcnt 0x0
	s_delay_alu instid0(VALU_DEP_1) | instskip(SKIP_1) | instid1(VALU_DEP_1)
	v_cvt_f32_f64_e32 v2, v[0:1]
	s_mov_b32 s3, exec_lo
                                        ; implicit-def: $vgpr3
	v_and_b32_e32 v4, 0x7fffffff, v2
	s_delay_alu instid0(VALU_DEP_1)
	v_cmpx_gt_u32_e32 0x47800000, v4
	s_xor_b32 s3, exec_lo, s3
	s_cbranch_execz .LBB111_4142
; %bb.4137:
	s_mov_b32 s4, exec_lo
                                        ; implicit-def: $vgpr3
	v_cmpx_lt_u32_e32 0x387fffff, v4
	s_xor_b32 s4, exec_lo, s4
; %bb.4138:
	v_bfe_u32 v3, v2, 21, 1
	s_delay_alu instid0(VALU_DEP_1) | instskip(NEXT) | instid1(VALU_DEP_1)
	v_add3_u32 v3, v2, v3, 0x80fffff
	v_lshrrev_b32_e32 v3, 21, v3
; %bb.4139:
	s_and_not1_saveexec_b32 s4, s4
; %bb.4140:
	v_add_f32_e64 v3, 0x43000000, |v2|
; %bb.4141:
	s_or_b32 exec_lo, exec_lo, s4
                                        ; implicit-def: $vgpr4
.LBB111_4142:
	s_and_not1_saveexec_b32 s3, s3
; %bb.4143:
	v_mov_b32_e32 v3, 0x7f
	v_cmp_lt_u32_e32 vcc_lo, 0x7f800000, v4
	s_delay_alu instid0(VALU_DEP_2)
	v_cndmask_b32_e32 v3, 0x7c, v3, vcc_lo
; %bb.4144:
	s_or_b32 exec_lo, exec_lo, s3
	v_lshrrev_b32_e32 v2, 24, v2
	s_delay_alu instid0(VALU_DEP_1)
	v_and_or_b32 v2, 0x80, v2, v3
	global_store_b8 v[6:7], v2, off
.LBB111_4145:
	s_mov_b32 s3, 0
.LBB111_4146:
	s_delay_alu instid0(SALU_CYCLE_1)
	s_and_not1_b32 vcc_lo, exec_lo, s3
	s_mov_b32 s3, 0
	s_cbranch_vccnz .LBB111_4153
; %bb.4147:
	s_cmp_gt_i32 s2, 14
	s_mov_b32 s3, -1
	s_cbranch_scc0 .LBB111_4151
; %bb.4148:
	s_cmp_eq_u32 s2, 15
	s_mov_b32 s0, -1
	s_cbranch_scc0 .LBB111_4150
; %bb.4149:
	s_wait_xcnt 0x0
	s_delay_alu instid0(VALU_DEP_1) | instskip(SKIP_1) | instid1(VALU_DEP_1)
	v_cvt_f32_f64_e32 v2, v[0:1]
	s_mov_b32 s0, 0
	v_bfe_u32 v3, v2, 16, 1
	v_cmp_o_f32_e32 vcc_lo, v2, v2
	s_delay_alu instid0(VALU_DEP_2) | instskip(NEXT) | instid1(VALU_DEP_1)
	v_add3_u32 v3, v2, v3, 0x7fff
	v_lshrrev_b32_e32 v3, 16, v3
	s_delay_alu instid0(VALU_DEP_1)
	v_cndmask_b32_e32 v2, 0x7fc0, v3, vcc_lo
	global_store_b16 v[6:7], v2, off
.LBB111_4150:
	s_mov_b32 s3, 0
.LBB111_4151:
	s_delay_alu instid0(SALU_CYCLE_1)
	s_and_b32 vcc_lo, exec_lo, s3
	s_mov_b32 s3, 0
	s_cbranch_vccz .LBB111_4153
; %bb.4152:
	s_cmp_lg_u32 s2, 11
	s_mov_b32 s3, -1
	s_cselect_b32 s0, -1, 0
.LBB111_4153:
	s_delay_alu instid0(SALU_CYCLE_1)
	s_and_b32 vcc_lo, exec_lo, s0
	s_cbranch_vccnz .LBB111_4219
.LBB111_4154:
	s_mov_b32 s0, 0
	s_branch .LBB111_4156
.LBB111_4155:
	s_mov_b32 s0, 0
	s_wait_xcnt 0x0
	s_mov_b32 s3, 0
                                        ; implicit-def: $vgpr6_vgpr7
                                        ; implicit-def: $sgpr1
                                        ; implicit-def: $vgpr0_vgpr1
.LBB111_4156:
	s_and_not1_b32 s2, s12, exec_lo
	s_and_b32 s4, s14, exec_lo
	s_and_b32 s0, s0, exec_lo
	;; [unrolled: 1-line block ×3, first 2 shown]
	s_or_b32 s12, s2, s4
.LBB111_4157:
	s_wait_xcnt 0x0
	s_or_b32 exec_lo, exec_lo, s13
	s_and_saveexec_b32 s2, s12
	s_cbranch_execz .LBB111_4160
; %bb.4158:
	; divergent unreachable
	s_or_b32 exec_lo, exec_lo, s2
	s_and_saveexec_b32 s2, s39
	s_delay_alu instid0(SALU_CYCLE_1)
	s_xor_b32 s2, exec_lo, s2
	s_cbranch_execnz .LBB111_4161
.LBB111_4159:
	s_or_b32 exec_lo, exec_lo, s2
	s_and_saveexec_b32 s2, s0
	s_cbranch_execnz .LBB111_4162
	s_branch .LBB111_4199
.LBB111_4160:
	s_or_b32 exec_lo, exec_lo, s2
	s_and_saveexec_b32 s2, s39
	s_delay_alu instid0(SALU_CYCLE_1)
	s_xor_b32 s2, exec_lo, s2
	s_cbranch_execz .LBB111_4159
.LBB111_4161:
	s_delay_alu instid0(VALU_DEP_1)
	v_cmp_neq_f64_e32 vcc_lo, 0, v[0:1]
	v_cndmask_b32_e64 v2, 0, 1, vcc_lo
	s_wait_loadcnt 0x0
	global_store_b8 v[6:7], v2, off
	s_wait_xcnt 0x0
	s_or_b32 exec_lo, exec_lo, s2
	s_and_saveexec_b32 s2, s0
	s_cbranch_execz .LBB111_4199
.LBB111_4162:
	s_sext_i32_i16 s2, s1
	s_mov_b32 s0, -1
	s_cmp_lt_i32 s2, 5
	s_cbranch_scc1 .LBB111_4183
; %bb.4163:
	s_cmp_lt_i32 s2, 8
	s_cbranch_scc1 .LBB111_4173
; %bb.4164:
	;; [unrolled: 3-line block ×3, first 2 shown]
	s_cmp_gt_i32 s2, 9
	s_cbranch_scc0 .LBB111_4167
; %bb.4166:
	v_mov_b32_e32 v2, 0
	s_mov_b32 s0, 0
	s_delay_alu instid0(VALU_DEP_1)
	v_mov_b32_e32 v3, v2
	s_wait_loadcnt 0x0
	global_store_b128 v[6:7], v[0:3], off
.LBB111_4167:
	s_and_not1_b32 vcc_lo, exec_lo, s0
	s_cbranch_vccnz .LBB111_4169
; %bb.4168:
	s_wait_xcnt 0x0
	v_cvt_f32_f64_e32 v2, v[0:1]
	v_mov_b32_e32 v3, 0
	s_wait_loadcnt 0x0
	global_store_b64 v[6:7], v[2:3], off
.LBB111_4169:
	s_mov_b32 s0, 0
.LBB111_4170:
	s_delay_alu instid0(SALU_CYCLE_1)
	s_and_not1_b32 vcc_lo, exec_lo, s0
	s_cbranch_vccnz .LBB111_4172
; %bb.4171:
	s_wait_xcnt 0x0
	v_and_or_b32 v2, 0x1ff, v1, v0
	v_lshrrev_b32_e32 v3, 8, v1
	s_wait_loadcnt 0x0
	v_bfe_u32 v4, v1, 20, 11
	s_delay_alu instid0(VALU_DEP_3) | instskip(NEXT) | instid1(VALU_DEP_2)
	v_cmp_ne_u32_e32 vcc_lo, 0, v2
	v_sub_nc_u32_e32 v5, 0x3f1, v4
	v_add_nc_u32_e32 v4, 0xfffffc10, v4
	v_cndmask_b32_e64 v2, 0, 1, vcc_lo
	s_delay_alu instid0(VALU_DEP_1) | instskip(NEXT) | instid1(VALU_DEP_4)
	v_and_or_b32 v2, 0xffe, v3, v2
	v_med3_i32 v3, v5, 0, 13
	s_delay_alu instid0(VALU_DEP_2) | instskip(NEXT) | instid1(VALU_DEP_1)
	v_or_b32_e32 v5, 0x1000, v2
	v_lshrrev_b32_e32 v8, v3, v5
	s_delay_alu instid0(VALU_DEP_1) | instskip(NEXT) | instid1(VALU_DEP_1)
	v_lshlrev_b32_e32 v3, v3, v8
	v_cmp_ne_u32_e32 vcc_lo, v3, v5
	v_lshl_or_b32 v5, v4, 12, v2
	v_cndmask_b32_e64 v3, 0, 1, vcc_lo
	v_cmp_gt_i32_e32 vcc_lo, 1, v4
	s_delay_alu instid0(VALU_DEP_2) | instskip(NEXT) | instid1(VALU_DEP_1)
	v_or_b32_e32 v3, v8, v3
	v_cndmask_b32_e32 v3, v5, v3, vcc_lo
	s_delay_alu instid0(VALU_DEP_1) | instskip(NEXT) | instid1(VALU_DEP_1)
	v_dual_lshrrev_b32 v3, 2, v3 :: v_dual_bitop2_b32 v5, 7, v3 bitop3:0x40
	v_cmp_lt_i32_e32 vcc_lo, 5, v5
	v_cndmask_b32_e64 v8, 0, 1, vcc_lo
	v_cmp_eq_u32_e32 vcc_lo, 3, v5
	v_cndmask_b32_e64 v5, 0, 1, vcc_lo
	v_cmp_ne_u32_e32 vcc_lo, 0, v2
	s_delay_alu instid0(VALU_DEP_2) | instskip(NEXT) | instid1(VALU_DEP_1)
	v_or_b32_e32 v5, v5, v8
	v_dual_mov_b32 v8, 0x7e00 :: v_dual_add_nc_u32 v3, v3, v5
	s_delay_alu instid0(VALU_DEP_1) | instskip(SKIP_2) | instid1(VALU_DEP_4)
	v_cndmask_b32_e32 v2, 0x7c00, v8, vcc_lo
	v_cmp_gt_i32_e32 vcc_lo, 31, v4
	v_lshrrev_b32_e32 v5, 16, v1
	v_cndmask_b32_e32 v3, 0x7c00, v3, vcc_lo
	v_cmp_eq_u32_e32 vcc_lo, 0x40f, v4
	s_delay_alu instid0(VALU_DEP_2) | instskip(NEXT) | instid1(VALU_DEP_4)
	v_cndmask_b32_e32 v2, v3, v2, vcc_lo
	v_and_b32_e32 v3, 0x8000, v5
	s_delay_alu instid0(VALU_DEP_1)
	v_bitop3_b32 v2, v3, 0xffff, v2 bitop3:0xc8
	global_store_b32 v[6:7], v2, off
.LBB111_4172:
	s_mov_b32 s0, 0
.LBB111_4173:
	s_delay_alu instid0(SALU_CYCLE_1)
	s_and_not1_b32 vcc_lo, exec_lo, s0
	s_cbranch_vccnz .LBB111_4182
; %bb.4174:
	s_sext_i32_i16 s2, s1
	s_mov_b32 s0, -1
	s_cmp_lt_i32 s2, 6
	s_cbranch_scc1 .LBB111_4180
; %bb.4175:
	s_cmp_gt_i32 s2, 6
	s_cbranch_scc0 .LBB111_4177
; %bb.4176:
	s_mov_b32 s0, 0
	s_wait_loadcnt 0x0
	global_store_b64 v[6:7], v[0:1], off
.LBB111_4177:
	s_and_not1_b32 vcc_lo, exec_lo, s0
	s_cbranch_vccnz .LBB111_4179
; %bb.4178:
	s_wait_xcnt 0x0
	v_cvt_f32_f64_e32 v2, v[0:1]
	s_wait_loadcnt 0x0
	global_store_b32 v[6:7], v2, off
.LBB111_4179:
	s_mov_b32 s0, 0
.LBB111_4180:
	s_delay_alu instid0(SALU_CYCLE_1)
	s_and_not1_b32 vcc_lo, exec_lo, s0
	s_cbranch_vccnz .LBB111_4182
; %bb.4181:
	s_wait_xcnt 0x0
	v_and_or_b32 v2, 0x1ff, v1, v0
	v_lshrrev_b32_e32 v3, 8, v1
	s_wait_loadcnt 0x0
	v_bfe_u32 v4, v1, 20, 11
	s_delay_alu instid0(VALU_DEP_3) | instskip(NEXT) | instid1(VALU_DEP_2)
	v_cmp_ne_u32_e32 vcc_lo, 0, v2
	v_sub_nc_u32_e32 v5, 0x3f1, v4
	v_add_nc_u32_e32 v4, 0xfffffc10, v4
	v_cndmask_b32_e64 v2, 0, 1, vcc_lo
	s_delay_alu instid0(VALU_DEP_1) | instskip(NEXT) | instid1(VALU_DEP_4)
	v_and_or_b32 v2, 0xffe, v3, v2
	v_med3_i32 v3, v5, 0, 13
	s_delay_alu instid0(VALU_DEP_2) | instskip(NEXT) | instid1(VALU_DEP_1)
	v_or_b32_e32 v5, 0x1000, v2
	v_lshrrev_b32_e32 v8, v3, v5
	s_delay_alu instid0(VALU_DEP_1) | instskip(NEXT) | instid1(VALU_DEP_1)
	v_lshlrev_b32_e32 v3, v3, v8
	v_cmp_ne_u32_e32 vcc_lo, v3, v5
	v_lshl_or_b32 v5, v4, 12, v2
	v_cndmask_b32_e64 v3, 0, 1, vcc_lo
	v_cmp_gt_i32_e32 vcc_lo, 1, v4
	s_delay_alu instid0(VALU_DEP_2) | instskip(NEXT) | instid1(VALU_DEP_1)
	v_or_b32_e32 v3, v8, v3
	v_cndmask_b32_e32 v3, v5, v3, vcc_lo
	s_delay_alu instid0(VALU_DEP_1) | instskip(NEXT) | instid1(VALU_DEP_1)
	v_dual_lshrrev_b32 v3, 2, v3 :: v_dual_bitop2_b32 v5, 7, v3 bitop3:0x40
	v_cmp_lt_i32_e32 vcc_lo, 5, v5
	v_cndmask_b32_e64 v8, 0, 1, vcc_lo
	v_cmp_eq_u32_e32 vcc_lo, 3, v5
	v_cndmask_b32_e64 v5, 0, 1, vcc_lo
	v_cmp_ne_u32_e32 vcc_lo, 0, v2
	s_delay_alu instid0(VALU_DEP_2) | instskip(NEXT) | instid1(VALU_DEP_1)
	v_or_b32_e32 v5, v5, v8
	v_dual_mov_b32 v8, 0x7e00 :: v_dual_add_nc_u32 v3, v3, v5
	s_delay_alu instid0(VALU_DEP_1) | instskip(SKIP_1) | instid1(VALU_DEP_3)
	v_cndmask_b32_e32 v2, 0x7c00, v8, vcc_lo
	v_cmp_gt_i32_e32 vcc_lo, 31, v4
	v_cndmask_b32_e32 v3, 0x7c00, v3, vcc_lo
	v_cmp_eq_u32_e32 vcc_lo, 0x40f, v4
	s_delay_alu instid0(VALU_DEP_2) | instskip(NEXT) | instid1(VALU_DEP_1)
	v_dual_cndmask_b32 v2, v3, v2 :: v_dual_lshrrev_b32 v3, 16, v1
	v_and_or_b32 v2, 0x8000, v3, v2
	global_store_b16 v[6:7], v2, off
.LBB111_4182:
	s_mov_b32 s0, 0
.LBB111_4183:
	s_delay_alu instid0(SALU_CYCLE_1)
	s_and_not1_b32 vcc_lo, exec_lo, s0
	s_cbranch_vccnz .LBB111_4199
; %bb.4184:
	s_sext_i32_i16 s2, s1
	s_mov_b32 s0, -1
	s_cmp_lt_i32 s2, 2
	s_cbranch_scc1 .LBB111_4194
; %bb.4185:
	s_cmp_lt_i32 s2, 3
	s_cbranch_scc1 .LBB111_4191
; %bb.4186:
	s_cmp_gt_i32 s2, 3
	s_cbranch_scc0 .LBB111_4188
; %bb.4187:
	s_wait_xcnt 0x0
	v_trunc_f64_e32 v[2:3], v[0:1]
	s_mov_b32 s0, 0
	s_wait_loadcnt 0x0
	s_delay_alu instid0(VALU_DEP_1) | instskip(NEXT) | instid1(VALU_DEP_1)
	v_ldexp_f64 v[4:5], v[2:3], 0xffffffe0
	v_floor_f64_e32 v[4:5], v[4:5]
	s_delay_alu instid0(VALU_DEP_1) | instskip(SKIP_1) | instid1(VALU_DEP_2)
	v_fmamk_f64 v[2:3], v[4:5], 0xc1f00000, v[2:3]
	v_cvt_i32_f64_e32 v5, v[4:5]
	v_cvt_u32_f64_e32 v4, v[2:3]
	global_store_b64 v[6:7], v[4:5], off
.LBB111_4188:
	s_and_not1_b32 vcc_lo, exec_lo, s0
	s_cbranch_vccnz .LBB111_4190
; %bb.4189:
	s_wait_xcnt 0x0
	v_cvt_i32_f64_e32 v2, v[0:1]
	s_wait_loadcnt 0x0
	global_store_b32 v[6:7], v2, off
.LBB111_4190:
	s_mov_b32 s0, 0
.LBB111_4191:
	s_delay_alu instid0(SALU_CYCLE_1)
	s_and_not1_b32 vcc_lo, exec_lo, s0
	s_cbranch_vccnz .LBB111_4193
; %bb.4192:
	s_wait_xcnt 0x0
	v_cvt_i32_f64_e32 v2, v[0:1]
	s_wait_loadcnt 0x0
	global_store_b16 v[6:7], v2, off
.LBB111_4193:
	s_mov_b32 s0, 0
.LBB111_4194:
	s_delay_alu instid0(SALU_CYCLE_1)
	s_and_not1_b32 vcc_lo, exec_lo, s0
	s_cbranch_vccnz .LBB111_4199
; %bb.4195:
	s_sext_i32_i16 s0, s1
	s_delay_alu instid0(SALU_CYCLE_1)
	s_cmp_gt_i32 s0, 0
	s_mov_b32 s0, -1
	s_cbranch_scc0 .LBB111_4197
; %bb.4196:
	s_wait_xcnt 0x0
	v_cvt_i32_f64_e32 v2, v[0:1]
	s_mov_b32 s0, 0
	s_wait_loadcnt 0x0
	global_store_b8 v[6:7], v2, off
.LBB111_4197:
	s_and_not1_b32 vcc_lo, exec_lo, s0
	s_cbranch_vccnz .LBB111_4199
; %bb.4198:
	s_wait_xcnt 0x0
	v_trunc_f64_e32 v[0:1], v[0:1]
	s_delay_alu instid0(VALU_DEP_1) | instskip(NEXT) | instid1(VALU_DEP_1)
	v_ldexp_f64 v[2:3], v[0:1], 0xffffffe0
	v_floor_f64_e32 v[2:3], v[2:3]
	s_delay_alu instid0(VALU_DEP_1) | instskip(NEXT) | instid1(VALU_DEP_1)
	v_fmamk_f64 v[0:1], v[2:3], 0xc1f00000, v[0:1]
	v_cvt_u32_f64_e32 v0, v[0:1]
	s_wait_loadcnt 0x0
	global_store_b8 v[6:7], v0, off
	s_endpgm
.LBB111_4199:
	s_endpgm
.LBB111_4200:
	s_mov_b32 s3, 0
	s_mov_b32 s0, -1
	s_branch .LBB111_4156
.LBB111_4201:
	s_or_b32 s14, s14, exec_lo
	s_trap 2
	s_cbranch_execz .LBB111_3670
	s_branch .LBB111_3671
.LBB111_4202:
	s_and_not1_saveexec_b32 s15, s15
	s_cbranch_execz .LBB111_3750
.LBB111_4203:
	v_add_f32_e64 v3, 0x46000000, |v2|
	s_and_not1_b32 s7, s7, exec_lo
	s_delay_alu instid0(VALU_DEP_1) | instskip(NEXT) | instid1(VALU_DEP_1)
	v_and_b32_e32 v3, 0xff, v3
	v_cmp_ne_u32_e32 vcc_lo, 0, v3
	s_and_b32 s16, vcc_lo, exec_lo
	s_delay_alu instid0(SALU_CYCLE_1)
	s_or_b32 s7, s7, s16
	s_or_b32 exec_lo, exec_lo, s15
	v_mov_b32_e32 v5, 0
	s_and_saveexec_b32 s15, s7
	s_cbranch_execnz .LBB111_3751
	s_branch .LBB111_3752
.LBB111_4204:
	s_or_b32 s14, s14, exec_lo
	s_trap 2
	s_cbranch_execz .LBB111_3798
	s_branch .LBB111_3799
.LBB111_4205:
	s_and_not1_saveexec_b32 s7, s7
	s_cbranch_execz .LBB111_3763
.LBB111_4206:
	v_add_f32_e64 v3, 0x42800000, |v2|
	s_and_not1_b32 s6, s6, exec_lo
	s_delay_alu instid0(VALU_DEP_1) | instskip(NEXT) | instid1(VALU_DEP_1)
	v_and_b32_e32 v3, 0xff, v3
	v_cmp_ne_u32_e32 vcc_lo, 0, v3
	s_and_b32 s15, vcc_lo, exec_lo
	s_delay_alu instid0(SALU_CYCLE_1)
	s_or_b32 s6, s6, s15
	s_or_b32 exec_lo, exec_lo, s7
	v_mov_b32_e32 v5, 0
	s_and_saveexec_b32 s7, s6
	s_cbranch_execnz .LBB111_3764
	s_branch .LBB111_3765
.LBB111_4207:
	s_and_not1_saveexec_b32 s15, s15
	s_cbranch_execz .LBB111_3869
.LBB111_4208:
	v_add_f32_e64 v3, 0x46000000, |v2|
	s_and_not1_b32 s7, s7, exec_lo
	s_delay_alu instid0(VALU_DEP_1) | instskip(NEXT) | instid1(VALU_DEP_1)
	v_and_b32_e32 v3, 0xff, v3
	v_cmp_ne_u32_e32 vcc_lo, 0, v3
	s_and_b32 s16, vcc_lo, exec_lo
	s_delay_alu instid0(SALU_CYCLE_1)
	s_or_b32 s7, s7, s16
	s_or_b32 exec_lo, exec_lo, s15
	v_mov_b32_e32 v5, 0
	s_and_saveexec_b32 s15, s7
	s_cbranch_execnz .LBB111_3870
	s_branch .LBB111_3871
.LBB111_4209:
	s_or_b32 s14, s14, exec_lo
	s_trap 2
	s_cbranch_execz .LBB111_3917
	s_branch .LBB111_3918
.LBB111_4210:
	s_and_not1_saveexec_b32 s7, s7
	s_cbranch_execz .LBB111_3882
.LBB111_4211:
	v_add_f32_e64 v3, 0x42800000, |v2|
	s_and_not1_b32 s6, s6, exec_lo
	s_delay_alu instid0(VALU_DEP_1) | instskip(NEXT) | instid1(VALU_DEP_1)
	v_and_b32_e32 v3, 0xff, v3
	v_cmp_ne_u32_e32 vcc_lo, 0, v3
	s_and_b32 s15, vcc_lo, exec_lo
	s_delay_alu instid0(SALU_CYCLE_1)
	s_or_b32 s6, s6, s15
	s_or_b32 exec_lo, exec_lo, s7
	v_mov_b32_e32 v5, 0
	s_and_saveexec_b32 s7, s6
	s_cbranch_execnz .LBB111_3883
	s_branch .LBB111_3884
.LBB111_4212:
	s_and_not1_saveexec_b32 s15, s15
	s_cbranch_execz .LBB111_3988
.LBB111_4213:
	v_add_f32_e64 v3, 0x46000000, |v2|
	s_and_not1_b32 s7, s7, exec_lo
	s_delay_alu instid0(VALU_DEP_1) | instskip(NEXT) | instid1(VALU_DEP_1)
	v_and_b32_e32 v3, 0xff, v3
	v_cmp_ne_u32_e32 vcc_lo, 0, v3
	s_and_b32 s16, vcc_lo, exec_lo
	s_delay_alu instid0(SALU_CYCLE_1)
	s_or_b32 s7, s7, s16
	s_or_b32 exec_lo, exec_lo, s15
	v_mov_b32_e32 v5, 0
	s_and_saveexec_b32 s15, s7
	s_cbranch_execnz .LBB111_3989
	s_branch .LBB111_3990
.LBB111_4214:
	s_or_b32 s14, s14, exec_lo
	s_trap 2
	s_cbranch_execz .LBB111_4036
	s_branch .LBB111_4037
.LBB111_4215:
	s_and_not1_saveexec_b32 s7, s7
	s_cbranch_execz .LBB111_4001
.LBB111_4216:
	v_add_f32_e64 v3, 0x42800000, |v2|
	s_and_not1_b32 s6, s6, exec_lo
	s_delay_alu instid0(VALU_DEP_1) | instskip(NEXT) | instid1(VALU_DEP_1)
	v_and_b32_e32 v3, 0xff, v3
	v_cmp_ne_u32_e32 vcc_lo, 0, v3
	s_and_b32 s15, vcc_lo, exec_lo
	s_delay_alu instid0(SALU_CYCLE_1)
	s_or_b32 s6, s6, s15
	s_or_b32 exec_lo, exec_lo, s7
	v_mov_b32_e32 v5, 0
	s_and_saveexec_b32 s7, s6
	s_cbranch_execnz .LBB111_4002
	s_branch .LBB111_4003
.LBB111_4217:
	s_and_not1_saveexec_b32 s6, s6
	s_cbranch_execz .LBB111_4108
.LBB111_4218:
	v_add_f32_e64 v3, 0x46000000, |v2|
	s_and_not1_b32 s5, s5, exec_lo
	s_delay_alu instid0(VALU_DEP_1) | instskip(NEXT) | instid1(VALU_DEP_1)
	v_and_b32_e32 v3, 0xff, v3
	v_cmp_ne_u32_e32 vcc_lo, 0, v3
	s_and_b32 s7, vcc_lo, exec_lo
	s_delay_alu instid0(SALU_CYCLE_1)
	s_or_b32 s5, s5, s7
	s_or_b32 exec_lo, exec_lo, s6
	v_mov_b32_e32 v4, 0
	s_and_saveexec_b32 s6, s5
	s_cbranch_execnz .LBB111_4109
	s_branch .LBB111_4110
.LBB111_4219:
	s_mov_b32 s3, 0
	s_or_b32 s14, s14, exec_lo
	s_trap 2
	s_branch .LBB111_4154
.LBB111_4220:
	s_and_not1_saveexec_b32 s5, s5
	s_cbranch_execz .LBB111_4120
.LBB111_4221:
	v_add_f32_e64 v3, 0x42800000, |v2|
	s_and_not1_b32 s4, s4, exec_lo
	s_delay_alu instid0(VALU_DEP_1) | instskip(NEXT) | instid1(VALU_DEP_1)
	v_and_b32_e32 v3, 0xff, v3
	v_cmp_ne_u32_e32 vcc_lo, 0, v3
	s_and_b32 s6, vcc_lo, exec_lo
	s_delay_alu instid0(SALU_CYCLE_1)
	s_or_b32 s4, s4, s6
	s_or_b32 exec_lo, exec_lo, s5
	v_mov_b32_e32 v4, 0
	s_and_saveexec_b32 s5, s4
	s_cbranch_execnz .LBB111_4121
	s_branch .LBB111_4122
	.section	.rodata,"a",@progbits
	.p2align	6, 0x0
	.amdhsa_kernel _ZN2at6native32elementwise_kernel_manual_unrollILi128ELi4EZNS0_15gpu_kernel_implIZZZNS0_12_GLOBAL__N_116addr_kernel_cudaERNS_14TensorIteratorERKN3c106ScalarES9_ENKUlvE_clEvENKUlvE4_clEvEUldddE0_EEvRNS_18TensorIteratorBaseERKT_EUlibE0_EEviT1_
		.amdhsa_group_segment_fixed_size 0
		.amdhsa_private_segment_fixed_size 0
		.amdhsa_kernarg_size 520
		.amdhsa_user_sgpr_count 2
		.amdhsa_user_sgpr_dispatch_ptr 0
		.amdhsa_user_sgpr_queue_ptr 0
		.amdhsa_user_sgpr_kernarg_segment_ptr 1
		.amdhsa_user_sgpr_dispatch_id 0
		.amdhsa_user_sgpr_kernarg_preload_length 0
		.amdhsa_user_sgpr_kernarg_preload_offset 0
		.amdhsa_user_sgpr_private_segment_size 0
		.amdhsa_wavefront_size32 1
		.amdhsa_uses_dynamic_stack 0
		.amdhsa_enable_private_segment 0
		.amdhsa_system_sgpr_workgroup_id_x 1
		.amdhsa_system_sgpr_workgroup_id_y 0
		.amdhsa_system_sgpr_workgroup_id_z 0
		.amdhsa_system_sgpr_workgroup_info 0
		.amdhsa_system_vgpr_workitem_id 0
		.amdhsa_next_free_vgpr 36
		.amdhsa_next_free_sgpr 78
		.amdhsa_named_barrier_count 0
		.amdhsa_reserve_vcc 1
		.amdhsa_float_round_mode_32 0
		.amdhsa_float_round_mode_16_64 0
		.amdhsa_float_denorm_mode_32 3
		.amdhsa_float_denorm_mode_16_64 3
		.amdhsa_fp16_overflow 0
		.amdhsa_memory_ordered 1
		.amdhsa_forward_progress 1
		.amdhsa_inst_pref_size 255
		.amdhsa_round_robin_scheduling 0
		.amdhsa_exception_fp_ieee_invalid_op 0
		.amdhsa_exception_fp_denorm_src 0
		.amdhsa_exception_fp_ieee_div_zero 0
		.amdhsa_exception_fp_ieee_overflow 0
		.amdhsa_exception_fp_ieee_underflow 0
		.amdhsa_exception_fp_ieee_inexact 0
		.amdhsa_exception_int_div_zero 0
	.end_amdhsa_kernel
	.section	.text._ZN2at6native32elementwise_kernel_manual_unrollILi128ELi4EZNS0_15gpu_kernel_implIZZZNS0_12_GLOBAL__N_116addr_kernel_cudaERNS_14TensorIteratorERKN3c106ScalarES9_ENKUlvE_clEvENKUlvE4_clEvEUldddE0_EEvRNS_18TensorIteratorBaseERKT_EUlibE0_EEviT1_,"axG",@progbits,_ZN2at6native32elementwise_kernel_manual_unrollILi128ELi4EZNS0_15gpu_kernel_implIZZZNS0_12_GLOBAL__N_116addr_kernel_cudaERNS_14TensorIteratorERKN3c106ScalarES9_ENKUlvE_clEvENKUlvE4_clEvEUldddE0_EEvRNS_18TensorIteratorBaseERKT_EUlibE0_EEviT1_,comdat
.Lfunc_end111:
	.size	_ZN2at6native32elementwise_kernel_manual_unrollILi128ELi4EZNS0_15gpu_kernel_implIZZZNS0_12_GLOBAL__N_116addr_kernel_cudaERNS_14TensorIteratorERKN3c106ScalarES9_ENKUlvE_clEvENKUlvE4_clEvEUldddE0_EEvRNS_18TensorIteratorBaseERKT_EUlibE0_EEviT1_, .Lfunc_end111-_ZN2at6native32elementwise_kernel_manual_unrollILi128ELi4EZNS0_15gpu_kernel_implIZZZNS0_12_GLOBAL__N_116addr_kernel_cudaERNS_14TensorIteratorERKN3c106ScalarES9_ENKUlvE_clEvENKUlvE4_clEvEUldddE0_EEvRNS_18TensorIteratorBaseERKT_EUlibE0_EEviT1_
                                        ; -- End function
	.set _ZN2at6native32elementwise_kernel_manual_unrollILi128ELi4EZNS0_15gpu_kernel_implIZZZNS0_12_GLOBAL__N_116addr_kernel_cudaERNS_14TensorIteratorERKN3c106ScalarES9_ENKUlvE_clEvENKUlvE4_clEvEUldddE0_EEvRNS_18TensorIteratorBaseERKT_EUlibE0_EEviT1_.num_vgpr, 36
	.set _ZN2at6native32elementwise_kernel_manual_unrollILi128ELi4EZNS0_15gpu_kernel_implIZZZNS0_12_GLOBAL__N_116addr_kernel_cudaERNS_14TensorIteratorERKN3c106ScalarES9_ENKUlvE_clEvENKUlvE4_clEvEUldddE0_EEvRNS_18TensorIteratorBaseERKT_EUlibE0_EEviT1_.num_agpr, 0
	.set _ZN2at6native32elementwise_kernel_manual_unrollILi128ELi4EZNS0_15gpu_kernel_implIZZZNS0_12_GLOBAL__N_116addr_kernel_cudaERNS_14TensorIteratorERKN3c106ScalarES9_ENKUlvE_clEvENKUlvE4_clEvEUldddE0_EEvRNS_18TensorIteratorBaseERKT_EUlibE0_EEviT1_.numbered_sgpr, 78
	.set _ZN2at6native32elementwise_kernel_manual_unrollILi128ELi4EZNS0_15gpu_kernel_implIZZZNS0_12_GLOBAL__N_116addr_kernel_cudaERNS_14TensorIteratorERKN3c106ScalarES9_ENKUlvE_clEvENKUlvE4_clEvEUldddE0_EEvRNS_18TensorIteratorBaseERKT_EUlibE0_EEviT1_.num_named_barrier, 0
	.set _ZN2at6native32elementwise_kernel_manual_unrollILi128ELi4EZNS0_15gpu_kernel_implIZZZNS0_12_GLOBAL__N_116addr_kernel_cudaERNS_14TensorIteratorERKN3c106ScalarES9_ENKUlvE_clEvENKUlvE4_clEvEUldddE0_EEvRNS_18TensorIteratorBaseERKT_EUlibE0_EEviT1_.private_seg_size, 0
	.set _ZN2at6native32elementwise_kernel_manual_unrollILi128ELi4EZNS0_15gpu_kernel_implIZZZNS0_12_GLOBAL__N_116addr_kernel_cudaERNS_14TensorIteratorERKN3c106ScalarES9_ENKUlvE_clEvENKUlvE4_clEvEUldddE0_EEvRNS_18TensorIteratorBaseERKT_EUlibE0_EEviT1_.uses_vcc, 1
	.set _ZN2at6native32elementwise_kernel_manual_unrollILi128ELi4EZNS0_15gpu_kernel_implIZZZNS0_12_GLOBAL__N_116addr_kernel_cudaERNS_14TensorIteratorERKN3c106ScalarES9_ENKUlvE_clEvENKUlvE4_clEvEUldddE0_EEvRNS_18TensorIteratorBaseERKT_EUlibE0_EEviT1_.uses_flat_scratch, 0
	.set _ZN2at6native32elementwise_kernel_manual_unrollILi128ELi4EZNS0_15gpu_kernel_implIZZZNS0_12_GLOBAL__N_116addr_kernel_cudaERNS_14TensorIteratorERKN3c106ScalarES9_ENKUlvE_clEvENKUlvE4_clEvEUldddE0_EEvRNS_18TensorIteratorBaseERKT_EUlibE0_EEviT1_.has_dyn_sized_stack, 0
	.set _ZN2at6native32elementwise_kernel_manual_unrollILi128ELi4EZNS0_15gpu_kernel_implIZZZNS0_12_GLOBAL__N_116addr_kernel_cudaERNS_14TensorIteratorERKN3c106ScalarES9_ENKUlvE_clEvENKUlvE4_clEvEUldddE0_EEvRNS_18TensorIteratorBaseERKT_EUlibE0_EEviT1_.has_recursion, 0
	.set _ZN2at6native32elementwise_kernel_manual_unrollILi128ELi4EZNS0_15gpu_kernel_implIZZZNS0_12_GLOBAL__N_116addr_kernel_cudaERNS_14TensorIteratorERKN3c106ScalarES9_ENKUlvE_clEvENKUlvE4_clEvEUldddE0_EEvRNS_18TensorIteratorBaseERKT_EUlibE0_EEviT1_.has_indirect_call, 0
	.section	.AMDGPU.csdata,"",@progbits
; Kernel info:
; codeLenInByte = 84320
; TotalNumSgprs: 80
; NumVgprs: 36
; ScratchSize: 0
; MemoryBound: 1
; FloatMode: 240
; IeeeMode: 1
; LDSByteSize: 0 bytes/workgroup (compile time only)
; SGPRBlocks: 0
; VGPRBlocks: 2
; NumSGPRsForWavesPerEU: 80
; NumVGPRsForWavesPerEU: 36
; NamedBarCnt: 0
; Occupancy: 16
; WaveLimiterHint : 1
; COMPUTE_PGM_RSRC2:SCRATCH_EN: 0
; COMPUTE_PGM_RSRC2:USER_SGPR: 2
; COMPUTE_PGM_RSRC2:TRAP_HANDLER: 0
; COMPUTE_PGM_RSRC2:TGID_X_EN: 1
; COMPUTE_PGM_RSRC2:TGID_Y_EN: 0
; COMPUTE_PGM_RSRC2:TGID_Z_EN: 0
; COMPUTE_PGM_RSRC2:TIDIG_COMP_CNT: 0
	.section	.text._ZN2at6native29vectorized_elementwise_kernelILi16EZZZNS0_12_GLOBAL__N_116addr_kernel_cudaERNS_14TensorIteratorERKN3c106ScalarES8_ENKUlvE_clEvENKUlvE5_clEvEUlfffE_St5arrayIPcLm4EEEEviT0_T1_,"axG",@progbits,_ZN2at6native29vectorized_elementwise_kernelILi16EZZZNS0_12_GLOBAL__N_116addr_kernel_cudaERNS_14TensorIteratorERKN3c106ScalarES8_ENKUlvE_clEvENKUlvE5_clEvEUlfffE_St5arrayIPcLm4EEEEviT0_T1_,comdat
	.globl	_ZN2at6native29vectorized_elementwise_kernelILi16EZZZNS0_12_GLOBAL__N_116addr_kernel_cudaERNS_14TensorIteratorERKN3c106ScalarES8_ENKUlvE_clEvENKUlvE5_clEvEUlfffE_St5arrayIPcLm4EEEEviT0_T1_ ; -- Begin function _ZN2at6native29vectorized_elementwise_kernelILi16EZZZNS0_12_GLOBAL__N_116addr_kernel_cudaERNS_14TensorIteratorERKN3c106ScalarES8_ENKUlvE_clEvENKUlvE5_clEvEUlfffE_St5arrayIPcLm4EEEEviT0_T1_
	.p2align	8
	.type	_ZN2at6native29vectorized_elementwise_kernelILi16EZZZNS0_12_GLOBAL__N_116addr_kernel_cudaERNS_14TensorIteratorERKN3c106ScalarES8_ENKUlvE_clEvENKUlvE5_clEvEUlfffE_St5arrayIPcLm4EEEEviT0_T1_,@function
_ZN2at6native29vectorized_elementwise_kernelILi16EZZZNS0_12_GLOBAL__N_116addr_kernel_cudaERNS_14TensorIteratorERKN3c106ScalarES8_ENKUlvE_clEvENKUlvE5_clEvEUlfffE_St5arrayIPcLm4EEEEviT0_T1_: ; @_ZN2at6native29vectorized_elementwise_kernelILi16EZZZNS0_12_GLOBAL__N_116addr_kernel_cudaERNS_14TensorIteratorERKN3c106ScalarES8_ENKUlvE_clEvENKUlvE5_clEvEUlfffE_St5arrayIPcLm4EEEEviT0_T1_
; %bb.0:
	s_clause 0x1
	s_load_b128 s[4:7], s[0:1], 0x0
	s_load_b128 s[8:11], s[0:1], 0x18
	s_wait_xcnt 0x0
	s_bfe_u32 s0, ttmp6, 0x4000c
	s_and_b32 s1, ttmp6, 15
	s_add_co_i32 s0, s0, 1
	s_getreg_b32 s2, hwreg(HW_REG_IB_STS2, 6, 4)
	s_mul_i32 s0, ttmp9, s0
	s_delay_alu instid0(SALU_CYCLE_1) | instskip(SKIP_2) | instid1(SALU_CYCLE_1)
	s_add_co_i32 s1, s1, s0
	s_cmp_eq_u32 s2, 0
	s_cselect_b32 s0, ttmp9, s1
	s_lshl_b32 s2, s0, 10
	s_mov_b32 s0, -1
	s_wait_kmcnt 0x0
	s_sub_co_i32 s1, s4, s2
	s_delay_alu instid0(SALU_CYCLE_1)
	s_cmp_gt_i32 s1, 0x3ff
	s_cbranch_scc0 .LBB112_2
; %bb.1:
	s_ashr_i32 s3, s2, 31
	s_mov_b32 s0, s5
	s_lshl_b64 s[12:13], s[2:3], 2
	s_delay_alu instid0(SALU_CYCLE_1)
	s_add_nc_u64 s[14:15], s[8:9], s[12:13]
	global_load_b128 v[2:5], v0, s[14:15] scale_offset
	s_wait_xcnt 0x0
	s_add_nc_u64 s[14:15], s[10:11], s[12:13]
	s_add_nc_u64 s[12:13], s[6:7], s[12:13]
	global_load_b128 v[6:9], v0, s[14:15] scale_offset
	s_wait_loadcnt 0x1
	v_pk_mul_f32 v[2:3], s[0:1], v[2:3] op_sel_hi:[0,1]
	v_pk_mul_f32 v[4:5], s[0:1], v[4:5] op_sel_hi:[0,1]
	s_mov_b32 s0, 0
	s_wait_loadcnt 0x0
	s_delay_alu instid0(VALU_DEP_2) | instskip(NEXT) | instid1(VALU_DEP_2)
	v_pk_mul_f32 v[2:3], v[2:3], v[6:7]
	v_pk_mul_f32 v[4:5], v[4:5], v[8:9]
	global_store_b128 v0, v[2:5], s[12:13] scale_offset
.LBB112_2:
	s_and_not1_b32 vcc_lo, exec_lo, s0
	s_cbranch_vccnz .LBB112_15
; %bb.3:
	v_cmp_gt_i32_e32 vcc_lo, s1, v0
	s_wait_xcnt 0x0
	v_dual_mov_b32 v1, 0 :: v_dual_bitop2_b32 v2, s2, v0 bitop3:0x54
	v_or_b32_e32 v3, 0x100, v0
	v_dual_mov_b32 v5, 0 :: v_dual_mov_b32 v6, 0
	v_mov_b32_e32 v10, v0
	s_and_saveexec_b32 s0, vcc_lo
	s_cbranch_execz .LBB112_5
; %bb.4:
	s_clause 0x1
	global_load_b32 v5, v2, s[8:9] scale_offset
	global_load_b32 v6, v2, s[10:11] scale_offset
	v_or_b32_e32 v10, 0x100, v0
.LBB112_5:
	s_wait_xcnt 0x0
	s_or_b32 exec_lo, exec_lo, s0
	v_mov_b32_e32 v7, 0
	s_mov_b32 s3, exec_lo
	v_cmpx_gt_i32_e64 s1, v10
	s_cbranch_execz .LBB112_7
; %bb.6:
	v_add_nc_u32_e32 v4, s2, v10
	v_add_nc_u32_e32 v10, 0x100, v10
	s_clause 0x1
	global_load_b32 v1, v4, s[8:9] scale_offset
	global_load_b32 v7, v4, s[10:11] scale_offset
.LBB112_7:
	s_wait_xcnt 0x0
	s_or_b32 exec_lo, exec_lo, s3
	v_dual_mov_b32 v4, 0 :: v_dual_mov_b32 v8, 0
	v_mov_b32_e32 v9, 0
	s_mov_b32 s3, exec_lo
	v_cmpx_gt_i32_e64 s1, v10
	s_cbranch_execz .LBB112_9
; %bb.8:
	v_add_nc_u32_e32 v11, s2, v10
	v_add_nc_u32_e32 v10, 0x100, v10
	s_clause 0x1
	global_load_b32 v8, v11, s[8:9] scale_offset
	global_load_b32 v9, v11, s[10:11] scale_offset
.LBB112_9:
	s_wait_xcnt 0x0
	s_or_b32 exec_lo, exec_lo, s3
	v_mov_b32_e32 v11, 0
	s_mov_b32 s3, exec_lo
	v_cmpx_gt_i32_e64 s1, v10
	s_cbranch_execnz .LBB112_16
; %bb.10:
	s_or_b32 exec_lo, exec_lo, s3
	s_and_saveexec_b32 s0, vcc_lo
	s_cbranch_execnz .LBB112_17
.LBB112_11:
	s_or_b32 exec_lo, exec_lo, s0
	s_delay_alu instid0(SALU_CYCLE_1)
	s_mov_b32 s0, exec_lo
	v_cmpx_gt_i32_e64 s1, v0
	s_cbranch_execnz .LBB112_18
.LBB112_12:
	s_or_b32 exec_lo, exec_lo, s0
	s_delay_alu instid0(SALU_CYCLE_1)
	s_mov_b32 s0, exec_lo
	v_cmpx_gt_i32_e64 s1, v0
	s_cbranch_execnz .LBB112_19
.LBB112_13:
	s_or_b32 exec_lo, exec_lo, s0
	s_delay_alu instid0(SALU_CYCLE_1)
	s_mov_b32 s0, exec_lo
	v_cmpx_gt_i32_e64 s1, v0
	s_cbranch_execz .LBB112_15
.LBB112_14:
	s_wait_loadcnt 0x1
	v_mul_f32_e32 v1, s5, v4
	s_wait_loadcnt 0x0
	s_delay_alu instid0(VALU_DEP_1)
	v_dual_mul_f32 v1, v11, v1 :: v_dual_add_nc_u32 v0, s2, v0
	global_store_b32 v0, v1, s[6:7] scale_offset
.LBB112_15:
	s_endpgm
.LBB112_16:
	v_add_nc_u32_e32 v10, s2, v10
	s_clause 0x1
	global_load_b32 v4, v10, s[8:9] scale_offset
	global_load_b32 v11, v10, s[10:11] scale_offset
	s_wait_xcnt 0x0
	s_or_b32 exec_lo, exec_lo, s3
	s_and_saveexec_b32 s0, vcc_lo
	s_cbranch_execz .LBB112_11
.LBB112_17:
	s_wait_loadcnt 0x1
	v_mul_f32_e32 v0, s5, v5
	s_wait_loadcnt 0x0
	s_delay_alu instid0(VALU_DEP_1) | instskip(SKIP_3) | instid1(SALU_CYCLE_1)
	v_dual_mul_f32 v5, v6, v0 :: v_dual_mov_b32 v0, v3
	global_store_b32 v2, v5, s[6:7] scale_offset
	s_wait_xcnt 0x0
	s_or_b32 exec_lo, exec_lo, s0
	s_mov_b32 s0, exec_lo
	v_cmpx_gt_i32_e64 s1, v0
	s_cbranch_execz .LBB112_12
.LBB112_18:
	s_wait_loadcnt 0x1
	v_dual_mul_f32 v1, s5, v1 :: v_dual_add_nc_u32 v2, s2, v0
	s_wait_loadcnt 0x0
	s_delay_alu instid0(VALU_DEP_1) | instskip(SKIP_3) | instid1(SALU_CYCLE_1)
	v_dual_mul_f32 v1, v7, v1 :: v_dual_add_nc_u32 v0, 0x100, v0
	global_store_b32 v2, v1, s[6:7] scale_offset
	s_wait_xcnt 0x0
	s_or_b32 exec_lo, exec_lo, s0
	s_mov_b32 s0, exec_lo
	v_cmpx_gt_i32_e64 s1, v0
	s_cbranch_execz .LBB112_13
.LBB112_19:
	s_wait_loadcnt 0x1
	v_mul_f32_e32 v1, s5, v8
	v_add_nc_u32_e32 v2, s2, v0
	s_wait_loadcnt 0x0
	s_delay_alu instid0(VALU_DEP_2) | instskip(SKIP_3) | instid1(SALU_CYCLE_1)
	v_dual_mul_f32 v1, v9, v1 :: v_dual_add_nc_u32 v0, 0x100, v0
	global_store_b32 v2, v1, s[6:7] scale_offset
	s_wait_xcnt 0x0
	s_or_b32 exec_lo, exec_lo, s0
	s_mov_b32 s0, exec_lo
	v_cmpx_gt_i32_e64 s1, v0
	s_cbranch_execnz .LBB112_14
	s_branch .LBB112_15
	.section	.rodata,"a",@progbits
	.p2align	6, 0x0
	.amdhsa_kernel _ZN2at6native29vectorized_elementwise_kernelILi16EZZZNS0_12_GLOBAL__N_116addr_kernel_cudaERNS_14TensorIteratorERKN3c106ScalarES8_ENKUlvE_clEvENKUlvE5_clEvEUlfffE_St5arrayIPcLm4EEEEviT0_T1_
		.amdhsa_group_segment_fixed_size 0
		.amdhsa_private_segment_fixed_size 0
		.amdhsa_kernarg_size 40
		.amdhsa_user_sgpr_count 2
		.amdhsa_user_sgpr_dispatch_ptr 0
		.amdhsa_user_sgpr_queue_ptr 0
		.amdhsa_user_sgpr_kernarg_segment_ptr 1
		.amdhsa_user_sgpr_dispatch_id 0
		.amdhsa_user_sgpr_kernarg_preload_length 0
		.amdhsa_user_sgpr_kernarg_preload_offset 0
		.amdhsa_user_sgpr_private_segment_size 0
		.amdhsa_wavefront_size32 1
		.amdhsa_uses_dynamic_stack 0
		.amdhsa_enable_private_segment 0
		.amdhsa_system_sgpr_workgroup_id_x 1
		.amdhsa_system_sgpr_workgroup_id_y 0
		.amdhsa_system_sgpr_workgroup_id_z 0
		.amdhsa_system_sgpr_workgroup_info 0
		.amdhsa_system_vgpr_workitem_id 0
		.amdhsa_next_free_vgpr 12
		.amdhsa_next_free_sgpr 16
		.amdhsa_named_barrier_count 0
		.amdhsa_reserve_vcc 1
		.amdhsa_float_round_mode_32 0
		.amdhsa_float_round_mode_16_64 0
		.amdhsa_float_denorm_mode_32 3
		.amdhsa_float_denorm_mode_16_64 3
		.amdhsa_fp16_overflow 0
		.amdhsa_memory_ordered 1
		.amdhsa_forward_progress 1
		.amdhsa_inst_pref_size 7
		.amdhsa_round_robin_scheduling 0
		.amdhsa_exception_fp_ieee_invalid_op 0
		.amdhsa_exception_fp_denorm_src 0
		.amdhsa_exception_fp_ieee_div_zero 0
		.amdhsa_exception_fp_ieee_overflow 0
		.amdhsa_exception_fp_ieee_underflow 0
		.amdhsa_exception_fp_ieee_inexact 0
		.amdhsa_exception_int_div_zero 0
	.end_amdhsa_kernel
	.section	.text._ZN2at6native29vectorized_elementwise_kernelILi16EZZZNS0_12_GLOBAL__N_116addr_kernel_cudaERNS_14TensorIteratorERKN3c106ScalarES8_ENKUlvE_clEvENKUlvE5_clEvEUlfffE_St5arrayIPcLm4EEEEviT0_T1_,"axG",@progbits,_ZN2at6native29vectorized_elementwise_kernelILi16EZZZNS0_12_GLOBAL__N_116addr_kernel_cudaERNS_14TensorIteratorERKN3c106ScalarES8_ENKUlvE_clEvENKUlvE5_clEvEUlfffE_St5arrayIPcLm4EEEEviT0_T1_,comdat
.Lfunc_end112:
	.size	_ZN2at6native29vectorized_elementwise_kernelILi16EZZZNS0_12_GLOBAL__N_116addr_kernel_cudaERNS_14TensorIteratorERKN3c106ScalarES8_ENKUlvE_clEvENKUlvE5_clEvEUlfffE_St5arrayIPcLm4EEEEviT0_T1_, .Lfunc_end112-_ZN2at6native29vectorized_elementwise_kernelILi16EZZZNS0_12_GLOBAL__N_116addr_kernel_cudaERNS_14TensorIteratorERKN3c106ScalarES8_ENKUlvE_clEvENKUlvE5_clEvEUlfffE_St5arrayIPcLm4EEEEviT0_T1_
                                        ; -- End function
	.set _ZN2at6native29vectorized_elementwise_kernelILi16EZZZNS0_12_GLOBAL__N_116addr_kernel_cudaERNS_14TensorIteratorERKN3c106ScalarES8_ENKUlvE_clEvENKUlvE5_clEvEUlfffE_St5arrayIPcLm4EEEEviT0_T1_.num_vgpr, 12
	.set _ZN2at6native29vectorized_elementwise_kernelILi16EZZZNS0_12_GLOBAL__N_116addr_kernel_cudaERNS_14TensorIteratorERKN3c106ScalarES8_ENKUlvE_clEvENKUlvE5_clEvEUlfffE_St5arrayIPcLm4EEEEviT0_T1_.num_agpr, 0
	.set _ZN2at6native29vectorized_elementwise_kernelILi16EZZZNS0_12_GLOBAL__N_116addr_kernel_cudaERNS_14TensorIteratorERKN3c106ScalarES8_ENKUlvE_clEvENKUlvE5_clEvEUlfffE_St5arrayIPcLm4EEEEviT0_T1_.numbered_sgpr, 16
	.set _ZN2at6native29vectorized_elementwise_kernelILi16EZZZNS0_12_GLOBAL__N_116addr_kernel_cudaERNS_14TensorIteratorERKN3c106ScalarES8_ENKUlvE_clEvENKUlvE5_clEvEUlfffE_St5arrayIPcLm4EEEEviT0_T1_.num_named_barrier, 0
	.set _ZN2at6native29vectorized_elementwise_kernelILi16EZZZNS0_12_GLOBAL__N_116addr_kernel_cudaERNS_14TensorIteratorERKN3c106ScalarES8_ENKUlvE_clEvENKUlvE5_clEvEUlfffE_St5arrayIPcLm4EEEEviT0_T1_.private_seg_size, 0
	.set _ZN2at6native29vectorized_elementwise_kernelILi16EZZZNS0_12_GLOBAL__N_116addr_kernel_cudaERNS_14TensorIteratorERKN3c106ScalarES8_ENKUlvE_clEvENKUlvE5_clEvEUlfffE_St5arrayIPcLm4EEEEviT0_T1_.uses_vcc, 1
	.set _ZN2at6native29vectorized_elementwise_kernelILi16EZZZNS0_12_GLOBAL__N_116addr_kernel_cudaERNS_14TensorIteratorERKN3c106ScalarES8_ENKUlvE_clEvENKUlvE5_clEvEUlfffE_St5arrayIPcLm4EEEEviT0_T1_.uses_flat_scratch, 0
	.set _ZN2at6native29vectorized_elementwise_kernelILi16EZZZNS0_12_GLOBAL__N_116addr_kernel_cudaERNS_14TensorIteratorERKN3c106ScalarES8_ENKUlvE_clEvENKUlvE5_clEvEUlfffE_St5arrayIPcLm4EEEEviT0_T1_.has_dyn_sized_stack, 0
	.set _ZN2at6native29vectorized_elementwise_kernelILi16EZZZNS0_12_GLOBAL__N_116addr_kernel_cudaERNS_14TensorIteratorERKN3c106ScalarES8_ENKUlvE_clEvENKUlvE5_clEvEUlfffE_St5arrayIPcLm4EEEEviT0_T1_.has_recursion, 0
	.set _ZN2at6native29vectorized_elementwise_kernelILi16EZZZNS0_12_GLOBAL__N_116addr_kernel_cudaERNS_14TensorIteratorERKN3c106ScalarES8_ENKUlvE_clEvENKUlvE5_clEvEUlfffE_St5arrayIPcLm4EEEEviT0_T1_.has_indirect_call, 0
	.section	.AMDGPU.csdata,"",@progbits
; Kernel info:
; codeLenInByte = 852
; TotalNumSgprs: 18
; NumVgprs: 12
; ScratchSize: 0
; MemoryBound: 0
; FloatMode: 240
; IeeeMode: 1
; LDSByteSize: 0 bytes/workgroup (compile time only)
; SGPRBlocks: 0
; VGPRBlocks: 0
; NumSGPRsForWavesPerEU: 18
; NumVGPRsForWavesPerEU: 12
; NamedBarCnt: 0
; Occupancy: 16
; WaveLimiterHint : 0
; COMPUTE_PGM_RSRC2:SCRATCH_EN: 0
; COMPUTE_PGM_RSRC2:USER_SGPR: 2
; COMPUTE_PGM_RSRC2:TRAP_HANDLER: 0
; COMPUTE_PGM_RSRC2:TGID_X_EN: 1
; COMPUTE_PGM_RSRC2:TGID_Y_EN: 0
; COMPUTE_PGM_RSRC2:TGID_Z_EN: 0
; COMPUTE_PGM_RSRC2:TIDIG_COMP_CNT: 0
	.section	.text._ZN2at6native29vectorized_elementwise_kernelILi8EZZZNS0_12_GLOBAL__N_116addr_kernel_cudaERNS_14TensorIteratorERKN3c106ScalarES8_ENKUlvE_clEvENKUlvE5_clEvEUlfffE_St5arrayIPcLm4EEEEviT0_T1_,"axG",@progbits,_ZN2at6native29vectorized_elementwise_kernelILi8EZZZNS0_12_GLOBAL__N_116addr_kernel_cudaERNS_14TensorIteratorERKN3c106ScalarES8_ENKUlvE_clEvENKUlvE5_clEvEUlfffE_St5arrayIPcLm4EEEEviT0_T1_,comdat
	.globl	_ZN2at6native29vectorized_elementwise_kernelILi8EZZZNS0_12_GLOBAL__N_116addr_kernel_cudaERNS_14TensorIteratorERKN3c106ScalarES8_ENKUlvE_clEvENKUlvE5_clEvEUlfffE_St5arrayIPcLm4EEEEviT0_T1_ ; -- Begin function _ZN2at6native29vectorized_elementwise_kernelILi8EZZZNS0_12_GLOBAL__N_116addr_kernel_cudaERNS_14TensorIteratorERKN3c106ScalarES8_ENKUlvE_clEvENKUlvE5_clEvEUlfffE_St5arrayIPcLm4EEEEviT0_T1_
	.p2align	8
	.type	_ZN2at6native29vectorized_elementwise_kernelILi8EZZZNS0_12_GLOBAL__N_116addr_kernel_cudaERNS_14TensorIteratorERKN3c106ScalarES8_ENKUlvE_clEvENKUlvE5_clEvEUlfffE_St5arrayIPcLm4EEEEviT0_T1_,@function
_ZN2at6native29vectorized_elementwise_kernelILi8EZZZNS0_12_GLOBAL__N_116addr_kernel_cudaERNS_14TensorIteratorERKN3c106ScalarES8_ENKUlvE_clEvENKUlvE5_clEvEUlfffE_St5arrayIPcLm4EEEEviT0_T1_: ; @_ZN2at6native29vectorized_elementwise_kernelILi8EZZZNS0_12_GLOBAL__N_116addr_kernel_cudaERNS_14TensorIteratorERKN3c106ScalarES8_ENKUlvE_clEvENKUlvE5_clEvEUlfffE_St5arrayIPcLm4EEEEviT0_T1_
; %bb.0:
	s_clause 0x1
	s_load_b128 s[4:7], s[0:1], 0x0
	s_load_b128 s[8:11], s[0:1], 0x18
	s_wait_xcnt 0x0
	s_bfe_u32 s0, ttmp6, 0x4000c
	s_and_b32 s1, ttmp6, 15
	s_add_co_i32 s0, s0, 1
	s_getreg_b32 s2, hwreg(HW_REG_IB_STS2, 6, 4)
	s_mul_i32 s0, ttmp9, s0
	s_delay_alu instid0(SALU_CYCLE_1) | instskip(SKIP_2) | instid1(SALU_CYCLE_1)
	s_add_co_i32 s1, s1, s0
	s_cmp_eq_u32 s2, 0
	s_cselect_b32 s0, ttmp9, s1
	s_lshl_b32 s2, s0, 10
	s_mov_b32 s0, -1
	s_wait_kmcnt 0x0
	s_sub_co_i32 s1, s4, s2
	s_delay_alu instid0(SALU_CYCLE_1)
	s_cmp_gt_i32 s1, 0x3ff
	s_cbranch_scc0 .LBB113_2
; %bb.1:
	s_ashr_i32 s3, s2, 31
	s_mov_b32 s0, s5
	s_lshl_b64 s[12:13], s[2:3], 2
	s_delay_alu instid0(SALU_CYCLE_1)
	s_add_nc_u64 s[14:15], s[8:9], s[12:13]
	global_load_b128 v[2:5], v0, s[14:15] scale_offset
	s_wait_xcnt 0x0
	s_add_nc_u64 s[14:15], s[10:11], s[12:13]
	s_add_nc_u64 s[12:13], s[6:7], s[12:13]
	global_load_b128 v[6:9], v0, s[14:15] scale_offset
	s_wait_loadcnt 0x1
	v_pk_mul_f32 v[2:3], s[0:1], v[2:3] op_sel_hi:[0,1]
	v_pk_mul_f32 v[4:5], s[0:1], v[4:5] op_sel_hi:[0,1]
	s_mov_b32 s0, 0
	s_wait_loadcnt 0x0
	s_delay_alu instid0(VALU_DEP_2) | instskip(NEXT) | instid1(VALU_DEP_2)
	v_pk_mul_f32 v[2:3], v[2:3], v[6:7]
	v_pk_mul_f32 v[4:5], v[4:5], v[8:9]
	global_store_b128 v0, v[2:5], s[12:13] scale_offset
.LBB113_2:
	s_and_not1_b32 vcc_lo, exec_lo, s0
	s_cbranch_vccnz .LBB113_15
; %bb.3:
	v_cmp_gt_i32_e32 vcc_lo, s1, v0
	s_wait_xcnt 0x0
	v_dual_mov_b32 v1, 0 :: v_dual_bitop2_b32 v2, s2, v0 bitop3:0x54
	v_or_b32_e32 v3, 0x100, v0
	v_dual_mov_b32 v5, 0 :: v_dual_mov_b32 v6, 0
	v_mov_b32_e32 v10, v0
	s_and_saveexec_b32 s0, vcc_lo
	s_cbranch_execz .LBB113_5
; %bb.4:
	s_clause 0x1
	global_load_b32 v5, v2, s[8:9] scale_offset
	global_load_b32 v6, v2, s[10:11] scale_offset
	v_or_b32_e32 v10, 0x100, v0
.LBB113_5:
	s_wait_xcnt 0x0
	s_or_b32 exec_lo, exec_lo, s0
	v_mov_b32_e32 v7, 0
	s_mov_b32 s3, exec_lo
	v_cmpx_gt_i32_e64 s1, v10
	s_cbranch_execz .LBB113_7
; %bb.6:
	v_add_nc_u32_e32 v4, s2, v10
	v_add_nc_u32_e32 v10, 0x100, v10
	s_clause 0x1
	global_load_b32 v1, v4, s[8:9] scale_offset
	global_load_b32 v7, v4, s[10:11] scale_offset
.LBB113_7:
	s_wait_xcnt 0x0
	s_or_b32 exec_lo, exec_lo, s3
	v_dual_mov_b32 v4, 0 :: v_dual_mov_b32 v8, 0
	v_mov_b32_e32 v9, 0
	s_mov_b32 s3, exec_lo
	v_cmpx_gt_i32_e64 s1, v10
	s_cbranch_execz .LBB113_9
; %bb.8:
	v_add_nc_u32_e32 v11, s2, v10
	v_add_nc_u32_e32 v10, 0x100, v10
	s_clause 0x1
	global_load_b32 v8, v11, s[8:9] scale_offset
	global_load_b32 v9, v11, s[10:11] scale_offset
.LBB113_9:
	s_wait_xcnt 0x0
	s_or_b32 exec_lo, exec_lo, s3
	v_mov_b32_e32 v11, 0
	s_mov_b32 s3, exec_lo
	v_cmpx_gt_i32_e64 s1, v10
	s_cbranch_execnz .LBB113_16
; %bb.10:
	s_or_b32 exec_lo, exec_lo, s3
	s_and_saveexec_b32 s0, vcc_lo
	s_cbranch_execnz .LBB113_17
.LBB113_11:
	s_or_b32 exec_lo, exec_lo, s0
	s_delay_alu instid0(SALU_CYCLE_1)
	s_mov_b32 s0, exec_lo
	v_cmpx_gt_i32_e64 s1, v0
	s_cbranch_execnz .LBB113_18
.LBB113_12:
	s_or_b32 exec_lo, exec_lo, s0
	s_delay_alu instid0(SALU_CYCLE_1)
	s_mov_b32 s0, exec_lo
	v_cmpx_gt_i32_e64 s1, v0
	s_cbranch_execnz .LBB113_19
.LBB113_13:
	s_or_b32 exec_lo, exec_lo, s0
	s_delay_alu instid0(SALU_CYCLE_1)
	s_mov_b32 s0, exec_lo
	v_cmpx_gt_i32_e64 s1, v0
	s_cbranch_execz .LBB113_15
.LBB113_14:
	s_wait_loadcnt 0x1
	v_mul_f32_e32 v1, s5, v4
	s_wait_loadcnt 0x0
	s_delay_alu instid0(VALU_DEP_1)
	v_dual_mul_f32 v1, v11, v1 :: v_dual_add_nc_u32 v0, s2, v0
	global_store_b32 v0, v1, s[6:7] scale_offset
.LBB113_15:
	s_endpgm
.LBB113_16:
	v_add_nc_u32_e32 v10, s2, v10
	s_clause 0x1
	global_load_b32 v4, v10, s[8:9] scale_offset
	global_load_b32 v11, v10, s[10:11] scale_offset
	s_wait_xcnt 0x0
	s_or_b32 exec_lo, exec_lo, s3
	s_and_saveexec_b32 s0, vcc_lo
	s_cbranch_execz .LBB113_11
.LBB113_17:
	s_wait_loadcnt 0x1
	v_mul_f32_e32 v0, s5, v5
	s_wait_loadcnt 0x0
	s_delay_alu instid0(VALU_DEP_1) | instskip(SKIP_3) | instid1(SALU_CYCLE_1)
	v_dual_mul_f32 v5, v6, v0 :: v_dual_mov_b32 v0, v3
	global_store_b32 v2, v5, s[6:7] scale_offset
	s_wait_xcnt 0x0
	s_or_b32 exec_lo, exec_lo, s0
	s_mov_b32 s0, exec_lo
	v_cmpx_gt_i32_e64 s1, v0
	s_cbranch_execz .LBB113_12
.LBB113_18:
	s_wait_loadcnt 0x1
	v_dual_mul_f32 v1, s5, v1 :: v_dual_add_nc_u32 v2, s2, v0
	s_wait_loadcnt 0x0
	s_delay_alu instid0(VALU_DEP_1) | instskip(SKIP_3) | instid1(SALU_CYCLE_1)
	v_dual_mul_f32 v1, v7, v1 :: v_dual_add_nc_u32 v0, 0x100, v0
	global_store_b32 v2, v1, s[6:7] scale_offset
	s_wait_xcnt 0x0
	s_or_b32 exec_lo, exec_lo, s0
	s_mov_b32 s0, exec_lo
	v_cmpx_gt_i32_e64 s1, v0
	s_cbranch_execz .LBB113_13
.LBB113_19:
	s_wait_loadcnt 0x1
	v_mul_f32_e32 v1, s5, v8
	v_add_nc_u32_e32 v2, s2, v0
	s_wait_loadcnt 0x0
	s_delay_alu instid0(VALU_DEP_2) | instskip(SKIP_3) | instid1(SALU_CYCLE_1)
	v_dual_mul_f32 v1, v9, v1 :: v_dual_add_nc_u32 v0, 0x100, v0
	global_store_b32 v2, v1, s[6:7] scale_offset
	s_wait_xcnt 0x0
	s_or_b32 exec_lo, exec_lo, s0
	s_mov_b32 s0, exec_lo
	v_cmpx_gt_i32_e64 s1, v0
	s_cbranch_execnz .LBB113_14
	s_branch .LBB113_15
	.section	.rodata,"a",@progbits
	.p2align	6, 0x0
	.amdhsa_kernel _ZN2at6native29vectorized_elementwise_kernelILi8EZZZNS0_12_GLOBAL__N_116addr_kernel_cudaERNS_14TensorIteratorERKN3c106ScalarES8_ENKUlvE_clEvENKUlvE5_clEvEUlfffE_St5arrayIPcLm4EEEEviT0_T1_
		.amdhsa_group_segment_fixed_size 0
		.amdhsa_private_segment_fixed_size 0
		.amdhsa_kernarg_size 40
		.amdhsa_user_sgpr_count 2
		.amdhsa_user_sgpr_dispatch_ptr 0
		.amdhsa_user_sgpr_queue_ptr 0
		.amdhsa_user_sgpr_kernarg_segment_ptr 1
		.amdhsa_user_sgpr_dispatch_id 0
		.amdhsa_user_sgpr_kernarg_preload_length 0
		.amdhsa_user_sgpr_kernarg_preload_offset 0
		.amdhsa_user_sgpr_private_segment_size 0
		.amdhsa_wavefront_size32 1
		.amdhsa_uses_dynamic_stack 0
		.amdhsa_enable_private_segment 0
		.amdhsa_system_sgpr_workgroup_id_x 1
		.amdhsa_system_sgpr_workgroup_id_y 0
		.amdhsa_system_sgpr_workgroup_id_z 0
		.amdhsa_system_sgpr_workgroup_info 0
		.amdhsa_system_vgpr_workitem_id 0
		.amdhsa_next_free_vgpr 12
		.amdhsa_next_free_sgpr 16
		.amdhsa_named_barrier_count 0
		.amdhsa_reserve_vcc 1
		.amdhsa_float_round_mode_32 0
		.amdhsa_float_round_mode_16_64 0
		.amdhsa_float_denorm_mode_32 3
		.amdhsa_float_denorm_mode_16_64 3
		.amdhsa_fp16_overflow 0
		.amdhsa_memory_ordered 1
		.amdhsa_forward_progress 1
		.amdhsa_inst_pref_size 7
		.amdhsa_round_robin_scheduling 0
		.amdhsa_exception_fp_ieee_invalid_op 0
		.amdhsa_exception_fp_denorm_src 0
		.amdhsa_exception_fp_ieee_div_zero 0
		.amdhsa_exception_fp_ieee_overflow 0
		.amdhsa_exception_fp_ieee_underflow 0
		.amdhsa_exception_fp_ieee_inexact 0
		.amdhsa_exception_int_div_zero 0
	.end_amdhsa_kernel
	.section	.text._ZN2at6native29vectorized_elementwise_kernelILi8EZZZNS0_12_GLOBAL__N_116addr_kernel_cudaERNS_14TensorIteratorERKN3c106ScalarES8_ENKUlvE_clEvENKUlvE5_clEvEUlfffE_St5arrayIPcLm4EEEEviT0_T1_,"axG",@progbits,_ZN2at6native29vectorized_elementwise_kernelILi8EZZZNS0_12_GLOBAL__N_116addr_kernel_cudaERNS_14TensorIteratorERKN3c106ScalarES8_ENKUlvE_clEvENKUlvE5_clEvEUlfffE_St5arrayIPcLm4EEEEviT0_T1_,comdat
.Lfunc_end113:
	.size	_ZN2at6native29vectorized_elementwise_kernelILi8EZZZNS0_12_GLOBAL__N_116addr_kernel_cudaERNS_14TensorIteratorERKN3c106ScalarES8_ENKUlvE_clEvENKUlvE5_clEvEUlfffE_St5arrayIPcLm4EEEEviT0_T1_, .Lfunc_end113-_ZN2at6native29vectorized_elementwise_kernelILi8EZZZNS0_12_GLOBAL__N_116addr_kernel_cudaERNS_14TensorIteratorERKN3c106ScalarES8_ENKUlvE_clEvENKUlvE5_clEvEUlfffE_St5arrayIPcLm4EEEEviT0_T1_
                                        ; -- End function
	.set _ZN2at6native29vectorized_elementwise_kernelILi8EZZZNS0_12_GLOBAL__N_116addr_kernel_cudaERNS_14TensorIteratorERKN3c106ScalarES8_ENKUlvE_clEvENKUlvE5_clEvEUlfffE_St5arrayIPcLm4EEEEviT0_T1_.num_vgpr, 12
	.set _ZN2at6native29vectorized_elementwise_kernelILi8EZZZNS0_12_GLOBAL__N_116addr_kernel_cudaERNS_14TensorIteratorERKN3c106ScalarES8_ENKUlvE_clEvENKUlvE5_clEvEUlfffE_St5arrayIPcLm4EEEEviT0_T1_.num_agpr, 0
	.set _ZN2at6native29vectorized_elementwise_kernelILi8EZZZNS0_12_GLOBAL__N_116addr_kernel_cudaERNS_14TensorIteratorERKN3c106ScalarES8_ENKUlvE_clEvENKUlvE5_clEvEUlfffE_St5arrayIPcLm4EEEEviT0_T1_.numbered_sgpr, 16
	.set _ZN2at6native29vectorized_elementwise_kernelILi8EZZZNS0_12_GLOBAL__N_116addr_kernel_cudaERNS_14TensorIteratorERKN3c106ScalarES8_ENKUlvE_clEvENKUlvE5_clEvEUlfffE_St5arrayIPcLm4EEEEviT0_T1_.num_named_barrier, 0
	.set _ZN2at6native29vectorized_elementwise_kernelILi8EZZZNS0_12_GLOBAL__N_116addr_kernel_cudaERNS_14TensorIteratorERKN3c106ScalarES8_ENKUlvE_clEvENKUlvE5_clEvEUlfffE_St5arrayIPcLm4EEEEviT0_T1_.private_seg_size, 0
	.set _ZN2at6native29vectorized_elementwise_kernelILi8EZZZNS0_12_GLOBAL__N_116addr_kernel_cudaERNS_14TensorIteratorERKN3c106ScalarES8_ENKUlvE_clEvENKUlvE5_clEvEUlfffE_St5arrayIPcLm4EEEEviT0_T1_.uses_vcc, 1
	.set _ZN2at6native29vectorized_elementwise_kernelILi8EZZZNS0_12_GLOBAL__N_116addr_kernel_cudaERNS_14TensorIteratorERKN3c106ScalarES8_ENKUlvE_clEvENKUlvE5_clEvEUlfffE_St5arrayIPcLm4EEEEviT0_T1_.uses_flat_scratch, 0
	.set _ZN2at6native29vectorized_elementwise_kernelILi8EZZZNS0_12_GLOBAL__N_116addr_kernel_cudaERNS_14TensorIteratorERKN3c106ScalarES8_ENKUlvE_clEvENKUlvE5_clEvEUlfffE_St5arrayIPcLm4EEEEviT0_T1_.has_dyn_sized_stack, 0
	.set _ZN2at6native29vectorized_elementwise_kernelILi8EZZZNS0_12_GLOBAL__N_116addr_kernel_cudaERNS_14TensorIteratorERKN3c106ScalarES8_ENKUlvE_clEvENKUlvE5_clEvEUlfffE_St5arrayIPcLm4EEEEviT0_T1_.has_recursion, 0
	.set _ZN2at6native29vectorized_elementwise_kernelILi8EZZZNS0_12_GLOBAL__N_116addr_kernel_cudaERNS_14TensorIteratorERKN3c106ScalarES8_ENKUlvE_clEvENKUlvE5_clEvEUlfffE_St5arrayIPcLm4EEEEviT0_T1_.has_indirect_call, 0
	.section	.AMDGPU.csdata,"",@progbits
; Kernel info:
; codeLenInByte = 852
; TotalNumSgprs: 18
; NumVgprs: 12
; ScratchSize: 0
; MemoryBound: 0
; FloatMode: 240
; IeeeMode: 1
; LDSByteSize: 0 bytes/workgroup (compile time only)
; SGPRBlocks: 0
; VGPRBlocks: 0
; NumSGPRsForWavesPerEU: 18
; NumVGPRsForWavesPerEU: 12
; NamedBarCnt: 0
; Occupancy: 16
; WaveLimiterHint : 0
; COMPUTE_PGM_RSRC2:SCRATCH_EN: 0
; COMPUTE_PGM_RSRC2:USER_SGPR: 2
; COMPUTE_PGM_RSRC2:TRAP_HANDLER: 0
; COMPUTE_PGM_RSRC2:TGID_X_EN: 1
; COMPUTE_PGM_RSRC2:TGID_Y_EN: 0
; COMPUTE_PGM_RSRC2:TGID_Z_EN: 0
; COMPUTE_PGM_RSRC2:TIDIG_COMP_CNT: 0
	.section	.text._ZN2at6native29vectorized_elementwise_kernelILi4EZZZNS0_12_GLOBAL__N_116addr_kernel_cudaERNS_14TensorIteratorERKN3c106ScalarES8_ENKUlvE_clEvENKUlvE5_clEvEUlfffE_St5arrayIPcLm4EEEEviT0_T1_,"axG",@progbits,_ZN2at6native29vectorized_elementwise_kernelILi4EZZZNS0_12_GLOBAL__N_116addr_kernel_cudaERNS_14TensorIteratorERKN3c106ScalarES8_ENKUlvE_clEvENKUlvE5_clEvEUlfffE_St5arrayIPcLm4EEEEviT0_T1_,comdat
	.globl	_ZN2at6native29vectorized_elementwise_kernelILi4EZZZNS0_12_GLOBAL__N_116addr_kernel_cudaERNS_14TensorIteratorERKN3c106ScalarES8_ENKUlvE_clEvENKUlvE5_clEvEUlfffE_St5arrayIPcLm4EEEEviT0_T1_ ; -- Begin function _ZN2at6native29vectorized_elementwise_kernelILi4EZZZNS0_12_GLOBAL__N_116addr_kernel_cudaERNS_14TensorIteratorERKN3c106ScalarES8_ENKUlvE_clEvENKUlvE5_clEvEUlfffE_St5arrayIPcLm4EEEEviT0_T1_
	.p2align	8
	.type	_ZN2at6native29vectorized_elementwise_kernelILi4EZZZNS0_12_GLOBAL__N_116addr_kernel_cudaERNS_14TensorIteratorERKN3c106ScalarES8_ENKUlvE_clEvENKUlvE5_clEvEUlfffE_St5arrayIPcLm4EEEEviT0_T1_,@function
_ZN2at6native29vectorized_elementwise_kernelILi4EZZZNS0_12_GLOBAL__N_116addr_kernel_cudaERNS_14TensorIteratorERKN3c106ScalarES8_ENKUlvE_clEvENKUlvE5_clEvEUlfffE_St5arrayIPcLm4EEEEviT0_T1_: ; @_ZN2at6native29vectorized_elementwise_kernelILi4EZZZNS0_12_GLOBAL__N_116addr_kernel_cudaERNS_14TensorIteratorERKN3c106ScalarES8_ENKUlvE_clEvENKUlvE5_clEvEUlfffE_St5arrayIPcLm4EEEEviT0_T1_
; %bb.0:
	s_clause 0x1
	s_load_b128 s[4:7], s[0:1], 0x0
	s_load_b128 s[8:11], s[0:1], 0x18
	s_wait_xcnt 0x0
	s_bfe_u32 s0, ttmp6, 0x4000c
	s_and_b32 s1, ttmp6, 15
	s_add_co_i32 s0, s0, 1
	s_getreg_b32 s2, hwreg(HW_REG_IB_STS2, 6, 4)
	s_mul_i32 s0, ttmp9, s0
	s_delay_alu instid0(SALU_CYCLE_1) | instskip(SKIP_2) | instid1(SALU_CYCLE_1)
	s_add_co_i32 s1, s1, s0
	s_cmp_eq_u32 s2, 0
	s_cselect_b32 s0, ttmp9, s1
	s_lshl_b32 s2, s0, 10
	s_mov_b32 s0, -1
	s_wait_kmcnt 0x0
	s_sub_co_i32 s1, s4, s2
	s_delay_alu instid0(SALU_CYCLE_1)
	s_cmp_gt_i32 s1, 0x3ff
	s_cbranch_scc0 .LBB114_2
; %bb.1:
	s_ashr_i32 s3, s2, 31
	s_mov_b32 s0, s5
	s_lshl_b64 s[12:13], s[2:3], 2
	s_delay_alu instid0(SALU_CYCLE_1)
	s_add_nc_u64 s[14:15], s[8:9], s[12:13]
	global_load_b128 v[2:5], v0, s[14:15] scale_offset
	s_wait_xcnt 0x0
	s_add_nc_u64 s[14:15], s[10:11], s[12:13]
	s_add_nc_u64 s[12:13], s[6:7], s[12:13]
	global_load_b128 v[6:9], v0, s[14:15] scale_offset
	s_wait_loadcnt 0x1
	v_pk_mul_f32 v[2:3], s[0:1], v[2:3] op_sel_hi:[0,1]
	v_pk_mul_f32 v[4:5], s[0:1], v[4:5] op_sel_hi:[0,1]
	s_mov_b32 s0, 0
	s_wait_loadcnt 0x0
	s_delay_alu instid0(VALU_DEP_2) | instskip(NEXT) | instid1(VALU_DEP_2)
	v_pk_mul_f32 v[2:3], v[2:3], v[6:7]
	v_pk_mul_f32 v[4:5], v[4:5], v[8:9]
	global_store_b128 v0, v[2:5], s[12:13] scale_offset
.LBB114_2:
	s_and_not1_b32 vcc_lo, exec_lo, s0
	s_cbranch_vccnz .LBB114_15
; %bb.3:
	v_cmp_gt_i32_e32 vcc_lo, s1, v0
	s_wait_xcnt 0x0
	v_dual_mov_b32 v1, 0 :: v_dual_bitop2_b32 v2, s2, v0 bitop3:0x54
	v_or_b32_e32 v3, 0x100, v0
	v_dual_mov_b32 v5, 0 :: v_dual_mov_b32 v6, 0
	v_mov_b32_e32 v10, v0
	s_and_saveexec_b32 s0, vcc_lo
	s_cbranch_execz .LBB114_5
; %bb.4:
	s_clause 0x1
	global_load_b32 v5, v2, s[8:9] scale_offset
	global_load_b32 v6, v2, s[10:11] scale_offset
	v_or_b32_e32 v10, 0x100, v0
.LBB114_5:
	s_wait_xcnt 0x0
	s_or_b32 exec_lo, exec_lo, s0
	v_mov_b32_e32 v7, 0
	s_mov_b32 s3, exec_lo
	v_cmpx_gt_i32_e64 s1, v10
	s_cbranch_execz .LBB114_7
; %bb.6:
	v_add_nc_u32_e32 v4, s2, v10
	v_add_nc_u32_e32 v10, 0x100, v10
	s_clause 0x1
	global_load_b32 v1, v4, s[8:9] scale_offset
	global_load_b32 v7, v4, s[10:11] scale_offset
.LBB114_7:
	s_wait_xcnt 0x0
	s_or_b32 exec_lo, exec_lo, s3
	v_dual_mov_b32 v4, 0 :: v_dual_mov_b32 v8, 0
	v_mov_b32_e32 v9, 0
	s_mov_b32 s3, exec_lo
	v_cmpx_gt_i32_e64 s1, v10
	s_cbranch_execz .LBB114_9
; %bb.8:
	v_add_nc_u32_e32 v11, s2, v10
	v_add_nc_u32_e32 v10, 0x100, v10
	s_clause 0x1
	global_load_b32 v8, v11, s[8:9] scale_offset
	global_load_b32 v9, v11, s[10:11] scale_offset
.LBB114_9:
	s_wait_xcnt 0x0
	s_or_b32 exec_lo, exec_lo, s3
	v_mov_b32_e32 v11, 0
	s_mov_b32 s3, exec_lo
	v_cmpx_gt_i32_e64 s1, v10
	s_cbranch_execnz .LBB114_16
; %bb.10:
	s_or_b32 exec_lo, exec_lo, s3
	s_and_saveexec_b32 s0, vcc_lo
	s_cbranch_execnz .LBB114_17
.LBB114_11:
	s_or_b32 exec_lo, exec_lo, s0
	s_delay_alu instid0(SALU_CYCLE_1)
	s_mov_b32 s0, exec_lo
	v_cmpx_gt_i32_e64 s1, v0
	s_cbranch_execnz .LBB114_18
.LBB114_12:
	s_or_b32 exec_lo, exec_lo, s0
	s_delay_alu instid0(SALU_CYCLE_1)
	s_mov_b32 s0, exec_lo
	v_cmpx_gt_i32_e64 s1, v0
	s_cbranch_execnz .LBB114_19
.LBB114_13:
	s_or_b32 exec_lo, exec_lo, s0
	s_delay_alu instid0(SALU_CYCLE_1)
	s_mov_b32 s0, exec_lo
	v_cmpx_gt_i32_e64 s1, v0
	s_cbranch_execz .LBB114_15
.LBB114_14:
	s_wait_loadcnt 0x1
	v_mul_f32_e32 v1, s5, v4
	s_wait_loadcnt 0x0
	s_delay_alu instid0(VALU_DEP_1)
	v_dual_mul_f32 v1, v11, v1 :: v_dual_add_nc_u32 v0, s2, v0
	global_store_b32 v0, v1, s[6:7] scale_offset
.LBB114_15:
	s_endpgm
.LBB114_16:
	v_add_nc_u32_e32 v10, s2, v10
	s_clause 0x1
	global_load_b32 v4, v10, s[8:9] scale_offset
	global_load_b32 v11, v10, s[10:11] scale_offset
	s_wait_xcnt 0x0
	s_or_b32 exec_lo, exec_lo, s3
	s_and_saveexec_b32 s0, vcc_lo
	s_cbranch_execz .LBB114_11
.LBB114_17:
	s_wait_loadcnt 0x1
	v_mul_f32_e32 v0, s5, v5
	s_wait_loadcnt 0x0
	s_delay_alu instid0(VALU_DEP_1) | instskip(SKIP_3) | instid1(SALU_CYCLE_1)
	v_dual_mul_f32 v5, v6, v0 :: v_dual_mov_b32 v0, v3
	global_store_b32 v2, v5, s[6:7] scale_offset
	s_wait_xcnt 0x0
	s_or_b32 exec_lo, exec_lo, s0
	s_mov_b32 s0, exec_lo
	v_cmpx_gt_i32_e64 s1, v0
	s_cbranch_execz .LBB114_12
.LBB114_18:
	s_wait_loadcnt 0x1
	v_dual_mul_f32 v1, s5, v1 :: v_dual_add_nc_u32 v2, s2, v0
	s_wait_loadcnt 0x0
	s_delay_alu instid0(VALU_DEP_1) | instskip(SKIP_3) | instid1(SALU_CYCLE_1)
	v_dual_mul_f32 v1, v7, v1 :: v_dual_add_nc_u32 v0, 0x100, v0
	global_store_b32 v2, v1, s[6:7] scale_offset
	s_wait_xcnt 0x0
	s_or_b32 exec_lo, exec_lo, s0
	s_mov_b32 s0, exec_lo
	v_cmpx_gt_i32_e64 s1, v0
	s_cbranch_execz .LBB114_13
.LBB114_19:
	s_wait_loadcnt 0x1
	v_mul_f32_e32 v1, s5, v8
	v_add_nc_u32_e32 v2, s2, v0
	s_wait_loadcnt 0x0
	s_delay_alu instid0(VALU_DEP_2) | instskip(SKIP_3) | instid1(SALU_CYCLE_1)
	v_dual_mul_f32 v1, v9, v1 :: v_dual_add_nc_u32 v0, 0x100, v0
	global_store_b32 v2, v1, s[6:7] scale_offset
	s_wait_xcnt 0x0
	s_or_b32 exec_lo, exec_lo, s0
	s_mov_b32 s0, exec_lo
	v_cmpx_gt_i32_e64 s1, v0
	s_cbranch_execnz .LBB114_14
	s_branch .LBB114_15
	.section	.rodata,"a",@progbits
	.p2align	6, 0x0
	.amdhsa_kernel _ZN2at6native29vectorized_elementwise_kernelILi4EZZZNS0_12_GLOBAL__N_116addr_kernel_cudaERNS_14TensorIteratorERKN3c106ScalarES8_ENKUlvE_clEvENKUlvE5_clEvEUlfffE_St5arrayIPcLm4EEEEviT0_T1_
		.amdhsa_group_segment_fixed_size 0
		.amdhsa_private_segment_fixed_size 0
		.amdhsa_kernarg_size 40
		.amdhsa_user_sgpr_count 2
		.amdhsa_user_sgpr_dispatch_ptr 0
		.amdhsa_user_sgpr_queue_ptr 0
		.amdhsa_user_sgpr_kernarg_segment_ptr 1
		.amdhsa_user_sgpr_dispatch_id 0
		.amdhsa_user_sgpr_kernarg_preload_length 0
		.amdhsa_user_sgpr_kernarg_preload_offset 0
		.amdhsa_user_sgpr_private_segment_size 0
		.amdhsa_wavefront_size32 1
		.amdhsa_uses_dynamic_stack 0
		.amdhsa_enable_private_segment 0
		.amdhsa_system_sgpr_workgroup_id_x 1
		.amdhsa_system_sgpr_workgroup_id_y 0
		.amdhsa_system_sgpr_workgroup_id_z 0
		.amdhsa_system_sgpr_workgroup_info 0
		.amdhsa_system_vgpr_workitem_id 0
		.amdhsa_next_free_vgpr 12
		.amdhsa_next_free_sgpr 16
		.amdhsa_named_barrier_count 0
		.amdhsa_reserve_vcc 1
		.amdhsa_float_round_mode_32 0
		.amdhsa_float_round_mode_16_64 0
		.amdhsa_float_denorm_mode_32 3
		.amdhsa_float_denorm_mode_16_64 3
		.amdhsa_fp16_overflow 0
		.amdhsa_memory_ordered 1
		.amdhsa_forward_progress 1
		.amdhsa_inst_pref_size 7
		.amdhsa_round_robin_scheduling 0
		.amdhsa_exception_fp_ieee_invalid_op 0
		.amdhsa_exception_fp_denorm_src 0
		.amdhsa_exception_fp_ieee_div_zero 0
		.amdhsa_exception_fp_ieee_overflow 0
		.amdhsa_exception_fp_ieee_underflow 0
		.amdhsa_exception_fp_ieee_inexact 0
		.amdhsa_exception_int_div_zero 0
	.end_amdhsa_kernel
	.section	.text._ZN2at6native29vectorized_elementwise_kernelILi4EZZZNS0_12_GLOBAL__N_116addr_kernel_cudaERNS_14TensorIteratorERKN3c106ScalarES8_ENKUlvE_clEvENKUlvE5_clEvEUlfffE_St5arrayIPcLm4EEEEviT0_T1_,"axG",@progbits,_ZN2at6native29vectorized_elementwise_kernelILi4EZZZNS0_12_GLOBAL__N_116addr_kernel_cudaERNS_14TensorIteratorERKN3c106ScalarES8_ENKUlvE_clEvENKUlvE5_clEvEUlfffE_St5arrayIPcLm4EEEEviT0_T1_,comdat
.Lfunc_end114:
	.size	_ZN2at6native29vectorized_elementwise_kernelILi4EZZZNS0_12_GLOBAL__N_116addr_kernel_cudaERNS_14TensorIteratorERKN3c106ScalarES8_ENKUlvE_clEvENKUlvE5_clEvEUlfffE_St5arrayIPcLm4EEEEviT0_T1_, .Lfunc_end114-_ZN2at6native29vectorized_elementwise_kernelILi4EZZZNS0_12_GLOBAL__N_116addr_kernel_cudaERNS_14TensorIteratorERKN3c106ScalarES8_ENKUlvE_clEvENKUlvE5_clEvEUlfffE_St5arrayIPcLm4EEEEviT0_T1_
                                        ; -- End function
	.set _ZN2at6native29vectorized_elementwise_kernelILi4EZZZNS0_12_GLOBAL__N_116addr_kernel_cudaERNS_14TensorIteratorERKN3c106ScalarES8_ENKUlvE_clEvENKUlvE5_clEvEUlfffE_St5arrayIPcLm4EEEEviT0_T1_.num_vgpr, 12
	.set _ZN2at6native29vectorized_elementwise_kernelILi4EZZZNS0_12_GLOBAL__N_116addr_kernel_cudaERNS_14TensorIteratorERKN3c106ScalarES8_ENKUlvE_clEvENKUlvE5_clEvEUlfffE_St5arrayIPcLm4EEEEviT0_T1_.num_agpr, 0
	.set _ZN2at6native29vectorized_elementwise_kernelILi4EZZZNS0_12_GLOBAL__N_116addr_kernel_cudaERNS_14TensorIteratorERKN3c106ScalarES8_ENKUlvE_clEvENKUlvE5_clEvEUlfffE_St5arrayIPcLm4EEEEviT0_T1_.numbered_sgpr, 16
	.set _ZN2at6native29vectorized_elementwise_kernelILi4EZZZNS0_12_GLOBAL__N_116addr_kernel_cudaERNS_14TensorIteratorERKN3c106ScalarES8_ENKUlvE_clEvENKUlvE5_clEvEUlfffE_St5arrayIPcLm4EEEEviT0_T1_.num_named_barrier, 0
	.set _ZN2at6native29vectorized_elementwise_kernelILi4EZZZNS0_12_GLOBAL__N_116addr_kernel_cudaERNS_14TensorIteratorERKN3c106ScalarES8_ENKUlvE_clEvENKUlvE5_clEvEUlfffE_St5arrayIPcLm4EEEEviT0_T1_.private_seg_size, 0
	.set _ZN2at6native29vectorized_elementwise_kernelILi4EZZZNS0_12_GLOBAL__N_116addr_kernel_cudaERNS_14TensorIteratorERKN3c106ScalarES8_ENKUlvE_clEvENKUlvE5_clEvEUlfffE_St5arrayIPcLm4EEEEviT0_T1_.uses_vcc, 1
	.set _ZN2at6native29vectorized_elementwise_kernelILi4EZZZNS0_12_GLOBAL__N_116addr_kernel_cudaERNS_14TensorIteratorERKN3c106ScalarES8_ENKUlvE_clEvENKUlvE5_clEvEUlfffE_St5arrayIPcLm4EEEEviT0_T1_.uses_flat_scratch, 0
	.set _ZN2at6native29vectorized_elementwise_kernelILi4EZZZNS0_12_GLOBAL__N_116addr_kernel_cudaERNS_14TensorIteratorERKN3c106ScalarES8_ENKUlvE_clEvENKUlvE5_clEvEUlfffE_St5arrayIPcLm4EEEEviT0_T1_.has_dyn_sized_stack, 0
	.set _ZN2at6native29vectorized_elementwise_kernelILi4EZZZNS0_12_GLOBAL__N_116addr_kernel_cudaERNS_14TensorIteratorERKN3c106ScalarES8_ENKUlvE_clEvENKUlvE5_clEvEUlfffE_St5arrayIPcLm4EEEEviT0_T1_.has_recursion, 0
	.set _ZN2at6native29vectorized_elementwise_kernelILi4EZZZNS0_12_GLOBAL__N_116addr_kernel_cudaERNS_14TensorIteratorERKN3c106ScalarES8_ENKUlvE_clEvENKUlvE5_clEvEUlfffE_St5arrayIPcLm4EEEEviT0_T1_.has_indirect_call, 0
	.section	.AMDGPU.csdata,"",@progbits
; Kernel info:
; codeLenInByte = 852
; TotalNumSgprs: 18
; NumVgprs: 12
; ScratchSize: 0
; MemoryBound: 0
; FloatMode: 240
; IeeeMode: 1
; LDSByteSize: 0 bytes/workgroup (compile time only)
; SGPRBlocks: 0
; VGPRBlocks: 0
; NumSGPRsForWavesPerEU: 18
; NumVGPRsForWavesPerEU: 12
; NamedBarCnt: 0
; Occupancy: 16
; WaveLimiterHint : 0
; COMPUTE_PGM_RSRC2:SCRATCH_EN: 0
; COMPUTE_PGM_RSRC2:USER_SGPR: 2
; COMPUTE_PGM_RSRC2:TRAP_HANDLER: 0
; COMPUTE_PGM_RSRC2:TGID_X_EN: 1
; COMPUTE_PGM_RSRC2:TGID_Y_EN: 0
; COMPUTE_PGM_RSRC2:TGID_Z_EN: 0
; COMPUTE_PGM_RSRC2:TIDIG_COMP_CNT: 0
	.section	.text._ZN2at6native29vectorized_elementwise_kernelILi2EZZZNS0_12_GLOBAL__N_116addr_kernel_cudaERNS_14TensorIteratorERKN3c106ScalarES8_ENKUlvE_clEvENKUlvE5_clEvEUlfffE_St5arrayIPcLm4EEEEviT0_T1_,"axG",@progbits,_ZN2at6native29vectorized_elementwise_kernelILi2EZZZNS0_12_GLOBAL__N_116addr_kernel_cudaERNS_14TensorIteratorERKN3c106ScalarES8_ENKUlvE_clEvENKUlvE5_clEvEUlfffE_St5arrayIPcLm4EEEEviT0_T1_,comdat
	.globl	_ZN2at6native29vectorized_elementwise_kernelILi2EZZZNS0_12_GLOBAL__N_116addr_kernel_cudaERNS_14TensorIteratorERKN3c106ScalarES8_ENKUlvE_clEvENKUlvE5_clEvEUlfffE_St5arrayIPcLm4EEEEviT0_T1_ ; -- Begin function _ZN2at6native29vectorized_elementwise_kernelILi2EZZZNS0_12_GLOBAL__N_116addr_kernel_cudaERNS_14TensorIteratorERKN3c106ScalarES8_ENKUlvE_clEvENKUlvE5_clEvEUlfffE_St5arrayIPcLm4EEEEviT0_T1_
	.p2align	8
	.type	_ZN2at6native29vectorized_elementwise_kernelILi2EZZZNS0_12_GLOBAL__N_116addr_kernel_cudaERNS_14TensorIteratorERKN3c106ScalarES8_ENKUlvE_clEvENKUlvE5_clEvEUlfffE_St5arrayIPcLm4EEEEviT0_T1_,@function
_ZN2at6native29vectorized_elementwise_kernelILi2EZZZNS0_12_GLOBAL__N_116addr_kernel_cudaERNS_14TensorIteratorERKN3c106ScalarES8_ENKUlvE_clEvENKUlvE5_clEvEUlfffE_St5arrayIPcLm4EEEEviT0_T1_: ; @_ZN2at6native29vectorized_elementwise_kernelILi2EZZZNS0_12_GLOBAL__N_116addr_kernel_cudaERNS_14TensorIteratorERKN3c106ScalarES8_ENKUlvE_clEvENKUlvE5_clEvEUlfffE_St5arrayIPcLm4EEEEviT0_T1_
; %bb.0:
	s_clause 0x1
	s_load_b128 s[4:7], s[0:1], 0x0
	s_load_b128 s[8:11], s[0:1], 0x18
	s_wait_xcnt 0x0
	s_bfe_u32 s0, ttmp6, 0x4000c
	s_and_b32 s1, ttmp6, 15
	s_add_co_i32 s0, s0, 1
	s_getreg_b32 s2, hwreg(HW_REG_IB_STS2, 6, 4)
	s_mul_i32 s0, ttmp9, s0
	s_delay_alu instid0(SALU_CYCLE_1) | instskip(SKIP_2) | instid1(SALU_CYCLE_1)
	s_add_co_i32 s1, s1, s0
	s_cmp_eq_u32 s2, 0
	s_cselect_b32 s0, ttmp9, s1
	s_lshl_b32 s2, s0, 10
	s_mov_b32 s0, -1
	s_wait_kmcnt 0x0
	s_sub_co_i32 s1, s4, s2
	s_delay_alu instid0(SALU_CYCLE_1)
	s_cmp_gt_i32 s1, 0x3ff
	s_cbranch_scc0 .LBB115_2
; %bb.1:
	s_ashr_i32 s3, s2, 31
	s_mov_b32 s0, s5
	s_lshl_b64 s[12:13], s[2:3], 2
	s_delay_alu instid0(SALU_CYCLE_1)
	s_add_nc_u64 s[14:15], s[8:9], s[12:13]
	s_add_nc_u64 s[16:17], s[10:11], s[12:13]
	s_clause 0x3
	global_load_b64 v[2:3], v0, s[14:15] scale_offset
	global_load_b64 v[4:5], v0, s[16:17] offset:2048 scale_offset
	global_load_b64 v[6:7], v0, s[14:15] offset:2048 scale_offset
	global_load_b64 v[8:9], v0, s[16:17] scale_offset
	s_add_nc_u64 s[12:13], s[6:7], s[12:13]
	s_wait_loadcnt 0x3
	v_pk_mul_f32 v[2:3], s[0:1], v[2:3] op_sel_hi:[0,1]
	s_wait_loadcnt 0x1
	v_pk_mul_f32 v[6:7], s[0:1], v[6:7] op_sel_hi:[0,1]
	s_mov_b32 s0, 0
	s_wait_loadcnt 0x0
	v_pk_mul_f32 v[2:3], v[2:3], v[8:9]
	s_delay_alu instid0(VALU_DEP_2)
	v_pk_mul_f32 v[4:5], v[6:7], v[4:5]
	s_clause 0x1
	global_store_b64 v0, v[2:3], s[12:13] scale_offset
	global_store_b64 v0, v[4:5], s[12:13] offset:2048 scale_offset
.LBB115_2:
	s_and_not1_b32 vcc_lo, exec_lo, s0
	s_cbranch_vccnz .LBB115_15
; %bb.3:
	v_cmp_gt_i32_e32 vcc_lo, s1, v0
	s_wait_xcnt 0x1
	v_dual_mov_b32 v1, 0 :: v_dual_bitop2_b32 v2, s2, v0 bitop3:0x54
	v_or_b32_e32 v3, 0x100, v0
	s_wait_xcnt 0x0
	v_dual_mov_b32 v5, 0 :: v_dual_mov_b32 v6, 0
	v_mov_b32_e32 v10, v0
	s_and_saveexec_b32 s0, vcc_lo
	s_cbranch_execz .LBB115_5
; %bb.4:
	s_clause 0x1
	global_load_b32 v5, v2, s[8:9] scale_offset
	global_load_b32 v6, v2, s[10:11] scale_offset
	v_or_b32_e32 v10, 0x100, v0
.LBB115_5:
	s_wait_xcnt 0x0
	s_or_b32 exec_lo, exec_lo, s0
	v_mov_b32_e32 v7, 0
	s_mov_b32 s3, exec_lo
	v_cmpx_gt_i32_e64 s1, v10
	s_cbranch_execz .LBB115_7
; %bb.6:
	v_add_nc_u32_e32 v4, s2, v10
	v_add_nc_u32_e32 v10, 0x100, v10
	s_clause 0x1
	global_load_b32 v1, v4, s[8:9] scale_offset
	global_load_b32 v7, v4, s[10:11] scale_offset
.LBB115_7:
	s_wait_xcnt 0x0
	s_or_b32 exec_lo, exec_lo, s3
	v_dual_mov_b32 v4, 0 :: v_dual_mov_b32 v8, 0
	v_mov_b32_e32 v9, 0
	s_mov_b32 s3, exec_lo
	v_cmpx_gt_i32_e64 s1, v10
	s_cbranch_execz .LBB115_9
; %bb.8:
	v_add_nc_u32_e32 v11, s2, v10
	v_add_nc_u32_e32 v10, 0x100, v10
	s_clause 0x1
	global_load_b32 v8, v11, s[8:9] scale_offset
	global_load_b32 v9, v11, s[10:11] scale_offset
.LBB115_9:
	s_wait_xcnt 0x0
	s_or_b32 exec_lo, exec_lo, s3
	v_mov_b32_e32 v11, 0
	s_mov_b32 s3, exec_lo
	v_cmpx_gt_i32_e64 s1, v10
	s_cbranch_execnz .LBB115_16
; %bb.10:
	s_or_b32 exec_lo, exec_lo, s3
	s_and_saveexec_b32 s0, vcc_lo
	s_cbranch_execnz .LBB115_17
.LBB115_11:
	s_or_b32 exec_lo, exec_lo, s0
	s_delay_alu instid0(SALU_CYCLE_1)
	s_mov_b32 s0, exec_lo
	v_cmpx_gt_i32_e64 s1, v0
	s_cbranch_execnz .LBB115_18
.LBB115_12:
	s_or_b32 exec_lo, exec_lo, s0
	s_delay_alu instid0(SALU_CYCLE_1)
	s_mov_b32 s0, exec_lo
	v_cmpx_gt_i32_e64 s1, v0
	s_cbranch_execnz .LBB115_19
.LBB115_13:
	s_or_b32 exec_lo, exec_lo, s0
	s_delay_alu instid0(SALU_CYCLE_1)
	s_mov_b32 s0, exec_lo
	v_cmpx_gt_i32_e64 s1, v0
	s_cbranch_execz .LBB115_15
.LBB115_14:
	s_wait_loadcnt 0x1
	v_mul_f32_e32 v1, s5, v4
	s_wait_loadcnt 0x0
	s_delay_alu instid0(VALU_DEP_1)
	v_dual_mul_f32 v1, v11, v1 :: v_dual_add_nc_u32 v0, s2, v0
	global_store_b32 v0, v1, s[6:7] scale_offset
.LBB115_15:
	s_endpgm
.LBB115_16:
	v_add_nc_u32_e32 v10, s2, v10
	s_clause 0x1
	global_load_b32 v4, v10, s[8:9] scale_offset
	global_load_b32 v11, v10, s[10:11] scale_offset
	s_wait_xcnt 0x0
	s_or_b32 exec_lo, exec_lo, s3
	s_and_saveexec_b32 s0, vcc_lo
	s_cbranch_execz .LBB115_11
.LBB115_17:
	s_wait_loadcnt 0x1
	v_mul_f32_e32 v0, s5, v5
	s_wait_loadcnt 0x0
	s_delay_alu instid0(VALU_DEP_1) | instskip(SKIP_3) | instid1(SALU_CYCLE_1)
	v_dual_mul_f32 v5, v6, v0 :: v_dual_mov_b32 v0, v3
	global_store_b32 v2, v5, s[6:7] scale_offset
	s_wait_xcnt 0x0
	s_or_b32 exec_lo, exec_lo, s0
	s_mov_b32 s0, exec_lo
	v_cmpx_gt_i32_e64 s1, v0
	s_cbranch_execz .LBB115_12
.LBB115_18:
	s_wait_loadcnt 0x1
	v_dual_mul_f32 v1, s5, v1 :: v_dual_add_nc_u32 v2, s2, v0
	s_wait_loadcnt 0x0
	s_delay_alu instid0(VALU_DEP_1) | instskip(SKIP_3) | instid1(SALU_CYCLE_1)
	v_dual_mul_f32 v1, v7, v1 :: v_dual_add_nc_u32 v0, 0x100, v0
	global_store_b32 v2, v1, s[6:7] scale_offset
	s_wait_xcnt 0x0
	s_or_b32 exec_lo, exec_lo, s0
	s_mov_b32 s0, exec_lo
	v_cmpx_gt_i32_e64 s1, v0
	s_cbranch_execz .LBB115_13
.LBB115_19:
	s_wait_loadcnt 0x1
	v_mul_f32_e32 v1, s5, v8
	v_add_nc_u32_e32 v2, s2, v0
	s_wait_loadcnt 0x0
	s_delay_alu instid0(VALU_DEP_2) | instskip(SKIP_3) | instid1(SALU_CYCLE_1)
	v_dual_mul_f32 v1, v9, v1 :: v_dual_add_nc_u32 v0, 0x100, v0
	global_store_b32 v2, v1, s[6:7] scale_offset
	s_wait_xcnt 0x0
	s_or_b32 exec_lo, exec_lo, s0
	s_mov_b32 s0, exec_lo
	v_cmpx_gt_i32_e64 s1, v0
	s_cbranch_execnz .LBB115_14
	s_branch .LBB115_15
	.section	.rodata,"a",@progbits
	.p2align	6, 0x0
	.amdhsa_kernel _ZN2at6native29vectorized_elementwise_kernelILi2EZZZNS0_12_GLOBAL__N_116addr_kernel_cudaERNS_14TensorIteratorERKN3c106ScalarES8_ENKUlvE_clEvENKUlvE5_clEvEUlfffE_St5arrayIPcLm4EEEEviT0_T1_
		.amdhsa_group_segment_fixed_size 0
		.amdhsa_private_segment_fixed_size 0
		.amdhsa_kernarg_size 40
		.amdhsa_user_sgpr_count 2
		.amdhsa_user_sgpr_dispatch_ptr 0
		.amdhsa_user_sgpr_queue_ptr 0
		.amdhsa_user_sgpr_kernarg_segment_ptr 1
		.amdhsa_user_sgpr_dispatch_id 0
		.amdhsa_user_sgpr_kernarg_preload_length 0
		.amdhsa_user_sgpr_kernarg_preload_offset 0
		.amdhsa_user_sgpr_private_segment_size 0
		.amdhsa_wavefront_size32 1
		.amdhsa_uses_dynamic_stack 0
		.amdhsa_enable_private_segment 0
		.amdhsa_system_sgpr_workgroup_id_x 1
		.amdhsa_system_sgpr_workgroup_id_y 0
		.amdhsa_system_sgpr_workgroup_id_z 0
		.amdhsa_system_sgpr_workgroup_info 0
		.amdhsa_system_vgpr_workitem_id 0
		.amdhsa_next_free_vgpr 12
		.amdhsa_next_free_sgpr 18
		.amdhsa_named_barrier_count 0
		.amdhsa_reserve_vcc 1
		.amdhsa_float_round_mode_32 0
		.amdhsa_float_round_mode_16_64 0
		.amdhsa_float_denorm_mode_32 3
		.amdhsa_float_denorm_mode_16_64 3
		.amdhsa_fp16_overflow 0
		.amdhsa_memory_ordered 1
		.amdhsa_forward_progress 1
		.amdhsa_inst_pref_size 8
		.amdhsa_round_robin_scheduling 0
		.amdhsa_exception_fp_ieee_invalid_op 0
		.amdhsa_exception_fp_denorm_src 0
		.amdhsa_exception_fp_ieee_div_zero 0
		.amdhsa_exception_fp_ieee_overflow 0
		.amdhsa_exception_fp_ieee_underflow 0
		.amdhsa_exception_fp_ieee_inexact 0
		.amdhsa_exception_int_div_zero 0
	.end_amdhsa_kernel
	.section	.text._ZN2at6native29vectorized_elementwise_kernelILi2EZZZNS0_12_GLOBAL__N_116addr_kernel_cudaERNS_14TensorIteratorERKN3c106ScalarES8_ENKUlvE_clEvENKUlvE5_clEvEUlfffE_St5arrayIPcLm4EEEEviT0_T1_,"axG",@progbits,_ZN2at6native29vectorized_elementwise_kernelILi2EZZZNS0_12_GLOBAL__N_116addr_kernel_cudaERNS_14TensorIteratorERKN3c106ScalarES8_ENKUlvE_clEvENKUlvE5_clEvEUlfffE_St5arrayIPcLm4EEEEviT0_T1_,comdat
.Lfunc_end115:
	.size	_ZN2at6native29vectorized_elementwise_kernelILi2EZZZNS0_12_GLOBAL__N_116addr_kernel_cudaERNS_14TensorIteratorERKN3c106ScalarES8_ENKUlvE_clEvENKUlvE5_clEvEUlfffE_St5arrayIPcLm4EEEEviT0_T1_, .Lfunc_end115-_ZN2at6native29vectorized_elementwise_kernelILi2EZZZNS0_12_GLOBAL__N_116addr_kernel_cudaERNS_14TensorIteratorERKN3c106ScalarES8_ENKUlvE_clEvENKUlvE5_clEvEUlfffE_St5arrayIPcLm4EEEEviT0_T1_
                                        ; -- End function
	.set _ZN2at6native29vectorized_elementwise_kernelILi2EZZZNS0_12_GLOBAL__N_116addr_kernel_cudaERNS_14TensorIteratorERKN3c106ScalarES8_ENKUlvE_clEvENKUlvE5_clEvEUlfffE_St5arrayIPcLm4EEEEviT0_T1_.num_vgpr, 12
	.set _ZN2at6native29vectorized_elementwise_kernelILi2EZZZNS0_12_GLOBAL__N_116addr_kernel_cudaERNS_14TensorIteratorERKN3c106ScalarES8_ENKUlvE_clEvENKUlvE5_clEvEUlfffE_St5arrayIPcLm4EEEEviT0_T1_.num_agpr, 0
	.set _ZN2at6native29vectorized_elementwise_kernelILi2EZZZNS0_12_GLOBAL__N_116addr_kernel_cudaERNS_14TensorIteratorERKN3c106ScalarES8_ENKUlvE_clEvENKUlvE5_clEvEUlfffE_St5arrayIPcLm4EEEEviT0_T1_.numbered_sgpr, 18
	.set _ZN2at6native29vectorized_elementwise_kernelILi2EZZZNS0_12_GLOBAL__N_116addr_kernel_cudaERNS_14TensorIteratorERKN3c106ScalarES8_ENKUlvE_clEvENKUlvE5_clEvEUlfffE_St5arrayIPcLm4EEEEviT0_T1_.num_named_barrier, 0
	.set _ZN2at6native29vectorized_elementwise_kernelILi2EZZZNS0_12_GLOBAL__N_116addr_kernel_cudaERNS_14TensorIteratorERKN3c106ScalarES8_ENKUlvE_clEvENKUlvE5_clEvEUlfffE_St5arrayIPcLm4EEEEviT0_T1_.private_seg_size, 0
	.set _ZN2at6native29vectorized_elementwise_kernelILi2EZZZNS0_12_GLOBAL__N_116addr_kernel_cudaERNS_14TensorIteratorERKN3c106ScalarES8_ENKUlvE_clEvENKUlvE5_clEvEUlfffE_St5arrayIPcLm4EEEEviT0_T1_.uses_vcc, 1
	.set _ZN2at6native29vectorized_elementwise_kernelILi2EZZZNS0_12_GLOBAL__N_116addr_kernel_cudaERNS_14TensorIteratorERKN3c106ScalarES8_ENKUlvE_clEvENKUlvE5_clEvEUlfffE_St5arrayIPcLm4EEEEviT0_T1_.uses_flat_scratch, 0
	.set _ZN2at6native29vectorized_elementwise_kernelILi2EZZZNS0_12_GLOBAL__N_116addr_kernel_cudaERNS_14TensorIteratorERKN3c106ScalarES8_ENKUlvE_clEvENKUlvE5_clEvEUlfffE_St5arrayIPcLm4EEEEviT0_T1_.has_dyn_sized_stack, 0
	.set _ZN2at6native29vectorized_elementwise_kernelILi2EZZZNS0_12_GLOBAL__N_116addr_kernel_cudaERNS_14TensorIteratorERKN3c106ScalarES8_ENKUlvE_clEvENKUlvE5_clEvEUlfffE_St5arrayIPcLm4EEEEviT0_T1_.has_recursion, 0
	.set _ZN2at6native29vectorized_elementwise_kernelILi2EZZZNS0_12_GLOBAL__N_116addr_kernel_cudaERNS_14TensorIteratorERKN3c106ScalarES8_ENKUlvE_clEvENKUlvE5_clEvEUlfffE_St5arrayIPcLm4EEEEviT0_T1_.has_indirect_call, 0
	.section	.AMDGPU.csdata,"",@progbits
; Kernel info:
; codeLenInByte = 900
; TotalNumSgprs: 20
; NumVgprs: 12
; ScratchSize: 0
; MemoryBound: 0
; FloatMode: 240
; IeeeMode: 1
; LDSByteSize: 0 bytes/workgroup (compile time only)
; SGPRBlocks: 0
; VGPRBlocks: 0
; NumSGPRsForWavesPerEU: 20
; NumVGPRsForWavesPerEU: 12
; NamedBarCnt: 0
; Occupancy: 16
; WaveLimiterHint : 1
; COMPUTE_PGM_RSRC2:SCRATCH_EN: 0
; COMPUTE_PGM_RSRC2:USER_SGPR: 2
; COMPUTE_PGM_RSRC2:TRAP_HANDLER: 0
; COMPUTE_PGM_RSRC2:TGID_X_EN: 1
; COMPUTE_PGM_RSRC2:TGID_Y_EN: 0
; COMPUTE_PGM_RSRC2:TGID_Z_EN: 0
; COMPUTE_PGM_RSRC2:TIDIG_COMP_CNT: 0
	.section	.text._ZN2at6native27unrolled_elementwise_kernelIZZZNS0_12_GLOBAL__N_116addr_kernel_cudaERNS_14TensorIteratorERKN3c106ScalarES8_ENKUlvE_clEvENKUlvE5_clEvEUlfffE_St5arrayIPcLm4EELi4E23TrivialOffsetCalculatorILi3EjESF_ILi1EjENS0_6memory15LoadWithoutCastENSI_16StoreWithoutCastEEEviT_T0_T2_T3_T4_T5_,"axG",@progbits,_ZN2at6native27unrolled_elementwise_kernelIZZZNS0_12_GLOBAL__N_116addr_kernel_cudaERNS_14TensorIteratorERKN3c106ScalarES8_ENKUlvE_clEvENKUlvE5_clEvEUlfffE_St5arrayIPcLm4EELi4E23TrivialOffsetCalculatorILi3EjESF_ILi1EjENS0_6memory15LoadWithoutCastENSI_16StoreWithoutCastEEEviT_T0_T2_T3_T4_T5_,comdat
	.globl	_ZN2at6native27unrolled_elementwise_kernelIZZZNS0_12_GLOBAL__N_116addr_kernel_cudaERNS_14TensorIteratorERKN3c106ScalarES8_ENKUlvE_clEvENKUlvE5_clEvEUlfffE_St5arrayIPcLm4EELi4E23TrivialOffsetCalculatorILi3EjESF_ILi1EjENS0_6memory15LoadWithoutCastENSI_16StoreWithoutCastEEEviT_T0_T2_T3_T4_T5_ ; -- Begin function _ZN2at6native27unrolled_elementwise_kernelIZZZNS0_12_GLOBAL__N_116addr_kernel_cudaERNS_14TensorIteratorERKN3c106ScalarES8_ENKUlvE_clEvENKUlvE5_clEvEUlfffE_St5arrayIPcLm4EELi4E23TrivialOffsetCalculatorILi3EjESF_ILi1EjENS0_6memory15LoadWithoutCastENSI_16StoreWithoutCastEEEviT_T0_T2_T3_T4_T5_
	.p2align	8
	.type	_ZN2at6native27unrolled_elementwise_kernelIZZZNS0_12_GLOBAL__N_116addr_kernel_cudaERNS_14TensorIteratorERKN3c106ScalarES8_ENKUlvE_clEvENKUlvE5_clEvEUlfffE_St5arrayIPcLm4EELi4E23TrivialOffsetCalculatorILi3EjESF_ILi1EjENS0_6memory15LoadWithoutCastENSI_16StoreWithoutCastEEEviT_T0_T2_T3_T4_T5_,@function
_ZN2at6native27unrolled_elementwise_kernelIZZZNS0_12_GLOBAL__N_116addr_kernel_cudaERNS_14TensorIteratorERKN3c106ScalarES8_ENKUlvE_clEvENKUlvE5_clEvEUlfffE_St5arrayIPcLm4EELi4E23TrivialOffsetCalculatorILi3EjESF_ILi1EjENS0_6memory15LoadWithoutCastENSI_16StoreWithoutCastEEEviT_T0_T2_T3_T4_T5_: ; @_ZN2at6native27unrolled_elementwise_kernelIZZZNS0_12_GLOBAL__N_116addr_kernel_cudaERNS_14TensorIteratorERKN3c106ScalarES8_ENKUlvE_clEvENKUlvE5_clEvEUlfffE_St5arrayIPcLm4EELi4E23TrivialOffsetCalculatorILi3EjESF_ILi1EjENS0_6memory15LoadWithoutCastENSI_16StoreWithoutCastEEEviT_T0_T2_T3_T4_T5_
; %bb.0:
	s_clause 0x1
	s_load_b64 s[2:3], s[0:1], 0x0
	s_load_b128 s[4:7], s[0:1], 0x18
	s_bfe_u32 s9, ttmp6, 0x4000c
	s_and_b32 s8, ttmp6, 15
	s_add_co_i32 s9, s9, 1
	s_getreg_b32 s10, hwreg(HW_REG_IB_STS2, 6, 4)
	s_mul_i32 s9, ttmp9, s9
	v_dual_mov_b32 v1, 0 :: v_dual_mov_b32 v5, 0
	s_add_co_i32 s8, s8, s9
	s_cmp_eq_u32 s10, 0
	v_or_b32_e32 v2, 0x100, v0
	s_cselect_b32 s8, ttmp9, s8
	v_mov_b32_e32 v11, v0
	s_lshl_b32 s10, s8, 10
	s_delay_alu instid0(SALU_CYCLE_1) | instskip(SKIP_2) | instid1(SALU_CYCLE_1)
	v_dual_mov_b32 v6, 0 :: v_dual_bitop2_b32 v4, s10, v0 bitop3:0x54
	s_wait_kmcnt 0x0
	s_sub_co_i32 s11, s2, s10
	v_cmp_gt_i32_e32 vcc_lo, s11, v0
	s_and_saveexec_b32 s2, vcc_lo
	s_cbranch_execz .LBB116_2
; %bb.1:
	s_clause 0x1
	global_load_b32 v5, v4, s[4:5] scale_offset
	global_load_b32 v6, v4, s[6:7] scale_offset
	v_or_b32_e32 v11, 0x100, v0
.LBB116_2:
	s_wait_xcnt 0x0
	s_or_b32 exec_lo, exec_lo, s2
	v_mov_b32_e32 v7, 0
	s_mov_b32 s8, exec_lo
	v_cmpx_gt_i32_e64 s11, v11
	s_cbranch_execz .LBB116_4
; %bb.3:
	v_add_nc_u32_e32 v3, s10, v11
	v_add_nc_u32_e32 v11, 0x100, v11
	s_clause 0x1
	global_load_b32 v1, v3, s[4:5] scale_offset
	global_load_b32 v7, v3, s[6:7] scale_offset
.LBB116_4:
	s_wait_xcnt 0x0
	s_or_b32 exec_lo, exec_lo, s8
	v_dual_mov_b32 v3, 0 :: v_dual_mov_b32 v9, 0
	v_mov_b32_e32 v8, 0
	s_mov_b32 s8, exec_lo
	v_cmpx_gt_i32_e64 s11, v11
	s_cbranch_execz .LBB116_6
; %bb.5:
	v_add_nc_u32_e32 v10, s10, v11
	v_add_nc_u32_e32 v11, 0x100, v11
	s_clause 0x1
	global_load_b32 v9, v10, s[4:5] scale_offset
	global_load_b32 v8, v10, s[6:7] scale_offset
.LBB116_6:
	s_wait_xcnt 0x0
	s_or_b32 exec_lo, exec_lo, s8
	s_load_b64 s[8:9], s[0:1], 0x8
	v_mov_b32_e32 v10, 0
	s_wait_xcnt 0x0
	s_mov_b32 s1, exec_lo
	v_cmpx_gt_i32_e64 s11, v11
	s_cbranch_execnz .LBB116_12
; %bb.7:
	s_or_b32 exec_lo, exec_lo, s1
	s_and_saveexec_b32 s0, vcc_lo
	s_cbranch_execnz .LBB116_13
.LBB116_8:
	s_or_b32 exec_lo, exec_lo, s0
	s_delay_alu instid0(SALU_CYCLE_1)
	s_mov_b32 s0, exec_lo
	v_cmpx_gt_i32_e64 s11, v0
	s_cbranch_execnz .LBB116_14
.LBB116_9:
	s_or_b32 exec_lo, exec_lo, s0
	s_delay_alu instid0(SALU_CYCLE_1)
	s_mov_b32 s0, exec_lo
	v_cmpx_gt_i32_e64 s11, v0
	s_cbranch_execnz .LBB116_15
.LBB116_10:
	s_or_b32 exec_lo, exec_lo, s0
	s_delay_alu instid0(SALU_CYCLE_1)
	s_mov_b32 s0, exec_lo
	v_cmpx_gt_i32_e64 s11, v0
	s_cbranch_execnz .LBB116_16
.LBB116_11:
	s_endpgm
.LBB116_12:
	v_add_nc_u32_e32 v11, s10, v11
	s_clause 0x1
	global_load_b32 v3, v11, s[4:5] scale_offset
	global_load_b32 v10, v11, s[6:7] scale_offset
	s_wait_xcnt 0x0
	s_or_b32 exec_lo, exec_lo, s1
	s_and_saveexec_b32 s0, vcc_lo
	s_cbranch_execz .LBB116_8
.LBB116_13:
	s_wait_loadcnt 0x1
	v_mul_f32_e32 v0, s3, v5
	s_wait_loadcnt 0x0
	s_delay_alu instid0(VALU_DEP_1)
	v_mul_f32_e32 v5, v6, v0
	v_mov_b32_e32 v0, v2
	s_wait_kmcnt 0x0
	global_store_b32 v4, v5, s[8:9] scale_offset
	s_wait_xcnt 0x0
	s_or_b32 exec_lo, exec_lo, s0
	s_delay_alu instid0(SALU_CYCLE_1)
	s_mov_b32 s0, exec_lo
	v_cmpx_gt_i32_e64 s11, v0
	s_cbranch_execz .LBB116_9
.LBB116_14:
	s_wait_loadcnt 0x1
	v_dual_mul_f32 v1, s3, v1 :: v_dual_add_nc_u32 v2, 0x100, v0
	s_wait_loadcnt 0x0
	s_delay_alu instid0(VALU_DEP_1) | instskip(NEXT) | instid1(VALU_DEP_2)
	v_dual_mul_f32 v1, v7, v1 :: v_dual_add_nc_u32 v4, s10, v0
	v_mov_b32_e32 v0, v2
	s_wait_kmcnt 0x0
	global_store_b32 v4, v1, s[8:9] scale_offset
	s_wait_xcnt 0x0
	s_or_b32 exec_lo, exec_lo, s0
	s_delay_alu instid0(SALU_CYCLE_1)
	s_mov_b32 s0, exec_lo
	v_cmpx_gt_i32_e64 s11, v0
	s_cbranch_execz .LBB116_10
.LBB116_15:
	s_wait_loadcnt 0x1
	v_dual_mul_f32 v1, s3, v9 :: v_dual_add_nc_u32 v2, 0x100, v0
	s_wait_loadcnt 0x0
	s_delay_alu instid0(VALU_DEP_1) | instskip(NEXT) | instid1(VALU_DEP_2)
	v_dual_mul_f32 v1, v8, v1 :: v_dual_add_nc_u32 v4, s10, v0
	v_mov_b32_e32 v0, v2
	s_wait_kmcnt 0x0
	global_store_b32 v4, v1, s[8:9] scale_offset
	s_wait_xcnt 0x0
	s_or_b32 exec_lo, exec_lo, s0
	s_delay_alu instid0(SALU_CYCLE_1)
	s_mov_b32 s0, exec_lo
	v_cmpx_gt_i32_e64 s11, v0
	s_cbranch_execz .LBB116_11
.LBB116_16:
	s_wait_loadcnt 0x1
	v_dual_mul_f32 v1, s3, v3 :: v_dual_add_nc_u32 v0, s10, v0
	s_wait_loadcnt 0x0
	s_delay_alu instid0(VALU_DEP_1)
	v_mul_f32_e32 v1, v10, v1
	s_wait_kmcnt 0x0
	global_store_b32 v0, v1, s[8:9] scale_offset
	s_endpgm
	.section	.rodata,"a",@progbits
	.p2align	6, 0x0
	.amdhsa_kernel _ZN2at6native27unrolled_elementwise_kernelIZZZNS0_12_GLOBAL__N_116addr_kernel_cudaERNS_14TensorIteratorERKN3c106ScalarES8_ENKUlvE_clEvENKUlvE5_clEvEUlfffE_St5arrayIPcLm4EELi4E23TrivialOffsetCalculatorILi3EjESF_ILi1EjENS0_6memory15LoadWithoutCastENSI_16StoreWithoutCastEEEviT_T0_T2_T3_T4_T5_
		.amdhsa_group_segment_fixed_size 0
		.amdhsa_private_segment_fixed_size 0
		.amdhsa_kernarg_size 44
		.amdhsa_user_sgpr_count 2
		.amdhsa_user_sgpr_dispatch_ptr 0
		.amdhsa_user_sgpr_queue_ptr 0
		.amdhsa_user_sgpr_kernarg_segment_ptr 1
		.amdhsa_user_sgpr_dispatch_id 0
		.amdhsa_user_sgpr_kernarg_preload_length 0
		.amdhsa_user_sgpr_kernarg_preload_offset 0
		.amdhsa_user_sgpr_private_segment_size 0
		.amdhsa_wavefront_size32 1
		.amdhsa_uses_dynamic_stack 0
		.amdhsa_enable_private_segment 0
		.amdhsa_system_sgpr_workgroup_id_x 1
		.amdhsa_system_sgpr_workgroup_id_y 0
		.amdhsa_system_sgpr_workgroup_id_z 0
		.amdhsa_system_sgpr_workgroup_info 0
		.amdhsa_system_vgpr_workitem_id 0
		.amdhsa_next_free_vgpr 12
		.amdhsa_next_free_sgpr 12
		.amdhsa_named_barrier_count 0
		.amdhsa_reserve_vcc 1
		.amdhsa_float_round_mode_32 0
		.amdhsa_float_round_mode_16_64 0
		.amdhsa_float_denorm_mode_32 3
		.amdhsa_float_denorm_mode_16_64 3
		.amdhsa_fp16_overflow 0
		.amdhsa_memory_ordered 1
		.amdhsa_forward_progress 1
		.amdhsa_inst_pref_size 6
		.amdhsa_round_robin_scheduling 0
		.amdhsa_exception_fp_ieee_invalid_op 0
		.amdhsa_exception_fp_denorm_src 0
		.amdhsa_exception_fp_ieee_div_zero 0
		.amdhsa_exception_fp_ieee_overflow 0
		.amdhsa_exception_fp_ieee_underflow 0
		.amdhsa_exception_fp_ieee_inexact 0
		.amdhsa_exception_int_div_zero 0
	.end_amdhsa_kernel
	.section	.text._ZN2at6native27unrolled_elementwise_kernelIZZZNS0_12_GLOBAL__N_116addr_kernel_cudaERNS_14TensorIteratorERKN3c106ScalarES8_ENKUlvE_clEvENKUlvE5_clEvEUlfffE_St5arrayIPcLm4EELi4E23TrivialOffsetCalculatorILi3EjESF_ILi1EjENS0_6memory15LoadWithoutCastENSI_16StoreWithoutCastEEEviT_T0_T2_T3_T4_T5_,"axG",@progbits,_ZN2at6native27unrolled_elementwise_kernelIZZZNS0_12_GLOBAL__N_116addr_kernel_cudaERNS_14TensorIteratorERKN3c106ScalarES8_ENKUlvE_clEvENKUlvE5_clEvEUlfffE_St5arrayIPcLm4EELi4E23TrivialOffsetCalculatorILi3EjESF_ILi1EjENS0_6memory15LoadWithoutCastENSI_16StoreWithoutCastEEEviT_T0_T2_T3_T4_T5_,comdat
.Lfunc_end116:
	.size	_ZN2at6native27unrolled_elementwise_kernelIZZZNS0_12_GLOBAL__N_116addr_kernel_cudaERNS_14TensorIteratorERKN3c106ScalarES8_ENKUlvE_clEvENKUlvE5_clEvEUlfffE_St5arrayIPcLm4EELi4E23TrivialOffsetCalculatorILi3EjESF_ILi1EjENS0_6memory15LoadWithoutCastENSI_16StoreWithoutCastEEEviT_T0_T2_T3_T4_T5_, .Lfunc_end116-_ZN2at6native27unrolled_elementwise_kernelIZZZNS0_12_GLOBAL__N_116addr_kernel_cudaERNS_14TensorIteratorERKN3c106ScalarES8_ENKUlvE_clEvENKUlvE5_clEvEUlfffE_St5arrayIPcLm4EELi4E23TrivialOffsetCalculatorILi3EjESF_ILi1EjENS0_6memory15LoadWithoutCastENSI_16StoreWithoutCastEEEviT_T0_T2_T3_T4_T5_
                                        ; -- End function
	.set _ZN2at6native27unrolled_elementwise_kernelIZZZNS0_12_GLOBAL__N_116addr_kernel_cudaERNS_14TensorIteratorERKN3c106ScalarES8_ENKUlvE_clEvENKUlvE5_clEvEUlfffE_St5arrayIPcLm4EELi4E23TrivialOffsetCalculatorILi3EjESF_ILi1EjENS0_6memory15LoadWithoutCastENSI_16StoreWithoutCastEEEviT_T0_T2_T3_T4_T5_.num_vgpr, 12
	.set _ZN2at6native27unrolled_elementwise_kernelIZZZNS0_12_GLOBAL__N_116addr_kernel_cudaERNS_14TensorIteratorERKN3c106ScalarES8_ENKUlvE_clEvENKUlvE5_clEvEUlfffE_St5arrayIPcLm4EELi4E23TrivialOffsetCalculatorILi3EjESF_ILi1EjENS0_6memory15LoadWithoutCastENSI_16StoreWithoutCastEEEviT_T0_T2_T3_T4_T5_.num_agpr, 0
	.set _ZN2at6native27unrolled_elementwise_kernelIZZZNS0_12_GLOBAL__N_116addr_kernel_cudaERNS_14TensorIteratorERKN3c106ScalarES8_ENKUlvE_clEvENKUlvE5_clEvEUlfffE_St5arrayIPcLm4EELi4E23TrivialOffsetCalculatorILi3EjESF_ILi1EjENS0_6memory15LoadWithoutCastENSI_16StoreWithoutCastEEEviT_T0_T2_T3_T4_T5_.numbered_sgpr, 12
	.set _ZN2at6native27unrolled_elementwise_kernelIZZZNS0_12_GLOBAL__N_116addr_kernel_cudaERNS_14TensorIteratorERKN3c106ScalarES8_ENKUlvE_clEvENKUlvE5_clEvEUlfffE_St5arrayIPcLm4EELi4E23TrivialOffsetCalculatorILi3EjESF_ILi1EjENS0_6memory15LoadWithoutCastENSI_16StoreWithoutCastEEEviT_T0_T2_T3_T4_T5_.num_named_barrier, 0
	.set _ZN2at6native27unrolled_elementwise_kernelIZZZNS0_12_GLOBAL__N_116addr_kernel_cudaERNS_14TensorIteratorERKN3c106ScalarES8_ENKUlvE_clEvENKUlvE5_clEvEUlfffE_St5arrayIPcLm4EELi4E23TrivialOffsetCalculatorILi3EjESF_ILi1EjENS0_6memory15LoadWithoutCastENSI_16StoreWithoutCastEEEviT_T0_T2_T3_T4_T5_.private_seg_size, 0
	.set _ZN2at6native27unrolled_elementwise_kernelIZZZNS0_12_GLOBAL__N_116addr_kernel_cudaERNS_14TensorIteratorERKN3c106ScalarES8_ENKUlvE_clEvENKUlvE5_clEvEUlfffE_St5arrayIPcLm4EELi4E23TrivialOffsetCalculatorILi3EjESF_ILi1EjENS0_6memory15LoadWithoutCastENSI_16StoreWithoutCastEEEviT_T0_T2_T3_T4_T5_.uses_vcc, 1
	.set _ZN2at6native27unrolled_elementwise_kernelIZZZNS0_12_GLOBAL__N_116addr_kernel_cudaERNS_14TensorIteratorERKN3c106ScalarES8_ENKUlvE_clEvENKUlvE5_clEvEUlfffE_St5arrayIPcLm4EELi4E23TrivialOffsetCalculatorILi3EjESF_ILi1EjENS0_6memory15LoadWithoutCastENSI_16StoreWithoutCastEEEviT_T0_T2_T3_T4_T5_.uses_flat_scratch, 0
	.set _ZN2at6native27unrolled_elementwise_kernelIZZZNS0_12_GLOBAL__N_116addr_kernel_cudaERNS_14TensorIteratorERKN3c106ScalarES8_ENKUlvE_clEvENKUlvE5_clEvEUlfffE_St5arrayIPcLm4EELi4E23TrivialOffsetCalculatorILi3EjESF_ILi1EjENS0_6memory15LoadWithoutCastENSI_16StoreWithoutCastEEEviT_T0_T2_T3_T4_T5_.has_dyn_sized_stack, 0
	.set _ZN2at6native27unrolled_elementwise_kernelIZZZNS0_12_GLOBAL__N_116addr_kernel_cudaERNS_14TensorIteratorERKN3c106ScalarES8_ENKUlvE_clEvENKUlvE5_clEvEUlfffE_St5arrayIPcLm4EELi4E23TrivialOffsetCalculatorILi3EjESF_ILi1EjENS0_6memory15LoadWithoutCastENSI_16StoreWithoutCastEEEviT_T0_T2_T3_T4_T5_.has_recursion, 0
	.set _ZN2at6native27unrolled_elementwise_kernelIZZZNS0_12_GLOBAL__N_116addr_kernel_cudaERNS_14TensorIteratorERKN3c106ScalarES8_ENKUlvE_clEvENKUlvE5_clEvEUlfffE_St5arrayIPcLm4EELi4E23TrivialOffsetCalculatorILi3EjESF_ILi1EjENS0_6memory15LoadWithoutCastENSI_16StoreWithoutCastEEEviT_T0_T2_T3_T4_T5_.has_indirect_call, 0
	.section	.AMDGPU.csdata,"",@progbits
; Kernel info:
; codeLenInByte = 752
; TotalNumSgprs: 14
; NumVgprs: 12
; ScratchSize: 0
; MemoryBound: 0
; FloatMode: 240
; IeeeMode: 1
; LDSByteSize: 0 bytes/workgroup (compile time only)
; SGPRBlocks: 0
; VGPRBlocks: 0
; NumSGPRsForWavesPerEU: 14
; NumVGPRsForWavesPerEU: 12
; NamedBarCnt: 0
; Occupancy: 16
; WaveLimiterHint : 0
; COMPUTE_PGM_RSRC2:SCRATCH_EN: 0
; COMPUTE_PGM_RSRC2:USER_SGPR: 2
; COMPUTE_PGM_RSRC2:TRAP_HANDLER: 0
; COMPUTE_PGM_RSRC2:TGID_X_EN: 1
; COMPUTE_PGM_RSRC2:TGID_Y_EN: 0
; COMPUTE_PGM_RSRC2:TGID_Z_EN: 0
; COMPUTE_PGM_RSRC2:TIDIG_COMP_CNT: 0
	.section	.text._ZN2at6native32elementwise_kernel_manual_unrollILi128ELi4EZNS0_22gpu_kernel_impl_nocastIZZZNS0_12_GLOBAL__N_116addr_kernel_cudaERNS_14TensorIteratorERKN3c106ScalarES9_ENKUlvE_clEvENKUlvE5_clEvEUlfffE_EEvRNS_18TensorIteratorBaseERKT_EUlibE_EEviT1_,"axG",@progbits,_ZN2at6native32elementwise_kernel_manual_unrollILi128ELi4EZNS0_22gpu_kernel_impl_nocastIZZZNS0_12_GLOBAL__N_116addr_kernel_cudaERNS_14TensorIteratorERKN3c106ScalarES9_ENKUlvE_clEvENKUlvE5_clEvEUlfffE_EEvRNS_18TensorIteratorBaseERKT_EUlibE_EEviT1_,comdat
	.globl	_ZN2at6native32elementwise_kernel_manual_unrollILi128ELi4EZNS0_22gpu_kernel_impl_nocastIZZZNS0_12_GLOBAL__N_116addr_kernel_cudaERNS_14TensorIteratorERKN3c106ScalarES9_ENKUlvE_clEvENKUlvE5_clEvEUlfffE_EEvRNS_18TensorIteratorBaseERKT_EUlibE_EEviT1_ ; -- Begin function _ZN2at6native32elementwise_kernel_manual_unrollILi128ELi4EZNS0_22gpu_kernel_impl_nocastIZZZNS0_12_GLOBAL__N_116addr_kernel_cudaERNS_14TensorIteratorERKN3c106ScalarES9_ENKUlvE_clEvENKUlvE5_clEvEUlfffE_EEvRNS_18TensorIteratorBaseERKT_EUlibE_EEviT1_
	.p2align	8
	.type	_ZN2at6native32elementwise_kernel_manual_unrollILi128ELi4EZNS0_22gpu_kernel_impl_nocastIZZZNS0_12_GLOBAL__N_116addr_kernel_cudaERNS_14TensorIteratorERKN3c106ScalarES9_ENKUlvE_clEvENKUlvE5_clEvEUlfffE_EEvRNS_18TensorIteratorBaseERKT_EUlibE_EEviT1_,@function
_ZN2at6native32elementwise_kernel_manual_unrollILi128ELi4EZNS0_22gpu_kernel_impl_nocastIZZZNS0_12_GLOBAL__N_116addr_kernel_cudaERNS_14TensorIteratorERKN3c106ScalarES9_ENKUlvE_clEvENKUlvE5_clEvEUlfffE_EEvRNS_18TensorIteratorBaseERKT_EUlibE_EEviT1_: ; @_ZN2at6native32elementwise_kernel_manual_unrollILi128ELi4EZNS0_22gpu_kernel_impl_nocastIZZZNS0_12_GLOBAL__N_116addr_kernel_cudaERNS_14TensorIteratorERKN3c106ScalarES9_ENKUlvE_clEvENKUlvE5_clEvEUlfffE_EEvRNS_18TensorIteratorBaseERKT_EUlibE_EEviT1_
; %bb.0:
	s_clause 0x1
	s_load_b32 s11, s[0:1], 0x8
	s_load_b32 s36, s[0:1], 0x0
	s_bfe_u32 s2, ttmp6, 0x4000c
	s_and_b32 s3, ttmp6, 15
	s_add_co_i32 s2, s2, 1
	s_getreg_b32 s4, hwreg(HW_REG_IB_STS2, 6, 4)
	s_mul_i32 s2, ttmp9, s2
	s_add_nc_u64 s[12:13], s[0:1], 8
	s_add_co_i32 s3, s3, s2
	s_cmp_eq_u32 s4, 0
	s_mov_b32 s21, 0
	s_cselect_b32 s2, ttmp9, s3
	s_wait_xcnt 0x0
	s_mov_b32 s0, exec_lo
	v_lshl_or_b32 v0, s2, 9, v0
	s_delay_alu instid0(VALU_DEP_1) | instskip(SKIP_2) | instid1(SALU_CYCLE_1)
	v_or_b32_e32 v2, 0x180, v0
	s_wait_kmcnt 0x0
	s_add_co_i32 s28, s11, -1
	s_cmp_gt_u32 s28, 1
	s_cselect_b32 s29, -1, 0
	v_cmpx_le_i32_e64 s36, v2
	s_xor_b32 s30, exec_lo, s0
	s_cbranch_execz .LBB117_54
; %bb.1:
	s_clause 0x7
	s_load_b128 s[4:7], s[12:13], 0x4
	s_load_b64 s[16:17], s[12:13], 0x14
	s_load_b32 s33, s[12:13], 0xc4
	s_load_b96 s[8:10], s[12:13], 0xcc
	s_load_b64 s[18:19], s[12:13], 0xdc
	s_load_b64 s[14:15], s[12:13], 0x1c8
	s_load_b32 s31, s[12:13], 0x1e8
	s_load_b128 s[0:3], s[12:13], 0x1d8
	s_cmp_lg_u32 s11, 0
	s_mov_b32 s23, s21
	s_cselect_b32 s37, -1, 0
	s_min_u32 s35, s28, 15
	s_cmp_gt_u32 s11, 1
	s_cselect_b32 s34, -1, 0
	s_wait_kmcnt 0x0
	s_mov_b32 s20, s5
	s_mov_b32 s22, s16
	s_mov_b32 s5, exec_lo
	v_cmpx_gt_i32_e64 s36, v0
	s_cbranch_execnz .LBB117_5
; %bb.2:
	s_or_b32 exec_lo, exec_lo, s5
	s_delay_alu instid0(SALU_CYCLE_1)
	s_mov_b32 s5, exec_lo
	v_cmpx_gt_i32_e64 s36, v0
	s_cbranch_execnz .LBB117_17
.LBB117_3:
	s_or_b32 exec_lo, exec_lo, s5
	s_delay_alu instid0(SALU_CYCLE_1)
	s_mov_b32 s5, exec_lo
	v_cmpx_gt_i32_e64 s36, v0
	s_cbranch_execnz .LBB117_29
.LBB117_4:
	s_or_b32 exec_lo, exec_lo, s5
	s_delay_alu instid0(SALU_CYCLE_1)
	s_mov_b32 s5, exec_lo
	v_cmpx_gt_i32_e64 s36, v0
	s_cbranch_execnz .LBB117_41
	s_branch .LBB117_53
.LBB117_5:
	s_and_not1_b32 vcc_lo, exec_lo, s29
	s_cbranch_vccnz .LBB117_11
; %bb.6:
	s_and_not1_b32 vcc_lo, exec_lo, s37
	s_cbranch_vccnz .LBB117_12
; %bb.7:
	v_dual_mov_b32 v4, 0 :: v_dual_mov_b32 v1, v0
	v_dual_mov_b32 v6, 0 :: v_dual_mov_b32 v5, 0
	s_add_co_i32 s16, s35, 1
	s_mov_b64 s[24:25], 0xffffffffffffffe0
	s_and_b32 s16, s16, 30
	s_add_nc_u64 s[24:25], s[12:13], s[24:25]
	s_mov_b64 s[26:27], s[12:13]
.LBB117_8:                              ; =>This Inner Loop Header: Depth=1
	s_clause 0x1
	s_load_b128 s[40:43], s[26:27], 0x4
	s_load_b64 s[38:39], s[26:27], 0x14
	s_load_b32 s44, s[24:25], 0xe4
	s_add_co_i32 s16, s16, -2
	s_wait_xcnt 0x0
	s_add_nc_u64 s[26:27], s[26:27], 24
	s_cmp_lg_u32 s16, 0
	s_wait_kmcnt 0x0
	v_mul_hi_u32 v2, s41, v1
	s_delay_alu instid0(VALU_DEP_1) | instskip(NEXT) | instid1(VALU_DEP_1)
	v_add_nc_u32_e32 v2, v1, v2
	v_lshrrev_b32_e32 v2, s42, v2
	s_delay_alu instid0(VALU_DEP_1) | instskip(SKIP_2) | instid1(VALU_DEP_2)
	v_mul_hi_u32 v3, s38, v2
	v_mul_lo_u32 v7, v2, s40
	s_load_b96 s[40:42], s[24:25], 0xec
	v_add_nc_u32_e32 v3, v2, v3
	s_delay_alu instid0(VALU_DEP_2) | instskip(NEXT) | instid1(VALU_DEP_2)
	v_sub_nc_u32_e32 v7, v1, v7
	v_lshrrev_b32_e32 v1, s39, v3
	s_load_b64 s[38:39], s[24:25], 0xfc
	s_delay_alu instid0(VALU_DEP_2)
	v_mad_u32 v4, v7, s44, v4
	s_wait_xcnt 0x0
	s_add_nc_u64 s[24:25], s[24:25], 32
	v_mul_lo_u32 v3, v1, s43
	s_wait_kmcnt 0x0
	v_mad_u32 v5, v7, s41, v5
	v_mad_u32 v6, v7, s40, v6
	s_delay_alu instid0(VALU_DEP_3) | instskip(NEXT) | instid1(VALU_DEP_1)
	v_sub_nc_u32_e32 v2, v2, v3
	v_mad_u32 v4, v2, s42, v4
	s_delay_alu instid0(VALU_DEP_4) | instskip(NEXT) | instid1(VALU_DEP_4)
	v_mad_u32 v5, v2, s39, v5
	v_mad_u32 v6, v2, s38, v6
	s_cbranch_scc1 .LBB117_8
; %bb.9:
	s_bitcmp1_b32 s35, 0
	s_cselect_b32 s16, -1, 0
	s_delay_alu instid0(SALU_CYCLE_1)
	s_and_b32 vcc_lo, exec_lo, s16
	s_cbranch_vccnz .LBB117_13
; %bb.10:
	s_load_b96 s[40:42], s[26:27], 0x4
	s_load_b32 s16, s[24:25], 0xe4
	s_wait_xcnt 0x0
	s_load_b64 s[26:27], s[24:25], 0xec
	s_wait_kmcnt 0x0
	v_mul_hi_u32 v2, s41, v1
	s_delay_alu instid0(VALU_DEP_1) | instskip(NEXT) | instid1(VALU_DEP_1)
	v_add_nc_u32_e32 v2, v1, v2
	v_lshrrev_b32_e32 v2, s42, v2
	s_delay_alu instid0(VALU_DEP_1) | instskip(NEXT) | instid1(VALU_DEP_1)
	v_mul_lo_u32 v2, v2, s40
	v_sub_nc_u32_e32 v1, v1, v2
	s_delay_alu instid0(VALU_DEP_1)
	v_mad_u32 v4, v1, s16, v4
	v_mad_u32 v6, v1, s26, v6
	;; [unrolled: 1-line block ×3, first 2 shown]
	s_cbranch_execz .LBB117_14
	s_branch .LBB117_16
.LBB117_11:
                                        ; implicit-def: $vgpr5
                                        ; implicit-def: $vgpr6
                                        ; implicit-def: $vgpr4
	s_branch .LBB117_14
.LBB117_12:
	v_dual_mov_b32 v5, 0 :: v_dual_mov_b32 v6, 0
	v_mov_b32_e32 v4, 0
.LBB117_13:
	s_cbranch_execnz .LBB117_16
.LBB117_14:
	v_mov_b32_e32 v1, 0
	s_and_not1_b32 vcc_lo, exec_lo, s34
	s_delay_alu instid0(VALU_DEP_1) | instskip(NEXT) | instid1(VALU_DEP_1)
	v_mul_u64_e32 v[2:3], s[20:21], v[0:1]
	v_add_nc_u32_e32 v2, v0, v3
	s_delay_alu instid0(VALU_DEP_1) | instskip(NEXT) | instid1(VALU_DEP_1)
	v_lshrrev_b32_e32 v2, s6, v2
	v_mul_lo_u32 v3, v2, s4
	s_delay_alu instid0(VALU_DEP_1) | instskip(NEXT) | instid1(VALU_DEP_1)
	v_sub_nc_u32_e32 v3, v0, v3
	v_mul_lo_u32 v4, v3, s33
	v_mul_lo_u32 v5, v3, s9
	;; [unrolled: 1-line block ×3, first 2 shown]
	s_cbranch_vccnz .LBB117_16
; %bb.15:
	v_mov_b32_e32 v3, v1
	s_delay_alu instid0(VALU_DEP_1) | instskip(NEXT) | instid1(VALU_DEP_1)
	v_mul_u64_e32 v[8:9], s[22:23], v[2:3]
	v_add_nc_u32_e32 v1, v2, v9
	s_delay_alu instid0(VALU_DEP_1) | instskip(NEXT) | instid1(VALU_DEP_1)
	v_lshrrev_b32_e32 v1, s17, v1
	v_mul_lo_u32 v1, v1, s7
	s_delay_alu instid0(VALU_DEP_1) | instskip(NEXT) | instid1(VALU_DEP_1)
	v_sub_nc_u32_e32 v1, v2, v1
	v_mad_u32 v4, v1, s10, v4
	v_mad_u32 v6, v1, s18, v6
	;; [unrolled: 1-line block ×3, first 2 shown]
.LBB117_16:
	global_load_b32 v1, v6, s[0:1]
	global_load_b32 v2, v5, s[2:3]
	s_wait_loadcnt 0x1
	v_dual_mul_f32 v1, s31, v1 :: v_dual_add_nc_u32 v0, 0x80, v0
	s_wait_loadcnt 0x0
	s_delay_alu instid0(VALU_DEP_1) | instskip(SKIP_3) | instid1(SALU_CYCLE_1)
	v_mul_f32_e32 v1, v1, v2
	global_store_b32 v4, v1, s[14:15]
	s_wait_xcnt 0x0
	s_or_b32 exec_lo, exec_lo, s5
	s_mov_b32 s5, exec_lo
	v_cmpx_gt_i32_e64 s36, v0
	s_cbranch_execz .LBB117_3
.LBB117_17:
	s_and_not1_b32 vcc_lo, exec_lo, s29
	s_cbranch_vccnz .LBB117_23
; %bb.18:
	s_and_not1_b32 vcc_lo, exec_lo, s37
	s_cbranch_vccnz .LBB117_24
; %bb.19:
	v_dual_mov_b32 v4, 0 :: v_dual_mov_b32 v1, v0
	v_dual_mov_b32 v6, 0 :: v_dual_mov_b32 v5, 0
	s_add_co_i32 s16, s35, 1
	s_mov_b64 s[24:25], 0xffffffffffffffe0
	s_and_b32 s16, s16, 30
	s_add_nc_u64 s[24:25], s[12:13], s[24:25]
	s_mov_b64 s[26:27], s[12:13]
.LBB117_20:                             ; =>This Inner Loop Header: Depth=1
	s_clause 0x1
	s_load_b128 s[40:43], s[26:27], 0x4
	s_load_b64 s[38:39], s[26:27], 0x14
	s_load_b32 s44, s[24:25], 0xe4
	s_add_co_i32 s16, s16, -2
	s_wait_xcnt 0x0
	s_add_nc_u64 s[26:27], s[26:27], 24
	s_cmp_eq_u32 s16, 0
	s_wait_kmcnt 0x0
	v_mul_hi_u32 v2, s41, v1
	s_delay_alu instid0(VALU_DEP_1) | instskip(NEXT) | instid1(VALU_DEP_1)
	v_add_nc_u32_e32 v2, v1, v2
	v_lshrrev_b32_e32 v2, s42, v2
	s_delay_alu instid0(VALU_DEP_1) | instskip(SKIP_2) | instid1(VALU_DEP_2)
	v_mul_hi_u32 v3, s38, v2
	v_mul_lo_u32 v7, v2, s40
	s_load_b96 s[40:42], s[24:25], 0xec
	v_add_nc_u32_e32 v3, v2, v3
	s_delay_alu instid0(VALU_DEP_2) | instskip(NEXT) | instid1(VALU_DEP_2)
	v_sub_nc_u32_e32 v7, v1, v7
	v_lshrrev_b32_e32 v1, s39, v3
	s_load_b64 s[38:39], s[24:25], 0xfc
	s_delay_alu instid0(VALU_DEP_2)
	v_mad_u32 v4, v7, s44, v4
	s_wait_xcnt 0x0
	s_add_nc_u64 s[24:25], s[24:25], 32
	v_mul_lo_u32 v3, v1, s43
	s_wait_kmcnt 0x0
	v_mad_u32 v5, v7, s41, v5
	v_mad_u32 v6, v7, s40, v6
	s_delay_alu instid0(VALU_DEP_3) | instskip(NEXT) | instid1(VALU_DEP_1)
	v_sub_nc_u32_e32 v2, v2, v3
	v_mad_u32 v4, v2, s42, v4
	s_delay_alu instid0(VALU_DEP_4) | instskip(NEXT) | instid1(VALU_DEP_4)
	v_mad_u32 v5, v2, s39, v5
	v_mad_u32 v6, v2, s38, v6
	s_cbranch_scc0 .LBB117_20
; %bb.21:
	s_bitcmp1_b32 s35, 0
	s_cselect_b32 s16, -1, 0
	s_delay_alu instid0(SALU_CYCLE_1)
	s_and_b32 vcc_lo, exec_lo, s16
	s_cbranch_vccnz .LBB117_25
; %bb.22:
	s_load_b96 s[40:42], s[26:27], 0x4
	s_load_b32 s16, s[24:25], 0xe4
	s_wait_xcnt 0x0
	s_load_b64 s[26:27], s[24:25], 0xec
	s_wait_kmcnt 0x0
	v_mul_hi_u32 v2, s41, v1
	s_delay_alu instid0(VALU_DEP_1) | instskip(NEXT) | instid1(VALU_DEP_1)
	v_add_nc_u32_e32 v2, v1, v2
	v_lshrrev_b32_e32 v2, s42, v2
	s_delay_alu instid0(VALU_DEP_1) | instskip(NEXT) | instid1(VALU_DEP_1)
	v_mul_lo_u32 v2, v2, s40
	v_sub_nc_u32_e32 v1, v1, v2
	s_delay_alu instid0(VALU_DEP_1)
	v_mad_u32 v4, v1, s16, v4
	v_mad_u32 v6, v1, s26, v6
	;; [unrolled: 1-line block ×3, first 2 shown]
	s_branch .LBB117_25
.LBB117_23:
                                        ; implicit-def: $vgpr5
                                        ; implicit-def: $vgpr6
                                        ; implicit-def: $vgpr4
	s_branch .LBB117_26
.LBB117_24:
	v_dual_mov_b32 v5, 0 :: v_dual_mov_b32 v6, 0
	v_mov_b32_e32 v4, 0
.LBB117_25:
	s_cbranch_execnz .LBB117_28
.LBB117_26:
	v_mov_b32_e32 v1, 0
	s_and_not1_b32 vcc_lo, exec_lo, s34
	s_delay_alu instid0(VALU_DEP_1) | instskip(NEXT) | instid1(VALU_DEP_1)
	v_mul_u64_e32 v[2:3], s[20:21], v[0:1]
	v_add_nc_u32_e32 v2, v0, v3
	s_delay_alu instid0(VALU_DEP_1) | instskip(NEXT) | instid1(VALU_DEP_1)
	v_lshrrev_b32_e32 v2, s6, v2
	v_mul_lo_u32 v3, v2, s4
	s_delay_alu instid0(VALU_DEP_1) | instskip(NEXT) | instid1(VALU_DEP_1)
	v_sub_nc_u32_e32 v3, v0, v3
	v_mul_lo_u32 v4, v3, s33
	v_mul_lo_u32 v5, v3, s9
	;; [unrolled: 1-line block ×3, first 2 shown]
	s_cbranch_vccnz .LBB117_28
; %bb.27:
	v_mov_b32_e32 v3, v1
	s_delay_alu instid0(VALU_DEP_1) | instskip(NEXT) | instid1(VALU_DEP_1)
	v_mul_u64_e32 v[8:9], s[22:23], v[2:3]
	v_add_nc_u32_e32 v1, v2, v9
	s_delay_alu instid0(VALU_DEP_1) | instskip(NEXT) | instid1(VALU_DEP_1)
	v_lshrrev_b32_e32 v1, s17, v1
	v_mul_lo_u32 v1, v1, s7
	s_delay_alu instid0(VALU_DEP_1) | instskip(NEXT) | instid1(VALU_DEP_1)
	v_sub_nc_u32_e32 v1, v2, v1
	v_mad_u32 v4, v1, s10, v4
	v_mad_u32 v6, v1, s18, v6
	;; [unrolled: 1-line block ×3, first 2 shown]
.LBB117_28:
	global_load_b32 v1, v6, s[0:1]
	global_load_b32 v2, v5, s[2:3]
	s_wait_loadcnt 0x1
	v_dual_mul_f32 v1, s31, v1 :: v_dual_add_nc_u32 v0, 0x80, v0
	s_wait_loadcnt 0x0
	s_delay_alu instid0(VALU_DEP_1) | instskip(SKIP_3) | instid1(SALU_CYCLE_1)
	v_mul_f32_e32 v1, v1, v2
	global_store_b32 v4, v1, s[14:15]
	s_wait_xcnt 0x0
	s_or_b32 exec_lo, exec_lo, s5
	s_mov_b32 s5, exec_lo
	v_cmpx_gt_i32_e64 s36, v0
	s_cbranch_execz .LBB117_4
.LBB117_29:
	s_and_not1_b32 vcc_lo, exec_lo, s29
	s_cbranch_vccnz .LBB117_35
; %bb.30:
	s_and_not1_b32 vcc_lo, exec_lo, s37
	s_cbranch_vccnz .LBB117_36
; %bb.31:
	v_dual_mov_b32 v4, 0 :: v_dual_mov_b32 v1, v0
	v_dual_mov_b32 v6, 0 :: v_dual_mov_b32 v5, 0
	s_add_co_i32 s16, s35, 1
	s_mov_b64 s[24:25], 0xffffffffffffffe0
	s_and_b32 s16, s16, 30
	s_add_nc_u64 s[24:25], s[12:13], s[24:25]
	s_mov_b64 s[26:27], s[12:13]
.LBB117_32:                             ; =>This Inner Loop Header: Depth=1
	s_clause 0x1
	s_load_b128 s[40:43], s[26:27], 0x4
	s_load_b64 s[38:39], s[26:27], 0x14
	s_load_b32 s44, s[24:25], 0xe4
	s_add_co_i32 s16, s16, -2
	s_wait_xcnt 0x0
	s_add_nc_u64 s[26:27], s[26:27], 24
	s_cmp_eq_u32 s16, 0
	s_wait_kmcnt 0x0
	v_mul_hi_u32 v2, s41, v1
	s_delay_alu instid0(VALU_DEP_1) | instskip(NEXT) | instid1(VALU_DEP_1)
	v_add_nc_u32_e32 v2, v1, v2
	v_lshrrev_b32_e32 v2, s42, v2
	s_delay_alu instid0(VALU_DEP_1) | instskip(SKIP_2) | instid1(VALU_DEP_2)
	v_mul_hi_u32 v3, s38, v2
	v_mul_lo_u32 v7, v2, s40
	s_load_b96 s[40:42], s[24:25], 0xec
	v_add_nc_u32_e32 v3, v2, v3
	s_delay_alu instid0(VALU_DEP_2) | instskip(NEXT) | instid1(VALU_DEP_2)
	v_sub_nc_u32_e32 v7, v1, v7
	v_lshrrev_b32_e32 v1, s39, v3
	s_load_b64 s[38:39], s[24:25], 0xfc
	s_delay_alu instid0(VALU_DEP_2)
	v_mad_u32 v4, v7, s44, v4
	s_wait_xcnt 0x0
	s_add_nc_u64 s[24:25], s[24:25], 32
	v_mul_lo_u32 v3, v1, s43
	s_wait_kmcnt 0x0
	v_mad_u32 v5, v7, s41, v5
	v_mad_u32 v6, v7, s40, v6
	s_delay_alu instid0(VALU_DEP_3) | instskip(NEXT) | instid1(VALU_DEP_1)
	v_sub_nc_u32_e32 v2, v2, v3
	v_mad_u32 v4, v2, s42, v4
	s_delay_alu instid0(VALU_DEP_4) | instskip(NEXT) | instid1(VALU_DEP_4)
	v_mad_u32 v5, v2, s39, v5
	v_mad_u32 v6, v2, s38, v6
	s_cbranch_scc0 .LBB117_32
; %bb.33:
	s_bitcmp1_b32 s35, 0
	s_cselect_b32 s16, -1, 0
	s_delay_alu instid0(SALU_CYCLE_1)
	s_and_b32 vcc_lo, exec_lo, s16
	s_cbranch_vccnz .LBB117_37
; %bb.34:
	s_load_b96 s[40:42], s[26:27], 0x4
	s_load_b32 s16, s[24:25], 0xe4
	s_wait_xcnt 0x0
	s_load_b64 s[26:27], s[24:25], 0xec
	s_wait_kmcnt 0x0
	v_mul_hi_u32 v2, s41, v1
	s_delay_alu instid0(VALU_DEP_1) | instskip(NEXT) | instid1(VALU_DEP_1)
	v_add_nc_u32_e32 v2, v1, v2
	v_lshrrev_b32_e32 v2, s42, v2
	s_delay_alu instid0(VALU_DEP_1) | instskip(NEXT) | instid1(VALU_DEP_1)
	v_mul_lo_u32 v2, v2, s40
	v_sub_nc_u32_e32 v1, v1, v2
	s_delay_alu instid0(VALU_DEP_1)
	v_mad_u32 v4, v1, s16, v4
	v_mad_u32 v6, v1, s26, v6
	;; [unrolled: 1-line block ×3, first 2 shown]
	s_branch .LBB117_37
.LBB117_35:
                                        ; implicit-def: $vgpr5
                                        ; implicit-def: $vgpr6
                                        ; implicit-def: $vgpr4
	s_branch .LBB117_38
.LBB117_36:
	v_dual_mov_b32 v5, 0 :: v_dual_mov_b32 v6, 0
	v_mov_b32_e32 v4, 0
.LBB117_37:
	s_cbranch_execnz .LBB117_40
.LBB117_38:
	v_mov_b32_e32 v1, 0
	s_and_not1_b32 vcc_lo, exec_lo, s34
	s_delay_alu instid0(VALU_DEP_1) | instskip(NEXT) | instid1(VALU_DEP_1)
	v_mul_u64_e32 v[2:3], s[20:21], v[0:1]
	v_add_nc_u32_e32 v2, v0, v3
	s_delay_alu instid0(VALU_DEP_1) | instskip(NEXT) | instid1(VALU_DEP_1)
	v_lshrrev_b32_e32 v2, s6, v2
	v_mul_lo_u32 v3, v2, s4
	s_delay_alu instid0(VALU_DEP_1) | instskip(NEXT) | instid1(VALU_DEP_1)
	v_sub_nc_u32_e32 v3, v0, v3
	v_mul_lo_u32 v4, v3, s33
	v_mul_lo_u32 v5, v3, s9
	;; [unrolled: 1-line block ×3, first 2 shown]
	s_cbranch_vccnz .LBB117_40
; %bb.39:
	v_mov_b32_e32 v3, v1
	s_delay_alu instid0(VALU_DEP_1) | instskip(NEXT) | instid1(VALU_DEP_1)
	v_mul_u64_e32 v[8:9], s[22:23], v[2:3]
	v_add_nc_u32_e32 v1, v2, v9
	s_delay_alu instid0(VALU_DEP_1) | instskip(NEXT) | instid1(VALU_DEP_1)
	v_lshrrev_b32_e32 v1, s17, v1
	v_mul_lo_u32 v1, v1, s7
	s_delay_alu instid0(VALU_DEP_1) | instskip(NEXT) | instid1(VALU_DEP_1)
	v_sub_nc_u32_e32 v1, v2, v1
	v_mad_u32 v4, v1, s10, v4
	v_mad_u32 v6, v1, s18, v6
	;; [unrolled: 1-line block ×3, first 2 shown]
.LBB117_40:
	global_load_b32 v1, v6, s[0:1]
	global_load_b32 v2, v5, s[2:3]
	s_wait_loadcnt 0x1
	v_dual_mul_f32 v1, s31, v1 :: v_dual_add_nc_u32 v0, 0x80, v0
	s_wait_loadcnt 0x0
	s_delay_alu instid0(VALU_DEP_1) | instskip(SKIP_3) | instid1(SALU_CYCLE_1)
	v_mul_f32_e32 v1, v1, v2
	global_store_b32 v4, v1, s[14:15]
	s_wait_xcnt 0x0
	s_or_b32 exec_lo, exec_lo, s5
	s_mov_b32 s5, exec_lo
	v_cmpx_gt_i32_e64 s36, v0
	s_cbranch_execz .LBB117_53
.LBB117_41:
	s_and_not1_b32 vcc_lo, exec_lo, s29
	s_cbranch_vccnz .LBB117_47
; %bb.42:
	s_and_not1_b32 vcc_lo, exec_lo, s37
	s_cbranch_vccnz .LBB117_48
; %bb.43:
	v_dual_mov_b32 v4, 0 :: v_dual_mov_b32 v1, v0
	v_dual_mov_b32 v6, 0 :: v_dual_mov_b32 v5, 0
	s_add_co_i32 s16, s35, 1
	s_mov_b64 s[24:25], 0xffffffffffffffe0
	s_and_b32 s16, s16, 30
	s_add_nc_u64 s[24:25], s[12:13], s[24:25]
	s_mov_b64 s[26:27], s[12:13]
.LBB117_44:                             ; =>This Inner Loop Header: Depth=1
	s_clause 0x1
	s_load_b128 s[36:39], s[26:27], 0x4
	s_load_b64 s[40:41], s[26:27], 0x14
	s_load_b32 s42, s[24:25], 0xe4
	s_add_co_i32 s16, s16, -2
	s_wait_xcnt 0x0
	s_add_nc_u64 s[26:27], s[26:27], 24
	s_cmp_eq_u32 s16, 0
	s_wait_kmcnt 0x0
	v_mul_hi_u32 v2, s37, v1
	s_delay_alu instid0(VALU_DEP_1) | instskip(NEXT) | instid1(VALU_DEP_1)
	v_add_nc_u32_e32 v2, v1, v2
	v_lshrrev_b32_e32 v2, s38, v2
	s_delay_alu instid0(VALU_DEP_1) | instskip(SKIP_2) | instid1(VALU_DEP_2)
	v_mul_hi_u32 v3, s40, v2
	v_mul_lo_u32 v7, v2, s36
	s_load_b96 s[36:38], s[24:25], 0xec
	v_add_nc_u32_e32 v3, v2, v3
	s_delay_alu instid0(VALU_DEP_2) | instskip(NEXT) | instid1(VALU_DEP_2)
	v_sub_nc_u32_e32 v7, v1, v7
	v_lshrrev_b32_e32 v1, s41, v3
	s_load_b64 s[40:41], s[24:25], 0xfc
	s_delay_alu instid0(VALU_DEP_2)
	v_mad_u32 v4, v7, s42, v4
	s_wait_xcnt 0x0
	s_add_nc_u64 s[24:25], s[24:25], 32
	v_mul_lo_u32 v3, v1, s39
	s_wait_kmcnt 0x0
	v_mad_u32 v5, v7, s37, v5
	v_mad_u32 v6, v7, s36, v6
	s_delay_alu instid0(VALU_DEP_3) | instskip(NEXT) | instid1(VALU_DEP_1)
	v_sub_nc_u32_e32 v2, v2, v3
	v_mad_u32 v4, v2, s38, v4
	s_delay_alu instid0(VALU_DEP_4) | instskip(NEXT) | instid1(VALU_DEP_4)
	v_mad_u32 v5, v2, s41, v5
	v_mad_u32 v6, v2, s40, v6
	s_cbranch_scc0 .LBB117_44
; %bb.45:
	s_bitcmp1_b32 s35, 0
	s_cselect_b32 s16, -1, 0
	s_delay_alu instid0(SALU_CYCLE_1)
	s_and_b32 vcc_lo, exec_lo, s16
	s_cbranch_vccnz .LBB117_49
; %bb.46:
	s_load_b96 s[36:38], s[26:27], 0x4
	s_load_b32 s16, s[24:25], 0xe4
	s_wait_xcnt 0x0
	s_load_b64 s[26:27], s[24:25], 0xec
	s_wait_kmcnt 0x0
	v_mul_hi_u32 v2, s37, v1
	s_delay_alu instid0(VALU_DEP_1) | instskip(NEXT) | instid1(VALU_DEP_1)
	v_add_nc_u32_e32 v2, v1, v2
	v_lshrrev_b32_e32 v2, s38, v2
	s_delay_alu instid0(VALU_DEP_1) | instskip(NEXT) | instid1(VALU_DEP_1)
	v_mul_lo_u32 v2, v2, s36
	v_sub_nc_u32_e32 v1, v1, v2
	s_delay_alu instid0(VALU_DEP_1)
	v_mad_u32 v4, v1, s16, v4
	v_mad_u32 v6, v1, s26, v6
	;; [unrolled: 1-line block ×3, first 2 shown]
	s_branch .LBB117_49
.LBB117_47:
                                        ; implicit-def: $vgpr5
                                        ; implicit-def: $vgpr6
                                        ; implicit-def: $vgpr4
	s_branch .LBB117_50
.LBB117_48:
	v_dual_mov_b32 v5, 0 :: v_dual_mov_b32 v6, 0
	v_mov_b32_e32 v4, 0
.LBB117_49:
	s_cbranch_execnz .LBB117_52
.LBB117_50:
	v_mov_b32_e32 v1, 0
	s_and_not1_b32 vcc_lo, exec_lo, s34
	s_delay_alu instid0(VALU_DEP_1) | instskip(NEXT) | instid1(VALU_DEP_1)
	v_mul_u64_e32 v[2:3], s[20:21], v[0:1]
	v_add_nc_u32_e32 v2, v0, v3
	s_delay_alu instid0(VALU_DEP_1) | instskip(NEXT) | instid1(VALU_DEP_1)
	v_lshrrev_b32_e32 v2, s6, v2
	v_mul_lo_u32 v3, v2, s4
	s_delay_alu instid0(VALU_DEP_1) | instskip(NEXT) | instid1(VALU_DEP_1)
	v_sub_nc_u32_e32 v0, v0, v3
	v_mul_lo_u32 v4, v0, s33
	v_mul_lo_u32 v5, v0, s9
	;; [unrolled: 1-line block ×3, first 2 shown]
	s_cbranch_vccnz .LBB117_52
; %bb.51:
	v_mov_b32_e32 v3, v1
	s_delay_alu instid0(VALU_DEP_1) | instskip(NEXT) | instid1(VALU_DEP_1)
	v_mul_u64_e32 v[0:1], s[22:23], v[2:3]
	v_add_nc_u32_e32 v0, v2, v1
	s_delay_alu instid0(VALU_DEP_1) | instskip(NEXT) | instid1(VALU_DEP_1)
	v_lshrrev_b32_e32 v0, s17, v0
	v_mul_lo_u32 v0, v0, s7
	s_delay_alu instid0(VALU_DEP_1) | instskip(NEXT) | instid1(VALU_DEP_1)
	v_sub_nc_u32_e32 v0, v2, v0
	v_mad_u32 v4, v0, s10, v4
	v_mad_u32 v6, v0, s18, v6
	;; [unrolled: 1-line block ×3, first 2 shown]
.LBB117_52:
	global_load_b32 v0, v6, s[0:1]
	global_load_b32 v1, v5, s[2:3]
	s_wait_loadcnt 0x1
	v_mul_f32_e32 v0, s31, v0
	s_wait_loadcnt 0x0
	s_delay_alu instid0(VALU_DEP_1)
	v_mul_f32_e32 v0, v0, v1
	global_store_b32 v4, v0, s[14:15]
.LBB117_53:
	s_wait_xcnt 0x0
	s_or_b32 exec_lo, exec_lo, s5
                                        ; implicit-def: $vgpr2
                                        ; implicit-def: $vgpr0
.LBB117_54:
	s_and_not1_saveexec_b32 s0, s30
	s_cbranch_execz .LBB117_61
; %bb.55:
	v_cndmask_b32_e64 v5, 0, 1, s29
	s_and_not1_b32 vcc_lo, exec_lo, s29
	s_cbranch_vccnz .LBB117_62
; %bb.56:
	s_cmp_lg_u32 s11, 0
	s_mov_b32 s4, 0
	s_cbranch_scc0 .LBB117_66
; %bb.57:
	s_min_u32 s5, s28, 15
	v_dual_mov_b32 v1, 0 :: v_dual_mov_b32 v6, v0
	v_dual_mov_b32 v3, 0 :: v_dual_mov_b32 v4, 0
	s_add_co_i32 s2, s5, 1
	s_mov_b64 s[0:1], 0xffffffffffffffe0
	s_and_b32 s6, s2, 30
	s_add_nc_u64 s[0:1], s[12:13], s[0:1]
	s_mov_b64 s[2:3], s[12:13]
.LBB117_58:                             ; =>This Inner Loop Header: Depth=1
	s_clause 0x1
	s_load_b128 s[16:19], s[2:3], 0x4
	s_load_b64 s[14:15], s[2:3], 0x14
	s_clause 0x1
	s_load_b32 s7, s[0:1], 0xe4
	s_load_b96 s[8:10], s[0:1], 0xec
	s_add_co_i32 s6, s6, -2
	s_wait_xcnt 0x0
	s_add_nc_u64 s[2:3], s[2:3], 24
	s_cmp_lg_u32 s6, 0
	s_wait_kmcnt 0x0
	v_mul_hi_u32 v7, s17, v6
	s_delay_alu instid0(VALU_DEP_1) | instskip(NEXT) | instid1(VALU_DEP_1)
	v_add_nc_u32_e32 v7, v6, v7
	v_lshrrev_b32_e32 v7, s18, v7
	s_delay_alu instid0(VALU_DEP_1) | instskip(SKIP_1) | instid1(VALU_DEP_1)
	v_mul_hi_u32 v8, s14, v7
	v_mul_lo_u32 v9, v7, s16
	v_dual_add_nc_u32 v8, v7, v8 :: v_dual_sub_nc_u32 v9, v6, v9
	s_delay_alu instid0(VALU_DEP_1) | instskip(SKIP_1) | instid1(VALU_DEP_2)
	v_lshrrev_b32_e32 v6, s15, v8
	s_load_b64 s[14:15], s[0:1], 0xfc
	v_mad_u32 v1, v9, s7, v1
	v_mad_u32 v4, v9, s9, v4
	;; [unrolled: 1-line block ×3, first 2 shown]
	v_mul_lo_u32 v8, v6, s19
	s_wait_xcnt 0x0
	s_add_nc_u64 s[0:1], s[0:1], 32
	s_delay_alu instid0(VALU_DEP_1) | instskip(NEXT) | instid1(VALU_DEP_1)
	v_sub_nc_u32_e32 v7, v7, v8
	v_mad_u32 v1, v7, s10, v1
	s_wait_kmcnt 0x0
	v_mad_u32 v4, v7, s15, v4
	v_mad_u32 v3, v7, s14, v3
	s_cbranch_scc1 .LBB117_58
; %bb.59:
	s_bitcmp1_b32 s5, 0
	s_cselect_b32 s5, -1, 0
	s_delay_alu instid0(SALU_CYCLE_1)
	s_and_b32 vcc_lo, exec_lo, s5
	s_cbranch_vccnz .LBB117_63
; %bb.60:
	s_load_b96 s[8:10], s[2:3], 0x4
	s_load_b32 s5, s[0:1], 0xe4
	s_wait_xcnt 0x0
	s_load_b64 s[2:3], s[0:1], 0xec
	s_wait_kmcnt 0x0
	v_mul_hi_u32 v7, s9, v6
	s_delay_alu instid0(VALU_DEP_1) | instskip(NEXT) | instid1(VALU_DEP_1)
	v_add_nc_u32_e32 v7, v6, v7
	v_lshrrev_b32_e32 v7, s10, v7
	s_delay_alu instid0(VALU_DEP_1) | instskip(NEXT) | instid1(VALU_DEP_1)
	v_mul_lo_u32 v7, v7, s8
	v_sub_nc_u32_e32 v6, v6, v7
	s_delay_alu instid0(VALU_DEP_1)
	v_mad_u32 v1, v6, s5, v1
	v_mad_u32 v3, v6, s2, v3
	;; [unrolled: 1-line block ×3, first 2 shown]
	s_and_not1_b32 vcc_lo, exec_lo, s4
	s_cbranch_vccz .LBB117_64
	s_branch .LBB117_67
.LBB117_61:
	s_endpgm
.LBB117_62:
	s_mov_b32 s4, -1
                                        ; implicit-def: $vgpr4
                                        ; implicit-def: $vgpr3
                                        ; implicit-def: $vgpr1
.LBB117_63:
	s_delay_alu instid0(SALU_CYCLE_1)
	s_and_not1_b32 vcc_lo, exec_lo, s4
	s_cbranch_vccnz .LBB117_67
.LBB117_64:
	s_clause 0x2
	s_load_b96 s[0:2], s[12:13], 0x4
	s_load_b32 s3, s[12:13], 0xc4
	s_load_b64 s[4:5], s[12:13], 0xcc
	s_cmp_lt_u32 s11, 2
	s_wait_kmcnt 0x0
	v_mul_hi_u32 v1, s1, v0
	s_delay_alu instid0(VALU_DEP_1) | instskip(NEXT) | instid1(VALU_DEP_1)
	v_add_nc_u32_e32 v1, v0, v1
	v_lshrrev_b32_e32 v6, s2, v1
	s_delay_alu instid0(VALU_DEP_1) | instskip(NEXT) | instid1(VALU_DEP_1)
	v_mul_lo_u32 v1, v6, s0
	v_sub_nc_u32_e32 v3, v0, v1
	s_delay_alu instid0(VALU_DEP_1)
	v_mul_lo_u32 v1, v3, s3
	v_mul_lo_u32 v4, v3, s5
	;; [unrolled: 1-line block ×3, first 2 shown]
	s_cbranch_scc1 .LBB117_67
; %bb.65:
	s_clause 0x2
	s_load_b96 s[0:2], s[12:13], 0x10
	s_load_b32 s3, s[12:13], 0xd4
	s_load_b64 s[4:5], s[12:13], 0xdc
	s_wait_kmcnt 0x0
	v_mul_hi_u32 v7, s1, v6
	s_delay_alu instid0(VALU_DEP_1) | instskip(NEXT) | instid1(VALU_DEP_1)
	v_add_nc_u32_e32 v7, v6, v7
	v_lshrrev_b32_e32 v7, s2, v7
	s_delay_alu instid0(VALU_DEP_1) | instskip(NEXT) | instid1(VALU_DEP_1)
	v_mul_lo_u32 v7, v7, s0
	v_sub_nc_u32_e32 v6, v6, v7
	s_delay_alu instid0(VALU_DEP_1)
	v_mad_u32 v1, v6, s3, v1
	v_mad_u32 v3, v6, s4, v3
	;; [unrolled: 1-line block ×3, first 2 shown]
	s_branch .LBB117_67
.LBB117_66:
	v_dual_mov_b32 v4, 0 :: v_dual_mov_b32 v3, 0
	v_mov_b32_e32 v1, 0
	s_and_not1_b32 vcc_lo, exec_lo, s4
	s_cbranch_vccz .LBB117_64
.LBB117_67:
	v_cmp_ne_u32_e32 vcc_lo, 1, v5
	v_add_nc_u32_e32 v9, 0x80, v0
	s_cbranch_vccnz .LBB117_73
; %bb.68:
	s_cmp_lg_u32 s11, 0
	s_mov_b32 s4, 0
	s_cbranch_scc0 .LBB117_77
; %bb.69:
	s_min_u32 s5, s28, 15
	v_dual_mov_b32 v6, 0 :: v_dual_mov_b32 v10, v9
	v_dual_mov_b32 v8, 0 :: v_dual_mov_b32 v7, 0
	s_add_co_i32 s2, s5, 1
	s_mov_b64 s[0:1], 0xffffffffffffffe0
	s_and_b32 s6, s2, 30
	s_add_nc_u64 s[0:1], s[12:13], s[0:1]
	s_mov_b64 s[2:3], s[12:13]
.LBB117_70:                             ; =>This Inner Loop Header: Depth=1
	s_clause 0x1
	s_load_b128 s[16:19], s[2:3], 0x4
	s_load_b64 s[14:15], s[2:3], 0x14
	s_clause 0x1
	s_load_b32 s7, s[0:1], 0xe4
	s_load_b96 s[8:10], s[0:1], 0xec
	s_add_co_i32 s6, s6, -2
	s_wait_xcnt 0x0
	s_add_nc_u64 s[2:3], s[2:3], 24
	s_cmp_lg_u32 s6, 0
	s_wait_kmcnt 0x0
	v_mul_hi_u32 v11, s17, v10
	s_delay_alu instid0(VALU_DEP_1) | instskip(NEXT) | instid1(VALU_DEP_1)
	v_add_nc_u32_e32 v11, v10, v11
	v_lshrrev_b32_e32 v11, s18, v11
	s_delay_alu instid0(VALU_DEP_1) | instskip(SKIP_1) | instid1(VALU_DEP_1)
	v_mul_hi_u32 v12, s14, v11
	v_mul_lo_u32 v13, v11, s16
	v_dual_add_nc_u32 v12, v11, v12 :: v_dual_sub_nc_u32 v13, v10, v13
	s_delay_alu instid0(VALU_DEP_1) | instskip(SKIP_1) | instid1(VALU_DEP_2)
	v_lshrrev_b32_e32 v10, s15, v12
	s_load_b64 s[14:15], s[0:1], 0xfc
	v_mad_u32 v6, v13, s7, v6
	v_mad_u32 v7, v13, s9, v7
	;; [unrolled: 1-line block ×3, first 2 shown]
	v_mul_lo_u32 v12, v10, s19
	s_wait_xcnt 0x0
	s_add_nc_u64 s[0:1], s[0:1], 32
	s_delay_alu instid0(VALU_DEP_1) | instskip(NEXT) | instid1(VALU_DEP_1)
	v_sub_nc_u32_e32 v11, v11, v12
	v_mad_u32 v6, v11, s10, v6
	s_wait_kmcnt 0x0
	v_mad_u32 v7, v11, s15, v7
	v_mad_u32 v8, v11, s14, v8
	s_cbranch_scc1 .LBB117_70
; %bb.71:
	s_bitcmp1_b32 s5, 0
	s_cselect_b32 s5, -1, 0
	s_delay_alu instid0(SALU_CYCLE_1)
	s_and_b32 vcc_lo, exec_lo, s5
	s_cbranch_vccnz .LBB117_74
; %bb.72:
	s_load_b96 s[8:10], s[2:3], 0x4
	s_load_b32 s5, s[0:1], 0xe4
	s_wait_xcnt 0x0
	s_load_b64 s[2:3], s[0:1], 0xec
	s_wait_kmcnt 0x0
	v_mul_hi_u32 v11, s9, v10
	s_delay_alu instid0(VALU_DEP_1) | instskip(NEXT) | instid1(VALU_DEP_1)
	v_add_nc_u32_e32 v11, v10, v11
	v_lshrrev_b32_e32 v11, s10, v11
	s_delay_alu instid0(VALU_DEP_1) | instskip(NEXT) | instid1(VALU_DEP_1)
	v_mul_lo_u32 v11, v11, s8
	v_sub_nc_u32_e32 v10, v10, v11
	s_delay_alu instid0(VALU_DEP_1)
	v_mad_u32 v6, v10, s5, v6
	v_mad_u32 v8, v10, s2, v8
	;; [unrolled: 1-line block ×3, first 2 shown]
	s_and_not1_b32 vcc_lo, exec_lo, s4
	s_cbranch_vccz .LBB117_75
	s_branch .LBB117_78
.LBB117_73:
	s_mov_b32 s4, -1
                                        ; implicit-def: $vgpr7
                                        ; implicit-def: $vgpr8
                                        ; implicit-def: $vgpr6
.LBB117_74:
	s_delay_alu instid0(SALU_CYCLE_1)
	s_and_not1_b32 vcc_lo, exec_lo, s4
	s_cbranch_vccnz .LBB117_78
.LBB117_75:
	s_clause 0x2
	s_load_b96 s[0:2], s[12:13], 0x4
	s_load_b32 s3, s[12:13], 0xc4
	s_load_b64 s[4:5], s[12:13], 0xcc
	s_cmp_lt_u32 s11, 2
	s_wait_kmcnt 0x0
	v_mul_hi_u32 v6, s1, v9
	s_delay_alu instid0(VALU_DEP_1) | instskip(NEXT) | instid1(VALU_DEP_1)
	v_add_nc_u32_e32 v6, v9, v6
	v_lshrrev_b32_e32 v10, s2, v6
	s_delay_alu instid0(VALU_DEP_1) | instskip(NEXT) | instid1(VALU_DEP_1)
	v_mul_lo_u32 v6, v10, s0
	v_sub_nc_u32_e32 v8, v9, v6
	s_delay_alu instid0(VALU_DEP_1)
	v_mul_lo_u32 v6, v8, s3
	v_mul_lo_u32 v7, v8, s5
	;; [unrolled: 1-line block ×3, first 2 shown]
	s_cbranch_scc1 .LBB117_78
; %bb.76:
	s_clause 0x2
	s_load_b96 s[0:2], s[12:13], 0x10
	s_load_b32 s3, s[12:13], 0xd4
	s_load_b64 s[4:5], s[12:13], 0xdc
	s_wait_kmcnt 0x0
	v_mul_hi_u32 v9, s1, v10
	s_delay_alu instid0(VALU_DEP_1) | instskip(NEXT) | instid1(VALU_DEP_1)
	v_add_nc_u32_e32 v9, v10, v9
	v_lshrrev_b32_e32 v9, s2, v9
	s_delay_alu instid0(VALU_DEP_1) | instskip(NEXT) | instid1(VALU_DEP_1)
	v_mul_lo_u32 v9, v9, s0
	v_sub_nc_u32_e32 v9, v10, v9
	s_delay_alu instid0(VALU_DEP_1)
	v_mad_u32 v6, v9, s3, v6
	v_mad_u32 v8, v9, s4, v8
	;; [unrolled: 1-line block ×3, first 2 shown]
	s_branch .LBB117_78
.LBB117_77:
	v_dual_mov_b32 v7, 0 :: v_dual_mov_b32 v8, 0
	v_mov_b32_e32 v6, 0
	s_and_not1_b32 vcc_lo, exec_lo, s4
	s_cbranch_vccz .LBB117_75
.LBB117_78:
	v_cmp_ne_u32_e32 vcc_lo, 1, v5
	v_add_nc_u32_e32 v11, 0x100, v0
	s_cbranch_vccnz .LBB117_84
; %bb.79:
	s_cmp_lg_u32 s11, 0
	s_mov_b32 s4, 0
	s_cbranch_scc0 .LBB117_88
; %bb.80:
	s_min_u32 s5, s28, 15
	v_dual_mov_b32 v0, 0 :: v_dual_mov_b32 v12, v11
	v_dual_mov_b32 v10, 0 :: v_dual_mov_b32 v9, 0
	s_add_co_i32 s2, s5, 1
	s_mov_b64 s[0:1], 0xffffffffffffffe0
	s_and_b32 s6, s2, 30
	s_add_nc_u64 s[0:1], s[12:13], s[0:1]
	s_mov_b64 s[2:3], s[12:13]
.LBB117_81:                             ; =>This Inner Loop Header: Depth=1
	s_clause 0x1
	s_load_b128 s[16:19], s[2:3], 0x4
	s_load_b64 s[14:15], s[2:3], 0x14
	s_clause 0x1
	s_load_b32 s7, s[0:1], 0xe4
	s_load_b96 s[8:10], s[0:1], 0xec
	s_add_co_i32 s6, s6, -2
	s_wait_xcnt 0x0
	s_add_nc_u64 s[2:3], s[2:3], 24
	s_cmp_lg_u32 s6, 0
	s_wait_kmcnt 0x0
	v_mul_hi_u32 v13, s17, v12
	s_delay_alu instid0(VALU_DEP_1) | instskip(NEXT) | instid1(VALU_DEP_1)
	v_add_nc_u32_e32 v13, v12, v13
	v_lshrrev_b32_e32 v13, s18, v13
	s_delay_alu instid0(VALU_DEP_1) | instskip(SKIP_1) | instid1(VALU_DEP_1)
	v_mul_hi_u32 v14, s14, v13
	v_mul_lo_u32 v15, v13, s16
	v_dual_add_nc_u32 v14, v13, v14 :: v_dual_sub_nc_u32 v15, v12, v15
	s_delay_alu instid0(VALU_DEP_1) | instskip(SKIP_1) | instid1(VALU_DEP_2)
	v_lshrrev_b32_e32 v12, s15, v14
	s_load_b64 s[14:15], s[0:1], 0xfc
	v_mad_u32 v0, v15, s7, v0
	v_mad_u32 v9, v15, s9, v9
	;; [unrolled: 1-line block ×3, first 2 shown]
	v_mul_lo_u32 v14, v12, s19
	s_wait_xcnt 0x0
	s_add_nc_u64 s[0:1], s[0:1], 32
	s_delay_alu instid0(VALU_DEP_1) | instskip(NEXT) | instid1(VALU_DEP_1)
	v_sub_nc_u32_e32 v13, v13, v14
	v_mad_u32 v0, v13, s10, v0
	s_wait_kmcnt 0x0
	v_mad_u32 v9, v13, s15, v9
	v_mad_u32 v10, v13, s14, v10
	s_cbranch_scc1 .LBB117_81
; %bb.82:
	s_bitcmp1_b32 s5, 0
	s_cselect_b32 s5, -1, 0
	s_delay_alu instid0(SALU_CYCLE_1)
	s_and_b32 vcc_lo, exec_lo, s5
	s_cbranch_vccnz .LBB117_85
; %bb.83:
	s_load_b96 s[8:10], s[2:3], 0x4
	s_load_b32 s5, s[0:1], 0xe4
	s_wait_xcnt 0x0
	s_load_b64 s[2:3], s[0:1], 0xec
	s_wait_kmcnt 0x0
	v_mul_hi_u32 v13, s9, v12
	s_delay_alu instid0(VALU_DEP_1) | instskip(NEXT) | instid1(VALU_DEP_1)
	v_add_nc_u32_e32 v13, v12, v13
	v_lshrrev_b32_e32 v13, s10, v13
	s_delay_alu instid0(VALU_DEP_1) | instskip(NEXT) | instid1(VALU_DEP_1)
	v_mul_lo_u32 v13, v13, s8
	v_sub_nc_u32_e32 v12, v12, v13
	s_delay_alu instid0(VALU_DEP_1)
	v_mad_u32 v0, v12, s5, v0
	v_mad_u32 v10, v12, s2, v10
	;; [unrolled: 1-line block ×3, first 2 shown]
	s_and_not1_b32 vcc_lo, exec_lo, s4
	s_cbranch_vccz .LBB117_86
	s_branch .LBB117_89
.LBB117_84:
	s_mov_b32 s4, -1
                                        ; implicit-def: $vgpr9
                                        ; implicit-def: $vgpr10
                                        ; implicit-def: $vgpr0
.LBB117_85:
	s_delay_alu instid0(SALU_CYCLE_1)
	s_and_not1_b32 vcc_lo, exec_lo, s4
	s_cbranch_vccnz .LBB117_89
.LBB117_86:
	s_clause 0x2
	s_load_b96 s[0:2], s[12:13], 0x4
	s_load_b32 s3, s[12:13], 0xc4
	s_load_b64 s[4:5], s[12:13], 0xcc
	s_cmp_lt_u32 s11, 2
	s_wait_kmcnt 0x0
	v_mul_hi_u32 v0, s1, v11
	s_delay_alu instid0(VALU_DEP_1) | instskip(NEXT) | instid1(VALU_DEP_1)
	v_add_nc_u32_e32 v0, v11, v0
	v_lshrrev_b32_e32 v12, s2, v0
	s_delay_alu instid0(VALU_DEP_1) | instskip(NEXT) | instid1(VALU_DEP_1)
	v_mul_lo_u32 v0, v12, s0
	v_sub_nc_u32_e32 v10, v11, v0
	s_delay_alu instid0(VALU_DEP_1)
	v_mul_lo_u32 v0, v10, s3
	v_mul_lo_u32 v9, v10, s5
	;; [unrolled: 1-line block ×3, first 2 shown]
	s_cbranch_scc1 .LBB117_89
; %bb.87:
	s_clause 0x2
	s_load_b96 s[0:2], s[12:13], 0x10
	s_load_b32 s3, s[12:13], 0xd4
	s_load_b64 s[4:5], s[12:13], 0xdc
	s_wait_kmcnt 0x0
	v_mul_hi_u32 v11, s1, v12
	s_delay_alu instid0(VALU_DEP_1) | instskip(NEXT) | instid1(VALU_DEP_1)
	v_add_nc_u32_e32 v11, v12, v11
	v_lshrrev_b32_e32 v11, s2, v11
	s_delay_alu instid0(VALU_DEP_1) | instskip(NEXT) | instid1(VALU_DEP_1)
	v_mul_lo_u32 v11, v11, s0
	v_sub_nc_u32_e32 v11, v12, v11
	s_delay_alu instid0(VALU_DEP_1)
	v_mad_u32 v0, v11, s3, v0
	v_mad_u32 v10, v11, s4, v10
	;; [unrolled: 1-line block ×3, first 2 shown]
	s_branch .LBB117_89
.LBB117_88:
	v_dual_mov_b32 v9, 0 :: v_dual_mov_b32 v10, 0
	v_mov_b32_e32 v0, 0
	s_and_not1_b32 vcc_lo, exec_lo, s4
	s_cbranch_vccz .LBB117_86
.LBB117_89:
	v_cmp_ne_u32_e32 vcc_lo, 1, v5
	s_cbranch_vccnz .LBB117_95
; %bb.90:
	s_cmp_lg_u32 s11, 0
	s_mov_b32 s4, 0
	s_cbranch_scc0 .LBB117_99
; %bb.91:
	s_min_u32 s5, s28, 15
	v_dual_mov_b32 v5, 0 :: v_dual_mov_b32 v13, v2
	v_dual_mov_b32 v11, 0 :: v_dual_mov_b32 v12, 0
	s_add_co_i32 s2, s5, 1
	s_mov_b64 s[0:1], 0xffffffffffffffe0
	s_and_b32 s6, s2, 30
	s_add_nc_u64 s[0:1], s[12:13], s[0:1]
	s_mov_b64 s[2:3], s[12:13]
.LBB117_92:                             ; =>This Inner Loop Header: Depth=1
	s_clause 0x1
	s_load_b128 s[16:19], s[2:3], 0x4
	s_load_b64 s[14:15], s[2:3], 0x14
	s_clause 0x1
	s_load_b32 s7, s[0:1], 0xe4
	s_load_b96 s[8:10], s[0:1], 0xec
	s_add_co_i32 s6, s6, -2
	s_wait_xcnt 0x0
	s_add_nc_u64 s[2:3], s[2:3], 24
	s_cmp_lg_u32 s6, 0
	s_wait_kmcnt 0x0
	v_mul_hi_u32 v14, s17, v13
	s_delay_alu instid0(VALU_DEP_1) | instskip(NEXT) | instid1(VALU_DEP_1)
	v_add_nc_u32_e32 v14, v13, v14
	v_lshrrev_b32_e32 v14, s18, v14
	s_delay_alu instid0(VALU_DEP_1) | instskip(SKIP_1) | instid1(VALU_DEP_1)
	v_mul_hi_u32 v15, s14, v14
	v_mul_lo_u32 v16, v14, s16
	v_dual_add_nc_u32 v15, v14, v15 :: v_dual_sub_nc_u32 v16, v13, v16
	s_delay_alu instid0(VALU_DEP_1) | instskip(SKIP_1) | instid1(VALU_DEP_2)
	v_lshrrev_b32_e32 v13, s15, v15
	s_load_b64 s[14:15], s[0:1], 0xfc
	v_mad_u32 v5, v16, s7, v5
	v_mad_u32 v12, v16, s9, v12
	;; [unrolled: 1-line block ×3, first 2 shown]
	v_mul_lo_u32 v15, v13, s19
	s_wait_xcnt 0x0
	s_add_nc_u64 s[0:1], s[0:1], 32
	s_delay_alu instid0(VALU_DEP_1) | instskip(NEXT) | instid1(VALU_DEP_1)
	v_sub_nc_u32_e32 v14, v14, v15
	v_mad_u32 v5, v14, s10, v5
	s_wait_kmcnt 0x0
	v_mad_u32 v12, v14, s15, v12
	v_mad_u32 v11, v14, s14, v11
	s_cbranch_scc1 .LBB117_92
; %bb.93:
	s_bitcmp1_b32 s5, 0
	s_cselect_b32 s5, -1, 0
	s_delay_alu instid0(SALU_CYCLE_1)
	s_and_b32 vcc_lo, exec_lo, s5
	s_cbranch_vccnz .LBB117_96
; %bb.94:
	s_load_b96 s[8:10], s[2:3], 0x4
	s_load_b32 s5, s[0:1], 0xe4
	s_wait_xcnt 0x0
	s_load_b64 s[2:3], s[0:1], 0xec
	s_wait_kmcnt 0x0
	v_mul_hi_u32 v14, s9, v13
	s_delay_alu instid0(VALU_DEP_1) | instskip(NEXT) | instid1(VALU_DEP_1)
	v_add_nc_u32_e32 v14, v13, v14
	v_lshrrev_b32_e32 v14, s10, v14
	s_delay_alu instid0(VALU_DEP_1) | instskip(NEXT) | instid1(VALU_DEP_1)
	v_mul_lo_u32 v14, v14, s8
	v_sub_nc_u32_e32 v13, v13, v14
	s_delay_alu instid0(VALU_DEP_1)
	v_mad_u32 v5, v13, s5, v5
	v_mad_u32 v11, v13, s2, v11
	;; [unrolled: 1-line block ×3, first 2 shown]
	s_and_not1_b32 vcc_lo, exec_lo, s4
	s_cbranch_vccz .LBB117_97
	s_branch .LBB117_100
.LBB117_95:
	s_mov_b32 s4, -1
                                        ; implicit-def: $vgpr12
                                        ; implicit-def: $vgpr11
                                        ; implicit-def: $vgpr5
.LBB117_96:
	s_delay_alu instid0(SALU_CYCLE_1)
	s_and_not1_b32 vcc_lo, exec_lo, s4
	s_cbranch_vccnz .LBB117_100
.LBB117_97:
	s_clause 0x2
	s_load_b96 s[0:2], s[12:13], 0x4
	s_load_b32 s3, s[12:13], 0xc4
	s_load_b64 s[4:5], s[12:13], 0xcc
	s_cmp_lt_u32 s11, 2
	s_wait_kmcnt 0x0
	v_mul_hi_u32 v5, s1, v2
	s_delay_alu instid0(VALU_DEP_1) | instskip(NEXT) | instid1(VALU_DEP_1)
	v_add_nc_u32_e32 v5, v2, v5
	v_lshrrev_b32_e32 v13, s2, v5
	s_delay_alu instid0(VALU_DEP_1) | instskip(NEXT) | instid1(VALU_DEP_1)
	v_mul_lo_u32 v5, v13, s0
	v_sub_nc_u32_e32 v2, v2, v5
	s_delay_alu instid0(VALU_DEP_1)
	v_mul_lo_u32 v5, v2, s3
	v_mul_lo_u32 v12, v2, s5
	v_mul_lo_u32 v11, v2, s4
	s_cbranch_scc1 .LBB117_100
; %bb.98:
	s_clause 0x2
	s_load_b96 s[0:2], s[12:13], 0x10
	s_load_b32 s3, s[12:13], 0xd4
	s_load_b64 s[4:5], s[12:13], 0xdc
	s_wait_kmcnt 0x0
	v_mul_hi_u32 v2, s1, v13
	s_delay_alu instid0(VALU_DEP_1) | instskip(NEXT) | instid1(VALU_DEP_1)
	v_add_nc_u32_e32 v2, v13, v2
	v_lshrrev_b32_e32 v2, s2, v2
	s_delay_alu instid0(VALU_DEP_1) | instskip(NEXT) | instid1(VALU_DEP_1)
	v_mul_lo_u32 v2, v2, s0
	v_sub_nc_u32_e32 v2, v13, v2
	s_delay_alu instid0(VALU_DEP_1)
	v_mad_u32 v5, v2, s3, v5
	v_mad_u32 v11, v2, s4, v11
	;; [unrolled: 1-line block ×3, first 2 shown]
	s_branch .LBB117_100
.LBB117_99:
	v_dual_mov_b32 v12, 0 :: v_dual_mov_b32 v11, 0
	v_mov_b32_e32 v5, 0
	s_and_not1_b32 vcc_lo, exec_lo, s4
	s_cbranch_vccz .LBB117_97
.LBB117_100:
	s_load_b128 s[0:3], s[12:13], 0x1d8
	s_wait_kmcnt 0x0
	s_clause 0x3
	global_load_b32 v2, v3, s[0:1]
	global_load_b32 v13, v8, s[0:1]
	;; [unrolled: 1-line block ×4, first 2 shown]
	s_clause 0x3
	global_load_b32 v16, v4, s[2:3]
	global_load_b32 v17, v7, s[2:3]
	;; [unrolled: 1-line block ×4, first 2 shown]
	s_wait_xcnt 0x0
	s_clause 0x1
	s_load_b32 s2, s[12:13], 0x1e8
	s_load_b64 s[0:1], s[12:13], 0x1c8
	s_wait_loadcnt 0x6
	s_wait_kmcnt 0x0
	v_dual_mul_f32 v2, s2, v2 :: v_dual_mul_f32 v3, s2, v13
	s_wait_loadcnt 0x4
	v_dual_mul_f32 v4, s2, v14 :: v_dual_mul_f32 v7, s2, v15
	s_wait_loadcnt 0x2
	s_delay_alu instid0(VALU_DEP_2) | instskip(SKIP_1) | instid1(VALU_DEP_2)
	v_dual_mul_f32 v2, v2, v16 :: v_dual_mul_f32 v3, v3, v17
	s_wait_loadcnt 0x0
	v_dual_mul_f32 v4, v4, v18 :: v_dual_mul_f32 v7, v7, v19
	s_clause 0x3
	global_store_b32 v1, v2, s[0:1]
	global_store_b32 v6, v3, s[0:1]
	;; [unrolled: 1-line block ×4, first 2 shown]
	s_endpgm
	.section	.rodata,"a",@progbits
	.p2align	6, 0x0
	.amdhsa_kernel _ZN2at6native32elementwise_kernel_manual_unrollILi128ELi4EZNS0_22gpu_kernel_impl_nocastIZZZNS0_12_GLOBAL__N_116addr_kernel_cudaERNS_14TensorIteratorERKN3c106ScalarES9_ENKUlvE_clEvENKUlvE5_clEvEUlfffE_EEvRNS_18TensorIteratorBaseERKT_EUlibE_EEviT1_
		.amdhsa_group_segment_fixed_size 0
		.amdhsa_private_segment_fixed_size 0
		.amdhsa_kernarg_size 504
		.amdhsa_user_sgpr_count 2
		.amdhsa_user_sgpr_dispatch_ptr 0
		.amdhsa_user_sgpr_queue_ptr 0
		.amdhsa_user_sgpr_kernarg_segment_ptr 1
		.amdhsa_user_sgpr_dispatch_id 0
		.amdhsa_user_sgpr_kernarg_preload_length 0
		.amdhsa_user_sgpr_kernarg_preload_offset 0
		.amdhsa_user_sgpr_private_segment_size 0
		.amdhsa_wavefront_size32 1
		.amdhsa_uses_dynamic_stack 0
		.amdhsa_enable_private_segment 0
		.amdhsa_system_sgpr_workgroup_id_x 1
		.amdhsa_system_sgpr_workgroup_id_y 0
		.amdhsa_system_sgpr_workgroup_id_z 0
		.amdhsa_system_sgpr_workgroup_info 0
		.amdhsa_system_vgpr_workitem_id 0
		.amdhsa_next_free_vgpr 20
		.amdhsa_next_free_sgpr 45
		.amdhsa_named_barrier_count 0
		.amdhsa_reserve_vcc 1
		.amdhsa_float_round_mode_32 0
		.amdhsa_float_round_mode_16_64 0
		.amdhsa_float_denorm_mode_32 3
		.amdhsa_float_denorm_mode_16_64 3
		.amdhsa_fp16_overflow 0
		.amdhsa_memory_ordered 1
		.amdhsa_forward_progress 1
		.amdhsa_inst_pref_size 45
		.amdhsa_round_robin_scheduling 0
		.amdhsa_exception_fp_ieee_invalid_op 0
		.amdhsa_exception_fp_denorm_src 0
		.amdhsa_exception_fp_ieee_div_zero 0
		.amdhsa_exception_fp_ieee_overflow 0
		.amdhsa_exception_fp_ieee_underflow 0
		.amdhsa_exception_fp_ieee_inexact 0
		.amdhsa_exception_int_div_zero 0
	.end_amdhsa_kernel
	.section	.text._ZN2at6native32elementwise_kernel_manual_unrollILi128ELi4EZNS0_22gpu_kernel_impl_nocastIZZZNS0_12_GLOBAL__N_116addr_kernel_cudaERNS_14TensorIteratorERKN3c106ScalarES9_ENKUlvE_clEvENKUlvE5_clEvEUlfffE_EEvRNS_18TensorIteratorBaseERKT_EUlibE_EEviT1_,"axG",@progbits,_ZN2at6native32elementwise_kernel_manual_unrollILi128ELi4EZNS0_22gpu_kernel_impl_nocastIZZZNS0_12_GLOBAL__N_116addr_kernel_cudaERNS_14TensorIteratorERKN3c106ScalarES9_ENKUlvE_clEvENKUlvE5_clEvEUlfffE_EEvRNS_18TensorIteratorBaseERKT_EUlibE_EEviT1_,comdat
.Lfunc_end117:
	.size	_ZN2at6native32elementwise_kernel_manual_unrollILi128ELi4EZNS0_22gpu_kernel_impl_nocastIZZZNS0_12_GLOBAL__N_116addr_kernel_cudaERNS_14TensorIteratorERKN3c106ScalarES9_ENKUlvE_clEvENKUlvE5_clEvEUlfffE_EEvRNS_18TensorIteratorBaseERKT_EUlibE_EEviT1_, .Lfunc_end117-_ZN2at6native32elementwise_kernel_manual_unrollILi128ELi4EZNS0_22gpu_kernel_impl_nocastIZZZNS0_12_GLOBAL__N_116addr_kernel_cudaERNS_14TensorIteratorERKN3c106ScalarES9_ENKUlvE_clEvENKUlvE5_clEvEUlfffE_EEvRNS_18TensorIteratorBaseERKT_EUlibE_EEviT1_
                                        ; -- End function
	.set _ZN2at6native32elementwise_kernel_manual_unrollILi128ELi4EZNS0_22gpu_kernel_impl_nocastIZZZNS0_12_GLOBAL__N_116addr_kernel_cudaERNS_14TensorIteratorERKN3c106ScalarES9_ENKUlvE_clEvENKUlvE5_clEvEUlfffE_EEvRNS_18TensorIteratorBaseERKT_EUlibE_EEviT1_.num_vgpr, 20
	.set _ZN2at6native32elementwise_kernel_manual_unrollILi128ELi4EZNS0_22gpu_kernel_impl_nocastIZZZNS0_12_GLOBAL__N_116addr_kernel_cudaERNS_14TensorIteratorERKN3c106ScalarES9_ENKUlvE_clEvENKUlvE5_clEvEUlfffE_EEvRNS_18TensorIteratorBaseERKT_EUlibE_EEviT1_.num_agpr, 0
	.set _ZN2at6native32elementwise_kernel_manual_unrollILi128ELi4EZNS0_22gpu_kernel_impl_nocastIZZZNS0_12_GLOBAL__N_116addr_kernel_cudaERNS_14TensorIteratorERKN3c106ScalarES9_ENKUlvE_clEvENKUlvE5_clEvEUlfffE_EEvRNS_18TensorIteratorBaseERKT_EUlibE_EEviT1_.numbered_sgpr, 45
	.set _ZN2at6native32elementwise_kernel_manual_unrollILi128ELi4EZNS0_22gpu_kernel_impl_nocastIZZZNS0_12_GLOBAL__N_116addr_kernel_cudaERNS_14TensorIteratorERKN3c106ScalarES9_ENKUlvE_clEvENKUlvE5_clEvEUlfffE_EEvRNS_18TensorIteratorBaseERKT_EUlibE_EEviT1_.num_named_barrier, 0
	.set _ZN2at6native32elementwise_kernel_manual_unrollILi128ELi4EZNS0_22gpu_kernel_impl_nocastIZZZNS0_12_GLOBAL__N_116addr_kernel_cudaERNS_14TensorIteratorERKN3c106ScalarES9_ENKUlvE_clEvENKUlvE5_clEvEUlfffE_EEvRNS_18TensorIteratorBaseERKT_EUlibE_EEviT1_.private_seg_size, 0
	.set _ZN2at6native32elementwise_kernel_manual_unrollILi128ELi4EZNS0_22gpu_kernel_impl_nocastIZZZNS0_12_GLOBAL__N_116addr_kernel_cudaERNS_14TensorIteratorERKN3c106ScalarES9_ENKUlvE_clEvENKUlvE5_clEvEUlfffE_EEvRNS_18TensorIteratorBaseERKT_EUlibE_EEviT1_.uses_vcc, 1
	.set _ZN2at6native32elementwise_kernel_manual_unrollILi128ELi4EZNS0_22gpu_kernel_impl_nocastIZZZNS0_12_GLOBAL__N_116addr_kernel_cudaERNS_14TensorIteratorERKN3c106ScalarES9_ENKUlvE_clEvENKUlvE5_clEvEUlfffE_EEvRNS_18TensorIteratorBaseERKT_EUlibE_EEviT1_.uses_flat_scratch, 0
	.set _ZN2at6native32elementwise_kernel_manual_unrollILi128ELi4EZNS0_22gpu_kernel_impl_nocastIZZZNS0_12_GLOBAL__N_116addr_kernel_cudaERNS_14TensorIteratorERKN3c106ScalarES9_ENKUlvE_clEvENKUlvE5_clEvEUlfffE_EEvRNS_18TensorIteratorBaseERKT_EUlibE_EEviT1_.has_dyn_sized_stack, 0
	.set _ZN2at6native32elementwise_kernel_manual_unrollILi128ELi4EZNS0_22gpu_kernel_impl_nocastIZZZNS0_12_GLOBAL__N_116addr_kernel_cudaERNS_14TensorIteratorERKN3c106ScalarES9_ENKUlvE_clEvENKUlvE5_clEvEUlfffE_EEvRNS_18TensorIteratorBaseERKT_EUlibE_EEviT1_.has_recursion, 0
	.set _ZN2at6native32elementwise_kernel_manual_unrollILi128ELi4EZNS0_22gpu_kernel_impl_nocastIZZZNS0_12_GLOBAL__N_116addr_kernel_cudaERNS_14TensorIteratorERKN3c106ScalarES9_ENKUlvE_clEvENKUlvE5_clEvEUlfffE_EEvRNS_18TensorIteratorBaseERKT_EUlibE_EEviT1_.has_indirect_call, 0
	.section	.AMDGPU.csdata,"",@progbits
; Kernel info:
; codeLenInByte = 5672
; TotalNumSgprs: 47
; NumVgprs: 20
; ScratchSize: 0
; MemoryBound: 0
; FloatMode: 240
; IeeeMode: 1
; LDSByteSize: 0 bytes/workgroup (compile time only)
; SGPRBlocks: 0
; VGPRBlocks: 1
; NumSGPRsForWavesPerEU: 47
; NumVGPRsForWavesPerEU: 20
; NamedBarCnt: 0
; Occupancy: 16
; WaveLimiterHint : 1
; COMPUTE_PGM_RSRC2:SCRATCH_EN: 0
; COMPUTE_PGM_RSRC2:USER_SGPR: 2
; COMPUTE_PGM_RSRC2:TRAP_HANDLER: 0
; COMPUTE_PGM_RSRC2:TGID_X_EN: 1
; COMPUTE_PGM_RSRC2:TGID_Y_EN: 0
; COMPUTE_PGM_RSRC2:TGID_Z_EN: 0
; COMPUTE_PGM_RSRC2:TIDIG_COMP_CNT: 0
	.section	.text._ZN2at6native32elementwise_kernel_manual_unrollILi128ELi4EZNS0_15gpu_kernel_implIZZZNS0_12_GLOBAL__N_116addr_kernel_cudaERNS_14TensorIteratorERKN3c106ScalarES9_ENKUlvE_clEvENKUlvE5_clEvEUlfffE_EEvRNS_18TensorIteratorBaseERKT_EUlibE_EEviT1_,"axG",@progbits,_ZN2at6native32elementwise_kernel_manual_unrollILi128ELi4EZNS0_15gpu_kernel_implIZZZNS0_12_GLOBAL__N_116addr_kernel_cudaERNS_14TensorIteratorERKN3c106ScalarES9_ENKUlvE_clEvENKUlvE5_clEvEUlfffE_EEvRNS_18TensorIteratorBaseERKT_EUlibE_EEviT1_,comdat
	.globl	_ZN2at6native32elementwise_kernel_manual_unrollILi128ELi4EZNS0_15gpu_kernel_implIZZZNS0_12_GLOBAL__N_116addr_kernel_cudaERNS_14TensorIteratorERKN3c106ScalarES9_ENKUlvE_clEvENKUlvE5_clEvEUlfffE_EEvRNS_18TensorIteratorBaseERKT_EUlibE_EEviT1_ ; -- Begin function _ZN2at6native32elementwise_kernel_manual_unrollILi128ELi4EZNS0_15gpu_kernel_implIZZZNS0_12_GLOBAL__N_116addr_kernel_cudaERNS_14TensorIteratorERKN3c106ScalarES9_ENKUlvE_clEvENKUlvE5_clEvEUlfffE_EEvRNS_18TensorIteratorBaseERKT_EUlibE_EEviT1_
	.p2align	8
	.type	_ZN2at6native32elementwise_kernel_manual_unrollILi128ELi4EZNS0_15gpu_kernel_implIZZZNS0_12_GLOBAL__N_116addr_kernel_cudaERNS_14TensorIteratorERKN3c106ScalarES9_ENKUlvE_clEvENKUlvE5_clEvEUlfffE_EEvRNS_18TensorIteratorBaseERKT_EUlibE_EEviT1_,@function
_ZN2at6native32elementwise_kernel_manual_unrollILi128ELi4EZNS0_15gpu_kernel_implIZZZNS0_12_GLOBAL__N_116addr_kernel_cudaERNS_14TensorIteratorERKN3c106ScalarES9_ENKUlvE_clEvENKUlvE5_clEvEUlfffE_EEvRNS_18TensorIteratorBaseERKT_EUlibE_EEviT1_: ; @_ZN2at6native32elementwise_kernel_manual_unrollILi128ELi4EZNS0_15gpu_kernel_implIZZZNS0_12_GLOBAL__N_116addr_kernel_cudaERNS_14TensorIteratorERKN3c106ScalarES9_ENKUlvE_clEvENKUlvE5_clEvEUlfffE_EEvRNS_18TensorIteratorBaseERKT_EUlibE_EEviT1_
; %bb.0:
	s_load_b128 s[4:7], s[0:1], 0x30
	s_bfe_u32 s8, ttmp6, 0x4000c
	s_clause 0x1
	s_load_b32 s18, s[0:1], 0x0
	s_load_b64 s[2:3], s[0:1], 0x8
	s_add_co_i32 s13, s8, 1
	s_clause 0x1
	s_load_b128 s[8:11], s[0:1], 0x18
	s_load_b32 s12, s[0:1], 0x28
	s_and_b32 s14, ttmp6, 15
	s_wait_xcnt 0x0
	s_mul_i32 s0, ttmp9, s13
	s_getreg_b32 s16, hwreg(HW_REG_IB_STS2, 6, 4)
	s_add_co_i32 s14, s14, s0
	s_mov_b32 s17, 0
	s_wait_kmcnt 0x0
	s_lshr_b32 s13, s7, 16
	s_lshr_b32 s15, s7, 8
	s_lshr_b32 s1, s7, 24
	s_cmp_eq_u32 s16, 0
	s_cselect_b32 s0, ttmp9, s14
	s_mov_b32 s14, 0
	v_lshl_or_b32 v6, s0, 9, v0
	s_mov_b32 s0, exec_lo
	s_delay_alu instid0(VALU_DEP_1) | instskip(NEXT) | instid1(VALU_DEP_1)
	v_or_b32_e32 v0, 0x180, v6
	v_cmpx_le_i32_e64 s18, v0
	s_xor_b32 s16, exec_lo, s0
	s_cbranch_execz .LBB118_1624
; %bb.1:
	s_mov_b32 s0, -1
	s_mov_b32 s23, 0
	s_mov_b32 s21, 0
	;; [unrolled: 1-line block ×4, first 2 shown]
	s_mov_b32 s22, exec_lo
	v_cmpx_gt_i32_e64 s18, v6
	s_cbranch_execz .LBB118_402
; %bb.2:
	s_and_b32 s17, s15, 0xff
	s_delay_alu instid0(SALU_CYCLE_1)
	s_cmp_lt_i32 s17, 23
	s_cbranch_scc1 .LBB118_6
; %bb.3:
	s_and_b32 s19, 0xffff, s17
	s_delay_alu instid0(SALU_CYCLE_1)
	s_cmp_gt_i32 s19, 43
	s_cbranch_scc0 .LBB118_7
; %bb.4:
	s_cmp_gt_i32 s19, 45
	s_cbranch_scc0 .LBB118_8
; %bb.5:
	s_cmp_eq_u32 s19, 46
	s_mov_b32 s21, -1
	s_cselect_b32 s0, -1, 0
	s_branch .LBB118_9
.LBB118_6:
	s_mov_b32 s0, 0
	s_cbranch_execnz .LBB118_14
	s_branch .LBB118_18
.LBB118_7:
	s_mov_b32 s0, 0
	s_cbranch_execnz .LBB118_12
	s_branch .LBB118_13
.LBB118_8:
	s_mov_b32 s20, -1
	s_mov_b32 s0, 0
.LBB118_9:
	s_and_not1_b32 vcc_lo, exec_lo, s20
	s_cbranch_vccnz .LBB118_11
; %bb.10:
	s_cmp_eq_u32 s19, 44
	s_cselect_b32 s0, -1, 0
	s_cmp_lg_u32 s19, 44
	s_cselect_b32 s21, -1, 0
.LBB118_11:
	s_branch .LBB118_13
.LBB118_12:
	s_cmp_lt_i32 s19, 30
	s_cselect_b32 s0, -1, 0
	s_cmp_gt_i32 s19, 29
	s_cselect_b32 s21, -1, 0
.LBB118_13:
	s_branch .LBB118_18
.LBB118_14:
	s_and_b32 s17, 0xffff, s17
	s_mov_b32 s19, -1
	s_cmp_gt_i32 s17, 14
	s_cbranch_scc0 .LBB118_16
; %bb.15:
	s_cmp_eq_u32 s17, 15
	s_mov_b32 s19, 0
	s_cselect_b32 s0, -1, 0
	s_cmp_lg_u32 s17, 15
	s_cselect_b32 s21, -1, 0
.LBB118_16:
	s_and_not1_b32 vcc_lo, exec_lo, s19
	s_cbranch_vccnz .LBB118_18
; %bb.17:
	s_cmp_lt_i32 s17, 12
	s_cselect_b32 s0, -1, 0
	s_cmp_gt_i32 s17, 11
	s_cselect_b32 s21, -1, 0
.LBB118_18:
	s_and_b32 vcc_lo, exec_lo, s0
	s_cbranch_vccz .LBB118_26
; %bb.19:
	v_mul_lo_u32 v0, v6, s4
	s_and_b32 s0, s13, 0xff
	s_delay_alu instid0(SALU_CYCLE_1) | instskip(NEXT) | instid1(VALU_DEP_1)
	s_cmp_lt_i32 s0, 11
	v_ashrrev_i32_e32 v1, 31, v0
	s_delay_alu instid0(VALU_DEP_1)
	v_add_nc_u64_e32 v[0:1], s[8:9], v[0:1]
	s_cbranch_scc1 .LBB118_28
; %bb.20:
	s_and_b32 s17, 0xffff, s0
	s_delay_alu instid0(SALU_CYCLE_1)
	s_cmp_gt_i32 s17, 25
	s_cbranch_scc0 .LBB118_29
; %bb.21:
	s_cmp_gt_i32 s17, 28
	s_cbranch_scc0 .LBB118_30
; %bb.22:
	;; [unrolled: 3-line block ×4, first 2 shown]
	s_cmp_eq_u32 s17, 46
	s_mov_b32 s21, 0
	s_cbranch_scc0 .LBB118_33
; %bb.25:
	global_load_b32 v2, v[0:1], off
	s_mov_b32 s19, -1
	s_mov_b32 s20, 0
	s_wait_loadcnt 0x0
	v_lshlrev_b32_e32 v2, 16, v2
	s_branch .LBB118_35
.LBB118_26:
	s_mov_b32 s0, 0
	s_mov_b32 s19, 0
	;; [unrolled: 1-line block ×3, first 2 shown]
.LBB118_27:
	s_mov_b32 s24, 0
                                        ; implicit-def: $vgpr6
	s_branch .LBB118_401
.LBB118_28:
	s_mov_b32 s20, 0
	s_mov_b32 s19, 0
                                        ; implicit-def: $vgpr2
	s_cbranch_execnz .LBB118_100
	s_branch .LBB118_148
.LBB118_29:
	s_mov_b32 s21, -1
	s_mov_b32 s20, 0
	s_mov_b32 s19, 0
                                        ; implicit-def: $vgpr2
	s_branch .LBB118_64
.LBB118_30:
	s_mov_b32 s21, -1
	s_mov_b32 s20, 0
	s_mov_b32 s19, 0
                                        ; implicit-def: $vgpr2
	s_branch .LBB118_45
.LBB118_31:
	s_mov_b32 s21, -1
	s_mov_b32 s20, 0
	s_mov_b32 s19, 0
                                        ; implicit-def: $vgpr2
	s_branch .LBB118_40
.LBB118_32:
	s_mov_b32 s21, -1
	s_mov_b32 s20, 0
	s_branch .LBB118_34
.LBB118_33:
	s_mov_b32 s20, -1
.LBB118_34:
	s_mov_b32 s19, 0
                                        ; implicit-def: $vgpr2
.LBB118_35:
	s_and_b32 vcc_lo, exec_lo, s21
	s_cbranch_vccz .LBB118_39
; %bb.36:
	s_cmp_eq_u32 s17, 44
	s_cbranch_scc0 .LBB118_38
; %bb.37:
	global_load_u8 v2, v[0:1], off
	s_mov_b32 s20, 0
	s_mov_b32 s19, -1
	s_wait_loadcnt 0x0
	v_lshlrev_b32_e32 v3, 23, v2
	v_cmp_ne_u32_e32 vcc_lo, 0xff, v2
	s_delay_alu instid0(VALU_DEP_2) | instskip(SKIP_1) | instid1(VALU_DEP_2)
	v_cndmask_b32_e32 v3, 0x7f800001, v3, vcc_lo
	v_cmp_ne_u32_e32 vcc_lo, 0, v2
	v_cndmask_b32_e32 v2, 0x400000, v3, vcc_lo
	s_branch .LBB118_39
.LBB118_38:
	s_mov_b32 s20, -1
                                        ; implicit-def: $vgpr2
.LBB118_39:
	s_mov_b32 s21, 0
.LBB118_40:
	s_delay_alu instid0(SALU_CYCLE_1)
	s_and_b32 vcc_lo, exec_lo, s21
	s_cbranch_vccz .LBB118_44
; %bb.41:
	s_cmp_eq_u32 s17, 29
	s_cbranch_scc0 .LBB118_43
; %bb.42:
	global_load_b64 v[2:3], v[0:1], off
	s_mov_b32 s19, -1
	s_mov_b32 s20, 0
	s_mov_b32 s21, 0
	s_wait_loadcnt 0x0
	v_clz_i32_u32_e32 v4, v3
	s_delay_alu instid0(VALU_DEP_1) | instskip(NEXT) | instid1(VALU_DEP_1)
	v_min_u32_e32 v4, 32, v4
	v_lshlrev_b64_e32 v[2:3], v4, v[2:3]
	s_delay_alu instid0(VALU_DEP_1) | instskip(NEXT) | instid1(VALU_DEP_1)
	v_min_u32_e32 v2, 1, v2
	v_dual_sub_nc_u32 v3, 32, v4 :: v_dual_bitop2_b32 v2, v3, v2 bitop3:0x54
	s_delay_alu instid0(VALU_DEP_1) | instskip(NEXT) | instid1(VALU_DEP_1)
	v_cvt_f32_u32_e32 v2, v2
	v_ldexp_f32 v2, v2, v3
	s_branch .LBB118_45
.LBB118_43:
	s_mov_b32 s20, -1
                                        ; implicit-def: $vgpr2
.LBB118_44:
	s_mov_b32 s21, 0
.LBB118_45:
	s_delay_alu instid0(SALU_CYCLE_1)
	s_and_b32 vcc_lo, exec_lo, s21
	s_cbranch_vccz .LBB118_63
; %bb.46:
	s_cmp_lt_i32 s17, 27
	s_cbranch_scc1 .LBB118_49
; %bb.47:
	s_cmp_gt_i32 s17, 27
	s_cbranch_scc0 .LBB118_50
; %bb.48:
	global_load_b32 v2, v[0:1], off
	s_mov_b32 s19, 0
	s_wait_loadcnt 0x0
	v_cvt_f32_u32_e32 v2, v2
	s_branch .LBB118_51
.LBB118_49:
	s_mov_b32 s19, -1
                                        ; implicit-def: $vgpr2
	s_branch .LBB118_54
.LBB118_50:
	s_mov_b32 s19, -1
                                        ; implicit-def: $vgpr2
.LBB118_51:
	s_delay_alu instid0(SALU_CYCLE_1)
	s_and_not1_b32 vcc_lo, exec_lo, s19
	s_cbranch_vccnz .LBB118_53
; %bb.52:
	global_load_u16 v2, v[0:1], off
	s_wait_loadcnt 0x0
	v_cvt_f32_u32_e32 v2, v2
.LBB118_53:
	s_mov_b32 s19, 0
.LBB118_54:
	s_delay_alu instid0(SALU_CYCLE_1)
	s_and_not1_b32 vcc_lo, exec_lo, s19
	s_cbranch_vccnz .LBB118_62
; %bb.55:
	global_load_u8 v3, v[0:1], off
	s_mov_b32 s19, 0
	s_mov_b32 s21, exec_lo
	s_wait_loadcnt 0x0
	v_cmpx_lt_i16_e32 0x7f, v3
	s_xor_b32 s21, exec_lo, s21
	s_cbranch_execz .LBB118_76
; %bb.56:
	s_mov_b32 s19, -1
	s_mov_b32 s24, exec_lo
	v_cmpx_eq_u16_e32 0x80, v3
; %bb.57:
	s_xor_b32 s19, exec_lo, -1
; %bb.58:
	s_or_b32 exec_lo, exec_lo, s24
	s_delay_alu instid0(SALU_CYCLE_1)
	s_and_b32 s19, s19, exec_lo
	s_or_saveexec_b32 s21, s21
	v_mov_b32_e32 v2, 0x7f800001
	s_xor_b32 exec_lo, exec_lo, s21
	s_cbranch_execnz .LBB118_77
.LBB118_59:
	s_or_b32 exec_lo, exec_lo, s21
	s_and_saveexec_b32 s21, s19
	s_cbranch_execz .LBB118_61
.LBB118_60:
	v_and_b32_e32 v2, 0xffff, v3
	s_delay_alu instid0(VALU_DEP_1) | instskip(SKIP_1) | instid1(VALU_DEP_2)
	v_and_b32_e32 v4, 7, v2
	v_bfe_u32 v8, v2, 3, 4
	v_clz_i32_u32_e32 v5, v4
	s_delay_alu instid0(VALU_DEP_2) | instskip(NEXT) | instid1(VALU_DEP_2)
	v_cmp_eq_u32_e32 vcc_lo, 0, v8
	v_min_u32_e32 v5, 32, v5
	s_delay_alu instid0(VALU_DEP_1) | instskip(NEXT) | instid1(VALU_DEP_1)
	v_subrev_nc_u32_e32 v7, 28, v5
	v_dual_lshlrev_b32 v2, v7, v2 :: v_dual_sub_nc_u32 v5, 29, v5
	s_delay_alu instid0(VALU_DEP_1) | instskip(NEXT) | instid1(VALU_DEP_2)
	v_dual_lshlrev_b32 v3, 24, v3 :: v_dual_bitop2_b32 v2, 7, v2 bitop3:0x40
	v_cndmask_b32_e32 v5, v8, v5, vcc_lo
	s_delay_alu instid0(VALU_DEP_2) | instskip(NEXT) | instid1(VALU_DEP_3)
	v_cndmask_b32_e32 v2, v4, v2, vcc_lo
	v_and_b32_e32 v3, 0x80000000, v3
	s_delay_alu instid0(VALU_DEP_3) | instskip(NEXT) | instid1(VALU_DEP_3)
	v_lshl_add_u32 v4, v5, 23, 0x3b800000
	v_lshlrev_b32_e32 v2, 20, v2
	s_delay_alu instid0(VALU_DEP_1)
	v_or3_b32 v2, v3, v4, v2
.LBB118_61:
	s_or_b32 exec_lo, exec_lo, s21
.LBB118_62:
	s_mov_b32 s19, -1
.LBB118_63:
	s_mov_b32 s21, 0
.LBB118_64:
	s_delay_alu instid0(SALU_CYCLE_1)
	s_and_b32 vcc_lo, exec_lo, s21
	s_cbranch_vccz .LBB118_99
; %bb.65:
	s_cmp_gt_i32 s17, 22
	s_cbranch_scc0 .LBB118_75
; %bb.66:
	s_cmp_lt_i32 s17, 24
	s_cbranch_scc1 .LBB118_78
; %bb.67:
	s_cmp_gt_i32 s17, 24
	s_cbranch_scc0 .LBB118_79
; %bb.68:
	global_load_u8 v3, v[0:1], off
	s_mov_b32 s19, 0
	s_mov_b32 s21, exec_lo
	s_wait_loadcnt 0x0
	v_cmpx_lt_i16_e32 0x7f, v3
	s_xor_b32 s21, exec_lo, s21
	s_cbranch_execz .LBB118_91
; %bb.69:
	s_mov_b32 s19, -1
	s_mov_b32 s24, exec_lo
	v_cmpx_eq_u16_e32 0x80, v3
; %bb.70:
	s_xor_b32 s19, exec_lo, -1
; %bb.71:
	s_or_b32 exec_lo, exec_lo, s24
	s_delay_alu instid0(SALU_CYCLE_1)
	s_and_b32 s19, s19, exec_lo
	s_or_saveexec_b32 s21, s21
	v_mov_b32_e32 v2, 0x7f800001
	s_xor_b32 exec_lo, exec_lo, s21
	s_cbranch_execnz .LBB118_92
.LBB118_72:
	s_or_b32 exec_lo, exec_lo, s21
	s_and_saveexec_b32 s21, s19
	s_cbranch_execz .LBB118_74
.LBB118_73:
	v_and_b32_e32 v2, 0xffff, v3
	s_delay_alu instid0(VALU_DEP_1) | instskip(SKIP_1) | instid1(VALU_DEP_2)
	v_and_b32_e32 v4, 3, v2
	v_bfe_u32 v8, v2, 2, 5
	v_clz_i32_u32_e32 v5, v4
	s_delay_alu instid0(VALU_DEP_2) | instskip(NEXT) | instid1(VALU_DEP_2)
	v_cmp_eq_u32_e32 vcc_lo, 0, v8
	v_min_u32_e32 v5, 32, v5
	s_delay_alu instid0(VALU_DEP_1) | instskip(NEXT) | instid1(VALU_DEP_1)
	v_subrev_nc_u32_e32 v7, 29, v5
	v_dual_lshlrev_b32 v2, v7, v2 :: v_dual_sub_nc_u32 v5, 30, v5
	s_delay_alu instid0(VALU_DEP_1) | instskip(NEXT) | instid1(VALU_DEP_2)
	v_dual_lshlrev_b32 v3, 24, v3 :: v_dual_bitop2_b32 v2, 3, v2 bitop3:0x40
	v_cndmask_b32_e32 v5, v8, v5, vcc_lo
	s_delay_alu instid0(VALU_DEP_2) | instskip(NEXT) | instid1(VALU_DEP_3)
	v_cndmask_b32_e32 v2, v4, v2, vcc_lo
	v_and_b32_e32 v3, 0x80000000, v3
	s_delay_alu instid0(VALU_DEP_3) | instskip(NEXT) | instid1(VALU_DEP_3)
	v_lshl_add_u32 v4, v5, 23, 0x37800000
	v_lshlrev_b32_e32 v2, 21, v2
	s_delay_alu instid0(VALU_DEP_1)
	v_or3_b32 v2, v3, v4, v2
.LBB118_74:
	s_or_b32 exec_lo, exec_lo, s21
	s_mov_b32 s19, 0
	s_branch .LBB118_80
.LBB118_75:
	s_mov_b32 s21, -1
                                        ; implicit-def: $vgpr2
	s_branch .LBB118_86
.LBB118_76:
	s_or_saveexec_b32 s21, s21
	v_mov_b32_e32 v2, 0x7f800001
	s_xor_b32 exec_lo, exec_lo, s21
	s_cbranch_execz .LBB118_59
.LBB118_77:
	v_cmp_ne_u16_e32 vcc_lo, 0, v3
	v_mov_b32_e32 v2, 0
	s_and_not1_b32 s19, s19, exec_lo
	s_and_b32 s24, vcc_lo, exec_lo
	s_delay_alu instid0(SALU_CYCLE_1)
	s_or_b32 s19, s19, s24
	s_or_b32 exec_lo, exec_lo, s21
	s_and_saveexec_b32 s21, s19
	s_cbranch_execnz .LBB118_60
	s_branch .LBB118_61
.LBB118_78:
	s_mov_b32 s19, -1
                                        ; implicit-def: $vgpr2
	s_branch .LBB118_83
.LBB118_79:
	s_mov_b32 s19, -1
                                        ; implicit-def: $vgpr2
.LBB118_80:
	s_delay_alu instid0(SALU_CYCLE_1)
	s_and_b32 vcc_lo, exec_lo, s19
	s_cbranch_vccz .LBB118_82
; %bb.81:
	global_load_u8 v2, v[0:1], off
	s_wait_loadcnt 0x0
	v_lshlrev_b32_e32 v2, 24, v2
	s_delay_alu instid0(VALU_DEP_1) | instskip(NEXT) | instid1(VALU_DEP_1)
	v_and_b32_e32 v3, 0x7f000000, v2
	v_clz_i32_u32_e32 v4, v3
	v_add_nc_u32_e32 v7, 0x1000000, v3
	v_cmp_ne_u32_e32 vcc_lo, 0, v3
	s_delay_alu instid0(VALU_DEP_3) | instskip(NEXT) | instid1(VALU_DEP_1)
	v_min_u32_e32 v4, 32, v4
	v_sub_nc_u32_e64 v4, v4, 4 clamp
	s_delay_alu instid0(VALU_DEP_1) | instskip(NEXT) | instid1(VALU_DEP_1)
	v_dual_lshlrev_b32 v5, v4, v3 :: v_dual_lshlrev_b32 v4, 23, v4
	v_lshrrev_b32_e32 v5, 4, v5
	s_delay_alu instid0(VALU_DEP_1) | instskip(NEXT) | instid1(VALU_DEP_1)
	v_dual_sub_nc_u32 v4, v5, v4 :: v_dual_ashrrev_i32 v5, 8, v7
	v_add_nc_u32_e32 v4, 0x3c000000, v4
	s_delay_alu instid0(VALU_DEP_1) | instskip(NEXT) | instid1(VALU_DEP_1)
	v_and_or_b32 v4, 0x7f800000, v5, v4
	v_cndmask_b32_e32 v3, 0, v4, vcc_lo
	s_delay_alu instid0(VALU_DEP_1)
	v_and_or_b32 v2, 0x80000000, v2, v3
.LBB118_82:
	s_mov_b32 s19, 0
.LBB118_83:
	s_delay_alu instid0(SALU_CYCLE_1)
	s_and_not1_b32 vcc_lo, exec_lo, s19
	s_cbranch_vccnz .LBB118_85
; %bb.84:
	global_load_u8 v2, v[0:1], off
	s_wait_loadcnt 0x0
	v_lshlrev_b32_e32 v3, 25, v2
	v_lshlrev_b16 v2, 8, v2
	s_delay_alu instid0(VALU_DEP_1) | instskip(SKIP_1) | instid1(VALU_DEP_2)
	v_and_or_b32 v5, 0x7f00, v2, 0.5
	v_bfe_i32 v2, v2, 0, 16
	v_dual_add_f32 v5, -0.5, v5 :: v_dual_lshrrev_b32 v4, 4, v3
	v_cmp_gt_u32_e32 vcc_lo, 0x8000000, v3
	s_delay_alu instid0(VALU_DEP_2) | instskip(NEXT) | instid1(VALU_DEP_1)
	v_or_b32_e32 v4, 0x70000000, v4
	v_mul_f32_e32 v4, 0x7800000, v4
	s_delay_alu instid0(VALU_DEP_1) | instskip(NEXT) | instid1(VALU_DEP_1)
	v_cndmask_b32_e32 v3, v4, v5, vcc_lo
	v_and_or_b32 v2, 0x80000000, v2, v3
.LBB118_85:
	s_mov_b32 s21, 0
	s_mov_b32 s19, -1
.LBB118_86:
	s_and_not1_b32 vcc_lo, exec_lo, s21
	s_cbranch_vccnz .LBB118_99
; %bb.87:
	s_cmp_gt_i32 s17, 14
	s_cbranch_scc0 .LBB118_90
; %bb.88:
	s_cmp_eq_u32 s17, 15
	s_cbranch_scc0 .LBB118_93
; %bb.89:
	global_load_u16 v2, v[0:1], off
	s_mov_b32 s19, -1
	s_mov_b32 s20, 0
	s_wait_loadcnt 0x0
	v_lshlrev_b32_e32 v2, 16, v2
	s_branch .LBB118_94
.LBB118_90:
	s_mov_b32 s21, -1
                                        ; implicit-def: $vgpr2
	s_branch .LBB118_95
.LBB118_91:
	s_or_saveexec_b32 s21, s21
	v_mov_b32_e32 v2, 0x7f800001
	s_xor_b32 exec_lo, exec_lo, s21
	s_cbranch_execz .LBB118_72
.LBB118_92:
	v_cmp_ne_u16_e32 vcc_lo, 0, v3
	v_mov_b32_e32 v2, 0
	s_and_not1_b32 s19, s19, exec_lo
	s_and_b32 s24, vcc_lo, exec_lo
	s_delay_alu instid0(SALU_CYCLE_1)
	s_or_b32 s19, s19, s24
	s_or_b32 exec_lo, exec_lo, s21
	s_and_saveexec_b32 s21, s19
	s_cbranch_execnz .LBB118_73
	s_branch .LBB118_74
.LBB118_93:
	s_mov_b32 s20, -1
                                        ; implicit-def: $vgpr2
.LBB118_94:
	s_mov_b32 s21, 0
.LBB118_95:
	s_delay_alu instid0(SALU_CYCLE_1)
	s_and_b32 vcc_lo, exec_lo, s21
	s_cbranch_vccz .LBB118_99
; %bb.96:
	s_cmp_eq_u32 s17, 11
	s_cbranch_scc0 .LBB118_98
; %bb.97:
	global_load_u8 v2, v[0:1], off
	s_mov_b32 s20, 0
	s_mov_b32 s19, -1
	s_wait_loadcnt 0x0
	v_cmp_ne_u16_e32 vcc_lo, 0, v2
	v_cndmask_b32_e64 v2, 0, 1.0, vcc_lo
	s_branch .LBB118_99
.LBB118_98:
	s_mov_b32 s20, -1
                                        ; implicit-def: $vgpr2
.LBB118_99:
	s_branch .LBB118_148
.LBB118_100:
	s_and_b32 s0, 0xffff, s0
	s_delay_alu instid0(SALU_CYCLE_1)
	s_cmp_lt_i32 s0, 5
	s_cbranch_scc1 .LBB118_105
; %bb.101:
	s_cmp_lt_i32 s0, 8
	s_cbranch_scc1 .LBB118_106
; %bb.102:
	s_cmp_lt_i32 s0, 9
	s_cbranch_scc1 .LBB118_107
; %bb.103:
	s_cmp_gt_i32 s0, 9
	s_cbranch_scc0 .LBB118_108
; %bb.104:
	global_load_b64 v[2:3], v[0:1], off
	s_mov_b32 s17, 0
	s_wait_loadcnt 0x0
	v_cvt_f32_f64_e32 v2, v[2:3]
	s_branch .LBB118_109
.LBB118_105:
	s_mov_b32 s17, -1
                                        ; implicit-def: $vgpr2
	s_branch .LBB118_127
.LBB118_106:
	s_mov_b32 s17, -1
                                        ; implicit-def: $vgpr2
	s_branch .LBB118_115
.LBB118_107:
	s_mov_b32 s17, -1
                                        ; implicit-def: $vgpr2
	s_branch .LBB118_112
.LBB118_108:
	s_mov_b32 s17, -1
                                        ; implicit-def: $vgpr2
.LBB118_109:
	s_delay_alu instid0(SALU_CYCLE_1)
	s_and_not1_b32 vcc_lo, exec_lo, s17
	s_cbranch_vccnz .LBB118_111
; %bb.110:
	global_load_b32 v2, v[0:1], off
.LBB118_111:
	s_mov_b32 s17, 0
.LBB118_112:
	s_delay_alu instid0(SALU_CYCLE_1)
	s_and_not1_b32 vcc_lo, exec_lo, s17
	s_cbranch_vccnz .LBB118_114
; %bb.113:
	s_wait_loadcnt 0x0
	global_load_b32 v2, v[0:1], off
	s_wait_loadcnt 0x0
	v_cvt_f32_f16_e32 v2, v2
.LBB118_114:
	s_mov_b32 s17, 0
.LBB118_115:
	s_delay_alu instid0(SALU_CYCLE_1)
	s_and_not1_b32 vcc_lo, exec_lo, s17
	s_cbranch_vccnz .LBB118_126
; %bb.116:
	s_cmp_lt_i32 s0, 6
	s_cbranch_scc1 .LBB118_119
; %bb.117:
	s_cmp_gt_i32 s0, 6
	s_cbranch_scc0 .LBB118_120
; %bb.118:
	s_wait_loadcnt 0x0
	global_load_b64 v[2:3], v[0:1], off
	s_mov_b32 s17, 0
	s_wait_loadcnt 0x0
	v_cvt_f32_f64_e32 v2, v[2:3]
	s_branch .LBB118_121
.LBB118_119:
	s_mov_b32 s17, -1
                                        ; implicit-def: $vgpr2
	s_branch .LBB118_124
.LBB118_120:
	s_mov_b32 s17, -1
                                        ; implicit-def: $vgpr2
.LBB118_121:
	s_delay_alu instid0(SALU_CYCLE_1)
	s_and_not1_b32 vcc_lo, exec_lo, s17
	s_cbranch_vccnz .LBB118_123
; %bb.122:
	s_wait_loadcnt 0x0
	global_load_b32 v2, v[0:1], off
.LBB118_123:
	s_mov_b32 s17, 0
.LBB118_124:
	s_delay_alu instid0(SALU_CYCLE_1)
	s_and_not1_b32 vcc_lo, exec_lo, s17
	s_cbranch_vccnz .LBB118_126
; %bb.125:
	s_wait_loadcnt 0x0
	global_load_u16 v2, v[0:1], off
	s_wait_loadcnt 0x0
	v_cvt_f32_f16_e32 v2, v2
.LBB118_126:
	s_mov_b32 s17, 0
.LBB118_127:
	s_delay_alu instid0(SALU_CYCLE_1)
	s_and_not1_b32 vcc_lo, exec_lo, s17
	s_cbranch_vccnz .LBB118_147
; %bb.128:
	s_cmp_lt_i32 s0, 2
	s_cbranch_scc1 .LBB118_132
; %bb.129:
	s_cmp_lt_i32 s0, 3
	s_cbranch_scc1 .LBB118_133
; %bb.130:
	s_cmp_gt_i32 s0, 3
	s_cbranch_scc0 .LBB118_134
; %bb.131:
	s_wait_loadcnt 0x0
	global_load_b64 v[2:3], v[0:1], off
	s_mov_b32 s17, 0
	s_wait_loadcnt 0x0
	v_xor_b32_e32 v4, v2, v3
	v_cls_i32_e32 v5, v3
	s_delay_alu instid0(VALU_DEP_2) | instskip(NEXT) | instid1(VALU_DEP_1)
	v_ashrrev_i32_e32 v4, 31, v4
	v_add_nc_u32_e32 v4, 32, v4
	s_delay_alu instid0(VALU_DEP_1) | instskip(NEXT) | instid1(VALU_DEP_1)
	v_add_min_u32_e64 v4, v5, -1, v4
	v_lshlrev_b64_e32 v[2:3], v4, v[2:3]
	s_delay_alu instid0(VALU_DEP_1) | instskip(NEXT) | instid1(VALU_DEP_1)
	v_min_u32_e32 v2, 1, v2
	v_dual_sub_nc_u32 v3, 32, v4 :: v_dual_bitop2_b32 v2, v3, v2 bitop3:0x54
	s_delay_alu instid0(VALU_DEP_1) | instskip(NEXT) | instid1(VALU_DEP_1)
	v_cvt_f32_i32_e32 v2, v2
	v_ldexp_f32 v2, v2, v3
	s_branch .LBB118_135
.LBB118_132:
	s_mov_b32 s17, -1
                                        ; implicit-def: $vgpr2
	s_branch .LBB118_141
.LBB118_133:
	s_mov_b32 s17, -1
                                        ; implicit-def: $vgpr2
	s_branch .LBB118_138
.LBB118_134:
	s_mov_b32 s17, -1
                                        ; implicit-def: $vgpr2
.LBB118_135:
	s_delay_alu instid0(SALU_CYCLE_1)
	s_and_not1_b32 vcc_lo, exec_lo, s17
	s_cbranch_vccnz .LBB118_137
; %bb.136:
	s_wait_loadcnt 0x0
	global_load_b32 v2, v[0:1], off
	s_wait_loadcnt 0x0
	v_cvt_f32_i32_e32 v2, v2
.LBB118_137:
	s_mov_b32 s17, 0
.LBB118_138:
	s_delay_alu instid0(SALU_CYCLE_1)
	s_and_not1_b32 vcc_lo, exec_lo, s17
	s_cbranch_vccnz .LBB118_140
; %bb.139:
	s_wait_loadcnt 0x0
	global_load_i16 v2, v[0:1], off
	s_wait_loadcnt 0x0
	v_cvt_f32_i32_e32 v2, v2
.LBB118_140:
	s_mov_b32 s17, 0
.LBB118_141:
	s_delay_alu instid0(SALU_CYCLE_1)
	s_and_not1_b32 vcc_lo, exec_lo, s17
	s_cbranch_vccnz .LBB118_147
; %bb.142:
	s_cmp_gt_i32 s0, 0
	s_mov_b32 s0, 0
	s_cbranch_scc0 .LBB118_144
; %bb.143:
	s_wait_loadcnt 0x0
	global_load_i8 v2, v[0:1], off
	s_wait_loadcnt 0x0
	v_cvt_f32_i32_e32 v2, v2
	s_branch .LBB118_145
.LBB118_144:
	s_mov_b32 s0, -1
                                        ; implicit-def: $vgpr2
.LBB118_145:
	s_delay_alu instid0(SALU_CYCLE_1)
	s_and_not1_b32 vcc_lo, exec_lo, s0
	s_cbranch_vccnz .LBB118_147
; %bb.146:
	global_load_u8 v0, v[0:1], off
	s_wait_loadcnt 0x0
	v_cvt_f32_ubyte0_e32 v2, v0
.LBB118_147:
	s_mov_b32 s19, -1
.LBB118_148:
	s_mov_b32 s21, 0
	s_mov_b32 s0, 0
	s_and_not1_b32 vcc_lo, exec_lo, s19
	s_mov_b32 s19, 0
	s_mov_b32 s24, 0
	s_cbranch_vccnz .LBB118_401
; %bb.149:
	s_wait_xcnt 0x0
	v_mul_lo_u32 v0, v6, s5
	s_and_b32 s0, 0xffff, s1
	s_delay_alu instid0(SALU_CYCLE_1) | instskip(NEXT) | instid1(VALU_DEP_1)
	s_cmp_lt_i32 s0, 11
	v_ashrrev_i32_e32 v1, 31, v0
	s_delay_alu instid0(VALU_DEP_1)
	v_add_nc_u64_e32 v[0:1], s[10:11], v[0:1]
	s_cbranch_scc1 .LBB118_156
; %bb.150:
	s_cmp_gt_i32 s0, 25
	s_cbranch_scc0 .LBB118_157
; %bb.151:
	s_cmp_gt_i32 s0, 28
	s_cbranch_scc0 .LBB118_158
	;; [unrolled: 3-line block ×4, first 2 shown]
; %bb.154:
	s_cmp_eq_u32 s0, 46
	s_cbranch_scc0 .LBB118_161
; %bb.155:
	global_load_b32 v3, v[0:1], off
	s_mov_b32 s17, -1
	s_wait_loadcnt 0x0
	v_lshlrev_b32_e32 v3, 16, v3
	s_branch .LBB118_163
.LBB118_156:
	s_mov_b32 s24, -1
	s_mov_b32 s17, 0
                                        ; implicit-def: $vgpr3
	s_branch .LBB118_228
.LBB118_157:
	s_mov_b32 s24, -1
	s_mov_b32 s17, 0
                                        ; implicit-def: $vgpr3
	s_branch .LBB118_192
.LBB118_158:
	s_mov_b32 s24, -1
	s_mov_b32 s17, 0
                                        ; implicit-def: $vgpr3
	s_branch .LBB118_173
.LBB118_159:
	s_mov_b32 s24, -1
	s_mov_b32 s17, 0
                                        ; implicit-def: $vgpr3
	s_branch .LBB118_168
.LBB118_160:
	s_mov_b32 s24, -1
	s_branch .LBB118_162
.LBB118_161:
	s_mov_b32 s19, -1
.LBB118_162:
	s_mov_b32 s17, 0
                                        ; implicit-def: $vgpr3
.LBB118_163:
	s_and_b32 vcc_lo, exec_lo, s24
	s_cbranch_vccz .LBB118_167
; %bb.164:
	s_cmp_eq_u32 s0, 44
	s_cbranch_scc0 .LBB118_166
; %bb.165:
	global_load_u8 v3, v[0:1], off
	s_mov_b32 s19, 0
	s_mov_b32 s17, -1
	s_wait_loadcnt 0x0
	v_lshlrev_b32_e32 v4, 23, v3
	v_cmp_ne_u32_e32 vcc_lo, 0xff, v3
	s_delay_alu instid0(VALU_DEP_2) | instskip(SKIP_1) | instid1(VALU_DEP_2)
	v_cndmask_b32_e32 v4, 0x7f800001, v4, vcc_lo
	v_cmp_ne_u32_e32 vcc_lo, 0, v3
	v_cndmask_b32_e32 v3, 0x400000, v4, vcc_lo
	s_branch .LBB118_167
.LBB118_166:
	s_mov_b32 s19, -1
                                        ; implicit-def: $vgpr3
.LBB118_167:
	s_mov_b32 s24, 0
.LBB118_168:
	s_delay_alu instid0(SALU_CYCLE_1)
	s_and_b32 vcc_lo, exec_lo, s24
	s_cbranch_vccz .LBB118_172
; %bb.169:
	s_cmp_eq_u32 s0, 29
	s_cbranch_scc0 .LBB118_171
; %bb.170:
	global_load_b64 v[4:5], v[0:1], off
	s_mov_b32 s17, -1
	s_mov_b32 s19, 0
	s_mov_b32 s24, 0
	s_wait_loadcnt 0x0
	v_clz_i32_u32_e32 v3, v5
	s_delay_alu instid0(VALU_DEP_1) | instskip(NEXT) | instid1(VALU_DEP_1)
	v_min_u32_e32 v3, 32, v3
	v_lshlrev_b64_e32 v[4:5], v3, v[4:5]
	v_sub_nc_u32_e32 v3, 32, v3
	s_delay_alu instid0(VALU_DEP_2) | instskip(NEXT) | instid1(VALU_DEP_1)
	v_min_u32_e32 v4, 1, v4
	v_or_b32_e32 v4, v5, v4
	s_delay_alu instid0(VALU_DEP_1) | instskip(NEXT) | instid1(VALU_DEP_1)
	v_cvt_f32_u32_e32 v4, v4
	v_ldexp_f32 v3, v4, v3
	s_branch .LBB118_173
.LBB118_171:
	s_mov_b32 s19, -1
                                        ; implicit-def: $vgpr3
.LBB118_172:
	s_mov_b32 s24, 0
.LBB118_173:
	s_delay_alu instid0(SALU_CYCLE_1)
	s_and_b32 vcc_lo, exec_lo, s24
	s_cbranch_vccz .LBB118_191
; %bb.174:
	s_cmp_lt_i32 s0, 27
	s_cbranch_scc1 .LBB118_177
; %bb.175:
	s_cmp_gt_i32 s0, 27
	s_cbranch_scc0 .LBB118_178
; %bb.176:
	global_load_b32 v3, v[0:1], off
	s_mov_b32 s17, 0
	s_wait_loadcnt 0x0
	v_cvt_f32_u32_e32 v3, v3
	s_branch .LBB118_179
.LBB118_177:
	s_mov_b32 s17, -1
                                        ; implicit-def: $vgpr3
	s_branch .LBB118_182
.LBB118_178:
	s_mov_b32 s17, -1
                                        ; implicit-def: $vgpr3
.LBB118_179:
	s_delay_alu instid0(SALU_CYCLE_1)
	s_and_not1_b32 vcc_lo, exec_lo, s17
	s_cbranch_vccnz .LBB118_181
; %bb.180:
	global_load_u16 v3, v[0:1], off
	s_wait_loadcnt 0x0
	v_cvt_f32_u32_e32 v3, v3
.LBB118_181:
	s_mov_b32 s17, 0
.LBB118_182:
	s_delay_alu instid0(SALU_CYCLE_1)
	s_and_not1_b32 vcc_lo, exec_lo, s17
	s_cbranch_vccnz .LBB118_190
; %bb.183:
	global_load_u8 v4, v[0:1], off
	s_mov_b32 s17, 0
	s_mov_b32 s24, exec_lo
	s_wait_loadcnt 0x0
	v_cmpx_lt_i16_e32 0x7f, v4
	s_xor_b32 s24, exec_lo, s24
	s_cbranch_execz .LBB118_204
; %bb.184:
	s_mov_b32 s17, -1
	s_mov_b32 s25, exec_lo
	v_cmpx_eq_u16_e32 0x80, v4
; %bb.185:
	s_xor_b32 s17, exec_lo, -1
; %bb.186:
	s_or_b32 exec_lo, exec_lo, s25
	s_delay_alu instid0(SALU_CYCLE_1)
	s_and_b32 s17, s17, exec_lo
	s_or_saveexec_b32 s24, s24
	v_mov_b32_e32 v3, 0x7f800001
	s_xor_b32 exec_lo, exec_lo, s24
	s_cbranch_execnz .LBB118_205
.LBB118_187:
	s_or_b32 exec_lo, exec_lo, s24
	s_and_saveexec_b32 s24, s17
	s_cbranch_execz .LBB118_189
.LBB118_188:
	v_and_b32_e32 v3, 0xffff, v4
	s_delay_alu instid0(VALU_DEP_1) | instskip(SKIP_1) | instid1(VALU_DEP_2)
	v_dual_lshlrev_b32 v4, 24, v4 :: v_dual_bitop2_b32 v5, 7, v3 bitop3:0x40
	v_bfe_u32 v9, v3, 3, 4
	v_and_b32_e32 v4, 0x80000000, v4
	s_delay_alu instid0(VALU_DEP_3) | instskip(NEXT) | instid1(VALU_DEP_3)
	v_clz_i32_u32_e32 v7, v5
	v_cmp_eq_u32_e32 vcc_lo, 0, v9
	s_delay_alu instid0(VALU_DEP_2) | instskip(NEXT) | instid1(VALU_DEP_1)
	v_min_u32_e32 v7, 32, v7
	v_subrev_nc_u32_e32 v8, 28, v7
	v_sub_nc_u32_e32 v7, 29, v7
	s_delay_alu instid0(VALU_DEP_2) | instskip(NEXT) | instid1(VALU_DEP_2)
	v_lshlrev_b32_e32 v3, v8, v3
	v_cndmask_b32_e32 v7, v9, v7, vcc_lo
	s_delay_alu instid0(VALU_DEP_2) | instskip(NEXT) | instid1(VALU_DEP_1)
	v_and_b32_e32 v3, 7, v3
	v_cndmask_b32_e32 v3, v5, v3, vcc_lo
	s_delay_alu instid0(VALU_DEP_3) | instskip(NEXT) | instid1(VALU_DEP_2)
	v_lshl_add_u32 v5, v7, 23, 0x3b800000
	v_lshlrev_b32_e32 v3, 20, v3
	s_delay_alu instid0(VALU_DEP_1)
	v_or3_b32 v3, v4, v5, v3
.LBB118_189:
	s_or_b32 exec_lo, exec_lo, s24
.LBB118_190:
	s_mov_b32 s17, -1
.LBB118_191:
	s_mov_b32 s24, 0
.LBB118_192:
	s_delay_alu instid0(SALU_CYCLE_1)
	s_and_b32 vcc_lo, exec_lo, s24
	s_cbranch_vccz .LBB118_227
; %bb.193:
	s_cmp_gt_i32 s0, 22
	s_cbranch_scc0 .LBB118_203
; %bb.194:
	s_cmp_lt_i32 s0, 24
	s_cbranch_scc1 .LBB118_206
; %bb.195:
	s_cmp_gt_i32 s0, 24
	s_cbranch_scc0 .LBB118_207
; %bb.196:
	global_load_u8 v4, v[0:1], off
	s_mov_b32 s17, 0
	s_mov_b32 s24, exec_lo
	s_wait_loadcnt 0x0
	v_cmpx_lt_i16_e32 0x7f, v4
	s_xor_b32 s24, exec_lo, s24
	s_cbranch_execz .LBB118_219
; %bb.197:
	s_mov_b32 s17, -1
	s_mov_b32 s25, exec_lo
	v_cmpx_eq_u16_e32 0x80, v4
; %bb.198:
	s_xor_b32 s17, exec_lo, -1
; %bb.199:
	s_or_b32 exec_lo, exec_lo, s25
	s_delay_alu instid0(SALU_CYCLE_1)
	s_and_b32 s17, s17, exec_lo
	s_or_saveexec_b32 s24, s24
	v_mov_b32_e32 v3, 0x7f800001
	s_xor_b32 exec_lo, exec_lo, s24
	s_cbranch_execnz .LBB118_220
.LBB118_200:
	s_or_b32 exec_lo, exec_lo, s24
	s_and_saveexec_b32 s24, s17
	s_cbranch_execz .LBB118_202
.LBB118_201:
	v_and_b32_e32 v3, 0xffff, v4
	s_delay_alu instid0(VALU_DEP_1) | instskip(SKIP_1) | instid1(VALU_DEP_2)
	v_dual_lshlrev_b32 v4, 24, v4 :: v_dual_bitop2_b32 v5, 3, v3 bitop3:0x40
	v_bfe_u32 v9, v3, 2, 5
	v_and_b32_e32 v4, 0x80000000, v4
	s_delay_alu instid0(VALU_DEP_3) | instskip(NEXT) | instid1(VALU_DEP_3)
	v_clz_i32_u32_e32 v7, v5
	v_cmp_eq_u32_e32 vcc_lo, 0, v9
	s_delay_alu instid0(VALU_DEP_2) | instskip(NEXT) | instid1(VALU_DEP_1)
	v_min_u32_e32 v7, 32, v7
	v_subrev_nc_u32_e32 v8, 29, v7
	v_sub_nc_u32_e32 v7, 30, v7
	s_delay_alu instid0(VALU_DEP_2) | instskip(NEXT) | instid1(VALU_DEP_2)
	v_lshlrev_b32_e32 v3, v8, v3
	v_cndmask_b32_e32 v7, v9, v7, vcc_lo
	s_delay_alu instid0(VALU_DEP_2) | instskip(NEXT) | instid1(VALU_DEP_1)
	v_and_b32_e32 v3, 3, v3
	v_cndmask_b32_e32 v3, v5, v3, vcc_lo
	s_delay_alu instid0(VALU_DEP_3) | instskip(NEXT) | instid1(VALU_DEP_2)
	v_lshl_add_u32 v5, v7, 23, 0x37800000
	v_lshlrev_b32_e32 v3, 21, v3
	s_delay_alu instid0(VALU_DEP_1)
	v_or3_b32 v3, v4, v5, v3
.LBB118_202:
	s_or_b32 exec_lo, exec_lo, s24
	s_mov_b32 s17, 0
	s_branch .LBB118_208
.LBB118_203:
	s_mov_b32 s24, -1
                                        ; implicit-def: $vgpr3
	s_branch .LBB118_214
.LBB118_204:
	s_or_saveexec_b32 s24, s24
	v_mov_b32_e32 v3, 0x7f800001
	s_xor_b32 exec_lo, exec_lo, s24
	s_cbranch_execz .LBB118_187
.LBB118_205:
	v_cmp_ne_u16_e32 vcc_lo, 0, v4
	v_mov_b32_e32 v3, 0
	s_and_not1_b32 s17, s17, exec_lo
	s_and_b32 s25, vcc_lo, exec_lo
	s_delay_alu instid0(SALU_CYCLE_1)
	s_or_b32 s17, s17, s25
	s_or_b32 exec_lo, exec_lo, s24
	s_and_saveexec_b32 s24, s17
	s_cbranch_execnz .LBB118_188
	s_branch .LBB118_189
.LBB118_206:
	s_mov_b32 s17, -1
                                        ; implicit-def: $vgpr3
	s_branch .LBB118_211
.LBB118_207:
	s_mov_b32 s17, -1
                                        ; implicit-def: $vgpr3
.LBB118_208:
	s_delay_alu instid0(SALU_CYCLE_1)
	s_and_b32 vcc_lo, exec_lo, s17
	s_cbranch_vccz .LBB118_210
; %bb.209:
	global_load_u8 v3, v[0:1], off
	s_wait_loadcnt 0x0
	v_lshlrev_b32_e32 v3, 24, v3
	s_delay_alu instid0(VALU_DEP_1) | instskip(NEXT) | instid1(VALU_DEP_1)
	v_and_b32_e32 v4, 0x7f000000, v3
	v_clz_i32_u32_e32 v5, v4
	v_add_nc_u32_e32 v8, 0x1000000, v4
	v_cmp_ne_u32_e32 vcc_lo, 0, v4
	s_delay_alu instid0(VALU_DEP_3) | instskip(NEXT) | instid1(VALU_DEP_1)
	v_min_u32_e32 v5, 32, v5
	v_sub_nc_u32_e64 v5, v5, 4 clamp
	s_delay_alu instid0(VALU_DEP_1) | instskip(NEXT) | instid1(VALU_DEP_1)
	v_dual_lshlrev_b32 v7, v5, v4 :: v_dual_lshlrev_b32 v5, 23, v5
	v_lshrrev_b32_e32 v7, 4, v7
	s_delay_alu instid0(VALU_DEP_1) | instskip(NEXT) | instid1(VALU_DEP_1)
	v_dual_sub_nc_u32 v5, v7, v5 :: v_dual_ashrrev_i32 v7, 8, v8
	v_add_nc_u32_e32 v5, 0x3c000000, v5
	s_delay_alu instid0(VALU_DEP_1) | instskip(NEXT) | instid1(VALU_DEP_1)
	v_and_or_b32 v5, 0x7f800000, v7, v5
	v_cndmask_b32_e32 v4, 0, v5, vcc_lo
	s_delay_alu instid0(VALU_DEP_1)
	v_and_or_b32 v3, 0x80000000, v3, v4
.LBB118_210:
	s_mov_b32 s17, 0
.LBB118_211:
	s_delay_alu instid0(SALU_CYCLE_1)
	s_and_not1_b32 vcc_lo, exec_lo, s17
	s_cbranch_vccnz .LBB118_213
; %bb.212:
	global_load_u8 v3, v[0:1], off
	s_wait_loadcnt 0x0
	v_lshlrev_b32_e32 v4, 25, v3
	v_lshlrev_b16 v3, 8, v3
	s_delay_alu instid0(VALU_DEP_1) | instskip(NEXT) | instid1(VALU_DEP_3)
	v_and_or_b32 v7, 0x7f00, v3, 0.5
	v_lshrrev_b32_e32 v5, 4, v4
	v_bfe_i32 v3, v3, 0, 16
	s_delay_alu instid0(VALU_DEP_3) | instskip(NEXT) | instid1(VALU_DEP_3)
	v_add_f32_e32 v7, -0.5, v7
	v_or_b32_e32 v5, 0x70000000, v5
	s_delay_alu instid0(VALU_DEP_1) | instskip(SKIP_1) | instid1(VALU_DEP_2)
	v_mul_f32_e32 v5, 0x7800000, v5
	v_cmp_gt_u32_e32 vcc_lo, 0x8000000, v4
	v_cndmask_b32_e32 v4, v5, v7, vcc_lo
	s_delay_alu instid0(VALU_DEP_1)
	v_and_or_b32 v3, 0x80000000, v3, v4
.LBB118_213:
	s_mov_b32 s24, 0
	s_mov_b32 s17, -1
.LBB118_214:
	s_and_not1_b32 vcc_lo, exec_lo, s24
	s_cbranch_vccnz .LBB118_227
; %bb.215:
	s_cmp_gt_i32 s0, 14
	s_cbranch_scc0 .LBB118_218
; %bb.216:
	s_cmp_eq_u32 s0, 15
	s_cbranch_scc0 .LBB118_221
; %bb.217:
	global_load_u16 v3, v[0:1], off
	s_mov_b32 s17, -1
	s_mov_b32 s19, 0
	s_wait_loadcnt 0x0
	v_lshlrev_b32_e32 v3, 16, v3
	s_branch .LBB118_222
.LBB118_218:
	s_mov_b32 s24, -1
                                        ; implicit-def: $vgpr3
	s_branch .LBB118_223
.LBB118_219:
	s_or_saveexec_b32 s24, s24
	v_mov_b32_e32 v3, 0x7f800001
	s_xor_b32 exec_lo, exec_lo, s24
	s_cbranch_execz .LBB118_200
.LBB118_220:
	v_cmp_ne_u16_e32 vcc_lo, 0, v4
	v_mov_b32_e32 v3, 0
	s_and_not1_b32 s17, s17, exec_lo
	s_and_b32 s25, vcc_lo, exec_lo
	s_delay_alu instid0(SALU_CYCLE_1)
	s_or_b32 s17, s17, s25
	s_or_b32 exec_lo, exec_lo, s24
	s_and_saveexec_b32 s24, s17
	s_cbranch_execnz .LBB118_201
	s_branch .LBB118_202
.LBB118_221:
	s_mov_b32 s19, -1
                                        ; implicit-def: $vgpr3
.LBB118_222:
	s_mov_b32 s24, 0
.LBB118_223:
	s_delay_alu instid0(SALU_CYCLE_1)
	s_and_b32 vcc_lo, exec_lo, s24
	s_cbranch_vccz .LBB118_227
; %bb.224:
	s_cmp_eq_u32 s0, 11
	s_cbranch_scc0 .LBB118_226
; %bb.225:
	global_load_u8 v3, v[0:1], off
	s_mov_b32 s19, 0
	s_mov_b32 s17, -1
	s_wait_loadcnt 0x0
	v_cmp_ne_u16_e32 vcc_lo, 0, v3
	v_cndmask_b32_e64 v3, 0, 1.0, vcc_lo
	s_branch .LBB118_227
.LBB118_226:
	s_mov_b32 s19, -1
                                        ; implicit-def: $vgpr3
.LBB118_227:
	s_mov_b32 s24, 0
.LBB118_228:
	s_delay_alu instid0(SALU_CYCLE_1)
	s_and_b32 vcc_lo, exec_lo, s24
	s_cbranch_vccz .LBB118_277
; %bb.229:
	s_cmp_lt_i32 s0, 5
	s_cbranch_scc1 .LBB118_234
; %bb.230:
	s_cmp_lt_i32 s0, 8
	s_cbranch_scc1 .LBB118_235
	;; [unrolled: 3-line block ×3, first 2 shown]
; %bb.232:
	s_cmp_gt_i32 s0, 9
	s_cbranch_scc0 .LBB118_237
; %bb.233:
	global_load_b64 v[4:5], v[0:1], off
	s_mov_b32 s17, 0
	s_wait_loadcnt 0x0
	v_cvt_f32_f64_e32 v3, v[4:5]
	s_branch .LBB118_238
.LBB118_234:
	s_mov_b32 s17, -1
                                        ; implicit-def: $vgpr3
	s_branch .LBB118_256
.LBB118_235:
	s_mov_b32 s17, -1
                                        ; implicit-def: $vgpr3
	s_branch .LBB118_244
.LBB118_236:
	s_mov_b32 s17, -1
                                        ; implicit-def: $vgpr3
	s_branch .LBB118_241
.LBB118_237:
	s_mov_b32 s17, -1
                                        ; implicit-def: $vgpr3
.LBB118_238:
	s_delay_alu instid0(SALU_CYCLE_1)
	s_and_not1_b32 vcc_lo, exec_lo, s17
	s_cbranch_vccnz .LBB118_240
; %bb.239:
	global_load_b32 v3, v[0:1], off
.LBB118_240:
	s_mov_b32 s17, 0
.LBB118_241:
	s_delay_alu instid0(SALU_CYCLE_1)
	s_and_not1_b32 vcc_lo, exec_lo, s17
	s_cbranch_vccnz .LBB118_243
; %bb.242:
	s_wait_loadcnt 0x0
	global_load_b32 v3, v[0:1], off
	s_wait_loadcnt 0x0
	v_cvt_f32_f16_e32 v3, v3
.LBB118_243:
	s_mov_b32 s17, 0
.LBB118_244:
	s_delay_alu instid0(SALU_CYCLE_1)
	s_and_not1_b32 vcc_lo, exec_lo, s17
	s_cbranch_vccnz .LBB118_255
; %bb.245:
	s_cmp_lt_i32 s0, 6
	s_cbranch_scc1 .LBB118_248
; %bb.246:
	s_cmp_gt_i32 s0, 6
	s_cbranch_scc0 .LBB118_249
; %bb.247:
	global_load_b64 v[4:5], v[0:1], off
	s_mov_b32 s17, 0
	s_wait_loadcnt 0x0
	v_cvt_f32_f64_e32 v3, v[4:5]
	s_branch .LBB118_250
.LBB118_248:
	s_mov_b32 s17, -1
                                        ; implicit-def: $vgpr3
	s_branch .LBB118_253
.LBB118_249:
	s_mov_b32 s17, -1
                                        ; implicit-def: $vgpr3
.LBB118_250:
	s_delay_alu instid0(SALU_CYCLE_1)
	s_and_not1_b32 vcc_lo, exec_lo, s17
	s_cbranch_vccnz .LBB118_252
; %bb.251:
	s_wait_loadcnt 0x0
	global_load_b32 v3, v[0:1], off
.LBB118_252:
	s_mov_b32 s17, 0
.LBB118_253:
	s_delay_alu instid0(SALU_CYCLE_1)
	s_and_not1_b32 vcc_lo, exec_lo, s17
	s_cbranch_vccnz .LBB118_255
; %bb.254:
	s_wait_loadcnt 0x0
	global_load_u16 v3, v[0:1], off
	s_wait_loadcnt 0x0
	v_cvt_f32_f16_e32 v3, v3
.LBB118_255:
	s_mov_b32 s17, 0
.LBB118_256:
	s_delay_alu instid0(SALU_CYCLE_1)
	s_and_not1_b32 vcc_lo, exec_lo, s17
	s_cbranch_vccnz .LBB118_276
; %bb.257:
	s_cmp_lt_i32 s0, 2
	s_cbranch_scc1 .LBB118_261
; %bb.258:
	s_cmp_lt_i32 s0, 3
	s_cbranch_scc1 .LBB118_262
; %bb.259:
	s_cmp_gt_i32 s0, 3
	s_cbranch_scc0 .LBB118_263
; %bb.260:
	global_load_b64 v[4:5], v[0:1], off
	s_mov_b32 s17, 0
	s_wait_loadcnt 0x0
	v_xor_b32_e32 v3, v4, v5
	v_cls_i32_e32 v7, v5
	s_delay_alu instid0(VALU_DEP_2) | instskip(NEXT) | instid1(VALU_DEP_1)
	v_ashrrev_i32_e32 v3, 31, v3
	v_add_nc_u32_e32 v3, 32, v3
	s_delay_alu instid0(VALU_DEP_1) | instskip(NEXT) | instid1(VALU_DEP_1)
	v_add_min_u32_e64 v3, v7, -1, v3
	v_lshlrev_b64_e32 v[4:5], v3, v[4:5]
	v_sub_nc_u32_e32 v3, 32, v3
	s_delay_alu instid0(VALU_DEP_2) | instskip(NEXT) | instid1(VALU_DEP_1)
	v_min_u32_e32 v4, 1, v4
	v_or_b32_e32 v4, v5, v4
	s_delay_alu instid0(VALU_DEP_1) | instskip(NEXT) | instid1(VALU_DEP_1)
	v_cvt_f32_i32_e32 v4, v4
	v_ldexp_f32 v3, v4, v3
	s_branch .LBB118_264
.LBB118_261:
	s_mov_b32 s17, -1
                                        ; implicit-def: $vgpr3
	s_branch .LBB118_270
.LBB118_262:
	s_mov_b32 s17, -1
                                        ; implicit-def: $vgpr3
	s_branch .LBB118_267
.LBB118_263:
	s_mov_b32 s17, -1
                                        ; implicit-def: $vgpr3
.LBB118_264:
	s_delay_alu instid0(SALU_CYCLE_1)
	s_and_not1_b32 vcc_lo, exec_lo, s17
	s_cbranch_vccnz .LBB118_266
; %bb.265:
	s_wait_loadcnt 0x0
	global_load_b32 v3, v[0:1], off
	s_wait_loadcnt 0x0
	v_cvt_f32_i32_e32 v3, v3
.LBB118_266:
	s_mov_b32 s17, 0
.LBB118_267:
	s_delay_alu instid0(SALU_CYCLE_1)
	s_and_not1_b32 vcc_lo, exec_lo, s17
	s_cbranch_vccnz .LBB118_269
; %bb.268:
	s_wait_loadcnt 0x0
	global_load_i16 v3, v[0:1], off
	s_wait_loadcnt 0x0
	v_cvt_f32_i32_e32 v3, v3
.LBB118_269:
	s_mov_b32 s17, 0
.LBB118_270:
	s_delay_alu instid0(SALU_CYCLE_1)
	s_and_not1_b32 vcc_lo, exec_lo, s17
	s_cbranch_vccnz .LBB118_276
; %bb.271:
	s_cmp_gt_i32 s0, 0
	s_mov_b32 s0, 0
	s_cbranch_scc0 .LBB118_273
; %bb.272:
	s_wait_loadcnt 0x0
	global_load_i8 v3, v[0:1], off
	s_wait_loadcnt 0x0
	v_cvt_f32_i32_e32 v3, v3
	s_branch .LBB118_274
.LBB118_273:
	s_mov_b32 s0, -1
                                        ; implicit-def: $vgpr3
.LBB118_274:
	s_delay_alu instid0(SALU_CYCLE_1)
	s_and_not1_b32 vcc_lo, exec_lo, s0
	s_cbranch_vccnz .LBB118_276
; %bb.275:
	global_load_u8 v0, v[0:1], off
	s_wait_loadcnt 0x0
	v_cvt_f32_ubyte0_e32 v3, v0
.LBB118_276:
	s_mov_b32 s17, -1
.LBB118_277:
	s_delay_alu instid0(SALU_CYCLE_1)
	s_and_not1_b32 vcc_lo, exec_lo, s17
	s_cbranch_vccnz .LBB118_285
; %bb.278:
	s_wait_xcnt 0x0
	v_mul_lo_u32 v0, v6, s12
	s_and_b32 s17, s7, 0xff
	s_wait_loadcnt 0x0
	v_mul_f32_e32 v2, s6, v2
	s_cmp_lt_i32 s17, 11
	s_delay_alu instid0(VALU_DEP_1) | instskip(NEXT) | instid1(VALU_DEP_1)
	v_dual_mul_f32 v2, v2, v3 :: v_dual_ashrrev_i32 v1, 31, v0
	v_add_nc_u64_e32 v[0:1], s[2:3], v[0:1]
	s_cbranch_scc1 .LBB118_286
; %bb.279:
	s_and_b32 s24, 0xffff, s17
	s_delay_alu instid0(SALU_CYCLE_1)
	s_cmp_gt_i32 s24, 25
	s_cbranch_scc0 .LBB118_287
; %bb.280:
	s_cmp_gt_i32 s24, 28
	s_cbranch_scc0 .LBB118_288
; %bb.281:
	;; [unrolled: 3-line block ×4, first 2 shown]
	s_mov_b32 s26, 0
	s_mov_b32 s0, -1
	s_cmp_eq_u32 s24, 46
	s_mov_b32 s25, 0
	s_cbranch_scc0 .LBB118_291
; %bb.284:
	v_bfe_u32 v3, v2, 16, 1
	v_cmp_o_f32_e32 vcc_lo, v2, v2
	s_mov_b32 s25, -1
	s_mov_b32 s0, 0
	s_delay_alu instid0(VALU_DEP_2) | instskip(NEXT) | instid1(VALU_DEP_1)
	v_add3_u32 v3, v2, v3, 0x7fff
	v_lshrrev_b32_e32 v3, 16, v3
	s_delay_alu instid0(VALU_DEP_1)
	v_cndmask_b32_e32 v3, 0x7fc0, v3, vcc_lo
	global_store_b32 v[0:1], v3, off
	s_branch .LBB118_291
.LBB118_285:
	s_mov_b32 s0, 0
	s_mov_b32 s24, 0
                                        ; implicit-def: $vgpr6
	s_branch .LBB118_401
.LBB118_286:
	s_mov_b32 s24, -1
	s_mov_b32 s0, 0
	s_mov_b32 s25, 0
	s_branch .LBB118_360
.LBB118_287:
	s_mov_b32 s26, -1
	s_mov_b32 s0, 0
	s_mov_b32 s25, 0
	s_branch .LBB118_318
.LBB118_288:
	s_mov_b32 s26, -1
	s_mov_b32 s0, 0
	s_mov_b32 s25, 0
	s_branch .LBB118_301
.LBB118_289:
	s_mov_b32 s26, -1
	s_mov_b32 s0, 0
	s_mov_b32 s25, 0
	s_branch .LBB118_297
.LBB118_290:
	s_mov_b32 s26, -1
	s_mov_b32 s0, 0
	s_mov_b32 s25, 0
.LBB118_291:
	s_and_b32 vcc_lo, exec_lo, s26
	s_cbranch_vccz .LBB118_296
; %bb.292:
	s_cmp_eq_u32 s24, 44
	s_mov_b32 s0, -1
	s_cbranch_scc0 .LBB118_296
; %bb.293:
	v_bfe_u32 v4, v2, 23, 8
	s_wait_xcnt 0x0
	v_mov_b32_e32 v3, 0xff
	s_mov_b32 s25, exec_lo
	s_delay_alu instid0(VALU_DEP_2)
	v_cmpx_ne_u32_e32 0xff, v4
	s_cbranch_execz .LBB118_295
; %bb.294:
	v_and_b32_e32 v3, 0x400000, v2
	v_and_or_b32 v4, 0x3fffff, v2, v4
	s_delay_alu instid0(VALU_DEP_2) | instskip(NEXT) | instid1(VALU_DEP_2)
	v_cmp_ne_u32_e32 vcc_lo, 0, v3
	v_cmp_ne_u32_e64 s0, 0, v4
	v_lshrrev_b32_e32 v3, 23, v2
	s_and_b32 s0, vcc_lo, s0
	s_delay_alu instid0(SALU_CYCLE_1) | instskip(NEXT) | instid1(VALU_DEP_1)
	v_cndmask_b32_e64 v4, 0, 1, s0
	v_add_nc_u32_e32 v3, v3, v4
.LBB118_295:
	s_or_b32 exec_lo, exec_lo, s25
	s_mov_b32 s25, -1
	s_mov_b32 s0, 0
	global_store_b8 v[0:1], v3, off
.LBB118_296:
	s_mov_b32 s26, 0
.LBB118_297:
	s_delay_alu instid0(SALU_CYCLE_1)
	s_and_b32 vcc_lo, exec_lo, s26
	s_cbranch_vccz .LBB118_300
; %bb.298:
	s_cmp_eq_u32 s24, 29
	s_mov_b32 s0, -1
	s_cbranch_scc0 .LBB118_300
; %bb.299:
	s_wait_xcnt 0x0
	v_trunc_f32_e32 v3, v2
	s_mov_b32 s25, -1
	s_mov_b32 s0, 0
	s_mov_b32 s26, 0
	s_delay_alu instid0(VALU_DEP_1) | instskip(NEXT) | instid1(VALU_DEP_1)
	v_mul_f32_e32 v4, 0x2f800000, v3
	v_floor_f32_e32 v4, v4
	s_delay_alu instid0(VALU_DEP_1) | instskip(SKIP_1) | instid1(VALU_DEP_2)
	v_fmamk_f32 v3, v4, 0xcf800000, v3
	v_cvt_u32_f32_e32 v5, v4
	v_cvt_u32_f32_e32 v4, v3
	global_store_b64 v[0:1], v[4:5], off
	s_branch .LBB118_301
.LBB118_300:
	s_mov_b32 s26, 0
.LBB118_301:
	s_delay_alu instid0(SALU_CYCLE_1)
	s_and_b32 vcc_lo, exec_lo, s26
	s_cbranch_vccz .LBB118_317
; %bb.302:
	s_cmp_lt_i32 s24, 27
	s_mov_b32 s25, -1
	s_cbranch_scc1 .LBB118_308
; %bb.303:
	s_wait_xcnt 0x0
	v_cvt_u32_f32_e32 v3, v2
	s_cmp_gt_i32 s24, 27
	s_cbranch_scc0 .LBB118_305
; %bb.304:
	s_mov_b32 s25, 0
	global_store_b32 v[0:1], v3, off
.LBB118_305:
	s_and_not1_b32 vcc_lo, exec_lo, s25
	s_cbranch_vccnz .LBB118_307
; %bb.306:
	global_store_b16 v[0:1], v3, off
.LBB118_307:
	s_mov_b32 s25, 0
.LBB118_308:
	s_delay_alu instid0(SALU_CYCLE_1)
	s_and_not1_b32 vcc_lo, exec_lo, s25
	s_cbranch_vccnz .LBB118_316
; %bb.309:
	s_wait_xcnt 0x0
	v_and_b32_e32 v3, 0x7fffffff, v2
	v_mov_b32_e32 v4, 0x80
	s_mov_b32 s25, exec_lo
	s_delay_alu instid0(VALU_DEP_2)
	v_cmpx_gt_u32_e32 0x43800000, v3
	s_cbranch_execz .LBB118_315
; %bb.310:
	v_cmp_lt_u32_e32 vcc_lo, 0x3bffffff, v3
	s_mov_b32 s26, 0
                                        ; implicit-def: $vgpr3
	s_and_saveexec_b32 s27, vcc_lo
	s_delay_alu instid0(SALU_CYCLE_1)
	s_xor_b32 s27, exec_lo, s27
	s_cbranch_execz .LBB118_436
; %bb.311:
	v_bfe_u32 v3, v2, 20, 1
	s_mov_b32 s26, exec_lo
	s_delay_alu instid0(VALU_DEP_1) | instskip(NEXT) | instid1(VALU_DEP_1)
	v_add3_u32 v3, v2, v3, 0x487ffff
	v_lshrrev_b32_e32 v3, 20, v3
	s_and_not1_saveexec_b32 s27, s27
	s_cbranch_execnz .LBB118_437
.LBB118_312:
	s_or_b32 exec_lo, exec_lo, s27
	v_mov_b32_e32 v4, 0
	s_and_saveexec_b32 s27, s26
.LBB118_313:
	v_lshrrev_b32_e32 v4, 24, v2
	s_delay_alu instid0(VALU_DEP_1)
	v_and_or_b32 v4, 0x80, v4, v3
.LBB118_314:
	s_or_b32 exec_lo, exec_lo, s27
.LBB118_315:
	s_delay_alu instid0(SALU_CYCLE_1)
	s_or_b32 exec_lo, exec_lo, s25
	global_store_b8 v[0:1], v4, off
.LBB118_316:
	s_mov_b32 s25, -1
.LBB118_317:
	s_mov_b32 s26, 0
.LBB118_318:
	s_delay_alu instid0(SALU_CYCLE_1)
	s_and_b32 vcc_lo, exec_lo, s26
	s_cbranch_vccz .LBB118_359
; %bb.319:
	s_cmp_gt_i32 s24, 22
	s_mov_b32 s26, -1
	s_cbranch_scc0 .LBB118_351
; %bb.320:
	s_cmp_lt_i32 s24, 24
	s_mov_b32 s25, -1
	s_cbranch_scc1 .LBB118_340
; %bb.321:
	s_cmp_gt_i32 s24, 24
	s_cbranch_scc0 .LBB118_329
; %bb.322:
	s_wait_xcnt 0x0
	v_and_b32_e32 v3, 0x7fffffff, v2
	v_mov_b32_e32 v4, 0x80
	s_mov_b32 s25, exec_lo
	s_delay_alu instid0(VALU_DEP_2)
	v_cmpx_gt_u32_e32 0x47800000, v3
	s_cbranch_execz .LBB118_328
; %bb.323:
	v_cmp_lt_u32_e32 vcc_lo, 0x37ffffff, v3
	s_mov_b32 s26, 0
                                        ; implicit-def: $vgpr3
	s_and_saveexec_b32 s27, vcc_lo
	s_delay_alu instid0(SALU_CYCLE_1)
	s_xor_b32 s27, exec_lo, s27
	s_cbranch_execz .LBB118_567
; %bb.324:
	v_bfe_u32 v3, v2, 21, 1
	s_mov_b32 s26, exec_lo
	s_delay_alu instid0(VALU_DEP_1) | instskip(NEXT) | instid1(VALU_DEP_1)
	v_add3_u32 v3, v2, v3, 0x88fffff
	v_lshrrev_b32_e32 v3, 21, v3
	s_and_not1_saveexec_b32 s27, s27
	s_cbranch_execnz .LBB118_568
.LBB118_325:
	s_or_b32 exec_lo, exec_lo, s27
	v_mov_b32_e32 v4, 0
	s_and_saveexec_b32 s27, s26
.LBB118_326:
	v_lshrrev_b32_e32 v4, 24, v2
	s_delay_alu instid0(VALU_DEP_1)
	v_and_or_b32 v4, 0x80, v4, v3
.LBB118_327:
	s_or_b32 exec_lo, exec_lo, s27
.LBB118_328:
	s_delay_alu instid0(SALU_CYCLE_1)
	s_or_b32 exec_lo, exec_lo, s25
	s_mov_b32 s25, 0
	global_store_b8 v[0:1], v4, off
.LBB118_329:
	s_and_b32 vcc_lo, exec_lo, s25
	s_cbranch_vccz .LBB118_339
; %bb.330:
	s_wait_xcnt 0x0
	v_and_b32_e32 v4, 0x7fffffff, v2
	s_mov_b32 s25, exec_lo
                                        ; implicit-def: $vgpr3
	s_delay_alu instid0(VALU_DEP_1)
	v_cmpx_gt_u32_e32 0x43f00000, v4
	s_xor_b32 s25, exec_lo, s25
	s_cbranch_execz .LBB118_336
; %bb.331:
	s_mov_b32 s26, exec_lo
                                        ; implicit-def: $vgpr3
	v_cmpx_lt_u32_e32 0x3c7fffff, v4
	s_xor_b32 s26, exec_lo, s26
; %bb.332:
	v_bfe_u32 v3, v2, 20, 1
	s_delay_alu instid0(VALU_DEP_1) | instskip(NEXT) | instid1(VALU_DEP_1)
	v_add3_u32 v3, v2, v3, 0x407ffff
	v_and_b32_e32 v4, 0xff00000, v3
	v_lshrrev_b32_e32 v3, 20, v3
	s_delay_alu instid0(VALU_DEP_2) | instskip(NEXT) | instid1(VALU_DEP_2)
	v_cmp_ne_u32_e32 vcc_lo, 0x7f00000, v4
	v_cndmask_b32_e32 v3, 0x7e, v3, vcc_lo
; %bb.333:
	s_and_not1_saveexec_b32 s26, s26
; %bb.334:
	v_add_f32_e64 v3, 0x46800000, |v2|
; %bb.335:
	s_or_b32 exec_lo, exec_lo, s26
                                        ; implicit-def: $vgpr4
.LBB118_336:
	s_and_not1_saveexec_b32 s25, s25
; %bb.337:
	v_mov_b32_e32 v3, 0x7f
	v_cmp_lt_u32_e32 vcc_lo, 0x7f800000, v4
	s_delay_alu instid0(VALU_DEP_2)
	v_cndmask_b32_e32 v3, 0x7e, v3, vcc_lo
; %bb.338:
	s_or_b32 exec_lo, exec_lo, s25
	v_lshrrev_b32_e32 v4, 24, v2
	s_delay_alu instid0(VALU_DEP_1)
	v_and_or_b32 v3, 0x80, v4, v3
	global_store_b8 v[0:1], v3, off
.LBB118_339:
	s_mov_b32 s25, 0
.LBB118_340:
	s_delay_alu instid0(SALU_CYCLE_1)
	s_and_not1_b32 vcc_lo, exec_lo, s25
	s_cbranch_vccnz .LBB118_350
; %bb.341:
	s_wait_xcnt 0x0
	v_and_b32_e32 v4, 0x7fffffff, v2
	s_mov_b32 s25, exec_lo
                                        ; implicit-def: $vgpr3
	s_delay_alu instid0(VALU_DEP_1)
	v_cmpx_gt_u32_e32 0x47800000, v4
	s_xor_b32 s25, exec_lo, s25
	s_cbranch_execz .LBB118_347
; %bb.342:
	s_mov_b32 s26, exec_lo
                                        ; implicit-def: $vgpr3
	v_cmpx_lt_u32_e32 0x387fffff, v4
	s_xor_b32 s26, exec_lo, s26
; %bb.343:
	v_bfe_u32 v3, v2, 21, 1
	s_delay_alu instid0(VALU_DEP_1) | instskip(NEXT) | instid1(VALU_DEP_1)
	v_add3_u32 v3, v2, v3, 0x80fffff
	v_lshrrev_b32_e32 v3, 21, v3
; %bb.344:
	s_and_not1_saveexec_b32 s26, s26
; %bb.345:
	v_add_f32_e64 v3, 0x43000000, |v2|
; %bb.346:
	s_or_b32 exec_lo, exec_lo, s26
                                        ; implicit-def: $vgpr4
.LBB118_347:
	s_and_not1_saveexec_b32 s25, s25
; %bb.348:
	v_mov_b32_e32 v3, 0x7f
	v_cmp_lt_u32_e32 vcc_lo, 0x7f800000, v4
	s_delay_alu instid0(VALU_DEP_2)
	v_cndmask_b32_e32 v3, 0x7c, v3, vcc_lo
; %bb.349:
	s_or_b32 exec_lo, exec_lo, s25
	v_lshrrev_b32_e32 v4, 24, v2
	s_delay_alu instid0(VALU_DEP_1)
	v_and_or_b32 v3, 0x80, v4, v3
	global_store_b8 v[0:1], v3, off
.LBB118_350:
	s_mov_b32 s26, 0
	s_mov_b32 s25, -1
.LBB118_351:
	s_and_not1_b32 vcc_lo, exec_lo, s26
	s_cbranch_vccnz .LBB118_359
; %bb.352:
	s_cmp_gt_i32 s24, 14
	s_mov_b32 s26, -1
	s_cbranch_scc0 .LBB118_356
; %bb.353:
	s_cmp_eq_u32 s24, 15
	s_mov_b32 s0, -1
	s_cbranch_scc0 .LBB118_355
; %bb.354:
	s_wait_xcnt 0x0
	v_bfe_u32 v3, v2, 16, 1
	v_cmp_o_f32_e32 vcc_lo, v2, v2
	s_mov_b32 s25, -1
	s_mov_b32 s0, 0
	s_delay_alu instid0(VALU_DEP_2) | instskip(NEXT) | instid1(VALU_DEP_1)
	v_add3_u32 v3, v2, v3, 0x7fff
	v_lshrrev_b32_e32 v3, 16, v3
	s_delay_alu instid0(VALU_DEP_1)
	v_cndmask_b32_e32 v3, 0x7fc0, v3, vcc_lo
	global_store_b16 v[0:1], v3, off
.LBB118_355:
	s_mov_b32 s26, 0
.LBB118_356:
	s_delay_alu instid0(SALU_CYCLE_1)
	s_and_b32 vcc_lo, exec_lo, s26
	s_cbranch_vccz .LBB118_359
; %bb.357:
	s_cmp_eq_u32 s24, 11
	s_mov_b32 s0, -1
	s_cbranch_scc0 .LBB118_359
; %bb.358:
	v_cmp_neq_f32_e32 vcc_lo, 0, v2
	s_mov_b32 s0, 0
	s_mov_b32 s25, -1
	s_wait_xcnt 0x0
	v_cndmask_b32_e64 v3, 0, 1, vcc_lo
	global_store_b8 v[0:1], v3, off
.LBB118_359:
	s_mov_b32 s24, 0
.LBB118_360:
	s_delay_alu instid0(SALU_CYCLE_1)
	s_and_b32 vcc_lo, exec_lo, s24
	s_cbranch_vccz .LBB118_399
; %bb.361:
	s_and_b32 s17, 0xffff, s17
	s_mov_b32 s24, -1
	s_cmp_lt_i32 s17, 5
	s_cbranch_scc1 .LBB118_382
; %bb.362:
	s_cmp_lt_i32 s17, 8
	s_cbranch_scc1 .LBB118_372
; %bb.363:
	;; [unrolled: 3-line block ×3, first 2 shown]
	s_cmp_gt_i32 s17, 9
	s_cbranch_scc0 .LBB118_366
; %bb.365:
	v_cvt_f64_f32_e32 v[8:9], v2
	v_mov_b32_e32 v10, 0
	s_mov_b32 s24, 0
	s_delay_alu instid0(VALU_DEP_1)
	v_mov_b32_e32 v11, v10
	global_store_b128 v[0:1], v[8:11], off
.LBB118_366:
	s_and_not1_b32 vcc_lo, exec_lo, s24
	s_cbranch_vccnz .LBB118_368
; %bb.367:
	s_wait_xcnt 0x0
	v_mov_b32_e32 v3, 0
	global_store_b64 v[0:1], v[2:3], off
.LBB118_368:
	s_mov_b32 s24, 0
.LBB118_369:
	s_delay_alu instid0(SALU_CYCLE_1)
	s_and_not1_b32 vcc_lo, exec_lo, s24
	s_cbranch_vccnz .LBB118_371
; %bb.370:
	s_wait_xcnt 0x0
	v_cvt_f16_f32_e32 v3, v2
	s_delay_alu instid0(VALU_DEP_1)
	v_and_b32_e32 v3, 0xffff, v3
	global_store_b32 v[0:1], v3, off
.LBB118_371:
	s_mov_b32 s24, 0
.LBB118_372:
	s_delay_alu instid0(SALU_CYCLE_1)
	s_and_not1_b32 vcc_lo, exec_lo, s24
	s_cbranch_vccnz .LBB118_381
; %bb.373:
	s_cmp_lt_i32 s17, 6
	s_mov_b32 s24, -1
	s_cbranch_scc1 .LBB118_379
; %bb.374:
	s_cmp_gt_i32 s17, 6
	s_cbranch_scc0 .LBB118_376
; %bb.375:
	s_wait_xcnt 0x0
	v_cvt_f64_f32_e32 v[4:5], v2
	s_mov_b32 s24, 0
	global_store_b64 v[0:1], v[4:5], off
.LBB118_376:
	s_and_not1_b32 vcc_lo, exec_lo, s24
	s_cbranch_vccnz .LBB118_378
; %bb.377:
	global_store_b32 v[0:1], v2, off
.LBB118_378:
	s_mov_b32 s24, 0
.LBB118_379:
	s_delay_alu instid0(SALU_CYCLE_1)
	s_and_not1_b32 vcc_lo, exec_lo, s24
	s_cbranch_vccnz .LBB118_381
; %bb.380:
	s_wait_xcnt 0x0
	v_cvt_f16_f32_e32 v3, v2
	global_store_b16 v[0:1], v3, off
.LBB118_381:
	s_mov_b32 s24, 0
.LBB118_382:
	s_delay_alu instid0(SALU_CYCLE_1)
	s_and_not1_b32 vcc_lo, exec_lo, s24
	s_cbranch_vccnz .LBB118_398
; %bb.383:
	s_cmp_lt_i32 s17, 2
	s_mov_b32 s24, -1
	s_cbranch_scc1 .LBB118_393
; %bb.384:
	s_cmp_lt_i32 s17, 3
	s_cbranch_scc1 .LBB118_390
; %bb.385:
	s_cmp_gt_i32 s17, 3
	s_cbranch_scc0 .LBB118_387
; %bb.386:
	s_wait_xcnt 0x0
	v_trunc_f32_e32 v3, v2
	s_mov_b32 s24, 0
	s_delay_alu instid0(VALU_DEP_1) | instskip(NEXT) | instid1(VALU_DEP_1)
	v_mul_f32_e64 v4, 0x2f800000, |v3|
	v_floor_f32_e32 v5, v4
	v_ashrrev_i32_e32 v4, 31, v3
	s_delay_alu instid0(VALU_DEP_2) | instskip(SKIP_1) | instid1(VALU_DEP_3)
	v_fma_f32 v7, 0xcf800000, v5, |v3|
	v_cvt_u32_f32_e32 v3, v5
	v_mov_b32_e32 v5, v4
	s_delay_alu instid0(VALU_DEP_3) | instskip(NEXT) | instid1(VALU_DEP_3)
	v_cvt_u32_f32_e32 v7, v7
	v_xor_b32_e32 v9, v3, v4
	s_delay_alu instid0(VALU_DEP_2) | instskip(NEXT) | instid1(VALU_DEP_1)
	v_xor_b32_e32 v8, v7, v4
	v_sub_nc_u64_e32 v[4:5], v[8:9], v[4:5]
	global_store_b64 v[0:1], v[4:5], off
.LBB118_387:
	s_and_not1_b32 vcc_lo, exec_lo, s24
	s_cbranch_vccnz .LBB118_389
; %bb.388:
	s_wait_xcnt 0x0
	v_cvt_i32_f32_e32 v3, v2
	global_store_b32 v[0:1], v3, off
.LBB118_389:
	s_mov_b32 s24, 0
.LBB118_390:
	s_delay_alu instid0(SALU_CYCLE_1)
	s_and_not1_b32 vcc_lo, exec_lo, s24
	s_cbranch_vccnz .LBB118_392
; %bb.391:
	s_wait_xcnt 0x0
	v_cvt_i32_f32_e32 v3, v2
	global_store_b16 v[0:1], v3, off
.LBB118_392:
	s_mov_b32 s24, 0
.LBB118_393:
	s_delay_alu instid0(SALU_CYCLE_1)
	s_and_not1_b32 vcc_lo, exec_lo, s24
	s_cbranch_vccnz .LBB118_398
; %bb.394:
	s_cmp_gt_i32 s17, 0
	s_mov_b32 s17, -1
	s_cbranch_scc0 .LBB118_396
; %bb.395:
	s_wait_xcnt 0x0
	v_cvt_i32_f32_e32 v3, v2
	s_mov_b32 s17, 0
	global_store_b8 v[0:1], v3, off
.LBB118_396:
	s_and_not1_b32 vcc_lo, exec_lo, s17
	s_cbranch_vccnz .LBB118_398
; %bb.397:
	s_wait_xcnt 0x0
	v_trunc_f32_e32 v2, v2
	s_delay_alu instid0(VALU_DEP_1) | instskip(NEXT) | instid1(VALU_DEP_1)
	v_mul_f32_e64 v3, 0x2f800000, |v2|
	v_floor_f32_e32 v3, v3
	s_delay_alu instid0(VALU_DEP_1) | instskip(SKIP_1) | instid1(VALU_DEP_2)
	v_fma_f32 v3, 0xcf800000, v3, |v2|
	v_ashrrev_i32_e32 v2, 31, v2
	v_cvt_u32_f32_e32 v3, v3
	s_delay_alu instid0(VALU_DEP_1) | instskip(NEXT) | instid1(VALU_DEP_1)
	v_xor_b32_e32 v3, v3, v2
	v_sub_nc_u32_e32 v2, v3, v2
	global_store_b8 v[0:1], v2, off
.LBB118_398:
	s_mov_b32 s25, -1
.LBB118_399:
	s_delay_alu instid0(SALU_CYCLE_1)
	s_and_not1_b32 vcc_lo, exec_lo, s25
	s_cbranch_vccnz .LBB118_27
; %bb.400:
	v_add_nc_u32_e32 v6, 0x80, v6
	s_mov_b32 s24, -1
.LBB118_401:
	s_and_b32 s17, s0, exec_lo
	s_and_b32 s19, s19, exec_lo
	;; [unrolled: 1-line block ×4, first 2 shown]
	s_or_not1_b32 s0, s24, exec_lo
.LBB118_402:
	s_wait_xcnt 0x0
	s_or_b32 exec_lo, exec_lo, s22
	s_and_saveexec_b32 s22, s0
	s_cbranch_execz .LBB118_1245
; %bb.403:
	s_mov_b32 s28, -1
	s_mov_b32 s23, s21
	s_mov_b32 s26, s20
	;; [unrolled: 1-line block ×4, first 2 shown]
	s_mov_b32 s27, exec_lo
	v_cmpx_gt_i32_e64 s18, v6
	s_cbranch_execz .LBB118_810
; %bb.404:
	s_and_b32 s23, s15, 0xff
	s_delay_alu instid0(SALU_CYCLE_1)
	s_cmp_lt_i32 s23, 23
	s_cbranch_scc1 .LBB118_408
; %bb.405:
	s_and_b32 s24, 0xffff, s23
	s_delay_alu instid0(SALU_CYCLE_1)
	s_cmp_gt_i32 s24, 43
	s_cbranch_scc0 .LBB118_409
; %bb.406:
	s_cmp_gt_i32 s24, 45
	s_cbranch_scc0 .LBB118_410
; %bb.407:
	s_cmp_eq_u32 s24, 46
	s_mov_b32 s25, 0
	s_cselect_b32 s0, -1, 0
	s_or_b32 s26, s21, exec_lo
	s_branch .LBB118_411
.LBB118_408:
	s_mov_b32 s0, 0
	s_mov_b32 s26, s21
	s_cbranch_execnz .LBB118_417
	s_branch .LBB118_421
.LBB118_409:
	s_mov_b32 s25, -1
	s_mov_b32 s0, 0
	s_mov_b32 s26, s21
	s_branch .LBB118_414
.LBB118_410:
	s_mov_b32 s25, -1
	s_mov_b32 s0, 0
	s_mov_b32 s26, s21
.LBB118_411:
	s_and_not1_b32 vcc_lo, exec_lo, s25
	s_cbranch_vccnz .LBB118_413
; %bb.412:
	s_cmp_eq_u32 s24, 44
	s_cselect_b32 s0, -1, 0
	s_cmp_lg_u32 s24, 44
	s_cselect_b32 s25, -1, 0
	s_and_not1_b32 s26, s26, exec_lo
	s_and_b32 s25, s25, exec_lo
	s_delay_alu instid0(SALU_CYCLE_1)
	s_or_b32 s26, s26, s25
.LBB118_413:
	s_mov_b32 s25, 0
.LBB118_414:
	s_delay_alu instid0(SALU_CYCLE_1)
	s_and_b32 vcc_lo, exec_lo, s25
	s_cbranch_vccz .LBB118_416
; %bb.415:
	s_cmp_lt_i32 s24, 30
	s_cselect_b32 s0, -1, 0
	s_cmp_gt_i32 s24, 29
	s_cselect_b32 s24, -1, 0
	s_and_not1_b32 s25, s26, exec_lo
	s_and_b32 s24, s24, exec_lo
	s_delay_alu instid0(SALU_CYCLE_1)
	s_or_b32 s26, s25, s24
.LBB118_416:
	s_branch .LBB118_421
.LBB118_417:
	s_and_b32 s23, 0xffff, s23
	s_mov_b32 s24, -1
	s_cmp_gt_i32 s23, 14
	s_cbranch_scc0 .LBB118_419
; %bb.418:
	s_cmp_eq_u32 s23, 15
	s_cselect_b32 s0, -1, 0
	s_cmp_lg_u32 s23, 15
	s_cselect_b32 s24, -1, 0
	s_and_not1_b32 s25, s26, exec_lo
	s_and_b32 s26, s24, exec_lo
	s_mov_b32 s24, 0
	s_or_b32 s26, s25, s26
.LBB118_419:
	s_and_not1_b32 vcc_lo, exec_lo, s24
	s_cbranch_vccnz .LBB118_421
; %bb.420:
	s_cmp_lt_i32 s23, 12
	s_cselect_b32 s0, -1, 0
	s_cmp_gt_i32 s23, 11
	s_cselect_b32 s23, -1, 0
	s_and_not1_b32 s24, s26, exec_lo
	s_and_b32 s23, s23, exec_lo
	s_delay_alu instid0(SALU_CYCLE_1)
	s_or_b32 s26, s24, s23
.LBB118_421:
	s_and_b32 vcc_lo, exec_lo, s0
	s_cbranch_vccz .LBB118_429
; %bb.422:
	v_mul_lo_u32 v0, v6, s4
	s_and_b32 s0, s13, 0xff
	s_delay_alu instid0(SALU_CYCLE_1) | instskip(NEXT) | instid1(VALU_DEP_1)
	s_cmp_lt_i32 s0, 11
	v_ashrrev_i32_e32 v1, 31, v0
	s_delay_alu instid0(VALU_DEP_1)
	v_add_nc_u64_e32 v[0:1], s[8:9], v[0:1]
	s_cbranch_scc1 .LBB118_431
; %bb.423:
	s_and_b32 s24, 0xffff, s0
	s_delay_alu instid0(SALU_CYCLE_1)
	s_cmp_gt_i32 s24, 25
	s_cbranch_scc0 .LBB118_432
; %bb.424:
	s_cmp_gt_i32 s24, 28
	s_cbranch_scc0 .LBB118_433
; %bb.425:
	;; [unrolled: 3-line block ×4, first 2 shown]
	s_cmp_eq_u32 s24, 46
	s_mov_b32 s26, 0
	s_cbranch_scc0 .LBB118_438
; %bb.428:
	s_wait_loadcnt 0x0
	global_load_b32 v2, v[0:1], off
	s_mov_b32 s25, -1
	s_mov_b32 s23, 0
	s_wait_loadcnt 0x0
	v_lshlrev_b32_e32 v2, 16, v2
	s_branch .LBB118_440
.LBB118_429:
	s_mov_b32 s28, 0
	s_mov_b32 s0, s17
	s_mov_b32 s24, s19
	s_mov_b32 s23, s20
.LBB118_430:
                                        ; implicit-def: $vgpr6
	s_branch .LBB118_809
.LBB118_431:
	s_mov_b32 s24, -1
	s_mov_b32 s25, 0
	s_mov_b32 s23, s20
                                        ; implicit-def: $vgpr2
	s_branch .LBB118_505
.LBB118_432:
	s_mov_b32 s26, -1
	s_mov_b32 s25, 0
	s_mov_b32 s23, s20
                                        ; implicit-def: $vgpr2
	s_branch .LBB118_469
.LBB118_433:
	s_mov_b32 s26, -1
	s_mov_b32 s25, 0
	s_mov_b32 s23, s20
                                        ; implicit-def: $vgpr2
	s_branch .LBB118_450
.LBB118_434:
	s_mov_b32 s26, -1
	s_mov_b32 s25, 0
	s_mov_b32 s23, s20
                                        ; implicit-def: $vgpr2
	s_branch .LBB118_445
.LBB118_435:
	s_mov_b32 s26, -1
	s_mov_b32 s25, 0
	s_mov_b32 s23, s20
	s_branch .LBB118_439
.LBB118_436:
	s_and_not1_saveexec_b32 s27, s27
	s_cbranch_execz .LBB118_312
.LBB118_437:
	v_add_f32_e64 v3, 0x46000000, |v2|
	s_and_not1_b32 s26, s26, exec_lo
	s_delay_alu instid0(VALU_DEP_1) | instskip(NEXT) | instid1(VALU_DEP_1)
	v_and_b32_e32 v3, 0xff, v3
	v_cmp_ne_u32_e32 vcc_lo, 0, v3
	s_and_b32 s28, vcc_lo, exec_lo
	s_delay_alu instid0(SALU_CYCLE_1)
	s_or_b32 s26, s26, s28
	s_or_b32 exec_lo, exec_lo, s27
	v_mov_b32_e32 v4, 0
	s_and_saveexec_b32 s27, s26
	s_cbranch_execnz .LBB118_313
	s_branch .LBB118_314
.LBB118_438:
	s_mov_b32 s23, -1
	s_mov_b32 s25, 0
.LBB118_439:
                                        ; implicit-def: $vgpr2
.LBB118_440:
	s_and_b32 vcc_lo, exec_lo, s26
	s_cbranch_vccz .LBB118_444
; %bb.441:
	s_cmp_eq_u32 s24, 44
	s_cbranch_scc0 .LBB118_443
; %bb.442:
	s_wait_loadcnt 0x0
	global_load_u8 v2, v[0:1], off
	s_mov_b32 s23, 0
	s_mov_b32 s25, -1
	s_wait_loadcnt 0x0
	v_lshlrev_b32_e32 v3, 23, v2
	v_cmp_ne_u32_e32 vcc_lo, 0xff, v2
	s_delay_alu instid0(VALU_DEP_2) | instskip(SKIP_1) | instid1(VALU_DEP_2)
	v_cndmask_b32_e32 v3, 0x7f800001, v3, vcc_lo
	v_cmp_ne_u32_e32 vcc_lo, 0, v2
	v_cndmask_b32_e32 v2, 0x400000, v3, vcc_lo
	s_branch .LBB118_444
.LBB118_443:
	s_mov_b32 s23, -1
                                        ; implicit-def: $vgpr2
.LBB118_444:
	s_mov_b32 s26, 0
.LBB118_445:
	s_delay_alu instid0(SALU_CYCLE_1)
	s_and_b32 vcc_lo, exec_lo, s26
	s_cbranch_vccz .LBB118_449
; %bb.446:
	s_cmp_eq_u32 s24, 29
	s_cbranch_scc0 .LBB118_448
; %bb.447:
	s_wait_loadcnt 0x0
	global_load_b64 v[2:3], v[0:1], off
	s_mov_b32 s25, -1
	s_mov_b32 s23, 0
	s_mov_b32 s26, 0
	s_wait_loadcnt 0x0
	v_clz_i32_u32_e32 v4, v3
	s_delay_alu instid0(VALU_DEP_1) | instskip(NEXT) | instid1(VALU_DEP_1)
	v_min_u32_e32 v4, 32, v4
	v_lshlrev_b64_e32 v[2:3], v4, v[2:3]
	s_delay_alu instid0(VALU_DEP_1) | instskip(NEXT) | instid1(VALU_DEP_1)
	v_min_u32_e32 v2, 1, v2
	v_dual_sub_nc_u32 v3, 32, v4 :: v_dual_bitop2_b32 v2, v3, v2 bitop3:0x54
	s_delay_alu instid0(VALU_DEP_1) | instskip(NEXT) | instid1(VALU_DEP_1)
	v_cvt_f32_u32_e32 v2, v2
	v_ldexp_f32 v2, v2, v3
	s_branch .LBB118_450
.LBB118_448:
	s_mov_b32 s23, -1
                                        ; implicit-def: $vgpr2
.LBB118_449:
	s_mov_b32 s26, 0
.LBB118_450:
	s_delay_alu instid0(SALU_CYCLE_1)
	s_and_b32 vcc_lo, exec_lo, s26
	s_cbranch_vccz .LBB118_468
; %bb.451:
	s_cmp_lt_i32 s24, 27
	s_cbranch_scc1 .LBB118_454
; %bb.452:
	s_cmp_gt_i32 s24, 27
	s_cbranch_scc0 .LBB118_455
; %bb.453:
	s_wait_loadcnt 0x0
	global_load_b32 v2, v[0:1], off
	s_mov_b32 s25, 0
	s_wait_loadcnt 0x0
	v_cvt_f32_u32_e32 v2, v2
	s_branch .LBB118_456
.LBB118_454:
	s_mov_b32 s25, -1
                                        ; implicit-def: $vgpr2
	s_branch .LBB118_459
.LBB118_455:
	s_mov_b32 s25, -1
                                        ; implicit-def: $vgpr2
.LBB118_456:
	s_delay_alu instid0(SALU_CYCLE_1)
	s_and_not1_b32 vcc_lo, exec_lo, s25
	s_cbranch_vccnz .LBB118_458
; %bb.457:
	s_wait_loadcnt 0x0
	global_load_u16 v2, v[0:1], off
	s_wait_loadcnt 0x0
	v_cvt_f32_u32_e32 v2, v2
.LBB118_458:
	s_mov_b32 s25, 0
.LBB118_459:
	s_delay_alu instid0(SALU_CYCLE_1)
	s_and_not1_b32 vcc_lo, exec_lo, s25
	s_cbranch_vccnz .LBB118_467
; %bb.460:
	s_wait_loadcnt 0x0
	global_load_u8 v3, v[0:1], off
	s_mov_b32 s25, 0
	s_mov_b32 s26, exec_lo
	s_wait_loadcnt 0x0
	v_cmpx_lt_i16_e32 0x7f, v3
	s_xor_b32 s26, exec_lo, s26
	s_cbranch_execz .LBB118_481
; %bb.461:
	s_mov_b32 s25, -1
	s_mov_b32 s28, exec_lo
	v_cmpx_eq_u16_e32 0x80, v3
; %bb.462:
	s_xor_b32 s25, exec_lo, -1
; %bb.463:
	s_or_b32 exec_lo, exec_lo, s28
	s_delay_alu instid0(SALU_CYCLE_1)
	s_and_b32 s25, s25, exec_lo
	s_or_saveexec_b32 s26, s26
	v_mov_b32_e32 v2, 0x7f800001
	s_xor_b32 exec_lo, exec_lo, s26
	s_cbranch_execnz .LBB118_482
.LBB118_464:
	s_or_b32 exec_lo, exec_lo, s26
	s_and_saveexec_b32 s26, s25
	s_cbranch_execz .LBB118_466
.LBB118_465:
	v_and_b32_e32 v2, 0xffff, v3
	s_delay_alu instid0(VALU_DEP_1) | instskip(SKIP_1) | instid1(VALU_DEP_2)
	v_and_b32_e32 v4, 7, v2
	v_bfe_u32 v8, v2, 3, 4
	v_clz_i32_u32_e32 v5, v4
	s_delay_alu instid0(VALU_DEP_2) | instskip(NEXT) | instid1(VALU_DEP_2)
	v_cmp_eq_u32_e32 vcc_lo, 0, v8
	v_min_u32_e32 v5, 32, v5
	s_delay_alu instid0(VALU_DEP_1) | instskip(NEXT) | instid1(VALU_DEP_1)
	v_subrev_nc_u32_e32 v7, 28, v5
	v_dual_lshlrev_b32 v2, v7, v2 :: v_dual_sub_nc_u32 v5, 29, v5
	s_delay_alu instid0(VALU_DEP_1) | instskip(NEXT) | instid1(VALU_DEP_2)
	v_dual_lshlrev_b32 v3, 24, v3 :: v_dual_bitop2_b32 v2, 7, v2 bitop3:0x40
	v_cndmask_b32_e32 v5, v8, v5, vcc_lo
	s_delay_alu instid0(VALU_DEP_2) | instskip(NEXT) | instid1(VALU_DEP_3)
	v_cndmask_b32_e32 v2, v4, v2, vcc_lo
	v_and_b32_e32 v3, 0x80000000, v3
	s_delay_alu instid0(VALU_DEP_3) | instskip(NEXT) | instid1(VALU_DEP_3)
	v_lshl_add_u32 v4, v5, 23, 0x3b800000
	v_lshlrev_b32_e32 v2, 20, v2
	s_delay_alu instid0(VALU_DEP_1)
	v_or3_b32 v2, v3, v4, v2
.LBB118_466:
	s_or_b32 exec_lo, exec_lo, s26
.LBB118_467:
	s_mov_b32 s25, -1
.LBB118_468:
	s_mov_b32 s26, 0
.LBB118_469:
	s_delay_alu instid0(SALU_CYCLE_1)
	s_and_b32 vcc_lo, exec_lo, s26
	s_cbranch_vccz .LBB118_504
; %bb.470:
	s_cmp_gt_i32 s24, 22
	s_cbranch_scc0 .LBB118_480
; %bb.471:
	s_cmp_lt_i32 s24, 24
	s_cbranch_scc1 .LBB118_483
; %bb.472:
	s_cmp_gt_i32 s24, 24
	s_cbranch_scc0 .LBB118_484
; %bb.473:
	s_wait_loadcnt 0x0
	global_load_u8 v3, v[0:1], off
	s_mov_b32 s25, 0
	s_mov_b32 s26, exec_lo
	s_wait_loadcnt 0x0
	v_cmpx_lt_i16_e32 0x7f, v3
	s_xor_b32 s26, exec_lo, s26
	s_cbranch_execz .LBB118_496
; %bb.474:
	s_mov_b32 s25, -1
	s_mov_b32 s28, exec_lo
	v_cmpx_eq_u16_e32 0x80, v3
; %bb.475:
	s_xor_b32 s25, exec_lo, -1
; %bb.476:
	s_or_b32 exec_lo, exec_lo, s28
	s_delay_alu instid0(SALU_CYCLE_1)
	s_and_b32 s25, s25, exec_lo
	s_or_saveexec_b32 s26, s26
	v_mov_b32_e32 v2, 0x7f800001
	s_xor_b32 exec_lo, exec_lo, s26
	s_cbranch_execnz .LBB118_497
.LBB118_477:
	s_or_b32 exec_lo, exec_lo, s26
	s_and_saveexec_b32 s26, s25
	s_cbranch_execz .LBB118_479
.LBB118_478:
	v_and_b32_e32 v2, 0xffff, v3
	s_delay_alu instid0(VALU_DEP_1) | instskip(SKIP_1) | instid1(VALU_DEP_2)
	v_and_b32_e32 v4, 3, v2
	v_bfe_u32 v8, v2, 2, 5
	v_clz_i32_u32_e32 v5, v4
	s_delay_alu instid0(VALU_DEP_2) | instskip(NEXT) | instid1(VALU_DEP_2)
	v_cmp_eq_u32_e32 vcc_lo, 0, v8
	v_min_u32_e32 v5, 32, v5
	s_delay_alu instid0(VALU_DEP_1) | instskip(NEXT) | instid1(VALU_DEP_1)
	v_subrev_nc_u32_e32 v7, 29, v5
	v_dual_lshlrev_b32 v2, v7, v2 :: v_dual_sub_nc_u32 v5, 30, v5
	s_delay_alu instid0(VALU_DEP_1) | instskip(NEXT) | instid1(VALU_DEP_2)
	v_dual_lshlrev_b32 v3, 24, v3 :: v_dual_bitop2_b32 v2, 3, v2 bitop3:0x40
	v_cndmask_b32_e32 v5, v8, v5, vcc_lo
	s_delay_alu instid0(VALU_DEP_2) | instskip(NEXT) | instid1(VALU_DEP_3)
	v_cndmask_b32_e32 v2, v4, v2, vcc_lo
	v_and_b32_e32 v3, 0x80000000, v3
	s_delay_alu instid0(VALU_DEP_3) | instskip(NEXT) | instid1(VALU_DEP_3)
	v_lshl_add_u32 v4, v5, 23, 0x37800000
	v_lshlrev_b32_e32 v2, 21, v2
	s_delay_alu instid0(VALU_DEP_1)
	v_or3_b32 v2, v3, v4, v2
.LBB118_479:
	s_or_b32 exec_lo, exec_lo, s26
	s_mov_b32 s25, 0
	s_branch .LBB118_485
.LBB118_480:
	s_mov_b32 s26, -1
                                        ; implicit-def: $vgpr2
	s_branch .LBB118_491
.LBB118_481:
	s_or_saveexec_b32 s26, s26
	v_mov_b32_e32 v2, 0x7f800001
	s_xor_b32 exec_lo, exec_lo, s26
	s_cbranch_execz .LBB118_464
.LBB118_482:
	v_cmp_ne_u16_e32 vcc_lo, 0, v3
	v_mov_b32_e32 v2, 0
	s_and_not1_b32 s25, s25, exec_lo
	s_and_b32 s28, vcc_lo, exec_lo
	s_delay_alu instid0(SALU_CYCLE_1)
	s_or_b32 s25, s25, s28
	s_or_b32 exec_lo, exec_lo, s26
	s_and_saveexec_b32 s26, s25
	s_cbranch_execnz .LBB118_465
	s_branch .LBB118_466
.LBB118_483:
	s_mov_b32 s25, -1
                                        ; implicit-def: $vgpr2
	s_branch .LBB118_488
.LBB118_484:
	s_mov_b32 s25, -1
                                        ; implicit-def: $vgpr2
.LBB118_485:
	s_delay_alu instid0(SALU_CYCLE_1)
	s_and_b32 vcc_lo, exec_lo, s25
	s_cbranch_vccz .LBB118_487
; %bb.486:
	s_wait_loadcnt 0x0
	global_load_u8 v2, v[0:1], off
	s_wait_loadcnt 0x0
	v_lshlrev_b32_e32 v2, 24, v2
	s_delay_alu instid0(VALU_DEP_1) | instskip(NEXT) | instid1(VALU_DEP_1)
	v_and_b32_e32 v3, 0x7f000000, v2
	v_clz_i32_u32_e32 v4, v3
	v_add_nc_u32_e32 v7, 0x1000000, v3
	v_cmp_ne_u32_e32 vcc_lo, 0, v3
	s_delay_alu instid0(VALU_DEP_3) | instskip(NEXT) | instid1(VALU_DEP_1)
	v_min_u32_e32 v4, 32, v4
	v_sub_nc_u32_e64 v4, v4, 4 clamp
	s_delay_alu instid0(VALU_DEP_1) | instskip(NEXT) | instid1(VALU_DEP_1)
	v_dual_lshlrev_b32 v5, v4, v3 :: v_dual_lshlrev_b32 v4, 23, v4
	v_lshrrev_b32_e32 v5, 4, v5
	s_delay_alu instid0(VALU_DEP_1) | instskip(NEXT) | instid1(VALU_DEP_1)
	v_dual_sub_nc_u32 v4, v5, v4 :: v_dual_ashrrev_i32 v5, 8, v7
	v_add_nc_u32_e32 v4, 0x3c000000, v4
	s_delay_alu instid0(VALU_DEP_1) | instskip(NEXT) | instid1(VALU_DEP_1)
	v_and_or_b32 v4, 0x7f800000, v5, v4
	v_cndmask_b32_e32 v3, 0, v4, vcc_lo
	s_delay_alu instid0(VALU_DEP_1)
	v_and_or_b32 v2, 0x80000000, v2, v3
.LBB118_487:
	s_mov_b32 s25, 0
.LBB118_488:
	s_delay_alu instid0(SALU_CYCLE_1)
	s_and_not1_b32 vcc_lo, exec_lo, s25
	s_cbranch_vccnz .LBB118_490
; %bb.489:
	s_wait_loadcnt 0x0
	global_load_u8 v2, v[0:1], off
	s_wait_loadcnt 0x0
	v_lshlrev_b32_e32 v3, 25, v2
	v_lshlrev_b16 v2, 8, v2
	s_delay_alu instid0(VALU_DEP_1) | instskip(SKIP_1) | instid1(VALU_DEP_2)
	v_and_or_b32 v5, 0x7f00, v2, 0.5
	v_bfe_i32 v2, v2, 0, 16
	v_dual_add_f32 v5, -0.5, v5 :: v_dual_lshrrev_b32 v4, 4, v3
	v_cmp_gt_u32_e32 vcc_lo, 0x8000000, v3
	s_delay_alu instid0(VALU_DEP_2) | instskip(NEXT) | instid1(VALU_DEP_1)
	v_or_b32_e32 v4, 0x70000000, v4
	v_mul_f32_e32 v4, 0x7800000, v4
	s_delay_alu instid0(VALU_DEP_1) | instskip(NEXT) | instid1(VALU_DEP_1)
	v_cndmask_b32_e32 v3, v4, v5, vcc_lo
	v_and_or_b32 v2, 0x80000000, v2, v3
.LBB118_490:
	s_mov_b32 s26, 0
	s_mov_b32 s25, -1
.LBB118_491:
	s_and_not1_b32 vcc_lo, exec_lo, s26
	s_cbranch_vccnz .LBB118_504
; %bb.492:
	s_cmp_gt_i32 s24, 14
	s_cbranch_scc0 .LBB118_495
; %bb.493:
	s_cmp_eq_u32 s24, 15
	s_cbranch_scc0 .LBB118_498
; %bb.494:
	s_wait_loadcnt 0x0
	global_load_u16 v2, v[0:1], off
	s_mov_b32 s25, -1
	s_mov_b32 s23, 0
	s_wait_loadcnt 0x0
	v_lshlrev_b32_e32 v2, 16, v2
	s_branch .LBB118_499
.LBB118_495:
	s_mov_b32 s26, -1
                                        ; implicit-def: $vgpr2
	s_branch .LBB118_500
.LBB118_496:
	s_or_saveexec_b32 s26, s26
	v_mov_b32_e32 v2, 0x7f800001
	s_xor_b32 exec_lo, exec_lo, s26
	s_cbranch_execz .LBB118_477
.LBB118_497:
	v_cmp_ne_u16_e32 vcc_lo, 0, v3
	v_mov_b32_e32 v2, 0
	s_and_not1_b32 s25, s25, exec_lo
	s_and_b32 s28, vcc_lo, exec_lo
	s_delay_alu instid0(SALU_CYCLE_1)
	s_or_b32 s25, s25, s28
	s_or_b32 exec_lo, exec_lo, s26
	s_and_saveexec_b32 s26, s25
	s_cbranch_execnz .LBB118_478
	s_branch .LBB118_479
.LBB118_498:
	s_mov_b32 s23, -1
                                        ; implicit-def: $vgpr2
.LBB118_499:
	s_mov_b32 s26, 0
.LBB118_500:
	s_delay_alu instid0(SALU_CYCLE_1)
	s_and_b32 vcc_lo, exec_lo, s26
	s_cbranch_vccz .LBB118_504
; %bb.501:
	s_cmp_eq_u32 s24, 11
	s_cbranch_scc0 .LBB118_503
; %bb.502:
	s_wait_loadcnt 0x0
	global_load_u8 v2, v[0:1], off
	s_mov_b32 s23, 0
	s_mov_b32 s25, -1
	s_wait_loadcnt 0x0
	v_cmp_ne_u16_e32 vcc_lo, 0, v2
	v_cndmask_b32_e64 v2, 0, 1.0, vcc_lo
	s_branch .LBB118_504
.LBB118_503:
	s_mov_b32 s23, -1
                                        ; implicit-def: $vgpr2
.LBB118_504:
	s_mov_b32 s24, 0
.LBB118_505:
	s_delay_alu instid0(SALU_CYCLE_1)
	s_and_b32 vcc_lo, exec_lo, s24
	s_cbranch_vccz .LBB118_554
; %bb.506:
	s_and_b32 s0, 0xffff, s0
	s_delay_alu instid0(SALU_CYCLE_1)
	s_cmp_lt_i32 s0, 5
	s_cbranch_scc1 .LBB118_511
; %bb.507:
	s_cmp_lt_i32 s0, 8
	s_cbranch_scc1 .LBB118_512
; %bb.508:
	;; [unrolled: 3-line block ×3, first 2 shown]
	s_cmp_gt_i32 s0, 9
	s_cbranch_scc0 .LBB118_514
; %bb.510:
	s_wait_loadcnt 0x0
	global_load_b64 v[2:3], v[0:1], off
	s_mov_b32 s24, 0
	s_wait_loadcnt 0x0
	v_cvt_f32_f64_e32 v2, v[2:3]
	s_branch .LBB118_515
.LBB118_511:
	s_mov_b32 s24, -1
                                        ; implicit-def: $vgpr2
	s_branch .LBB118_533
.LBB118_512:
	s_mov_b32 s24, -1
                                        ; implicit-def: $vgpr2
	s_branch .LBB118_521
.LBB118_513:
	s_mov_b32 s24, -1
                                        ; implicit-def: $vgpr2
	s_branch .LBB118_518
.LBB118_514:
	s_mov_b32 s24, -1
                                        ; implicit-def: $vgpr2
.LBB118_515:
	s_delay_alu instid0(SALU_CYCLE_1)
	s_and_not1_b32 vcc_lo, exec_lo, s24
	s_cbranch_vccnz .LBB118_517
; %bb.516:
	s_wait_loadcnt 0x0
	global_load_b32 v2, v[0:1], off
.LBB118_517:
	s_mov_b32 s24, 0
.LBB118_518:
	s_delay_alu instid0(SALU_CYCLE_1)
	s_and_not1_b32 vcc_lo, exec_lo, s24
	s_cbranch_vccnz .LBB118_520
; %bb.519:
	s_wait_loadcnt 0x0
	global_load_b32 v2, v[0:1], off
	s_wait_loadcnt 0x0
	v_cvt_f32_f16_e32 v2, v2
.LBB118_520:
	s_mov_b32 s24, 0
.LBB118_521:
	s_delay_alu instid0(SALU_CYCLE_1)
	s_and_not1_b32 vcc_lo, exec_lo, s24
	s_cbranch_vccnz .LBB118_532
; %bb.522:
	s_cmp_lt_i32 s0, 6
	s_cbranch_scc1 .LBB118_525
; %bb.523:
	s_cmp_gt_i32 s0, 6
	s_cbranch_scc0 .LBB118_526
; %bb.524:
	s_wait_loadcnt 0x0
	global_load_b64 v[2:3], v[0:1], off
	s_mov_b32 s24, 0
	s_wait_loadcnt 0x0
	v_cvt_f32_f64_e32 v2, v[2:3]
	s_branch .LBB118_527
.LBB118_525:
	s_mov_b32 s24, -1
                                        ; implicit-def: $vgpr2
	s_branch .LBB118_530
.LBB118_526:
	s_mov_b32 s24, -1
                                        ; implicit-def: $vgpr2
.LBB118_527:
	s_delay_alu instid0(SALU_CYCLE_1)
	s_and_not1_b32 vcc_lo, exec_lo, s24
	s_cbranch_vccnz .LBB118_529
; %bb.528:
	s_wait_loadcnt 0x0
	global_load_b32 v2, v[0:1], off
.LBB118_529:
	s_mov_b32 s24, 0
.LBB118_530:
	s_delay_alu instid0(SALU_CYCLE_1)
	s_and_not1_b32 vcc_lo, exec_lo, s24
	s_cbranch_vccnz .LBB118_532
; %bb.531:
	s_wait_loadcnt 0x0
	global_load_u16 v2, v[0:1], off
	s_wait_loadcnt 0x0
	v_cvt_f32_f16_e32 v2, v2
.LBB118_532:
	s_mov_b32 s24, 0
.LBB118_533:
	s_delay_alu instid0(SALU_CYCLE_1)
	s_and_not1_b32 vcc_lo, exec_lo, s24
	s_cbranch_vccnz .LBB118_553
; %bb.534:
	s_cmp_lt_i32 s0, 2
	s_cbranch_scc1 .LBB118_538
; %bb.535:
	s_cmp_lt_i32 s0, 3
	s_cbranch_scc1 .LBB118_539
; %bb.536:
	s_cmp_gt_i32 s0, 3
	s_cbranch_scc0 .LBB118_540
; %bb.537:
	s_wait_loadcnt 0x0
	global_load_b64 v[2:3], v[0:1], off
	s_mov_b32 s24, 0
	s_wait_loadcnt 0x0
	v_xor_b32_e32 v4, v2, v3
	v_cls_i32_e32 v5, v3
	s_delay_alu instid0(VALU_DEP_2) | instskip(NEXT) | instid1(VALU_DEP_1)
	v_ashrrev_i32_e32 v4, 31, v4
	v_add_nc_u32_e32 v4, 32, v4
	s_delay_alu instid0(VALU_DEP_1) | instskip(NEXT) | instid1(VALU_DEP_1)
	v_add_min_u32_e64 v4, v5, -1, v4
	v_lshlrev_b64_e32 v[2:3], v4, v[2:3]
	s_delay_alu instid0(VALU_DEP_1) | instskip(NEXT) | instid1(VALU_DEP_1)
	v_min_u32_e32 v2, 1, v2
	v_dual_sub_nc_u32 v3, 32, v4 :: v_dual_bitop2_b32 v2, v3, v2 bitop3:0x54
	s_delay_alu instid0(VALU_DEP_1) | instskip(NEXT) | instid1(VALU_DEP_1)
	v_cvt_f32_i32_e32 v2, v2
	v_ldexp_f32 v2, v2, v3
	s_branch .LBB118_541
.LBB118_538:
	s_mov_b32 s24, -1
                                        ; implicit-def: $vgpr2
	s_branch .LBB118_547
.LBB118_539:
	s_mov_b32 s24, -1
                                        ; implicit-def: $vgpr2
	s_branch .LBB118_544
.LBB118_540:
	s_mov_b32 s24, -1
                                        ; implicit-def: $vgpr2
.LBB118_541:
	s_delay_alu instid0(SALU_CYCLE_1)
	s_and_not1_b32 vcc_lo, exec_lo, s24
	s_cbranch_vccnz .LBB118_543
; %bb.542:
	s_wait_loadcnt 0x0
	global_load_b32 v2, v[0:1], off
	s_wait_loadcnt 0x0
	v_cvt_f32_i32_e32 v2, v2
.LBB118_543:
	s_mov_b32 s24, 0
.LBB118_544:
	s_delay_alu instid0(SALU_CYCLE_1)
	s_and_not1_b32 vcc_lo, exec_lo, s24
	s_cbranch_vccnz .LBB118_546
; %bb.545:
	s_wait_loadcnt 0x0
	global_load_i16 v2, v[0:1], off
	s_wait_loadcnt 0x0
	v_cvt_f32_i32_e32 v2, v2
.LBB118_546:
	s_mov_b32 s24, 0
.LBB118_547:
	s_delay_alu instid0(SALU_CYCLE_1)
	s_and_not1_b32 vcc_lo, exec_lo, s24
	s_cbranch_vccnz .LBB118_553
; %bb.548:
	s_cmp_gt_i32 s0, 0
	s_mov_b32 s0, 0
	s_cbranch_scc0 .LBB118_550
; %bb.549:
	s_wait_loadcnt 0x0
	global_load_i8 v2, v[0:1], off
	s_wait_loadcnt 0x0
	v_cvt_f32_i32_e32 v2, v2
	s_branch .LBB118_551
.LBB118_550:
	s_mov_b32 s0, -1
                                        ; implicit-def: $vgpr2
.LBB118_551:
	s_delay_alu instid0(SALU_CYCLE_1)
	s_and_not1_b32 vcc_lo, exec_lo, s0
	s_cbranch_vccnz .LBB118_553
; %bb.552:
	global_load_u8 v0, v[0:1], off
	s_wait_loadcnt 0x0
	v_cvt_f32_ubyte0_e32 v2, v0
.LBB118_553:
	s_mov_b32 s25, -1
.LBB118_554:
	s_mov_b32 s26, 0
	s_mov_b32 s0, s17
	s_and_not1_b32 vcc_lo, exec_lo, s25
	s_mov_b32 s24, s19
	s_mov_b32 s28, 0
	s_cbranch_vccnz .LBB118_809
; %bb.555:
	s_wait_xcnt 0x0
	v_mul_lo_u32 v0, v6, s5
	s_and_b32 s0, 0xffff, s1
	s_delay_alu instid0(SALU_CYCLE_1) | instskip(NEXT) | instid1(VALU_DEP_1)
	s_cmp_lt_i32 s0, 11
	v_ashrrev_i32_e32 v1, 31, v0
	s_delay_alu instid0(VALU_DEP_1)
	v_add_nc_u64_e32 v[0:1], s[10:11], v[0:1]
	s_cbranch_scc1 .LBB118_562
; %bb.556:
	s_cmp_gt_i32 s0, 25
	s_cbranch_scc0 .LBB118_563
; %bb.557:
	s_cmp_gt_i32 s0, 28
	s_cbranch_scc0 .LBB118_564
	;; [unrolled: 3-line block ×4, first 2 shown]
; %bb.560:
	s_cmp_eq_u32 s0, 46
	s_cbranch_scc0 .LBB118_569
; %bb.561:
	s_wait_loadcnt 0x0
	global_load_b32 v3, v[0:1], off
	s_mov_b32 s25, -1
	s_mov_b32 s24, 0
	s_wait_loadcnt 0x0
	v_lshlrev_b32_e32 v3, 16, v3
	s_branch .LBB118_571
.LBB118_562:
	s_mov_b32 s28, -1
	s_mov_b32 s25, 0
	s_mov_b32 s24, s19
                                        ; implicit-def: $vgpr3
	s_branch .LBB118_636
.LBB118_563:
	s_mov_b32 s28, -1
	s_mov_b32 s25, 0
	s_mov_b32 s24, s19
                                        ; implicit-def: $vgpr3
	s_branch .LBB118_600
.LBB118_564:
	s_mov_b32 s28, -1
	s_mov_b32 s25, 0
	s_mov_b32 s24, s19
                                        ; implicit-def: $vgpr3
	s_branch .LBB118_581
.LBB118_565:
	s_mov_b32 s28, -1
	s_mov_b32 s25, 0
	s_mov_b32 s24, s19
                                        ; implicit-def: $vgpr3
	s_branch .LBB118_576
.LBB118_566:
	s_mov_b32 s28, -1
	s_mov_b32 s25, 0
	s_mov_b32 s24, s19
	s_branch .LBB118_570
.LBB118_567:
	s_and_not1_saveexec_b32 s27, s27
	s_cbranch_execz .LBB118_325
.LBB118_568:
	v_add_f32_e64 v3, 0x42800000, |v2|
	s_and_not1_b32 s26, s26, exec_lo
	s_delay_alu instid0(VALU_DEP_1) | instskip(NEXT) | instid1(VALU_DEP_1)
	v_and_b32_e32 v3, 0xff, v3
	v_cmp_ne_u32_e32 vcc_lo, 0, v3
	s_and_b32 s28, vcc_lo, exec_lo
	s_delay_alu instid0(SALU_CYCLE_1)
	s_or_b32 s26, s26, s28
	s_or_b32 exec_lo, exec_lo, s27
	v_mov_b32_e32 v4, 0
	s_and_saveexec_b32 s27, s26
	s_cbranch_execnz .LBB118_326
	s_branch .LBB118_327
.LBB118_569:
	s_mov_b32 s24, -1
	s_mov_b32 s25, 0
.LBB118_570:
                                        ; implicit-def: $vgpr3
.LBB118_571:
	s_and_b32 vcc_lo, exec_lo, s28
	s_cbranch_vccz .LBB118_575
; %bb.572:
	s_cmp_eq_u32 s0, 44
	s_cbranch_scc0 .LBB118_574
; %bb.573:
	s_wait_loadcnt 0x0
	global_load_u8 v3, v[0:1], off
	s_mov_b32 s24, 0
	s_mov_b32 s25, -1
	s_wait_loadcnt 0x0
	v_lshlrev_b32_e32 v4, 23, v3
	v_cmp_ne_u32_e32 vcc_lo, 0xff, v3
	s_delay_alu instid0(VALU_DEP_2) | instskip(SKIP_1) | instid1(VALU_DEP_2)
	v_cndmask_b32_e32 v4, 0x7f800001, v4, vcc_lo
	v_cmp_ne_u32_e32 vcc_lo, 0, v3
	v_cndmask_b32_e32 v3, 0x400000, v4, vcc_lo
	s_branch .LBB118_575
.LBB118_574:
	s_mov_b32 s24, -1
                                        ; implicit-def: $vgpr3
.LBB118_575:
	s_mov_b32 s28, 0
.LBB118_576:
	s_delay_alu instid0(SALU_CYCLE_1)
	s_and_b32 vcc_lo, exec_lo, s28
	s_cbranch_vccz .LBB118_580
; %bb.577:
	s_cmp_eq_u32 s0, 29
	s_cbranch_scc0 .LBB118_579
; %bb.578:
	global_load_b64 v[4:5], v[0:1], off
	s_mov_b32 s25, -1
	s_mov_b32 s24, 0
	s_mov_b32 s28, 0
	s_wait_loadcnt 0x0
	v_clz_i32_u32_e32 v3, v5
	s_delay_alu instid0(VALU_DEP_1) | instskip(NEXT) | instid1(VALU_DEP_1)
	v_min_u32_e32 v3, 32, v3
	v_lshlrev_b64_e32 v[4:5], v3, v[4:5]
	v_sub_nc_u32_e32 v3, 32, v3
	s_delay_alu instid0(VALU_DEP_2) | instskip(NEXT) | instid1(VALU_DEP_1)
	v_min_u32_e32 v4, 1, v4
	v_or_b32_e32 v4, v5, v4
	s_delay_alu instid0(VALU_DEP_1) | instskip(NEXT) | instid1(VALU_DEP_1)
	v_cvt_f32_u32_e32 v4, v4
	v_ldexp_f32 v3, v4, v3
	s_branch .LBB118_581
.LBB118_579:
	s_mov_b32 s24, -1
                                        ; implicit-def: $vgpr3
.LBB118_580:
	s_mov_b32 s28, 0
.LBB118_581:
	s_delay_alu instid0(SALU_CYCLE_1)
	s_and_b32 vcc_lo, exec_lo, s28
	s_cbranch_vccz .LBB118_599
; %bb.582:
	s_cmp_lt_i32 s0, 27
	s_cbranch_scc1 .LBB118_585
; %bb.583:
	s_cmp_gt_i32 s0, 27
	s_cbranch_scc0 .LBB118_586
; %bb.584:
	s_wait_loadcnt 0x0
	global_load_b32 v3, v[0:1], off
	s_mov_b32 s25, 0
	s_wait_loadcnt 0x0
	v_cvt_f32_u32_e32 v3, v3
	s_branch .LBB118_587
.LBB118_585:
	s_mov_b32 s25, -1
                                        ; implicit-def: $vgpr3
	s_branch .LBB118_590
.LBB118_586:
	s_mov_b32 s25, -1
                                        ; implicit-def: $vgpr3
.LBB118_587:
	s_delay_alu instid0(SALU_CYCLE_1)
	s_and_not1_b32 vcc_lo, exec_lo, s25
	s_cbranch_vccnz .LBB118_589
; %bb.588:
	s_wait_loadcnt 0x0
	global_load_u16 v3, v[0:1], off
	s_wait_loadcnt 0x0
	v_cvt_f32_u32_e32 v3, v3
.LBB118_589:
	s_mov_b32 s25, 0
.LBB118_590:
	s_delay_alu instid0(SALU_CYCLE_1)
	s_and_not1_b32 vcc_lo, exec_lo, s25
	s_cbranch_vccnz .LBB118_598
; %bb.591:
	global_load_u8 v4, v[0:1], off
	s_mov_b32 s25, 0
	s_mov_b32 s28, exec_lo
	s_wait_loadcnt 0x0
	v_cmpx_lt_i16_e32 0x7f, v4
	s_xor_b32 s28, exec_lo, s28
	s_cbranch_execz .LBB118_612
; %bb.592:
	s_mov_b32 s25, -1
	s_mov_b32 s29, exec_lo
	v_cmpx_eq_u16_e32 0x80, v4
; %bb.593:
	s_xor_b32 s25, exec_lo, -1
; %bb.594:
	s_or_b32 exec_lo, exec_lo, s29
	s_delay_alu instid0(SALU_CYCLE_1)
	s_and_b32 s25, s25, exec_lo
	s_or_saveexec_b32 s28, s28
	v_mov_b32_e32 v3, 0x7f800001
	s_xor_b32 exec_lo, exec_lo, s28
	s_cbranch_execnz .LBB118_613
.LBB118_595:
	s_or_b32 exec_lo, exec_lo, s28
	s_and_saveexec_b32 s28, s25
	s_cbranch_execz .LBB118_597
.LBB118_596:
	v_and_b32_e32 v3, 0xffff, v4
	s_delay_alu instid0(VALU_DEP_1) | instskip(SKIP_1) | instid1(VALU_DEP_2)
	v_dual_lshlrev_b32 v4, 24, v4 :: v_dual_bitop2_b32 v5, 7, v3 bitop3:0x40
	v_bfe_u32 v9, v3, 3, 4
	v_and_b32_e32 v4, 0x80000000, v4
	s_delay_alu instid0(VALU_DEP_3) | instskip(NEXT) | instid1(VALU_DEP_3)
	v_clz_i32_u32_e32 v7, v5
	v_cmp_eq_u32_e32 vcc_lo, 0, v9
	s_delay_alu instid0(VALU_DEP_2) | instskip(NEXT) | instid1(VALU_DEP_1)
	v_min_u32_e32 v7, 32, v7
	v_subrev_nc_u32_e32 v8, 28, v7
	v_sub_nc_u32_e32 v7, 29, v7
	s_delay_alu instid0(VALU_DEP_2) | instskip(NEXT) | instid1(VALU_DEP_2)
	v_lshlrev_b32_e32 v3, v8, v3
	v_cndmask_b32_e32 v7, v9, v7, vcc_lo
	s_delay_alu instid0(VALU_DEP_2) | instskip(NEXT) | instid1(VALU_DEP_1)
	v_and_b32_e32 v3, 7, v3
	v_cndmask_b32_e32 v3, v5, v3, vcc_lo
	s_delay_alu instid0(VALU_DEP_3) | instskip(NEXT) | instid1(VALU_DEP_2)
	v_lshl_add_u32 v5, v7, 23, 0x3b800000
	v_lshlrev_b32_e32 v3, 20, v3
	s_delay_alu instid0(VALU_DEP_1)
	v_or3_b32 v3, v4, v5, v3
.LBB118_597:
	s_or_b32 exec_lo, exec_lo, s28
.LBB118_598:
	s_mov_b32 s25, -1
.LBB118_599:
	s_mov_b32 s28, 0
.LBB118_600:
	s_delay_alu instid0(SALU_CYCLE_1)
	s_and_b32 vcc_lo, exec_lo, s28
	s_cbranch_vccz .LBB118_635
; %bb.601:
	s_cmp_gt_i32 s0, 22
	s_cbranch_scc0 .LBB118_611
; %bb.602:
	s_cmp_lt_i32 s0, 24
	s_cbranch_scc1 .LBB118_614
; %bb.603:
	s_cmp_gt_i32 s0, 24
	s_cbranch_scc0 .LBB118_615
; %bb.604:
	global_load_u8 v4, v[0:1], off
	s_mov_b32 s25, 0
	s_mov_b32 s28, exec_lo
	s_wait_loadcnt 0x0
	v_cmpx_lt_i16_e32 0x7f, v4
	s_xor_b32 s28, exec_lo, s28
	s_cbranch_execz .LBB118_627
; %bb.605:
	s_mov_b32 s25, -1
	s_mov_b32 s29, exec_lo
	v_cmpx_eq_u16_e32 0x80, v4
; %bb.606:
	s_xor_b32 s25, exec_lo, -1
; %bb.607:
	s_or_b32 exec_lo, exec_lo, s29
	s_delay_alu instid0(SALU_CYCLE_1)
	s_and_b32 s25, s25, exec_lo
	s_or_saveexec_b32 s28, s28
	v_mov_b32_e32 v3, 0x7f800001
	s_xor_b32 exec_lo, exec_lo, s28
	s_cbranch_execnz .LBB118_628
.LBB118_608:
	s_or_b32 exec_lo, exec_lo, s28
	s_and_saveexec_b32 s28, s25
	s_cbranch_execz .LBB118_610
.LBB118_609:
	v_and_b32_e32 v3, 0xffff, v4
	s_delay_alu instid0(VALU_DEP_1) | instskip(SKIP_1) | instid1(VALU_DEP_2)
	v_dual_lshlrev_b32 v4, 24, v4 :: v_dual_bitop2_b32 v5, 3, v3 bitop3:0x40
	v_bfe_u32 v9, v3, 2, 5
	v_and_b32_e32 v4, 0x80000000, v4
	s_delay_alu instid0(VALU_DEP_3) | instskip(NEXT) | instid1(VALU_DEP_3)
	v_clz_i32_u32_e32 v7, v5
	v_cmp_eq_u32_e32 vcc_lo, 0, v9
	s_delay_alu instid0(VALU_DEP_2) | instskip(NEXT) | instid1(VALU_DEP_1)
	v_min_u32_e32 v7, 32, v7
	v_subrev_nc_u32_e32 v8, 29, v7
	v_sub_nc_u32_e32 v7, 30, v7
	s_delay_alu instid0(VALU_DEP_2) | instskip(NEXT) | instid1(VALU_DEP_2)
	v_lshlrev_b32_e32 v3, v8, v3
	v_cndmask_b32_e32 v7, v9, v7, vcc_lo
	s_delay_alu instid0(VALU_DEP_2) | instskip(NEXT) | instid1(VALU_DEP_1)
	v_and_b32_e32 v3, 3, v3
	v_cndmask_b32_e32 v3, v5, v3, vcc_lo
	s_delay_alu instid0(VALU_DEP_3) | instskip(NEXT) | instid1(VALU_DEP_2)
	v_lshl_add_u32 v5, v7, 23, 0x37800000
	v_lshlrev_b32_e32 v3, 21, v3
	s_delay_alu instid0(VALU_DEP_1)
	v_or3_b32 v3, v4, v5, v3
.LBB118_610:
	s_or_b32 exec_lo, exec_lo, s28
	s_mov_b32 s25, 0
	s_branch .LBB118_616
.LBB118_611:
	s_mov_b32 s28, -1
                                        ; implicit-def: $vgpr3
	s_branch .LBB118_622
.LBB118_612:
	s_or_saveexec_b32 s28, s28
	v_mov_b32_e32 v3, 0x7f800001
	s_xor_b32 exec_lo, exec_lo, s28
	s_cbranch_execz .LBB118_595
.LBB118_613:
	v_cmp_ne_u16_e32 vcc_lo, 0, v4
	v_mov_b32_e32 v3, 0
	s_and_not1_b32 s25, s25, exec_lo
	s_and_b32 s29, vcc_lo, exec_lo
	s_delay_alu instid0(SALU_CYCLE_1)
	s_or_b32 s25, s25, s29
	s_or_b32 exec_lo, exec_lo, s28
	s_and_saveexec_b32 s28, s25
	s_cbranch_execnz .LBB118_596
	s_branch .LBB118_597
.LBB118_614:
	s_mov_b32 s25, -1
                                        ; implicit-def: $vgpr3
	s_branch .LBB118_619
.LBB118_615:
	s_mov_b32 s25, -1
                                        ; implicit-def: $vgpr3
.LBB118_616:
	s_delay_alu instid0(SALU_CYCLE_1)
	s_and_b32 vcc_lo, exec_lo, s25
	s_cbranch_vccz .LBB118_618
; %bb.617:
	s_wait_loadcnt 0x0
	global_load_u8 v3, v[0:1], off
	s_wait_loadcnt 0x0
	v_lshlrev_b32_e32 v3, 24, v3
	s_delay_alu instid0(VALU_DEP_1) | instskip(NEXT) | instid1(VALU_DEP_1)
	v_and_b32_e32 v4, 0x7f000000, v3
	v_clz_i32_u32_e32 v5, v4
	v_add_nc_u32_e32 v8, 0x1000000, v4
	v_cmp_ne_u32_e32 vcc_lo, 0, v4
	s_delay_alu instid0(VALU_DEP_3) | instskip(NEXT) | instid1(VALU_DEP_1)
	v_min_u32_e32 v5, 32, v5
	v_sub_nc_u32_e64 v5, v5, 4 clamp
	s_delay_alu instid0(VALU_DEP_1) | instskip(NEXT) | instid1(VALU_DEP_1)
	v_dual_lshlrev_b32 v7, v5, v4 :: v_dual_lshlrev_b32 v5, 23, v5
	v_lshrrev_b32_e32 v7, 4, v7
	s_delay_alu instid0(VALU_DEP_1) | instskip(NEXT) | instid1(VALU_DEP_1)
	v_dual_sub_nc_u32 v5, v7, v5 :: v_dual_ashrrev_i32 v7, 8, v8
	v_add_nc_u32_e32 v5, 0x3c000000, v5
	s_delay_alu instid0(VALU_DEP_1) | instskip(NEXT) | instid1(VALU_DEP_1)
	v_and_or_b32 v5, 0x7f800000, v7, v5
	v_cndmask_b32_e32 v4, 0, v5, vcc_lo
	s_delay_alu instid0(VALU_DEP_1)
	v_and_or_b32 v3, 0x80000000, v3, v4
.LBB118_618:
	s_mov_b32 s25, 0
.LBB118_619:
	s_delay_alu instid0(SALU_CYCLE_1)
	s_and_not1_b32 vcc_lo, exec_lo, s25
	s_cbranch_vccnz .LBB118_621
; %bb.620:
	s_wait_loadcnt 0x0
	global_load_u8 v3, v[0:1], off
	s_wait_loadcnt 0x0
	v_lshlrev_b32_e32 v4, 25, v3
	v_lshlrev_b16 v3, 8, v3
	s_delay_alu instid0(VALU_DEP_1) | instskip(NEXT) | instid1(VALU_DEP_3)
	v_and_or_b32 v7, 0x7f00, v3, 0.5
	v_lshrrev_b32_e32 v5, 4, v4
	v_bfe_i32 v3, v3, 0, 16
	s_delay_alu instid0(VALU_DEP_3) | instskip(NEXT) | instid1(VALU_DEP_3)
	v_add_f32_e32 v7, -0.5, v7
	v_or_b32_e32 v5, 0x70000000, v5
	s_delay_alu instid0(VALU_DEP_1) | instskip(SKIP_1) | instid1(VALU_DEP_2)
	v_mul_f32_e32 v5, 0x7800000, v5
	v_cmp_gt_u32_e32 vcc_lo, 0x8000000, v4
	v_cndmask_b32_e32 v4, v5, v7, vcc_lo
	s_delay_alu instid0(VALU_DEP_1)
	v_and_or_b32 v3, 0x80000000, v3, v4
.LBB118_621:
	s_mov_b32 s28, 0
	s_mov_b32 s25, -1
.LBB118_622:
	s_and_not1_b32 vcc_lo, exec_lo, s28
	s_cbranch_vccnz .LBB118_635
; %bb.623:
	s_cmp_gt_i32 s0, 14
	s_cbranch_scc0 .LBB118_626
; %bb.624:
	s_cmp_eq_u32 s0, 15
	s_cbranch_scc0 .LBB118_629
; %bb.625:
	s_wait_loadcnt 0x0
	global_load_u16 v3, v[0:1], off
	s_mov_b32 s25, -1
	s_mov_b32 s24, 0
	s_wait_loadcnt 0x0
	v_lshlrev_b32_e32 v3, 16, v3
	s_branch .LBB118_630
.LBB118_626:
	s_mov_b32 s28, -1
                                        ; implicit-def: $vgpr3
	s_branch .LBB118_631
.LBB118_627:
	s_or_saveexec_b32 s28, s28
	v_mov_b32_e32 v3, 0x7f800001
	s_xor_b32 exec_lo, exec_lo, s28
	s_cbranch_execz .LBB118_608
.LBB118_628:
	v_cmp_ne_u16_e32 vcc_lo, 0, v4
	v_mov_b32_e32 v3, 0
	s_and_not1_b32 s25, s25, exec_lo
	s_and_b32 s29, vcc_lo, exec_lo
	s_delay_alu instid0(SALU_CYCLE_1)
	s_or_b32 s25, s25, s29
	s_or_b32 exec_lo, exec_lo, s28
	s_and_saveexec_b32 s28, s25
	s_cbranch_execnz .LBB118_609
	s_branch .LBB118_610
.LBB118_629:
	s_mov_b32 s24, -1
                                        ; implicit-def: $vgpr3
.LBB118_630:
	s_mov_b32 s28, 0
.LBB118_631:
	s_delay_alu instid0(SALU_CYCLE_1)
	s_and_b32 vcc_lo, exec_lo, s28
	s_cbranch_vccz .LBB118_635
; %bb.632:
	s_cmp_eq_u32 s0, 11
	s_cbranch_scc0 .LBB118_634
; %bb.633:
	s_wait_loadcnt 0x0
	global_load_u8 v3, v[0:1], off
	s_mov_b32 s24, 0
	s_mov_b32 s25, -1
	s_wait_loadcnt 0x0
	v_cmp_ne_u16_e32 vcc_lo, 0, v3
	v_cndmask_b32_e64 v3, 0, 1.0, vcc_lo
	s_branch .LBB118_635
.LBB118_634:
	s_mov_b32 s24, -1
                                        ; implicit-def: $vgpr3
.LBB118_635:
	s_mov_b32 s28, 0
.LBB118_636:
	s_delay_alu instid0(SALU_CYCLE_1)
	s_and_b32 vcc_lo, exec_lo, s28
	s_cbranch_vccz .LBB118_685
; %bb.637:
	s_cmp_lt_i32 s0, 5
	s_cbranch_scc1 .LBB118_642
; %bb.638:
	s_cmp_lt_i32 s0, 8
	s_cbranch_scc1 .LBB118_643
	;; [unrolled: 3-line block ×3, first 2 shown]
; %bb.640:
	s_cmp_gt_i32 s0, 9
	s_cbranch_scc0 .LBB118_645
; %bb.641:
	global_load_b64 v[4:5], v[0:1], off
	s_mov_b32 s25, 0
	s_wait_loadcnt 0x0
	v_cvt_f32_f64_e32 v3, v[4:5]
	s_branch .LBB118_646
.LBB118_642:
	s_mov_b32 s25, -1
                                        ; implicit-def: $vgpr3
	s_branch .LBB118_664
.LBB118_643:
	s_mov_b32 s25, -1
                                        ; implicit-def: $vgpr3
	s_branch .LBB118_652
.LBB118_644:
	s_mov_b32 s25, -1
                                        ; implicit-def: $vgpr3
	s_branch .LBB118_649
.LBB118_645:
	s_mov_b32 s25, -1
                                        ; implicit-def: $vgpr3
.LBB118_646:
	s_delay_alu instid0(SALU_CYCLE_1)
	s_and_not1_b32 vcc_lo, exec_lo, s25
	s_cbranch_vccnz .LBB118_648
; %bb.647:
	s_wait_loadcnt 0x0
	global_load_b32 v3, v[0:1], off
.LBB118_648:
	s_mov_b32 s25, 0
.LBB118_649:
	s_delay_alu instid0(SALU_CYCLE_1)
	s_and_not1_b32 vcc_lo, exec_lo, s25
	s_cbranch_vccnz .LBB118_651
; %bb.650:
	s_wait_loadcnt 0x0
	global_load_b32 v3, v[0:1], off
	s_wait_loadcnt 0x0
	v_cvt_f32_f16_e32 v3, v3
.LBB118_651:
	s_mov_b32 s25, 0
.LBB118_652:
	s_delay_alu instid0(SALU_CYCLE_1)
	s_and_not1_b32 vcc_lo, exec_lo, s25
	s_cbranch_vccnz .LBB118_663
; %bb.653:
	s_cmp_lt_i32 s0, 6
	s_cbranch_scc1 .LBB118_656
; %bb.654:
	s_cmp_gt_i32 s0, 6
	s_cbranch_scc0 .LBB118_657
; %bb.655:
	global_load_b64 v[4:5], v[0:1], off
	s_mov_b32 s25, 0
	s_wait_loadcnt 0x0
	v_cvt_f32_f64_e32 v3, v[4:5]
	s_branch .LBB118_658
.LBB118_656:
	s_mov_b32 s25, -1
                                        ; implicit-def: $vgpr3
	s_branch .LBB118_661
.LBB118_657:
	s_mov_b32 s25, -1
                                        ; implicit-def: $vgpr3
.LBB118_658:
	s_delay_alu instid0(SALU_CYCLE_1)
	s_and_not1_b32 vcc_lo, exec_lo, s25
	s_cbranch_vccnz .LBB118_660
; %bb.659:
	s_wait_loadcnt 0x0
	global_load_b32 v3, v[0:1], off
.LBB118_660:
	s_mov_b32 s25, 0
.LBB118_661:
	s_delay_alu instid0(SALU_CYCLE_1)
	s_and_not1_b32 vcc_lo, exec_lo, s25
	s_cbranch_vccnz .LBB118_663
; %bb.662:
	s_wait_loadcnt 0x0
	global_load_u16 v3, v[0:1], off
	s_wait_loadcnt 0x0
	v_cvt_f32_f16_e32 v3, v3
.LBB118_663:
	s_mov_b32 s25, 0
.LBB118_664:
	s_delay_alu instid0(SALU_CYCLE_1)
	s_and_not1_b32 vcc_lo, exec_lo, s25
	s_cbranch_vccnz .LBB118_684
; %bb.665:
	s_cmp_lt_i32 s0, 2
	s_cbranch_scc1 .LBB118_669
; %bb.666:
	s_cmp_lt_i32 s0, 3
	s_cbranch_scc1 .LBB118_670
; %bb.667:
	s_cmp_gt_i32 s0, 3
	s_cbranch_scc0 .LBB118_671
; %bb.668:
	global_load_b64 v[4:5], v[0:1], off
	s_mov_b32 s25, 0
	s_wait_loadcnt 0x0
	v_xor_b32_e32 v3, v4, v5
	v_cls_i32_e32 v7, v5
	s_delay_alu instid0(VALU_DEP_2) | instskip(NEXT) | instid1(VALU_DEP_1)
	v_ashrrev_i32_e32 v3, 31, v3
	v_add_nc_u32_e32 v3, 32, v3
	s_delay_alu instid0(VALU_DEP_1) | instskip(NEXT) | instid1(VALU_DEP_1)
	v_add_min_u32_e64 v3, v7, -1, v3
	v_lshlrev_b64_e32 v[4:5], v3, v[4:5]
	v_sub_nc_u32_e32 v3, 32, v3
	s_delay_alu instid0(VALU_DEP_2) | instskip(NEXT) | instid1(VALU_DEP_1)
	v_min_u32_e32 v4, 1, v4
	v_or_b32_e32 v4, v5, v4
	s_delay_alu instid0(VALU_DEP_1) | instskip(NEXT) | instid1(VALU_DEP_1)
	v_cvt_f32_i32_e32 v4, v4
	v_ldexp_f32 v3, v4, v3
	s_branch .LBB118_672
.LBB118_669:
	s_mov_b32 s25, -1
                                        ; implicit-def: $vgpr3
	s_branch .LBB118_678
.LBB118_670:
	s_mov_b32 s25, -1
                                        ; implicit-def: $vgpr3
	s_branch .LBB118_675
.LBB118_671:
	s_mov_b32 s25, -1
                                        ; implicit-def: $vgpr3
.LBB118_672:
	s_delay_alu instid0(SALU_CYCLE_1)
	s_and_not1_b32 vcc_lo, exec_lo, s25
	s_cbranch_vccnz .LBB118_674
; %bb.673:
	s_wait_loadcnt 0x0
	global_load_b32 v3, v[0:1], off
	s_wait_loadcnt 0x0
	v_cvt_f32_i32_e32 v3, v3
.LBB118_674:
	s_mov_b32 s25, 0
.LBB118_675:
	s_delay_alu instid0(SALU_CYCLE_1)
	s_and_not1_b32 vcc_lo, exec_lo, s25
	s_cbranch_vccnz .LBB118_677
; %bb.676:
	s_wait_loadcnt 0x0
	global_load_i16 v3, v[0:1], off
	s_wait_loadcnt 0x0
	v_cvt_f32_i32_e32 v3, v3
.LBB118_677:
	s_mov_b32 s25, 0
.LBB118_678:
	s_delay_alu instid0(SALU_CYCLE_1)
	s_and_not1_b32 vcc_lo, exec_lo, s25
	s_cbranch_vccnz .LBB118_684
; %bb.679:
	s_cmp_gt_i32 s0, 0
	s_mov_b32 s0, 0
	s_cbranch_scc0 .LBB118_681
; %bb.680:
	s_wait_loadcnt 0x0
	global_load_i8 v3, v[0:1], off
	s_wait_loadcnt 0x0
	v_cvt_f32_i32_e32 v3, v3
	s_branch .LBB118_682
.LBB118_681:
	s_mov_b32 s0, -1
                                        ; implicit-def: $vgpr3
.LBB118_682:
	s_delay_alu instid0(SALU_CYCLE_1)
	s_and_not1_b32 vcc_lo, exec_lo, s0
	s_cbranch_vccnz .LBB118_684
; %bb.683:
	global_load_u8 v0, v[0:1], off
	s_wait_loadcnt 0x0
	v_cvt_f32_ubyte0_e32 v3, v0
.LBB118_684:
	s_mov_b32 s25, -1
.LBB118_685:
	s_delay_alu instid0(SALU_CYCLE_1)
	s_and_not1_b32 vcc_lo, exec_lo, s25
	s_cbranch_vccnz .LBB118_693
; %bb.686:
	s_wait_xcnt 0x0
	v_mul_lo_u32 v0, v6, s12
	s_and_b32 s25, s7, 0xff
	s_wait_loadcnt 0x0
	v_mul_f32_e32 v2, s6, v2
	s_cmp_lt_i32 s25, 11
	s_delay_alu instid0(VALU_DEP_1) | instskip(NEXT) | instid1(VALU_DEP_1)
	v_dual_mul_f32 v2, v2, v3 :: v_dual_ashrrev_i32 v1, 31, v0
	v_add_nc_u64_e32 v[0:1], s[2:3], v[0:1]
	s_cbranch_scc1 .LBB118_694
; %bb.687:
	s_and_b32 s28, 0xffff, s25
	s_delay_alu instid0(SALU_CYCLE_1)
	s_cmp_gt_i32 s28, 25
	s_cbranch_scc0 .LBB118_695
; %bb.688:
	s_cmp_gt_i32 s28, 28
	s_cbranch_scc0 .LBB118_696
; %bb.689:
	;; [unrolled: 3-line block ×4, first 2 shown]
	s_mov_b32 s30, 0
	s_mov_b32 s0, -1
	s_cmp_eq_u32 s28, 46
	s_mov_b32 s29, 0
	s_cbranch_scc0 .LBB118_699
; %bb.692:
	v_bfe_u32 v3, v2, 16, 1
	v_cmp_o_f32_e32 vcc_lo, v2, v2
	s_mov_b32 s29, -1
	s_mov_b32 s0, 0
	s_delay_alu instid0(VALU_DEP_2) | instskip(NEXT) | instid1(VALU_DEP_1)
	v_add3_u32 v3, v2, v3, 0x7fff
	v_lshrrev_b32_e32 v3, 16, v3
	s_delay_alu instid0(VALU_DEP_1)
	v_cndmask_b32_e32 v3, 0x7fc0, v3, vcc_lo
	global_store_b32 v[0:1], v3, off
	s_branch .LBB118_699
.LBB118_693:
	s_mov_b32 s28, 0
	s_mov_b32 s0, s17
	s_branch .LBB118_430
.LBB118_694:
	s_mov_b32 s28, -1
	s_mov_b32 s29, 0
	s_mov_b32 s0, s17
	s_branch .LBB118_768
.LBB118_695:
	s_mov_b32 s30, -1
	s_mov_b32 s29, 0
	s_mov_b32 s0, s17
	s_branch .LBB118_726
.LBB118_696:
	s_mov_b32 s30, -1
	s_mov_b32 s29, 0
	s_mov_b32 s0, s17
	s_branch .LBB118_709
.LBB118_697:
	s_mov_b32 s30, -1
	s_mov_b32 s29, 0
	s_mov_b32 s0, s17
	s_branch .LBB118_705
.LBB118_698:
	s_mov_b32 s30, -1
	s_mov_b32 s29, 0
	s_mov_b32 s0, s17
.LBB118_699:
	s_and_b32 vcc_lo, exec_lo, s30
	s_cbranch_vccz .LBB118_704
; %bb.700:
	s_cmp_eq_u32 s28, 44
	s_mov_b32 s0, -1
	s_cbranch_scc0 .LBB118_704
; %bb.701:
	v_bfe_u32 v4, v2, 23, 8
	s_wait_xcnt 0x0
	v_mov_b32_e32 v3, 0xff
	s_mov_b32 s29, exec_lo
	s_delay_alu instid0(VALU_DEP_2)
	v_cmpx_ne_u32_e32 0xff, v4
	s_cbranch_execz .LBB118_703
; %bb.702:
	v_and_b32_e32 v3, 0x400000, v2
	v_and_or_b32 v4, 0x3fffff, v2, v4
	s_delay_alu instid0(VALU_DEP_2) | instskip(NEXT) | instid1(VALU_DEP_2)
	v_cmp_ne_u32_e32 vcc_lo, 0, v3
	v_cmp_ne_u32_e64 s0, 0, v4
	v_lshrrev_b32_e32 v3, 23, v2
	s_and_b32 s0, vcc_lo, s0
	s_delay_alu instid0(SALU_CYCLE_1) | instskip(NEXT) | instid1(VALU_DEP_1)
	v_cndmask_b32_e64 v4, 0, 1, s0
	v_add_nc_u32_e32 v3, v3, v4
.LBB118_703:
	s_or_b32 exec_lo, exec_lo, s29
	s_mov_b32 s29, -1
	s_mov_b32 s0, 0
	global_store_b8 v[0:1], v3, off
.LBB118_704:
	s_mov_b32 s30, 0
.LBB118_705:
	s_delay_alu instid0(SALU_CYCLE_1)
	s_and_b32 vcc_lo, exec_lo, s30
	s_cbranch_vccz .LBB118_708
; %bb.706:
	s_cmp_eq_u32 s28, 29
	s_mov_b32 s0, -1
	s_cbranch_scc0 .LBB118_708
; %bb.707:
	s_wait_xcnt 0x0
	v_trunc_f32_e32 v3, v2
	s_mov_b32 s29, -1
	s_mov_b32 s0, 0
	s_mov_b32 s30, 0
	s_delay_alu instid0(VALU_DEP_1) | instskip(NEXT) | instid1(VALU_DEP_1)
	v_mul_f32_e32 v4, 0x2f800000, v3
	v_floor_f32_e32 v4, v4
	s_delay_alu instid0(VALU_DEP_1) | instskip(SKIP_1) | instid1(VALU_DEP_2)
	v_fmamk_f32 v3, v4, 0xcf800000, v3
	v_cvt_u32_f32_e32 v5, v4
	v_cvt_u32_f32_e32 v4, v3
	global_store_b64 v[0:1], v[4:5], off
	s_branch .LBB118_709
.LBB118_708:
	s_mov_b32 s30, 0
.LBB118_709:
	s_delay_alu instid0(SALU_CYCLE_1)
	s_and_b32 vcc_lo, exec_lo, s30
	s_cbranch_vccz .LBB118_725
; %bb.710:
	s_cmp_lt_i32 s28, 27
	s_mov_b32 s29, -1
	s_cbranch_scc1 .LBB118_716
; %bb.711:
	s_wait_xcnt 0x0
	v_cvt_u32_f32_e32 v3, v2
	s_cmp_gt_i32 s28, 27
	s_cbranch_scc0 .LBB118_713
; %bb.712:
	s_mov_b32 s29, 0
	global_store_b32 v[0:1], v3, off
.LBB118_713:
	s_and_not1_b32 vcc_lo, exec_lo, s29
	s_cbranch_vccnz .LBB118_715
; %bb.714:
	global_store_b16 v[0:1], v3, off
.LBB118_715:
	s_mov_b32 s29, 0
.LBB118_716:
	s_delay_alu instid0(SALU_CYCLE_1)
	s_and_not1_b32 vcc_lo, exec_lo, s29
	s_cbranch_vccnz .LBB118_724
; %bb.717:
	s_wait_xcnt 0x0
	v_and_b32_e32 v3, 0x7fffffff, v2
	v_mov_b32_e32 v4, 0x80
	s_mov_b32 s29, exec_lo
	s_delay_alu instid0(VALU_DEP_2)
	v_cmpx_gt_u32_e32 0x43800000, v3
	s_cbranch_execz .LBB118_723
; %bb.718:
	v_cmp_lt_u32_e32 vcc_lo, 0x3bffffff, v3
	s_mov_b32 s30, 0
                                        ; implicit-def: $vgpr3
	s_and_saveexec_b32 s31, vcc_lo
	s_delay_alu instid0(SALU_CYCLE_1)
	s_xor_b32 s31, exec_lo, s31
	s_cbranch_execz .LBB118_846
; %bb.719:
	v_bfe_u32 v3, v2, 20, 1
	s_mov_b32 s30, exec_lo
	s_delay_alu instid0(VALU_DEP_1) | instskip(NEXT) | instid1(VALU_DEP_1)
	v_add3_u32 v3, v2, v3, 0x487ffff
	v_lshrrev_b32_e32 v3, 20, v3
	s_and_not1_saveexec_b32 s31, s31
	s_cbranch_execnz .LBB118_847
.LBB118_720:
	s_or_b32 exec_lo, exec_lo, s31
	v_mov_b32_e32 v4, 0
	s_and_saveexec_b32 s31, s30
.LBB118_721:
	v_lshrrev_b32_e32 v4, 24, v2
	s_delay_alu instid0(VALU_DEP_1)
	v_and_or_b32 v4, 0x80, v4, v3
.LBB118_722:
	s_or_b32 exec_lo, exec_lo, s31
.LBB118_723:
	s_delay_alu instid0(SALU_CYCLE_1)
	s_or_b32 exec_lo, exec_lo, s29
	global_store_b8 v[0:1], v4, off
.LBB118_724:
	s_mov_b32 s29, -1
.LBB118_725:
	s_mov_b32 s30, 0
.LBB118_726:
	s_delay_alu instid0(SALU_CYCLE_1)
	s_and_b32 vcc_lo, exec_lo, s30
	s_cbranch_vccz .LBB118_767
; %bb.727:
	s_cmp_gt_i32 s28, 22
	s_mov_b32 s30, -1
	s_cbranch_scc0 .LBB118_759
; %bb.728:
	s_cmp_lt_i32 s28, 24
	s_mov_b32 s29, -1
	s_cbranch_scc1 .LBB118_748
; %bb.729:
	s_cmp_gt_i32 s28, 24
	s_cbranch_scc0 .LBB118_737
; %bb.730:
	s_wait_xcnt 0x0
	v_and_b32_e32 v3, 0x7fffffff, v2
	v_mov_b32_e32 v4, 0x80
	s_mov_b32 s29, exec_lo
	s_delay_alu instid0(VALU_DEP_2)
	v_cmpx_gt_u32_e32 0x47800000, v3
	s_cbranch_execz .LBB118_736
; %bb.731:
	v_cmp_lt_u32_e32 vcc_lo, 0x37ffffff, v3
	s_mov_b32 s30, 0
                                        ; implicit-def: $vgpr3
	s_and_saveexec_b32 s31, vcc_lo
	s_delay_alu instid0(SALU_CYCLE_1)
	s_xor_b32 s31, exec_lo, s31
	s_cbranch_execz .LBB118_977
; %bb.732:
	v_bfe_u32 v3, v2, 21, 1
	s_mov_b32 s30, exec_lo
	s_delay_alu instid0(VALU_DEP_1) | instskip(NEXT) | instid1(VALU_DEP_1)
	v_add3_u32 v3, v2, v3, 0x88fffff
	v_lshrrev_b32_e32 v3, 21, v3
	s_and_not1_saveexec_b32 s31, s31
	s_cbranch_execnz .LBB118_978
.LBB118_733:
	s_or_b32 exec_lo, exec_lo, s31
	v_mov_b32_e32 v4, 0
	s_and_saveexec_b32 s31, s30
.LBB118_734:
	v_lshrrev_b32_e32 v4, 24, v2
	s_delay_alu instid0(VALU_DEP_1)
	v_and_or_b32 v4, 0x80, v4, v3
.LBB118_735:
	s_or_b32 exec_lo, exec_lo, s31
.LBB118_736:
	s_delay_alu instid0(SALU_CYCLE_1)
	s_or_b32 exec_lo, exec_lo, s29
	s_mov_b32 s29, 0
	global_store_b8 v[0:1], v4, off
.LBB118_737:
	s_and_b32 vcc_lo, exec_lo, s29
	s_cbranch_vccz .LBB118_747
; %bb.738:
	s_wait_xcnt 0x0
	v_and_b32_e32 v4, 0x7fffffff, v2
	s_mov_b32 s29, exec_lo
                                        ; implicit-def: $vgpr3
	s_delay_alu instid0(VALU_DEP_1)
	v_cmpx_gt_u32_e32 0x43f00000, v4
	s_xor_b32 s29, exec_lo, s29
	s_cbranch_execz .LBB118_744
; %bb.739:
	s_mov_b32 s30, exec_lo
                                        ; implicit-def: $vgpr3
	v_cmpx_lt_u32_e32 0x3c7fffff, v4
	s_xor_b32 s30, exec_lo, s30
; %bb.740:
	v_bfe_u32 v3, v2, 20, 1
	s_delay_alu instid0(VALU_DEP_1) | instskip(NEXT) | instid1(VALU_DEP_1)
	v_add3_u32 v3, v2, v3, 0x407ffff
	v_and_b32_e32 v4, 0xff00000, v3
	v_lshrrev_b32_e32 v3, 20, v3
	s_delay_alu instid0(VALU_DEP_2) | instskip(NEXT) | instid1(VALU_DEP_2)
	v_cmp_ne_u32_e32 vcc_lo, 0x7f00000, v4
	v_cndmask_b32_e32 v3, 0x7e, v3, vcc_lo
; %bb.741:
	s_and_not1_saveexec_b32 s30, s30
; %bb.742:
	v_add_f32_e64 v3, 0x46800000, |v2|
; %bb.743:
	s_or_b32 exec_lo, exec_lo, s30
                                        ; implicit-def: $vgpr4
.LBB118_744:
	s_and_not1_saveexec_b32 s29, s29
; %bb.745:
	v_mov_b32_e32 v3, 0x7f
	v_cmp_lt_u32_e32 vcc_lo, 0x7f800000, v4
	s_delay_alu instid0(VALU_DEP_2)
	v_cndmask_b32_e32 v3, 0x7e, v3, vcc_lo
; %bb.746:
	s_or_b32 exec_lo, exec_lo, s29
	v_lshrrev_b32_e32 v4, 24, v2
	s_delay_alu instid0(VALU_DEP_1)
	v_and_or_b32 v3, 0x80, v4, v3
	global_store_b8 v[0:1], v3, off
.LBB118_747:
	s_mov_b32 s29, 0
.LBB118_748:
	s_delay_alu instid0(SALU_CYCLE_1)
	s_and_not1_b32 vcc_lo, exec_lo, s29
	s_cbranch_vccnz .LBB118_758
; %bb.749:
	s_wait_xcnt 0x0
	v_and_b32_e32 v4, 0x7fffffff, v2
	s_mov_b32 s29, exec_lo
                                        ; implicit-def: $vgpr3
	s_delay_alu instid0(VALU_DEP_1)
	v_cmpx_gt_u32_e32 0x47800000, v4
	s_xor_b32 s29, exec_lo, s29
	s_cbranch_execz .LBB118_755
; %bb.750:
	s_mov_b32 s30, exec_lo
                                        ; implicit-def: $vgpr3
	v_cmpx_lt_u32_e32 0x387fffff, v4
	s_xor_b32 s30, exec_lo, s30
; %bb.751:
	v_bfe_u32 v3, v2, 21, 1
	s_delay_alu instid0(VALU_DEP_1) | instskip(NEXT) | instid1(VALU_DEP_1)
	v_add3_u32 v3, v2, v3, 0x80fffff
	v_lshrrev_b32_e32 v3, 21, v3
; %bb.752:
	s_and_not1_saveexec_b32 s30, s30
; %bb.753:
	v_add_f32_e64 v3, 0x43000000, |v2|
; %bb.754:
	s_or_b32 exec_lo, exec_lo, s30
                                        ; implicit-def: $vgpr4
.LBB118_755:
	s_and_not1_saveexec_b32 s29, s29
; %bb.756:
	v_mov_b32_e32 v3, 0x7f
	v_cmp_lt_u32_e32 vcc_lo, 0x7f800000, v4
	s_delay_alu instid0(VALU_DEP_2)
	v_cndmask_b32_e32 v3, 0x7c, v3, vcc_lo
; %bb.757:
	s_or_b32 exec_lo, exec_lo, s29
	v_lshrrev_b32_e32 v4, 24, v2
	s_delay_alu instid0(VALU_DEP_1)
	v_and_or_b32 v3, 0x80, v4, v3
	global_store_b8 v[0:1], v3, off
.LBB118_758:
	s_mov_b32 s30, 0
	s_mov_b32 s29, -1
.LBB118_759:
	s_and_not1_b32 vcc_lo, exec_lo, s30
	s_cbranch_vccnz .LBB118_767
; %bb.760:
	s_cmp_gt_i32 s28, 14
	s_mov_b32 s30, -1
	s_cbranch_scc0 .LBB118_764
; %bb.761:
	s_cmp_eq_u32 s28, 15
	s_mov_b32 s0, -1
	s_cbranch_scc0 .LBB118_763
; %bb.762:
	s_wait_xcnt 0x0
	v_bfe_u32 v3, v2, 16, 1
	v_cmp_o_f32_e32 vcc_lo, v2, v2
	s_mov_b32 s29, -1
	s_mov_b32 s0, 0
	s_delay_alu instid0(VALU_DEP_2) | instskip(NEXT) | instid1(VALU_DEP_1)
	v_add3_u32 v3, v2, v3, 0x7fff
	v_lshrrev_b32_e32 v3, 16, v3
	s_delay_alu instid0(VALU_DEP_1)
	v_cndmask_b32_e32 v3, 0x7fc0, v3, vcc_lo
	global_store_b16 v[0:1], v3, off
.LBB118_763:
	s_mov_b32 s30, 0
.LBB118_764:
	s_delay_alu instid0(SALU_CYCLE_1)
	s_and_b32 vcc_lo, exec_lo, s30
	s_cbranch_vccz .LBB118_767
; %bb.765:
	s_cmp_eq_u32 s28, 11
	s_mov_b32 s0, -1
	s_cbranch_scc0 .LBB118_767
; %bb.766:
	v_cmp_neq_f32_e32 vcc_lo, 0, v2
	s_mov_b32 s0, 0
	s_mov_b32 s29, -1
	s_wait_xcnt 0x0
	v_cndmask_b32_e64 v3, 0, 1, vcc_lo
	global_store_b8 v[0:1], v3, off
.LBB118_767:
	s_mov_b32 s28, 0
.LBB118_768:
	s_delay_alu instid0(SALU_CYCLE_1)
	s_and_b32 vcc_lo, exec_lo, s28
	s_cbranch_vccz .LBB118_807
; %bb.769:
	s_and_b32 s25, 0xffff, s25
	s_mov_b32 s28, -1
	s_cmp_lt_i32 s25, 5
	s_cbranch_scc1 .LBB118_790
; %bb.770:
	s_cmp_lt_i32 s25, 8
	s_cbranch_scc1 .LBB118_780
; %bb.771:
	;; [unrolled: 3-line block ×3, first 2 shown]
	s_cmp_gt_i32 s25, 9
	s_cbranch_scc0 .LBB118_774
; %bb.773:
	v_cvt_f64_f32_e32 v[8:9], v2
	v_mov_b32_e32 v10, 0
	s_mov_b32 s28, 0
	s_delay_alu instid0(VALU_DEP_1)
	v_mov_b32_e32 v11, v10
	global_store_b128 v[0:1], v[8:11], off
.LBB118_774:
	s_and_not1_b32 vcc_lo, exec_lo, s28
	s_cbranch_vccnz .LBB118_776
; %bb.775:
	s_wait_xcnt 0x0
	v_mov_b32_e32 v3, 0
	global_store_b64 v[0:1], v[2:3], off
.LBB118_776:
	s_mov_b32 s28, 0
.LBB118_777:
	s_delay_alu instid0(SALU_CYCLE_1)
	s_and_not1_b32 vcc_lo, exec_lo, s28
	s_cbranch_vccnz .LBB118_779
; %bb.778:
	s_wait_xcnt 0x0
	v_cvt_f16_f32_e32 v3, v2
	s_delay_alu instid0(VALU_DEP_1)
	v_and_b32_e32 v3, 0xffff, v3
	global_store_b32 v[0:1], v3, off
.LBB118_779:
	s_mov_b32 s28, 0
.LBB118_780:
	s_delay_alu instid0(SALU_CYCLE_1)
	s_and_not1_b32 vcc_lo, exec_lo, s28
	s_cbranch_vccnz .LBB118_789
; %bb.781:
	s_cmp_lt_i32 s25, 6
	s_mov_b32 s28, -1
	s_cbranch_scc1 .LBB118_787
; %bb.782:
	s_cmp_gt_i32 s25, 6
	s_cbranch_scc0 .LBB118_784
; %bb.783:
	s_wait_xcnt 0x0
	v_cvt_f64_f32_e32 v[4:5], v2
	s_mov_b32 s28, 0
	global_store_b64 v[0:1], v[4:5], off
.LBB118_784:
	s_and_not1_b32 vcc_lo, exec_lo, s28
	s_cbranch_vccnz .LBB118_786
; %bb.785:
	global_store_b32 v[0:1], v2, off
.LBB118_786:
	s_mov_b32 s28, 0
.LBB118_787:
	s_delay_alu instid0(SALU_CYCLE_1)
	s_and_not1_b32 vcc_lo, exec_lo, s28
	s_cbranch_vccnz .LBB118_789
; %bb.788:
	s_wait_xcnt 0x0
	v_cvt_f16_f32_e32 v3, v2
	global_store_b16 v[0:1], v3, off
.LBB118_789:
	s_mov_b32 s28, 0
.LBB118_790:
	s_delay_alu instid0(SALU_CYCLE_1)
	s_and_not1_b32 vcc_lo, exec_lo, s28
	s_cbranch_vccnz .LBB118_806
; %bb.791:
	s_cmp_lt_i32 s25, 2
	s_mov_b32 s28, -1
	s_cbranch_scc1 .LBB118_801
; %bb.792:
	s_cmp_lt_i32 s25, 3
	s_cbranch_scc1 .LBB118_798
; %bb.793:
	s_cmp_gt_i32 s25, 3
	s_cbranch_scc0 .LBB118_795
; %bb.794:
	s_wait_xcnt 0x0
	v_trunc_f32_e32 v3, v2
	s_mov_b32 s28, 0
	s_delay_alu instid0(VALU_DEP_1) | instskip(NEXT) | instid1(VALU_DEP_1)
	v_mul_f32_e64 v4, 0x2f800000, |v3|
	v_floor_f32_e32 v5, v4
	v_ashrrev_i32_e32 v4, 31, v3
	s_delay_alu instid0(VALU_DEP_2) | instskip(SKIP_1) | instid1(VALU_DEP_3)
	v_fma_f32 v7, 0xcf800000, v5, |v3|
	v_cvt_u32_f32_e32 v3, v5
	v_mov_b32_e32 v5, v4
	s_delay_alu instid0(VALU_DEP_3) | instskip(NEXT) | instid1(VALU_DEP_3)
	v_cvt_u32_f32_e32 v7, v7
	v_xor_b32_e32 v9, v3, v4
	s_delay_alu instid0(VALU_DEP_2) | instskip(NEXT) | instid1(VALU_DEP_1)
	v_xor_b32_e32 v8, v7, v4
	v_sub_nc_u64_e32 v[4:5], v[8:9], v[4:5]
	global_store_b64 v[0:1], v[4:5], off
.LBB118_795:
	s_and_not1_b32 vcc_lo, exec_lo, s28
	s_cbranch_vccnz .LBB118_797
; %bb.796:
	s_wait_xcnt 0x0
	v_cvt_i32_f32_e32 v3, v2
	global_store_b32 v[0:1], v3, off
.LBB118_797:
	s_mov_b32 s28, 0
.LBB118_798:
	s_delay_alu instid0(SALU_CYCLE_1)
	s_and_not1_b32 vcc_lo, exec_lo, s28
	s_cbranch_vccnz .LBB118_800
; %bb.799:
	s_wait_xcnt 0x0
	v_cvt_i32_f32_e32 v3, v2
	global_store_b16 v[0:1], v3, off
.LBB118_800:
	s_mov_b32 s28, 0
.LBB118_801:
	s_delay_alu instid0(SALU_CYCLE_1)
	s_and_not1_b32 vcc_lo, exec_lo, s28
	s_cbranch_vccnz .LBB118_806
; %bb.802:
	s_cmp_gt_i32 s25, 0
	s_mov_b32 s25, -1
	s_cbranch_scc0 .LBB118_804
; %bb.803:
	s_wait_xcnt 0x0
	v_cvt_i32_f32_e32 v3, v2
	s_mov_b32 s25, 0
	global_store_b8 v[0:1], v3, off
.LBB118_804:
	s_and_not1_b32 vcc_lo, exec_lo, s25
	s_cbranch_vccnz .LBB118_806
; %bb.805:
	s_wait_xcnt 0x0
	v_trunc_f32_e32 v2, v2
	s_delay_alu instid0(VALU_DEP_1) | instskip(NEXT) | instid1(VALU_DEP_1)
	v_mul_f32_e64 v3, 0x2f800000, |v2|
	v_floor_f32_e32 v3, v3
	s_delay_alu instid0(VALU_DEP_1) | instskip(SKIP_1) | instid1(VALU_DEP_2)
	v_fma_f32 v3, 0xcf800000, v3, |v2|
	v_ashrrev_i32_e32 v2, 31, v2
	v_cvt_u32_f32_e32 v3, v3
	s_delay_alu instid0(VALU_DEP_1) | instskip(NEXT) | instid1(VALU_DEP_1)
	v_xor_b32_e32 v3, v3, v2
	v_sub_nc_u32_e32 v2, v3, v2
	global_store_b8 v[0:1], v2, off
.LBB118_806:
	s_mov_b32 s29, -1
.LBB118_807:
	s_delay_alu instid0(SALU_CYCLE_1)
	s_and_not1_b32 vcc_lo, exec_lo, s29
	s_cbranch_vccnz .LBB118_818
; %bb.808:
	v_add_nc_u32_e32 v6, 0x80, v6
	s_mov_b32 s28, -1
.LBB118_809:
	s_and_not1_b32 s25, s17, exec_lo
	s_and_b32 s0, s0, exec_lo
	s_and_not1_b32 s29, s19, exec_lo
	s_and_b32 s30, s24, exec_lo
	s_or_b32 s24, s25, s0
	s_or_b32 s25, s29, s30
	s_and_not1_b32 s0, s20, exec_lo
	s_and_b32 s23, s23, exec_lo
	s_and_not1_b32 s29, s21, exec_lo
	s_and_b32 s30, s26, exec_lo
	s_or_b32 s26, s0, s23
	s_or_b32 s23, s29, s30
	s_or_not1_b32 s28, s28, exec_lo
.LBB118_810:
	s_wait_xcnt 0x0
	s_or_b32 exec_lo, exec_lo, s27
	s_mov_b32 s0, 0
	s_and_saveexec_b32 s27, s28
	s_cbranch_execz .LBB118_1244
; %bb.811:
	s_mov_b32 s30, -1
	s_mov_b32 s0, s23
	s_mov_b32 s29, s26
	;; [unrolled: 1-line block ×4, first 2 shown]
	s_mov_b32 s28, exec_lo
	v_cmpx_gt_i32_e64 s18, v6
	s_cbranch_execz .LBB118_1220
; %bb.812:
	s_and_b32 s29, s15, 0xff
	s_delay_alu instid0(SALU_CYCLE_1)
	s_cmp_lt_i32 s29, 23
	s_cbranch_scc1 .LBB118_816
; %bb.813:
	s_and_b32 s31, 0xffff, s29
	s_delay_alu instid0(SALU_CYCLE_1)
	s_cmp_gt_i32 s31, 43
	s_cbranch_scc0 .LBB118_817
; %bb.814:
	s_cmp_gt_i32 s31, 45
	s_cbranch_scc0 .LBB118_819
; %bb.815:
	s_cmp_eq_u32 s31, 46
	s_mov_b32 s33, 0
	s_cselect_b32 s0, -1, 0
	s_or_b32 s30, s23, exec_lo
	s_branch .LBB118_820
.LBB118_816:
	s_mov_b32 s31, -1
	s_mov_b32 s0, 0
	s_mov_b32 s30, s23
	s_branch .LBB118_826
.LBB118_817:
	s_mov_b32 s33, -1
	s_mov_b32 s0, 0
	s_mov_b32 s30, s23
	s_branch .LBB118_823
.LBB118_818:
	s_mov_b32 s28, 0
	s_branch .LBB118_430
.LBB118_819:
	s_mov_b32 s33, -1
	s_mov_b32 s0, 0
	s_mov_b32 s30, s23
.LBB118_820:
	s_and_not1_b32 vcc_lo, exec_lo, s33
	s_cbranch_vccnz .LBB118_822
; %bb.821:
	s_cmp_eq_u32 s31, 44
	s_cselect_b32 s0, -1, 0
	s_cmp_lg_u32 s31, 44
	s_cselect_b32 s33, -1, 0
	s_and_not1_b32 s30, s30, exec_lo
	s_and_b32 s33, s33, exec_lo
	s_delay_alu instid0(SALU_CYCLE_1)
	s_or_b32 s30, s30, s33
.LBB118_822:
	s_mov_b32 s33, 0
.LBB118_823:
	s_delay_alu instid0(SALU_CYCLE_1)
	s_and_b32 vcc_lo, exec_lo, s33
	s_cbranch_vccz .LBB118_825
; %bb.824:
	s_cmp_lt_i32 s31, 30
	s_cselect_b32 s0, -1, 0
	s_cmp_gt_i32 s31, 29
	s_cselect_b32 s31, -1, 0
	s_and_not1_b32 s30, s30, exec_lo
	s_and_b32 s31, s31, exec_lo
	s_delay_alu instid0(SALU_CYCLE_1)
	s_or_b32 s30, s30, s31
.LBB118_825:
	s_mov_b32 s31, 0
.LBB118_826:
	s_delay_alu instid0(SALU_CYCLE_1)
	s_and_b32 vcc_lo, exec_lo, s31
	s_cbranch_vccz .LBB118_831
; %bb.827:
	s_and_b32 s29, 0xffff, s29
	s_mov_b32 s31, -1
	s_cmp_gt_i32 s29, 14
	s_cbranch_scc0 .LBB118_829
; %bb.828:
	s_cmp_eq_u32 s29, 15
	s_cselect_b32 s0, -1, 0
	s_cmp_lg_u32 s29, 15
	s_cselect_b32 s31, -1, 0
	s_and_not1_b32 s30, s30, exec_lo
	s_and_b32 s33, s31, exec_lo
	s_mov_b32 s31, 0
	s_or_b32 s30, s30, s33
.LBB118_829:
	s_and_not1_b32 vcc_lo, exec_lo, s31
	s_cbranch_vccnz .LBB118_831
; %bb.830:
	s_cmp_lt_i32 s29, 12
	s_cselect_b32 s0, -1, 0
	s_cmp_gt_i32 s29, 11
	s_cselect_b32 s29, -1, 0
	s_and_not1_b32 s30, s30, exec_lo
	s_and_b32 s29, s29, exec_lo
	s_delay_alu instid0(SALU_CYCLE_1)
	s_or_b32 s30, s30, s29
.LBB118_831:
	s_and_b32 vcc_lo, exec_lo, s0
	s_cbranch_vccz .LBB118_839
; %bb.832:
	v_mul_lo_u32 v0, v6, s4
	s_and_b32 s0, s13, 0xff
	s_delay_alu instid0(SALU_CYCLE_1) | instskip(NEXT) | instid1(VALU_DEP_1)
	s_cmp_lt_i32 s0, 11
	v_ashrrev_i32_e32 v1, 31, v0
	s_delay_alu instid0(VALU_DEP_1)
	v_add_nc_u64_e32 v[0:1], s[8:9], v[0:1]
	s_cbranch_scc1 .LBB118_841
; %bb.833:
	s_and_b32 s30, 0xffff, s0
	s_delay_alu instid0(SALU_CYCLE_1)
	s_cmp_gt_i32 s30, 25
	s_cbranch_scc0 .LBB118_842
; %bb.834:
	s_cmp_gt_i32 s30, 28
	s_cbranch_scc0 .LBB118_843
; %bb.835:
	;; [unrolled: 3-line block ×4, first 2 shown]
	s_cmp_eq_u32 s30, 46
	s_mov_b32 s33, 0
	s_cbranch_scc0 .LBB118_848
; %bb.838:
	s_wait_loadcnt 0x0
	global_load_b32 v2, v[0:1], off
	s_mov_b32 s31, -1
	s_mov_b32 s29, 0
	s_wait_loadcnt 0x0
	v_lshlrev_b32_e32 v2, 16, v2
	s_branch .LBB118_850
.LBB118_839:
	s_mov_b32 s34, 0
	s_mov_b32 s0, s24
	;; [unrolled: 1-line block ×4, first 2 shown]
.LBB118_840:
                                        ; implicit-def: $vgpr6
	s_branch .LBB118_1219
.LBB118_841:
	s_mov_b32 s30, -1
	s_mov_b32 s31, 0
	s_mov_b32 s29, s26
                                        ; implicit-def: $vgpr2
	s_branch .LBB118_915
.LBB118_842:
	s_mov_b32 s33, -1
	s_mov_b32 s31, 0
	s_mov_b32 s29, s26
                                        ; implicit-def: $vgpr2
	s_branch .LBB118_879
.LBB118_843:
	s_mov_b32 s33, -1
	s_mov_b32 s31, 0
	s_mov_b32 s29, s26
                                        ; implicit-def: $vgpr2
	s_branch .LBB118_860
.LBB118_844:
	s_mov_b32 s33, -1
	s_mov_b32 s31, 0
	s_mov_b32 s29, s26
                                        ; implicit-def: $vgpr2
	s_branch .LBB118_855
.LBB118_845:
	s_mov_b32 s33, -1
	s_mov_b32 s31, 0
	s_mov_b32 s29, s26
	s_branch .LBB118_849
.LBB118_846:
	s_and_not1_saveexec_b32 s31, s31
	s_cbranch_execz .LBB118_720
.LBB118_847:
	v_add_f32_e64 v3, 0x46000000, |v2|
	s_and_not1_b32 s30, s30, exec_lo
	s_delay_alu instid0(VALU_DEP_1) | instskip(NEXT) | instid1(VALU_DEP_1)
	v_and_b32_e32 v3, 0xff, v3
	v_cmp_ne_u32_e32 vcc_lo, 0, v3
	s_and_b32 s33, vcc_lo, exec_lo
	s_delay_alu instid0(SALU_CYCLE_1)
	s_or_b32 s30, s30, s33
	s_or_b32 exec_lo, exec_lo, s31
	v_mov_b32_e32 v4, 0
	s_and_saveexec_b32 s31, s30
	s_cbranch_execnz .LBB118_721
	s_branch .LBB118_722
.LBB118_848:
	s_mov_b32 s29, -1
	s_mov_b32 s31, 0
.LBB118_849:
                                        ; implicit-def: $vgpr2
.LBB118_850:
	s_and_b32 vcc_lo, exec_lo, s33
	s_cbranch_vccz .LBB118_854
; %bb.851:
	s_cmp_eq_u32 s30, 44
	s_cbranch_scc0 .LBB118_853
; %bb.852:
	s_wait_loadcnt 0x0
	global_load_u8 v2, v[0:1], off
	s_mov_b32 s29, 0
	s_mov_b32 s31, -1
	s_wait_loadcnt 0x0
	v_lshlrev_b32_e32 v3, 23, v2
	v_cmp_ne_u32_e32 vcc_lo, 0xff, v2
	s_delay_alu instid0(VALU_DEP_2) | instskip(SKIP_1) | instid1(VALU_DEP_2)
	v_cndmask_b32_e32 v3, 0x7f800001, v3, vcc_lo
	v_cmp_ne_u32_e32 vcc_lo, 0, v2
	v_cndmask_b32_e32 v2, 0x400000, v3, vcc_lo
	s_branch .LBB118_854
.LBB118_853:
	s_mov_b32 s29, -1
                                        ; implicit-def: $vgpr2
.LBB118_854:
	s_mov_b32 s33, 0
.LBB118_855:
	s_delay_alu instid0(SALU_CYCLE_1)
	s_and_b32 vcc_lo, exec_lo, s33
	s_cbranch_vccz .LBB118_859
; %bb.856:
	s_cmp_eq_u32 s30, 29
	s_cbranch_scc0 .LBB118_858
; %bb.857:
	s_wait_loadcnt 0x0
	global_load_b64 v[2:3], v[0:1], off
	s_mov_b32 s31, -1
	s_mov_b32 s29, 0
	s_mov_b32 s33, 0
	s_wait_loadcnt 0x0
	v_clz_i32_u32_e32 v4, v3
	s_delay_alu instid0(VALU_DEP_1) | instskip(NEXT) | instid1(VALU_DEP_1)
	v_min_u32_e32 v4, 32, v4
	v_lshlrev_b64_e32 v[2:3], v4, v[2:3]
	s_delay_alu instid0(VALU_DEP_1) | instskip(NEXT) | instid1(VALU_DEP_1)
	v_min_u32_e32 v2, 1, v2
	v_dual_sub_nc_u32 v3, 32, v4 :: v_dual_bitop2_b32 v2, v3, v2 bitop3:0x54
	s_delay_alu instid0(VALU_DEP_1) | instskip(NEXT) | instid1(VALU_DEP_1)
	v_cvt_f32_u32_e32 v2, v2
	v_ldexp_f32 v2, v2, v3
	s_branch .LBB118_860
.LBB118_858:
	s_mov_b32 s29, -1
                                        ; implicit-def: $vgpr2
.LBB118_859:
	s_mov_b32 s33, 0
.LBB118_860:
	s_delay_alu instid0(SALU_CYCLE_1)
	s_and_b32 vcc_lo, exec_lo, s33
	s_cbranch_vccz .LBB118_878
; %bb.861:
	s_cmp_lt_i32 s30, 27
	s_cbranch_scc1 .LBB118_864
; %bb.862:
	s_cmp_gt_i32 s30, 27
	s_cbranch_scc0 .LBB118_865
; %bb.863:
	s_wait_loadcnt 0x0
	global_load_b32 v2, v[0:1], off
	s_mov_b32 s31, 0
	s_wait_loadcnt 0x0
	v_cvt_f32_u32_e32 v2, v2
	s_branch .LBB118_866
.LBB118_864:
	s_mov_b32 s31, -1
                                        ; implicit-def: $vgpr2
	s_branch .LBB118_869
.LBB118_865:
	s_mov_b32 s31, -1
                                        ; implicit-def: $vgpr2
.LBB118_866:
	s_delay_alu instid0(SALU_CYCLE_1)
	s_and_not1_b32 vcc_lo, exec_lo, s31
	s_cbranch_vccnz .LBB118_868
; %bb.867:
	s_wait_loadcnt 0x0
	global_load_u16 v2, v[0:1], off
	s_wait_loadcnt 0x0
	v_cvt_f32_u32_e32 v2, v2
.LBB118_868:
	s_mov_b32 s31, 0
.LBB118_869:
	s_delay_alu instid0(SALU_CYCLE_1)
	s_and_not1_b32 vcc_lo, exec_lo, s31
	s_cbranch_vccnz .LBB118_877
; %bb.870:
	s_wait_loadcnt 0x0
	global_load_u8 v3, v[0:1], off
	s_mov_b32 s31, 0
	s_mov_b32 s33, exec_lo
	s_wait_loadcnt 0x0
	v_cmpx_lt_i16_e32 0x7f, v3
	s_xor_b32 s33, exec_lo, s33
	s_cbranch_execz .LBB118_891
; %bb.871:
	s_mov_b32 s31, -1
	s_mov_b32 s34, exec_lo
	v_cmpx_eq_u16_e32 0x80, v3
; %bb.872:
	s_xor_b32 s31, exec_lo, -1
; %bb.873:
	s_or_b32 exec_lo, exec_lo, s34
	s_delay_alu instid0(SALU_CYCLE_1)
	s_and_b32 s31, s31, exec_lo
	s_or_saveexec_b32 s33, s33
	v_mov_b32_e32 v2, 0x7f800001
	s_xor_b32 exec_lo, exec_lo, s33
	s_cbranch_execnz .LBB118_892
.LBB118_874:
	s_or_b32 exec_lo, exec_lo, s33
	s_and_saveexec_b32 s33, s31
	s_cbranch_execz .LBB118_876
.LBB118_875:
	v_and_b32_e32 v2, 0xffff, v3
	s_delay_alu instid0(VALU_DEP_1) | instskip(SKIP_1) | instid1(VALU_DEP_2)
	v_and_b32_e32 v4, 7, v2
	v_bfe_u32 v8, v2, 3, 4
	v_clz_i32_u32_e32 v5, v4
	s_delay_alu instid0(VALU_DEP_2) | instskip(NEXT) | instid1(VALU_DEP_2)
	v_cmp_eq_u32_e32 vcc_lo, 0, v8
	v_min_u32_e32 v5, 32, v5
	s_delay_alu instid0(VALU_DEP_1) | instskip(NEXT) | instid1(VALU_DEP_1)
	v_subrev_nc_u32_e32 v7, 28, v5
	v_dual_lshlrev_b32 v2, v7, v2 :: v_dual_sub_nc_u32 v5, 29, v5
	s_delay_alu instid0(VALU_DEP_1) | instskip(NEXT) | instid1(VALU_DEP_2)
	v_dual_lshlrev_b32 v3, 24, v3 :: v_dual_bitop2_b32 v2, 7, v2 bitop3:0x40
	v_cndmask_b32_e32 v5, v8, v5, vcc_lo
	s_delay_alu instid0(VALU_DEP_2) | instskip(NEXT) | instid1(VALU_DEP_3)
	v_cndmask_b32_e32 v2, v4, v2, vcc_lo
	v_and_b32_e32 v3, 0x80000000, v3
	s_delay_alu instid0(VALU_DEP_3) | instskip(NEXT) | instid1(VALU_DEP_3)
	v_lshl_add_u32 v4, v5, 23, 0x3b800000
	v_lshlrev_b32_e32 v2, 20, v2
	s_delay_alu instid0(VALU_DEP_1)
	v_or3_b32 v2, v3, v4, v2
.LBB118_876:
	s_or_b32 exec_lo, exec_lo, s33
.LBB118_877:
	s_mov_b32 s31, -1
.LBB118_878:
	s_mov_b32 s33, 0
.LBB118_879:
	s_delay_alu instid0(SALU_CYCLE_1)
	s_and_b32 vcc_lo, exec_lo, s33
	s_cbranch_vccz .LBB118_914
; %bb.880:
	s_cmp_gt_i32 s30, 22
	s_cbranch_scc0 .LBB118_890
; %bb.881:
	s_cmp_lt_i32 s30, 24
	s_cbranch_scc1 .LBB118_893
; %bb.882:
	s_cmp_gt_i32 s30, 24
	s_cbranch_scc0 .LBB118_894
; %bb.883:
	s_wait_loadcnt 0x0
	global_load_u8 v3, v[0:1], off
	s_mov_b32 s31, 0
	s_mov_b32 s33, exec_lo
	s_wait_loadcnt 0x0
	v_cmpx_lt_i16_e32 0x7f, v3
	s_xor_b32 s33, exec_lo, s33
	s_cbranch_execz .LBB118_906
; %bb.884:
	s_mov_b32 s31, -1
	s_mov_b32 s34, exec_lo
	v_cmpx_eq_u16_e32 0x80, v3
; %bb.885:
	s_xor_b32 s31, exec_lo, -1
; %bb.886:
	s_or_b32 exec_lo, exec_lo, s34
	s_delay_alu instid0(SALU_CYCLE_1)
	s_and_b32 s31, s31, exec_lo
	s_or_saveexec_b32 s33, s33
	v_mov_b32_e32 v2, 0x7f800001
	s_xor_b32 exec_lo, exec_lo, s33
	s_cbranch_execnz .LBB118_907
.LBB118_887:
	s_or_b32 exec_lo, exec_lo, s33
	s_and_saveexec_b32 s33, s31
	s_cbranch_execz .LBB118_889
.LBB118_888:
	v_and_b32_e32 v2, 0xffff, v3
	s_delay_alu instid0(VALU_DEP_1) | instskip(SKIP_1) | instid1(VALU_DEP_2)
	v_and_b32_e32 v4, 3, v2
	v_bfe_u32 v8, v2, 2, 5
	v_clz_i32_u32_e32 v5, v4
	s_delay_alu instid0(VALU_DEP_2) | instskip(NEXT) | instid1(VALU_DEP_2)
	v_cmp_eq_u32_e32 vcc_lo, 0, v8
	v_min_u32_e32 v5, 32, v5
	s_delay_alu instid0(VALU_DEP_1) | instskip(NEXT) | instid1(VALU_DEP_1)
	v_subrev_nc_u32_e32 v7, 29, v5
	v_dual_lshlrev_b32 v2, v7, v2 :: v_dual_sub_nc_u32 v5, 30, v5
	s_delay_alu instid0(VALU_DEP_1) | instskip(NEXT) | instid1(VALU_DEP_2)
	v_dual_lshlrev_b32 v3, 24, v3 :: v_dual_bitop2_b32 v2, 3, v2 bitop3:0x40
	v_cndmask_b32_e32 v5, v8, v5, vcc_lo
	s_delay_alu instid0(VALU_DEP_2) | instskip(NEXT) | instid1(VALU_DEP_3)
	v_cndmask_b32_e32 v2, v4, v2, vcc_lo
	v_and_b32_e32 v3, 0x80000000, v3
	s_delay_alu instid0(VALU_DEP_3) | instskip(NEXT) | instid1(VALU_DEP_3)
	v_lshl_add_u32 v4, v5, 23, 0x37800000
	v_lshlrev_b32_e32 v2, 21, v2
	s_delay_alu instid0(VALU_DEP_1)
	v_or3_b32 v2, v3, v4, v2
.LBB118_889:
	s_or_b32 exec_lo, exec_lo, s33
	s_mov_b32 s31, 0
	s_branch .LBB118_895
.LBB118_890:
	s_mov_b32 s33, -1
                                        ; implicit-def: $vgpr2
	s_branch .LBB118_901
.LBB118_891:
	s_or_saveexec_b32 s33, s33
	v_mov_b32_e32 v2, 0x7f800001
	s_xor_b32 exec_lo, exec_lo, s33
	s_cbranch_execz .LBB118_874
.LBB118_892:
	v_cmp_ne_u16_e32 vcc_lo, 0, v3
	v_mov_b32_e32 v2, 0
	s_and_not1_b32 s31, s31, exec_lo
	s_and_b32 s34, vcc_lo, exec_lo
	s_delay_alu instid0(SALU_CYCLE_1)
	s_or_b32 s31, s31, s34
	s_or_b32 exec_lo, exec_lo, s33
	s_and_saveexec_b32 s33, s31
	s_cbranch_execnz .LBB118_875
	s_branch .LBB118_876
.LBB118_893:
	s_mov_b32 s31, -1
                                        ; implicit-def: $vgpr2
	s_branch .LBB118_898
.LBB118_894:
	s_mov_b32 s31, -1
                                        ; implicit-def: $vgpr2
.LBB118_895:
	s_delay_alu instid0(SALU_CYCLE_1)
	s_and_b32 vcc_lo, exec_lo, s31
	s_cbranch_vccz .LBB118_897
; %bb.896:
	s_wait_loadcnt 0x0
	global_load_u8 v2, v[0:1], off
	s_wait_loadcnt 0x0
	v_lshlrev_b32_e32 v2, 24, v2
	s_delay_alu instid0(VALU_DEP_1) | instskip(NEXT) | instid1(VALU_DEP_1)
	v_and_b32_e32 v3, 0x7f000000, v2
	v_clz_i32_u32_e32 v4, v3
	v_add_nc_u32_e32 v7, 0x1000000, v3
	v_cmp_ne_u32_e32 vcc_lo, 0, v3
	s_delay_alu instid0(VALU_DEP_3) | instskip(NEXT) | instid1(VALU_DEP_1)
	v_min_u32_e32 v4, 32, v4
	v_sub_nc_u32_e64 v4, v4, 4 clamp
	s_delay_alu instid0(VALU_DEP_1) | instskip(NEXT) | instid1(VALU_DEP_1)
	v_dual_lshlrev_b32 v5, v4, v3 :: v_dual_lshlrev_b32 v4, 23, v4
	v_lshrrev_b32_e32 v5, 4, v5
	s_delay_alu instid0(VALU_DEP_1) | instskip(NEXT) | instid1(VALU_DEP_1)
	v_dual_sub_nc_u32 v4, v5, v4 :: v_dual_ashrrev_i32 v5, 8, v7
	v_add_nc_u32_e32 v4, 0x3c000000, v4
	s_delay_alu instid0(VALU_DEP_1) | instskip(NEXT) | instid1(VALU_DEP_1)
	v_and_or_b32 v4, 0x7f800000, v5, v4
	v_cndmask_b32_e32 v3, 0, v4, vcc_lo
	s_delay_alu instid0(VALU_DEP_1)
	v_and_or_b32 v2, 0x80000000, v2, v3
.LBB118_897:
	s_mov_b32 s31, 0
.LBB118_898:
	s_delay_alu instid0(SALU_CYCLE_1)
	s_and_not1_b32 vcc_lo, exec_lo, s31
	s_cbranch_vccnz .LBB118_900
; %bb.899:
	s_wait_loadcnt 0x0
	global_load_u8 v2, v[0:1], off
	s_wait_loadcnt 0x0
	v_lshlrev_b32_e32 v3, 25, v2
	v_lshlrev_b16 v2, 8, v2
	s_delay_alu instid0(VALU_DEP_1) | instskip(SKIP_1) | instid1(VALU_DEP_2)
	v_and_or_b32 v5, 0x7f00, v2, 0.5
	v_bfe_i32 v2, v2, 0, 16
	v_dual_add_f32 v5, -0.5, v5 :: v_dual_lshrrev_b32 v4, 4, v3
	v_cmp_gt_u32_e32 vcc_lo, 0x8000000, v3
	s_delay_alu instid0(VALU_DEP_2) | instskip(NEXT) | instid1(VALU_DEP_1)
	v_or_b32_e32 v4, 0x70000000, v4
	v_mul_f32_e32 v4, 0x7800000, v4
	s_delay_alu instid0(VALU_DEP_1) | instskip(NEXT) | instid1(VALU_DEP_1)
	v_cndmask_b32_e32 v3, v4, v5, vcc_lo
	v_and_or_b32 v2, 0x80000000, v2, v3
.LBB118_900:
	s_mov_b32 s33, 0
	s_mov_b32 s31, -1
.LBB118_901:
	s_and_not1_b32 vcc_lo, exec_lo, s33
	s_cbranch_vccnz .LBB118_914
; %bb.902:
	s_cmp_gt_i32 s30, 14
	s_cbranch_scc0 .LBB118_905
; %bb.903:
	s_cmp_eq_u32 s30, 15
	s_cbranch_scc0 .LBB118_908
; %bb.904:
	s_wait_loadcnt 0x0
	global_load_u16 v2, v[0:1], off
	s_mov_b32 s31, -1
	s_mov_b32 s29, 0
	s_wait_loadcnt 0x0
	v_lshlrev_b32_e32 v2, 16, v2
	s_branch .LBB118_909
.LBB118_905:
	s_mov_b32 s33, -1
                                        ; implicit-def: $vgpr2
	s_branch .LBB118_910
.LBB118_906:
	s_or_saveexec_b32 s33, s33
	v_mov_b32_e32 v2, 0x7f800001
	s_xor_b32 exec_lo, exec_lo, s33
	s_cbranch_execz .LBB118_887
.LBB118_907:
	v_cmp_ne_u16_e32 vcc_lo, 0, v3
	v_mov_b32_e32 v2, 0
	s_and_not1_b32 s31, s31, exec_lo
	s_and_b32 s34, vcc_lo, exec_lo
	s_delay_alu instid0(SALU_CYCLE_1)
	s_or_b32 s31, s31, s34
	s_or_b32 exec_lo, exec_lo, s33
	s_and_saveexec_b32 s33, s31
	s_cbranch_execnz .LBB118_888
	s_branch .LBB118_889
.LBB118_908:
	s_mov_b32 s29, -1
                                        ; implicit-def: $vgpr2
.LBB118_909:
	s_mov_b32 s33, 0
.LBB118_910:
	s_delay_alu instid0(SALU_CYCLE_1)
	s_and_b32 vcc_lo, exec_lo, s33
	s_cbranch_vccz .LBB118_914
; %bb.911:
	s_cmp_eq_u32 s30, 11
	s_cbranch_scc0 .LBB118_913
; %bb.912:
	s_wait_loadcnt 0x0
	global_load_u8 v2, v[0:1], off
	s_mov_b32 s29, 0
	s_mov_b32 s31, -1
	s_wait_loadcnt 0x0
	v_cmp_ne_u16_e32 vcc_lo, 0, v2
	v_cndmask_b32_e64 v2, 0, 1.0, vcc_lo
	s_branch .LBB118_914
.LBB118_913:
	s_mov_b32 s29, -1
                                        ; implicit-def: $vgpr2
.LBB118_914:
	s_mov_b32 s30, 0
.LBB118_915:
	s_delay_alu instid0(SALU_CYCLE_1)
	s_and_b32 vcc_lo, exec_lo, s30
	s_cbranch_vccz .LBB118_964
; %bb.916:
	s_and_b32 s0, 0xffff, s0
	s_delay_alu instid0(SALU_CYCLE_1)
	s_cmp_lt_i32 s0, 5
	s_cbranch_scc1 .LBB118_921
; %bb.917:
	s_cmp_lt_i32 s0, 8
	s_cbranch_scc1 .LBB118_922
; %bb.918:
	;; [unrolled: 3-line block ×3, first 2 shown]
	s_cmp_gt_i32 s0, 9
	s_cbranch_scc0 .LBB118_924
; %bb.920:
	s_wait_loadcnt 0x0
	global_load_b64 v[2:3], v[0:1], off
	s_mov_b32 s30, 0
	s_wait_loadcnt 0x0
	v_cvt_f32_f64_e32 v2, v[2:3]
	s_branch .LBB118_925
.LBB118_921:
	s_mov_b32 s30, -1
                                        ; implicit-def: $vgpr2
	s_branch .LBB118_943
.LBB118_922:
	s_mov_b32 s30, -1
                                        ; implicit-def: $vgpr2
	s_branch .LBB118_931
.LBB118_923:
	s_mov_b32 s30, -1
                                        ; implicit-def: $vgpr2
	s_branch .LBB118_928
.LBB118_924:
	s_mov_b32 s30, -1
                                        ; implicit-def: $vgpr2
.LBB118_925:
	s_delay_alu instid0(SALU_CYCLE_1)
	s_and_not1_b32 vcc_lo, exec_lo, s30
	s_cbranch_vccnz .LBB118_927
; %bb.926:
	s_wait_loadcnt 0x0
	global_load_b32 v2, v[0:1], off
.LBB118_927:
	s_mov_b32 s30, 0
.LBB118_928:
	s_delay_alu instid0(SALU_CYCLE_1)
	s_and_not1_b32 vcc_lo, exec_lo, s30
	s_cbranch_vccnz .LBB118_930
; %bb.929:
	s_wait_loadcnt 0x0
	global_load_b32 v2, v[0:1], off
	s_wait_loadcnt 0x0
	v_cvt_f32_f16_e32 v2, v2
.LBB118_930:
	s_mov_b32 s30, 0
.LBB118_931:
	s_delay_alu instid0(SALU_CYCLE_1)
	s_and_not1_b32 vcc_lo, exec_lo, s30
	s_cbranch_vccnz .LBB118_942
; %bb.932:
	s_cmp_lt_i32 s0, 6
	s_cbranch_scc1 .LBB118_935
; %bb.933:
	s_cmp_gt_i32 s0, 6
	s_cbranch_scc0 .LBB118_936
; %bb.934:
	s_wait_loadcnt 0x0
	global_load_b64 v[2:3], v[0:1], off
	s_mov_b32 s30, 0
	s_wait_loadcnt 0x0
	v_cvt_f32_f64_e32 v2, v[2:3]
	s_branch .LBB118_937
.LBB118_935:
	s_mov_b32 s30, -1
                                        ; implicit-def: $vgpr2
	s_branch .LBB118_940
.LBB118_936:
	s_mov_b32 s30, -1
                                        ; implicit-def: $vgpr2
.LBB118_937:
	s_delay_alu instid0(SALU_CYCLE_1)
	s_and_not1_b32 vcc_lo, exec_lo, s30
	s_cbranch_vccnz .LBB118_939
; %bb.938:
	s_wait_loadcnt 0x0
	global_load_b32 v2, v[0:1], off
.LBB118_939:
	s_mov_b32 s30, 0
.LBB118_940:
	s_delay_alu instid0(SALU_CYCLE_1)
	s_and_not1_b32 vcc_lo, exec_lo, s30
	s_cbranch_vccnz .LBB118_942
; %bb.941:
	s_wait_loadcnt 0x0
	global_load_u16 v2, v[0:1], off
	s_wait_loadcnt 0x0
	v_cvt_f32_f16_e32 v2, v2
.LBB118_942:
	s_mov_b32 s30, 0
.LBB118_943:
	s_delay_alu instid0(SALU_CYCLE_1)
	s_and_not1_b32 vcc_lo, exec_lo, s30
	s_cbranch_vccnz .LBB118_963
; %bb.944:
	s_cmp_lt_i32 s0, 2
	s_cbranch_scc1 .LBB118_948
; %bb.945:
	s_cmp_lt_i32 s0, 3
	s_cbranch_scc1 .LBB118_949
; %bb.946:
	s_cmp_gt_i32 s0, 3
	s_cbranch_scc0 .LBB118_950
; %bb.947:
	s_wait_loadcnt 0x0
	global_load_b64 v[2:3], v[0:1], off
	s_mov_b32 s30, 0
	s_wait_loadcnt 0x0
	v_xor_b32_e32 v4, v2, v3
	v_cls_i32_e32 v5, v3
	s_delay_alu instid0(VALU_DEP_2) | instskip(NEXT) | instid1(VALU_DEP_1)
	v_ashrrev_i32_e32 v4, 31, v4
	v_add_nc_u32_e32 v4, 32, v4
	s_delay_alu instid0(VALU_DEP_1) | instskip(NEXT) | instid1(VALU_DEP_1)
	v_add_min_u32_e64 v4, v5, -1, v4
	v_lshlrev_b64_e32 v[2:3], v4, v[2:3]
	s_delay_alu instid0(VALU_DEP_1) | instskip(NEXT) | instid1(VALU_DEP_1)
	v_min_u32_e32 v2, 1, v2
	v_dual_sub_nc_u32 v3, 32, v4 :: v_dual_bitop2_b32 v2, v3, v2 bitop3:0x54
	s_delay_alu instid0(VALU_DEP_1) | instskip(NEXT) | instid1(VALU_DEP_1)
	v_cvt_f32_i32_e32 v2, v2
	v_ldexp_f32 v2, v2, v3
	s_branch .LBB118_951
.LBB118_948:
	s_mov_b32 s30, -1
                                        ; implicit-def: $vgpr2
	s_branch .LBB118_957
.LBB118_949:
	s_mov_b32 s30, -1
                                        ; implicit-def: $vgpr2
	s_branch .LBB118_954
.LBB118_950:
	s_mov_b32 s30, -1
                                        ; implicit-def: $vgpr2
.LBB118_951:
	s_delay_alu instid0(SALU_CYCLE_1)
	s_and_not1_b32 vcc_lo, exec_lo, s30
	s_cbranch_vccnz .LBB118_953
; %bb.952:
	s_wait_loadcnt 0x0
	global_load_b32 v2, v[0:1], off
	s_wait_loadcnt 0x0
	v_cvt_f32_i32_e32 v2, v2
.LBB118_953:
	s_mov_b32 s30, 0
.LBB118_954:
	s_delay_alu instid0(SALU_CYCLE_1)
	s_and_not1_b32 vcc_lo, exec_lo, s30
	s_cbranch_vccnz .LBB118_956
; %bb.955:
	s_wait_loadcnt 0x0
	global_load_i16 v2, v[0:1], off
	s_wait_loadcnt 0x0
	v_cvt_f32_i32_e32 v2, v2
.LBB118_956:
	s_mov_b32 s30, 0
.LBB118_957:
	s_delay_alu instid0(SALU_CYCLE_1)
	s_and_not1_b32 vcc_lo, exec_lo, s30
	s_cbranch_vccnz .LBB118_963
; %bb.958:
	s_cmp_gt_i32 s0, 0
	s_mov_b32 s0, 0
	s_cbranch_scc0 .LBB118_960
; %bb.959:
	s_wait_loadcnt 0x0
	global_load_i8 v2, v[0:1], off
	s_wait_loadcnt 0x0
	v_cvt_f32_i32_e32 v2, v2
	s_branch .LBB118_961
.LBB118_960:
	s_mov_b32 s0, -1
                                        ; implicit-def: $vgpr2
.LBB118_961:
	s_delay_alu instid0(SALU_CYCLE_1)
	s_and_not1_b32 vcc_lo, exec_lo, s0
	s_cbranch_vccnz .LBB118_963
; %bb.962:
	global_load_u8 v0, v[0:1], off
	s_wait_loadcnt 0x0
	v_cvt_f32_ubyte0_e32 v2, v0
.LBB118_963:
	s_mov_b32 s31, -1
.LBB118_964:
	s_mov_b32 s30, 0
	s_mov_b32 s0, s24
	s_and_not1_b32 vcc_lo, exec_lo, s31
	s_mov_b32 s31, s25
	s_mov_b32 s34, 0
	s_cbranch_vccnz .LBB118_1219
; %bb.965:
	s_wait_xcnt 0x0
	v_mul_lo_u32 v0, v6, s5
	s_and_b32 s0, 0xffff, s1
	s_delay_alu instid0(SALU_CYCLE_1) | instskip(NEXT) | instid1(VALU_DEP_1)
	s_cmp_lt_i32 s0, 11
	v_ashrrev_i32_e32 v1, 31, v0
	s_delay_alu instid0(VALU_DEP_1)
	v_add_nc_u64_e32 v[0:1], s[10:11], v[0:1]
	s_cbranch_scc1 .LBB118_972
; %bb.966:
	s_cmp_gt_i32 s0, 25
	s_cbranch_scc0 .LBB118_973
; %bb.967:
	s_cmp_gt_i32 s0, 28
	s_cbranch_scc0 .LBB118_974
	;; [unrolled: 3-line block ×4, first 2 shown]
; %bb.970:
	s_cmp_eq_u32 s0, 46
	s_cbranch_scc0 .LBB118_979
; %bb.971:
	s_wait_loadcnt 0x0
	global_load_b32 v3, v[0:1], off
	s_mov_b32 s33, -1
	s_mov_b32 s31, 0
	s_wait_loadcnt 0x0
	v_lshlrev_b32_e32 v3, 16, v3
	s_branch .LBB118_981
.LBB118_972:
	s_mov_b32 s34, -1
	s_mov_b32 s33, 0
	s_mov_b32 s31, s25
                                        ; implicit-def: $vgpr3
	s_branch .LBB118_1046
.LBB118_973:
	s_mov_b32 s34, -1
	s_mov_b32 s33, 0
	s_mov_b32 s31, s25
                                        ; implicit-def: $vgpr3
	s_branch .LBB118_1010
.LBB118_974:
	s_mov_b32 s34, -1
	s_mov_b32 s33, 0
	s_mov_b32 s31, s25
                                        ; implicit-def: $vgpr3
	s_branch .LBB118_991
.LBB118_975:
	s_mov_b32 s34, -1
	s_mov_b32 s33, 0
	s_mov_b32 s31, s25
                                        ; implicit-def: $vgpr3
	s_branch .LBB118_986
.LBB118_976:
	s_mov_b32 s34, -1
	s_mov_b32 s33, 0
	s_mov_b32 s31, s25
	s_branch .LBB118_980
.LBB118_977:
	s_and_not1_saveexec_b32 s31, s31
	s_cbranch_execz .LBB118_733
.LBB118_978:
	v_add_f32_e64 v3, 0x42800000, |v2|
	s_and_not1_b32 s30, s30, exec_lo
	s_delay_alu instid0(VALU_DEP_1) | instskip(NEXT) | instid1(VALU_DEP_1)
	v_and_b32_e32 v3, 0xff, v3
	v_cmp_ne_u32_e32 vcc_lo, 0, v3
	s_and_b32 s33, vcc_lo, exec_lo
	s_delay_alu instid0(SALU_CYCLE_1)
	s_or_b32 s30, s30, s33
	s_or_b32 exec_lo, exec_lo, s31
	v_mov_b32_e32 v4, 0
	s_and_saveexec_b32 s31, s30
	s_cbranch_execnz .LBB118_734
	s_branch .LBB118_735
.LBB118_979:
	s_mov_b32 s31, -1
	s_mov_b32 s33, 0
.LBB118_980:
                                        ; implicit-def: $vgpr3
.LBB118_981:
	s_and_b32 vcc_lo, exec_lo, s34
	s_cbranch_vccz .LBB118_985
; %bb.982:
	s_cmp_eq_u32 s0, 44
	s_cbranch_scc0 .LBB118_984
; %bb.983:
	s_wait_loadcnt 0x0
	global_load_u8 v3, v[0:1], off
	s_mov_b32 s31, 0
	s_mov_b32 s33, -1
	s_wait_loadcnt 0x0
	v_lshlrev_b32_e32 v4, 23, v3
	v_cmp_ne_u32_e32 vcc_lo, 0xff, v3
	s_delay_alu instid0(VALU_DEP_2) | instskip(SKIP_1) | instid1(VALU_DEP_2)
	v_cndmask_b32_e32 v4, 0x7f800001, v4, vcc_lo
	v_cmp_ne_u32_e32 vcc_lo, 0, v3
	v_cndmask_b32_e32 v3, 0x400000, v4, vcc_lo
	s_branch .LBB118_985
.LBB118_984:
	s_mov_b32 s31, -1
                                        ; implicit-def: $vgpr3
.LBB118_985:
	s_mov_b32 s34, 0
.LBB118_986:
	s_delay_alu instid0(SALU_CYCLE_1)
	s_and_b32 vcc_lo, exec_lo, s34
	s_cbranch_vccz .LBB118_990
; %bb.987:
	s_cmp_eq_u32 s0, 29
	s_cbranch_scc0 .LBB118_989
; %bb.988:
	global_load_b64 v[4:5], v[0:1], off
	s_mov_b32 s33, -1
	s_mov_b32 s31, 0
	s_mov_b32 s34, 0
	s_wait_loadcnt 0x0
	v_clz_i32_u32_e32 v3, v5
	s_delay_alu instid0(VALU_DEP_1) | instskip(NEXT) | instid1(VALU_DEP_1)
	v_min_u32_e32 v3, 32, v3
	v_lshlrev_b64_e32 v[4:5], v3, v[4:5]
	v_sub_nc_u32_e32 v3, 32, v3
	s_delay_alu instid0(VALU_DEP_2) | instskip(NEXT) | instid1(VALU_DEP_1)
	v_min_u32_e32 v4, 1, v4
	v_or_b32_e32 v4, v5, v4
	s_delay_alu instid0(VALU_DEP_1) | instskip(NEXT) | instid1(VALU_DEP_1)
	v_cvt_f32_u32_e32 v4, v4
	v_ldexp_f32 v3, v4, v3
	s_branch .LBB118_991
.LBB118_989:
	s_mov_b32 s31, -1
                                        ; implicit-def: $vgpr3
.LBB118_990:
	s_mov_b32 s34, 0
.LBB118_991:
	s_delay_alu instid0(SALU_CYCLE_1)
	s_and_b32 vcc_lo, exec_lo, s34
	s_cbranch_vccz .LBB118_1009
; %bb.992:
	s_cmp_lt_i32 s0, 27
	s_cbranch_scc1 .LBB118_995
; %bb.993:
	s_cmp_gt_i32 s0, 27
	s_cbranch_scc0 .LBB118_996
; %bb.994:
	s_wait_loadcnt 0x0
	global_load_b32 v3, v[0:1], off
	s_mov_b32 s33, 0
	s_wait_loadcnt 0x0
	v_cvt_f32_u32_e32 v3, v3
	s_branch .LBB118_997
.LBB118_995:
	s_mov_b32 s33, -1
                                        ; implicit-def: $vgpr3
	s_branch .LBB118_1000
.LBB118_996:
	s_mov_b32 s33, -1
                                        ; implicit-def: $vgpr3
.LBB118_997:
	s_delay_alu instid0(SALU_CYCLE_1)
	s_and_not1_b32 vcc_lo, exec_lo, s33
	s_cbranch_vccnz .LBB118_999
; %bb.998:
	s_wait_loadcnt 0x0
	global_load_u16 v3, v[0:1], off
	s_wait_loadcnt 0x0
	v_cvt_f32_u32_e32 v3, v3
.LBB118_999:
	s_mov_b32 s33, 0
.LBB118_1000:
	s_delay_alu instid0(SALU_CYCLE_1)
	s_and_not1_b32 vcc_lo, exec_lo, s33
	s_cbranch_vccnz .LBB118_1008
; %bb.1001:
	global_load_u8 v4, v[0:1], off
	s_mov_b32 s33, 0
	s_mov_b32 s34, exec_lo
	s_wait_loadcnt 0x0
	v_cmpx_lt_i16_e32 0x7f, v4
	s_xor_b32 s34, exec_lo, s34
	s_cbranch_execz .LBB118_1022
; %bb.1002:
	s_mov_b32 s33, -1
	s_mov_b32 s35, exec_lo
	v_cmpx_eq_u16_e32 0x80, v4
; %bb.1003:
	s_xor_b32 s33, exec_lo, -1
; %bb.1004:
	s_or_b32 exec_lo, exec_lo, s35
	s_delay_alu instid0(SALU_CYCLE_1)
	s_and_b32 s33, s33, exec_lo
	s_or_saveexec_b32 s34, s34
	v_mov_b32_e32 v3, 0x7f800001
	s_xor_b32 exec_lo, exec_lo, s34
	s_cbranch_execnz .LBB118_1023
.LBB118_1005:
	s_or_b32 exec_lo, exec_lo, s34
	s_and_saveexec_b32 s34, s33
	s_cbranch_execz .LBB118_1007
.LBB118_1006:
	v_and_b32_e32 v3, 0xffff, v4
	s_delay_alu instid0(VALU_DEP_1) | instskip(SKIP_1) | instid1(VALU_DEP_2)
	v_dual_lshlrev_b32 v4, 24, v4 :: v_dual_bitop2_b32 v5, 7, v3 bitop3:0x40
	v_bfe_u32 v9, v3, 3, 4
	v_and_b32_e32 v4, 0x80000000, v4
	s_delay_alu instid0(VALU_DEP_3) | instskip(NEXT) | instid1(VALU_DEP_3)
	v_clz_i32_u32_e32 v7, v5
	v_cmp_eq_u32_e32 vcc_lo, 0, v9
	s_delay_alu instid0(VALU_DEP_2) | instskip(NEXT) | instid1(VALU_DEP_1)
	v_min_u32_e32 v7, 32, v7
	v_subrev_nc_u32_e32 v8, 28, v7
	v_sub_nc_u32_e32 v7, 29, v7
	s_delay_alu instid0(VALU_DEP_2) | instskip(NEXT) | instid1(VALU_DEP_2)
	v_lshlrev_b32_e32 v3, v8, v3
	v_cndmask_b32_e32 v7, v9, v7, vcc_lo
	s_delay_alu instid0(VALU_DEP_2) | instskip(NEXT) | instid1(VALU_DEP_1)
	v_and_b32_e32 v3, 7, v3
	v_cndmask_b32_e32 v3, v5, v3, vcc_lo
	s_delay_alu instid0(VALU_DEP_3) | instskip(NEXT) | instid1(VALU_DEP_2)
	v_lshl_add_u32 v5, v7, 23, 0x3b800000
	v_lshlrev_b32_e32 v3, 20, v3
	s_delay_alu instid0(VALU_DEP_1)
	v_or3_b32 v3, v4, v5, v3
.LBB118_1007:
	s_or_b32 exec_lo, exec_lo, s34
.LBB118_1008:
	s_mov_b32 s33, -1
.LBB118_1009:
	s_mov_b32 s34, 0
.LBB118_1010:
	s_delay_alu instid0(SALU_CYCLE_1)
	s_and_b32 vcc_lo, exec_lo, s34
	s_cbranch_vccz .LBB118_1045
; %bb.1011:
	s_cmp_gt_i32 s0, 22
	s_cbranch_scc0 .LBB118_1021
; %bb.1012:
	s_cmp_lt_i32 s0, 24
	s_cbranch_scc1 .LBB118_1024
; %bb.1013:
	s_cmp_gt_i32 s0, 24
	s_cbranch_scc0 .LBB118_1025
; %bb.1014:
	global_load_u8 v4, v[0:1], off
	s_mov_b32 s33, 0
	s_mov_b32 s34, exec_lo
	s_wait_loadcnt 0x0
	v_cmpx_lt_i16_e32 0x7f, v4
	s_xor_b32 s34, exec_lo, s34
	s_cbranch_execz .LBB118_1037
; %bb.1015:
	s_mov_b32 s33, -1
	s_mov_b32 s35, exec_lo
	v_cmpx_eq_u16_e32 0x80, v4
; %bb.1016:
	s_xor_b32 s33, exec_lo, -1
; %bb.1017:
	s_or_b32 exec_lo, exec_lo, s35
	s_delay_alu instid0(SALU_CYCLE_1)
	s_and_b32 s33, s33, exec_lo
	s_or_saveexec_b32 s34, s34
	v_mov_b32_e32 v3, 0x7f800001
	s_xor_b32 exec_lo, exec_lo, s34
	s_cbranch_execnz .LBB118_1038
.LBB118_1018:
	s_or_b32 exec_lo, exec_lo, s34
	s_and_saveexec_b32 s34, s33
	s_cbranch_execz .LBB118_1020
.LBB118_1019:
	v_and_b32_e32 v3, 0xffff, v4
	s_delay_alu instid0(VALU_DEP_1) | instskip(SKIP_1) | instid1(VALU_DEP_2)
	v_dual_lshlrev_b32 v4, 24, v4 :: v_dual_bitop2_b32 v5, 3, v3 bitop3:0x40
	v_bfe_u32 v9, v3, 2, 5
	v_and_b32_e32 v4, 0x80000000, v4
	s_delay_alu instid0(VALU_DEP_3) | instskip(NEXT) | instid1(VALU_DEP_3)
	v_clz_i32_u32_e32 v7, v5
	v_cmp_eq_u32_e32 vcc_lo, 0, v9
	s_delay_alu instid0(VALU_DEP_2) | instskip(NEXT) | instid1(VALU_DEP_1)
	v_min_u32_e32 v7, 32, v7
	v_subrev_nc_u32_e32 v8, 29, v7
	v_sub_nc_u32_e32 v7, 30, v7
	s_delay_alu instid0(VALU_DEP_2) | instskip(NEXT) | instid1(VALU_DEP_2)
	v_lshlrev_b32_e32 v3, v8, v3
	v_cndmask_b32_e32 v7, v9, v7, vcc_lo
	s_delay_alu instid0(VALU_DEP_2) | instskip(NEXT) | instid1(VALU_DEP_1)
	v_and_b32_e32 v3, 3, v3
	v_cndmask_b32_e32 v3, v5, v3, vcc_lo
	s_delay_alu instid0(VALU_DEP_3) | instskip(NEXT) | instid1(VALU_DEP_2)
	v_lshl_add_u32 v5, v7, 23, 0x37800000
	v_lshlrev_b32_e32 v3, 21, v3
	s_delay_alu instid0(VALU_DEP_1)
	v_or3_b32 v3, v4, v5, v3
.LBB118_1020:
	s_or_b32 exec_lo, exec_lo, s34
	s_mov_b32 s33, 0
	s_branch .LBB118_1026
.LBB118_1021:
	s_mov_b32 s34, -1
                                        ; implicit-def: $vgpr3
	s_branch .LBB118_1032
.LBB118_1022:
	s_or_saveexec_b32 s34, s34
	v_mov_b32_e32 v3, 0x7f800001
	s_xor_b32 exec_lo, exec_lo, s34
	s_cbranch_execz .LBB118_1005
.LBB118_1023:
	v_cmp_ne_u16_e32 vcc_lo, 0, v4
	v_mov_b32_e32 v3, 0
	s_and_not1_b32 s33, s33, exec_lo
	s_and_b32 s35, vcc_lo, exec_lo
	s_delay_alu instid0(SALU_CYCLE_1)
	s_or_b32 s33, s33, s35
	s_or_b32 exec_lo, exec_lo, s34
	s_and_saveexec_b32 s34, s33
	s_cbranch_execnz .LBB118_1006
	s_branch .LBB118_1007
.LBB118_1024:
	s_mov_b32 s33, -1
                                        ; implicit-def: $vgpr3
	s_branch .LBB118_1029
.LBB118_1025:
	s_mov_b32 s33, -1
                                        ; implicit-def: $vgpr3
.LBB118_1026:
	s_delay_alu instid0(SALU_CYCLE_1)
	s_and_b32 vcc_lo, exec_lo, s33
	s_cbranch_vccz .LBB118_1028
; %bb.1027:
	s_wait_loadcnt 0x0
	global_load_u8 v3, v[0:1], off
	s_wait_loadcnt 0x0
	v_lshlrev_b32_e32 v3, 24, v3
	s_delay_alu instid0(VALU_DEP_1) | instskip(NEXT) | instid1(VALU_DEP_1)
	v_and_b32_e32 v4, 0x7f000000, v3
	v_clz_i32_u32_e32 v5, v4
	v_add_nc_u32_e32 v8, 0x1000000, v4
	v_cmp_ne_u32_e32 vcc_lo, 0, v4
	s_delay_alu instid0(VALU_DEP_3) | instskip(NEXT) | instid1(VALU_DEP_1)
	v_min_u32_e32 v5, 32, v5
	v_sub_nc_u32_e64 v5, v5, 4 clamp
	s_delay_alu instid0(VALU_DEP_1) | instskip(NEXT) | instid1(VALU_DEP_1)
	v_dual_lshlrev_b32 v7, v5, v4 :: v_dual_lshlrev_b32 v5, 23, v5
	v_lshrrev_b32_e32 v7, 4, v7
	s_delay_alu instid0(VALU_DEP_1) | instskip(NEXT) | instid1(VALU_DEP_1)
	v_dual_sub_nc_u32 v5, v7, v5 :: v_dual_ashrrev_i32 v7, 8, v8
	v_add_nc_u32_e32 v5, 0x3c000000, v5
	s_delay_alu instid0(VALU_DEP_1) | instskip(NEXT) | instid1(VALU_DEP_1)
	v_and_or_b32 v5, 0x7f800000, v7, v5
	v_cndmask_b32_e32 v4, 0, v5, vcc_lo
	s_delay_alu instid0(VALU_DEP_1)
	v_and_or_b32 v3, 0x80000000, v3, v4
.LBB118_1028:
	s_mov_b32 s33, 0
.LBB118_1029:
	s_delay_alu instid0(SALU_CYCLE_1)
	s_and_not1_b32 vcc_lo, exec_lo, s33
	s_cbranch_vccnz .LBB118_1031
; %bb.1030:
	s_wait_loadcnt 0x0
	global_load_u8 v3, v[0:1], off
	s_wait_loadcnt 0x0
	v_lshlrev_b32_e32 v4, 25, v3
	v_lshlrev_b16 v3, 8, v3
	s_delay_alu instid0(VALU_DEP_1) | instskip(NEXT) | instid1(VALU_DEP_3)
	v_and_or_b32 v7, 0x7f00, v3, 0.5
	v_lshrrev_b32_e32 v5, 4, v4
	v_bfe_i32 v3, v3, 0, 16
	s_delay_alu instid0(VALU_DEP_3) | instskip(NEXT) | instid1(VALU_DEP_3)
	v_add_f32_e32 v7, -0.5, v7
	v_or_b32_e32 v5, 0x70000000, v5
	s_delay_alu instid0(VALU_DEP_1) | instskip(SKIP_1) | instid1(VALU_DEP_2)
	v_mul_f32_e32 v5, 0x7800000, v5
	v_cmp_gt_u32_e32 vcc_lo, 0x8000000, v4
	v_cndmask_b32_e32 v4, v5, v7, vcc_lo
	s_delay_alu instid0(VALU_DEP_1)
	v_and_or_b32 v3, 0x80000000, v3, v4
.LBB118_1031:
	s_mov_b32 s34, 0
	s_mov_b32 s33, -1
.LBB118_1032:
	s_and_not1_b32 vcc_lo, exec_lo, s34
	s_cbranch_vccnz .LBB118_1045
; %bb.1033:
	s_cmp_gt_i32 s0, 14
	s_cbranch_scc0 .LBB118_1036
; %bb.1034:
	s_cmp_eq_u32 s0, 15
	s_cbranch_scc0 .LBB118_1039
; %bb.1035:
	s_wait_loadcnt 0x0
	global_load_u16 v3, v[0:1], off
	s_mov_b32 s33, -1
	s_mov_b32 s31, 0
	s_wait_loadcnt 0x0
	v_lshlrev_b32_e32 v3, 16, v3
	s_branch .LBB118_1040
.LBB118_1036:
	s_mov_b32 s34, -1
                                        ; implicit-def: $vgpr3
	s_branch .LBB118_1041
.LBB118_1037:
	s_or_saveexec_b32 s34, s34
	v_mov_b32_e32 v3, 0x7f800001
	s_xor_b32 exec_lo, exec_lo, s34
	s_cbranch_execz .LBB118_1018
.LBB118_1038:
	v_cmp_ne_u16_e32 vcc_lo, 0, v4
	v_mov_b32_e32 v3, 0
	s_and_not1_b32 s33, s33, exec_lo
	s_and_b32 s35, vcc_lo, exec_lo
	s_delay_alu instid0(SALU_CYCLE_1)
	s_or_b32 s33, s33, s35
	s_or_b32 exec_lo, exec_lo, s34
	s_and_saveexec_b32 s34, s33
	s_cbranch_execnz .LBB118_1019
	s_branch .LBB118_1020
.LBB118_1039:
	s_mov_b32 s31, -1
                                        ; implicit-def: $vgpr3
.LBB118_1040:
	s_mov_b32 s34, 0
.LBB118_1041:
	s_delay_alu instid0(SALU_CYCLE_1)
	s_and_b32 vcc_lo, exec_lo, s34
	s_cbranch_vccz .LBB118_1045
; %bb.1042:
	s_cmp_eq_u32 s0, 11
	s_cbranch_scc0 .LBB118_1044
; %bb.1043:
	s_wait_loadcnt 0x0
	global_load_u8 v3, v[0:1], off
	s_mov_b32 s31, 0
	s_mov_b32 s33, -1
	s_wait_loadcnt 0x0
	v_cmp_ne_u16_e32 vcc_lo, 0, v3
	v_cndmask_b32_e64 v3, 0, 1.0, vcc_lo
	s_branch .LBB118_1045
.LBB118_1044:
	s_mov_b32 s31, -1
                                        ; implicit-def: $vgpr3
.LBB118_1045:
	s_mov_b32 s34, 0
.LBB118_1046:
	s_delay_alu instid0(SALU_CYCLE_1)
	s_and_b32 vcc_lo, exec_lo, s34
	s_cbranch_vccz .LBB118_1095
; %bb.1047:
	s_cmp_lt_i32 s0, 5
	s_cbranch_scc1 .LBB118_1052
; %bb.1048:
	s_cmp_lt_i32 s0, 8
	s_cbranch_scc1 .LBB118_1053
	;; [unrolled: 3-line block ×3, first 2 shown]
; %bb.1050:
	s_cmp_gt_i32 s0, 9
	s_cbranch_scc0 .LBB118_1055
; %bb.1051:
	global_load_b64 v[4:5], v[0:1], off
	s_mov_b32 s33, 0
	s_wait_loadcnt 0x0
	v_cvt_f32_f64_e32 v3, v[4:5]
	s_branch .LBB118_1056
.LBB118_1052:
	s_mov_b32 s33, -1
                                        ; implicit-def: $vgpr3
	s_branch .LBB118_1074
.LBB118_1053:
	s_mov_b32 s33, -1
                                        ; implicit-def: $vgpr3
	s_branch .LBB118_1062
.LBB118_1054:
	s_mov_b32 s33, -1
                                        ; implicit-def: $vgpr3
	s_branch .LBB118_1059
.LBB118_1055:
	s_mov_b32 s33, -1
                                        ; implicit-def: $vgpr3
.LBB118_1056:
	s_delay_alu instid0(SALU_CYCLE_1)
	s_and_not1_b32 vcc_lo, exec_lo, s33
	s_cbranch_vccnz .LBB118_1058
; %bb.1057:
	s_wait_loadcnt 0x0
	global_load_b32 v3, v[0:1], off
.LBB118_1058:
	s_mov_b32 s33, 0
.LBB118_1059:
	s_delay_alu instid0(SALU_CYCLE_1)
	s_and_not1_b32 vcc_lo, exec_lo, s33
	s_cbranch_vccnz .LBB118_1061
; %bb.1060:
	s_wait_loadcnt 0x0
	global_load_b32 v3, v[0:1], off
	s_wait_loadcnt 0x0
	v_cvt_f32_f16_e32 v3, v3
.LBB118_1061:
	s_mov_b32 s33, 0
.LBB118_1062:
	s_delay_alu instid0(SALU_CYCLE_1)
	s_and_not1_b32 vcc_lo, exec_lo, s33
	s_cbranch_vccnz .LBB118_1073
; %bb.1063:
	s_cmp_lt_i32 s0, 6
	s_cbranch_scc1 .LBB118_1066
; %bb.1064:
	s_cmp_gt_i32 s0, 6
	s_cbranch_scc0 .LBB118_1067
; %bb.1065:
	global_load_b64 v[4:5], v[0:1], off
	s_mov_b32 s33, 0
	s_wait_loadcnt 0x0
	v_cvt_f32_f64_e32 v3, v[4:5]
	s_branch .LBB118_1068
.LBB118_1066:
	s_mov_b32 s33, -1
                                        ; implicit-def: $vgpr3
	s_branch .LBB118_1071
.LBB118_1067:
	s_mov_b32 s33, -1
                                        ; implicit-def: $vgpr3
.LBB118_1068:
	s_delay_alu instid0(SALU_CYCLE_1)
	s_and_not1_b32 vcc_lo, exec_lo, s33
	s_cbranch_vccnz .LBB118_1070
; %bb.1069:
	s_wait_loadcnt 0x0
	global_load_b32 v3, v[0:1], off
.LBB118_1070:
	s_mov_b32 s33, 0
.LBB118_1071:
	s_delay_alu instid0(SALU_CYCLE_1)
	s_and_not1_b32 vcc_lo, exec_lo, s33
	s_cbranch_vccnz .LBB118_1073
; %bb.1072:
	s_wait_loadcnt 0x0
	global_load_u16 v3, v[0:1], off
	s_wait_loadcnt 0x0
	v_cvt_f32_f16_e32 v3, v3
.LBB118_1073:
	s_mov_b32 s33, 0
.LBB118_1074:
	s_delay_alu instid0(SALU_CYCLE_1)
	s_and_not1_b32 vcc_lo, exec_lo, s33
	s_cbranch_vccnz .LBB118_1094
; %bb.1075:
	s_cmp_lt_i32 s0, 2
	s_cbranch_scc1 .LBB118_1079
; %bb.1076:
	s_cmp_lt_i32 s0, 3
	s_cbranch_scc1 .LBB118_1080
; %bb.1077:
	s_cmp_gt_i32 s0, 3
	s_cbranch_scc0 .LBB118_1081
; %bb.1078:
	global_load_b64 v[4:5], v[0:1], off
	s_mov_b32 s33, 0
	s_wait_loadcnt 0x0
	v_xor_b32_e32 v3, v4, v5
	v_cls_i32_e32 v7, v5
	s_delay_alu instid0(VALU_DEP_2) | instskip(NEXT) | instid1(VALU_DEP_1)
	v_ashrrev_i32_e32 v3, 31, v3
	v_add_nc_u32_e32 v3, 32, v3
	s_delay_alu instid0(VALU_DEP_1) | instskip(NEXT) | instid1(VALU_DEP_1)
	v_add_min_u32_e64 v3, v7, -1, v3
	v_lshlrev_b64_e32 v[4:5], v3, v[4:5]
	v_sub_nc_u32_e32 v3, 32, v3
	s_delay_alu instid0(VALU_DEP_2) | instskip(NEXT) | instid1(VALU_DEP_1)
	v_min_u32_e32 v4, 1, v4
	v_or_b32_e32 v4, v5, v4
	s_delay_alu instid0(VALU_DEP_1) | instskip(NEXT) | instid1(VALU_DEP_1)
	v_cvt_f32_i32_e32 v4, v4
	v_ldexp_f32 v3, v4, v3
	s_branch .LBB118_1082
.LBB118_1079:
	s_mov_b32 s33, -1
                                        ; implicit-def: $vgpr3
	s_branch .LBB118_1088
.LBB118_1080:
	s_mov_b32 s33, -1
                                        ; implicit-def: $vgpr3
	s_branch .LBB118_1085
.LBB118_1081:
	s_mov_b32 s33, -1
                                        ; implicit-def: $vgpr3
.LBB118_1082:
	s_delay_alu instid0(SALU_CYCLE_1)
	s_and_not1_b32 vcc_lo, exec_lo, s33
	s_cbranch_vccnz .LBB118_1084
; %bb.1083:
	s_wait_loadcnt 0x0
	global_load_b32 v3, v[0:1], off
	s_wait_loadcnt 0x0
	v_cvt_f32_i32_e32 v3, v3
.LBB118_1084:
	s_mov_b32 s33, 0
.LBB118_1085:
	s_delay_alu instid0(SALU_CYCLE_1)
	s_and_not1_b32 vcc_lo, exec_lo, s33
	s_cbranch_vccnz .LBB118_1087
; %bb.1086:
	s_wait_loadcnt 0x0
	global_load_i16 v3, v[0:1], off
	s_wait_loadcnt 0x0
	v_cvt_f32_i32_e32 v3, v3
.LBB118_1087:
	s_mov_b32 s33, 0
.LBB118_1088:
	s_delay_alu instid0(SALU_CYCLE_1)
	s_and_not1_b32 vcc_lo, exec_lo, s33
	s_cbranch_vccnz .LBB118_1094
; %bb.1089:
	s_cmp_gt_i32 s0, 0
	s_mov_b32 s0, 0
	s_cbranch_scc0 .LBB118_1091
; %bb.1090:
	s_wait_loadcnt 0x0
	global_load_i8 v3, v[0:1], off
	s_wait_loadcnt 0x0
	v_cvt_f32_i32_e32 v3, v3
	s_branch .LBB118_1092
.LBB118_1091:
	s_mov_b32 s0, -1
                                        ; implicit-def: $vgpr3
.LBB118_1092:
	s_delay_alu instid0(SALU_CYCLE_1)
	s_and_not1_b32 vcc_lo, exec_lo, s0
	s_cbranch_vccnz .LBB118_1094
; %bb.1093:
	global_load_u8 v0, v[0:1], off
	s_wait_loadcnt 0x0
	v_cvt_f32_ubyte0_e32 v3, v0
.LBB118_1094:
	s_mov_b32 s33, -1
.LBB118_1095:
	s_delay_alu instid0(SALU_CYCLE_1)
	s_and_not1_b32 vcc_lo, exec_lo, s33
	s_cbranch_vccnz .LBB118_1103
; %bb.1096:
	s_wait_xcnt 0x0
	v_mul_lo_u32 v0, v6, s12
	s_and_b32 s33, s7, 0xff
	s_wait_loadcnt 0x0
	v_mul_f32_e32 v2, s6, v2
	s_cmp_lt_i32 s33, 11
	s_delay_alu instid0(VALU_DEP_1) | instskip(NEXT) | instid1(VALU_DEP_1)
	v_dual_mul_f32 v2, v2, v3 :: v_dual_ashrrev_i32 v1, 31, v0
	v_add_nc_u64_e32 v[0:1], s[2:3], v[0:1]
	s_cbranch_scc1 .LBB118_1104
; %bb.1097:
	s_and_b32 s34, 0xffff, s33
	s_delay_alu instid0(SALU_CYCLE_1)
	s_cmp_gt_i32 s34, 25
	s_cbranch_scc0 .LBB118_1105
; %bb.1098:
	s_cmp_gt_i32 s34, 28
	s_cbranch_scc0 .LBB118_1106
; %bb.1099:
	;; [unrolled: 3-line block ×4, first 2 shown]
	s_mov_b32 s36, 0
	s_mov_b32 s0, -1
	s_cmp_eq_u32 s34, 46
	s_mov_b32 s35, 0
	s_cbranch_scc0 .LBB118_1109
; %bb.1102:
	v_bfe_u32 v3, v2, 16, 1
	v_cmp_o_f32_e32 vcc_lo, v2, v2
	s_mov_b32 s35, -1
	s_mov_b32 s0, 0
	s_delay_alu instid0(VALU_DEP_2) | instskip(NEXT) | instid1(VALU_DEP_1)
	v_add3_u32 v3, v2, v3, 0x7fff
	v_lshrrev_b32_e32 v3, 16, v3
	s_delay_alu instid0(VALU_DEP_1)
	v_cndmask_b32_e32 v3, 0x7fc0, v3, vcc_lo
	global_store_b32 v[0:1], v3, off
	s_branch .LBB118_1109
.LBB118_1103:
	s_mov_b32 s34, 0
	s_mov_b32 s0, s24
	s_branch .LBB118_840
.LBB118_1104:
	s_mov_b32 s34, -1
	s_mov_b32 s35, 0
	s_mov_b32 s0, s24
	s_branch .LBB118_1178
.LBB118_1105:
	s_mov_b32 s36, -1
	s_mov_b32 s35, 0
	s_mov_b32 s0, s24
	s_branch .LBB118_1136
.LBB118_1106:
	s_mov_b32 s36, -1
	s_mov_b32 s35, 0
	s_mov_b32 s0, s24
	s_branch .LBB118_1119
.LBB118_1107:
	s_mov_b32 s36, -1
	s_mov_b32 s35, 0
	s_mov_b32 s0, s24
	s_branch .LBB118_1115
.LBB118_1108:
	s_mov_b32 s36, -1
	s_mov_b32 s35, 0
	s_mov_b32 s0, s24
.LBB118_1109:
	s_and_b32 vcc_lo, exec_lo, s36
	s_cbranch_vccz .LBB118_1114
; %bb.1110:
	s_cmp_eq_u32 s34, 44
	s_mov_b32 s0, -1
	s_cbranch_scc0 .LBB118_1114
; %bb.1111:
	v_bfe_u32 v4, v2, 23, 8
	s_wait_xcnt 0x0
	v_mov_b32_e32 v3, 0xff
	s_mov_b32 s35, exec_lo
	s_delay_alu instid0(VALU_DEP_2)
	v_cmpx_ne_u32_e32 0xff, v4
	s_cbranch_execz .LBB118_1113
; %bb.1112:
	v_and_b32_e32 v3, 0x400000, v2
	v_and_or_b32 v4, 0x3fffff, v2, v4
	s_delay_alu instid0(VALU_DEP_2) | instskip(NEXT) | instid1(VALU_DEP_2)
	v_cmp_ne_u32_e32 vcc_lo, 0, v3
	v_cmp_ne_u32_e64 s0, 0, v4
	v_lshrrev_b32_e32 v3, 23, v2
	s_and_b32 s0, vcc_lo, s0
	s_delay_alu instid0(SALU_CYCLE_1) | instskip(NEXT) | instid1(VALU_DEP_1)
	v_cndmask_b32_e64 v4, 0, 1, s0
	v_add_nc_u32_e32 v3, v3, v4
.LBB118_1113:
	s_or_b32 exec_lo, exec_lo, s35
	s_mov_b32 s35, -1
	s_mov_b32 s0, 0
	global_store_b8 v[0:1], v3, off
.LBB118_1114:
	s_mov_b32 s36, 0
.LBB118_1115:
	s_delay_alu instid0(SALU_CYCLE_1)
	s_and_b32 vcc_lo, exec_lo, s36
	s_cbranch_vccz .LBB118_1118
; %bb.1116:
	s_cmp_eq_u32 s34, 29
	s_mov_b32 s0, -1
	s_cbranch_scc0 .LBB118_1118
; %bb.1117:
	s_wait_xcnt 0x0
	v_trunc_f32_e32 v3, v2
	s_mov_b32 s35, -1
	s_mov_b32 s0, 0
	s_mov_b32 s36, 0
	s_delay_alu instid0(VALU_DEP_1) | instskip(NEXT) | instid1(VALU_DEP_1)
	v_mul_f32_e32 v4, 0x2f800000, v3
	v_floor_f32_e32 v4, v4
	s_delay_alu instid0(VALU_DEP_1) | instskip(SKIP_1) | instid1(VALU_DEP_2)
	v_fmamk_f32 v3, v4, 0xcf800000, v3
	v_cvt_u32_f32_e32 v5, v4
	v_cvt_u32_f32_e32 v4, v3
	global_store_b64 v[0:1], v[4:5], off
	s_branch .LBB118_1119
.LBB118_1118:
	s_mov_b32 s36, 0
.LBB118_1119:
	s_delay_alu instid0(SALU_CYCLE_1)
	s_and_b32 vcc_lo, exec_lo, s36
	s_cbranch_vccz .LBB118_1135
; %bb.1120:
	s_cmp_lt_i32 s34, 27
	s_mov_b32 s35, -1
	s_cbranch_scc1 .LBB118_1126
; %bb.1121:
	s_wait_xcnt 0x0
	v_cvt_u32_f32_e32 v3, v2
	s_cmp_gt_i32 s34, 27
	s_cbranch_scc0 .LBB118_1123
; %bb.1122:
	s_mov_b32 s35, 0
	global_store_b32 v[0:1], v3, off
.LBB118_1123:
	s_and_not1_b32 vcc_lo, exec_lo, s35
	s_cbranch_vccnz .LBB118_1125
; %bb.1124:
	global_store_b16 v[0:1], v3, off
.LBB118_1125:
	s_mov_b32 s35, 0
.LBB118_1126:
	s_delay_alu instid0(SALU_CYCLE_1)
	s_and_not1_b32 vcc_lo, exec_lo, s35
	s_cbranch_vccnz .LBB118_1134
; %bb.1127:
	s_wait_xcnt 0x0
	v_and_b32_e32 v3, 0x7fffffff, v2
	v_mov_b32_e32 v4, 0x80
	s_mov_b32 s35, exec_lo
	s_delay_alu instid0(VALU_DEP_2)
	v_cmpx_gt_u32_e32 0x43800000, v3
	s_cbranch_execz .LBB118_1133
; %bb.1128:
	v_cmp_lt_u32_e32 vcc_lo, 0x3bffffff, v3
	s_mov_b32 s36, 0
                                        ; implicit-def: $vgpr3
	s_and_saveexec_b32 s37, vcc_lo
	s_delay_alu instid0(SALU_CYCLE_1)
	s_xor_b32 s37, exec_lo, s37
	s_cbranch_execz .LBB118_2069
; %bb.1129:
	v_bfe_u32 v3, v2, 20, 1
	s_mov_b32 s36, exec_lo
	s_delay_alu instid0(VALU_DEP_1) | instskip(NEXT) | instid1(VALU_DEP_1)
	v_add3_u32 v3, v2, v3, 0x487ffff
	v_lshrrev_b32_e32 v3, 20, v3
	s_and_not1_saveexec_b32 s37, s37
	s_cbranch_execnz .LBB118_2070
.LBB118_1130:
	s_or_b32 exec_lo, exec_lo, s37
	v_mov_b32_e32 v4, 0
	s_and_saveexec_b32 s37, s36
.LBB118_1131:
	v_lshrrev_b32_e32 v4, 24, v2
	s_delay_alu instid0(VALU_DEP_1)
	v_and_or_b32 v4, 0x80, v4, v3
.LBB118_1132:
	s_or_b32 exec_lo, exec_lo, s37
.LBB118_1133:
	s_delay_alu instid0(SALU_CYCLE_1)
	s_or_b32 exec_lo, exec_lo, s35
	global_store_b8 v[0:1], v4, off
.LBB118_1134:
	s_mov_b32 s35, -1
.LBB118_1135:
	s_mov_b32 s36, 0
.LBB118_1136:
	s_delay_alu instid0(SALU_CYCLE_1)
	s_and_b32 vcc_lo, exec_lo, s36
	s_cbranch_vccz .LBB118_1177
; %bb.1137:
	s_cmp_gt_i32 s34, 22
	s_mov_b32 s36, -1
	s_cbranch_scc0 .LBB118_1169
; %bb.1138:
	s_cmp_lt_i32 s34, 24
	s_mov_b32 s35, -1
	s_cbranch_scc1 .LBB118_1158
; %bb.1139:
	s_cmp_gt_i32 s34, 24
	s_cbranch_scc0 .LBB118_1147
; %bb.1140:
	s_wait_xcnt 0x0
	v_and_b32_e32 v3, 0x7fffffff, v2
	v_mov_b32_e32 v4, 0x80
	s_mov_b32 s35, exec_lo
	s_delay_alu instid0(VALU_DEP_2)
	v_cmpx_gt_u32_e32 0x47800000, v3
	s_cbranch_execz .LBB118_1146
; %bb.1141:
	v_cmp_lt_u32_e32 vcc_lo, 0x37ffffff, v3
	s_mov_b32 s36, 0
                                        ; implicit-def: $vgpr3
	s_and_saveexec_b32 s37, vcc_lo
	s_delay_alu instid0(SALU_CYCLE_1)
	s_xor_b32 s37, exec_lo, s37
	s_cbranch_execz .LBB118_2222
; %bb.1142:
	v_bfe_u32 v3, v2, 21, 1
	s_mov_b32 s36, exec_lo
	s_delay_alu instid0(VALU_DEP_1) | instskip(NEXT) | instid1(VALU_DEP_1)
	v_add3_u32 v3, v2, v3, 0x88fffff
	v_lshrrev_b32_e32 v3, 21, v3
	s_and_not1_saveexec_b32 s37, s37
	s_cbranch_execnz .LBB118_2223
.LBB118_1143:
	s_or_b32 exec_lo, exec_lo, s37
	v_mov_b32_e32 v4, 0
	s_and_saveexec_b32 s37, s36
.LBB118_1144:
	v_lshrrev_b32_e32 v4, 24, v2
	s_delay_alu instid0(VALU_DEP_1)
	v_and_or_b32 v4, 0x80, v4, v3
.LBB118_1145:
	s_or_b32 exec_lo, exec_lo, s37
.LBB118_1146:
	s_delay_alu instid0(SALU_CYCLE_1)
	s_or_b32 exec_lo, exec_lo, s35
	s_mov_b32 s35, 0
	global_store_b8 v[0:1], v4, off
.LBB118_1147:
	s_and_b32 vcc_lo, exec_lo, s35
	s_cbranch_vccz .LBB118_1157
; %bb.1148:
	s_wait_xcnt 0x0
	v_and_b32_e32 v4, 0x7fffffff, v2
	s_mov_b32 s35, exec_lo
                                        ; implicit-def: $vgpr3
	s_delay_alu instid0(VALU_DEP_1)
	v_cmpx_gt_u32_e32 0x43f00000, v4
	s_xor_b32 s35, exec_lo, s35
	s_cbranch_execz .LBB118_1154
; %bb.1149:
	s_mov_b32 s36, exec_lo
                                        ; implicit-def: $vgpr3
	v_cmpx_lt_u32_e32 0x3c7fffff, v4
	s_xor_b32 s36, exec_lo, s36
; %bb.1150:
	v_bfe_u32 v3, v2, 20, 1
	s_delay_alu instid0(VALU_DEP_1) | instskip(NEXT) | instid1(VALU_DEP_1)
	v_add3_u32 v3, v2, v3, 0x407ffff
	v_and_b32_e32 v4, 0xff00000, v3
	v_lshrrev_b32_e32 v3, 20, v3
	s_delay_alu instid0(VALU_DEP_2) | instskip(NEXT) | instid1(VALU_DEP_2)
	v_cmp_ne_u32_e32 vcc_lo, 0x7f00000, v4
	v_cndmask_b32_e32 v3, 0x7e, v3, vcc_lo
; %bb.1151:
	s_and_not1_saveexec_b32 s36, s36
; %bb.1152:
	v_add_f32_e64 v3, 0x46800000, |v2|
; %bb.1153:
	s_or_b32 exec_lo, exec_lo, s36
                                        ; implicit-def: $vgpr4
.LBB118_1154:
	s_and_not1_saveexec_b32 s35, s35
; %bb.1155:
	v_mov_b32_e32 v3, 0x7f
	v_cmp_lt_u32_e32 vcc_lo, 0x7f800000, v4
	s_delay_alu instid0(VALU_DEP_2)
	v_cndmask_b32_e32 v3, 0x7e, v3, vcc_lo
; %bb.1156:
	s_or_b32 exec_lo, exec_lo, s35
	v_lshrrev_b32_e32 v4, 24, v2
	s_delay_alu instid0(VALU_DEP_1)
	v_and_or_b32 v3, 0x80, v4, v3
	global_store_b8 v[0:1], v3, off
.LBB118_1157:
	s_mov_b32 s35, 0
.LBB118_1158:
	s_delay_alu instid0(SALU_CYCLE_1)
	s_and_not1_b32 vcc_lo, exec_lo, s35
	s_cbranch_vccnz .LBB118_1168
; %bb.1159:
	s_wait_xcnt 0x0
	v_and_b32_e32 v4, 0x7fffffff, v2
	s_mov_b32 s35, exec_lo
                                        ; implicit-def: $vgpr3
	s_delay_alu instid0(VALU_DEP_1)
	v_cmpx_gt_u32_e32 0x47800000, v4
	s_xor_b32 s35, exec_lo, s35
	s_cbranch_execz .LBB118_1165
; %bb.1160:
	s_mov_b32 s36, exec_lo
                                        ; implicit-def: $vgpr3
	v_cmpx_lt_u32_e32 0x387fffff, v4
	s_xor_b32 s36, exec_lo, s36
; %bb.1161:
	v_bfe_u32 v3, v2, 21, 1
	s_delay_alu instid0(VALU_DEP_1) | instskip(NEXT) | instid1(VALU_DEP_1)
	v_add3_u32 v3, v2, v3, 0x80fffff
	v_lshrrev_b32_e32 v3, 21, v3
; %bb.1162:
	s_and_not1_saveexec_b32 s36, s36
; %bb.1163:
	v_add_f32_e64 v3, 0x43000000, |v2|
; %bb.1164:
	s_or_b32 exec_lo, exec_lo, s36
                                        ; implicit-def: $vgpr4
.LBB118_1165:
	s_and_not1_saveexec_b32 s35, s35
; %bb.1166:
	v_mov_b32_e32 v3, 0x7f
	v_cmp_lt_u32_e32 vcc_lo, 0x7f800000, v4
	s_delay_alu instid0(VALU_DEP_2)
	v_cndmask_b32_e32 v3, 0x7c, v3, vcc_lo
; %bb.1167:
	s_or_b32 exec_lo, exec_lo, s35
	v_lshrrev_b32_e32 v4, 24, v2
	s_delay_alu instid0(VALU_DEP_1)
	v_and_or_b32 v3, 0x80, v4, v3
	global_store_b8 v[0:1], v3, off
.LBB118_1168:
	s_mov_b32 s36, 0
	s_mov_b32 s35, -1
.LBB118_1169:
	s_and_not1_b32 vcc_lo, exec_lo, s36
	s_cbranch_vccnz .LBB118_1177
; %bb.1170:
	s_cmp_gt_i32 s34, 14
	s_mov_b32 s36, -1
	s_cbranch_scc0 .LBB118_1174
; %bb.1171:
	s_cmp_eq_u32 s34, 15
	s_mov_b32 s0, -1
	s_cbranch_scc0 .LBB118_1173
; %bb.1172:
	s_wait_xcnt 0x0
	v_bfe_u32 v3, v2, 16, 1
	v_cmp_o_f32_e32 vcc_lo, v2, v2
	s_mov_b32 s35, -1
	s_mov_b32 s0, 0
	s_delay_alu instid0(VALU_DEP_2) | instskip(NEXT) | instid1(VALU_DEP_1)
	v_add3_u32 v3, v2, v3, 0x7fff
	v_lshrrev_b32_e32 v3, 16, v3
	s_delay_alu instid0(VALU_DEP_1)
	v_cndmask_b32_e32 v3, 0x7fc0, v3, vcc_lo
	global_store_b16 v[0:1], v3, off
.LBB118_1173:
	s_mov_b32 s36, 0
.LBB118_1174:
	s_delay_alu instid0(SALU_CYCLE_1)
	s_and_b32 vcc_lo, exec_lo, s36
	s_cbranch_vccz .LBB118_1177
; %bb.1175:
	s_cmp_eq_u32 s34, 11
	s_mov_b32 s0, -1
	s_cbranch_scc0 .LBB118_1177
; %bb.1176:
	v_cmp_neq_f32_e32 vcc_lo, 0, v2
	s_mov_b32 s0, 0
	s_mov_b32 s35, -1
	s_wait_xcnt 0x0
	v_cndmask_b32_e64 v3, 0, 1, vcc_lo
	global_store_b8 v[0:1], v3, off
.LBB118_1177:
	s_mov_b32 s34, 0
.LBB118_1178:
	s_delay_alu instid0(SALU_CYCLE_1)
	s_and_b32 vcc_lo, exec_lo, s34
	s_cbranch_vccz .LBB118_1217
; %bb.1179:
	s_and_b32 s33, 0xffff, s33
	s_mov_b32 s34, -1
	s_cmp_lt_i32 s33, 5
	s_cbranch_scc1 .LBB118_1200
; %bb.1180:
	s_cmp_lt_i32 s33, 8
	s_cbranch_scc1 .LBB118_1190
; %bb.1181:
	;; [unrolled: 3-line block ×3, first 2 shown]
	s_cmp_gt_i32 s33, 9
	s_cbranch_scc0 .LBB118_1184
; %bb.1183:
	v_cvt_f64_f32_e32 v[8:9], v2
	v_mov_b32_e32 v10, 0
	s_mov_b32 s34, 0
	s_delay_alu instid0(VALU_DEP_1)
	v_mov_b32_e32 v11, v10
	global_store_b128 v[0:1], v[8:11], off
.LBB118_1184:
	s_and_not1_b32 vcc_lo, exec_lo, s34
	s_cbranch_vccnz .LBB118_1186
; %bb.1185:
	s_wait_xcnt 0x0
	v_mov_b32_e32 v3, 0
	global_store_b64 v[0:1], v[2:3], off
.LBB118_1186:
	s_mov_b32 s34, 0
.LBB118_1187:
	s_delay_alu instid0(SALU_CYCLE_1)
	s_and_not1_b32 vcc_lo, exec_lo, s34
	s_cbranch_vccnz .LBB118_1189
; %bb.1188:
	s_wait_xcnt 0x0
	v_cvt_f16_f32_e32 v3, v2
	s_delay_alu instid0(VALU_DEP_1)
	v_and_b32_e32 v3, 0xffff, v3
	global_store_b32 v[0:1], v3, off
.LBB118_1189:
	s_mov_b32 s34, 0
.LBB118_1190:
	s_delay_alu instid0(SALU_CYCLE_1)
	s_and_not1_b32 vcc_lo, exec_lo, s34
	s_cbranch_vccnz .LBB118_1199
; %bb.1191:
	s_cmp_lt_i32 s33, 6
	s_mov_b32 s34, -1
	s_cbranch_scc1 .LBB118_1197
; %bb.1192:
	s_cmp_gt_i32 s33, 6
	s_cbranch_scc0 .LBB118_1194
; %bb.1193:
	s_wait_xcnt 0x0
	v_cvt_f64_f32_e32 v[4:5], v2
	s_mov_b32 s34, 0
	global_store_b64 v[0:1], v[4:5], off
.LBB118_1194:
	s_and_not1_b32 vcc_lo, exec_lo, s34
	s_cbranch_vccnz .LBB118_1196
; %bb.1195:
	global_store_b32 v[0:1], v2, off
.LBB118_1196:
	s_mov_b32 s34, 0
.LBB118_1197:
	s_delay_alu instid0(SALU_CYCLE_1)
	s_and_not1_b32 vcc_lo, exec_lo, s34
	s_cbranch_vccnz .LBB118_1199
; %bb.1198:
	s_wait_xcnt 0x0
	v_cvt_f16_f32_e32 v3, v2
	global_store_b16 v[0:1], v3, off
.LBB118_1199:
	s_mov_b32 s34, 0
.LBB118_1200:
	s_delay_alu instid0(SALU_CYCLE_1)
	s_and_not1_b32 vcc_lo, exec_lo, s34
	s_cbranch_vccnz .LBB118_1216
; %bb.1201:
	s_cmp_lt_i32 s33, 2
	s_mov_b32 s34, -1
	s_cbranch_scc1 .LBB118_1211
; %bb.1202:
	s_cmp_lt_i32 s33, 3
	s_cbranch_scc1 .LBB118_1208
; %bb.1203:
	s_cmp_gt_i32 s33, 3
	s_cbranch_scc0 .LBB118_1205
; %bb.1204:
	s_wait_xcnt 0x0
	v_trunc_f32_e32 v3, v2
	s_mov_b32 s34, 0
	s_delay_alu instid0(VALU_DEP_1) | instskip(NEXT) | instid1(VALU_DEP_1)
	v_mul_f32_e64 v4, 0x2f800000, |v3|
	v_floor_f32_e32 v5, v4
	v_ashrrev_i32_e32 v4, 31, v3
	s_delay_alu instid0(VALU_DEP_2) | instskip(SKIP_1) | instid1(VALU_DEP_3)
	v_fma_f32 v7, 0xcf800000, v5, |v3|
	v_cvt_u32_f32_e32 v3, v5
	v_mov_b32_e32 v5, v4
	s_delay_alu instid0(VALU_DEP_3) | instskip(NEXT) | instid1(VALU_DEP_3)
	v_cvt_u32_f32_e32 v7, v7
	v_xor_b32_e32 v9, v3, v4
	s_delay_alu instid0(VALU_DEP_2) | instskip(NEXT) | instid1(VALU_DEP_1)
	v_xor_b32_e32 v8, v7, v4
	v_sub_nc_u64_e32 v[4:5], v[8:9], v[4:5]
	global_store_b64 v[0:1], v[4:5], off
.LBB118_1205:
	s_and_not1_b32 vcc_lo, exec_lo, s34
	s_cbranch_vccnz .LBB118_1207
; %bb.1206:
	s_wait_xcnt 0x0
	v_cvt_i32_f32_e32 v3, v2
	global_store_b32 v[0:1], v3, off
.LBB118_1207:
	s_mov_b32 s34, 0
.LBB118_1208:
	s_delay_alu instid0(SALU_CYCLE_1)
	s_and_not1_b32 vcc_lo, exec_lo, s34
	s_cbranch_vccnz .LBB118_1210
; %bb.1209:
	s_wait_xcnt 0x0
	v_cvt_i32_f32_e32 v3, v2
	global_store_b16 v[0:1], v3, off
.LBB118_1210:
	s_mov_b32 s34, 0
.LBB118_1211:
	s_delay_alu instid0(SALU_CYCLE_1)
	s_and_not1_b32 vcc_lo, exec_lo, s34
	s_cbranch_vccnz .LBB118_1216
; %bb.1212:
	s_cmp_gt_i32 s33, 0
	s_mov_b32 s33, -1
	s_cbranch_scc0 .LBB118_1214
; %bb.1213:
	s_wait_xcnt 0x0
	v_cvt_i32_f32_e32 v3, v2
	s_mov_b32 s33, 0
	global_store_b8 v[0:1], v3, off
.LBB118_1214:
	s_and_not1_b32 vcc_lo, exec_lo, s33
	s_cbranch_vccnz .LBB118_1216
; %bb.1215:
	s_wait_xcnt 0x0
	v_trunc_f32_e32 v2, v2
	s_delay_alu instid0(VALU_DEP_1) | instskip(NEXT) | instid1(VALU_DEP_1)
	v_mul_f32_e64 v3, 0x2f800000, |v2|
	v_floor_f32_e32 v3, v3
	s_delay_alu instid0(VALU_DEP_1) | instskip(SKIP_1) | instid1(VALU_DEP_2)
	v_fma_f32 v3, 0xcf800000, v3, |v2|
	v_ashrrev_i32_e32 v2, 31, v2
	v_cvt_u32_f32_e32 v3, v3
	s_delay_alu instid0(VALU_DEP_1) | instskip(NEXT) | instid1(VALU_DEP_1)
	v_xor_b32_e32 v3, v3, v2
	v_sub_nc_u32_e32 v2, v3, v2
	global_store_b8 v[0:1], v2, off
.LBB118_1216:
	s_mov_b32 s35, -1
.LBB118_1217:
	s_delay_alu instid0(SALU_CYCLE_1)
	s_and_not1_b32 vcc_lo, exec_lo, s35
	s_cbranch_vccnz .LBB118_1228
; %bb.1218:
	v_add_nc_u32_e32 v6, 0x80, v6
	s_mov_b32 s34, -1
.LBB118_1219:
	s_and_not1_b32 s33, s24, exec_lo
	s_and_b32 s0, s0, exec_lo
	s_and_not1_b32 s35, s25, exec_lo
	s_and_b32 s31, s31, exec_lo
	s_or_b32 s33, s33, s0
	s_or_b32 s31, s35, s31
	s_and_not1_b32 s0, s26, exec_lo
	s_and_b32 s29, s29, exec_lo
	s_and_not1_b32 s35, s23, exec_lo
	s_and_b32 s30, s30, exec_lo
	s_or_b32 s29, s0, s29
	s_or_b32 s0, s35, s30
	s_or_not1_b32 s30, s34, exec_lo
.LBB118_1220:
	s_wait_xcnt 0x0
	s_or_b32 exec_lo, exec_lo, s28
	s_mov_b32 s34, 0
	s_and_saveexec_b32 s28, s30
	s_cbranch_execz .LBB118_1243
; %bb.1221:
	v_cmp_gt_i32_e32 vcc_lo, s18, v6
	s_mov_b32 s30, 0
	s_mov_b32 s34, s0
	s_and_saveexec_b32 s18, vcc_lo
	s_cbranch_execz .LBB118_1242
; %bb.1222:
	s_and_b32 s35, s15, 0xff
	s_delay_alu instid0(SALU_CYCLE_1)
	s_cmp_lt_i32 s35, 23
	s_cbranch_scc1 .LBB118_1226
; %bb.1223:
	s_and_b32 s36, 0xffff, s35
	s_delay_alu instid0(SALU_CYCLE_1)
	s_cmp_gt_i32 s36, 43
	s_cbranch_scc0 .LBB118_1227
; %bb.1224:
	s_cmp_gt_i32 s36, 45
	s_cbranch_scc0 .LBB118_1229
; %bb.1225:
	s_cmp_lg_u32 s36, 46
	s_mov_b32 s37, 0
	s_cselect_b32 s30, -1, 0
	s_and_not1_b32 s34, s0, exec_lo
	s_and_b32 s38, s30, exec_lo
	s_mov_b32 s30, -1
	s_or_b32 s34, s34, s38
	s_branch .LBB118_1230
.LBB118_1226:
	s_mov_b32 s36, -1
	s_mov_b32 s34, s0
	s_branch .LBB118_1236
.LBB118_1227:
	s_mov_b32 s37, -1
	s_mov_b32 s34, s0
	s_branch .LBB118_1233
.LBB118_1228:
	s_mov_b32 s34, 0
	s_branch .LBB118_840
.LBB118_1229:
	s_mov_b32 s37, -1
	s_mov_b32 s34, s0
.LBB118_1230:
	s_and_not1_b32 vcc_lo, exec_lo, s37
	s_cbranch_vccnz .LBB118_1232
; %bb.1231:
	s_cmp_eq_u32 s36, 44
	s_cselect_b32 s30, -1, 0
	s_cmp_lg_u32 s36, 44
	s_cselect_b32 s37, -1, 0
	s_and_not1_b32 s34, s34, exec_lo
	s_and_b32 s37, s37, exec_lo
	s_delay_alu instid0(SALU_CYCLE_1)
	s_or_b32 s34, s34, s37
.LBB118_1232:
	s_mov_b32 s37, 0
.LBB118_1233:
	s_delay_alu instid0(SALU_CYCLE_1)
	s_and_b32 vcc_lo, exec_lo, s37
	s_cbranch_vccz .LBB118_1235
; %bb.1234:
	s_cmp_lt_i32 s36, 30
	s_cselect_b32 s30, -1, 0
	s_cmp_gt_i32 s36, 29
	s_cselect_b32 s36, -1, 0
	s_and_not1_b32 s34, s34, exec_lo
	s_and_b32 s36, s36, exec_lo
	s_delay_alu instid0(SALU_CYCLE_1)
	s_or_b32 s34, s34, s36
.LBB118_1235:
	s_mov_b32 s36, 0
.LBB118_1236:
	s_delay_alu instid0(SALU_CYCLE_1)
	s_and_b32 vcc_lo, exec_lo, s36
	s_cbranch_vccz .LBB118_1241
; %bb.1237:
	s_and_b32 s35, 0xffff, s35
	s_mov_b32 s36, -1
	s_cmp_gt_i32 s35, 14
	s_cbranch_scc0 .LBB118_1239
; %bb.1238:
	s_cmp_eq_u32 s35, 15
	s_cselect_b32 s30, -1, 0
	s_cmp_lg_u32 s35, 15
	s_cselect_b32 s36, -1, 0
	s_and_not1_b32 s34, s34, exec_lo
	s_and_b32 s37, s36, exec_lo
	s_mov_b32 s36, 0
	s_or_b32 s34, s34, s37
.LBB118_1239:
	s_and_not1_b32 vcc_lo, exec_lo, s36
	s_cbranch_vccnz .LBB118_1241
; %bb.1240:
	s_cmp_lt_i32 s35, 12
	s_cselect_b32 s30, -1, 0
	s_cmp_gt_i32 s35, 11
	s_cselect_b32 s35, -1, 0
	s_and_not1_b32 s34, s34, exec_lo
	s_and_b32 s35, s35, exec_lo
	s_delay_alu instid0(SALU_CYCLE_1)
	s_or_b32 s34, s34, s35
.LBB118_1241:
	s_and_not1_b32 s35, s0, exec_lo
	s_and_b32 s34, s34, exec_lo
	s_and_b32 s30, s30, exec_lo
	s_or_b32 s34, s35, s34
.LBB118_1242:
	s_or_b32 exec_lo, exec_lo, s18
	s_delay_alu instid0(SALU_CYCLE_1)
	s_and_not1_b32 s0, s0, exec_lo
	s_and_b32 s18, s34, exec_lo
	s_and_b32 s34, s30, exec_lo
	s_or_b32 s0, s0, s18
.LBB118_1243:
	s_or_b32 exec_lo, exec_lo, s28
	s_delay_alu instid0(SALU_CYCLE_1)
	s_and_not1_b32 s18, s24, exec_lo
	s_and_b32 s24, s33, exec_lo
	s_and_not1_b32 s26, s26, exec_lo
	s_or_b32 s24, s18, s24
	s_and_not1_b32 s18, s25, exec_lo
	s_and_b32 s25, s31, exec_lo
	s_and_b32 s28, s29, exec_lo
	s_or_b32 s25, s18, s25
	s_and_not1_b32 s18, s23, exec_lo
	s_and_b32 s23, s0, exec_lo
	s_or_b32 s26, s26, s28
	s_and_b32 s0, s34, exec_lo
	s_or_b32 s23, s18, s23
.LBB118_1244:
	s_or_b32 exec_lo, exec_lo, s27
	s_delay_alu instid0(SALU_CYCLE_1)
	s_and_not1_b32 s17, s17, exec_lo
	s_and_b32 s18, s24, exec_lo
	s_and_not1_b32 s20, s20, exec_lo
	s_or_b32 s17, s17, s18
	s_and_not1_b32 s18, s19, exec_lo
	s_and_b32 s19, s25, exec_lo
	s_and_b32 s24, s26, exec_lo
	s_or_b32 s19, s18, s19
	s_and_not1_b32 s18, s21, exec_lo
	s_and_b32 s21, s23, exec_lo
	s_or_b32 s20, s20, s24
	s_and_b32 s23, s0, exec_lo
	s_or_b32 s21, s18, s21
.LBB118_1245:
	s_or_b32 exec_lo, exec_lo, s22
	s_mov_b32 s24, 0
	s_mov_b32 s18, 0
	s_and_saveexec_b32 s0, s21
	s_cbranch_execnz .LBB118_1260
.LBB118_1246:
	s_or_b32 exec_lo, exec_lo, s0
	s_mov_b32 s25, 0
	s_mov_b32 s22, 0
                                        ; implicit-def: $sgpr0
                                        ; implicit-def: $vgpr0_vgpr1
                                        ; implicit-def: $vgpr3
	s_and_saveexec_b32 s21, s23
	s_cbranch_execz .LBB118_1254
; %bb.1247:
	v_mul_lo_u32 v0, v6, s4
	s_and_b32 s0, s13, 0xff
	s_delay_alu instid0(SALU_CYCLE_1) | instskip(NEXT) | instid1(VALU_DEP_1)
	s_cmp_lt_i32 s0, 11
	v_ashrrev_i32_e32 v1, 31, v0
	s_delay_alu instid0(VALU_DEP_1)
	v_add_nc_u64_e32 v[0:1], s[8:9], v[0:1]
	s_cbranch_scc1 .LBB118_1257
; %bb.1248:
	s_and_b32 s22, 0xffff, s0
	s_delay_alu instid0(SALU_CYCLE_1)
	s_cmp_gt_i32 s22, 25
	s_cbranch_scc0 .LBB118_1258
; %bb.1249:
	s_cmp_gt_i32 s22, 28
	s_cbranch_scc0 .LBB118_1259
; %bb.1250:
	;; [unrolled: 3-line block ×4, first 2 shown]
	s_cmp_eq_u32 s22, 46
	s_mov_b32 s26, 0
	s_cbranch_scc0 .LBB118_1263
; %bb.1253:
	s_wait_loadcnt 0x0
	global_load_b32 v2, v[0:1], off
	s_mov_b32 s23, 0
	s_mov_b32 s25, -1
	s_wait_loadcnt 0x0
	v_lshlrev_b32_e32 v3, 16, v2
	s_branch .LBB118_1265
.LBB118_1254:
	s_or_b32 exec_lo, exec_lo, s21
	s_and_saveexec_b32 s21, s20
	s_cbranch_execnz .LBB118_1328
.LBB118_1255:
	s_or_b32 exec_lo, exec_lo, s21
	s_and_saveexec_b32 s20, s24
	s_delay_alu instid0(SALU_CYCLE_1)
	s_xor_b32 s20, exec_lo, s20
	s_cbranch_execz .LBB118_1329
.LBB118_1256:
	s_wait_loadcnt 0x0
	global_load_u8 v2, v[0:1], off
	s_or_b32 s22, s22, exec_lo
	s_wait_loadcnt 0x0
	v_cmp_ne_u16_e32 vcc_lo, 0, v2
	v_cndmask_b32_e64 v3, 0, 1.0, vcc_lo
	s_wait_xcnt 0x0
	s_or_b32 exec_lo, exec_lo, s20
	s_and_saveexec_b32 s20, s25
	s_cbranch_execz .LBB118_1375
	s_branch .LBB118_1330
.LBB118_1257:
	s_mov_b32 s26, -1
	s_mov_b32 s23, s20
                                        ; implicit-def: $vgpr3
	s_branch .LBB118_1327
.LBB118_1258:
	s_mov_b32 s23, s20
                                        ; implicit-def: $vgpr3
	s_cbranch_execnz .LBB118_1294
	s_branch .LBB118_1326
.LBB118_1259:
	s_mov_b32 s26, -1
	s_mov_b32 s23, s20
                                        ; implicit-def: $vgpr3
	s_branch .LBB118_1275
.LBB118_1260:
	s_mov_b32 s18, exec_lo
	s_and_not1_b32 s23, s23, exec_lo
	s_trap 2
	s_branch .LBB118_1246
.LBB118_1261:
	s_mov_b32 s26, -1
	s_mov_b32 s23, s20
                                        ; implicit-def: $vgpr3
	s_branch .LBB118_1270
.LBB118_1262:
	s_mov_b32 s26, -1
	s_mov_b32 s23, s20
	s_branch .LBB118_1264
.LBB118_1263:
	s_mov_b32 s23, -1
.LBB118_1264:
                                        ; implicit-def: $vgpr3
.LBB118_1265:
	s_and_b32 vcc_lo, exec_lo, s26
	s_cbranch_vccz .LBB118_1269
; %bb.1266:
	s_cmp_eq_u32 s22, 44
	s_cbranch_scc0 .LBB118_1268
; %bb.1267:
	s_wait_loadcnt 0x0
	global_load_u8 v2, v[0:1], off
	s_mov_b32 s23, 0
	s_mov_b32 s25, -1
	s_wait_loadcnt 0x0
	v_lshlrev_b32_e32 v3, 23, v2
	v_cmp_ne_u32_e32 vcc_lo, 0xff, v2
	s_delay_alu instid0(VALU_DEP_2) | instskip(SKIP_1) | instid1(VALU_DEP_2)
	v_cndmask_b32_e32 v3, 0x7f800001, v3, vcc_lo
	v_cmp_ne_u32_e32 vcc_lo, 0, v2
	v_cndmask_b32_e32 v3, 0x400000, v3, vcc_lo
	s_branch .LBB118_1269
.LBB118_1268:
	s_mov_b32 s23, -1
                                        ; implicit-def: $vgpr3
.LBB118_1269:
	s_mov_b32 s26, 0
.LBB118_1270:
	s_delay_alu instid0(SALU_CYCLE_1)
	s_and_b32 vcc_lo, exec_lo, s26
	s_cbranch_vccz .LBB118_1274
; %bb.1271:
	s_cmp_eq_u32 s22, 29
	s_cbranch_scc0 .LBB118_1273
; %bb.1272:
	s_wait_loadcnt 0x0
	global_load_b64 v[2:3], v[0:1], off
	s_mov_b32 s23, 0
	s_mov_b32 s25, -1
	s_mov_b32 s26, 0
	s_wait_loadcnt 0x0
	v_clz_i32_u32_e32 v4, v3
	s_delay_alu instid0(VALU_DEP_1) | instskip(NEXT) | instid1(VALU_DEP_1)
	v_min_u32_e32 v4, 32, v4
	v_lshlrev_b64_e32 v[2:3], v4, v[2:3]
	s_delay_alu instid0(VALU_DEP_1) | instskip(NEXT) | instid1(VALU_DEP_1)
	v_min_u32_e32 v2, 1, v2
	v_dual_sub_nc_u32 v3, 32, v4 :: v_dual_bitop2_b32 v2, v3, v2 bitop3:0x54
	s_delay_alu instid0(VALU_DEP_1) | instskip(NEXT) | instid1(VALU_DEP_1)
	v_cvt_f32_u32_e32 v2, v2
	v_ldexp_f32 v3, v2, v3
	s_branch .LBB118_1275
.LBB118_1273:
	s_mov_b32 s23, -1
                                        ; implicit-def: $vgpr3
.LBB118_1274:
	s_mov_b32 s26, 0
.LBB118_1275:
	s_delay_alu instid0(SALU_CYCLE_1)
	s_and_b32 vcc_lo, exec_lo, s26
	s_cbranch_vccz .LBB118_1293
; %bb.1276:
	s_cmp_lt_i32 s22, 27
	s_cbranch_scc1 .LBB118_1279
; %bb.1277:
	s_cmp_gt_i32 s22, 27
	s_cbranch_scc0 .LBB118_1280
; %bb.1278:
	s_wait_loadcnt 0x0
	global_load_b32 v2, v[0:1], off
	s_mov_b32 s25, 0
	s_wait_loadcnt 0x0
	v_cvt_f32_u32_e32 v3, v2
	s_branch .LBB118_1281
.LBB118_1279:
	s_mov_b32 s25, -1
                                        ; implicit-def: $vgpr3
	s_branch .LBB118_1284
.LBB118_1280:
	s_mov_b32 s25, -1
                                        ; implicit-def: $vgpr3
.LBB118_1281:
	s_delay_alu instid0(SALU_CYCLE_1)
	s_and_not1_b32 vcc_lo, exec_lo, s25
	s_cbranch_vccnz .LBB118_1283
; %bb.1282:
	s_wait_loadcnt 0x0
	global_load_u16 v2, v[0:1], off
	s_wait_loadcnt 0x0
	v_cvt_f32_u32_e32 v3, v2
.LBB118_1283:
	s_mov_b32 s25, 0
.LBB118_1284:
	s_delay_alu instid0(SALU_CYCLE_1)
	s_and_not1_b32 vcc_lo, exec_lo, s25
	s_cbranch_vccnz .LBB118_1292
; %bb.1285:
	s_wait_loadcnt 0x0
	global_load_u8 v2, v[0:1], off
	s_mov_b32 s25, 0
	s_mov_b32 s26, exec_lo
	s_wait_loadcnt 0x0
	v_cmpx_lt_i16_e32 0x7f, v2
	s_xor_b32 s26, exec_lo, s26
	s_cbranch_execz .LBB118_1305
; %bb.1286:
	s_mov_b32 s25, -1
	s_mov_b32 s27, exec_lo
	v_cmpx_eq_u16_e32 0x80, v2
; %bb.1287:
	s_xor_b32 s25, exec_lo, -1
; %bb.1288:
	s_or_b32 exec_lo, exec_lo, s27
	s_delay_alu instid0(SALU_CYCLE_1)
	s_and_b32 s25, s25, exec_lo
	s_or_saveexec_b32 s26, s26
	v_mov_b32_e32 v3, 0x7f800001
	s_xor_b32 exec_lo, exec_lo, s26
	s_cbranch_execnz .LBB118_1306
.LBB118_1289:
	s_or_b32 exec_lo, exec_lo, s26
	s_and_saveexec_b32 s26, s25
	s_cbranch_execz .LBB118_1291
.LBB118_1290:
	v_and_b32_e32 v3, 0xffff, v2
	s_delay_alu instid0(VALU_DEP_1) | instskip(SKIP_1) | instid1(VALU_DEP_2)
	v_and_b32_e32 v4, 7, v3
	v_bfe_u32 v8, v3, 3, 4
	v_clz_i32_u32_e32 v5, v4
	s_delay_alu instid0(VALU_DEP_2) | instskip(NEXT) | instid1(VALU_DEP_2)
	v_cmp_eq_u32_e32 vcc_lo, 0, v8
	v_min_u32_e32 v5, 32, v5
	s_delay_alu instid0(VALU_DEP_1) | instskip(NEXT) | instid1(VALU_DEP_1)
	v_subrev_nc_u32_e32 v7, 28, v5
	v_dual_lshlrev_b32 v3, v7, v3 :: v_dual_sub_nc_u32 v5, 29, v5
	s_delay_alu instid0(VALU_DEP_1) | instskip(NEXT) | instid1(VALU_DEP_2)
	v_dual_lshlrev_b32 v2, 24, v2 :: v_dual_bitop2_b32 v3, 7, v3 bitop3:0x40
	v_cndmask_b32_e32 v5, v8, v5, vcc_lo
	s_delay_alu instid0(VALU_DEP_2) | instskip(NEXT) | instid1(VALU_DEP_3)
	v_cndmask_b32_e32 v3, v4, v3, vcc_lo
	v_and_b32_e32 v2, 0x80000000, v2
	s_delay_alu instid0(VALU_DEP_3) | instskip(NEXT) | instid1(VALU_DEP_3)
	v_lshl_add_u32 v4, v5, 23, 0x3b800000
	v_lshlrev_b32_e32 v3, 20, v3
	s_delay_alu instid0(VALU_DEP_1)
	v_or3_b32 v3, v2, v4, v3
.LBB118_1291:
	s_or_b32 exec_lo, exec_lo, s26
.LBB118_1292:
	s_mov_b32 s25, -1
.LBB118_1293:
	s_branch .LBB118_1326
.LBB118_1294:
	s_cmp_gt_i32 s22, 22
	s_cbranch_scc0 .LBB118_1304
; %bb.1295:
	s_cmp_lt_i32 s22, 24
	s_cbranch_scc1 .LBB118_1307
; %bb.1296:
	s_cmp_gt_i32 s22, 24
	s_cbranch_scc0 .LBB118_1308
; %bb.1297:
	s_wait_loadcnt 0x0
	global_load_u8 v2, v[0:1], off
	s_mov_b32 s25, exec_lo
	s_wait_loadcnt 0x0
	v_cmpx_lt_i16_e32 0x7f, v2
	s_xor_b32 s25, exec_lo, s25
	s_cbranch_execz .LBB118_1320
; %bb.1298:
	s_mov_b32 s24, -1
	s_mov_b32 s26, exec_lo
	v_cmpx_eq_u16_e32 0x80, v2
; %bb.1299:
	s_xor_b32 s24, exec_lo, -1
; %bb.1300:
	s_or_b32 exec_lo, exec_lo, s26
	s_delay_alu instid0(SALU_CYCLE_1)
	s_and_b32 s24, s24, exec_lo
	s_or_saveexec_b32 s25, s25
	v_mov_b32_e32 v3, 0x7f800001
	s_xor_b32 exec_lo, exec_lo, s25
	s_cbranch_execnz .LBB118_1321
.LBB118_1301:
	s_or_b32 exec_lo, exec_lo, s25
	s_and_saveexec_b32 s25, s24
	s_cbranch_execz .LBB118_1303
.LBB118_1302:
	v_and_b32_e32 v3, 0xffff, v2
	s_delay_alu instid0(VALU_DEP_1) | instskip(SKIP_1) | instid1(VALU_DEP_2)
	v_and_b32_e32 v4, 3, v3
	v_bfe_u32 v8, v3, 2, 5
	v_clz_i32_u32_e32 v5, v4
	s_delay_alu instid0(VALU_DEP_2) | instskip(NEXT) | instid1(VALU_DEP_2)
	v_cmp_eq_u32_e32 vcc_lo, 0, v8
	v_min_u32_e32 v5, 32, v5
	s_delay_alu instid0(VALU_DEP_1) | instskip(NEXT) | instid1(VALU_DEP_1)
	v_subrev_nc_u32_e32 v7, 29, v5
	v_dual_lshlrev_b32 v3, v7, v3 :: v_dual_sub_nc_u32 v5, 30, v5
	s_delay_alu instid0(VALU_DEP_1) | instskip(NEXT) | instid1(VALU_DEP_2)
	v_dual_lshlrev_b32 v2, 24, v2 :: v_dual_bitop2_b32 v3, 3, v3 bitop3:0x40
	v_cndmask_b32_e32 v5, v8, v5, vcc_lo
	s_delay_alu instid0(VALU_DEP_2) | instskip(NEXT) | instid1(VALU_DEP_3)
	v_cndmask_b32_e32 v3, v4, v3, vcc_lo
	v_and_b32_e32 v2, 0x80000000, v2
	s_delay_alu instid0(VALU_DEP_3) | instskip(NEXT) | instid1(VALU_DEP_3)
	v_lshl_add_u32 v4, v5, 23, 0x37800000
	v_lshlrev_b32_e32 v3, 21, v3
	s_delay_alu instid0(VALU_DEP_1)
	v_or3_b32 v3, v2, v4, v3
.LBB118_1303:
	s_or_b32 exec_lo, exec_lo, s25
	s_mov_b32 s24, 0
	s_branch .LBB118_1309
.LBB118_1304:
	s_mov_b32 s24, -1
                                        ; implicit-def: $vgpr3
	s_branch .LBB118_1315
.LBB118_1305:
	s_or_saveexec_b32 s26, s26
	v_mov_b32_e32 v3, 0x7f800001
	s_xor_b32 exec_lo, exec_lo, s26
	s_cbranch_execz .LBB118_1289
.LBB118_1306:
	v_cmp_ne_u16_e32 vcc_lo, 0, v2
	v_mov_b32_e32 v3, 0
	s_and_not1_b32 s25, s25, exec_lo
	s_and_b32 s27, vcc_lo, exec_lo
	s_delay_alu instid0(SALU_CYCLE_1)
	s_or_b32 s25, s25, s27
	s_or_b32 exec_lo, exec_lo, s26
	s_and_saveexec_b32 s26, s25
	s_cbranch_execnz .LBB118_1290
	s_branch .LBB118_1291
.LBB118_1307:
	s_mov_b32 s24, -1
                                        ; implicit-def: $vgpr3
	s_branch .LBB118_1312
.LBB118_1308:
	s_mov_b32 s24, -1
                                        ; implicit-def: $vgpr3
.LBB118_1309:
	s_delay_alu instid0(SALU_CYCLE_1)
	s_and_b32 vcc_lo, exec_lo, s24
	s_cbranch_vccz .LBB118_1311
; %bb.1310:
	s_wait_loadcnt 0x0
	global_load_u8 v2, v[0:1], off
	s_wait_loadcnt 0x0
	v_lshlrev_b32_e32 v2, 24, v2
	s_delay_alu instid0(VALU_DEP_1) | instskip(NEXT) | instid1(VALU_DEP_1)
	v_and_b32_e32 v3, 0x7f000000, v2
	v_clz_i32_u32_e32 v4, v3
	v_add_nc_u32_e32 v7, 0x1000000, v3
	v_cmp_ne_u32_e32 vcc_lo, 0, v3
	s_delay_alu instid0(VALU_DEP_3) | instskip(NEXT) | instid1(VALU_DEP_1)
	v_min_u32_e32 v4, 32, v4
	v_sub_nc_u32_e64 v4, v4, 4 clamp
	s_delay_alu instid0(VALU_DEP_1) | instskip(NEXT) | instid1(VALU_DEP_1)
	v_dual_lshlrev_b32 v5, v4, v3 :: v_dual_lshlrev_b32 v4, 23, v4
	v_lshrrev_b32_e32 v5, 4, v5
	s_delay_alu instid0(VALU_DEP_1) | instskip(NEXT) | instid1(VALU_DEP_1)
	v_dual_sub_nc_u32 v4, v5, v4 :: v_dual_ashrrev_i32 v5, 8, v7
	v_add_nc_u32_e32 v4, 0x3c000000, v4
	s_delay_alu instid0(VALU_DEP_1) | instskip(NEXT) | instid1(VALU_DEP_1)
	v_and_or_b32 v4, 0x7f800000, v5, v4
	v_cndmask_b32_e32 v3, 0, v4, vcc_lo
	s_delay_alu instid0(VALU_DEP_1)
	v_and_or_b32 v3, 0x80000000, v2, v3
.LBB118_1311:
	s_mov_b32 s24, 0
.LBB118_1312:
	s_delay_alu instid0(SALU_CYCLE_1)
	s_and_not1_b32 vcc_lo, exec_lo, s24
	s_cbranch_vccnz .LBB118_1314
; %bb.1313:
	s_wait_loadcnt 0x0
	global_load_u8 v2, v[0:1], off
	s_wait_loadcnt 0x0
	v_lshlrev_b32_e32 v3, 25, v2
	v_lshlrev_b16 v2, 8, v2
	s_delay_alu instid0(VALU_DEP_1) | instskip(SKIP_1) | instid1(VALU_DEP_2)
	v_and_or_b32 v5, 0x7f00, v2, 0.5
	v_bfe_i32 v2, v2, 0, 16
	v_dual_add_f32 v5, -0.5, v5 :: v_dual_lshrrev_b32 v4, 4, v3
	v_cmp_gt_u32_e32 vcc_lo, 0x8000000, v3
	s_delay_alu instid0(VALU_DEP_2) | instskip(NEXT) | instid1(VALU_DEP_1)
	v_or_b32_e32 v4, 0x70000000, v4
	v_mul_f32_e32 v4, 0x7800000, v4
	s_delay_alu instid0(VALU_DEP_1) | instskip(NEXT) | instid1(VALU_DEP_1)
	v_cndmask_b32_e32 v3, v4, v5, vcc_lo
	v_and_or_b32 v3, 0x80000000, v2, v3
.LBB118_1314:
	s_mov_b32 s24, 0
	s_mov_b32 s25, -1
.LBB118_1315:
	s_and_not1_b32 vcc_lo, exec_lo, s24
	s_mov_b32 s24, 0
	s_cbranch_vccnz .LBB118_1326
; %bb.1316:
	s_cmp_gt_i32 s22, 14
	s_cbranch_scc0 .LBB118_1319
; %bb.1317:
	s_cmp_eq_u32 s22, 15
	s_cbranch_scc0 .LBB118_1322
; %bb.1318:
	s_wait_loadcnt 0x0
	global_load_u16 v2, v[0:1], off
	s_mov_b32 s23, 0
	s_mov_b32 s25, -1
	s_wait_loadcnt 0x0
	v_lshlrev_b32_e32 v3, 16, v2
	s_branch .LBB118_1324
.LBB118_1319:
	s_mov_b32 s24, -1
	s_branch .LBB118_1323
.LBB118_1320:
	s_or_saveexec_b32 s25, s25
	v_mov_b32_e32 v3, 0x7f800001
	s_xor_b32 exec_lo, exec_lo, s25
	s_cbranch_execz .LBB118_1301
.LBB118_1321:
	v_cmp_ne_u16_e32 vcc_lo, 0, v2
	v_mov_b32_e32 v3, 0
	s_and_not1_b32 s24, s24, exec_lo
	s_and_b32 s26, vcc_lo, exec_lo
	s_delay_alu instid0(SALU_CYCLE_1)
	s_or_b32 s24, s24, s26
	s_or_b32 exec_lo, exec_lo, s25
	s_and_saveexec_b32 s25, s24
	s_cbranch_execnz .LBB118_1302
	s_branch .LBB118_1303
.LBB118_1322:
	s_mov_b32 s23, -1
.LBB118_1323:
                                        ; implicit-def: $vgpr3
.LBB118_1324:
	s_and_b32 vcc_lo, exec_lo, s24
	s_mov_b32 s24, 0
	s_cbranch_vccz .LBB118_1326
; %bb.1325:
	s_cmp_lg_u32 s22, 11
	s_mov_b32 s24, -1
	s_cselect_b32 s22, -1, 0
	s_and_not1_b32 s23, s23, exec_lo
	s_and_b32 s22, s22, exec_lo
	s_delay_alu instid0(SALU_CYCLE_1)
	s_or_b32 s23, s23, s22
.LBB118_1326:
	s_mov_b32 s26, 0
.LBB118_1327:
	s_and_not1_b32 s20, s20, exec_lo
	s_and_b32 s23, s23, exec_lo
	s_and_b32 s22, s25, exec_lo
	;; [unrolled: 1-line block ×4, first 2 shown]
	s_or_b32 s20, s20, s23
	s_wait_xcnt 0x0
	s_or_b32 exec_lo, exec_lo, s21
	s_and_saveexec_b32 s21, s20
	s_cbranch_execz .LBB118_1255
.LBB118_1328:
	s_or_b32 s18, s18, exec_lo
	s_and_not1_b32 s24, s24, exec_lo
	s_trap 2
	s_or_b32 exec_lo, exec_lo, s21
	s_and_saveexec_b32 s20, s24
	s_delay_alu instid0(SALU_CYCLE_1)
	s_xor_b32 s20, exec_lo, s20
	s_cbranch_execnz .LBB118_1256
.LBB118_1329:
	s_or_b32 exec_lo, exec_lo, s20
	s_and_saveexec_b32 s20, s25
	s_cbranch_execz .LBB118_1375
.LBB118_1330:
	s_sext_i32_i16 s21, s0
	s_delay_alu instid0(SALU_CYCLE_1)
	s_cmp_lt_i32 s21, 5
	s_cbranch_scc1 .LBB118_1335
; %bb.1331:
	s_cmp_lt_i32 s21, 8
	s_cbranch_scc1 .LBB118_1336
; %bb.1332:
	;; [unrolled: 3-line block ×3, first 2 shown]
	s_cmp_gt_i32 s21, 9
	s_cbranch_scc0 .LBB118_1338
; %bb.1334:
	s_wait_loadcnt 0x0
	global_load_b64 v[2:3], v[0:1], off
	s_mov_b32 s21, 0
	s_wait_loadcnt 0x0
	v_cvt_f32_f64_e32 v3, v[2:3]
	s_branch .LBB118_1339
.LBB118_1335:
                                        ; implicit-def: $vgpr3
	s_branch .LBB118_1356
.LBB118_1336:
                                        ; implicit-def: $vgpr3
	s_branch .LBB118_1345
.LBB118_1337:
	s_mov_b32 s21, -1
                                        ; implicit-def: $vgpr3
	s_branch .LBB118_1342
.LBB118_1338:
	s_mov_b32 s21, -1
                                        ; implicit-def: $vgpr3
.LBB118_1339:
	s_delay_alu instid0(SALU_CYCLE_1)
	s_and_not1_b32 vcc_lo, exec_lo, s21
	s_cbranch_vccnz .LBB118_1341
; %bb.1340:
	s_wait_loadcnt 0x0
	global_load_b32 v3, v[0:1], off
.LBB118_1341:
	s_mov_b32 s21, 0
.LBB118_1342:
	s_delay_alu instid0(SALU_CYCLE_1)
	s_and_not1_b32 vcc_lo, exec_lo, s21
	s_cbranch_vccnz .LBB118_1344
; %bb.1343:
	s_wait_loadcnt 0x0
	global_load_b32 v2, v[0:1], off
	s_wait_loadcnt 0x0
	v_cvt_f32_f16_e32 v3, v2
.LBB118_1344:
	s_cbranch_execnz .LBB118_1355
.LBB118_1345:
	s_sext_i32_i16 s21, s0
	s_delay_alu instid0(SALU_CYCLE_1)
	s_cmp_lt_i32 s21, 6
	s_cbranch_scc1 .LBB118_1348
; %bb.1346:
	s_cmp_gt_i32 s21, 6
	s_cbranch_scc0 .LBB118_1349
; %bb.1347:
	s_wait_loadcnt 0x0
	global_load_b64 v[2:3], v[0:1], off
	s_mov_b32 s21, 0
	s_wait_loadcnt 0x0
	v_cvt_f32_f64_e32 v3, v[2:3]
	s_branch .LBB118_1350
.LBB118_1348:
	s_mov_b32 s21, -1
                                        ; implicit-def: $vgpr3
	s_branch .LBB118_1353
.LBB118_1349:
	s_mov_b32 s21, -1
                                        ; implicit-def: $vgpr3
.LBB118_1350:
	s_delay_alu instid0(SALU_CYCLE_1)
	s_and_not1_b32 vcc_lo, exec_lo, s21
	s_cbranch_vccnz .LBB118_1352
; %bb.1351:
	s_wait_loadcnt 0x0
	global_load_b32 v3, v[0:1], off
.LBB118_1352:
	s_mov_b32 s21, 0
.LBB118_1353:
	s_delay_alu instid0(SALU_CYCLE_1)
	s_and_not1_b32 vcc_lo, exec_lo, s21
	s_cbranch_vccnz .LBB118_1355
; %bb.1354:
	s_wait_loadcnt 0x0
	global_load_u16 v2, v[0:1], off
	s_wait_loadcnt 0x0
	v_cvt_f32_f16_e32 v3, v2
.LBB118_1355:
	s_cbranch_execnz .LBB118_1374
.LBB118_1356:
	s_sext_i32_i16 s21, s0
	s_delay_alu instid0(SALU_CYCLE_1)
	s_cmp_lt_i32 s21, 2
	s_cbranch_scc1 .LBB118_1360
; %bb.1357:
	s_cmp_lt_i32 s21, 3
	s_cbranch_scc1 .LBB118_1361
; %bb.1358:
	s_cmp_gt_i32 s21, 3
	s_cbranch_scc0 .LBB118_1362
; %bb.1359:
	s_wait_loadcnt 0x0
	global_load_b64 v[2:3], v[0:1], off
	s_mov_b32 s21, 0
	s_wait_loadcnt 0x0
	v_xor_b32_e32 v4, v2, v3
	v_cls_i32_e32 v5, v3
	s_delay_alu instid0(VALU_DEP_2) | instskip(NEXT) | instid1(VALU_DEP_1)
	v_ashrrev_i32_e32 v4, 31, v4
	v_add_nc_u32_e32 v4, 32, v4
	s_delay_alu instid0(VALU_DEP_1) | instskip(NEXT) | instid1(VALU_DEP_1)
	v_add_min_u32_e64 v4, v5, -1, v4
	v_lshlrev_b64_e32 v[2:3], v4, v[2:3]
	s_delay_alu instid0(VALU_DEP_1) | instskip(NEXT) | instid1(VALU_DEP_1)
	v_min_u32_e32 v2, 1, v2
	v_dual_sub_nc_u32 v3, 32, v4 :: v_dual_bitop2_b32 v2, v3, v2 bitop3:0x54
	s_delay_alu instid0(VALU_DEP_1) | instskip(NEXT) | instid1(VALU_DEP_1)
	v_cvt_f32_i32_e32 v2, v2
	v_ldexp_f32 v3, v2, v3
	s_branch .LBB118_1363
.LBB118_1360:
                                        ; implicit-def: $vgpr3
	s_branch .LBB118_1369
.LBB118_1361:
	s_mov_b32 s21, -1
                                        ; implicit-def: $vgpr3
	s_branch .LBB118_1366
.LBB118_1362:
	s_mov_b32 s21, -1
                                        ; implicit-def: $vgpr3
.LBB118_1363:
	s_delay_alu instid0(SALU_CYCLE_1)
	s_and_not1_b32 vcc_lo, exec_lo, s21
	s_cbranch_vccnz .LBB118_1365
; %bb.1364:
	s_wait_loadcnt 0x0
	global_load_b32 v2, v[0:1], off
	s_wait_loadcnt 0x0
	v_cvt_f32_i32_e32 v3, v2
.LBB118_1365:
	s_mov_b32 s21, 0
.LBB118_1366:
	s_delay_alu instid0(SALU_CYCLE_1)
	s_and_not1_b32 vcc_lo, exec_lo, s21
	s_cbranch_vccnz .LBB118_1368
; %bb.1367:
	s_wait_loadcnt 0x0
	global_load_i16 v2, v[0:1], off
	s_wait_loadcnt 0x0
	v_cvt_f32_i32_e32 v3, v2
.LBB118_1368:
	s_cbranch_execnz .LBB118_1374
.LBB118_1369:
	s_sext_i32_i16 s0, s0
	s_delay_alu instid0(SALU_CYCLE_1)
	s_cmp_gt_i32 s0, 0
	s_mov_b32 s0, 0
	s_cbranch_scc0 .LBB118_1371
; %bb.1370:
	s_wait_loadcnt 0x0
	global_load_i8 v2, v[0:1], off
	s_wait_loadcnt 0x0
	v_cvt_f32_i32_e32 v3, v2
	s_branch .LBB118_1372
.LBB118_1371:
	s_mov_b32 s0, -1
                                        ; implicit-def: $vgpr3
.LBB118_1372:
	s_delay_alu instid0(SALU_CYCLE_1)
	s_and_not1_b32 vcc_lo, exec_lo, s0
	s_cbranch_vccnz .LBB118_1374
; %bb.1373:
	global_load_u8 v0, v[0:1], off
	s_wait_loadcnt 0x0
	v_cvt_f32_ubyte0_e32 v3, v0
.LBB118_1374:
	s_or_b32 s22, s22, exec_lo
.LBB118_1375:
	s_wait_xcnt 0x0
	s_or_b32 exec_lo, exec_lo, s20
	s_mov_b32 s21, 0
	s_mov_b32 s20, 0
	;; [unrolled: 1-line block ×3, first 2 shown]
                                        ; implicit-def: $vgpr0_vgpr1
                                        ; implicit-def: $vgpr4
	s_and_saveexec_b32 s0, s22
	s_cbranch_execz .LBB118_1383
; %bb.1376:
	v_mul_lo_u32 v0, v6, s5
	s_and_b32 s20, 0xffff, s1
	s_delay_alu instid0(SALU_CYCLE_1) | instskip(NEXT) | instid1(VALU_DEP_1)
	s_cmp_lt_i32 s20, 11
	v_ashrrev_i32_e32 v1, 31, v0
	s_delay_alu instid0(VALU_DEP_1)
	v_add_nc_u64_e32 v[0:1], s[10:11], v[0:1]
	s_cbranch_scc1 .LBB118_1386
; %bb.1377:
	s_cmp_gt_i32 s20, 25
	s_mov_b32 s22, 0
	s_cbranch_scc0 .LBB118_1387
; %bb.1378:
	s_cmp_gt_i32 s20, 28
	s_cbranch_scc0 .LBB118_1388
; %bb.1379:
	s_cmp_gt_i32 s20, 43
	;; [unrolled: 3-line block ×3, first 2 shown]
	s_cbranch_scc0 .LBB118_1390
; %bb.1381:
	s_cmp_eq_u32 s20, 46
	s_mov_b32 s24, 0
	s_cbranch_scc0 .LBB118_1391
; %bb.1382:
	s_wait_loadcnt 0x0
	global_load_b32 v2, v[0:1], off
	s_mov_b32 s23, -1
	s_wait_loadcnt 0x0
	v_lshlrev_b32_e32 v4, 16, v2
	s_branch .LBB118_1393
.LBB118_1383:
	s_or_b32 exec_lo, exec_lo, s0
	s_and_saveexec_b32 s0, s19
	s_cbranch_execnz .LBB118_1456
.LBB118_1384:
	s_or_b32 exec_lo, exec_lo, s0
	s_and_saveexec_b32 s0, s21
	s_delay_alu instid0(SALU_CYCLE_1)
	s_xor_b32 s0, exec_lo, s0
	s_cbranch_execz .LBB118_1457
.LBB118_1385:
	s_wait_loadcnt 0x0
	global_load_u8 v2, v[0:1], off
	s_or_b32 s23, s23, exec_lo
	s_wait_loadcnt 0x0
	v_cmp_ne_u16_e32 vcc_lo, 0, v2
	v_cndmask_b32_e64 v4, 0, 1.0, vcc_lo
	s_wait_xcnt 0x0
	s_or_b32 exec_lo, exec_lo, s0
	s_and_saveexec_b32 s0, s20
	s_cbranch_execz .LBB118_1503
	s_branch .LBB118_1458
.LBB118_1386:
	s_mov_b32 s20, -1
	s_mov_b32 s22, 0
	s_mov_b32 s21, s19
                                        ; implicit-def: $vgpr4
	s_branch .LBB118_1455
.LBB118_1387:
	s_mov_b32 s21, s19
                                        ; implicit-def: $vgpr4
	s_cbranch_execnz .LBB118_1422
	s_branch .LBB118_1454
.LBB118_1388:
	s_mov_b32 s24, -1
	s_mov_b32 s21, s19
                                        ; implicit-def: $vgpr4
	s_branch .LBB118_1403
.LBB118_1389:
	s_mov_b32 s24, -1
	s_mov_b32 s21, s19
                                        ; implicit-def: $vgpr4
	s_branch .LBB118_1398
.LBB118_1390:
	s_mov_b32 s24, -1
	s_mov_b32 s21, s19
	s_branch .LBB118_1392
.LBB118_1391:
	s_mov_b32 s21, -1
.LBB118_1392:
                                        ; implicit-def: $vgpr4
.LBB118_1393:
	s_and_b32 vcc_lo, exec_lo, s24
	s_cbranch_vccz .LBB118_1397
; %bb.1394:
	s_cmp_eq_u32 s20, 44
	s_cbranch_scc0 .LBB118_1396
; %bb.1395:
	s_wait_loadcnt 0x0
	global_load_u8 v2, v[0:1], off
	s_mov_b32 s21, 0
	s_mov_b32 s23, -1
	s_wait_loadcnt 0x0
	v_lshlrev_b32_e32 v4, 23, v2
	v_cmp_ne_u32_e32 vcc_lo, 0xff, v2
	s_delay_alu instid0(VALU_DEP_2) | instskip(SKIP_1) | instid1(VALU_DEP_2)
	v_cndmask_b32_e32 v4, 0x7f800001, v4, vcc_lo
	v_cmp_ne_u32_e32 vcc_lo, 0, v2
	v_cndmask_b32_e32 v4, 0x400000, v4, vcc_lo
	s_branch .LBB118_1397
.LBB118_1396:
	s_mov_b32 s21, -1
                                        ; implicit-def: $vgpr4
.LBB118_1397:
	s_mov_b32 s24, 0
.LBB118_1398:
	s_delay_alu instid0(SALU_CYCLE_1)
	s_and_b32 vcc_lo, exec_lo, s24
	s_cbranch_vccz .LBB118_1402
; %bb.1399:
	s_cmp_eq_u32 s20, 29
	s_cbranch_scc0 .LBB118_1401
; %bb.1400:
	global_load_b64 v[4:5], v[0:1], off
	s_mov_b32 s21, 0
	s_mov_b32 s23, -1
	s_mov_b32 s24, 0
	s_wait_loadcnt 0x0
	v_clz_i32_u32_e32 v2, v5
	s_delay_alu instid0(VALU_DEP_1) | instskip(NEXT) | instid1(VALU_DEP_1)
	v_min_u32_e32 v2, 32, v2
	v_lshlrev_b64_e32 v[4:5], v2, v[4:5]
	v_sub_nc_u32_e32 v2, 32, v2
	s_delay_alu instid0(VALU_DEP_2) | instskip(NEXT) | instid1(VALU_DEP_1)
	v_min_u32_e32 v4, 1, v4
	v_or_b32_e32 v4, v5, v4
	s_delay_alu instid0(VALU_DEP_1) | instskip(NEXT) | instid1(VALU_DEP_1)
	v_cvt_f32_u32_e32 v4, v4
	v_ldexp_f32 v4, v4, v2
	s_branch .LBB118_1403
.LBB118_1401:
	s_mov_b32 s21, -1
                                        ; implicit-def: $vgpr4
.LBB118_1402:
	s_mov_b32 s24, 0
.LBB118_1403:
	s_delay_alu instid0(SALU_CYCLE_1)
	s_and_b32 vcc_lo, exec_lo, s24
	s_cbranch_vccz .LBB118_1421
; %bb.1404:
	s_cmp_lt_i32 s20, 27
	s_cbranch_scc1 .LBB118_1407
; %bb.1405:
	s_cmp_gt_i32 s20, 27
	s_cbranch_scc0 .LBB118_1408
; %bb.1406:
	s_wait_loadcnt 0x0
	global_load_b32 v2, v[0:1], off
	s_mov_b32 s23, 0
	s_wait_loadcnt 0x0
	v_cvt_f32_u32_e32 v4, v2
	s_branch .LBB118_1409
.LBB118_1407:
	s_mov_b32 s23, -1
                                        ; implicit-def: $vgpr4
	s_branch .LBB118_1412
.LBB118_1408:
	s_mov_b32 s23, -1
                                        ; implicit-def: $vgpr4
.LBB118_1409:
	s_delay_alu instid0(SALU_CYCLE_1)
	s_and_not1_b32 vcc_lo, exec_lo, s23
	s_cbranch_vccnz .LBB118_1411
; %bb.1410:
	s_wait_loadcnt 0x0
	global_load_u16 v2, v[0:1], off
	s_wait_loadcnt 0x0
	v_cvt_f32_u32_e32 v4, v2
.LBB118_1411:
	s_mov_b32 s23, 0
.LBB118_1412:
	s_delay_alu instid0(SALU_CYCLE_1)
	s_and_not1_b32 vcc_lo, exec_lo, s23
	s_cbranch_vccnz .LBB118_1420
; %bb.1413:
	s_wait_loadcnt 0x0
	global_load_u8 v2, v[0:1], off
	s_mov_b32 s23, 0
	s_mov_b32 s24, exec_lo
	s_wait_loadcnt 0x0
	v_cmpx_lt_i16_e32 0x7f, v2
	s_xor_b32 s24, exec_lo, s24
	s_cbranch_execz .LBB118_1433
; %bb.1414:
	s_mov_b32 s23, -1
	s_mov_b32 s25, exec_lo
	v_cmpx_eq_u16_e32 0x80, v2
; %bb.1415:
	s_xor_b32 s23, exec_lo, -1
; %bb.1416:
	s_or_b32 exec_lo, exec_lo, s25
	s_delay_alu instid0(SALU_CYCLE_1)
	s_and_b32 s23, s23, exec_lo
	s_or_saveexec_b32 s24, s24
	v_mov_b32_e32 v4, 0x7f800001
	s_xor_b32 exec_lo, exec_lo, s24
	s_cbranch_execnz .LBB118_1434
.LBB118_1417:
	s_or_b32 exec_lo, exec_lo, s24
	s_and_saveexec_b32 s24, s23
	s_cbranch_execz .LBB118_1419
.LBB118_1418:
	v_and_b32_e32 v4, 0xffff, v2
	s_delay_alu instid0(VALU_DEP_1) | instskip(SKIP_1) | instid1(VALU_DEP_2)
	v_and_b32_e32 v5, 7, v4
	v_bfe_u32 v9, v4, 3, 4
	v_clz_i32_u32_e32 v7, v5
	s_delay_alu instid0(VALU_DEP_2) | instskip(NEXT) | instid1(VALU_DEP_2)
	v_cmp_eq_u32_e32 vcc_lo, 0, v9
	v_min_u32_e32 v7, 32, v7
	s_delay_alu instid0(VALU_DEP_1) | instskip(NEXT) | instid1(VALU_DEP_1)
	v_subrev_nc_u32_e32 v8, 28, v7
	v_dual_lshlrev_b32 v4, v8, v4 :: v_dual_sub_nc_u32 v7, 29, v7
	s_delay_alu instid0(VALU_DEP_1) | instskip(NEXT) | instid1(VALU_DEP_2)
	v_dual_lshlrev_b32 v2, 24, v2 :: v_dual_bitop2_b32 v4, 7, v4 bitop3:0x40
	v_cndmask_b32_e32 v7, v9, v7, vcc_lo
	s_delay_alu instid0(VALU_DEP_2) | instskip(NEXT) | instid1(VALU_DEP_3)
	v_cndmask_b32_e32 v4, v5, v4, vcc_lo
	v_and_b32_e32 v2, 0x80000000, v2
	s_delay_alu instid0(VALU_DEP_3) | instskip(NEXT) | instid1(VALU_DEP_3)
	v_lshl_add_u32 v5, v7, 23, 0x3b800000
	v_lshlrev_b32_e32 v4, 20, v4
	s_delay_alu instid0(VALU_DEP_1)
	v_or3_b32 v4, v2, v5, v4
.LBB118_1419:
	s_or_b32 exec_lo, exec_lo, s24
.LBB118_1420:
	s_mov_b32 s23, -1
.LBB118_1421:
	s_branch .LBB118_1454
.LBB118_1422:
	s_cmp_gt_i32 s20, 22
	s_cbranch_scc0 .LBB118_1432
; %bb.1423:
	s_cmp_lt_i32 s20, 24
	s_cbranch_scc1 .LBB118_1435
; %bb.1424:
	s_cmp_gt_i32 s20, 24
	s_cbranch_scc0 .LBB118_1436
; %bb.1425:
	s_wait_loadcnt 0x0
	global_load_u8 v2, v[0:1], off
	s_mov_b32 s23, exec_lo
	s_wait_loadcnt 0x0
	v_cmpx_lt_i16_e32 0x7f, v2
	s_xor_b32 s23, exec_lo, s23
	s_cbranch_execz .LBB118_1448
; %bb.1426:
	s_mov_b32 s22, -1
	s_mov_b32 s24, exec_lo
	v_cmpx_eq_u16_e32 0x80, v2
; %bb.1427:
	s_xor_b32 s22, exec_lo, -1
; %bb.1428:
	s_or_b32 exec_lo, exec_lo, s24
	s_delay_alu instid0(SALU_CYCLE_1)
	s_and_b32 s22, s22, exec_lo
	s_or_saveexec_b32 s23, s23
	v_mov_b32_e32 v4, 0x7f800001
	s_xor_b32 exec_lo, exec_lo, s23
	s_cbranch_execnz .LBB118_1449
.LBB118_1429:
	s_or_b32 exec_lo, exec_lo, s23
	s_and_saveexec_b32 s23, s22
	s_cbranch_execz .LBB118_1431
.LBB118_1430:
	v_and_b32_e32 v4, 0xffff, v2
	s_delay_alu instid0(VALU_DEP_1) | instskip(SKIP_1) | instid1(VALU_DEP_2)
	v_and_b32_e32 v5, 3, v4
	v_bfe_u32 v9, v4, 2, 5
	v_clz_i32_u32_e32 v7, v5
	s_delay_alu instid0(VALU_DEP_2) | instskip(NEXT) | instid1(VALU_DEP_2)
	v_cmp_eq_u32_e32 vcc_lo, 0, v9
	v_min_u32_e32 v7, 32, v7
	s_delay_alu instid0(VALU_DEP_1) | instskip(NEXT) | instid1(VALU_DEP_1)
	v_subrev_nc_u32_e32 v8, 29, v7
	v_dual_lshlrev_b32 v4, v8, v4 :: v_dual_sub_nc_u32 v7, 30, v7
	s_delay_alu instid0(VALU_DEP_1) | instskip(NEXT) | instid1(VALU_DEP_2)
	v_dual_lshlrev_b32 v2, 24, v2 :: v_dual_bitop2_b32 v4, 3, v4 bitop3:0x40
	v_cndmask_b32_e32 v7, v9, v7, vcc_lo
	s_delay_alu instid0(VALU_DEP_2) | instskip(NEXT) | instid1(VALU_DEP_3)
	v_cndmask_b32_e32 v4, v5, v4, vcc_lo
	v_and_b32_e32 v2, 0x80000000, v2
	s_delay_alu instid0(VALU_DEP_3) | instskip(NEXT) | instid1(VALU_DEP_3)
	v_lshl_add_u32 v5, v7, 23, 0x37800000
	v_lshlrev_b32_e32 v4, 21, v4
	s_delay_alu instid0(VALU_DEP_1)
	v_or3_b32 v4, v2, v5, v4
.LBB118_1431:
	s_or_b32 exec_lo, exec_lo, s23
	s_mov_b32 s22, 0
	s_branch .LBB118_1437
.LBB118_1432:
	s_mov_b32 s22, -1
                                        ; implicit-def: $vgpr4
	s_branch .LBB118_1443
.LBB118_1433:
	s_or_saveexec_b32 s24, s24
	v_mov_b32_e32 v4, 0x7f800001
	s_xor_b32 exec_lo, exec_lo, s24
	s_cbranch_execz .LBB118_1417
.LBB118_1434:
	v_cmp_ne_u16_e32 vcc_lo, 0, v2
	v_mov_b32_e32 v4, 0
	s_and_not1_b32 s23, s23, exec_lo
	s_and_b32 s25, vcc_lo, exec_lo
	s_delay_alu instid0(SALU_CYCLE_1)
	s_or_b32 s23, s23, s25
	s_or_b32 exec_lo, exec_lo, s24
	s_and_saveexec_b32 s24, s23
	s_cbranch_execnz .LBB118_1418
	s_branch .LBB118_1419
.LBB118_1435:
	s_mov_b32 s22, -1
                                        ; implicit-def: $vgpr4
	s_branch .LBB118_1440
.LBB118_1436:
	s_mov_b32 s22, -1
                                        ; implicit-def: $vgpr4
.LBB118_1437:
	s_delay_alu instid0(SALU_CYCLE_1)
	s_and_b32 vcc_lo, exec_lo, s22
	s_cbranch_vccz .LBB118_1439
; %bb.1438:
	s_wait_loadcnt 0x0
	global_load_u8 v2, v[0:1], off
	s_wait_loadcnt 0x0
	v_lshlrev_b32_e32 v2, 24, v2
	s_delay_alu instid0(VALU_DEP_1) | instskip(NEXT) | instid1(VALU_DEP_1)
	v_and_b32_e32 v4, 0x7f000000, v2
	v_clz_i32_u32_e32 v5, v4
	v_add_nc_u32_e32 v8, 0x1000000, v4
	v_cmp_ne_u32_e32 vcc_lo, 0, v4
	s_delay_alu instid0(VALU_DEP_3) | instskip(NEXT) | instid1(VALU_DEP_1)
	v_min_u32_e32 v5, 32, v5
	v_sub_nc_u32_e64 v5, v5, 4 clamp
	s_delay_alu instid0(VALU_DEP_1) | instskip(NEXT) | instid1(VALU_DEP_1)
	v_dual_lshlrev_b32 v7, v5, v4 :: v_dual_lshlrev_b32 v5, 23, v5
	v_lshrrev_b32_e32 v7, 4, v7
	s_delay_alu instid0(VALU_DEP_1) | instskip(NEXT) | instid1(VALU_DEP_1)
	v_dual_sub_nc_u32 v5, v7, v5 :: v_dual_ashrrev_i32 v7, 8, v8
	v_add_nc_u32_e32 v5, 0x3c000000, v5
	s_delay_alu instid0(VALU_DEP_1) | instskip(NEXT) | instid1(VALU_DEP_1)
	v_and_or_b32 v5, 0x7f800000, v7, v5
	v_cndmask_b32_e32 v4, 0, v5, vcc_lo
	s_delay_alu instid0(VALU_DEP_1)
	v_and_or_b32 v4, 0x80000000, v2, v4
.LBB118_1439:
	s_mov_b32 s22, 0
.LBB118_1440:
	s_delay_alu instid0(SALU_CYCLE_1)
	s_and_not1_b32 vcc_lo, exec_lo, s22
	s_cbranch_vccnz .LBB118_1442
; %bb.1441:
	s_wait_loadcnt 0x0
	global_load_u8 v2, v[0:1], off
	s_wait_loadcnt 0x0
	v_lshlrev_b32_e32 v4, 25, v2
	v_lshlrev_b16 v2, 8, v2
	s_delay_alu instid0(VALU_DEP_1) | instskip(SKIP_1) | instid1(VALU_DEP_2)
	v_and_or_b32 v7, 0x7f00, v2, 0.5
	v_bfe_i32 v2, v2, 0, 16
	v_dual_add_f32 v7, -0.5, v7 :: v_dual_lshrrev_b32 v5, 4, v4
	v_cmp_gt_u32_e32 vcc_lo, 0x8000000, v4
	s_delay_alu instid0(VALU_DEP_2) | instskip(NEXT) | instid1(VALU_DEP_1)
	v_or_b32_e32 v5, 0x70000000, v5
	v_mul_f32_e32 v5, 0x7800000, v5
	s_delay_alu instid0(VALU_DEP_1) | instskip(NEXT) | instid1(VALU_DEP_1)
	v_cndmask_b32_e32 v4, v5, v7, vcc_lo
	v_and_or_b32 v4, 0x80000000, v2, v4
.LBB118_1442:
	s_mov_b32 s22, 0
	s_mov_b32 s23, -1
.LBB118_1443:
	s_and_not1_b32 vcc_lo, exec_lo, s22
	s_mov_b32 s22, 0
	s_cbranch_vccnz .LBB118_1454
; %bb.1444:
	s_cmp_gt_i32 s20, 14
	s_cbranch_scc0 .LBB118_1447
; %bb.1445:
	s_cmp_eq_u32 s20, 15
	s_cbranch_scc0 .LBB118_1450
; %bb.1446:
	s_wait_loadcnt 0x0
	global_load_u16 v2, v[0:1], off
	s_mov_b32 s21, 0
	s_mov_b32 s23, -1
	s_wait_loadcnt 0x0
	v_lshlrev_b32_e32 v4, 16, v2
	s_branch .LBB118_1452
.LBB118_1447:
	s_mov_b32 s22, -1
	s_branch .LBB118_1451
.LBB118_1448:
	s_or_saveexec_b32 s23, s23
	v_mov_b32_e32 v4, 0x7f800001
	s_xor_b32 exec_lo, exec_lo, s23
	s_cbranch_execz .LBB118_1429
.LBB118_1449:
	v_cmp_ne_u16_e32 vcc_lo, 0, v2
	v_mov_b32_e32 v4, 0
	s_and_not1_b32 s22, s22, exec_lo
	s_and_b32 s24, vcc_lo, exec_lo
	s_delay_alu instid0(SALU_CYCLE_1)
	s_or_b32 s22, s22, s24
	s_or_b32 exec_lo, exec_lo, s23
	s_and_saveexec_b32 s23, s22
	s_cbranch_execnz .LBB118_1430
	s_branch .LBB118_1431
.LBB118_1450:
	s_mov_b32 s21, -1
.LBB118_1451:
                                        ; implicit-def: $vgpr4
.LBB118_1452:
	s_and_b32 vcc_lo, exec_lo, s22
	s_mov_b32 s22, 0
	s_cbranch_vccz .LBB118_1454
; %bb.1453:
	s_cmp_lg_u32 s20, 11
	s_mov_b32 s22, -1
	s_cselect_b32 s20, -1, 0
	s_and_not1_b32 s21, s21, exec_lo
	s_and_b32 s20, s20, exec_lo
	s_delay_alu instid0(SALU_CYCLE_1)
	s_or_b32 s21, s21, s20
.LBB118_1454:
	s_mov_b32 s20, 0
.LBB118_1455:
	s_and_not1_b32 s19, s19, exec_lo
	s_and_b32 s24, s21, exec_lo
	s_and_b32 s23, s23, exec_lo
	;; [unrolled: 1-line block ×4, first 2 shown]
	s_or_b32 s19, s19, s24
	s_wait_xcnt 0x0
	s_or_b32 exec_lo, exec_lo, s0
	s_and_saveexec_b32 s0, s19
	s_cbranch_execz .LBB118_1384
.LBB118_1456:
	s_or_b32 s18, s18, exec_lo
	s_and_not1_b32 s21, s21, exec_lo
	s_trap 2
	s_or_b32 exec_lo, exec_lo, s0
	s_and_saveexec_b32 s0, s21
	s_delay_alu instid0(SALU_CYCLE_1)
	s_xor_b32 s0, exec_lo, s0
	s_cbranch_execnz .LBB118_1385
.LBB118_1457:
	s_or_b32 exec_lo, exec_lo, s0
	s_and_saveexec_b32 s0, s20
	s_cbranch_execz .LBB118_1503
.LBB118_1458:
	s_sext_i32_i16 s19, s1
	s_delay_alu instid0(SALU_CYCLE_1)
	s_cmp_lt_i32 s19, 5
	s_cbranch_scc1 .LBB118_1463
; %bb.1459:
	s_cmp_lt_i32 s19, 8
	s_cbranch_scc1 .LBB118_1464
; %bb.1460:
	;; [unrolled: 3-line block ×3, first 2 shown]
	s_cmp_gt_i32 s19, 9
	s_cbranch_scc0 .LBB118_1466
; %bb.1462:
	global_load_b64 v[4:5], v[0:1], off
	s_mov_b32 s19, 0
	s_wait_loadcnt 0x0
	v_cvt_f32_f64_e32 v4, v[4:5]
	s_branch .LBB118_1467
.LBB118_1463:
                                        ; implicit-def: $vgpr4
	s_branch .LBB118_1484
.LBB118_1464:
                                        ; implicit-def: $vgpr4
	s_branch .LBB118_1473
.LBB118_1465:
	s_mov_b32 s19, -1
                                        ; implicit-def: $vgpr4
	s_branch .LBB118_1470
.LBB118_1466:
	s_mov_b32 s19, -1
                                        ; implicit-def: $vgpr4
.LBB118_1467:
	s_delay_alu instid0(SALU_CYCLE_1)
	s_and_not1_b32 vcc_lo, exec_lo, s19
	s_cbranch_vccnz .LBB118_1469
; %bb.1468:
	global_load_b32 v4, v[0:1], off
.LBB118_1469:
	s_mov_b32 s19, 0
.LBB118_1470:
	s_delay_alu instid0(SALU_CYCLE_1)
	s_and_not1_b32 vcc_lo, exec_lo, s19
	s_cbranch_vccnz .LBB118_1472
; %bb.1471:
	s_wait_loadcnt 0x0
	global_load_b32 v2, v[0:1], off
	s_wait_loadcnt 0x0
	v_cvt_f32_f16_e32 v4, v2
.LBB118_1472:
	s_cbranch_execnz .LBB118_1483
.LBB118_1473:
	s_sext_i32_i16 s19, s1
	s_delay_alu instid0(SALU_CYCLE_1)
	s_cmp_lt_i32 s19, 6
	s_cbranch_scc1 .LBB118_1476
; %bb.1474:
	s_cmp_gt_i32 s19, 6
	s_cbranch_scc0 .LBB118_1477
; %bb.1475:
	s_wait_loadcnt 0x0
	global_load_b64 v[4:5], v[0:1], off
	s_mov_b32 s19, 0
	s_wait_loadcnt 0x0
	v_cvt_f32_f64_e32 v4, v[4:5]
	s_branch .LBB118_1478
.LBB118_1476:
	s_mov_b32 s19, -1
                                        ; implicit-def: $vgpr4
	s_branch .LBB118_1481
.LBB118_1477:
	s_mov_b32 s19, -1
                                        ; implicit-def: $vgpr4
.LBB118_1478:
	s_delay_alu instid0(SALU_CYCLE_1)
	s_and_not1_b32 vcc_lo, exec_lo, s19
	s_cbranch_vccnz .LBB118_1480
; %bb.1479:
	s_wait_loadcnt 0x0
	global_load_b32 v4, v[0:1], off
.LBB118_1480:
	s_mov_b32 s19, 0
.LBB118_1481:
	s_delay_alu instid0(SALU_CYCLE_1)
	s_and_not1_b32 vcc_lo, exec_lo, s19
	s_cbranch_vccnz .LBB118_1483
; %bb.1482:
	s_wait_loadcnt 0x0
	global_load_u16 v2, v[0:1], off
	s_wait_loadcnt 0x0
	v_cvt_f32_f16_e32 v4, v2
.LBB118_1483:
	s_cbranch_execnz .LBB118_1502
.LBB118_1484:
	s_sext_i32_i16 s19, s1
	s_delay_alu instid0(SALU_CYCLE_1)
	s_cmp_lt_i32 s19, 2
	s_cbranch_scc1 .LBB118_1488
; %bb.1485:
	s_cmp_lt_i32 s19, 3
	s_cbranch_scc1 .LBB118_1489
; %bb.1486:
	s_cmp_gt_i32 s19, 3
	s_cbranch_scc0 .LBB118_1490
; %bb.1487:
	s_wait_loadcnt 0x0
	global_load_b64 v[4:5], v[0:1], off
	s_mov_b32 s19, 0
	s_wait_loadcnt 0x0
	v_xor_b32_e32 v2, v4, v5
	v_cls_i32_e32 v7, v5
	s_delay_alu instid0(VALU_DEP_2) | instskip(NEXT) | instid1(VALU_DEP_1)
	v_ashrrev_i32_e32 v2, 31, v2
	v_add_nc_u32_e32 v2, 32, v2
	s_delay_alu instid0(VALU_DEP_1) | instskip(NEXT) | instid1(VALU_DEP_1)
	v_add_min_u32_e64 v2, v7, -1, v2
	v_lshlrev_b64_e32 v[4:5], v2, v[4:5]
	v_sub_nc_u32_e32 v2, 32, v2
	s_delay_alu instid0(VALU_DEP_2) | instskip(NEXT) | instid1(VALU_DEP_1)
	v_min_u32_e32 v4, 1, v4
	v_or_b32_e32 v4, v5, v4
	s_delay_alu instid0(VALU_DEP_1) | instskip(NEXT) | instid1(VALU_DEP_1)
	v_cvt_f32_i32_e32 v4, v4
	v_ldexp_f32 v4, v4, v2
	s_branch .LBB118_1491
.LBB118_1488:
                                        ; implicit-def: $vgpr4
	s_branch .LBB118_1497
.LBB118_1489:
	s_mov_b32 s19, -1
                                        ; implicit-def: $vgpr4
	s_branch .LBB118_1494
.LBB118_1490:
	s_mov_b32 s19, -1
                                        ; implicit-def: $vgpr4
.LBB118_1491:
	s_delay_alu instid0(SALU_CYCLE_1)
	s_and_not1_b32 vcc_lo, exec_lo, s19
	s_cbranch_vccnz .LBB118_1493
; %bb.1492:
	s_wait_loadcnt 0x0
	global_load_b32 v2, v[0:1], off
	s_wait_loadcnt 0x0
	v_cvt_f32_i32_e32 v4, v2
.LBB118_1493:
	s_mov_b32 s19, 0
.LBB118_1494:
	s_delay_alu instid0(SALU_CYCLE_1)
	s_and_not1_b32 vcc_lo, exec_lo, s19
	s_cbranch_vccnz .LBB118_1496
; %bb.1495:
	s_wait_loadcnt 0x0
	global_load_i16 v2, v[0:1], off
	s_wait_loadcnt 0x0
	v_cvt_f32_i32_e32 v4, v2
.LBB118_1496:
	s_cbranch_execnz .LBB118_1502
.LBB118_1497:
	s_sext_i32_i16 s19, s1
	s_delay_alu instid0(SALU_CYCLE_1)
	s_cmp_gt_i32 s19, 0
	s_mov_b32 s19, 0
	s_cbranch_scc0 .LBB118_1499
; %bb.1498:
	s_wait_loadcnt 0x0
	global_load_i8 v2, v[0:1], off
	s_wait_loadcnt 0x0
	v_cvt_f32_i32_e32 v4, v2
	s_branch .LBB118_1500
.LBB118_1499:
	s_mov_b32 s19, -1
                                        ; implicit-def: $vgpr4
.LBB118_1500:
	s_delay_alu instid0(SALU_CYCLE_1)
	s_and_not1_b32 vcc_lo, exec_lo, s19
	s_cbranch_vccnz .LBB118_1502
; %bb.1501:
	global_load_u8 v0, v[0:1], off
	s_wait_loadcnt 0x0
	v_cvt_f32_ubyte0_e32 v4, v0
.LBB118_1502:
	s_or_b32 s23, s23, exec_lo
.LBB118_1503:
	s_wait_xcnt 0x0
	s_or_b32 exec_lo, exec_lo, s0
	s_mov_b32 s0, 0
	s_mov_b32 s21, 0
                                        ; implicit-def: $sgpr19
                                        ; implicit-def: $vgpr0_vgpr1
                                        ; implicit-def: $vgpr2
	s_and_saveexec_b32 s20, s23
	s_cbranch_execz .LBB118_1511
; %bb.1504:
	v_mul_lo_u32 v0, v6, s12
	s_and_b32 s19, s7, 0xff
	s_wait_loadcnt 0x0
	v_mul_f32_e32 v2, s6, v3
	s_cmp_lt_i32 s19, 11
	s_delay_alu instid0(VALU_DEP_1) | instskip(NEXT) | instid1(VALU_DEP_3)
	v_mul_f32_e32 v2, v2, v4
	v_ashrrev_i32_e32 v1, 31, v0
	s_delay_alu instid0(VALU_DEP_1)
	v_add_nc_u64_e32 v[0:1], s[2:3], v[0:1]
	s_cbranch_scc1 .LBB118_1514
; %bb.1505:
	s_and_b32 s21, 0xffff, s19
	s_mov_b32 s22, -1
	s_cmp_gt_i32 s21, 25
	s_mov_b32 s0, s17
	s_cbranch_scc0 .LBB118_1542
; %bb.1506:
	s_cmp_gt_i32 s21, 28
	s_mov_b32 s0, s17
	s_cbranch_scc0 .LBB118_1526
; %bb.1507:
	;; [unrolled: 4-line block ×4, first 2 shown]
	s_cmp_eq_u32 s21, 46
	s_mov_b32 s0, -1
	s_cbranch_scc0 .LBB118_1515
; %bb.1510:
	v_bfe_u32 v3, v2, 16, 1
	v_cmp_o_f32_e32 vcc_lo, v2, v2
	s_mov_b32 s0, 0
	s_mov_b32 s22, 0
	s_delay_alu instid0(VALU_DEP_2) | instskip(NEXT) | instid1(VALU_DEP_1)
	v_add3_u32 v3, v2, v3, 0x7fff
	v_lshrrev_b32_e32 v3, 16, v3
	s_delay_alu instid0(VALU_DEP_1)
	v_cndmask_b32_e32 v3, 0x7fc0, v3, vcc_lo
	global_store_b32 v[0:1], v3, off
	s_branch .LBB118_1516
.LBB118_1511:
	s_or_b32 exec_lo, exec_lo, s20
	s_and_saveexec_b32 s20, s17
	s_cbranch_execnz .LBB118_1584
.LBB118_1512:
	s_or_b32 exec_lo, exec_lo, s20
	s_and_saveexec_b32 s17, s0
	s_delay_alu instid0(SALU_CYCLE_1)
	s_xor_b32 s0, exec_lo, s17
	s_cbranch_execz .LBB118_1585
.LBB118_1513:
	s_wait_loadcnt 0x0
	v_cmp_neq_f32_e32 vcc_lo, 0, v2
	v_cndmask_b32_e64 v3, 0, 1, vcc_lo
	global_store_b8 v[0:1], v3, off
	s_wait_xcnt 0x0
	s_or_b32 exec_lo, exec_lo, s0
	s_and_saveexec_b32 s0, s21
	s_delay_alu instid0(SALU_CYCLE_1)
	s_xor_b32 s0, exec_lo, s0
	s_cbranch_execz .LBB118_1623
	s_branch .LBB118_1586
.LBB118_1514:
	s_mov_b32 s23, 0
	s_mov_b32 s22, -1
	s_mov_b32 s0, s17
	s_branch .LBB118_1583
.LBB118_1515:
	s_mov_b32 s22, 0
.LBB118_1516:
	s_delay_alu instid0(SALU_CYCLE_1)
	s_and_b32 vcc_lo, exec_lo, s22
	s_cbranch_vccz .LBB118_1521
; %bb.1517:
	s_cmp_eq_u32 s21, 44
	s_mov_b32 s0, -1
	s_cbranch_scc0 .LBB118_1521
; %bb.1518:
	v_bfe_u32 v4, v2, 23, 8
	s_wait_xcnt 0x0
	v_mov_b32_e32 v3, 0xff
	s_mov_b32 s22, exec_lo
	s_delay_alu instid0(VALU_DEP_2)
	v_cmpx_ne_u32_e32 0xff, v4
	s_cbranch_execz .LBB118_1520
; %bb.1519:
	v_and_b32_e32 v3, 0x400000, v2
	v_and_or_b32 v4, 0x3fffff, v2, v4
	s_delay_alu instid0(VALU_DEP_2) | instskip(NEXT) | instid1(VALU_DEP_2)
	v_cmp_ne_u32_e32 vcc_lo, 0, v3
	v_cmp_ne_u32_e64 s0, 0, v4
	v_lshrrev_b32_e32 v3, 23, v2
	s_and_b32 s0, vcc_lo, s0
	s_delay_alu instid0(SALU_CYCLE_1) | instskip(NEXT) | instid1(VALU_DEP_1)
	v_cndmask_b32_e64 v4, 0, 1, s0
	v_add_nc_u32_e32 v3, v3, v4
.LBB118_1520:
	s_or_b32 exec_lo, exec_lo, s22
	s_mov_b32 s0, 0
	global_store_b8 v[0:1], v3, off
.LBB118_1521:
	s_mov_b32 s22, 0
.LBB118_1522:
	s_delay_alu instid0(SALU_CYCLE_1)
	s_and_b32 vcc_lo, exec_lo, s22
	s_cbranch_vccz .LBB118_1525
; %bb.1523:
	s_cmp_eq_u32 s21, 29
	s_mov_b32 s0, -1
	s_cbranch_scc0 .LBB118_1525
; %bb.1524:
	s_wait_xcnt 0x0
	v_trunc_f32_e32 v3, v2
	s_mov_b32 s0, 0
	s_mov_b32 s22, 0
	s_delay_alu instid0(VALU_DEP_1) | instskip(NEXT) | instid1(VALU_DEP_1)
	v_mul_f32_e32 v4, 0x2f800000, v3
	v_floor_f32_e32 v4, v4
	s_delay_alu instid0(VALU_DEP_1) | instskip(SKIP_1) | instid1(VALU_DEP_2)
	v_fmamk_f32 v3, v4, 0xcf800000, v3
	v_cvt_u32_f32_e32 v5, v4
	v_cvt_u32_f32_e32 v4, v3
	global_store_b64 v[0:1], v[4:5], off
	s_branch .LBB118_1526
.LBB118_1525:
	s_mov_b32 s22, 0
.LBB118_1526:
	s_delay_alu instid0(SALU_CYCLE_1)
	s_and_b32 vcc_lo, exec_lo, s22
	s_cbranch_vccz .LBB118_1541
; %bb.1527:
	s_cmp_lt_i32 s21, 27
	s_mov_b32 s22, -1
	s_cbranch_scc1 .LBB118_1533
; %bb.1528:
	s_wait_xcnt 0x0
	v_cvt_u32_f32_e32 v3, v2
	s_cmp_gt_i32 s21, 27
	s_cbranch_scc0 .LBB118_1530
; %bb.1529:
	s_mov_b32 s22, 0
	global_store_b32 v[0:1], v3, off
.LBB118_1530:
	s_and_not1_b32 vcc_lo, exec_lo, s22
	s_cbranch_vccnz .LBB118_1532
; %bb.1531:
	global_store_b16 v[0:1], v3, off
.LBB118_1532:
	s_mov_b32 s22, 0
.LBB118_1533:
	s_delay_alu instid0(SALU_CYCLE_1)
	s_and_not1_b32 vcc_lo, exec_lo, s22
	s_cbranch_vccnz .LBB118_1541
; %bb.1534:
	s_wait_xcnt 0x0
	v_and_b32_e32 v3, 0x7fffffff, v2
	v_mov_b32_e32 v4, 0x80
	s_mov_b32 s22, exec_lo
	s_delay_alu instid0(VALU_DEP_2)
	v_cmpx_gt_u32_e32 0x43800000, v3
	s_cbranch_execz .LBB118_1540
; %bb.1535:
	v_cmp_lt_u32_e32 vcc_lo, 0x3bffffff, v3
	s_mov_b32 s23, 0
                                        ; implicit-def: $vgpr3
	s_and_saveexec_b32 s24, vcc_lo
	s_delay_alu instid0(SALU_CYCLE_1)
	s_xor_b32 s24, exec_lo, s24
	s_cbranch_execz .LBB118_1655
; %bb.1536:
	v_bfe_u32 v3, v2, 20, 1
	s_mov_b32 s23, exec_lo
	s_delay_alu instid0(VALU_DEP_1) | instskip(NEXT) | instid1(VALU_DEP_1)
	v_add3_u32 v3, v2, v3, 0x487ffff
	v_lshrrev_b32_e32 v3, 20, v3
	s_and_not1_saveexec_b32 s24, s24
	s_cbranch_execnz .LBB118_1656
.LBB118_1537:
	s_or_b32 exec_lo, exec_lo, s24
	v_mov_b32_e32 v4, 0
	s_and_saveexec_b32 s24, s23
.LBB118_1538:
	v_lshrrev_b32_e32 v4, 24, v2
	s_delay_alu instid0(VALU_DEP_1)
	v_and_or_b32 v4, 0x80, v4, v3
.LBB118_1539:
	s_or_b32 exec_lo, exec_lo, s24
.LBB118_1540:
	s_delay_alu instid0(SALU_CYCLE_1)
	s_or_b32 exec_lo, exec_lo, s22
	global_store_b8 v[0:1], v4, off
.LBB118_1541:
	s_mov_b32 s22, 0
.LBB118_1542:
	s_delay_alu instid0(SALU_CYCLE_1)
	s_and_b32 vcc_lo, exec_lo, s22
	s_mov_b32 s22, 0
	s_cbranch_vccz .LBB118_1582
; %bb.1543:
	s_cmp_gt_i32 s21, 22
	s_mov_b32 s23, -1
	s_cbranch_scc0 .LBB118_1575
; %bb.1544:
	s_cmp_lt_i32 s21, 24
	s_cbranch_scc1 .LBB118_1564
; %bb.1545:
	s_cmp_gt_i32 s21, 24
	s_cbranch_scc0 .LBB118_1553
; %bb.1546:
	s_wait_xcnt 0x0
	v_and_b32_e32 v3, 0x7fffffff, v2
	v_mov_b32_e32 v4, 0x80
	s_mov_b32 s23, exec_lo
	s_delay_alu instid0(VALU_DEP_2)
	v_cmpx_gt_u32_e32 0x47800000, v3
	s_cbranch_execz .LBB118_1552
; %bb.1547:
	v_cmp_lt_u32_e32 vcc_lo, 0x37ffffff, v3
	s_mov_b32 s24, 0
                                        ; implicit-def: $vgpr3
	s_and_saveexec_b32 s25, vcc_lo
	s_delay_alu instid0(SALU_CYCLE_1)
	s_xor_b32 s25, exec_lo, s25
	s_cbranch_execz .LBB118_1658
; %bb.1548:
	v_bfe_u32 v3, v2, 21, 1
	s_mov_b32 s24, exec_lo
	s_delay_alu instid0(VALU_DEP_1) | instskip(NEXT) | instid1(VALU_DEP_1)
	v_add3_u32 v3, v2, v3, 0x88fffff
	v_lshrrev_b32_e32 v3, 21, v3
	s_and_not1_saveexec_b32 s25, s25
	s_cbranch_execnz .LBB118_1659
.LBB118_1549:
	s_or_b32 exec_lo, exec_lo, s25
	v_mov_b32_e32 v4, 0
	s_and_saveexec_b32 s25, s24
.LBB118_1550:
	v_lshrrev_b32_e32 v4, 24, v2
	s_delay_alu instid0(VALU_DEP_1)
	v_and_or_b32 v4, 0x80, v4, v3
.LBB118_1551:
	s_or_b32 exec_lo, exec_lo, s25
.LBB118_1552:
	s_delay_alu instid0(SALU_CYCLE_1)
	s_or_b32 exec_lo, exec_lo, s23
	s_mov_b32 s23, 0
	global_store_b8 v[0:1], v4, off
.LBB118_1553:
	s_and_b32 vcc_lo, exec_lo, s23
	s_cbranch_vccz .LBB118_1563
; %bb.1554:
	s_wait_xcnt 0x0
	v_and_b32_e32 v4, 0x7fffffff, v2
	s_mov_b32 s23, exec_lo
                                        ; implicit-def: $vgpr3
	s_delay_alu instid0(VALU_DEP_1)
	v_cmpx_gt_u32_e32 0x43f00000, v4
	s_xor_b32 s23, exec_lo, s23
	s_cbranch_execz .LBB118_1560
; %bb.1555:
	s_mov_b32 s24, exec_lo
                                        ; implicit-def: $vgpr3
	v_cmpx_lt_u32_e32 0x3c7fffff, v4
	s_xor_b32 s24, exec_lo, s24
; %bb.1556:
	v_bfe_u32 v3, v2, 20, 1
	s_delay_alu instid0(VALU_DEP_1) | instskip(NEXT) | instid1(VALU_DEP_1)
	v_add3_u32 v3, v2, v3, 0x407ffff
	v_and_b32_e32 v4, 0xff00000, v3
	v_lshrrev_b32_e32 v3, 20, v3
	s_delay_alu instid0(VALU_DEP_2) | instskip(NEXT) | instid1(VALU_DEP_2)
	v_cmp_ne_u32_e32 vcc_lo, 0x7f00000, v4
	v_cndmask_b32_e32 v3, 0x7e, v3, vcc_lo
; %bb.1557:
	s_and_not1_saveexec_b32 s24, s24
; %bb.1558:
	v_add_f32_e64 v3, 0x46800000, |v2|
; %bb.1559:
	s_or_b32 exec_lo, exec_lo, s24
                                        ; implicit-def: $vgpr4
.LBB118_1560:
	s_and_not1_saveexec_b32 s23, s23
; %bb.1561:
	v_mov_b32_e32 v3, 0x7f
	v_cmp_lt_u32_e32 vcc_lo, 0x7f800000, v4
	s_delay_alu instid0(VALU_DEP_2)
	v_cndmask_b32_e32 v3, 0x7e, v3, vcc_lo
; %bb.1562:
	s_or_b32 exec_lo, exec_lo, s23
	v_lshrrev_b32_e32 v4, 24, v2
	s_delay_alu instid0(VALU_DEP_1)
	v_and_or_b32 v3, 0x80, v4, v3
	global_store_b8 v[0:1], v3, off
.LBB118_1563:
	s_mov_b32 s23, 0
.LBB118_1564:
	s_delay_alu instid0(SALU_CYCLE_1)
	s_and_not1_b32 vcc_lo, exec_lo, s23
	s_cbranch_vccnz .LBB118_1574
; %bb.1565:
	s_wait_xcnt 0x0
	v_and_b32_e32 v4, 0x7fffffff, v2
	s_mov_b32 s23, exec_lo
                                        ; implicit-def: $vgpr3
	s_delay_alu instid0(VALU_DEP_1)
	v_cmpx_gt_u32_e32 0x47800000, v4
	s_xor_b32 s23, exec_lo, s23
	s_cbranch_execz .LBB118_1571
; %bb.1566:
	s_mov_b32 s24, exec_lo
                                        ; implicit-def: $vgpr3
	v_cmpx_lt_u32_e32 0x387fffff, v4
	s_xor_b32 s24, exec_lo, s24
; %bb.1567:
	v_bfe_u32 v3, v2, 21, 1
	s_delay_alu instid0(VALU_DEP_1) | instskip(NEXT) | instid1(VALU_DEP_1)
	v_add3_u32 v3, v2, v3, 0x80fffff
	v_lshrrev_b32_e32 v3, 21, v3
; %bb.1568:
	s_and_not1_saveexec_b32 s24, s24
; %bb.1569:
	v_add_f32_e64 v3, 0x43000000, |v2|
; %bb.1570:
	s_or_b32 exec_lo, exec_lo, s24
                                        ; implicit-def: $vgpr4
.LBB118_1571:
	s_and_not1_saveexec_b32 s23, s23
; %bb.1572:
	v_mov_b32_e32 v3, 0x7f
	v_cmp_lt_u32_e32 vcc_lo, 0x7f800000, v4
	s_delay_alu instid0(VALU_DEP_2)
	v_cndmask_b32_e32 v3, 0x7c, v3, vcc_lo
; %bb.1573:
	s_or_b32 exec_lo, exec_lo, s23
	v_lshrrev_b32_e32 v4, 24, v2
	s_delay_alu instid0(VALU_DEP_1)
	v_and_or_b32 v3, 0x80, v4, v3
	global_store_b8 v[0:1], v3, off
.LBB118_1574:
	s_mov_b32 s23, 0
.LBB118_1575:
	s_delay_alu instid0(SALU_CYCLE_1)
	s_and_not1_b32 vcc_lo, exec_lo, s23
	s_mov_b32 s23, 0
	s_cbranch_vccnz .LBB118_1583
; %bb.1576:
	s_cmp_gt_i32 s21, 14
	s_mov_b32 s23, -1
	s_cbranch_scc0 .LBB118_1580
; %bb.1577:
	s_cmp_eq_u32 s21, 15
	s_mov_b32 s0, -1
	s_cbranch_scc0 .LBB118_1579
; %bb.1578:
	s_wait_xcnt 0x0
	v_bfe_u32 v3, v2, 16, 1
	v_cmp_o_f32_e32 vcc_lo, v2, v2
	s_mov_b32 s0, 0
	s_delay_alu instid0(VALU_DEP_2) | instskip(NEXT) | instid1(VALU_DEP_1)
	v_add3_u32 v3, v2, v3, 0x7fff
	v_lshrrev_b32_e32 v3, 16, v3
	s_delay_alu instid0(VALU_DEP_1)
	v_cndmask_b32_e32 v3, 0x7fc0, v3, vcc_lo
	global_store_b16 v[0:1], v3, off
.LBB118_1579:
	s_mov_b32 s23, 0
.LBB118_1580:
	s_delay_alu instid0(SALU_CYCLE_1)
	s_and_b32 vcc_lo, exec_lo, s23
	s_mov_b32 s23, 0
	s_cbranch_vccz .LBB118_1583
; %bb.1581:
	s_cmp_lg_u32 s21, 11
	s_mov_b32 s23, -1
	s_cselect_b32 s21, -1, 0
	s_and_not1_b32 s0, s0, exec_lo
	s_and_b32 s21, s21, exec_lo
	s_delay_alu instid0(SALU_CYCLE_1)
	s_or_b32 s0, s0, s21
	s_branch .LBB118_1583
.LBB118_1582:
	s_mov_b32 s23, 0
.LBB118_1583:
	s_and_b32 s21, s22, exec_lo
	s_and_not1_b32 s17, s17, exec_lo
	s_and_b32 s22, s0, exec_lo
	s_and_b32 s0, s23, exec_lo
	s_or_b32 s17, s17, s22
	s_wait_xcnt 0x0
	s_or_b32 exec_lo, exec_lo, s20
	s_and_saveexec_b32 s20, s17
	s_cbranch_execz .LBB118_1512
.LBB118_1584:
	s_or_b32 s18, s18, exec_lo
	s_and_not1_b32 s0, s0, exec_lo
	s_trap 2
	s_or_b32 exec_lo, exec_lo, s20
	s_and_saveexec_b32 s17, s0
	s_delay_alu instid0(SALU_CYCLE_1)
	s_xor_b32 s0, exec_lo, s17
	s_cbranch_execnz .LBB118_1513
.LBB118_1585:
	s_or_b32 exec_lo, exec_lo, s0
	s_and_saveexec_b32 s0, s21
	s_delay_alu instid0(SALU_CYCLE_1)
	s_xor_b32 s0, exec_lo, s0
	s_cbranch_execz .LBB118_1623
.LBB118_1586:
	s_sext_i32_i16 s20, s19
	s_mov_b32 s17, -1
	s_cmp_lt_i32 s20, 5
	s_cbranch_scc1 .LBB118_1607
; %bb.1587:
	s_cmp_lt_i32 s20, 8
	s_cbranch_scc1 .LBB118_1597
; %bb.1588:
	;; [unrolled: 3-line block ×3, first 2 shown]
	s_cmp_gt_i32 s20, 9
	s_cbranch_scc0 .LBB118_1591
; %bb.1590:
	s_wait_loadcnt 0x0
	v_cvt_f64_f32_e32 v[4:5], v2
	v_mov_b32_e32 v6, 0
	s_mov_b32 s17, 0
	s_delay_alu instid0(VALU_DEP_1)
	v_mov_b32_e32 v7, v6
	global_store_b128 v[0:1], v[4:7], off
.LBB118_1591:
	s_and_not1_b32 vcc_lo, exec_lo, s17
	s_cbranch_vccnz .LBB118_1593
; %bb.1592:
	s_wait_loadcnt 0x0
	v_mov_b32_e32 v3, 0
	global_store_b64 v[0:1], v[2:3], off
.LBB118_1593:
	s_mov_b32 s17, 0
.LBB118_1594:
	s_delay_alu instid0(SALU_CYCLE_1)
	s_and_not1_b32 vcc_lo, exec_lo, s17
	s_cbranch_vccnz .LBB118_1596
; %bb.1595:
	s_wait_loadcnt 0x0
	v_cvt_f16_f32_e32 v3, v2
	s_delay_alu instid0(VALU_DEP_1)
	v_and_b32_e32 v3, 0xffff, v3
	global_store_b32 v[0:1], v3, off
.LBB118_1596:
	s_mov_b32 s17, 0
.LBB118_1597:
	s_delay_alu instid0(SALU_CYCLE_1)
	s_and_not1_b32 vcc_lo, exec_lo, s17
	s_cbranch_vccnz .LBB118_1606
; %bb.1598:
	s_sext_i32_i16 s20, s19
	s_mov_b32 s17, -1
	s_cmp_lt_i32 s20, 6
	s_cbranch_scc1 .LBB118_1604
; %bb.1599:
	s_cmp_gt_i32 s20, 6
	s_cbranch_scc0 .LBB118_1601
; %bb.1600:
	s_wait_loadcnt 0x0
	v_cvt_f64_f32_e32 v[4:5], v2
	s_mov_b32 s17, 0
	global_store_b64 v[0:1], v[4:5], off
.LBB118_1601:
	s_and_not1_b32 vcc_lo, exec_lo, s17
	s_cbranch_vccnz .LBB118_1603
; %bb.1602:
	s_wait_loadcnt 0x0
	global_store_b32 v[0:1], v2, off
.LBB118_1603:
	s_mov_b32 s17, 0
.LBB118_1604:
	s_delay_alu instid0(SALU_CYCLE_1)
	s_and_not1_b32 vcc_lo, exec_lo, s17
	s_cbranch_vccnz .LBB118_1606
; %bb.1605:
	s_wait_loadcnt 0x0
	v_cvt_f16_f32_e32 v3, v2
	global_store_b16 v[0:1], v3, off
.LBB118_1606:
	s_mov_b32 s17, 0
.LBB118_1607:
	s_delay_alu instid0(SALU_CYCLE_1)
	s_and_not1_b32 vcc_lo, exec_lo, s17
	s_cbranch_vccnz .LBB118_1623
; %bb.1608:
	s_sext_i32_i16 s20, s19
	s_mov_b32 s17, -1
	s_cmp_lt_i32 s20, 2
	s_cbranch_scc1 .LBB118_1618
; %bb.1609:
	s_cmp_lt_i32 s20, 3
	s_cbranch_scc1 .LBB118_1615
; %bb.1610:
	s_cmp_gt_i32 s20, 3
	s_cbranch_scc0 .LBB118_1612
; %bb.1611:
	s_wait_loadcnt 0x0
	v_trunc_f32_e32 v3, v2
	s_mov_b32 s17, 0
	s_delay_alu instid0(VALU_DEP_1) | instskip(NEXT) | instid1(VALU_DEP_1)
	v_mul_f32_e64 v4, 0x2f800000, |v3|
	v_floor_f32_e32 v5, v4
	v_ashrrev_i32_e32 v4, 31, v3
	s_delay_alu instid0(VALU_DEP_2) | instskip(SKIP_1) | instid1(VALU_DEP_3)
	v_fma_f32 v6, 0xcf800000, v5, |v3|
	v_cvt_u32_f32_e32 v3, v5
	v_mov_b32_e32 v5, v4
	s_delay_alu instid0(VALU_DEP_3) | instskip(NEXT) | instid1(VALU_DEP_3)
	v_cvt_u32_f32_e32 v6, v6
	v_xor_b32_e32 v7, v3, v4
	s_delay_alu instid0(VALU_DEP_2) | instskip(NEXT) | instid1(VALU_DEP_1)
	v_xor_b32_e32 v6, v6, v4
	v_sub_nc_u64_e32 v[4:5], v[6:7], v[4:5]
	global_store_b64 v[0:1], v[4:5], off
.LBB118_1612:
	s_and_not1_b32 vcc_lo, exec_lo, s17
	s_cbranch_vccnz .LBB118_1614
; %bb.1613:
	s_wait_loadcnt 0x0
	v_cvt_i32_f32_e32 v3, v2
	global_store_b32 v[0:1], v3, off
.LBB118_1614:
	s_mov_b32 s17, 0
.LBB118_1615:
	s_delay_alu instid0(SALU_CYCLE_1)
	s_and_not1_b32 vcc_lo, exec_lo, s17
	s_cbranch_vccnz .LBB118_1617
; %bb.1616:
	s_wait_loadcnt 0x0
	v_cvt_i32_f32_e32 v3, v2
	global_store_b16 v[0:1], v3, off
.LBB118_1617:
	s_mov_b32 s17, 0
.LBB118_1618:
	s_delay_alu instid0(SALU_CYCLE_1)
	s_and_not1_b32 vcc_lo, exec_lo, s17
	s_cbranch_vccnz .LBB118_1623
; %bb.1619:
	s_sext_i32_i16 s17, s19
	s_delay_alu instid0(SALU_CYCLE_1)
	s_cmp_gt_i32 s17, 0
	s_mov_b32 s17, -1
	s_cbranch_scc0 .LBB118_1621
; %bb.1620:
	s_wait_loadcnt 0x0
	v_cvt_i32_f32_e32 v3, v2
	s_mov_b32 s17, 0
	global_store_b8 v[0:1], v3, off
.LBB118_1621:
	s_and_not1_b32 vcc_lo, exec_lo, s17
	s_cbranch_vccnz .LBB118_1623
; %bb.1622:
	s_wait_loadcnt 0x0
	v_trunc_f32_e32 v2, v2
	s_delay_alu instid0(VALU_DEP_1) | instskip(NEXT) | instid1(VALU_DEP_1)
	v_mul_f32_e64 v3, 0x2f800000, |v2|
	v_floor_f32_e32 v3, v3
	s_delay_alu instid0(VALU_DEP_1) | instskip(SKIP_1) | instid1(VALU_DEP_2)
	v_fma_f32 v3, 0xcf800000, v3, |v2|
	v_ashrrev_i32_e32 v2, 31, v2
	v_cvt_u32_f32_e32 v3, v3
	s_delay_alu instid0(VALU_DEP_1) | instskip(NEXT) | instid1(VALU_DEP_1)
	v_xor_b32_e32 v3, v3, v2
	v_sub_nc_u32_e32 v2, v3, v2
	global_store_b8 v[0:1], v2, off
.LBB118_1623:
	s_wait_xcnt 0x0
	s_or_b32 exec_lo, exec_lo, s0
	s_delay_alu instid0(SALU_CYCLE_1)
	s_and_b32 s17, s18, exec_lo
                                        ; implicit-def: $vgpr6
.LBB118_1624:
	s_or_saveexec_b32 s16, s16
	s_mov_b32 s0, 0
                                        ; implicit-def: $sgpr18
                                        ; implicit-def: $vgpr0_vgpr1
                                        ; implicit-def: $vgpr2
	s_xor_b32 exec_lo, exec_lo, s16
	s_cbranch_execz .LBB118_3192
; %bb.1625:
	s_and_b32 s15, s15, 0xff
	s_delay_alu instid0(SALU_CYCLE_1)
	s_cmp_lt_i32 s15, 23
	s_cbranch_scc1 .LBB118_1629
; %bb.1626:
	s_and_b32 s18, 0xffff, s15
	s_delay_alu instid0(SALU_CYCLE_1)
	s_cmp_gt_i32 s18, 43
	s_cbranch_scc0 .LBB118_1630
; %bb.1627:
	s_cmp_gt_i32 s18, 45
	s_cbranch_scc0 .LBB118_1631
; %bb.1628:
	s_cmp_lg_u32 s18, 46
	s_mov_b32 s0, -1
	s_cselect_b32 s14, -1, 0
	s_cbranch_execz .LBB118_1632
	s_branch .LBB118_1633
.LBB118_1629:
	s_cbranch_execnz .LBB118_1636
	s_branch .LBB118_1640
.LBB118_1630:
	s_cbranch_execnz .LBB118_1634
	s_branch .LBB118_1635
.LBB118_1631:
.LBB118_1632:
	s_cmp_eq_u32 s18, 44
	s_cselect_b32 s0, -1, 0
	s_cmp_lg_u32 s18, 44
	s_cselect_b32 s14, -1, 0
.LBB118_1633:
	s_branch .LBB118_1635
.LBB118_1634:
	s_cmp_lt_i32 s18, 30
	s_cselect_b32 s0, -1, 0
	s_cmp_gt_i32 s18, 29
	s_cselect_b32 s14, -1, 0
.LBB118_1635:
	s_branch .LBB118_1640
.LBB118_1636:
	s_and_b32 s18, 0xffff, s15
	s_mov_b32 s19, -1
	s_cmp_gt_i32 s18, 14
	s_cbranch_scc0 .LBB118_1638
; %bb.1637:
	s_cmp_eq_u32 s18, 15
	s_mov_b32 s19, 0
	s_cselect_b32 s0, -1, 0
	s_cmp_lg_u32 s18, 15
	s_cselect_b32 s14, -1, 0
.LBB118_1638:
	s_and_not1_b32 vcc_lo, exec_lo, s19
	s_cbranch_vccnz .LBB118_1640
; %bb.1639:
	s_cmp_lt_i32 s18, 12
	s_cselect_b32 s0, -1, 0
	s_cmp_gt_i32 s18, 11
	s_cselect_b32 s14, -1, 0
.LBB118_1640:
	s_delay_alu instid0(SALU_CYCLE_1)
	s_and_b32 vcc_lo, exec_lo, s14
	s_mov_b32 s14, s17
	s_cbranch_vccnz .LBB118_1653
; %bb.1641:
	s_and_not1_b32 vcc_lo, exec_lo, s0
	s_cbranch_vccnz .LBB118_3190
.LBB118_1642:
	v_mul_lo_u32 v0, s4, v6
	s_and_b32 s13, s13, 0xff
	s_delay_alu instid0(SALU_CYCLE_1) | instskip(NEXT) | instid1(VALU_DEP_1)
	s_cmp_lt_i32 s13, 11
	v_ashrrev_i32_e32 v1, 31, v0
	s_wait_loadcnt 0x0
	s_delay_alu instid0(VALU_DEP_1)
	v_add_nc_u64_e32 v[2:3], s[8:9], v[0:1]
	s_cbranch_scc1 .LBB118_1649
; %bb.1643:
	s_and_b32 s0, 0xffff, s13
	s_mov_b32 s19, 0
	s_cmp_gt_i32 s0, 25
	s_cbranch_scc0 .LBB118_1651
; %bb.1644:
	s_cmp_gt_i32 s0, 28
	s_cbranch_scc0 .LBB118_1652
; %bb.1645:
	;; [unrolled: 3-line block ×4, first 2 shown]
	s_cmp_eq_u32 s0, 46
	s_mov_b32 s21, 0
	s_cbranch_scc0 .LBB118_1660
; %bb.1648:
	global_load_b32 v1, v[2:3], off
	s_mov_b32 s18, 0
	s_mov_b32 s20, -1
	s_wait_loadcnt 0x0
	v_lshlrev_b32_e32 v7, 16, v1
	s_branch .LBB118_1662
.LBB118_1649:
	s_mov_b32 s20, 0
                                        ; implicit-def: $vgpr7
	s_cbranch_execnz .LBB118_1727
.LBB118_1650:
	s_and_not1_b32 vcc_lo, exec_lo, s20
	s_cbranch_vccz .LBB118_1774
	s_branch .LBB118_3190
.LBB118_1651:
	s_mov_b32 s20, 0
	s_mov_b32 s18, 0
                                        ; implicit-def: $vgpr7
	s_cbranch_execnz .LBB118_1691
	s_branch .LBB118_1723
.LBB118_1652:
	s_mov_b32 s21, -1
	s_mov_b32 s20, 0
	s_mov_b32 s18, 0
                                        ; implicit-def: $vgpr7
	s_branch .LBB118_1672
.LBB118_1653:
	s_or_b32 s14, s17, exec_lo
	s_trap 2
	s_cbranch_execz .LBB118_1642
	s_branch .LBB118_3190
.LBB118_1654:
	s_mov_b32 s21, -1
	s_mov_b32 s20, 0
	s_mov_b32 s18, 0
                                        ; implicit-def: $vgpr7
	s_branch .LBB118_1667
.LBB118_1655:
	s_and_not1_saveexec_b32 s24, s24
	s_cbranch_execz .LBB118_1537
.LBB118_1656:
	v_add_f32_e64 v3, 0x46000000, |v2|
	s_and_not1_b32 s23, s23, exec_lo
	s_delay_alu instid0(VALU_DEP_1) | instskip(NEXT) | instid1(VALU_DEP_1)
	v_and_b32_e32 v3, 0xff, v3
	v_cmp_ne_u32_e32 vcc_lo, 0, v3
	s_and_b32 s25, vcc_lo, exec_lo
	s_delay_alu instid0(SALU_CYCLE_1)
	s_or_b32 s23, s23, s25
	s_or_b32 exec_lo, exec_lo, s24
	v_mov_b32_e32 v4, 0
	s_and_saveexec_b32 s24, s23
	s_cbranch_execnz .LBB118_1538
	s_branch .LBB118_1539
.LBB118_1657:
	s_mov_b32 s21, -1
	s_mov_b32 s20, 0
	s_mov_b32 s18, 0
	s_branch .LBB118_1661
.LBB118_1658:
	s_and_not1_saveexec_b32 s25, s25
	s_cbranch_execz .LBB118_1549
.LBB118_1659:
	v_add_f32_e64 v3, 0x42800000, |v2|
	s_and_not1_b32 s24, s24, exec_lo
	s_delay_alu instid0(VALU_DEP_1) | instskip(NEXT) | instid1(VALU_DEP_1)
	v_and_b32_e32 v3, 0xff, v3
	v_cmp_ne_u32_e32 vcc_lo, 0, v3
	s_and_b32 s26, vcc_lo, exec_lo
	s_delay_alu instid0(SALU_CYCLE_1)
	s_or_b32 s24, s24, s26
	s_or_b32 exec_lo, exec_lo, s25
	v_mov_b32_e32 v4, 0
	s_and_saveexec_b32 s25, s24
	s_cbranch_execnz .LBB118_1550
	s_branch .LBB118_1551
.LBB118_1660:
	s_mov_b32 s18, -1
	s_mov_b32 s20, 0
.LBB118_1661:
                                        ; implicit-def: $vgpr7
.LBB118_1662:
	s_and_b32 vcc_lo, exec_lo, s21
	s_cbranch_vccz .LBB118_1666
; %bb.1663:
	s_cmp_eq_u32 s0, 44
	s_cbranch_scc0 .LBB118_1665
; %bb.1664:
	global_load_u8 v1, v[2:3], off
	s_mov_b32 s18, 0
	s_mov_b32 s20, -1
	s_wait_loadcnt 0x0
	v_lshlrev_b32_e32 v4, 23, v1
	v_cmp_ne_u32_e32 vcc_lo, 0xff, v1
	s_delay_alu instid0(VALU_DEP_2) | instskip(SKIP_1) | instid1(VALU_DEP_2)
	v_cndmask_b32_e32 v4, 0x7f800001, v4, vcc_lo
	v_cmp_ne_u32_e32 vcc_lo, 0, v1
	v_cndmask_b32_e32 v7, 0x400000, v4, vcc_lo
	s_branch .LBB118_1666
.LBB118_1665:
	s_mov_b32 s18, -1
                                        ; implicit-def: $vgpr7
.LBB118_1666:
	s_mov_b32 s21, 0
.LBB118_1667:
	s_delay_alu instid0(SALU_CYCLE_1)
	s_and_b32 vcc_lo, exec_lo, s21
	s_cbranch_vccz .LBB118_1671
; %bb.1668:
	s_cmp_eq_u32 s0, 29
	s_cbranch_scc0 .LBB118_1670
; %bb.1669:
	global_load_b64 v[4:5], v[2:3], off
	s_mov_b32 s18, 0
	s_mov_b32 s20, -1
	s_mov_b32 s21, 0
	s_wait_loadcnt 0x0
	v_clz_i32_u32_e32 v1, v5
	s_delay_alu instid0(VALU_DEP_1) | instskip(NEXT) | instid1(VALU_DEP_1)
	v_min_u32_e32 v1, 32, v1
	v_lshlrev_b64_e32 v[4:5], v1, v[4:5]
	v_sub_nc_u32_e32 v1, 32, v1
	s_delay_alu instid0(VALU_DEP_2) | instskip(NEXT) | instid1(VALU_DEP_1)
	v_min_u32_e32 v4, 1, v4
	v_or_b32_e32 v4, v5, v4
	s_delay_alu instid0(VALU_DEP_1) | instskip(NEXT) | instid1(VALU_DEP_1)
	v_cvt_f32_u32_e32 v4, v4
	v_ldexp_f32 v7, v4, v1
	s_branch .LBB118_1672
.LBB118_1670:
	s_mov_b32 s18, -1
                                        ; implicit-def: $vgpr7
.LBB118_1671:
	s_mov_b32 s21, 0
.LBB118_1672:
	s_delay_alu instid0(SALU_CYCLE_1)
	s_and_b32 vcc_lo, exec_lo, s21
	s_cbranch_vccz .LBB118_1690
; %bb.1673:
	s_cmp_lt_i32 s0, 27
	s_cbranch_scc1 .LBB118_1676
; %bb.1674:
	s_cmp_gt_i32 s0, 27
	s_cbranch_scc0 .LBB118_1677
; %bb.1675:
	global_load_b32 v1, v[2:3], off
	s_mov_b32 s20, 0
	s_wait_loadcnt 0x0
	v_cvt_f32_u32_e32 v7, v1
	s_branch .LBB118_1678
.LBB118_1676:
	s_mov_b32 s20, -1
                                        ; implicit-def: $vgpr7
	s_branch .LBB118_1681
.LBB118_1677:
	s_mov_b32 s20, -1
                                        ; implicit-def: $vgpr7
.LBB118_1678:
	s_delay_alu instid0(SALU_CYCLE_1)
	s_and_not1_b32 vcc_lo, exec_lo, s20
	s_cbranch_vccnz .LBB118_1680
; %bb.1679:
	global_load_u16 v1, v[2:3], off
	s_wait_loadcnt 0x0
	v_cvt_f32_u32_e32 v7, v1
.LBB118_1680:
	s_mov_b32 s20, 0
.LBB118_1681:
	s_delay_alu instid0(SALU_CYCLE_1)
	s_and_not1_b32 vcc_lo, exec_lo, s20
	s_cbranch_vccnz .LBB118_1689
; %bb.1682:
	global_load_u8 v1, v[2:3], off
	s_mov_b32 s20, 0
	s_mov_b32 s21, exec_lo
	s_wait_loadcnt 0x0
	v_cmpx_lt_i16_e32 0x7f, v1
	s_xor_b32 s21, exec_lo, s21
	s_cbranch_execz .LBB118_1702
; %bb.1683:
	s_mov_b32 s20, -1
	s_mov_b32 s22, exec_lo
	v_cmpx_eq_u16_e32 0x80, v1
; %bb.1684:
	s_xor_b32 s20, exec_lo, -1
; %bb.1685:
	s_or_b32 exec_lo, exec_lo, s22
	s_delay_alu instid0(SALU_CYCLE_1)
	s_and_b32 s20, s20, exec_lo
	s_or_saveexec_b32 s21, s21
	v_mov_b32_e32 v7, 0x7f800001
	s_xor_b32 exec_lo, exec_lo, s21
	s_cbranch_execnz .LBB118_1703
.LBB118_1686:
	s_or_b32 exec_lo, exec_lo, s21
	s_and_saveexec_b32 s21, s20
	s_cbranch_execz .LBB118_1688
.LBB118_1687:
	v_and_b32_e32 v4, 0xffff, v1
	s_delay_alu instid0(VALU_DEP_1) | instskip(SKIP_1) | instid1(VALU_DEP_2)
	v_and_b32_e32 v5, 7, v4
	v_bfe_u32 v9, v4, 3, 4
	v_clz_i32_u32_e32 v7, v5
	s_delay_alu instid0(VALU_DEP_2) | instskip(NEXT) | instid1(VALU_DEP_2)
	v_cmp_eq_u32_e32 vcc_lo, 0, v9
	v_min_u32_e32 v7, 32, v7
	s_delay_alu instid0(VALU_DEP_1) | instskip(NEXT) | instid1(VALU_DEP_1)
	v_subrev_nc_u32_e32 v8, 28, v7
	v_dual_lshlrev_b32 v4, v8, v4 :: v_dual_sub_nc_u32 v7, 29, v7
	s_delay_alu instid0(VALU_DEP_1) | instskip(NEXT) | instid1(VALU_DEP_2)
	v_dual_lshlrev_b32 v1, 24, v1 :: v_dual_bitop2_b32 v4, 7, v4 bitop3:0x40
	v_cndmask_b32_e32 v7, v9, v7, vcc_lo
	s_delay_alu instid0(VALU_DEP_2) | instskip(NEXT) | instid1(VALU_DEP_3)
	v_cndmask_b32_e32 v4, v5, v4, vcc_lo
	v_and_b32_e32 v1, 0x80000000, v1
	s_delay_alu instid0(VALU_DEP_3) | instskip(NEXT) | instid1(VALU_DEP_3)
	v_lshl_add_u32 v5, v7, 23, 0x3b800000
	v_lshlrev_b32_e32 v4, 20, v4
	s_delay_alu instid0(VALU_DEP_1)
	v_or3_b32 v7, v1, v5, v4
.LBB118_1688:
	s_or_b32 exec_lo, exec_lo, s21
.LBB118_1689:
	s_mov_b32 s20, -1
.LBB118_1690:
	s_branch .LBB118_1723
.LBB118_1691:
	s_cmp_gt_i32 s0, 22
	s_cbranch_scc0 .LBB118_1701
; %bb.1692:
	s_cmp_lt_i32 s0, 24
	s_cbranch_scc1 .LBB118_1704
; %bb.1693:
	s_cmp_gt_i32 s0, 24
	s_cbranch_scc0 .LBB118_1705
; %bb.1694:
	global_load_u8 v1, v[2:3], off
	s_mov_b32 s20, exec_lo
	s_wait_loadcnt 0x0
	v_cmpx_lt_i16_e32 0x7f, v1
	s_xor_b32 s20, exec_lo, s20
	s_cbranch_execz .LBB118_1717
; %bb.1695:
	s_mov_b32 s19, -1
	s_mov_b32 s21, exec_lo
	v_cmpx_eq_u16_e32 0x80, v1
; %bb.1696:
	s_xor_b32 s19, exec_lo, -1
; %bb.1697:
	s_or_b32 exec_lo, exec_lo, s21
	s_delay_alu instid0(SALU_CYCLE_1)
	s_and_b32 s19, s19, exec_lo
	s_or_saveexec_b32 s20, s20
	v_mov_b32_e32 v7, 0x7f800001
	s_xor_b32 exec_lo, exec_lo, s20
	s_cbranch_execnz .LBB118_1718
.LBB118_1698:
	s_or_b32 exec_lo, exec_lo, s20
	s_and_saveexec_b32 s20, s19
	s_cbranch_execz .LBB118_1700
.LBB118_1699:
	v_and_b32_e32 v4, 0xffff, v1
	s_delay_alu instid0(VALU_DEP_1) | instskip(SKIP_1) | instid1(VALU_DEP_2)
	v_and_b32_e32 v5, 3, v4
	v_bfe_u32 v9, v4, 2, 5
	v_clz_i32_u32_e32 v7, v5
	s_delay_alu instid0(VALU_DEP_2) | instskip(NEXT) | instid1(VALU_DEP_2)
	v_cmp_eq_u32_e32 vcc_lo, 0, v9
	v_min_u32_e32 v7, 32, v7
	s_delay_alu instid0(VALU_DEP_1) | instskip(NEXT) | instid1(VALU_DEP_1)
	v_subrev_nc_u32_e32 v8, 29, v7
	v_dual_lshlrev_b32 v4, v8, v4 :: v_dual_sub_nc_u32 v7, 30, v7
	s_delay_alu instid0(VALU_DEP_1) | instskip(NEXT) | instid1(VALU_DEP_2)
	v_dual_lshlrev_b32 v1, 24, v1 :: v_dual_bitop2_b32 v4, 3, v4 bitop3:0x40
	v_cndmask_b32_e32 v7, v9, v7, vcc_lo
	s_delay_alu instid0(VALU_DEP_2) | instskip(NEXT) | instid1(VALU_DEP_3)
	v_cndmask_b32_e32 v4, v5, v4, vcc_lo
	v_and_b32_e32 v1, 0x80000000, v1
	s_delay_alu instid0(VALU_DEP_3) | instskip(NEXT) | instid1(VALU_DEP_3)
	v_lshl_add_u32 v5, v7, 23, 0x37800000
	v_lshlrev_b32_e32 v4, 21, v4
	s_delay_alu instid0(VALU_DEP_1)
	v_or3_b32 v7, v1, v5, v4
.LBB118_1700:
	s_or_b32 exec_lo, exec_lo, s20
	s_mov_b32 s19, 0
	s_branch .LBB118_1706
.LBB118_1701:
	s_mov_b32 s19, -1
                                        ; implicit-def: $vgpr7
	s_branch .LBB118_1712
.LBB118_1702:
	s_or_saveexec_b32 s21, s21
	v_mov_b32_e32 v7, 0x7f800001
	s_xor_b32 exec_lo, exec_lo, s21
	s_cbranch_execz .LBB118_1686
.LBB118_1703:
	v_cmp_ne_u16_e32 vcc_lo, 0, v1
	v_mov_b32_e32 v7, 0
	s_and_not1_b32 s20, s20, exec_lo
	s_and_b32 s22, vcc_lo, exec_lo
	s_delay_alu instid0(SALU_CYCLE_1)
	s_or_b32 s20, s20, s22
	s_or_b32 exec_lo, exec_lo, s21
	s_and_saveexec_b32 s21, s20
	s_cbranch_execnz .LBB118_1687
	s_branch .LBB118_1688
.LBB118_1704:
	s_mov_b32 s19, -1
                                        ; implicit-def: $vgpr7
	s_branch .LBB118_1709
.LBB118_1705:
	s_mov_b32 s19, -1
                                        ; implicit-def: $vgpr7
.LBB118_1706:
	s_delay_alu instid0(SALU_CYCLE_1)
	s_and_b32 vcc_lo, exec_lo, s19
	s_cbranch_vccz .LBB118_1708
; %bb.1707:
	global_load_u8 v1, v[2:3], off
	s_wait_loadcnt 0x0
	v_lshlrev_b32_e32 v1, 24, v1
	s_delay_alu instid0(VALU_DEP_1) | instskip(NEXT) | instid1(VALU_DEP_1)
	v_and_b32_e32 v4, 0x7f000000, v1
	v_clz_i32_u32_e32 v5, v4
	v_add_nc_u32_e32 v8, 0x1000000, v4
	v_cmp_ne_u32_e32 vcc_lo, 0, v4
	s_delay_alu instid0(VALU_DEP_3) | instskip(NEXT) | instid1(VALU_DEP_1)
	v_min_u32_e32 v5, 32, v5
	v_sub_nc_u32_e64 v5, v5, 4 clamp
	s_delay_alu instid0(VALU_DEP_1) | instskip(NEXT) | instid1(VALU_DEP_1)
	v_dual_lshlrev_b32 v7, v5, v4 :: v_dual_lshlrev_b32 v5, 23, v5
	v_lshrrev_b32_e32 v7, 4, v7
	s_delay_alu instid0(VALU_DEP_1) | instskip(NEXT) | instid1(VALU_DEP_1)
	v_dual_sub_nc_u32 v5, v7, v5 :: v_dual_ashrrev_i32 v7, 8, v8
	v_add_nc_u32_e32 v5, 0x3c000000, v5
	s_delay_alu instid0(VALU_DEP_1) | instskip(NEXT) | instid1(VALU_DEP_1)
	v_and_or_b32 v5, 0x7f800000, v7, v5
	v_cndmask_b32_e32 v4, 0, v5, vcc_lo
	s_delay_alu instid0(VALU_DEP_1)
	v_and_or_b32 v7, 0x80000000, v1, v4
.LBB118_1708:
	s_mov_b32 s19, 0
.LBB118_1709:
	s_delay_alu instid0(SALU_CYCLE_1)
	s_and_not1_b32 vcc_lo, exec_lo, s19
	s_cbranch_vccnz .LBB118_1711
; %bb.1710:
	global_load_u8 v1, v[2:3], off
	s_wait_loadcnt 0x0
	v_lshlrev_b32_e32 v4, 25, v1
	v_lshlrev_b16 v1, 8, v1
	s_delay_alu instid0(VALU_DEP_1) | instskip(SKIP_1) | instid1(VALU_DEP_2)
	v_and_or_b32 v7, 0x7f00, v1, 0.5
	v_bfe_i32 v1, v1, 0, 16
	v_dual_add_f32 v7, -0.5, v7 :: v_dual_lshrrev_b32 v5, 4, v4
	v_cmp_gt_u32_e32 vcc_lo, 0x8000000, v4
	s_delay_alu instid0(VALU_DEP_2) | instskip(NEXT) | instid1(VALU_DEP_1)
	v_or_b32_e32 v5, 0x70000000, v5
	v_mul_f32_e32 v5, 0x7800000, v5
	s_delay_alu instid0(VALU_DEP_1) | instskip(NEXT) | instid1(VALU_DEP_1)
	v_cndmask_b32_e32 v4, v5, v7, vcc_lo
	v_and_or_b32 v7, 0x80000000, v1, v4
.LBB118_1711:
	s_mov_b32 s19, 0
	s_mov_b32 s20, -1
.LBB118_1712:
	s_and_not1_b32 vcc_lo, exec_lo, s19
	s_mov_b32 s19, 0
	s_cbranch_vccnz .LBB118_1723
; %bb.1713:
	s_cmp_gt_i32 s0, 14
	s_cbranch_scc0 .LBB118_1716
; %bb.1714:
	s_cmp_eq_u32 s0, 15
	s_cbranch_scc0 .LBB118_1719
; %bb.1715:
	global_load_u16 v1, v[2:3], off
	s_mov_b32 s18, 0
	s_mov_b32 s20, -1
	s_wait_loadcnt 0x0
	v_lshlrev_b32_e32 v7, 16, v1
	s_branch .LBB118_1721
.LBB118_1716:
	s_mov_b32 s19, -1
	s_branch .LBB118_1720
.LBB118_1717:
	s_or_saveexec_b32 s20, s20
	v_mov_b32_e32 v7, 0x7f800001
	s_xor_b32 exec_lo, exec_lo, s20
	s_cbranch_execz .LBB118_1698
.LBB118_1718:
	v_cmp_ne_u16_e32 vcc_lo, 0, v1
	v_mov_b32_e32 v7, 0
	s_and_not1_b32 s19, s19, exec_lo
	s_and_b32 s21, vcc_lo, exec_lo
	s_delay_alu instid0(SALU_CYCLE_1)
	s_or_b32 s19, s19, s21
	s_or_b32 exec_lo, exec_lo, s20
	s_and_saveexec_b32 s20, s19
	s_cbranch_execnz .LBB118_1699
	s_branch .LBB118_1700
.LBB118_1719:
	s_mov_b32 s18, -1
.LBB118_1720:
                                        ; implicit-def: $vgpr7
.LBB118_1721:
	s_and_b32 vcc_lo, exec_lo, s19
	s_mov_b32 s19, 0
	s_cbranch_vccz .LBB118_1723
; %bb.1722:
	s_cmp_lg_u32 s0, 11
	s_mov_b32 s19, -1
	s_cselect_b32 s18, -1, 0
.LBB118_1723:
	s_delay_alu instid0(SALU_CYCLE_1)
	s_and_b32 vcc_lo, exec_lo, s18
	s_cbranch_vccnz .LBB118_1786
; %bb.1724:
	s_and_not1_b32 vcc_lo, exec_lo, s19
	s_cbranch_vccnz .LBB118_1726
.LBB118_1725:
	global_load_u8 v1, v[2:3], off
	s_mov_b32 s20, -1
	s_wait_loadcnt 0x0
	v_cmp_ne_u16_e32 vcc_lo, 0, v1
	v_cndmask_b32_e64 v7, 0, 1.0, vcc_lo
.LBB118_1726:
	s_branch .LBB118_1650
.LBB118_1727:
	s_and_b32 s0, 0xffff, s13
	s_delay_alu instid0(SALU_CYCLE_1)
	s_cmp_lt_i32 s0, 5
	s_cbranch_scc1 .LBB118_1732
; %bb.1728:
	s_cmp_lt_i32 s0, 8
	s_cbranch_scc1 .LBB118_1733
; %bb.1729:
	;; [unrolled: 3-line block ×3, first 2 shown]
	s_cmp_gt_i32 s0, 9
	s_cbranch_scc0 .LBB118_1735
; %bb.1731:
	global_load_b64 v[4:5], v[2:3], off
	s_mov_b32 s18, 0
	s_wait_loadcnt 0x0
	v_cvt_f32_f64_e32 v7, v[4:5]
	s_branch .LBB118_1736
.LBB118_1732:
                                        ; implicit-def: $vgpr7
	s_branch .LBB118_1754
.LBB118_1733:
	s_mov_b32 s18, -1
                                        ; implicit-def: $vgpr7
	s_branch .LBB118_1742
.LBB118_1734:
	s_mov_b32 s18, -1
                                        ; implicit-def: $vgpr7
	s_branch .LBB118_1739
.LBB118_1735:
	s_mov_b32 s18, -1
                                        ; implicit-def: $vgpr7
.LBB118_1736:
	s_delay_alu instid0(SALU_CYCLE_1)
	s_and_not1_b32 vcc_lo, exec_lo, s18
	s_cbranch_vccnz .LBB118_1738
; %bb.1737:
	global_load_b32 v7, v[2:3], off
.LBB118_1738:
	s_mov_b32 s18, 0
.LBB118_1739:
	s_delay_alu instid0(SALU_CYCLE_1)
	s_and_not1_b32 vcc_lo, exec_lo, s18
	s_cbranch_vccnz .LBB118_1741
; %bb.1740:
	global_load_b32 v1, v[2:3], off
	s_wait_loadcnt 0x0
	v_cvt_f32_f16_e32 v7, v1
.LBB118_1741:
	s_mov_b32 s18, 0
.LBB118_1742:
	s_delay_alu instid0(SALU_CYCLE_1)
	s_and_not1_b32 vcc_lo, exec_lo, s18
	s_cbranch_vccnz .LBB118_1753
; %bb.1743:
	s_cmp_lt_i32 s0, 6
	s_cbranch_scc1 .LBB118_1746
; %bb.1744:
	s_cmp_gt_i32 s0, 6
	s_cbranch_scc0 .LBB118_1747
; %bb.1745:
	global_load_b64 v[4:5], v[2:3], off
	s_mov_b32 s18, 0
	s_wait_loadcnt 0x0
	v_cvt_f32_f64_e32 v7, v[4:5]
	s_branch .LBB118_1748
.LBB118_1746:
	s_mov_b32 s18, -1
                                        ; implicit-def: $vgpr7
	s_branch .LBB118_1751
.LBB118_1747:
	s_mov_b32 s18, -1
                                        ; implicit-def: $vgpr7
.LBB118_1748:
	s_delay_alu instid0(SALU_CYCLE_1)
	s_and_not1_b32 vcc_lo, exec_lo, s18
	s_cbranch_vccnz .LBB118_1750
; %bb.1749:
	s_wait_loadcnt 0x0
	global_load_b32 v7, v[2:3], off
.LBB118_1750:
	s_mov_b32 s18, 0
.LBB118_1751:
	s_delay_alu instid0(SALU_CYCLE_1)
	s_and_not1_b32 vcc_lo, exec_lo, s18
	s_cbranch_vccnz .LBB118_1753
; %bb.1752:
	global_load_u16 v1, v[2:3], off
	s_wait_loadcnt 0x0
	v_cvt_f32_f16_e32 v7, v1
.LBB118_1753:
	s_cbranch_execnz .LBB118_1773
.LBB118_1754:
	s_cmp_lt_i32 s0, 2
	s_cbranch_scc1 .LBB118_1758
; %bb.1755:
	s_cmp_lt_i32 s0, 3
	s_cbranch_scc1 .LBB118_1759
; %bb.1756:
	s_cmp_gt_i32 s0, 3
	s_cbranch_scc0 .LBB118_1760
; %bb.1757:
	global_load_b64 v[4:5], v[2:3], off
	s_mov_b32 s18, 0
	s_wait_loadcnt 0x0
	v_xor_b32_e32 v1, v4, v5
	v_cls_i32_e32 v7, v5
	s_delay_alu instid0(VALU_DEP_2) | instskip(NEXT) | instid1(VALU_DEP_1)
	v_ashrrev_i32_e32 v1, 31, v1
	v_add_nc_u32_e32 v1, 32, v1
	s_delay_alu instid0(VALU_DEP_1) | instskip(NEXT) | instid1(VALU_DEP_1)
	v_add_min_u32_e64 v1, v7, -1, v1
	v_lshlrev_b64_e32 v[4:5], v1, v[4:5]
	v_sub_nc_u32_e32 v1, 32, v1
	s_delay_alu instid0(VALU_DEP_2) | instskip(NEXT) | instid1(VALU_DEP_1)
	v_min_u32_e32 v4, 1, v4
	v_or_b32_e32 v4, v5, v4
	s_delay_alu instid0(VALU_DEP_1) | instskip(NEXT) | instid1(VALU_DEP_1)
	v_cvt_f32_i32_e32 v4, v4
	v_ldexp_f32 v7, v4, v1
	s_branch .LBB118_1761
.LBB118_1758:
	s_mov_b32 s18, -1
                                        ; implicit-def: $vgpr7
	s_branch .LBB118_1767
.LBB118_1759:
	s_mov_b32 s18, -1
                                        ; implicit-def: $vgpr7
	s_branch .LBB118_1764
.LBB118_1760:
	s_mov_b32 s18, -1
                                        ; implicit-def: $vgpr7
.LBB118_1761:
	s_delay_alu instid0(SALU_CYCLE_1)
	s_and_not1_b32 vcc_lo, exec_lo, s18
	s_cbranch_vccnz .LBB118_1763
; %bb.1762:
	global_load_b32 v1, v[2:3], off
	s_wait_loadcnt 0x0
	v_cvt_f32_i32_e32 v7, v1
.LBB118_1763:
	s_mov_b32 s18, 0
.LBB118_1764:
	s_delay_alu instid0(SALU_CYCLE_1)
	s_and_not1_b32 vcc_lo, exec_lo, s18
	s_cbranch_vccnz .LBB118_1766
; %bb.1765:
	global_load_i16 v1, v[2:3], off
	s_wait_loadcnt 0x0
	v_cvt_f32_i32_e32 v7, v1
.LBB118_1766:
	s_mov_b32 s18, 0
.LBB118_1767:
	s_delay_alu instid0(SALU_CYCLE_1)
	s_and_not1_b32 vcc_lo, exec_lo, s18
	s_cbranch_vccnz .LBB118_1773
; %bb.1768:
	s_cmp_gt_i32 s0, 0
	s_mov_b32 s0, 0
	s_cbranch_scc0 .LBB118_1770
; %bb.1769:
	global_load_i8 v1, v[2:3], off
	s_wait_loadcnt 0x0
	v_cvt_f32_i32_e32 v7, v1
	s_branch .LBB118_1771
.LBB118_1770:
	s_mov_b32 s0, -1
                                        ; implicit-def: $vgpr7
.LBB118_1771:
	s_delay_alu instid0(SALU_CYCLE_1)
	s_and_not1_b32 vcc_lo, exec_lo, s0
	s_cbranch_vccnz .LBB118_1773
; %bb.1772:
	global_load_u8 v1, v[2:3], off
	s_wait_loadcnt 0x0
	v_cvt_f32_ubyte0_e32 v7, v1
.LBB118_1773:
.LBB118_1774:
	s_wait_xcnt 0x0
	v_mul_lo_u32 v2, s5, v6
	s_and_b32 s0, 0xffff, s1
	s_delay_alu instid0(SALU_CYCLE_1) | instskip(NEXT) | instid1(VALU_DEP_1)
	s_cmp_lt_i32 s0, 11
	v_ashrrev_i32_e32 v3, 31, v2
	s_delay_alu instid0(VALU_DEP_1)
	v_add_nc_u64_e32 v[4:5], s[10:11], v[2:3]
	s_cbranch_scc1 .LBB118_1781
; %bb.1775:
	s_cmp_gt_i32 s0, 25
	s_mov_b32 s18, 0
	s_cbranch_scc0 .LBB118_1783
; %bb.1776:
	s_cmp_gt_i32 s0, 28
	s_cbranch_scc0 .LBB118_1784
; %bb.1777:
	s_cmp_gt_i32 s0, 43
	;; [unrolled: 3-line block ×3, first 2 shown]
	s_cbranch_scc0 .LBB118_1787
; %bb.1779:
	s_cmp_eq_u32 s0, 46
	s_mov_b32 s20, 0
	s_cbranch_scc0 .LBB118_1788
; %bb.1780:
	global_load_b32 v1, v[4:5], off
	s_mov_b32 s1, 0
	s_mov_b32 s19, -1
	s_wait_loadcnt 0x0
	v_lshlrev_b32_e32 v8, 16, v1
	s_branch .LBB118_1790
.LBB118_1781:
	s_mov_b32 s19, 0
                                        ; implicit-def: $vgpr8
	s_cbranch_execnz .LBB118_1856
.LBB118_1782:
	s_and_not1_b32 vcc_lo, exec_lo, s19
	s_cbranch_vccz .LBB118_1904
	s_branch .LBB118_3190
.LBB118_1783:
	s_mov_b32 s20, -1
	s_mov_b32 s19, 0
	s_mov_b32 s1, 0
                                        ; implicit-def: $vgpr8
	s_branch .LBB118_1819
.LBB118_1784:
	s_mov_b32 s20, -1
	s_mov_b32 s19, 0
	s_mov_b32 s1, 0
                                        ; implicit-def: $vgpr8
	s_branch .LBB118_1800
.LBB118_1785:
	s_mov_b32 s20, -1
	s_mov_b32 s19, 0
	s_mov_b32 s1, 0
                                        ; implicit-def: $vgpr8
	s_branch .LBB118_1795
.LBB118_1786:
	s_or_b32 s14, s14, exec_lo
	s_trap 2
	s_cbranch_execz .LBB118_1725
	s_branch .LBB118_1726
.LBB118_1787:
	s_mov_b32 s20, -1
	s_mov_b32 s19, 0
	s_mov_b32 s1, 0
	s_branch .LBB118_1789
.LBB118_1788:
	s_mov_b32 s1, -1
	s_mov_b32 s19, 0
.LBB118_1789:
                                        ; implicit-def: $vgpr8
.LBB118_1790:
	s_and_b32 vcc_lo, exec_lo, s20
	s_cbranch_vccz .LBB118_1794
; %bb.1791:
	s_cmp_eq_u32 s0, 44
	s_cbranch_scc0 .LBB118_1793
; %bb.1792:
	global_load_u8 v1, v[4:5], off
	s_mov_b32 s1, 0
	s_mov_b32 s19, -1
	s_wait_loadcnt 0x0
	v_lshlrev_b32_e32 v3, 23, v1
	v_cmp_ne_u32_e32 vcc_lo, 0xff, v1
	s_delay_alu instid0(VALU_DEP_2) | instskip(SKIP_1) | instid1(VALU_DEP_2)
	v_cndmask_b32_e32 v3, 0x7f800001, v3, vcc_lo
	v_cmp_ne_u32_e32 vcc_lo, 0, v1
	v_cndmask_b32_e32 v8, 0x400000, v3, vcc_lo
	s_branch .LBB118_1794
.LBB118_1793:
	s_mov_b32 s1, -1
                                        ; implicit-def: $vgpr8
.LBB118_1794:
	s_mov_b32 s20, 0
.LBB118_1795:
	s_delay_alu instid0(SALU_CYCLE_1)
	s_and_b32 vcc_lo, exec_lo, s20
	s_cbranch_vccz .LBB118_1799
; %bb.1796:
	s_cmp_eq_u32 s0, 29
	s_cbranch_scc0 .LBB118_1798
; %bb.1797:
	global_load_b64 v[8:9], v[4:5], off
	s_mov_b32 s1, 0
	s_mov_b32 s19, -1
	s_mov_b32 s20, 0
	s_wait_loadcnt 0x0
	v_clz_i32_u32_e32 v1, v9
	s_delay_alu instid0(VALU_DEP_1) | instskip(NEXT) | instid1(VALU_DEP_1)
	v_min_u32_e32 v1, 32, v1
	v_lshlrev_b64_e32 v[8:9], v1, v[8:9]
	v_sub_nc_u32_e32 v1, 32, v1
	s_delay_alu instid0(VALU_DEP_2) | instskip(NEXT) | instid1(VALU_DEP_1)
	v_min_u32_e32 v3, 1, v8
	v_or_b32_e32 v3, v9, v3
	s_delay_alu instid0(VALU_DEP_1) | instskip(NEXT) | instid1(VALU_DEP_1)
	v_cvt_f32_u32_e32 v3, v3
	v_ldexp_f32 v8, v3, v1
	s_branch .LBB118_1800
.LBB118_1798:
	s_mov_b32 s1, -1
                                        ; implicit-def: $vgpr8
.LBB118_1799:
	s_mov_b32 s20, 0
.LBB118_1800:
	s_delay_alu instid0(SALU_CYCLE_1)
	s_and_b32 vcc_lo, exec_lo, s20
	s_cbranch_vccz .LBB118_1818
; %bb.1801:
	s_cmp_lt_i32 s0, 27
	s_cbranch_scc1 .LBB118_1804
; %bb.1802:
	s_cmp_gt_i32 s0, 27
	s_cbranch_scc0 .LBB118_1805
; %bb.1803:
	global_load_b32 v1, v[4:5], off
	s_mov_b32 s19, 0
	s_wait_loadcnt 0x0
	v_cvt_f32_u32_e32 v8, v1
	s_branch .LBB118_1806
.LBB118_1804:
	s_mov_b32 s19, -1
                                        ; implicit-def: $vgpr8
	s_branch .LBB118_1809
.LBB118_1805:
	s_mov_b32 s19, -1
                                        ; implicit-def: $vgpr8
.LBB118_1806:
	s_delay_alu instid0(SALU_CYCLE_1)
	s_and_not1_b32 vcc_lo, exec_lo, s19
	s_cbranch_vccnz .LBB118_1808
; %bb.1807:
	global_load_u16 v1, v[4:5], off
	s_wait_loadcnt 0x0
	v_cvt_f32_u32_e32 v8, v1
.LBB118_1808:
	s_mov_b32 s19, 0
.LBB118_1809:
	s_delay_alu instid0(SALU_CYCLE_1)
	s_and_not1_b32 vcc_lo, exec_lo, s19
	s_cbranch_vccnz .LBB118_1817
; %bb.1810:
	global_load_u8 v1, v[4:5], off
	s_mov_b32 s19, 0
	s_mov_b32 s20, exec_lo
	s_wait_loadcnt 0x0
	v_cmpx_lt_i16_e32 0x7f, v1
	s_xor_b32 s20, exec_lo, s20
	s_cbranch_execz .LBB118_1831
; %bb.1811:
	s_mov_b32 s19, -1
	s_mov_b32 s21, exec_lo
	v_cmpx_eq_u16_e32 0x80, v1
; %bb.1812:
	s_xor_b32 s19, exec_lo, -1
; %bb.1813:
	s_or_b32 exec_lo, exec_lo, s21
	s_delay_alu instid0(SALU_CYCLE_1)
	s_and_b32 s19, s19, exec_lo
	s_or_saveexec_b32 s20, s20
	v_mov_b32_e32 v8, 0x7f800001
	s_xor_b32 exec_lo, exec_lo, s20
	s_cbranch_execnz .LBB118_1832
.LBB118_1814:
	s_or_b32 exec_lo, exec_lo, s20
	s_and_saveexec_b32 s20, s19
	s_cbranch_execz .LBB118_1816
.LBB118_1815:
	v_and_b32_e32 v3, 0xffff, v1
	s_delay_alu instid0(VALU_DEP_1) | instskip(SKIP_1) | instid1(VALU_DEP_2)
	v_and_b32_e32 v8, 7, v3
	v_bfe_u32 v11, v3, 3, 4
	v_clz_i32_u32_e32 v9, v8
	s_delay_alu instid0(VALU_DEP_2) | instskip(NEXT) | instid1(VALU_DEP_2)
	v_cmp_eq_u32_e32 vcc_lo, 0, v11
	v_min_u32_e32 v9, 32, v9
	s_delay_alu instid0(VALU_DEP_1) | instskip(NEXT) | instid1(VALU_DEP_1)
	v_subrev_nc_u32_e32 v10, 28, v9
	v_dual_lshlrev_b32 v3, v10, v3 :: v_dual_sub_nc_u32 v9, 29, v9
	s_delay_alu instid0(VALU_DEP_1) | instskip(NEXT) | instid1(VALU_DEP_1)
	v_dual_lshlrev_b32 v1, 24, v1 :: v_dual_bitop2_b32 v3, 7, v3 bitop3:0x40
	v_dual_cndmask_b32 v3, v8, v3, vcc_lo :: v_dual_cndmask_b32 v9, v11, v9, vcc_lo
	s_delay_alu instid0(VALU_DEP_2) | instskip(NEXT) | instid1(VALU_DEP_2)
	v_and_b32_e32 v1, 0x80000000, v1
	v_lshlrev_b32_e32 v3, 20, v3
	s_delay_alu instid0(VALU_DEP_3) | instskip(NEXT) | instid1(VALU_DEP_1)
	v_lshl_add_u32 v8, v9, 23, 0x3b800000
	v_or3_b32 v8, v1, v8, v3
.LBB118_1816:
	s_or_b32 exec_lo, exec_lo, s20
.LBB118_1817:
	s_mov_b32 s19, -1
.LBB118_1818:
	s_mov_b32 s20, 0
.LBB118_1819:
	s_delay_alu instid0(SALU_CYCLE_1)
	s_and_b32 vcc_lo, exec_lo, s20
	s_cbranch_vccz .LBB118_1852
; %bb.1820:
	s_cmp_gt_i32 s0, 22
	s_cbranch_scc0 .LBB118_1830
; %bb.1821:
	s_cmp_lt_i32 s0, 24
	s_cbranch_scc1 .LBB118_1833
; %bb.1822:
	s_cmp_gt_i32 s0, 24
	s_cbranch_scc0 .LBB118_1834
; %bb.1823:
	global_load_u8 v1, v[4:5], off
	s_mov_b32 s19, exec_lo
	s_wait_loadcnt 0x0
	v_cmpx_lt_i16_e32 0x7f, v1
	s_xor_b32 s19, exec_lo, s19
	s_cbranch_execz .LBB118_1846
; %bb.1824:
	s_mov_b32 s18, -1
	s_mov_b32 s20, exec_lo
	v_cmpx_eq_u16_e32 0x80, v1
; %bb.1825:
	s_xor_b32 s18, exec_lo, -1
; %bb.1826:
	s_or_b32 exec_lo, exec_lo, s20
	s_delay_alu instid0(SALU_CYCLE_1)
	s_and_b32 s18, s18, exec_lo
	s_or_saveexec_b32 s19, s19
	v_mov_b32_e32 v8, 0x7f800001
	s_xor_b32 exec_lo, exec_lo, s19
	s_cbranch_execnz .LBB118_1847
.LBB118_1827:
	s_or_b32 exec_lo, exec_lo, s19
	s_and_saveexec_b32 s19, s18
	s_cbranch_execz .LBB118_1829
.LBB118_1828:
	v_and_b32_e32 v3, 0xffff, v1
	s_delay_alu instid0(VALU_DEP_1) | instskip(SKIP_1) | instid1(VALU_DEP_2)
	v_and_b32_e32 v8, 3, v3
	v_bfe_u32 v11, v3, 2, 5
	v_clz_i32_u32_e32 v9, v8
	s_delay_alu instid0(VALU_DEP_2) | instskip(NEXT) | instid1(VALU_DEP_2)
	v_cmp_eq_u32_e32 vcc_lo, 0, v11
	v_min_u32_e32 v9, 32, v9
	s_delay_alu instid0(VALU_DEP_1) | instskip(NEXT) | instid1(VALU_DEP_1)
	v_subrev_nc_u32_e32 v10, 29, v9
	v_dual_lshlrev_b32 v3, v10, v3 :: v_dual_sub_nc_u32 v9, 30, v9
	s_delay_alu instid0(VALU_DEP_1) | instskip(NEXT) | instid1(VALU_DEP_1)
	v_dual_lshlrev_b32 v1, 24, v1 :: v_dual_bitop2_b32 v3, 3, v3 bitop3:0x40
	v_dual_cndmask_b32 v3, v8, v3, vcc_lo :: v_dual_cndmask_b32 v9, v11, v9, vcc_lo
	s_delay_alu instid0(VALU_DEP_2) | instskip(NEXT) | instid1(VALU_DEP_2)
	v_and_b32_e32 v1, 0x80000000, v1
	v_lshlrev_b32_e32 v3, 21, v3
	s_delay_alu instid0(VALU_DEP_3) | instskip(NEXT) | instid1(VALU_DEP_1)
	v_lshl_add_u32 v8, v9, 23, 0x37800000
	v_or3_b32 v8, v1, v8, v3
.LBB118_1829:
	s_or_b32 exec_lo, exec_lo, s19
	s_mov_b32 s18, 0
	s_branch .LBB118_1835
.LBB118_1830:
	s_mov_b32 s18, -1
                                        ; implicit-def: $vgpr8
	s_branch .LBB118_1841
.LBB118_1831:
	s_or_saveexec_b32 s20, s20
	v_mov_b32_e32 v8, 0x7f800001
	s_xor_b32 exec_lo, exec_lo, s20
	s_cbranch_execz .LBB118_1814
.LBB118_1832:
	v_cmp_ne_u16_e32 vcc_lo, 0, v1
	v_mov_b32_e32 v8, 0
	s_and_not1_b32 s19, s19, exec_lo
	s_and_b32 s21, vcc_lo, exec_lo
	s_delay_alu instid0(SALU_CYCLE_1)
	s_or_b32 s19, s19, s21
	s_or_b32 exec_lo, exec_lo, s20
	s_and_saveexec_b32 s20, s19
	s_cbranch_execnz .LBB118_1815
	s_branch .LBB118_1816
.LBB118_1833:
	s_mov_b32 s18, -1
                                        ; implicit-def: $vgpr8
	s_branch .LBB118_1838
.LBB118_1834:
	s_mov_b32 s18, -1
                                        ; implicit-def: $vgpr8
.LBB118_1835:
	s_delay_alu instid0(SALU_CYCLE_1)
	s_and_b32 vcc_lo, exec_lo, s18
	s_cbranch_vccz .LBB118_1837
; %bb.1836:
	global_load_u8 v1, v[4:5], off
	s_wait_loadcnt 0x0
	v_lshlrev_b32_e32 v1, 24, v1
	s_delay_alu instid0(VALU_DEP_1) | instskip(NEXT) | instid1(VALU_DEP_1)
	v_and_b32_e32 v3, 0x7f000000, v1
	v_clz_i32_u32_e32 v8, v3
	v_cmp_ne_u32_e32 vcc_lo, 0, v3
	v_add_nc_u32_e32 v10, 0x1000000, v3
	s_delay_alu instid0(VALU_DEP_3) | instskip(NEXT) | instid1(VALU_DEP_1)
	v_min_u32_e32 v8, 32, v8
	v_sub_nc_u32_e64 v8, v8, 4 clamp
	s_delay_alu instid0(VALU_DEP_1) | instskip(NEXT) | instid1(VALU_DEP_1)
	v_dual_lshlrev_b32 v9, v8, v3 :: v_dual_lshlrev_b32 v8, 23, v8
	v_lshrrev_b32_e32 v9, 4, v9
	s_delay_alu instid0(VALU_DEP_1) | instskip(NEXT) | instid1(VALU_DEP_1)
	v_dual_sub_nc_u32 v8, v9, v8 :: v_dual_ashrrev_i32 v9, 8, v10
	v_add_nc_u32_e32 v8, 0x3c000000, v8
	s_delay_alu instid0(VALU_DEP_1) | instskip(NEXT) | instid1(VALU_DEP_1)
	v_and_or_b32 v8, 0x7f800000, v9, v8
	v_cndmask_b32_e32 v3, 0, v8, vcc_lo
	s_delay_alu instid0(VALU_DEP_1)
	v_and_or_b32 v8, 0x80000000, v1, v3
.LBB118_1837:
	s_mov_b32 s18, 0
.LBB118_1838:
	s_delay_alu instid0(SALU_CYCLE_1)
	s_and_not1_b32 vcc_lo, exec_lo, s18
	s_cbranch_vccnz .LBB118_1840
; %bb.1839:
	global_load_u8 v1, v[4:5], off
	s_wait_loadcnt 0x0
	v_lshlrev_b32_e32 v3, 25, v1
	v_lshlrev_b16 v1, 8, v1
	s_delay_alu instid0(VALU_DEP_1) | instskip(NEXT) | instid1(VALU_DEP_3)
	v_and_or_b32 v9, 0x7f00, v1, 0.5
	v_lshrrev_b32_e32 v8, 4, v3
	v_bfe_i32 v1, v1, 0, 16
	s_delay_alu instid0(VALU_DEP_3) | instskip(NEXT) | instid1(VALU_DEP_3)
	v_add_f32_e32 v9, -0.5, v9
	v_or_b32_e32 v8, 0x70000000, v8
	s_delay_alu instid0(VALU_DEP_1) | instskip(SKIP_1) | instid1(VALU_DEP_2)
	v_mul_f32_e32 v8, 0x7800000, v8
	v_cmp_gt_u32_e32 vcc_lo, 0x8000000, v3
	v_cndmask_b32_e32 v3, v8, v9, vcc_lo
	s_delay_alu instid0(VALU_DEP_1)
	v_and_or_b32 v8, 0x80000000, v1, v3
.LBB118_1840:
	s_mov_b32 s18, 0
	s_mov_b32 s19, -1
.LBB118_1841:
	s_and_not1_b32 vcc_lo, exec_lo, s18
	s_mov_b32 s18, 0
	s_cbranch_vccnz .LBB118_1852
; %bb.1842:
	s_cmp_gt_i32 s0, 14
	s_cbranch_scc0 .LBB118_1845
; %bb.1843:
	s_cmp_eq_u32 s0, 15
	s_cbranch_scc0 .LBB118_1848
; %bb.1844:
	global_load_u16 v1, v[4:5], off
	s_mov_b32 s1, 0
	s_mov_b32 s19, -1
	s_wait_loadcnt 0x0
	v_lshlrev_b32_e32 v8, 16, v1
	s_branch .LBB118_1850
.LBB118_1845:
	s_mov_b32 s18, -1
	s_branch .LBB118_1849
.LBB118_1846:
	s_or_saveexec_b32 s19, s19
	v_mov_b32_e32 v8, 0x7f800001
	s_xor_b32 exec_lo, exec_lo, s19
	s_cbranch_execz .LBB118_1827
.LBB118_1847:
	v_cmp_ne_u16_e32 vcc_lo, 0, v1
	v_mov_b32_e32 v8, 0
	s_and_not1_b32 s18, s18, exec_lo
	s_and_b32 s20, vcc_lo, exec_lo
	s_delay_alu instid0(SALU_CYCLE_1)
	s_or_b32 s18, s18, s20
	s_or_b32 exec_lo, exec_lo, s19
	s_and_saveexec_b32 s19, s18
	s_cbranch_execnz .LBB118_1828
	s_branch .LBB118_1829
.LBB118_1848:
	s_mov_b32 s1, -1
.LBB118_1849:
                                        ; implicit-def: $vgpr8
.LBB118_1850:
	s_and_b32 vcc_lo, exec_lo, s18
	s_mov_b32 s18, 0
	s_cbranch_vccz .LBB118_1852
; %bb.1851:
	s_cmp_lg_u32 s0, 11
	s_mov_b32 s18, -1
	s_cselect_b32 s1, -1, 0
.LBB118_1852:
	s_delay_alu instid0(SALU_CYCLE_1)
	s_and_b32 vcc_lo, exec_lo, s1
	s_cbranch_vccnz .LBB118_1934
; %bb.1853:
	s_and_not1_b32 vcc_lo, exec_lo, s18
	s_cbranch_vccnz .LBB118_1855
.LBB118_1854:
	global_load_u8 v1, v[4:5], off
	s_mov_b32 s19, -1
	s_wait_loadcnt 0x0
	v_cmp_ne_u16_e32 vcc_lo, 0, v1
	v_cndmask_b32_e64 v8, 0, 1.0, vcc_lo
.LBB118_1855:
	s_branch .LBB118_1782
.LBB118_1856:
	s_cmp_lt_i32 s0, 5
	s_cbranch_scc1 .LBB118_1861
; %bb.1857:
	s_cmp_lt_i32 s0, 8
	s_cbranch_scc1 .LBB118_1862
; %bb.1858:
	;; [unrolled: 3-line block ×3, first 2 shown]
	s_cmp_gt_i32 s0, 9
	s_cbranch_scc0 .LBB118_1864
; %bb.1860:
	global_load_b64 v[8:9], v[4:5], off
	s_mov_b32 s1, 0
	s_wait_loadcnt 0x0
	v_cvt_f32_f64_e32 v8, v[8:9]
	s_branch .LBB118_1865
.LBB118_1861:
	s_mov_b32 s1, -1
                                        ; implicit-def: $vgpr8
	s_branch .LBB118_1883
.LBB118_1862:
	s_mov_b32 s1, -1
                                        ; implicit-def: $vgpr8
	s_branch .LBB118_1871
.LBB118_1863:
	s_mov_b32 s1, -1
                                        ; implicit-def: $vgpr8
	s_branch .LBB118_1868
.LBB118_1864:
	s_mov_b32 s1, -1
                                        ; implicit-def: $vgpr8
.LBB118_1865:
	s_delay_alu instid0(SALU_CYCLE_1)
	s_and_not1_b32 vcc_lo, exec_lo, s1
	s_cbranch_vccnz .LBB118_1867
; %bb.1866:
	global_load_b32 v8, v[4:5], off
.LBB118_1867:
	s_mov_b32 s1, 0
.LBB118_1868:
	s_delay_alu instid0(SALU_CYCLE_1)
	s_and_not1_b32 vcc_lo, exec_lo, s1
	s_cbranch_vccnz .LBB118_1870
; %bb.1869:
	global_load_b32 v1, v[4:5], off
	s_wait_loadcnt 0x0
	v_cvt_f32_f16_e32 v8, v1
.LBB118_1870:
	s_mov_b32 s1, 0
.LBB118_1871:
	s_delay_alu instid0(SALU_CYCLE_1)
	s_and_not1_b32 vcc_lo, exec_lo, s1
	s_cbranch_vccnz .LBB118_1882
; %bb.1872:
	s_cmp_lt_i32 s0, 6
	s_cbranch_scc1 .LBB118_1875
; %bb.1873:
	s_cmp_gt_i32 s0, 6
	s_cbranch_scc0 .LBB118_1876
; %bb.1874:
	s_wait_loadcnt 0x0
	global_load_b64 v[8:9], v[4:5], off
	s_mov_b32 s1, 0
	s_wait_loadcnt 0x0
	v_cvt_f32_f64_e32 v8, v[8:9]
	s_branch .LBB118_1877
.LBB118_1875:
	s_mov_b32 s1, -1
                                        ; implicit-def: $vgpr8
	s_branch .LBB118_1880
.LBB118_1876:
	s_mov_b32 s1, -1
                                        ; implicit-def: $vgpr8
.LBB118_1877:
	s_delay_alu instid0(SALU_CYCLE_1)
	s_and_not1_b32 vcc_lo, exec_lo, s1
	s_cbranch_vccnz .LBB118_1879
; %bb.1878:
	s_wait_loadcnt 0x0
	global_load_b32 v8, v[4:5], off
.LBB118_1879:
	s_mov_b32 s1, 0
.LBB118_1880:
	s_delay_alu instid0(SALU_CYCLE_1)
	s_and_not1_b32 vcc_lo, exec_lo, s1
	s_cbranch_vccnz .LBB118_1882
; %bb.1881:
	global_load_u16 v1, v[4:5], off
	s_wait_loadcnt 0x0
	v_cvt_f32_f16_e32 v8, v1
.LBB118_1882:
	s_mov_b32 s1, 0
.LBB118_1883:
	s_delay_alu instid0(SALU_CYCLE_1)
	s_and_not1_b32 vcc_lo, exec_lo, s1
	s_cbranch_vccnz .LBB118_1903
; %bb.1884:
	s_cmp_lt_i32 s0, 2
	s_cbranch_scc1 .LBB118_1888
; %bb.1885:
	s_cmp_lt_i32 s0, 3
	s_cbranch_scc1 .LBB118_1889
; %bb.1886:
	s_cmp_gt_i32 s0, 3
	s_cbranch_scc0 .LBB118_1890
; %bb.1887:
	s_wait_loadcnt 0x0
	global_load_b64 v[8:9], v[4:5], off
	s_mov_b32 s1, 0
	s_wait_loadcnt 0x0
	v_xor_b32_e32 v1, v8, v9
	v_cls_i32_e32 v3, v9
	s_delay_alu instid0(VALU_DEP_2) | instskip(NEXT) | instid1(VALU_DEP_1)
	v_ashrrev_i32_e32 v1, 31, v1
	v_add_nc_u32_e32 v1, 32, v1
	s_delay_alu instid0(VALU_DEP_1) | instskip(NEXT) | instid1(VALU_DEP_1)
	v_add_min_u32_e64 v1, v3, -1, v1
	v_lshlrev_b64_e32 v[8:9], v1, v[8:9]
	v_sub_nc_u32_e32 v1, 32, v1
	s_delay_alu instid0(VALU_DEP_2) | instskip(NEXT) | instid1(VALU_DEP_1)
	v_min_u32_e32 v3, 1, v8
	v_or_b32_e32 v3, v9, v3
	s_delay_alu instid0(VALU_DEP_1) | instskip(NEXT) | instid1(VALU_DEP_1)
	v_cvt_f32_i32_e32 v3, v3
	v_ldexp_f32 v8, v3, v1
	s_branch .LBB118_1891
.LBB118_1888:
	s_mov_b32 s1, -1
                                        ; implicit-def: $vgpr8
	s_branch .LBB118_1897
.LBB118_1889:
	s_mov_b32 s1, -1
                                        ; implicit-def: $vgpr8
	s_branch .LBB118_1894
.LBB118_1890:
	s_mov_b32 s1, -1
                                        ; implicit-def: $vgpr8
.LBB118_1891:
	s_delay_alu instid0(SALU_CYCLE_1)
	s_and_not1_b32 vcc_lo, exec_lo, s1
	s_cbranch_vccnz .LBB118_1893
; %bb.1892:
	global_load_b32 v1, v[4:5], off
	s_wait_loadcnt 0x0
	v_cvt_f32_i32_e32 v8, v1
.LBB118_1893:
	s_mov_b32 s1, 0
.LBB118_1894:
	s_delay_alu instid0(SALU_CYCLE_1)
	s_and_not1_b32 vcc_lo, exec_lo, s1
	s_cbranch_vccnz .LBB118_1896
; %bb.1895:
	global_load_i16 v1, v[4:5], off
	s_wait_loadcnt 0x0
	v_cvt_f32_i32_e32 v8, v1
.LBB118_1896:
	s_mov_b32 s1, 0
.LBB118_1897:
	s_delay_alu instid0(SALU_CYCLE_1)
	s_and_not1_b32 vcc_lo, exec_lo, s1
	s_cbranch_vccnz .LBB118_1903
; %bb.1898:
	s_cmp_gt_i32 s0, 0
	s_mov_b32 s1, 0
	s_cbranch_scc0 .LBB118_1900
; %bb.1899:
	global_load_i8 v1, v[4:5], off
	s_wait_loadcnt 0x0
	v_cvt_f32_i32_e32 v8, v1
	s_branch .LBB118_1901
.LBB118_1900:
	s_mov_b32 s1, -1
                                        ; implicit-def: $vgpr8
.LBB118_1901:
	s_delay_alu instid0(SALU_CYCLE_1)
	s_and_not1_b32 vcc_lo, exec_lo, s1
	s_cbranch_vccnz .LBB118_1903
; %bb.1902:
	global_load_u8 v1, v[4:5], off
	s_wait_loadcnt 0x0
	v_cvt_f32_ubyte0_e32 v8, v1
.LBB118_1903:
.LBB118_1904:
	s_cmp_lt_i32 s15, 23
	s_cbranch_scc1 .LBB118_1908
; %bb.1905:
	s_and_b32 s19, 0xffff, s15
	s_delay_alu instid0(SALU_CYCLE_1)
	s_cmp_gt_i32 s19, 43
	s_cbranch_scc0 .LBB118_1909
; %bb.1906:
	s_cmp_gt_i32 s19, 45
	s_cbranch_scc0 .LBB118_1910
; %bb.1907:
	s_cmp_lg_u32 s19, 46
	s_mov_b32 s20, 0
	s_mov_b32 s1, -1
	s_cselect_b32 s18, -1, 0
	s_branch .LBB118_1911
.LBB118_1908:
	s_mov_b32 s19, -1
	s_mov_b32 s1, 0
	s_mov_b32 s18, 0
	s_branch .LBB118_1917
.LBB118_1909:
	s_mov_b32 s20, -1
	s_mov_b32 s1, 0
	s_mov_b32 s18, 0
	s_branch .LBB118_1914
.LBB118_1910:
	s_mov_b32 s20, -1
	s_mov_b32 s1, 0
	s_mov_b32 s18, 0
.LBB118_1911:
	s_and_not1_b32 vcc_lo, exec_lo, s20
	s_cbranch_vccnz .LBB118_1913
; %bb.1912:
	s_cmp_eq_u32 s19, 44
	s_cselect_b32 s1, -1, 0
	s_cmp_lg_u32 s19, 44
	s_cselect_b32 s18, -1, 0
.LBB118_1913:
	s_mov_b32 s20, 0
.LBB118_1914:
	s_delay_alu instid0(SALU_CYCLE_1)
	s_and_b32 vcc_lo, exec_lo, s20
	s_cbranch_vccz .LBB118_1916
; %bb.1915:
	s_cmp_lt_i32 s19, 30
	s_cselect_b32 s1, -1, 0
	s_cmp_gt_i32 s19, 29
	s_cselect_b32 s18, -1, 0
.LBB118_1916:
	s_mov_b32 s19, 0
.LBB118_1917:
	s_delay_alu instid0(SALU_CYCLE_1)
	s_and_b32 vcc_lo, exec_lo, s19
	s_cbranch_vccz .LBB118_1922
; %bb.1918:
	s_and_b32 s19, 0xffff, s15
	s_mov_b32 s20, -1
	s_cmp_gt_i32 s19, 14
	s_cbranch_scc0 .LBB118_1920
; %bb.1919:
	s_cmp_eq_u32 s19, 15
	s_mov_b32 s20, 0
	s_cselect_b32 s1, -1, 0
	s_cmp_lg_u32 s19, 15
	s_cselect_b32 s18, -1, 0
.LBB118_1920:
	s_and_not1_b32 vcc_lo, exec_lo, s20
	s_cbranch_vccnz .LBB118_1922
; %bb.1921:
	s_cmp_lt_i32 s19, 12
	s_cselect_b32 s1, -1, 0
	s_cmp_gt_i32 s19, 11
	s_cselect_b32 s18, -1, 0
.LBB118_1922:
	s_delay_alu instid0(SALU_CYCLE_1)
	s_and_b32 vcc_lo, exec_lo, s18
	s_cbranch_vccnz .LBB118_1935
; %bb.1923:
	s_and_not1_b32 vcc_lo, exec_lo, s1
	s_cbranch_vccnz .LBB118_3190
.LBB118_1924:
	s_lshl_b32 s1, s4, 7
	s_cmp_lt_i32 s13, 11
	v_add_nc_u32_e32 v0, s1, v0
	s_delay_alu instid0(VALU_DEP_1) | instskip(SKIP_1) | instid1(VALU_DEP_1)
	v_ashrrev_i32_e32 v1, 31, v0
	s_wait_xcnt 0x0
	v_add_nc_u64_e32 v[4:5], s[8:9], v[0:1]
	s_cbranch_scc1 .LBB118_1931
; %bb.1925:
	s_and_b32 s4, 0xffff, s13
	s_mov_b32 s19, 0
	s_cmp_gt_i32 s4, 25
	s_cbranch_scc0 .LBB118_1932
; %bb.1926:
	s_cmp_gt_i32 s4, 28
	s_cbranch_scc0 .LBB118_1933
; %bb.1927:
	;; [unrolled: 3-line block ×4, first 2 shown]
	s_cmp_eq_u32 s4, 46
	s_mov_b32 s21, 0
	s_cbranch_scc0 .LBB118_1938
; %bb.1930:
	global_load_b32 v1, v[4:5], off
	s_mov_b32 s18, 0
	s_mov_b32 s20, -1
	s_wait_loadcnt 0x0
	v_lshlrev_b32_e32 v9, 16, v1
	s_branch .LBB118_1940
.LBB118_1931:
	s_mov_b32 s4, -1
	s_mov_b32 s20, 0
                                        ; implicit-def: $vgpr9
	s_branch .LBB118_2006
.LBB118_1932:
	s_mov_b32 s21, -1
	s_mov_b32 s20, 0
	s_mov_b32 s18, 0
                                        ; implicit-def: $vgpr9
	s_branch .LBB118_1969
.LBB118_1933:
	s_mov_b32 s21, -1
	s_mov_b32 s20, 0
	s_mov_b32 s18, 0
                                        ; implicit-def: $vgpr9
	s_branch .LBB118_1950
.LBB118_1934:
	s_or_b32 s14, s14, exec_lo
	s_trap 2
	s_cbranch_execz .LBB118_1854
	s_branch .LBB118_1855
.LBB118_1935:
	s_or_b32 s14, s14, exec_lo
	s_trap 2
	s_cbranch_execz .LBB118_1924
	s_branch .LBB118_3190
.LBB118_1936:
	s_mov_b32 s21, -1
	s_mov_b32 s20, 0
	s_mov_b32 s18, 0
                                        ; implicit-def: $vgpr9
	s_branch .LBB118_1945
.LBB118_1937:
	s_mov_b32 s21, -1
	s_mov_b32 s20, 0
	s_mov_b32 s18, 0
	s_branch .LBB118_1939
.LBB118_1938:
	s_mov_b32 s18, -1
	s_mov_b32 s20, 0
.LBB118_1939:
                                        ; implicit-def: $vgpr9
.LBB118_1940:
	s_and_b32 vcc_lo, exec_lo, s21
	s_cbranch_vccz .LBB118_1944
; %bb.1941:
	s_cmp_eq_u32 s4, 44
	s_cbranch_scc0 .LBB118_1943
; %bb.1942:
	global_load_u8 v1, v[4:5], off
	s_mov_b32 s18, 0
	s_mov_b32 s20, -1
	s_wait_loadcnt 0x0
	v_lshlrev_b32_e32 v3, 23, v1
	v_cmp_ne_u32_e32 vcc_lo, 0xff, v1
	s_delay_alu instid0(VALU_DEP_2) | instskip(SKIP_1) | instid1(VALU_DEP_2)
	v_cndmask_b32_e32 v3, 0x7f800001, v3, vcc_lo
	v_cmp_ne_u32_e32 vcc_lo, 0, v1
	v_cndmask_b32_e32 v9, 0x400000, v3, vcc_lo
	s_branch .LBB118_1944
.LBB118_1943:
	s_mov_b32 s18, -1
                                        ; implicit-def: $vgpr9
.LBB118_1944:
	s_mov_b32 s21, 0
.LBB118_1945:
	s_delay_alu instid0(SALU_CYCLE_1)
	s_and_b32 vcc_lo, exec_lo, s21
	s_cbranch_vccz .LBB118_1949
; %bb.1946:
	s_cmp_eq_u32 s4, 29
	s_cbranch_scc0 .LBB118_1948
; %bb.1947:
	global_load_b64 v[10:11], v[4:5], off
	s_mov_b32 s18, 0
	s_mov_b32 s20, -1
	s_mov_b32 s21, 0
	s_wait_loadcnt 0x0
	v_clz_i32_u32_e32 v1, v11
	s_delay_alu instid0(VALU_DEP_1) | instskip(NEXT) | instid1(VALU_DEP_1)
	v_min_u32_e32 v1, 32, v1
	v_lshlrev_b64_e32 v[10:11], v1, v[10:11]
	v_sub_nc_u32_e32 v1, 32, v1
	s_delay_alu instid0(VALU_DEP_2) | instskip(NEXT) | instid1(VALU_DEP_1)
	v_min_u32_e32 v3, 1, v10
	v_or_b32_e32 v3, v11, v3
	s_delay_alu instid0(VALU_DEP_1) | instskip(NEXT) | instid1(VALU_DEP_1)
	v_cvt_f32_u32_e32 v3, v3
	v_ldexp_f32 v9, v3, v1
	s_branch .LBB118_1950
.LBB118_1948:
	s_mov_b32 s18, -1
                                        ; implicit-def: $vgpr9
.LBB118_1949:
	s_mov_b32 s21, 0
.LBB118_1950:
	s_delay_alu instid0(SALU_CYCLE_1)
	s_and_b32 vcc_lo, exec_lo, s21
	s_cbranch_vccz .LBB118_1968
; %bb.1951:
	s_cmp_lt_i32 s4, 27
	s_cbranch_scc1 .LBB118_1954
; %bb.1952:
	s_cmp_gt_i32 s4, 27
	s_cbranch_scc0 .LBB118_1955
; %bb.1953:
	global_load_b32 v1, v[4:5], off
	s_mov_b32 s20, 0
	s_wait_loadcnt 0x0
	v_cvt_f32_u32_e32 v9, v1
	s_branch .LBB118_1956
.LBB118_1954:
	s_mov_b32 s20, -1
                                        ; implicit-def: $vgpr9
	s_branch .LBB118_1959
.LBB118_1955:
	s_mov_b32 s20, -1
                                        ; implicit-def: $vgpr9
.LBB118_1956:
	s_delay_alu instid0(SALU_CYCLE_1)
	s_and_not1_b32 vcc_lo, exec_lo, s20
	s_cbranch_vccnz .LBB118_1958
; %bb.1957:
	global_load_u16 v1, v[4:5], off
	s_wait_loadcnt 0x0
	v_cvt_f32_u32_e32 v9, v1
.LBB118_1958:
	s_mov_b32 s20, 0
.LBB118_1959:
	s_delay_alu instid0(SALU_CYCLE_1)
	s_and_not1_b32 vcc_lo, exec_lo, s20
	s_cbranch_vccnz .LBB118_1967
; %bb.1960:
	global_load_u8 v1, v[4:5], off
	s_mov_b32 s20, 0
	s_mov_b32 s21, exec_lo
	s_wait_loadcnt 0x0
	v_cmpx_lt_i16_e32 0x7f, v1
	s_xor_b32 s21, exec_lo, s21
	s_cbranch_execz .LBB118_1981
; %bb.1961:
	s_mov_b32 s20, -1
	s_mov_b32 s22, exec_lo
	v_cmpx_eq_u16_e32 0x80, v1
; %bb.1962:
	s_xor_b32 s20, exec_lo, -1
; %bb.1963:
	s_or_b32 exec_lo, exec_lo, s22
	s_delay_alu instid0(SALU_CYCLE_1)
	s_and_b32 s20, s20, exec_lo
	s_or_saveexec_b32 s21, s21
	v_mov_b32_e32 v9, 0x7f800001
	s_xor_b32 exec_lo, exec_lo, s21
	s_cbranch_execnz .LBB118_1982
.LBB118_1964:
	s_or_b32 exec_lo, exec_lo, s21
	s_and_saveexec_b32 s21, s20
	s_cbranch_execz .LBB118_1966
.LBB118_1965:
	v_and_b32_e32 v3, 0xffff, v1
	s_delay_alu instid0(VALU_DEP_1) | instskip(SKIP_1) | instid1(VALU_DEP_2)
	v_and_b32_e32 v9, 7, v3
	v_bfe_u32 v12, v3, 3, 4
	v_clz_i32_u32_e32 v10, v9
	s_delay_alu instid0(VALU_DEP_2) | instskip(NEXT) | instid1(VALU_DEP_2)
	v_cmp_eq_u32_e32 vcc_lo, 0, v12
	v_min_u32_e32 v10, 32, v10
	s_delay_alu instid0(VALU_DEP_1) | instskip(NEXT) | instid1(VALU_DEP_1)
	v_subrev_nc_u32_e32 v11, 28, v10
	v_dual_lshlrev_b32 v3, v11, v3 :: v_dual_sub_nc_u32 v10, 29, v10
	s_delay_alu instid0(VALU_DEP_1) | instskip(NEXT) | instid1(VALU_DEP_1)
	v_dual_lshlrev_b32 v1, 24, v1 :: v_dual_bitop2_b32 v3, 7, v3 bitop3:0x40
	v_dual_cndmask_b32 v10, v12, v10 :: v_dual_cndmask_b32 v3, v9, v3
	s_delay_alu instid0(VALU_DEP_2) | instskip(NEXT) | instid1(VALU_DEP_2)
	v_and_b32_e32 v1, 0x80000000, v1
	v_lshl_add_u32 v9, v10, 23, 0x3b800000
	s_delay_alu instid0(VALU_DEP_3) | instskip(NEXT) | instid1(VALU_DEP_1)
	v_lshlrev_b32_e32 v3, 20, v3
	v_or3_b32 v9, v1, v9, v3
.LBB118_1966:
	s_or_b32 exec_lo, exec_lo, s21
.LBB118_1967:
	s_mov_b32 s20, -1
.LBB118_1968:
	s_mov_b32 s21, 0
.LBB118_1969:
	s_delay_alu instid0(SALU_CYCLE_1)
	s_and_b32 vcc_lo, exec_lo, s21
	s_cbranch_vccz .LBB118_2002
; %bb.1970:
	s_cmp_gt_i32 s4, 22
	s_cbranch_scc0 .LBB118_1980
; %bb.1971:
	s_cmp_lt_i32 s4, 24
	s_cbranch_scc1 .LBB118_1983
; %bb.1972:
	s_cmp_gt_i32 s4, 24
	s_cbranch_scc0 .LBB118_1984
; %bb.1973:
	global_load_u8 v1, v[4:5], off
	s_mov_b32 s20, exec_lo
	s_wait_loadcnt 0x0
	v_cmpx_lt_i16_e32 0x7f, v1
	s_xor_b32 s20, exec_lo, s20
	s_cbranch_execz .LBB118_1996
; %bb.1974:
	s_mov_b32 s19, -1
	s_mov_b32 s21, exec_lo
	v_cmpx_eq_u16_e32 0x80, v1
; %bb.1975:
	s_xor_b32 s19, exec_lo, -1
; %bb.1976:
	s_or_b32 exec_lo, exec_lo, s21
	s_delay_alu instid0(SALU_CYCLE_1)
	s_and_b32 s19, s19, exec_lo
	s_or_saveexec_b32 s20, s20
	v_mov_b32_e32 v9, 0x7f800001
	s_xor_b32 exec_lo, exec_lo, s20
	s_cbranch_execnz .LBB118_1997
.LBB118_1977:
	s_or_b32 exec_lo, exec_lo, s20
	s_and_saveexec_b32 s20, s19
	s_cbranch_execz .LBB118_1979
.LBB118_1978:
	v_and_b32_e32 v3, 0xffff, v1
	s_delay_alu instid0(VALU_DEP_1) | instskip(SKIP_1) | instid1(VALU_DEP_2)
	v_and_b32_e32 v9, 3, v3
	v_bfe_u32 v12, v3, 2, 5
	v_clz_i32_u32_e32 v10, v9
	s_delay_alu instid0(VALU_DEP_2) | instskip(NEXT) | instid1(VALU_DEP_2)
	v_cmp_eq_u32_e32 vcc_lo, 0, v12
	v_min_u32_e32 v10, 32, v10
	s_delay_alu instid0(VALU_DEP_1) | instskip(NEXT) | instid1(VALU_DEP_1)
	v_subrev_nc_u32_e32 v11, 29, v10
	v_dual_lshlrev_b32 v3, v11, v3 :: v_dual_sub_nc_u32 v10, 30, v10
	s_delay_alu instid0(VALU_DEP_1) | instskip(NEXT) | instid1(VALU_DEP_1)
	v_dual_lshlrev_b32 v1, 24, v1 :: v_dual_bitop2_b32 v3, 3, v3 bitop3:0x40
	v_dual_cndmask_b32 v10, v12, v10 :: v_dual_cndmask_b32 v3, v9, v3
	s_delay_alu instid0(VALU_DEP_2) | instskip(NEXT) | instid1(VALU_DEP_2)
	v_and_b32_e32 v1, 0x80000000, v1
	v_lshl_add_u32 v9, v10, 23, 0x37800000
	s_delay_alu instid0(VALU_DEP_3) | instskip(NEXT) | instid1(VALU_DEP_1)
	v_lshlrev_b32_e32 v3, 21, v3
	v_or3_b32 v9, v1, v9, v3
.LBB118_1979:
	s_or_b32 exec_lo, exec_lo, s20
	s_mov_b32 s19, 0
	s_branch .LBB118_1985
.LBB118_1980:
	s_mov_b32 s19, -1
                                        ; implicit-def: $vgpr9
	s_branch .LBB118_1991
.LBB118_1981:
	s_or_saveexec_b32 s21, s21
	v_mov_b32_e32 v9, 0x7f800001
	s_xor_b32 exec_lo, exec_lo, s21
	s_cbranch_execz .LBB118_1964
.LBB118_1982:
	v_cmp_ne_u16_e32 vcc_lo, 0, v1
	v_mov_b32_e32 v9, 0
	s_and_not1_b32 s20, s20, exec_lo
	s_and_b32 s22, vcc_lo, exec_lo
	s_delay_alu instid0(SALU_CYCLE_1)
	s_or_b32 s20, s20, s22
	s_or_b32 exec_lo, exec_lo, s21
	s_and_saveexec_b32 s21, s20
	s_cbranch_execnz .LBB118_1965
	s_branch .LBB118_1966
.LBB118_1983:
	s_mov_b32 s19, -1
                                        ; implicit-def: $vgpr9
	s_branch .LBB118_1988
.LBB118_1984:
	s_mov_b32 s19, -1
                                        ; implicit-def: $vgpr9
.LBB118_1985:
	s_delay_alu instid0(SALU_CYCLE_1)
	s_and_b32 vcc_lo, exec_lo, s19
	s_cbranch_vccz .LBB118_1987
; %bb.1986:
	global_load_u8 v1, v[4:5], off
	s_wait_loadcnt 0x0
	v_lshlrev_b32_e32 v1, 24, v1
	s_delay_alu instid0(VALU_DEP_1) | instskip(NEXT) | instid1(VALU_DEP_1)
	v_and_b32_e32 v3, 0x7f000000, v1
	v_clz_i32_u32_e32 v9, v3
	v_add_nc_u32_e32 v11, 0x1000000, v3
	v_cmp_ne_u32_e32 vcc_lo, 0, v3
	s_delay_alu instid0(VALU_DEP_3) | instskip(NEXT) | instid1(VALU_DEP_1)
	v_min_u32_e32 v9, 32, v9
	v_sub_nc_u32_e64 v9, v9, 4 clamp
	s_delay_alu instid0(VALU_DEP_1) | instskip(NEXT) | instid1(VALU_DEP_1)
	v_dual_lshlrev_b32 v10, v9, v3 :: v_dual_lshlrev_b32 v9, 23, v9
	v_lshrrev_b32_e32 v10, 4, v10
	s_delay_alu instid0(VALU_DEP_1) | instskip(NEXT) | instid1(VALU_DEP_1)
	v_dual_sub_nc_u32 v9, v10, v9 :: v_dual_ashrrev_i32 v10, 8, v11
	v_add_nc_u32_e32 v9, 0x3c000000, v9
	s_delay_alu instid0(VALU_DEP_1) | instskip(NEXT) | instid1(VALU_DEP_1)
	v_and_or_b32 v9, 0x7f800000, v10, v9
	v_cndmask_b32_e32 v3, 0, v9, vcc_lo
	s_delay_alu instid0(VALU_DEP_1)
	v_and_or_b32 v9, 0x80000000, v1, v3
.LBB118_1987:
	s_mov_b32 s19, 0
.LBB118_1988:
	s_delay_alu instid0(SALU_CYCLE_1)
	s_and_not1_b32 vcc_lo, exec_lo, s19
	s_cbranch_vccnz .LBB118_1990
; %bb.1989:
	global_load_u8 v1, v[4:5], off
	s_wait_loadcnt 0x0
	v_lshlrev_b32_e32 v3, 25, v1
	v_lshlrev_b16 v1, 8, v1
	s_delay_alu instid0(VALU_DEP_1) | instskip(SKIP_1) | instid1(VALU_DEP_2)
	v_and_or_b32 v10, 0x7f00, v1, 0.5
	v_bfe_i32 v1, v1, 0, 16
	v_dual_add_f32 v10, -0.5, v10 :: v_dual_lshrrev_b32 v9, 4, v3
	v_cmp_gt_u32_e32 vcc_lo, 0x8000000, v3
	s_delay_alu instid0(VALU_DEP_2) | instskip(NEXT) | instid1(VALU_DEP_1)
	v_or_b32_e32 v9, 0x70000000, v9
	v_mul_f32_e32 v9, 0x7800000, v9
	s_delay_alu instid0(VALU_DEP_1) | instskip(NEXT) | instid1(VALU_DEP_1)
	v_cndmask_b32_e32 v3, v9, v10, vcc_lo
	v_and_or_b32 v9, 0x80000000, v1, v3
.LBB118_1990:
	s_mov_b32 s19, 0
	s_mov_b32 s20, -1
.LBB118_1991:
	s_and_not1_b32 vcc_lo, exec_lo, s19
	s_mov_b32 s19, 0
	s_cbranch_vccnz .LBB118_2002
; %bb.1992:
	s_cmp_gt_i32 s4, 14
	s_cbranch_scc0 .LBB118_1995
; %bb.1993:
	s_cmp_eq_u32 s4, 15
	s_cbranch_scc0 .LBB118_1998
; %bb.1994:
	global_load_u16 v1, v[4:5], off
	s_mov_b32 s18, 0
	s_mov_b32 s20, -1
	s_wait_loadcnt 0x0
	v_lshlrev_b32_e32 v9, 16, v1
	s_branch .LBB118_2000
.LBB118_1995:
	s_mov_b32 s19, -1
	s_branch .LBB118_1999
.LBB118_1996:
	s_or_saveexec_b32 s20, s20
	v_mov_b32_e32 v9, 0x7f800001
	s_xor_b32 exec_lo, exec_lo, s20
	s_cbranch_execz .LBB118_1977
.LBB118_1997:
	v_cmp_ne_u16_e32 vcc_lo, 0, v1
	v_mov_b32_e32 v9, 0
	s_and_not1_b32 s19, s19, exec_lo
	s_and_b32 s21, vcc_lo, exec_lo
	s_delay_alu instid0(SALU_CYCLE_1)
	s_or_b32 s19, s19, s21
	s_or_b32 exec_lo, exec_lo, s20
	s_and_saveexec_b32 s20, s19
	s_cbranch_execnz .LBB118_1978
	s_branch .LBB118_1979
.LBB118_1998:
	s_mov_b32 s18, -1
.LBB118_1999:
                                        ; implicit-def: $vgpr9
.LBB118_2000:
	s_and_b32 vcc_lo, exec_lo, s19
	s_mov_b32 s19, 0
	s_cbranch_vccz .LBB118_2002
; %bb.2001:
	s_cmp_lg_u32 s4, 11
	s_mov_b32 s19, -1
	s_cselect_b32 s18, -1, 0
.LBB118_2002:
	s_delay_alu instid0(SALU_CYCLE_1)
	s_and_b32 vcc_lo, exec_lo, s18
	s_cbranch_vccnz .LBB118_2067
; %bb.2003:
	s_and_not1_b32 vcc_lo, exec_lo, s19
	s_cbranch_vccnz .LBB118_2005
.LBB118_2004:
	global_load_u8 v1, v[4:5], off
	s_mov_b32 s20, -1
	s_wait_loadcnt 0x0
	v_cmp_ne_u16_e32 vcc_lo, 0, v1
	v_cndmask_b32_e64 v9, 0, 1.0, vcc_lo
.LBB118_2005:
	s_mov_b32 s4, 0
.LBB118_2006:
	s_delay_alu instid0(SALU_CYCLE_1)
	s_and_b32 vcc_lo, exec_lo, s4
	s_cbranch_vccz .LBB118_2055
; %bb.2007:
	s_and_b32 s4, 0xffff, s13
	s_delay_alu instid0(SALU_CYCLE_1)
	s_cmp_lt_i32 s4, 5
	s_cbranch_scc1 .LBB118_2012
; %bb.2008:
	s_cmp_lt_i32 s4, 8
	s_cbranch_scc1 .LBB118_2013
; %bb.2009:
	;; [unrolled: 3-line block ×3, first 2 shown]
	s_cmp_gt_i32 s4, 9
	s_cbranch_scc0 .LBB118_2015
; %bb.2011:
	global_load_b64 v[10:11], v[4:5], off
	s_mov_b32 s18, 0
	s_wait_loadcnt 0x0
	v_cvt_f32_f64_e32 v9, v[10:11]
	s_branch .LBB118_2016
.LBB118_2012:
	s_mov_b32 s18, -1
                                        ; implicit-def: $vgpr9
	s_branch .LBB118_2034
.LBB118_2013:
	s_mov_b32 s18, -1
                                        ; implicit-def: $vgpr9
	s_branch .LBB118_2022
.LBB118_2014:
	s_mov_b32 s18, -1
                                        ; implicit-def: $vgpr9
	s_branch .LBB118_2019
.LBB118_2015:
	s_mov_b32 s18, -1
                                        ; implicit-def: $vgpr9
.LBB118_2016:
	s_delay_alu instid0(SALU_CYCLE_1)
	s_and_not1_b32 vcc_lo, exec_lo, s18
	s_cbranch_vccnz .LBB118_2018
; %bb.2017:
	global_load_b32 v9, v[4:5], off
.LBB118_2018:
	s_mov_b32 s18, 0
.LBB118_2019:
	s_delay_alu instid0(SALU_CYCLE_1)
	s_and_not1_b32 vcc_lo, exec_lo, s18
	s_cbranch_vccnz .LBB118_2021
; %bb.2020:
	global_load_b32 v1, v[4:5], off
	s_wait_loadcnt 0x0
	v_cvt_f32_f16_e32 v9, v1
.LBB118_2021:
	s_mov_b32 s18, 0
.LBB118_2022:
	s_delay_alu instid0(SALU_CYCLE_1)
	s_and_not1_b32 vcc_lo, exec_lo, s18
	s_cbranch_vccnz .LBB118_2033
; %bb.2023:
	s_cmp_lt_i32 s4, 6
	s_cbranch_scc1 .LBB118_2026
; %bb.2024:
	s_cmp_gt_i32 s4, 6
	s_cbranch_scc0 .LBB118_2027
; %bb.2025:
	global_load_b64 v[10:11], v[4:5], off
	s_mov_b32 s18, 0
	s_wait_loadcnt 0x0
	v_cvt_f32_f64_e32 v9, v[10:11]
	s_branch .LBB118_2028
.LBB118_2026:
	s_mov_b32 s18, -1
                                        ; implicit-def: $vgpr9
	s_branch .LBB118_2031
.LBB118_2027:
	s_mov_b32 s18, -1
                                        ; implicit-def: $vgpr9
.LBB118_2028:
	s_delay_alu instid0(SALU_CYCLE_1)
	s_and_not1_b32 vcc_lo, exec_lo, s18
	s_cbranch_vccnz .LBB118_2030
; %bb.2029:
	s_wait_loadcnt 0x0
	global_load_b32 v9, v[4:5], off
.LBB118_2030:
	s_mov_b32 s18, 0
.LBB118_2031:
	s_delay_alu instid0(SALU_CYCLE_1)
	s_and_not1_b32 vcc_lo, exec_lo, s18
	s_cbranch_vccnz .LBB118_2033
; %bb.2032:
	global_load_u16 v1, v[4:5], off
	s_wait_loadcnt 0x0
	v_cvt_f32_f16_e32 v9, v1
.LBB118_2033:
	s_mov_b32 s18, 0
.LBB118_2034:
	s_delay_alu instid0(SALU_CYCLE_1)
	s_and_not1_b32 vcc_lo, exec_lo, s18
	s_cbranch_vccnz .LBB118_2054
; %bb.2035:
	s_cmp_lt_i32 s4, 2
	s_cbranch_scc1 .LBB118_2039
; %bb.2036:
	s_cmp_lt_i32 s4, 3
	s_cbranch_scc1 .LBB118_2040
; %bb.2037:
	s_cmp_gt_i32 s4, 3
	s_cbranch_scc0 .LBB118_2041
; %bb.2038:
	global_load_b64 v[10:11], v[4:5], off
	s_mov_b32 s18, 0
	s_wait_loadcnt 0x0
	v_xor_b32_e32 v1, v10, v11
	v_cls_i32_e32 v3, v11
	s_delay_alu instid0(VALU_DEP_2) | instskip(NEXT) | instid1(VALU_DEP_1)
	v_ashrrev_i32_e32 v1, 31, v1
	v_add_nc_u32_e32 v1, 32, v1
	s_delay_alu instid0(VALU_DEP_1) | instskip(NEXT) | instid1(VALU_DEP_1)
	v_add_min_u32_e64 v1, v3, -1, v1
	v_lshlrev_b64_e32 v[10:11], v1, v[10:11]
	v_sub_nc_u32_e32 v1, 32, v1
	s_delay_alu instid0(VALU_DEP_2) | instskip(NEXT) | instid1(VALU_DEP_1)
	v_min_u32_e32 v3, 1, v10
	v_or_b32_e32 v3, v11, v3
	s_delay_alu instid0(VALU_DEP_1) | instskip(NEXT) | instid1(VALU_DEP_1)
	v_cvt_f32_i32_e32 v3, v3
	v_ldexp_f32 v9, v3, v1
	s_branch .LBB118_2042
.LBB118_2039:
	s_mov_b32 s18, -1
                                        ; implicit-def: $vgpr9
	s_branch .LBB118_2048
.LBB118_2040:
	s_mov_b32 s18, -1
                                        ; implicit-def: $vgpr9
	s_branch .LBB118_2045
.LBB118_2041:
	s_mov_b32 s18, -1
                                        ; implicit-def: $vgpr9
.LBB118_2042:
	s_delay_alu instid0(SALU_CYCLE_1)
	s_and_not1_b32 vcc_lo, exec_lo, s18
	s_cbranch_vccnz .LBB118_2044
; %bb.2043:
	global_load_b32 v1, v[4:5], off
	s_wait_loadcnt 0x0
	v_cvt_f32_i32_e32 v9, v1
.LBB118_2044:
	s_mov_b32 s18, 0
.LBB118_2045:
	s_delay_alu instid0(SALU_CYCLE_1)
	s_and_not1_b32 vcc_lo, exec_lo, s18
	s_cbranch_vccnz .LBB118_2047
; %bb.2046:
	global_load_i16 v1, v[4:5], off
	s_wait_loadcnt 0x0
	v_cvt_f32_i32_e32 v9, v1
.LBB118_2047:
	s_mov_b32 s18, 0
.LBB118_2048:
	s_delay_alu instid0(SALU_CYCLE_1)
	s_and_not1_b32 vcc_lo, exec_lo, s18
	s_cbranch_vccnz .LBB118_2054
; %bb.2049:
	s_cmp_gt_i32 s4, 0
	s_mov_b32 s4, 0
	s_cbranch_scc0 .LBB118_2051
; %bb.2050:
	global_load_i8 v1, v[4:5], off
	s_wait_loadcnt 0x0
	v_cvt_f32_i32_e32 v9, v1
	s_branch .LBB118_2052
.LBB118_2051:
	s_mov_b32 s4, -1
                                        ; implicit-def: $vgpr9
.LBB118_2052:
	s_delay_alu instid0(SALU_CYCLE_1)
	s_and_not1_b32 vcc_lo, exec_lo, s4
	s_cbranch_vccnz .LBB118_2054
; %bb.2053:
	global_load_u8 v1, v[4:5], off
	s_wait_loadcnt 0x0
	v_cvt_f32_ubyte0_e32 v9, v1
.LBB118_2054:
	s_mov_b32 s20, -1
.LBB118_2055:
	s_delay_alu instid0(SALU_CYCLE_1)
	s_and_not1_b32 vcc_lo, exec_lo, s20
	s_cbranch_vccnz .LBB118_3190
; %bb.2056:
	s_lshl_b32 s4, s5, 7
	s_cmp_lt_i32 s0, 11
	v_add_nc_u32_e32 v2, s4, v2
	s_delay_alu instid0(VALU_DEP_1) | instskip(SKIP_1) | instid1(VALU_DEP_1)
	v_ashrrev_i32_e32 v3, 31, v2
	s_wait_xcnt 0x0
	v_add_nc_u64_e32 v[4:5], s[10:11], v[2:3]
	s_cbranch_scc1 .LBB118_2063
; %bb.2057:
	s_cmp_gt_i32 s0, 25
	s_mov_b32 s18, 0
	s_cbranch_scc0 .LBB118_2064
; %bb.2058:
	s_cmp_gt_i32 s0, 28
	s_cbranch_scc0 .LBB118_2065
; %bb.2059:
	s_cmp_gt_i32 s0, 43
	;; [unrolled: 3-line block ×3, first 2 shown]
	s_cbranch_scc0 .LBB118_2068
; %bb.2061:
	s_cmp_eq_u32 s0, 46
	s_mov_b32 s20, 0
	s_cbranch_scc0 .LBB118_2071
; %bb.2062:
	global_load_b32 v1, v[4:5], off
	s_mov_b32 s5, 0
	s_mov_b32 s19, -1
	s_wait_loadcnt 0x0
	v_lshlrev_b32_e32 v10, 16, v1
	s_branch .LBB118_2073
.LBB118_2063:
	s_mov_b32 s5, -1
	s_mov_b32 s19, 0
                                        ; implicit-def: $vgpr10
	s_branch .LBB118_2139
.LBB118_2064:
	s_mov_b32 s20, -1
	s_mov_b32 s19, 0
	s_mov_b32 s5, 0
                                        ; implicit-def: $vgpr10
	s_branch .LBB118_2102
.LBB118_2065:
	s_mov_b32 s20, -1
	s_mov_b32 s19, 0
	s_mov_b32 s5, 0
                                        ; implicit-def: $vgpr10
	s_branch .LBB118_2083
.LBB118_2066:
	s_mov_b32 s20, -1
	s_mov_b32 s19, 0
	s_mov_b32 s5, 0
                                        ; implicit-def: $vgpr10
	s_branch .LBB118_2078
.LBB118_2067:
	s_or_b32 s14, s14, exec_lo
	s_trap 2
	s_cbranch_execz .LBB118_2004
	s_branch .LBB118_2005
.LBB118_2068:
	s_mov_b32 s20, -1
	s_mov_b32 s19, 0
	s_mov_b32 s5, 0
	s_branch .LBB118_2072
.LBB118_2069:
	s_and_not1_saveexec_b32 s37, s37
	s_cbranch_execz .LBB118_1130
.LBB118_2070:
	v_add_f32_e64 v3, 0x46000000, |v2|
	s_and_not1_b32 s36, s36, exec_lo
	s_delay_alu instid0(VALU_DEP_1) | instskip(NEXT) | instid1(VALU_DEP_1)
	v_and_b32_e32 v3, 0xff, v3
	v_cmp_ne_u32_e32 vcc_lo, 0, v3
	s_and_b32 s38, vcc_lo, exec_lo
	s_delay_alu instid0(SALU_CYCLE_1)
	s_or_b32 s36, s36, s38
	s_or_b32 exec_lo, exec_lo, s37
	v_mov_b32_e32 v4, 0
	s_and_saveexec_b32 s37, s36
	s_cbranch_execnz .LBB118_1131
	s_branch .LBB118_1132
.LBB118_2071:
	s_mov_b32 s5, -1
	s_mov_b32 s19, 0
.LBB118_2072:
                                        ; implicit-def: $vgpr10
.LBB118_2073:
	s_and_b32 vcc_lo, exec_lo, s20
	s_cbranch_vccz .LBB118_2077
; %bb.2074:
	s_cmp_eq_u32 s0, 44
	s_cbranch_scc0 .LBB118_2076
; %bb.2075:
	global_load_u8 v1, v[4:5], off
	s_mov_b32 s5, 0
	s_mov_b32 s19, -1
	s_wait_loadcnt 0x0
	v_lshlrev_b32_e32 v3, 23, v1
	v_cmp_ne_u32_e32 vcc_lo, 0xff, v1
	s_delay_alu instid0(VALU_DEP_2) | instskip(SKIP_1) | instid1(VALU_DEP_2)
	v_cndmask_b32_e32 v3, 0x7f800001, v3, vcc_lo
	v_cmp_ne_u32_e32 vcc_lo, 0, v1
	v_cndmask_b32_e32 v10, 0x400000, v3, vcc_lo
	s_branch .LBB118_2077
.LBB118_2076:
	s_mov_b32 s5, -1
                                        ; implicit-def: $vgpr10
.LBB118_2077:
	s_mov_b32 s20, 0
.LBB118_2078:
	s_delay_alu instid0(SALU_CYCLE_1)
	s_and_b32 vcc_lo, exec_lo, s20
	s_cbranch_vccz .LBB118_2082
; %bb.2079:
	s_cmp_eq_u32 s0, 29
	s_cbranch_scc0 .LBB118_2081
; %bb.2080:
	global_load_b64 v[10:11], v[4:5], off
	s_mov_b32 s5, 0
	s_mov_b32 s19, -1
	s_mov_b32 s20, 0
	s_wait_loadcnt 0x0
	v_clz_i32_u32_e32 v1, v11
	s_delay_alu instid0(VALU_DEP_1) | instskip(NEXT) | instid1(VALU_DEP_1)
	v_min_u32_e32 v1, 32, v1
	v_lshlrev_b64_e32 v[10:11], v1, v[10:11]
	v_sub_nc_u32_e32 v1, 32, v1
	s_delay_alu instid0(VALU_DEP_2) | instskip(NEXT) | instid1(VALU_DEP_1)
	v_min_u32_e32 v3, 1, v10
	v_or_b32_e32 v3, v11, v3
	s_delay_alu instid0(VALU_DEP_1) | instskip(NEXT) | instid1(VALU_DEP_1)
	v_cvt_f32_u32_e32 v3, v3
	v_ldexp_f32 v10, v3, v1
	s_branch .LBB118_2083
.LBB118_2081:
	s_mov_b32 s5, -1
                                        ; implicit-def: $vgpr10
.LBB118_2082:
	s_mov_b32 s20, 0
.LBB118_2083:
	s_delay_alu instid0(SALU_CYCLE_1)
	s_and_b32 vcc_lo, exec_lo, s20
	s_cbranch_vccz .LBB118_2101
; %bb.2084:
	s_cmp_lt_i32 s0, 27
	s_cbranch_scc1 .LBB118_2087
; %bb.2085:
	s_cmp_gt_i32 s0, 27
	s_cbranch_scc0 .LBB118_2088
; %bb.2086:
	global_load_b32 v1, v[4:5], off
	s_mov_b32 s19, 0
	s_wait_loadcnt 0x0
	v_cvt_f32_u32_e32 v10, v1
	s_branch .LBB118_2089
.LBB118_2087:
	s_mov_b32 s19, -1
                                        ; implicit-def: $vgpr10
	s_branch .LBB118_2092
.LBB118_2088:
	s_mov_b32 s19, -1
                                        ; implicit-def: $vgpr10
.LBB118_2089:
	s_delay_alu instid0(SALU_CYCLE_1)
	s_and_not1_b32 vcc_lo, exec_lo, s19
	s_cbranch_vccnz .LBB118_2091
; %bb.2090:
	global_load_u16 v1, v[4:5], off
	s_wait_loadcnt 0x0
	v_cvt_f32_u32_e32 v10, v1
.LBB118_2091:
	s_mov_b32 s19, 0
.LBB118_2092:
	s_delay_alu instid0(SALU_CYCLE_1)
	s_and_not1_b32 vcc_lo, exec_lo, s19
	s_cbranch_vccnz .LBB118_2100
; %bb.2093:
	global_load_u8 v1, v[4:5], off
	s_mov_b32 s19, 0
	s_mov_b32 s20, exec_lo
	s_wait_loadcnt 0x0
	v_cmpx_lt_i16_e32 0x7f, v1
	s_xor_b32 s20, exec_lo, s20
	s_cbranch_execz .LBB118_2114
; %bb.2094:
	s_mov_b32 s19, -1
	s_mov_b32 s21, exec_lo
	v_cmpx_eq_u16_e32 0x80, v1
; %bb.2095:
	s_xor_b32 s19, exec_lo, -1
; %bb.2096:
	s_or_b32 exec_lo, exec_lo, s21
	s_delay_alu instid0(SALU_CYCLE_1)
	s_and_b32 s19, s19, exec_lo
	s_or_saveexec_b32 s20, s20
	v_mov_b32_e32 v10, 0x7f800001
	s_xor_b32 exec_lo, exec_lo, s20
	s_cbranch_execnz .LBB118_2115
.LBB118_2097:
	s_or_b32 exec_lo, exec_lo, s20
	s_and_saveexec_b32 s20, s19
	s_cbranch_execz .LBB118_2099
.LBB118_2098:
	v_and_b32_e32 v3, 0xffff, v1
	s_delay_alu instid0(VALU_DEP_1) | instskip(SKIP_1) | instid1(VALU_DEP_2)
	v_dual_lshlrev_b32 v1, 24, v1 :: v_dual_bitop2_b32 v10, 7, v3 bitop3:0x40
	v_bfe_u32 v13, v3, 3, 4
	v_and_b32_e32 v1, 0x80000000, v1
	s_delay_alu instid0(VALU_DEP_3) | instskip(NEXT) | instid1(VALU_DEP_3)
	v_clz_i32_u32_e32 v11, v10
	v_cmp_eq_u32_e32 vcc_lo, 0, v13
	s_delay_alu instid0(VALU_DEP_2) | instskip(NEXT) | instid1(VALU_DEP_1)
	v_min_u32_e32 v11, 32, v11
	v_subrev_nc_u32_e32 v12, 28, v11
	v_sub_nc_u32_e32 v11, 29, v11
	s_delay_alu instid0(VALU_DEP_2) | instskip(NEXT) | instid1(VALU_DEP_2)
	v_lshlrev_b32_e32 v3, v12, v3
	v_cndmask_b32_e32 v11, v13, v11, vcc_lo
	s_delay_alu instid0(VALU_DEP_2) | instskip(NEXT) | instid1(VALU_DEP_1)
	v_and_b32_e32 v3, 7, v3
	v_cndmask_b32_e32 v3, v10, v3, vcc_lo
	s_delay_alu instid0(VALU_DEP_3) | instskip(NEXT) | instid1(VALU_DEP_2)
	v_lshl_add_u32 v10, v11, 23, 0x3b800000
	v_lshlrev_b32_e32 v3, 20, v3
	s_delay_alu instid0(VALU_DEP_1)
	v_or3_b32 v10, v1, v10, v3
.LBB118_2099:
	s_or_b32 exec_lo, exec_lo, s20
.LBB118_2100:
	s_mov_b32 s19, -1
.LBB118_2101:
	s_mov_b32 s20, 0
.LBB118_2102:
	s_delay_alu instid0(SALU_CYCLE_1)
	s_and_b32 vcc_lo, exec_lo, s20
	s_cbranch_vccz .LBB118_2135
; %bb.2103:
	s_cmp_gt_i32 s0, 22
	s_cbranch_scc0 .LBB118_2113
; %bb.2104:
	s_cmp_lt_i32 s0, 24
	s_cbranch_scc1 .LBB118_2116
; %bb.2105:
	s_cmp_gt_i32 s0, 24
	s_cbranch_scc0 .LBB118_2117
; %bb.2106:
	global_load_u8 v1, v[4:5], off
	s_mov_b32 s19, exec_lo
	s_wait_loadcnt 0x0
	v_cmpx_lt_i16_e32 0x7f, v1
	s_xor_b32 s19, exec_lo, s19
	s_cbranch_execz .LBB118_2129
; %bb.2107:
	s_mov_b32 s18, -1
	s_mov_b32 s20, exec_lo
	v_cmpx_eq_u16_e32 0x80, v1
; %bb.2108:
	s_xor_b32 s18, exec_lo, -1
; %bb.2109:
	s_or_b32 exec_lo, exec_lo, s20
	s_delay_alu instid0(SALU_CYCLE_1)
	s_and_b32 s18, s18, exec_lo
	s_or_saveexec_b32 s19, s19
	v_mov_b32_e32 v10, 0x7f800001
	s_xor_b32 exec_lo, exec_lo, s19
	s_cbranch_execnz .LBB118_2130
.LBB118_2110:
	s_or_b32 exec_lo, exec_lo, s19
	s_and_saveexec_b32 s19, s18
	s_cbranch_execz .LBB118_2112
.LBB118_2111:
	v_and_b32_e32 v3, 0xffff, v1
	s_delay_alu instid0(VALU_DEP_1) | instskip(SKIP_1) | instid1(VALU_DEP_2)
	v_dual_lshlrev_b32 v1, 24, v1 :: v_dual_bitop2_b32 v10, 3, v3 bitop3:0x40
	v_bfe_u32 v13, v3, 2, 5
	v_and_b32_e32 v1, 0x80000000, v1
	s_delay_alu instid0(VALU_DEP_3) | instskip(NEXT) | instid1(VALU_DEP_3)
	v_clz_i32_u32_e32 v11, v10
	v_cmp_eq_u32_e32 vcc_lo, 0, v13
	s_delay_alu instid0(VALU_DEP_2) | instskip(NEXT) | instid1(VALU_DEP_1)
	v_min_u32_e32 v11, 32, v11
	v_subrev_nc_u32_e32 v12, 29, v11
	v_sub_nc_u32_e32 v11, 30, v11
	s_delay_alu instid0(VALU_DEP_2) | instskip(NEXT) | instid1(VALU_DEP_2)
	v_lshlrev_b32_e32 v3, v12, v3
	v_cndmask_b32_e32 v11, v13, v11, vcc_lo
	s_delay_alu instid0(VALU_DEP_2) | instskip(NEXT) | instid1(VALU_DEP_1)
	v_and_b32_e32 v3, 3, v3
	v_cndmask_b32_e32 v3, v10, v3, vcc_lo
	s_delay_alu instid0(VALU_DEP_3) | instskip(NEXT) | instid1(VALU_DEP_2)
	v_lshl_add_u32 v10, v11, 23, 0x37800000
	v_lshlrev_b32_e32 v3, 21, v3
	s_delay_alu instid0(VALU_DEP_1)
	v_or3_b32 v10, v1, v10, v3
.LBB118_2112:
	s_or_b32 exec_lo, exec_lo, s19
	s_mov_b32 s18, 0
	s_branch .LBB118_2118
.LBB118_2113:
	s_mov_b32 s18, -1
                                        ; implicit-def: $vgpr10
	s_branch .LBB118_2124
.LBB118_2114:
	s_or_saveexec_b32 s20, s20
	v_mov_b32_e32 v10, 0x7f800001
	s_xor_b32 exec_lo, exec_lo, s20
	s_cbranch_execz .LBB118_2097
.LBB118_2115:
	v_cmp_ne_u16_e32 vcc_lo, 0, v1
	v_mov_b32_e32 v10, 0
	s_and_not1_b32 s19, s19, exec_lo
	s_and_b32 s21, vcc_lo, exec_lo
	s_delay_alu instid0(SALU_CYCLE_1)
	s_or_b32 s19, s19, s21
	s_or_b32 exec_lo, exec_lo, s20
	s_and_saveexec_b32 s20, s19
	s_cbranch_execnz .LBB118_2098
	s_branch .LBB118_2099
.LBB118_2116:
	s_mov_b32 s18, -1
                                        ; implicit-def: $vgpr10
	s_branch .LBB118_2121
.LBB118_2117:
	s_mov_b32 s18, -1
                                        ; implicit-def: $vgpr10
.LBB118_2118:
	s_delay_alu instid0(SALU_CYCLE_1)
	s_and_b32 vcc_lo, exec_lo, s18
	s_cbranch_vccz .LBB118_2120
; %bb.2119:
	global_load_u8 v1, v[4:5], off
	s_wait_loadcnt 0x0
	v_lshlrev_b32_e32 v1, 24, v1
	s_delay_alu instid0(VALU_DEP_1) | instskip(NEXT) | instid1(VALU_DEP_1)
	v_and_b32_e32 v3, 0x7f000000, v1
	v_clz_i32_u32_e32 v10, v3
	v_cmp_ne_u32_e32 vcc_lo, 0, v3
	v_add_nc_u32_e32 v12, 0x1000000, v3
	s_delay_alu instid0(VALU_DEP_3) | instskip(NEXT) | instid1(VALU_DEP_1)
	v_min_u32_e32 v10, 32, v10
	v_sub_nc_u32_e64 v10, v10, 4 clamp
	s_delay_alu instid0(VALU_DEP_1) | instskip(NEXT) | instid1(VALU_DEP_1)
	v_dual_lshlrev_b32 v11, v10, v3 :: v_dual_lshlrev_b32 v10, 23, v10
	v_lshrrev_b32_e32 v11, 4, v11
	s_delay_alu instid0(VALU_DEP_1) | instskip(NEXT) | instid1(VALU_DEP_1)
	v_dual_sub_nc_u32 v10, v11, v10 :: v_dual_ashrrev_i32 v11, 8, v12
	v_add_nc_u32_e32 v10, 0x3c000000, v10
	s_delay_alu instid0(VALU_DEP_1) | instskip(NEXT) | instid1(VALU_DEP_1)
	v_and_or_b32 v10, 0x7f800000, v11, v10
	v_cndmask_b32_e32 v3, 0, v10, vcc_lo
	s_delay_alu instid0(VALU_DEP_1)
	v_and_or_b32 v10, 0x80000000, v1, v3
.LBB118_2120:
	s_mov_b32 s18, 0
.LBB118_2121:
	s_delay_alu instid0(SALU_CYCLE_1)
	s_and_not1_b32 vcc_lo, exec_lo, s18
	s_cbranch_vccnz .LBB118_2123
; %bb.2122:
	global_load_u8 v1, v[4:5], off
	s_wait_loadcnt 0x0
	v_lshlrev_b32_e32 v3, 25, v1
	v_lshlrev_b16 v1, 8, v1
	s_delay_alu instid0(VALU_DEP_1) | instskip(SKIP_1) | instid1(VALU_DEP_2)
	v_and_or_b32 v11, 0x7f00, v1, 0.5
	v_bfe_i32 v1, v1, 0, 16
	v_add_f32_e32 v11, -0.5, v11
	v_lshrrev_b32_e32 v10, 4, v3
	v_cmp_gt_u32_e32 vcc_lo, 0x8000000, v3
	s_delay_alu instid0(VALU_DEP_2) | instskip(NEXT) | instid1(VALU_DEP_1)
	v_or_b32_e32 v10, 0x70000000, v10
	v_mul_f32_e32 v10, 0x7800000, v10
	s_delay_alu instid0(VALU_DEP_1) | instskip(NEXT) | instid1(VALU_DEP_1)
	v_cndmask_b32_e32 v3, v10, v11, vcc_lo
	v_and_or_b32 v10, 0x80000000, v1, v3
.LBB118_2123:
	s_mov_b32 s18, 0
	s_mov_b32 s19, -1
.LBB118_2124:
	s_and_not1_b32 vcc_lo, exec_lo, s18
	s_mov_b32 s18, 0
	s_cbranch_vccnz .LBB118_2135
; %bb.2125:
	s_cmp_gt_i32 s0, 14
	s_cbranch_scc0 .LBB118_2128
; %bb.2126:
	s_cmp_eq_u32 s0, 15
	s_cbranch_scc0 .LBB118_2131
; %bb.2127:
	global_load_u16 v1, v[4:5], off
	s_mov_b32 s5, 0
	s_mov_b32 s19, -1
	s_wait_loadcnt 0x0
	v_lshlrev_b32_e32 v10, 16, v1
	s_branch .LBB118_2133
.LBB118_2128:
	s_mov_b32 s18, -1
	s_branch .LBB118_2132
.LBB118_2129:
	s_or_saveexec_b32 s19, s19
	v_mov_b32_e32 v10, 0x7f800001
	s_xor_b32 exec_lo, exec_lo, s19
	s_cbranch_execz .LBB118_2110
.LBB118_2130:
	v_cmp_ne_u16_e32 vcc_lo, 0, v1
	v_mov_b32_e32 v10, 0
	s_and_not1_b32 s18, s18, exec_lo
	s_and_b32 s20, vcc_lo, exec_lo
	s_delay_alu instid0(SALU_CYCLE_1)
	s_or_b32 s18, s18, s20
	s_or_b32 exec_lo, exec_lo, s19
	s_and_saveexec_b32 s19, s18
	s_cbranch_execnz .LBB118_2111
	s_branch .LBB118_2112
.LBB118_2131:
	s_mov_b32 s5, -1
.LBB118_2132:
                                        ; implicit-def: $vgpr10
.LBB118_2133:
	s_and_b32 vcc_lo, exec_lo, s18
	s_mov_b32 s18, 0
	s_cbranch_vccz .LBB118_2135
; %bb.2134:
	s_cmp_lg_u32 s0, 11
	s_mov_b32 s18, -1
	s_cselect_b32 s5, -1, 0
.LBB118_2135:
	s_delay_alu instid0(SALU_CYCLE_1)
	s_and_b32 vcc_lo, exec_lo, s5
	s_cbranch_vccnz .LBB118_2219
; %bb.2136:
	s_and_not1_b32 vcc_lo, exec_lo, s18
	s_cbranch_vccnz .LBB118_2138
.LBB118_2137:
	global_load_u8 v1, v[4:5], off
	s_mov_b32 s19, -1
	s_wait_loadcnt 0x0
	v_cmp_ne_u16_e32 vcc_lo, 0, v1
	v_cndmask_b32_e64 v10, 0, 1.0, vcc_lo
.LBB118_2138:
	s_mov_b32 s5, 0
.LBB118_2139:
	s_delay_alu instid0(SALU_CYCLE_1)
	s_and_b32 vcc_lo, exec_lo, s5
	s_cbranch_vccz .LBB118_2188
; %bb.2140:
	s_cmp_lt_i32 s0, 5
	s_cbranch_scc1 .LBB118_2145
; %bb.2141:
	s_cmp_lt_i32 s0, 8
	s_cbranch_scc1 .LBB118_2146
; %bb.2142:
	s_cmp_lt_i32 s0, 9
	s_cbranch_scc1 .LBB118_2147
; %bb.2143:
	s_cmp_gt_i32 s0, 9
	s_cbranch_scc0 .LBB118_2148
; %bb.2144:
	global_load_b64 v[10:11], v[4:5], off
	s_mov_b32 s5, 0
	s_wait_loadcnt 0x0
	v_cvt_f32_f64_e32 v10, v[10:11]
	s_branch .LBB118_2149
.LBB118_2145:
	s_mov_b32 s5, -1
                                        ; implicit-def: $vgpr10
	s_branch .LBB118_2167
.LBB118_2146:
	s_mov_b32 s5, -1
                                        ; implicit-def: $vgpr10
	s_branch .LBB118_2155
.LBB118_2147:
	s_mov_b32 s5, -1
                                        ; implicit-def: $vgpr10
	s_branch .LBB118_2152
.LBB118_2148:
	s_mov_b32 s5, -1
                                        ; implicit-def: $vgpr10
.LBB118_2149:
	s_delay_alu instid0(SALU_CYCLE_1)
	s_and_not1_b32 vcc_lo, exec_lo, s5
	s_cbranch_vccnz .LBB118_2151
; %bb.2150:
	global_load_b32 v10, v[4:5], off
.LBB118_2151:
	s_mov_b32 s5, 0
.LBB118_2152:
	s_delay_alu instid0(SALU_CYCLE_1)
	s_and_not1_b32 vcc_lo, exec_lo, s5
	s_cbranch_vccnz .LBB118_2154
; %bb.2153:
	global_load_b32 v1, v[4:5], off
	s_wait_loadcnt 0x0
	v_cvt_f32_f16_e32 v10, v1
.LBB118_2154:
	s_mov_b32 s5, 0
.LBB118_2155:
	s_delay_alu instid0(SALU_CYCLE_1)
	s_and_not1_b32 vcc_lo, exec_lo, s5
	s_cbranch_vccnz .LBB118_2166
; %bb.2156:
	s_cmp_lt_i32 s0, 6
	s_cbranch_scc1 .LBB118_2159
; %bb.2157:
	s_cmp_gt_i32 s0, 6
	s_cbranch_scc0 .LBB118_2160
; %bb.2158:
	s_wait_loadcnt 0x0
	global_load_b64 v[10:11], v[4:5], off
	s_mov_b32 s5, 0
	s_wait_loadcnt 0x0
	v_cvt_f32_f64_e32 v10, v[10:11]
	s_branch .LBB118_2161
.LBB118_2159:
	s_mov_b32 s5, -1
                                        ; implicit-def: $vgpr10
	s_branch .LBB118_2164
.LBB118_2160:
	s_mov_b32 s5, -1
                                        ; implicit-def: $vgpr10
.LBB118_2161:
	s_delay_alu instid0(SALU_CYCLE_1)
	s_and_not1_b32 vcc_lo, exec_lo, s5
	s_cbranch_vccnz .LBB118_2163
; %bb.2162:
	s_wait_loadcnt 0x0
	global_load_b32 v10, v[4:5], off
.LBB118_2163:
	s_mov_b32 s5, 0
.LBB118_2164:
	s_delay_alu instid0(SALU_CYCLE_1)
	s_and_not1_b32 vcc_lo, exec_lo, s5
	s_cbranch_vccnz .LBB118_2166
; %bb.2165:
	global_load_u16 v1, v[4:5], off
	s_wait_loadcnt 0x0
	v_cvt_f32_f16_e32 v10, v1
.LBB118_2166:
	s_mov_b32 s5, 0
.LBB118_2167:
	s_delay_alu instid0(SALU_CYCLE_1)
	s_and_not1_b32 vcc_lo, exec_lo, s5
	s_cbranch_vccnz .LBB118_2187
; %bb.2168:
	s_cmp_lt_i32 s0, 2
	s_cbranch_scc1 .LBB118_2172
; %bb.2169:
	s_cmp_lt_i32 s0, 3
	s_cbranch_scc1 .LBB118_2173
; %bb.2170:
	s_cmp_gt_i32 s0, 3
	s_cbranch_scc0 .LBB118_2174
; %bb.2171:
	s_wait_loadcnt 0x0
	global_load_b64 v[10:11], v[4:5], off
	s_mov_b32 s5, 0
	s_wait_loadcnt 0x0
	v_xor_b32_e32 v1, v10, v11
	v_cls_i32_e32 v3, v11
	s_delay_alu instid0(VALU_DEP_2) | instskip(NEXT) | instid1(VALU_DEP_1)
	v_ashrrev_i32_e32 v1, 31, v1
	v_add_nc_u32_e32 v1, 32, v1
	s_delay_alu instid0(VALU_DEP_1) | instskip(NEXT) | instid1(VALU_DEP_1)
	v_add_min_u32_e64 v1, v3, -1, v1
	v_lshlrev_b64_e32 v[10:11], v1, v[10:11]
	v_sub_nc_u32_e32 v1, 32, v1
	s_delay_alu instid0(VALU_DEP_2) | instskip(NEXT) | instid1(VALU_DEP_1)
	v_min_u32_e32 v3, 1, v10
	v_or_b32_e32 v3, v11, v3
	s_delay_alu instid0(VALU_DEP_1) | instskip(NEXT) | instid1(VALU_DEP_1)
	v_cvt_f32_i32_e32 v3, v3
	v_ldexp_f32 v10, v3, v1
	s_branch .LBB118_2175
.LBB118_2172:
	s_mov_b32 s5, -1
                                        ; implicit-def: $vgpr10
	s_branch .LBB118_2181
.LBB118_2173:
	s_mov_b32 s5, -1
                                        ; implicit-def: $vgpr10
	s_branch .LBB118_2178
.LBB118_2174:
	s_mov_b32 s5, -1
                                        ; implicit-def: $vgpr10
.LBB118_2175:
	s_delay_alu instid0(SALU_CYCLE_1)
	s_and_not1_b32 vcc_lo, exec_lo, s5
	s_cbranch_vccnz .LBB118_2177
; %bb.2176:
	global_load_b32 v1, v[4:5], off
	s_wait_loadcnt 0x0
	v_cvt_f32_i32_e32 v10, v1
.LBB118_2177:
	s_mov_b32 s5, 0
.LBB118_2178:
	s_delay_alu instid0(SALU_CYCLE_1)
	s_and_not1_b32 vcc_lo, exec_lo, s5
	s_cbranch_vccnz .LBB118_2180
; %bb.2179:
	global_load_i16 v1, v[4:5], off
	s_wait_loadcnt 0x0
	v_cvt_f32_i32_e32 v10, v1
.LBB118_2180:
	s_mov_b32 s5, 0
.LBB118_2181:
	s_delay_alu instid0(SALU_CYCLE_1)
	s_and_not1_b32 vcc_lo, exec_lo, s5
	s_cbranch_vccnz .LBB118_2187
; %bb.2182:
	s_cmp_gt_i32 s0, 0
	s_mov_b32 s5, 0
	s_cbranch_scc0 .LBB118_2184
; %bb.2183:
	global_load_i8 v1, v[4:5], off
	s_wait_loadcnt 0x0
	v_cvt_f32_i32_e32 v10, v1
	s_branch .LBB118_2185
.LBB118_2184:
	s_mov_b32 s5, -1
                                        ; implicit-def: $vgpr10
.LBB118_2185:
	s_delay_alu instid0(SALU_CYCLE_1)
	s_and_not1_b32 vcc_lo, exec_lo, s5
	s_cbranch_vccnz .LBB118_2187
; %bb.2186:
	global_load_u8 v1, v[4:5], off
	s_wait_loadcnt 0x0
	v_cvt_f32_ubyte0_e32 v10, v1
.LBB118_2187:
	s_mov_b32 s19, -1
.LBB118_2188:
	s_delay_alu instid0(SALU_CYCLE_1)
	s_and_not1_b32 vcc_lo, exec_lo, s19
	s_cbranch_vccnz .LBB118_3190
; %bb.2189:
	s_cmp_lt_i32 s15, 23
	s_cbranch_scc1 .LBB118_2193
; %bb.2190:
	s_and_b32 s19, 0xffff, s15
	s_delay_alu instid0(SALU_CYCLE_1)
	s_cmp_gt_i32 s19, 43
	s_cbranch_scc0 .LBB118_2194
; %bb.2191:
	s_cmp_gt_i32 s19, 45
	s_cbranch_scc0 .LBB118_2195
; %bb.2192:
	s_cmp_lg_u32 s19, 46
	s_mov_b32 s20, 0
	s_mov_b32 s5, -1
	s_cselect_b32 s18, -1, 0
	s_branch .LBB118_2196
.LBB118_2193:
	s_mov_b32 s19, -1
	s_mov_b32 s5, 0
	s_mov_b32 s18, 0
	s_branch .LBB118_2202
.LBB118_2194:
	s_mov_b32 s20, -1
	s_mov_b32 s5, 0
	s_mov_b32 s18, 0
	s_branch .LBB118_2199
.LBB118_2195:
	s_mov_b32 s20, -1
	s_mov_b32 s5, 0
	s_mov_b32 s18, 0
.LBB118_2196:
	s_and_not1_b32 vcc_lo, exec_lo, s20
	s_cbranch_vccnz .LBB118_2198
; %bb.2197:
	s_cmp_eq_u32 s19, 44
	s_cselect_b32 s5, -1, 0
	s_cmp_lg_u32 s19, 44
	s_cselect_b32 s18, -1, 0
.LBB118_2198:
	s_mov_b32 s20, 0
.LBB118_2199:
	s_delay_alu instid0(SALU_CYCLE_1)
	s_and_b32 vcc_lo, exec_lo, s20
	s_cbranch_vccz .LBB118_2201
; %bb.2200:
	s_cmp_lt_i32 s19, 30
	s_cselect_b32 s5, -1, 0
	s_cmp_gt_i32 s19, 29
	s_cselect_b32 s18, -1, 0
.LBB118_2201:
	s_mov_b32 s19, 0
.LBB118_2202:
	s_delay_alu instid0(SALU_CYCLE_1)
	s_and_b32 vcc_lo, exec_lo, s19
	s_cbranch_vccz .LBB118_2207
; %bb.2203:
	s_and_b32 s19, 0xffff, s15
	s_mov_b32 s20, -1
	s_cmp_gt_i32 s19, 14
	s_cbranch_scc0 .LBB118_2205
; %bb.2204:
	s_cmp_eq_u32 s19, 15
	s_mov_b32 s20, 0
	s_cselect_b32 s5, -1, 0
	s_cmp_lg_u32 s19, 15
	s_cselect_b32 s18, -1, 0
.LBB118_2205:
	s_and_not1_b32 vcc_lo, exec_lo, s20
	s_cbranch_vccnz .LBB118_2207
; %bb.2206:
	s_cmp_lt_i32 s19, 12
	s_cselect_b32 s5, -1, 0
	s_cmp_gt_i32 s19, 11
	s_cselect_b32 s18, -1, 0
.LBB118_2207:
	s_delay_alu instid0(SALU_CYCLE_1)
	s_and_b32 vcc_lo, exec_lo, s18
	s_cbranch_vccnz .LBB118_2220
; %bb.2208:
	s_and_not1_b32 vcc_lo, exec_lo, s5
	s_cbranch_vccnz .LBB118_3190
.LBB118_2209:
	v_add_nc_u32_e32 v0, s1, v0
	s_cmp_lt_i32 s13, 11
	s_delay_alu instid0(VALU_DEP_1) | instskip(SKIP_1) | instid1(VALU_DEP_1)
	v_ashrrev_i32_e32 v1, 31, v0
	s_wait_xcnt 0x0
	v_add_nc_u64_e32 v[4:5], s[8:9], v[0:1]
	s_cbranch_scc1 .LBB118_2216
; %bb.2210:
	s_and_b32 s5, 0xffff, s13
	s_mov_b32 s19, 0
	s_cmp_gt_i32 s5, 25
	s_cbranch_scc0 .LBB118_2217
; %bb.2211:
	s_cmp_gt_i32 s5, 28
	s_cbranch_scc0 .LBB118_2218
; %bb.2212:
	;; [unrolled: 3-line block ×4, first 2 shown]
	s_cmp_eq_u32 s5, 46
	s_mov_b32 s21, 0
	s_cbranch_scc0 .LBB118_2225
; %bb.2215:
	global_load_b32 v1, v[4:5], off
	s_mov_b32 s18, 0
	s_mov_b32 s20, -1
	s_wait_loadcnt 0x0
	v_lshlrev_b32_e32 v11, 16, v1
	s_branch .LBB118_2227
.LBB118_2216:
	s_mov_b32 s5, -1
	s_mov_b32 s20, 0
                                        ; implicit-def: $vgpr11
	s_branch .LBB118_2293
.LBB118_2217:
	s_mov_b32 s21, -1
	s_mov_b32 s20, 0
	s_mov_b32 s18, 0
                                        ; implicit-def: $vgpr11
	s_branch .LBB118_2256
.LBB118_2218:
	s_mov_b32 s21, -1
	s_mov_b32 s20, 0
	s_mov_b32 s18, 0
                                        ; implicit-def: $vgpr11
	s_branch .LBB118_2237
.LBB118_2219:
	s_or_b32 s14, s14, exec_lo
	s_trap 2
	s_cbranch_execz .LBB118_2137
	s_branch .LBB118_2138
.LBB118_2220:
	s_or_b32 s14, s14, exec_lo
	s_trap 2
	s_cbranch_execz .LBB118_2209
	s_branch .LBB118_3190
.LBB118_2221:
	s_mov_b32 s21, -1
	s_mov_b32 s20, 0
	s_mov_b32 s18, 0
                                        ; implicit-def: $vgpr11
	s_branch .LBB118_2232
.LBB118_2222:
	s_and_not1_saveexec_b32 s37, s37
	s_cbranch_execz .LBB118_1143
.LBB118_2223:
	v_add_f32_e64 v3, 0x42800000, |v2|
	s_and_not1_b32 s36, s36, exec_lo
	s_delay_alu instid0(VALU_DEP_1) | instskip(NEXT) | instid1(VALU_DEP_1)
	v_and_b32_e32 v3, 0xff, v3
	v_cmp_ne_u32_e32 vcc_lo, 0, v3
	s_and_b32 s38, vcc_lo, exec_lo
	s_delay_alu instid0(SALU_CYCLE_1)
	s_or_b32 s36, s36, s38
	s_or_b32 exec_lo, exec_lo, s37
	v_mov_b32_e32 v4, 0
	s_and_saveexec_b32 s37, s36
	s_cbranch_execnz .LBB118_1144
	s_branch .LBB118_1145
.LBB118_2224:
	s_mov_b32 s21, -1
	s_mov_b32 s20, 0
	s_mov_b32 s18, 0
	s_branch .LBB118_2226
.LBB118_2225:
	s_mov_b32 s18, -1
	s_mov_b32 s20, 0
.LBB118_2226:
                                        ; implicit-def: $vgpr11
.LBB118_2227:
	s_and_b32 vcc_lo, exec_lo, s21
	s_cbranch_vccz .LBB118_2231
; %bb.2228:
	s_cmp_eq_u32 s5, 44
	s_cbranch_scc0 .LBB118_2230
; %bb.2229:
	global_load_u8 v1, v[4:5], off
	s_mov_b32 s18, 0
	s_mov_b32 s20, -1
	s_wait_loadcnt 0x0
	v_lshlrev_b32_e32 v3, 23, v1
	v_cmp_ne_u32_e32 vcc_lo, 0xff, v1
	s_delay_alu instid0(VALU_DEP_2) | instskip(SKIP_1) | instid1(VALU_DEP_2)
	v_cndmask_b32_e32 v3, 0x7f800001, v3, vcc_lo
	v_cmp_ne_u32_e32 vcc_lo, 0, v1
	v_cndmask_b32_e32 v11, 0x400000, v3, vcc_lo
	s_branch .LBB118_2231
.LBB118_2230:
	s_mov_b32 s18, -1
                                        ; implicit-def: $vgpr11
.LBB118_2231:
	s_mov_b32 s21, 0
.LBB118_2232:
	s_delay_alu instid0(SALU_CYCLE_1)
	s_and_b32 vcc_lo, exec_lo, s21
	s_cbranch_vccz .LBB118_2236
; %bb.2233:
	s_cmp_eq_u32 s5, 29
	s_cbranch_scc0 .LBB118_2235
; %bb.2234:
	global_load_b64 v[12:13], v[4:5], off
	s_mov_b32 s18, 0
	s_mov_b32 s20, -1
	s_mov_b32 s21, 0
	s_wait_loadcnt 0x0
	v_clz_i32_u32_e32 v1, v13
	s_delay_alu instid0(VALU_DEP_1) | instskip(NEXT) | instid1(VALU_DEP_1)
	v_min_u32_e32 v1, 32, v1
	v_lshlrev_b64_e32 v[12:13], v1, v[12:13]
	v_sub_nc_u32_e32 v1, 32, v1
	s_delay_alu instid0(VALU_DEP_2) | instskip(NEXT) | instid1(VALU_DEP_1)
	v_min_u32_e32 v3, 1, v12
	v_or_b32_e32 v3, v13, v3
	s_delay_alu instid0(VALU_DEP_1) | instskip(NEXT) | instid1(VALU_DEP_1)
	v_cvt_f32_u32_e32 v3, v3
	v_ldexp_f32 v11, v3, v1
	s_branch .LBB118_2237
.LBB118_2235:
	s_mov_b32 s18, -1
                                        ; implicit-def: $vgpr11
.LBB118_2236:
	s_mov_b32 s21, 0
.LBB118_2237:
	s_delay_alu instid0(SALU_CYCLE_1)
	s_and_b32 vcc_lo, exec_lo, s21
	s_cbranch_vccz .LBB118_2255
; %bb.2238:
	s_cmp_lt_i32 s5, 27
	s_cbranch_scc1 .LBB118_2241
; %bb.2239:
	s_cmp_gt_i32 s5, 27
	s_cbranch_scc0 .LBB118_2242
; %bb.2240:
	global_load_b32 v1, v[4:5], off
	s_mov_b32 s20, 0
	s_wait_loadcnt 0x0
	v_cvt_f32_u32_e32 v11, v1
	s_branch .LBB118_2243
.LBB118_2241:
	s_mov_b32 s20, -1
                                        ; implicit-def: $vgpr11
	s_branch .LBB118_2246
.LBB118_2242:
	s_mov_b32 s20, -1
                                        ; implicit-def: $vgpr11
.LBB118_2243:
	s_delay_alu instid0(SALU_CYCLE_1)
	s_and_not1_b32 vcc_lo, exec_lo, s20
	s_cbranch_vccnz .LBB118_2245
; %bb.2244:
	global_load_u16 v1, v[4:5], off
	s_wait_loadcnt 0x0
	v_cvt_f32_u32_e32 v11, v1
.LBB118_2245:
	s_mov_b32 s20, 0
.LBB118_2246:
	s_delay_alu instid0(SALU_CYCLE_1)
	s_and_not1_b32 vcc_lo, exec_lo, s20
	s_cbranch_vccnz .LBB118_2254
; %bb.2247:
	global_load_u8 v1, v[4:5], off
	s_mov_b32 s20, 0
	s_mov_b32 s21, exec_lo
	s_wait_loadcnt 0x0
	v_cmpx_lt_i16_e32 0x7f, v1
	s_xor_b32 s21, exec_lo, s21
	s_cbranch_execz .LBB118_2268
; %bb.2248:
	s_mov_b32 s20, -1
	s_mov_b32 s22, exec_lo
	v_cmpx_eq_u16_e32 0x80, v1
; %bb.2249:
	s_xor_b32 s20, exec_lo, -1
; %bb.2250:
	s_or_b32 exec_lo, exec_lo, s22
	s_delay_alu instid0(SALU_CYCLE_1)
	s_and_b32 s20, s20, exec_lo
	s_or_saveexec_b32 s21, s21
	v_mov_b32_e32 v11, 0x7f800001
	s_xor_b32 exec_lo, exec_lo, s21
	s_cbranch_execnz .LBB118_2269
.LBB118_2251:
	s_or_b32 exec_lo, exec_lo, s21
	s_and_saveexec_b32 s21, s20
	s_cbranch_execz .LBB118_2253
.LBB118_2252:
	v_and_b32_e32 v3, 0xffff, v1
	s_delay_alu instid0(VALU_DEP_1) | instskip(SKIP_1) | instid1(VALU_DEP_2)
	v_and_b32_e32 v11, 7, v3
	v_bfe_u32 v14, v3, 3, 4
	v_clz_i32_u32_e32 v12, v11
	s_delay_alu instid0(VALU_DEP_2) | instskip(NEXT) | instid1(VALU_DEP_2)
	v_cmp_eq_u32_e32 vcc_lo, 0, v14
	v_min_u32_e32 v12, 32, v12
	s_delay_alu instid0(VALU_DEP_1) | instskip(NEXT) | instid1(VALU_DEP_1)
	v_subrev_nc_u32_e32 v13, 28, v12
	v_dual_lshlrev_b32 v3, v13, v3 :: v_dual_sub_nc_u32 v12, 29, v12
	s_delay_alu instid0(VALU_DEP_1) | instskip(NEXT) | instid1(VALU_DEP_1)
	v_dual_lshlrev_b32 v1, 24, v1 :: v_dual_bitop2_b32 v3, 7, v3 bitop3:0x40
	v_dual_cndmask_b32 v12, v14, v12 :: v_dual_cndmask_b32 v3, v11, v3
	s_delay_alu instid0(VALU_DEP_2) | instskip(NEXT) | instid1(VALU_DEP_2)
	v_and_b32_e32 v1, 0x80000000, v1
	v_lshl_add_u32 v11, v12, 23, 0x3b800000
	s_delay_alu instid0(VALU_DEP_3) | instskip(NEXT) | instid1(VALU_DEP_1)
	v_lshlrev_b32_e32 v3, 20, v3
	v_or3_b32 v11, v1, v11, v3
.LBB118_2253:
	s_or_b32 exec_lo, exec_lo, s21
.LBB118_2254:
	s_mov_b32 s20, -1
.LBB118_2255:
	s_mov_b32 s21, 0
.LBB118_2256:
	s_delay_alu instid0(SALU_CYCLE_1)
	s_and_b32 vcc_lo, exec_lo, s21
	s_cbranch_vccz .LBB118_2289
; %bb.2257:
	s_cmp_gt_i32 s5, 22
	s_cbranch_scc0 .LBB118_2267
; %bb.2258:
	s_cmp_lt_i32 s5, 24
	s_cbranch_scc1 .LBB118_2270
; %bb.2259:
	s_cmp_gt_i32 s5, 24
	s_cbranch_scc0 .LBB118_2271
; %bb.2260:
	global_load_u8 v1, v[4:5], off
	s_mov_b32 s20, exec_lo
	s_wait_loadcnt 0x0
	v_cmpx_lt_i16_e32 0x7f, v1
	s_xor_b32 s20, exec_lo, s20
	s_cbranch_execz .LBB118_2283
; %bb.2261:
	s_mov_b32 s19, -1
	s_mov_b32 s21, exec_lo
	v_cmpx_eq_u16_e32 0x80, v1
; %bb.2262:
	s_xor_b32 s19, exec_lo, -1
; %bb.2263:
	s_or_b32 exec_lo, exec_lo, s21
	s_delay_alu instid0(SALU_CYCLE_1)
	s_and_b32 s19, s19, exec_lo
	s_or_saveexec_b32 s20, s20
	v_mov_b32_e32 v11, 0x7f800001
	s_xor_b32 exec_lo, exec_lo, s20
	s_cbranch_execnz .LBB118_2284
.LBB118_2264:
	s_or_b32 exec_lo, exec_lo, s20
	s_and_saveexec_b32 s20, s19
	s_cbranch_execz .LBB118_2266
.LBB118_2265:
	v_and_b32_e32 v3, 0xffff, v1
	s_delay_alu instid0(VALU_DEP_1) | instskip(SKIP_1) | instid1(VALU_DEP_2)
	v_and_b32_e32 v11, 3, v3
	v_bfe_u32 v14, v3, 2, 5
	v_clz_i32_u32_e32 v12, v11
	s_delay_alu instid0(VALU_DEP_2) | instskip(NEXT) | instid1(VALU_DEP_2)
	v_cmp_eq_u32_e32 vcc_lo, 0, v14
	v_min_u32_e32 v12, 32, v12
	s_delay_alu instid0(VALU_DEP_1) | instskip(NEXT) | instid1(VALU_DEP_1)
	v_subrev_nc_u32_e32 v13, 29, v12
	v_dual_lshlrev_b32 v3, v13, v3 :: v_dual_sub_nc_u32 v12, 30, v12
	s_delay_alu instid0(VALU_DEP_1) | instskip(NEXT) | instid1(VALU_DEP_1)
	v_dual_lshlrev_b32 v1, 24, v1 :: v_dual_bitop2_b32 v3, 3, v3 bitop3:0x40
	v_dual_cndmask_b32 v12, v14, v12 :: v_dual_cndmask_b32 v3, v11, v3
	s_delay_alu instid0(VALU_DEP_2) | instskip(NEXT) | instid1(VALU_DEP_2)
	v_and_b32_e32 v1, 0x80000000, v1
	v_lshl_add_u32 v11, v12, 23, 0x37800000
	s_delay_alu instid0(VALU_DEP_3) | instskip(NEXT) | instid1(VALU_DEP_1)
	v_lshlrev_b32_e32 v3, 21, v3
	v_or3_b32 v11, v1, v11, v3
.LBB118_2266:
	s_or_b32 exec_lo, exec_lo, s20
	s_mov_b32 s19, 0
	s_branch .LBB118_2272
.LBB118_2267:
	s_mov_b32 s19, -1
                                        ; implicit-def: $vgpr11
	s_branch .LBB118_2278
.LBB118_2268:
	s_or_saveexec_b32 s21, s21
	v_mov_b32_e32 v11, 0x7f800001
	s_xor_b32 exec_lo, exec_lo, s21
	s_cbranch_execz .LBB118_2251
.LBB118_2269:
	v_cmp_ne_u16_e32 vcc_lo, 0, v1
	v_mov_b32_e32 v11, 0
	s_and_not1_b32 s20, s20, exec_lo
	s_and_b32 s22, vcc_lo, exec_lo
	s_delay_alu instid0(SALU_CYCLE_1)
	s_or_b32 s20, s20, s22
	s_or_b32 exec_lo, exec_lo, s21
	s_and_saveexec_b32 s21, s20
	s_cbranch_execnz .LBB118_2252
	s_branch .LBB118_2253
.LBB118_2270:
	s_mov_b32 s19, -1
                                        ; implicit-def: $vgpr11
	s_branch .LBB118_2275
.LBB118_2271:
	s_mov_b32 s19, -1
                                        ; implicit-def: $vgpr11
.LBB118_2272:
	s_delay_alu instid0(SALU_CYCLE_1)
	s_and_b32 vcc_lo, exec_lo, s19
	s_cbranch_vccz .LBB118_2274
; %bb.2273:
	global_load_u8 v1, v[4:5], off
	s_wait_loadcnt 0x0
	v_lshlrev_b32_e32 v1, 24, v1
	s_delay_alu instid0(VALU_DEP_1) | instskip(NEXT) | instid1(VALU_DEP_1)
	v_and_b32_e32 v3, 0x7f000000, v1
	v_clz_i32_u32_e32 v11, v3
	v_add_nc_u32_e32 v13, 0x1000000, v3
	v_cmp_ne_u32_e32 vcc_lo, 0, v3
	s_delay_alu instid0(VALU_DEP_3) | instskip(NEXT) | instid1(VALU_DEP_1)
	v_min_u32_e32 v11, 32, v11
	v_sub_nc_u32_e64 v11, v11, 4 clamp
	s_delay_alu instid0(VALU_DEP_1) | instskip(NEXT) | instid1(VALU_DEP_1)
	v_lshlrev_b32_e32 v12, v11, v3
	v_dual_lshlrev_b32 v11, 23, v11 :: v_dual_lshrrev_b32 v12, 4, v12
	s_delay_alu instid0(VALU_DEP_1) | instskip(NEXT) | instid1(VALU_DEP_1)
	v_dual_sub_nc_u32 v11, v12, v11 :: v_dual_ashrrev_i32 v12, 8, v13
	v_add_nc_u32_e32 v11, 0x3c000000, v11
	s_delay_alu instid0(VALU_DEP_1) | instskip(NEXT) | instid1(VALU_DEP_1)
	v_and_or_b32 v11, 0x7f800000, v12, v11
	v_cndmask_b32_e32 v3, 0, v11, vcc_lo
	s_delay_alu instid0(VALU_DEP_1)
	v_and_or_b32 v11, 0x80000000, v1, v3
.LBB118_2274:
	s_mov_b32 s19, 0
.LBB118_2275:
	s_delay_alu instid0(SALU_CYCLE_1)
	s_and_not1_b32 vcc_lo, exec_lo, s19
	s_cbranch_vccnz .LBB118_2277
; %bb.2276:
	global_load_u8 v1, v[4:5], off
	s_wait_loadcnt 0x0
	v_lshlrev_b32_e32 v3, 25, v1
	v_lshlrev_b16 v1, 8, v1
	s_delay_alu instid0(VALU_DEP_1) | instskip(SKIP_1) | instid1(VALU_DEP_2)
	v_and_or_b32 v12, 0x7f00, v1, 0.5
	v_bfe_i32 v1, v1, 0, 16
	v_dual_add_f32 v12, -0.5, v12 :: v_dual_lshrrev_b32 v11, 4, v3
	v_cmp_gt_u32_e32 vcc_lo, 0x8000000, v3
	s_delay_alu instid0(VALU_DEP_2) | instskip(NEXT) | instid1(VALU_DEP_1)
	v_or_b32_e32 v11, 0x70000000, v11
	v_mul_f32_e32 v11, 0x7800000, v11
	s_delay_alu instid0(VALU_DEP_1) | instskip(NEXT) | instid1(VALU_DEP_1)
	v_cndmask_b32_e32 v3, v11, v12, vcc_lo
	v_and_or_b32 v11, 0x80000000, v1, v3
.LBB118_2277:
	s_mov_b32 s19, 0
	s_mov_b32 s20, -1
.LBB118_2278:
	s_and_not1_b32 vcc_lo, exec_lo, s19
	s_mov_b32 s19, 0
	s_cbranch_vccnz .LBB118_2289
; %bb.2279:
	s_cmp_gt_i32 s5, 14
	s_cbranch_scc0 .LBB118_2282
; %bb.2280:
	s_cmp_eq_u32 s5, 15
	s_cbranch_scc0 .LBB118_2285
; %bb.2281:
	global_load_u16 v1, v[4:5], off
	s_mov_b32 s18, 0
	s_mov_b32 s20, -1
	s_wait_loadcnt 0x0
	v_lshlrev_b32_e32 v11, 16, v1
	s_branch .LBB118_2287
.LBB118_2282:
	s_mov_b32 s19, -1
	s_branch .LBB118_2286
.LBB118_2283:
	s_or_saveexec_b32 s20, s20
	v_mov_b32_e32 v11, 0x7f800001
	s_xor_b32 exec_lo, exec_lo, s20
	s_cbranch_execz .LBB118_2264
.LBB118_2284:
	v_cmp_ne_u16_e32 vcc_lo, 0, v1
	v_mov_b32_e32 v11, 0
	s_and_not1_b32 s19, s19, exec_lo
	s_and_b32 s21, vcc_lo, exec_lo
	s_delay_alu instid0(SALU_CYCLE_1)
	s_or_b32 s19, s19, s21
	s_or_b32 exec_lo, exec_lo, s20
	s_and_saveexec_b32 s20, s19
	s_cbranch_execnz .LBB118_2265
	s_branch .LBB118_2266
.LBB118_2285:
	s_mov_b32 s18, -1
.LBB118_2286:
                                        ; implicit-def: $vgpr11
.LBB118_2287:
	s_and_b32 vcc_lo, exec_lo, s19
	s_mov_b32 s19, 0
	s_cbranch_vccz .LBB118_2289
; %bb.2288:
	s_cmp_lg_u32 s5, 11
	s_mov_b32 s19, -1
	s_cselect_b32 s18, -1, 0
.LBB118_2289:
	s_delay_alu instid0(SALU_CYCLE_1)
	s_and_b32 vcc_lo, exec_lo, s18
	s_cbranch_vccnz .LBB118_2354
; %bb.2290:
	s_and_not1_b32 vcc_lo, exec_lo, s19
	s_cbranch_vccnz .LBB118_2292
.LBB118_2291:
	global_load_u8 v1, v[4:5], off
	s_mov_b32 s20, -1
	s_wait_loadcnt 0x0
	v_cmp_ne_u16_e32 vcc_lo, 0, v1
	v_cndmask_b32_e64 v11, 0, 1.0, vcc_lo
.LBB118_2292:
	s_mov_b32 s5, 0
.LBB118_2293:
	s_delay_alu instid0(SALU_CYCLE_1)
	s_and_b32 vcc_lo, exec_lo, s5
	s_cbranch_vccz .LBB118_2342
; %bb.2294:
	s_and_b32 s5, 0xffff, s13
	s_delay_alu instid0(SALU_CYCLE_1)
	s_cmp_lt_i32 s5, 5
	s_cbranch_scc1 .LBB118_2299
; %bb.2295:
	s_cmp_lt_i32 s5, 8
	s_cbranch_scc1 .LBB118_2300
; %bb.2296:
	;; [unrolled: 3-line block ×3, first 2 shown]
	s_cmp_gt_i32 s5, 9
	s_cbranch_scc0 .LBB118_2302
; %bb.2298:
	global_load_b64 v[12:13], v[4:5], off
	s_mov_b32 s18, 0
	s_wait_loadcnt 0x0
	v_cvt_f32_f64_e32 v11, v[12:13]
	s_branch .LBB118_2303
.LBB118_2299:
	s_mov_b32 s18, -1
                                        ; implicit-def: $vgpr11
	s_branch .LBB118_2321
.LBB118_2300:
	s_mov_b32 s18, -1
                                        ; implicit-def: $vgpr11
	s_branch .LBB118_2309
.LBB118_2301:
	s_mov_b32 s18, -1
                                        ; implicit-def: $vgpr11
	s_branch .LBB118_2306
.LBB118_2302:
	s_mov_b32 s18, -1
                                        ; implicit-def: $vgpr11
.LBB118_2303:
	s_delay_alu instid0(SALU_CYCLE_1)
	s_and_not1_b32 vcc_lo, exec_lo, s18
	s_cbranch_vccnz .LBB118_2305
; %bb.2304:
	global_load_b32 v11, v[4:5], off
.LBB118_2305:
	s_mov_b32 s18, 0
.LBB118_2306:
	s_delay_alu instid0(SALU_CYCLE_1)
	s_and_not1_b32 vcc_lo, exec_lo, s18
	s_cbranch_vccnz .LBB118_2308
; %bb.2307:
	global_load_b32 v1, v[4:5], off
	s_wait_loadcnt 0x0
	v_cvt_f32_f16_e32 v11, v1
.LBB118_2308:
	s_mov_b32 s18, 0
.LBB118_2309:
	s_delay_alu instid0(SALU_CYCLE_1)
	s_and_not1_b32 vcc_lo, exec_lo, s18
	s_cbranch_vccnz .LBB118_2320
; %bb.2310:
	s_cmp_lt_i32 s5, 6
	s_cbranch_scc1 .LBB118_2313
; %bb.2311:
	s_cmp_gt_i32 s5, 6
	s_cbranch_scc0 .LBB118_2314
; %bb.2312:
	global_load_b64 v[12:13], v[4:5], off
	s_mov_b32 s18, 0
	s_wait_loadcnt 0x0
	v_cvt_f32_f64_e32 v11, v[12:13]
	s_branch .LBB118_2315
.LBB118_2313:
	s_mov_b32 s18, -1
                                        ; implicit-def: $vgpr11
	s_branch .LBB118_2318
.LBB118_2314:
	s_mov_b32 s18, -1
                                        ; implicit-def: $vgpr11
.LBB118_2315:
	s_delay_alu instid0(SALU_CYCLE_1)
	s_and_not1_b32 vcc_lo, exec_lo, s18
	s_cbranch_vccnz .LBB118_2317
; %bb.2316:
	s_wait_loadcnt 0x0
	global_load_b32 v11, v[4:5], off
.LBB118_2317:
	s_mov_b32 s18, 0
.LBB118_2318:
	s_delay_alu instid0(SALU_CYCLE_1)
	s_and_not1_b32 vcc_lo, exec_lo, s18
	s_cbranch_vccnz .LBB118_2320
; %bb.2319:
	global_load_u16 v1, v[4:5], off
	s_wait_loadcnt 0x0
	v_cvt_f32_f16_e32 v11, v1
.LBB118_2320:
	s_mov_b32 s18, 0
.LBB118_2321:
	s_delay_alu instid0(SALU_CYCLE_1)
	s_and_not1_b32 vcc_lo, exec_lo, s18
	s_cbranch_vccnz .LBB118_2341
; %bb.2322:
	s_cmp_lt_i32 s5, 2
	s_cbranch_scc1 .LBB118_2326
; %bb.2323:
	s_cmp_lt_i32 s5, 3
	s_cbranch_scc1 .LBB118_2327
; %bb.2324:
	s_cmp_gt_i32 s5, 3
	s_cbranch_scc0 .LBB118_2328
; %bb.2325:
	global_load_b64 v[12:13], v[4:5], off
	s_mov_b32 s18, 0
	s_wait_loadcnt 0x0
	v_xor_b32_e32 v1, v12, v13
	v_cls_i32_e32 v3, v13
	s_delay_alu instid0(VALU_DEP_2) | instskip(NEXT) | instid1(VALU_DEP_1)
	v_ashrrev_i32_e32 v1, 31, v1
	v_add_nc_u32_e32 v1, 32, v1
	s_delay_alu instid0(VALU_DEP_1) | instskip(NEXT) | instid1(VALU_DEP_1)
	v_add_min_u32_e64 v1, v3, -1, v1
	v_lshlrev_b64_e32 v[12:13], v1, v[12:13]
	v_sub_nc_u32_e32 v1, 32, v1
	s_delay_alu instid0(VALU_DEP_2) | instskip(NEXT) | instid1(VALU_DEP_1)
	v_min_u32_e32 v3, 1, v12
	v_or_b32_e32 v3, v13, v3
	s_delay_alu instid0(VALU_DEP_1) | instskip(NEXT) | instid1(VALU_DEP_1)
	v_cvt_f32_i32_e32 v3, v3
	v_ldexp_f32 v11, v3, v1
	s_branch .LBB118_2329
.LBB118_2326:
	s_mov_b32 s18, -1
                                        ; implicit-def: $vgpr11
	s_branch .LBB118_2335
.LBB118_2327:
	s_mov_b32 s18, -1
                                        ; implicit-def: $vgpr11
	s_branch .LBB118_2332
.LBB118_2328:
	s_mov_b32 s18, -1
                                        ; implicit-def: $vgpr11
.LBB118_2329:
	s_delay_alu instid0(SALU_CYCLE_1)
	s_and_not1_b32 vcc_lo, exec_lo, s18
	s_cbranch_vccnz .LBB118_2331
; %bb.2330:
	global_load_b32 v1, v[4:5], off
	s_wait_loadcnt 0x0
	v_cvt_f32_i32_e32 v11, v1
.LBB118_2331:
	s_mov_b32 s18, 0
.LBB118_2332:
	s_delay_alu instid0(SALU_CYCLE_1)
	s_and_not1_b32 vcc_lo, exec_lo, s18
	s_cbranch_vccnz .LBB118_2334
; %bb.2333:
	global_load_i16 v1, v[4:5], off
	s_wait_loadcnt 0x0
	v_cvt_f32_i32_e32 v11, v1
.LBB118_2334:
	s_mov_b32 s18, 0
.LBB118_2335:
	s_delay_alu instid0(SALU_CYCLE_1)
	s_and_not1_b32 vcc_lo, exec_lo, s18
	s_cbranch_vccnz .LBB118_2341
; %bb.2336:
	s_cmp_gt_i32 s5, 0
	s_mov_b32 s5, 0
	s_cbranch_scc0 .LBB118_2338
; %bb.2337:
	global_load_i8 v1, v[4:5], off
	s_wait_loadcnt 0x0
	v_cvt_f32_i32_e32 v11, v1
	s_branch .LBB118_2339
.LBB118_2338:
	s_mov_b32 s5, -1
                                        ; implicit-def: $vgpr11
.LBB118_2339:
	s_delay_alu instid0(SALU_CYCLE_1)
	s_and_not1_b32 vcc_lo, exec_lo, s5
	s_cbranch_vccnz .LBB118_2341
; %bb.2340:
	global_load_u8 v1, v[4:5], off
	s_wait_loadcnt 0x0
	v_cvt_f32_ubyte0_e32 v11, v1
.LBB118_2341:
	s_mov_b32 s20, -1
.LBB118_2342:
	s_delay_alu instid0(SALU_CYCLE_1)
	s_and_not1_b32 vcc_lo, exec_lo, s20
	s_cbranch_vccnz .LBB118_3190
; %bb.2343:
	v_add_nc_u32_e32 v2, s4, v2
	s_cmp_lt_i32 s0, 11
	s_delay_alu instid0(VALU_DEP_1) | instskip(SKIP_1) | instid1(VALU_DEP_1)
	v_ashrrev_i32_e32 v3, 31, v2
	s_wait_xcnt 0x0
	v_add_nc_u64_e32 v[4:5], s[10:11], v[2:3]
	s_cbranch_scc1 .LBB118_2350
; %bb.2344:
	s_cmp_gt_i32 s0, 25
	s_mov_b32 s18, 0
	s_cbranch_scc0 .LBB118_2351
; %bb.2345:
	s_cmp_gt_i32 s0, 28
	s_cbranch_scc0 .LBB118_2352
; %bb.2346:
	s_cmp_gt_i32 s0, 43
	;; [unrolled: 3-line block ×3, first 2 shown]
	s_cbranch_scc0 .LBB118_2355
; %bb.2348:
	s_cmp_eq_u32 s0, 46
	s_mov_b32 s20, 0
	s_cbranch_scc0 .LBB118_2356
; %bb.2349:
	global_load_b32 v1, v[4:5], off
	s_mov_b32 s5, 0
	s_mov_b32 s19, -1
	s_wait_loadcnt 0x0
	v_lshlrev_b32_e32 v12, 16, v1
	s_branch .LBB118_2358
.LBB118_2350:
	s_mov_b32 s5, -1
	s_mov_b32 s19, 0
                                        ; implicit-def: $vgpr12
	s_branch .LBB118_2424
.LBB118_2351:
	s_mov_b32 s20, -1
	s_mov_b32 s19, 0
	s_mov_b32 s5, 0
                                        ; implicit-def: $vgpr12
	s_branch .LBB118_2387
.LBB118_2352:
	s_mov_b32 s20, -1
	s_mov_b32 s19, 0
	s_mov_b32 s5, 0
                                        ; implicit-def: $vgpr12
	s_branch .LBB118_2368
.LBB118_2353:
	s_mov_b32 s20, -1
	s_mov_b32 s19, 0
	s_mov_b32 s5, 0
                                        ; implicit-def: $vgpr12
	s_branch .LBB118_2363
.LBB118_2354:
	s_or_b32 s14, s14, exec_lo
	s_trap 2
	s_cbranch_execz .LBB118_2291
	s_branch .LBB118_2292
.LBB118_2355:
	s_mov_b32 s20, -1
	s_mov_b32 s19, 0
	s_mov_b32 s5, 0
	s_branch .LBB118_2357
.LBB118_2356:
	s_mov_b32 s5, -1
	s_mov_b32 s19, 0
.LBB118_2357:
                                        ; implicit-def: $vgpr12
.LBB118_2358:
	s_and_b32 vcc_lo, exec_lo, s20
	s_cbranch_vccz .LBB118_2362
; %bb.2359:
	s_cmp_eq_u32 s0, 44
	s_cbranch_scc0 .LBB118_2361
; %bb.2360:
	global_load_u8 v1, v[4:5], off
	s_mov_b32 s5, 0
	s_mov_b32 s19, -1
	s_wait_loadcnt 0x0
	v_lshlrev_b32_e32 v3, 23, v1
	v_cmp_ne_u32_e32 vcc_lo, 0xff, v1
	s_delay_alu instid0(VALU_DEP_2) | instskip(SKIP_1) | instid1(VALU_DEP_2)
	v_cndmask_b32_e32 v3, 0x7f800001, v3, vcc_lo
	v_cmp_ne_u32_e32 vcc_lo, 0, v1
	v_cndmask_b32_e32 v12, 0x400000, v3, vcc_lo
	s_branch .LBB118_2362
.LBB118_2361:
	s_mov_b32 s5, -1
                                        ; implicit-def: $vgpr12
.LBB118_2362:
	s_mov_b32 s20, 0
.LBB118_2363:
	s_delay_alu instid0(SALU_CYCLE_1)
	s_and_b32 vcc_lo, exec_lo, s20
	s_cbranch_vccz .LBB118_2367
; %bb.2364:
	s_cmp_eq_u32 s0, 29
	s_cbranch_scc0 .LBB118_2366
; %bb.2365:
	global_load_b64 v[12:13], v[4:5], off
	s_mov_b32 s5, 0
	s_mov_b32 s19, -1
	s_mov_b32 s20, 0
	s_wait_loadcnt 0x0
	v_clz_i32_u32_e32 v1, v13
	s_delay_alu instid0(VALU_DEP_1) | instskip(NEXT) | instid1(VALU_DEP_1)
	v_min_u32_e32 v1, 32, v1
	v_lshlrev_b64_e32 v[12:13], v1, v[12:13]
	v_sub_nc_u32_e32 v1, 32, v1
	s_delay_alu instid0(VALU_DEP_2) | instskip(NEXT) | instid1(VALU_DEP_1)
	v_min_u32_e32 v3, 1, v12
	v_or_b32_e32 v3, v13, v3
	s_delay_alu instid0(VALU_DEP_1) | instskip(NEXT) | instid1(VALU_DEP_1)
	v_cvt_f32_u32_e32 v3, v3
	v_ldexp_f32 v12, v3, v1
	s_branch .LBB118_2368
.LBB118_2366:
	s_mov_b32 s5, -1
                                        ; implicit-def: $vgpr12
.LBB118_2367:
	s_mov_b32 s20, 0
.LBB118_2368:
	s_delay_alu instid0(SALU_CYCLE_1)
	s_and_b32 vcc_lo, exec_lo, s20
	s_cbranch_vccz .LBB118_2386
; %bb.2369:
	s_cmp_lt_i32 s0, 27
	s_cbranch_scc1 .LBB118_2372
; %bb.2370:
	s_cmp_gt_i32 s0, 27
	s_cbranch_scc0 .LBB118_2373
; %bb.2371:
	global_load_b32 v1, v[4:5], off
	s_mov_b32 s19, 0
	s_wait_loadcnt 0x0
	v_cvt_f32_u32_e32 v12, v1
	s_branch .LBB118_2374
.LBB118_2372:
	s_mov_b32 s19, -1
                                        ; implicit-def: $vgpr12
	s_branch .LBB118_2377
.LBB118_2373:
	s_mov_b32 s19, -1
                                        ; implicit-def: $vgpr12
.LBB118_2374:
	s_delay_alu instid0(SALU_CYCLE_1)
	s_and_not1_b32 vcc_lo, exec_lo, s19
	s_cbranch_vccnz .LBB118_2376
; %bb.2375:
	global_load_u16 v1, v[4:5], off
	s_wait_loadcnt 0x0
	v_cvt_f32_u32_e32 v12, v1
.LBB118_2376:
	s_mov_b32 s19, 0
.LBB118_2377:
	s_delay_alu instid0(SALU_CYCLE_1)
	s_and_not1_b32 vcc_lo, exec_lo, s19
	s_cbranch_vccnz .LBB118_2385
; %bb.2378:
	global_load_u8 v1, v[4:5], off
	s_mov_b32 s19, 0
	s_mov_b32 s20, exec_lo
	s_wait_loadcnt 0x0
	v_cmpx_lt_i16_e32 0x7f, v1
	s_xor_b32 s20, exec_lo, s20
	s_cbranch_execz .LBB118_2399
; %bb.2379:
	s_mov_b32 s19, -1
	s_mov_b32 s21, exec_lo
	v_cmpx_eq_u16_e32 0x80, v1
; %bb.2380:
	s_xor_b32 s19, exec_lo, -1
; %bb.2381:
	s_or_b32 exec_lo, exec_lo, s21
	s_delay_alu instid0(SALU_CYCLE_1)
	s_and_b32 s19, s19, exec_lo
	s_or_saveexec_b32 s20, s20
	v_mov_b32_e32 v12, 0x7f800001
	s_xor_b32 exec_lo, exec_lo, s20
	s_cbranch_execnz .LBB118_2400
.LBB118_2382:
	s_or_b32 exec_lo, exec_lo, s20
	s_and_saveexec_b32 s20, s19
	s_cbranch_execz .LBB118_2384
.LBB118_2383:
	v_and_b32_e32 v3, 0xffff, v1
	s_delay_alu instid0(VALU_DEP_1) | instskip(SKIP_1) | instid1(VALU_DEP_2)
	v_and_b32_e32 v12, 7, v3
	v_bfe_u32 v15, v3, 3, 4
	v_clz_i32_u32_e32 v13, v12
	s_delay_alu instid0(VALU_DEP_2) | instskip(NEXT) | instid1(VALU_DEP_2)
	v_cmp_eq_u32_e32 vcc_lo, 0, v15
	v_min_u32_e32 v13, 32, v13
	s_delay_alu instid0(VALU_DEP_1) | instskip(NEXT) | instid1(VALU_DEP_1)
	v_subrev_nc_u32_e32 v14, 28, v13
	v_dual_lshlrev_b32 v3, v14, v3 :: v_dual_sub_nc_u32 v13, 29, v13
	s_delay_alu instid0(VALU_DEP_1) | instskip(NEXT) | instid1(VALU_DEP_1)
	v_dual_lshlrev_b32 v1, 24, v1 :: v_dual_bitop2_b32 v3, 7, v3 bitop3:0x40
	v_dual_cndmask_b32 v3, v12, v3, vcc_lo :: v_dual_cndmask_b32 v13, v15, v13, vcc_lo
	s_delay_alu instid0(VALU_DEP_2) | instskip(NEXT) | instid1(VALU_DEP_2)
	v_and_b32_e32 v1, 0x80000000, v1
	v_lshlrev_b32_e32 v3, 20, v3
	s_delay_alu instid0(VALU_DEP_3) | instskip(NEXT) | instid1(VALU_DEP_1)
	v_lshl_add_u32 v12, v13, 23, 0x3b800000
	v_or3_b32 v12, v1, v12, v3
.LBB118_2384:
	s_or_b32 exec_lo, exec_lo, s20
.LBB118_2385:
	s_mov_b32 s19, -1
.LBB118_2386:
	s_mov_b32 s20, 0
.LBB118_2387:
	s_delay_alu instid0(SALU_CYCLE_1)
	s_and_b32 vcc_lo, exec_lo, s20
	s_cbranch_vccz .LBB118_2420
; %bb.2388:
	s_cmp_gt_i32 s0, 22
	s_cbranch_scc0 .LBB118_2398
; %bb.2389:
	s_cmp_lt_i32 s0, 24
	s_cbranch_scc1 .LBB118_2401
; %bb.2390:
	s_cmp_gt_i32 s0, 24
	s_cbranch_scc0 .LBB118_2402
; %bb.2391:
	global_load_u8 v1, v[4:5], off
	s_mov_b32 s19, exec_lo
	s_wait_loadcnt 0x0
	v_cmpx_lt_i16_e32 0x7f, v1
	s_xor_b32 s19, exec_lo, s19
	s_cbranch_execz .LBB118_2414
; %bb.2392:
	s_mov_b32 s18, -1
	s_mov_b32 s20, exec_lo
	v_cmpx_eq_u16_e32 0x80, v1
; %bb.2393:
	s_xor_b32 s18, exec_lo, -1
; %bb.2394:
	s_or_b32 exec_lo, exec_lo, s20
	s_delay_alu instid0(SALU_CYCLE_1)
	s_and_b32 s18, s18, exec_lo
	s_or_saveexec_b32 s19, s19
	v_mov_b32_e32 v12, 0x7f800001
	s_xor_b32 exec_lo, exec_lo, s19
	s_cbranch_execnz .LBB118_2415
.LBB118_2395:
	s_or_b32 exec_lo, exec_lo, s19
	s_and_saveexec_b32 s19, s18
	s_cbranch_execz .LBB118_2397
.LBB118_2396:
	v_and_b32_e32 v3, 0xffff, v1
	s_delay_alu instid0(VALU_DEP_1) | instskip(SKIP_1) | instid1(VALU_DEP_2)
	v_and_b32_e32 v12, 3, v3
	v_bfe_u32 v15, v3, 2, 5
	v_clz_i32_u32_e32 v13, v12
	s_delay_alu instid0(VALU_DEP_2) | instskip(NEXT) | instid1(VALU_DEP_2)
	v_cmp_eq_u32_e32 vcc_lo, 0, v15
	v_min_u32_e32 v13, 32, v13
	s_delay_alu instid0(VALU_DEP_1) | instskip(NEXT) | instid1(VALU_DEP_1)
	v_subrev_nc_u32_e32 v14, 29, v13
	v_dual_lshlrev_b32 v3, v14, v3 :: v_dual_sub_nc_u32 v13, 30, v13
	s_delay_alu instid0(VALU_DEP_1) | instskip(NEXT) | instid1(VALU_DEP_1)
	v_dual_lshlrev_b32 v1, 24, v1 :: v_dual_bitop2_b32 v3, 3, v3 bitop3:0x40
	v_dual_cndmask_b32 v3, v12, v3, vcc_lo :: v_dual_cndmask_b32 v13, v15, v13, vcc_lo
	s_delay_alu instid0(VALU_DEP_2) | instskip(NEXT) | instid1(VALU_DEP_2)
	v_and_b32_e32 v1, 0x80000000, v1
	v_lshlrev_b32_e32 v3, 21, v3
	s_delay_alu instid0(VALU_DEP_3) | instskip(NEXT) | instid1(VALU_DEP_1)
	v_lshl_add_u32 v12, v13, 23, 0x37800000
	v_or3_b32 v12, v1, v12, v3
.LBB118_2397:
	s_or_b32 exec_lo, exec_lo, s19
	s_mov_b32 s18, 0
	s_branch .LBB118_2403
.LBB118_2398:
	s_mov_b32 s18, -1
                                        ; implicit-def: $vgpr12
	s_branch .LBB118_2409
.LBB118_2399:
	s_or_saveexec_b32 s20, s20
	v_mov_b32_e32 v12, 0x7f800001
	s_xor_b32 exec_lo, exec_lo, s20
	s_cbranch_execz .LBB118_2382
.LBB118_2400:
	v_cmp_ne_u16_e32 vcc_lo, 0, v1
	v_mov_b32_e32 v12, 0
	s_and_not1_b32 s19, s19, exec_lo
	s_and_b32 s21, vcc_lo, exec_lo
	s_delay_alu instid0(SALU_CYCLE_1)
	s_or_b32 s19, s19, s21
	s_or_b32 exec_lo, exec_lo, s20
	s_and_saveexec_b32 s20, s19
	s_cbranch_execnz .LBB118_2383
	s_branch .LBB118_2384
.LBB118_2401:
	s_mov_b32 s18, -1
                                        ; implicit-def: $vgpr12
	s_branch .LBB118_2406
.LBB118_2402:
	s_mov_b32 s18, -1
                                        ; implicit-def: $vgpr12
.LBB118_2403:
	s_delay_alu instid0(SALU_CYCLE_1)
	s_and_b32 vcc_lo, exec_lo, s18
	s_cbranch_vccz .LBB118_2405
; %bb.2404:
	global_load_u8 v1, v[4:5], off
	s_wait_loadcnt 0x0
	v_lshlrev_b32_e32 v1, 24, v1
	s_delay_alu instid0(VALU_DEP_1) | instskip(NEXT) | instid1(VALU_DEP_1)
	v_and_b32_e32 v3, 0x7f000000, v1
	v_clz_i32_u32_e32 v12, v3
	v_cmp_ne_u32_e32 vcc_lo, 0, v3
	v_add_nc_u32_e32 v14, 0x1000000, v3
	s_delay_alu instid0(VALU_DEP_3) | instskip(NEXT) | instid1(VALU_DEP_1)
	v_min_u32_e32 v12, 32, v12
	v_sub_nc_u32_e64 v12, v12, 4 clamp
	s_delay_alu instid0(VALU_DEP_1) | instskip(NEXT) | instid1(VALU_DEP_1)
	v_dual_lshlrev_b32 v13, v12, v3 :: v_dual_lshlrev_b32 v12, 23, v12
	v_lshrrev_b32_e32 v13, 4, v13
	s_delay_alu instid0(VALU_DEP_1) | instskip(NEXT) | instid1(VALU_DEP_1)
	v_dual_sub_nc_u32 v12, v13, v12 :: v_dual_ashrrev_i32 v13, 8, v14
	v_add_nc_u32_e32 v12, 0x3c000000, v12
	s_delay_alu instid0(VALU_DEP_1) | instskip(NEXT) | instid1(VALU_DEP_1)
	v_and_or_b32 v12, 0x7f800000, v13, v12
	v_cndmask_b32_e32 v3, 0, v12, vcc_lo
	s_delay_alu instid0(VALU_DEP_1)
	v_and_or_b32 v12, 0x80000000, v1, v3
.LBB118_2405:
	s_mov_b32 s18, 0
.LBB118_2406:
	s_delay_alu instid0(SALU_CYCLE_1)
	s_and_not1_b32 vcc_lo, exec_lo, s18
	s_cbranch_vccnz .LBB118_2408
; %bb.2407:
	global_load_u8 v1, v[4:5], off
	s_wait_loadcnt 0x0
	v_lshlrev_b32_e32 v3, 25, v1
	v_lshlrev_b16 v1, 8, v1
	s_delay_alu instid0(VALU_DEP_1) | instskip(NEXT) | instid1(VALU_DEP_3)
	v_and_or_b32 v13, 0x7f00, v1, 0.5
	v_lshrrev_b32_e32 v12, 4, v3
	v_bfe_i32 v1, v1, 0, 16
	s_delay_alu instid0(VALU_DEP_3) | instskip(NEXT) | instid1(VALU_DEP_3)
	v_add_f32_e32 v13, -0.5, v13
	v_or_b32_e32 v12, 0x70000000, v12
	s_delay_alu instid0(VALU_DEP_1) | instskip(SKIP_1) | instid1(VALU_DEP_2)
	v_mul_f32_e32 v12, 0x7800000, v12
	v_cmp_gt_u32_e32 vcc_lo, 0x8000000, v3
	v_cndmask_b32_e32 v3, v12, v13, vcc_lo
	s_delay_alu instid0(VALU_DEP_1)
	v_and_or_b32 v12, 0x80000000, v1, v3
.LBB118_2408:
	s_mov_b32 s18, 0
	s_mov_b32 s19, -1
.LBB118_2409:
	s_and_not1_b32 vcc_lo, exec_lo, s18
	s_mov_b32 s18, 0
	s_cbranch_vccnz .LBB118_2420
; %bb.2410:
	s_cmp_gt_i32 s0, 14
	s_cbranch_scc0 .LBB118_2413
; %bb.2411:
	s_cmp_eq_u32 s0, 15
	s_cbranch_scc0 .LBB118_2416
; %bb.2412:
	global_load_u16 v1, v[4:5], off
	s_mov_b32 s5, 0
	s_mov_b32 s19, -1
	s_wait_loadcnt 0x0
	v_lshlrev_b32_e32 v12, 16, v1
	s_branch .LBB118_2418
.LBB118_2413:
	s_mov_b32 s18, -1
	s_branch .LBB118_2417
.LBB118_2414:
	s_or_saveexec_b32 s19, s19
	v_mov_b32_e32 v12, 0x7f800001
	s_xor_b32 exec_lo, exec_lo, s19
	s_cbranch_execz .LBB118_2395
.LBB118_2415:
	v_cmp_ne_u16_e32 vcc_lo, 0, v1
	v_mov_b32_e32 v12, 0
	s_and_not1_b32 s18, s18, exec_lo
	s_and_b32 s20, vcc_lo, exec_lo
	s_delay_alu instid0(SALU_CYCLE_1)
	s_or_b32 s18, s18, s20
	s_or_b32 exec_lo, exec_lo, s19
	s_and_saveexec_b32 s19, s18
	s_cbranch_execnz .LBB118_2396
	s_branch .LBB118_2397
.LBB118_2416:
	s_mov_b32 s5, -1
.LBB118_2417:
                                        ; implicit-def: $vgpr12
.LBB118_2418:
	s_and_b32 vcc_lo, exec_lo, s18
	s_mov_b32 s18, 0
	s_cbranch_vccz .LBB118_2420
; %bb.2419:
	s_cmp_lg_u32 s0, 11
	s_mov_b32 s18, -1
	s_cselect_b32 s5, -1, 0
.LBB118_2420:
	s_delay_alu instid0(SALU_CYCLE_1)
	s_and_b32 vcc_lo, exec_lo, s5
	s_cbranch_vccnz .LBB118_2504
; %bb.2421:
	s_and_not1_b32 vcc_lo, exec_lo, s18
	s_cbranch_vccnz .LBB118_2423
.LBB118_2422:
	global_load_u8 v1, v[4:5], off
	s_mov_b32 s19, -1
	s_wait_loadcnt 0x0
	v_cmp_ne_u16_e32 vcc_lo, 0, v1
	v_cndmask_b32_e64 v12, 0, 1.0, vcc_lo
.LBB118_2423:
	s_mov_b32 s5, 0
.LBB118_2424:
	s_delay_alu instid0(SALU_CYCLE_1)
	s_and_b32 vcc_lo, exec_lo, s5
	s_cbranch_vccz .LBB118_2473
; %bb.2425:
	s_cmp_lt_i32 s0, 5
	s_cbranch_scc1 .LBB118_2430
; %bb.2426:
	s_cmp_lt_i32 s0, 8
	s_cbranch_scc1 .LBB118_2431
	;; [unrolled: 3-line block ×3, first 2 shown]
; %bb.2428:
	s_cmp_gt_i32 s0, 9
	s_cbranch_scc0 .LBB118_2433
; %bb.2429:
	global_load_b64 v[12:13], v[4:5], off
	s_mov_b32 s5, 0
	s_wait_loadcnt 0x0
	v_cvt_f32_f64_e32 v12, v[12:13]
	s_branch .LBB118_2434
.LBB118_2430:
	s_mov_b32 s5, -1
                                        ; implicit-def: $vgpr12
	s_branch .LBB118_2452
.LBB118_2431:
	s_mov_b32 s5, -1
                                        ; implicit-def: $vgpr12
	s_branch .LBB118_2440
.LBB118_2432:
	s_mov_b32 s5, -1
                                        ; implicit-def: $vgpr12
	s_branch .LBB118_2437
.LBB118_2433:
	s_mov_b32 s5, -1
                                        ; implicit-def: $vgpr12
.LBB118_2434:
	s_delay_alu instid0(SALU_CYCLE_1)
	s_and_not1_b32 vcc_lo, exec_lo, s5
	s_cbranch_vccnz .LBB118_2436
; %bb.2435:
	global_load_b32 v12, v[4:5], off
.LBB118_2436:
	s_mov_b32 s5, 0
.LBB118_2437:
	s_delay_alu instid0(SALU_CYCLE_1)
	s_and_not1_b32 vcc_lo, exec_lo, s5
	s_cbranch_vccnz .LBB118_2439
; %bb.2438:
	global_load_b32 v1, v[4:5], off
	s_wait_loadcnt 0x0
	v_cvt_f32_f16_e32 v12, v1
.LBB118_2439:
	s_mov_b32 s5, 0
.LBB118_2440:
	s_delay_alu instid0(SALU_CYCLE_1)
	s_and_not1_b32 vcc_lo, exec_lo, s5
	s_cbranch_vccnz .LBB118_2451
; %bb.2441:
	s_cmp_lt_i32 s0, 6
	s_cbranch_scc1 .LBB118_2444
; %bb.2442:
	s_cmp_gt_i32 s0, 6
	s_cbranch_scc0 .LBB118_2445
; %bb.2443:
	s_wait_loadcnt 0x0
	global_load_b64 v[12:13], v[4:5], off
	s_mov_b32 s5, 0
	s_wait_loadcnt 0x0
	v_cvt_f32_f64_e32 v12, v[12:13]
	s_branch .LBB118_2446
.LBB118_2444:
	s_mov_b32 s5, -1
                                        ; implicit-def: $vgpr12
	s_branch .LBB118_2449
.LBB118_2445:
	s_mov_b32 s5, -1
                                        ; implicit-def: $vgpr12
.LBB118_2446:
	s_delay_alu instid0(SALU_CYCLE_1)
	s_and_not1_b32 vcc_lo, exec_lo, s5
	s_cbranch_vccnz .LBB118_2448
; %bb.2447:
	s_wait_loadcnt 0x0
	global_load_b32 v12, v[4:5], off
.LBB118_2448:
	s_mov_b32 s5, 0
.LBB118_2449:
	s_delay_alu instid0(SALU_CYCLE_1)
	s_and_not1_b32 vcc_lo, exec_lo, s5
	s_cbranch_vccnz .LBB118_2451
; %bb.2450:
	global_load_u16 v1, v[4:5], off
	s_wait_loadcnt 0x0
	v_cvt_f32_f16_e32 v12, v1
.LBB118_2451:
	s_mov_b32 s5, 0
.LBB118_2452:
	s_delay_alu instid0(SALU_CYCLE_1)
	s_and_not1_b32 vcc_lo, exec_lo, s5
	s_cbranch_vccnz .LBB118_2472
; %bb.2453:
	s_cmp_lt_i32 s0, 2
	s_cbranch_scc1 .LBB118_2457
; %bb.2454:
	s_cmp_lt_i32 s0, 3
	s_cbranch_scc1 .LBB118_2458
; %bb.2455:
	s_cmp_gt_i32 s0, 3
	s_cbranch_scc0 .LBB118_2459
; %bb.2456:
	s_wait_loadcnt 0x0
	global_load_b64 v[12:13], v[4:5], off
	s_mov_b32 s5, 0
	s_wait_loadcnt 0x0
	v_xor_b32_e32 v1, v12, v13
	v_cls_i32_e32 v3, v13
	s_delay_alu instid0(VALU_DEP_2) | instskip(NEXT) | instid1(VALU_DEP_1)
	v_ashrrev_i32_e32 v1, 31, v1
	v_add_nc_u32_e32 v1, 32, v1
	s_delay_alu instid0(VALU_DEP_1) | instskip(NEXT) | instid1(VALU_DEP_1)
	v_add_min_u32_e64 v1, v3, -1, v1
	v_lshlrev_b64_e32 v[12:13], v1, v[12:13]
	v_sub_nc_u32_e32 v1, 32, v1
	s_delay_alu instid0(VALU_DEP_2) | instskip(NEXT) | instid1(VALU_DEP_1)
	v_min_u32_e32 v3, 1, v12
	v_or_b32_e32 v3, v13, v3
	s_delay_alu instid0(VALU_DEP_1) | instskip(NEXT) | instid1(VALU_DEP_1)
	v_cvt_f32_i32_e32 v3, v3
	v_ldexp_f32 v12, v3, v1
	s_branch .LBB118_2460
.LBB118_2457:
	s_mov_b32 s5, -1
                                        ; implicit-def: $vgpr12
	s_branch .LBB118_2466
.LBB118_2458:
	s_mov_b32 s5, -1
                                        ; implicit-def: $vgpr12
	s_branch .LBB118_2463
.LBB118_2459:
	s_mov_b32 s5, -1
                                        ; implicit-def: $vgpr12
.LBB118_2460:
	s_delay_alu instid0(SALU_CYCLE_1)
	s_and_not1_b32 vcc_lo, exec_lo, s5
	s_cbranch_vccnz .LBB118_2462
; %bb.2461:
	global_load_b32 v1, v[4:5], off
	s_wait_loadcnt 0x0
	v_cvt_f32_i32_e32 v12, v1
.LBB118_2462:
	s_mov_b32 s5, 0
.LBB118_2463:
	s_delay_alu instid0(SALU_CYCLE_1)
	s_and_not1_b32 vcc_lo, exec_lo, s5
	s_cbranch_vccnz .LBB118_2465
; %bb.2464:
	global_load_i16 v1, v[4:5], off
	s_wait_loadcnt 0x0
	v_cvt_f32_i32_e32 v12, v1
.LBB118_2465:
	s_mov_b32 s5, 0
.LBB118_2466:
	s_delay_alu instid0(SALU_CYCLE_1)
	s_and_not1_b32 vcc_lo, exec_lo, s5
	s_cbranch_vccnz .LBB118_2472
; %bb.2467:
	s_cmp_gt_i32 s0, 0
	s_mov_b32 s5, 0
	s_cbranch_scc0 .LBB118_2469
; %bb.2468:
	global_load_i8 v1, v[4:5], off
	s_wait_loadcnt 0x0
	v_cvt_f32_i32_e32 v12, v1
	s_branch .LBB118_2470
.LBB118_2469:
	s_mov_b32 s5, -1
                                        ; implicit-def: $vgpr12
.LBB118_2470:
	s_delay_alu instid0(SALU_CYCLE_1)
	s_and_not1_b32 vcc_lo, exec_lo, s5
	s_cbranch_vccnz .LBB118_2472
; %bb.2471:
	global_load_u8 v1, v[4:5], off
	s_wait_loadcnt 0x0
	v_cvt_f32_ubyte0_e32 v12, v1
.LBB118_2472:
	s_mov_b32 s19, -1
.LBB118_2473:
	s_delay_alu instid0(SALU_CYCLE_1)
	s_and_not1_b32 vcc_lo, exec_lo, s19
	s_cbranch_vccnz .LBB118_3190
; %bb.2474:
	s_cmp_lt_i32 s15, 23
	s_cbranch_scc1 .LBB118_2478
; %bb.2475:
	s_and_b32 s19, 0xffff, s15
	s_delay_alu instid0(SALU_CYCLE_1)
	s_cmp_gt_i32 s19, 43
	s_cbranch_scc0 .LBB118_2479
; %bb.2476:
	s_cmp_gt_i32 s19, 45
	s_cbranch_scc0 .LBB118_2480
; %bb.2477:
	s_cmp_lg_u32 s19, 46
	s_mov_b32 s20, 0
	s_mov_b32 s5, -1
	s_cselect_b32 s18, -1, 0
	s_branch .LBB118_2481
.LBB118_2478:
	s_mov_b32 s19, -1
	s_mov_b32 s5, 0
	s_mov_b32 s18, 0
	s_branch .LBB118_2487
.LBB118_2479:
	s_mov_b32 s20, -1
	s_mov_b32 s5, 0
	s_mov_b32 s18, 0
	s_branch .LBB118_2484
.LBB118_2480:
	s_mov_b32 s20, -1
	s_mov_b32 s5, 0
	s_mov_b32 s18, 0
.LBB118_2481:
	s_and_not1_b32 vcc_lo, exec_lo, s20
	s_cbranch_vccnz .LBB118_2483
; %bb.2482:
	s_cmp_eq_u32 s19, 44
	s_cselect_b32 s5, -1, 0
	s_cmp_lg_u32 s19, 44
	s_cselect_b32 s18, -1, 0
.LBB118_2483:
	s_mov_b32 s20, 0
.LBB118_2484:
	s_delay_alu instid0(SALU_CYCLE_1)
	s_and_b32 vcc_lo, exec_lo, s20
	s_cbranch_vccz .LBB118_2486
; %bb.2485:
	s_cmp_lt_i32 s19, 30
	s_cselect_b32 s5, -1, 0
	s_cmp_gt_i32 s19, 29
	s_cselect_b32 s18, -1, 0
.LBB118_2486:
	s_mov_b32 s19, 0
.LBB118_2487:
	s_delay_alu instid0(SALU_CYCLE_1)
	s_and_b32 vcc_lo, exec_lo, s19
	s_cbranch_vccz .LBB118_2492
; %bb.2488:
	s_and_b32 s15, 0xffff, s15
	s_mov_b32 s19, -1
	s_cmp_gt_i32 s15, 14
	s_cbranch_scc0 .LBB118_2490
; %bb.2489:
	s_cmp_eq_u32 s15, 15
	s_mov_b32 s19, 0
	s_cselect_b32 s5, -1, 0
	s_cmp_lg_u32 s15, 15
	s_cselect_b32 s18, -1, 0
.LBB118_2490:
	s_and_not1_b32 vcc_lo, exec_lo, s19
	s_cbranch_vccnz .LBB118_2492
; %bb.2491:
	s_cmp_lt_i32 s15, 12
	s_cselect_b32 s5, -1, 0
	s_cmp_gt_i32 s15, 11
	s_cselect_b32 s18, -1, 0
.LBB118_2492:
	s_delay_alu instid0(SALU_CYCLE_1)
	s_and_b32 vcc_lo, exec_lo, s18
	s_cbranch_vccnz .LBB118_2505
; %bb.2493:
	s_and_not1_b32 vcc_lo, exec_lo, s5
	s_cbranch_vccnz .LBB118_3190
.LBB118_2494:
	v_add_nc_u32_e32 v0, s1, v0
	s_cmp_lt_i32 s13, 11
	s_delay_alu instid0(VALU_DEP_1) | instskip(NEXT) | instid1(VALU_DEP_1)
	v_ashrrev_i32_e32 v1, 31, v0
	v_add_nc_u64_e32 v[0:1], s[8:9], v[0:1]
	s_cbranch_scc1 .LBB118_2501
; %bb.2495:
	s_and_b32 s1, 0xffff, s13
	s_mov_b32 s8, 0
	s_cmp_gt_i32 s1, 25
	s_cbranch_scc0 .LBB118_2502
; %bb.2496:
	s_cmp_gt_i32 s1, 28
	s_cbranch_scc0 .LBB118_2503
; %bb.2497:
	;; [unrolled: 3-line block ×4, first 2 shown]
	s_cmp_eq_u32 s1, 46
	s_mov_b32 s15, 0
	s_cbranch_scc0 .LBB118_2508
; %bb.2500:
	global_load_b32 v3, v[0:1], off
	s_mov_b32 s5, 0
	s_mov_b32 s9, -1
	s_wait_loadcnt 0x0
	v_lshlrev_b32_e32 v13, 16, v3
	s_branch .LBB118_2510
.LBB118_2501:
	s_mov_b32 s1, -1
	s_mov_b32 s9, 0
                                        ; implicit-def: $vgpr13
	s_branch .LBB118_2576
.LBB118_2502:
	s_mov_b32 s15, -1
	s_mov_b32 s9, 0
	s_mov_b32 s5, 0
                                        ; implicit-def: $vgpr13
	s_branch .LBB118_2539
.LBB118_2503:
	s_mov_b32 s15, -1
	s_mov_b32 s9, 0
	s_mov_b32 s5, 0
                                        ; implicit-def: $vgpr13
	s_branch .LBB118_2520
.LBB118_2504:
	s_or_b32 s14, s14, exec_lo
	s_trap 2
	s_cbranch_execz .LBB118_2422
	s_branch .LBB118_2423
.LBB118_2505:
	s_or_b32 s14, s14, exec_lo
	s_trap 2
	s_cbranch_execz .LBB118_2494
	s_branch .LBB118_3190
.LBB118_2506:
	s_mov_b32 s15, -1
	s_mov_b32 s9, 0
	s_mov_b32 s5, 0
                                        ; implicit-def: $vgpr13
	s_branch .LBB118_2515
.LBB118_2507:
	s_mov_b32 s15, -1
	s_mov_b32 s9, 0
	s_mov_b32 s5, 0
	s_branch .LBB118_2509
.LBB118_2508:
	s_mov_b32 s5, -1
	s_mov_b32 s9, 0
.LBB118_2509:
                                        ; implicit-def: $vgpr13
.LBB118_2510:
	s_and_b32 vcc_lo, exec_lo, s15
	s_cbranch_vccz .LBB118_2514
; %bb.2511:
	s_cmp_eq_u32 s1, 44
	s_cbranch_scc0 .LBB118_2513
; %bb.2512:
	global_load_u8 v3, v[0:1], off
	s_mov_b32 s5, 0
	s_mov_b32 s9, -1
	s_wait_loadcnt 0x0
	s_wait_xcnt 0x1
	v_lshlrev_b32_e32 v4, 23, v3
	v_cmp_ne_u32_e32 vcc_lo, 0xff, v3
	s_delay_alu instid0(VALU_DEP_2) | instskip(SKIP_1) | instid1(VALU_DEP_2)
	v_cndmask_b32_e32 v4, 0x7f800001, v4, vcc_lo
	v_cmp_ne_u32_e32 vcc_lo, 0, v3
	v_cndmask_b32_e32 v13, 0x400000, v4, vcc_lo
	s_branch .LBB118_2514
.LBB118_2513:
	s_mov_b32 s5, -1
                                        ; implicit-def: $vgpr13
.LBB118_2514:
	s_mov_b32 s15, 0
.LBB118_2515:
	s_delay_alu instid0(SALU_CYCLE_1)
	s_and_b32 vcc_lo, exec_lo, s15
	s_cbranch_vccz .LBB118_2519
; %bb.2516:
	s_cmp_eq_u32 s1, 29
	s_cbranch_scc0 .LBB118_2518
; %bb.2517:
	global_load_b64 v[4:5], v[0:1], off
	s_mov_b32 s5, 0
	s_mov_b32 s9, -1
	s_mov_b32 s15, 0
	s_wait_loadcnt 0x0
	v_clz_i32_u32_e32 v3, v5
	s_delay_alu instid0(VALU_DEP_1) | instskip(NEXT) | instid1(VALU_DEP_1)
	v_min_u32_e32 v3, 32, v3
	v_lshlrev_b64_e32 v[4:5], v3, v[4:5]
	v_sub_nc_u32_e32 v3, 32, v3
	s_delay_alu instid0(VALU_DEP_2) | instskip(NEXT) | instid1(VALU_DEP_1)
	v_min_u32_e32 v4, 1, v4
	v_or_b32_e32 v4, v5, v4
	s_delay_alu instid0(VALU_DEP_1) | instskip(NEXT) | instid1(VALU_DEP_1)
	v_cvt_f32_u32_e32 v4, v4
	v_ldexp_f32 v13, v4, v3
	s_branch .LBB118_2520
.LBB118_2518:
	s_mov_b32 s5, -1
                                        ; implicit-def: $vgpr13
.LBB118_2519:
	s_mov_b32 s15, 0
.LBB118_2520:
	s_delay_alu instid0(SALU_CYCLE_1)
	s_and_b32 vcc_lo, exec_lo, s15
	s_cbranch_vccz .LBB118_2538
; %bb.2521:
	s_cmp_lt_i32 s1, 27
	s_cbranch_scc1 .LBB118_2524
; %bb.2522:
	s_cmp_gt_i32 s1, 27
	s_cbranch_scc0 .LBB118_2525
; %bb.2523:
	global_load_b32 v3, v[0:1], off
	s_mov_b32 s9, 0
	s_wait_loadcnt 0x0
	v_cvt_f32_u32_e32 v13, v3
	s_branch .LBB118_2526
.LBB118_2524:
	s_mov_b32 s9, -1
                                        ; implicit-def: $vgpr13
	s_branch .LBB118_2529
.LBB118_2525:
	s_mov_b32 s9, -1
                                        ; implicit-def: $vgpr13
.LBB118_2526:
	s_delay_alu instid0(SALU_CYCLE_1)
	s_and_not1_b32 vcc_lo, exec_lo, s9
	s_cbranch_vccnz .LBB118_2528
; %bb.2527:
	global_load_u16 v3, v[0:1], off
	s_wait_loadcnt 0x0
	v_cvt_f32_u32_e32 v13, v3
.LBB118_2528:
	s_mov_b32 s9, 0
.LBB118_2529:
	s_delay_alu instid0(SALU_CYCLE_1)
	s_and_not1_b32 vcc_lo, exec_lo, s9
	s_cbranch_vccnz .LBB118_2537
; %bb.2530:
	global_load_u8 v3, v[0:1], off
	s_mov_b32 s9, 0
	s_mov_b32 s15, exec_lo
	s_wait_loadcnt 0x0
	v_cmpx_lt_i16_e32 0x7f, v3
	s_xor_b32 s15, exec_lo, s15
	s_cbranch_execz .LBB118_2551
; %bb.2531:
	s_mov_b32 s9, -1
	s_mov_b32 s18, exec_lo
	v_cmpx_eq_u16_e32 0x80, v3
; %bb.2532:
	s_xor_b32 s9, exec_lo, -1
; %bb.2533:
	s_or_b32 exec_lo, exec_lo, s18
	s_delay_alu instid0(SALU_CYCLE_1)
	s_and_b32 s9, s9, exec_lo
	s_or_saveexec_b32 s15, s15
	v_mov_b32_e32 v13, 0x7f800001
	s_xor_b32 exec_lo, exec_lo, s15
	s_cbranch_execnz .LBB118_2552
.LBB118_2534:
	s_or_b32 exec_lo, exec_lo, s15
	s_and_saveexec_b32 s15, s9
	s_cbranch_execz .LBB118_2536
.LBB118_2535:
	v_and_b32_e32 v4, 0xffff, v3
	s_delay_alu instid0(VALU_DEP_1) | instskip(SKIP_1) | instid1(VALU_DEP_2)
	v_and_b32_e32 v5, 7, v4
	v_bfe_u32 v15, v4, 3, 4
	v_clz_i32_u32_e32 v13, v5
	s_delay_alu instid0(VALU_DEP_2) | instskip(NEXT) | instid1(VALU_DEP_2)
	v_cmp_eq_u32_e32 vcc_lo, 0, v15
	v_min_u32_e32 v13, 32, v13
	s_delay_alu instid0(VALU_DEP_1) | instskip(NEXT) | instid1(VALU_DEP_1)
	v_subrev_nc_u32_e32 v14, 28, v13
	v_dual_lshlrev_b32 v4, v14, v4 :: v_dual_sub_nc_u32 v13, 29, v13
	s_delay_alu instid0(VALU_DEP_1) | instskip(NEXT) | instid1(VALU_DEP_1)
	v_dual_lshlrev_b32 v3, 24, v3 :: v_dual_bitop2_b32 v4, 7, v4 bitop3:0x40
	v_dual_cndmask_b32 v13, v15, v13 :: v_dual_cndmask_b32 v4, v5, v4
	s_delay_alu instid0(VALU_DEP_2) | instskip(NEXT) | instid1(VALU_DEP_2)
	v_and_b32_e32 v3, 0x80000000, v3
	v_lshl_add_u32 v5, v13, 23, 0x3b800000
	s_delay_alu instid0(VALU_DEP_3) | instskip(NEXT) | instid1(VALU_DEP_1)
	v_lshlrev_b32_e32 v4, 20, v4
	v_or3_b32 v13, v3, v5, v4
.LBB118_2536:
	s_or_b32 exec_lo, exec_lo, s15
.LBB118_2537:
	s_mov_b32 s9, -1
.LBB118_2538:
	s_mov_b32 s15, 0
.LBB118_2539:
	s_delay_alu instid0(SALU_CYCLE_1)
	s_and_b32 vcc_lo, exec_lo, s15
	s_cbranch_vccz .LBB118_2572
; %bb.2540:
	s_cmp_gt_i32 s1, 22
	s_cbranch_scc0 .LBB118_2550
; %bb.2541:
	s_cmp_lt_i32 s1, 24
	s_cbranch_scc1 .LBB118_2553
; %bb.2542:
	s_cmp_gt_i32 s1, 24
	s_cbranch_scc0 .LBB118_2554
; %bb.2543:
	global_load_u8 v3, v[0:1], off
	s_mov_b32 s9, exec_lo
	s_wait_loadcnt 0x0
	v_cmpx_lt_i16_e32 0x7f, v3
	s_xor_b32 s9, exec_lo, s9
	s_cbranch_execz .LBB118_2566
; %bb.2544:
	s_mov_b32 s8, -1
	s_mov_b32 s15, exec_lo
	v_cmpx_eq_u16_e32 0x80, v3
; %bb.2545:
	s_xor_b32 s8, exec_lo, -1
; %bb.2546:
	s_or_b32 exec_lo, exec_lo, s15
	s_delay_alu instid0(SALU_CYCLE_1)
	s_and_b32 s8, s8, exec_lo
	s_or_saveexec_b32 s9, s9
	v_mov_b32_e32 v13, 0x7f800001
	s_xor_b32 exec_lo, exec_lo, s9
	s_cbranch_execnz .LBB118_2567
.LBB118_2547:
	s_or_b32 exec_lo, exec_lo, s9
	s_and_saveexec_b32 s9, s8
	s_cbranch_execz .LBB118_2549
.LBB118_2548:
	v_and_b32_e32 v4, 0xffff, v3
	s_delay_alu instid0(VALU_DEP_1) | instskip(SKIP_1) | instid1(VALU_DEP_2)
	v_and_b32_e32 v5, 3, v4
	v_bfe_u32 v15, v4, 2, 5
	v_clz_i32_u32_e32 v13, v5
	s_delay_alu instid0(VALU_DEP_2) | instskip(NEXT) | instid1(VALU_DEP_2)
	v_cmp_eq_u32_e32 vcc_lo, 0, v15
	v_min_u32_e32 v13, 32, v13
	s_delay_alu instid0(VALU_DEP_1) | instskip(NEXT) | instid1(VALU_DEP_1)
	v_subrev_nc_u32_e32 v14, 29, v13
	v_dual_lshlrev_b32 v4, v14, v4 :: v_dual_sub_nc_u32 v13, 30, v13
	s_delay_alu instid0(VALU_DEP_1) | instskip(NEXT) | instid1(VALU_DEP_1)
	v_dual_lshlrev_b32 v3, 24, v3 :: v_dual_bitop2_b32 v4, 3, v4 bitop3:0x40
	v_dual_cndmask_b32 v13, v15, v13 :: v_dual_cndmask_b32 v4, v5, v4
	s_delay_alu instid0(VALU_DEP_2) | instskip(NEXT) | instid1(VALU_DEP_2)
	v_and_b32_e32 v3, 0x80000000, v3
	v_lshl_add_u32 v5, v13, 23, 0x37800000
	s_delay_alu instid0(VALU_DEP_3) | instskip(NEXT) | instid1(VALU_DEP_1)
	v_lshlrev_b32_e32 v4, 21, v4
	v_or3_b32 v13, v3, v5, v4
.LBB118_2549:
	s_or_b32 exec_lo, exec_lo, s9
	s_mov_b32 s8, 0
	s_branch .LBB118_2555
.LBB118_2550:
	s_mov_b32 s8, -1
                                        ; implicit-def: $vgpr13
	s_branch .LBB118_2561
.LBB118_2551:
	s_or_saveexec_b32 s15, s15
	v_mov_b32_e32 v13, 0x7f800001
	s_xor_b32 exec_lo, exec_lo, s15
	s_cbranch_execz .LBB118_2534
.LBB118_2552:
	v_cmp_ne_u16_e32 vcc_lo, 0, v3
	v_mov_b32_e32 v13, 0
	s_and_not1_b32 s9, s9, exec_lo
	s_and_b32 s18, vcc_lo, exec_lo
	s_delay_alu instid0(SALU_CYCLE_1)
	s_or_b32 s9, s9, s18
	s_or_b32 exec_lo, exec_lo, s15
	s_and_saveexec_b32 s15, s9
	s_cbranch_execnz .LBB118_2535
	s_branch .LBB118_2536
.LBB118_2553:
	s_mov_b32 s8, -1
                                        ; implicit-def: $vgpr13
	s_branch .LBB118_2558
.LBB118_2554:
	s_mov_b32 s8, -1
                                        ; implicit-def: $vgpr13
.LBB118_2555:
	s_delay_alu instid0(SALU_CYCLE_1)
	s_and_b32 vcc_lo, exec_lo, s8
	s_cbranch_vccz .LBB118_2557
; %bb.2556:
	global_load_u8 v3, v[0:1], off
	s_wait_loadcnt 0x0
	v_lshlrev_b32_e32 v3, 24, v3
	s_wait_xcnt 0x1
	s_delay_alu instid0(VALU_DEP_1) | instskip(NEXT) | instid1(VALU_DEP_1)
	v_and_b32_e32 v4, 0x7f000000, v3
	v_clz_i32_u32_e32 v5, v4
	v_add_nc_u32_e32 v14, 0x1000000, v4
	v_cmp_ne_u32_e32 vcc_lo, 0, v4
	s_delay_alu instid0(VALU_DEP_3) | instskip(NEXT) | instid1(VALU_DEP_1)
	v_min_u32_e32 v5, 32, v5
	v_sub_nc_u32_e64 v5, v5, 4 clamp
	s_delay_alu instid0(VALU_DEP_1) | instskip(NEXT) | instid1(VALU_DEP_1)
	v_dual_lshlrev_b32 v13, v5, v4 :: v_dual_lshlrev_b32 v5, 23, v5
	v_lshrrev_b32_e32 v13, 4, v13
	s_delay_alu instid0(VALU_DEP_1) | instskip(NEXT) | instid1(VALU_DEP_1)
	v_dual_sub_nc_u32 v5, v13, v5 :: v_dual_ashrrev_i32 v13, 8, v14
	v_add_nc_u32_e32 v5, 0x3c000000, v5
	s_delay_alu instid0(VALU_DEP_1) | instskip(NEXT) | instid1(VALU_DEP_1)
	v_and_or_b32 v5, 0x7f800000, v13, v5
	v_cndmask_b32_e32 v4, 0, v5, vcc_lo
	s_delay_alu instid0(VALU_DEP_1)
	v_and_or_b32 v13, 0x80000000, v3, v4
.LBB118_2557:
	s_mov_b32 s8, 0
.LBB118_2558:
	s_delay_alu instid0(SALU_CYCLE_1)
	s_and_not1_b32 vcc_lo, exec_lo, s8
	s_cbranch_vccnz .LBB118_2560
; %bb.2559:
	global_load_u8 v3, v[0:1], off
	s_wait_loadcnt 0x0
	s_wait_xcnt 0x1
	v_lshlrev_b32_e32 v4, 25, v3
	v_lshlrev_b16 v3, 8, v3
	s_delay_alu instid0(VALU_DEP_1) | instskip(SKIP_1) | instid1(VALU_DEP_2)
	v_and_or_b32 v13, 0x7f00, v3, 0.5
	v_bfe_i32 v3, v3, 0, 16
	v_dual_add_f32 v13, -0.5, v13 :: v_dual_lshrrev_b32 v5, 4, v4
	v_cmp_gt_u32_e32 vcc_lo, 0x8000000, v4
	s_delay_alu instid0(VALU_DEP_2) | instskip(NEXT) | instid1(VALU_DEP_1)
	v_or_b32_e32 v5, 0x70000000, v5
	v_mul_f32_e32 v5, 0x7800000, v5
	s_delay_alu instid0(VALU_DEP_1) | instskip(NEXT) | instid1(VALU_DEP_1)
	v_cndmask_b32_e32 v4, v5, v13, vcc_lo
	v_and_or_b32 v13, 0x80000000, v3, v4
.LBB118_2560:
	s_mov_b32 s8, 0
	s_mov_b32 s9, -1
.LBB118_2561:
	s_and_not1_b32 vcc_lo, exec_lo, s8
	s_mov_b32 s8, 0
	s_cbranch_vccnz .LBB118_2572
; %bb.2562:
	s_cmp_gt_i32 s1, 14
	s_cbranch_scc0 .LBB118_2565
; %bb.2563:
	s_cmp_eq_u32 s1, 15
	s_cbranch_scc0 .LBB118_2568
; %bb.2564:
	global_load_u16 v3, v[0:1], off
	s_mov_b32 s5, 0
	s_mov_b32 s9, -1
	s_wait_loadcnt 0x0
	v_lshlrev_b32_e32 v13, 16, v3
	s_branch .LBB118_2570
.LBB118_2565:
	s_mov_b32 s8, -1
	s_branch .LBB118_2569
.LBB118_2566:
	s_or_saveexec_b32 s9, s9
	v_mov_b32_e32 v13, 0x7f800001
	s_xor_b32 exec_lo, exec_lo, s9
	s_cbranch_execz .LBB118_2547
.LBB118_2567:
	v_cmp_ne_u16_e32 vcc_lo, 0, v3
	v_mov_b32_e32 v13, 0
	s_and_not1_b32 s8, s8, exec_lo
	s_and_b32 s15, vcc_lo, exec_lo
	s_delay_alu instid0(SALU_CYCLE_1)
	s_or_b32 s8, s8, s15
	s_or_b32 exec_lo, exec_lo, s9
	s_and_saveexec_b32 s9, s8
	s_cbranch_execnz .LBB118_2548
	s_branch .LBB118_2549
.LBB118_2568:
	s_mov_b32 s5, -1
.LBB118_2569:
                                        ; implicit-def: $vgpr13
.LBB118_2570:
	s_and_b32 vcc_lo, exec_lo, s8
	s_mov_b32 s8, 0
	s_cbranch_vccz .LBB118_2572
; %bb.2571:
	s_cmp_lg_u32 s1, 11
	s_mov_b32 s8, -1
	s_cselect_b32 s5, -1, 0
.LBB118_2572:
	s_delay_alu instid0(SALU_CYCLE_1)
	s_and_b32 vcc_lo, exec_lo, s5
	s_cbranch_vccnz .LBB118_2637
; %bb.2573:
	s_and_not1_b32 vcc_lo, exec_lo, s8
	s_cbranch_vccnz .LBB118_2575
.LBB118_2574:
	global_load_u8 v3, v[0:1], off
	s_mov_b32 s9, -1
	s_wait_loadcnt 0x0
	v_cmp_ne_u16_e32 vcc_lo, 0, v3
	v_cndmask_b32_e64 v13, 0, 1.0, vcc_lo
.LBB118_2575:
	s_mov_b32 s1, 0
.LBB118_2576:
	s_delay_alu instid0(SALU_CYCLE_1)
	s_and_b32 vcc_lo, exec_lo, s1
	s_cbranch_vccz .LBB118_2625
; %bb.2577:
	s_and_b32 s1, 0xffff, s13
	s_delay_alu instid0(SALU_CYCLE_1)
	s_cmp_lt_i32 s1, 5
	s_cbranch_scc1 .LBB118_2582
; %bb.2578:
	s_cmp_lt_i32 s1, 8
	s_cbranch_scc1 .LBB118_2583
; %bb.2579:
	;; [unrolled: 3-line block ×3, first 2 shown]
	s_cmp_gt_i32 s1, 9
	s_cbranch_scc0 .LBB118_2585
; %bb.2581:
	global_load_b64 v[4:5], v[0:1], off
	s_mov_b32 s5, 0
	s_wait_loadcnt 0x0
	v_cvt_f32_f64_e32 v13, v[4:5]
	s_branch .LBB118_2586
.LBB118_2582:
	s_mov_b32 s5, -1
                                        ; implicit-def: $vgpr13
	s_branch .LBB118_2604
.LBB118_2583:
	s_mov_b32 s5, -1
                                        ; implicit-def: $vgpr13
	s_branch .LBB118_2592
.LBB118_2584:
	s_mov_b32 s5, -1
                                        ; implicit-def: $vgpr13
	s_branch .LBB118_2589
.LBB118_2585:
	s_mov_b32 s5, -1
                                        ; implicit-def: $vgpr13
.LBB118_2586:
	s_delay_alu instid0(SALU_CYCLE_1)
	s_and_not1_b32 vcc_lo, exec_lo, s5
	s_cbranch_vccnz .LBB118_2588
; %bb.2587:
	global_load_b32 v13, v[0:1], off
.LBB118_2588:
	s_mov_b32 s5, 0
.LBB118_2589:
	s_delay_alu instid0(SALU_CYCLE_1)
	s_and_not1_b32 vcc_lo, exec_lo, s5
	s_cbranch_vccnz .LBB118_2591
; %bb.2590:
	global_load_b32 v3, v[0:1], off
	s_wait_loadcnt 0x0
	v_cvt_f32_f16_e32 v13, v3
.LBB118_2591:
	s_mov_b32 s5, 0
.LBB118_2592:
	s_delay_alu instid0(SALU_CYCLE_1)
	s_and_not1_b32 vcc_lo, exec_lo, s5
	s_cbranch_vccnz .LBB118_2603
; %bb.2593:
	s_cmp_lt_i32 s1, 6
	s_cbranch_scc1 .LBB118_2596
; %bb.2594:
	s_cmp_gt_i32 s1, 6
	s_cbranch_scc0 .LBB118_2597
; %bb.2595:
	global_load_b64 v[4:5], v[0:1], off
	s_mov_b32 s5, 0
	s_wait_loadcnt 0x0
	v_cvt_f32_f64_e32 v13, v[4:5]
	s_branch .LBB118_2598
.LBB118_2596:
	s_mov_b32 s5, -1
                                        ; implicit-def: $vgpr13
	s_branch .LBB118_2601
.LBB118_2597:
	s_mov_b32 s5, -1
                                        ; implicit-def: $vgpr13
.LBB118_2598:
	s_delay_alu instid0(SALU_CYCLE_1)
	s_and_not1_b32 vcc_lo, exec_lo, s5
	s_cbranch_vccnz .LBB118_2600
; %bb.2599:
	s_wait_loadcnt 0x0
	global_load_b32 v13, v[0:1], off
.LBB118_2600:
	s_mov_b32 s5, 0
.LBB118_2601:
	s_delay_alu instid0(SALU_CYCLE_1)
	s_and_not1_b32 vcc_lo, exec_lo, s5
	s_cbranch_vccnz .LBB118_2603
; %bb.2602:
	global_load_u16 v3, v[0:1], off
	s_wait_loadcnt 0x0
	v_cvt_f32_f16_e32 v13, v3
.LBB118_2603:
	s_mov_b32 s5, 0
.LBB118_2604:
	s_delay_alu instid0(SALU_CYCLE_1)
	s_and_not1_b32 vcc_lo, exec_lo, s5
	s_cbranch_vccnz .LBB118_2624
; %bb.2605:
	s_cmp_lt_i32 s1, 2
	s_cbranch_scc1 .LBB118_2609
; %bb.2606:
	s_cmp_lt_i32 s1, 3
	s_cbranch_scc1 .LBB118_2610
; %bb.2607:
	s_cmp_gt_i32 s1, 3
	s_cbranch_scc0 .LBB118_2611
; %bb.2608:
	global_load_b64 v[4:5], v[0:1], off
	s_mov_b32 s5, 0
	s_wait_loadcnt 0x0
	v_xor_b32_e32 v3, v4, v5
	v_cls_i32_e32 v13, v5
	s_delay_alu instid0(VALU_DEP_2) | instskip(NEXT) | instid1(VALU_DEP_1)
	v_ashrrev_i32_e32 v3, 31, v3
	v_add_nc_u32_e32 v3, 32, v3
	s_delay_alu instid0(VALU_DEP_1) | instskip(NEXT) | instid1(VALU_DEP_1)
	v_add_min_u32_e64 v3, v13, -1, v3
	v_lshlrev_b64_e32 v[4:5], v3, v[4:5]
	v_sub_nc_u32_e32 v3, 32, v3
	s_delay_alu instid0(VALU_DEP_2) | instskip(NEXT) | instid1(VALU_DEP_1)
	v_min_u32_e32 v4, 1, v4
	v_or_b32_e32 v4, v5, v4
	s_delay_alu instid0(VALU_DEP_1) | instskip(NEXT) | instid1(VALU_DEP_1)
	v_cvt_f32_i32_e32 v4, v4
	v_ldexp_f32 v13, v4, v3
	s_branch .LBB118_2612
.LBB118_2609:
	s_mov_b32 s5, -1
                                        ; implicit-def: $vgpr13
	s_branch .LBB118_2618
.LBB118_2610:
	s_mov_b32 s5, -1
                                        ; implicit-def: $vgpr13
	s_branch .LBB118_2615
.LBB118_2611:
	s_mov_b32 s5, -1
                                        ; implicit-def: $vgpr13
.LBB118_2612:
	s_delay_alu instid0(SALU_CYCLE_1)
	s_and_not1_b32 vcc_lo, exec_lo, s5
	s_cbranch_vccnz .LBB118_2614
; %bb.2613:
	global_load_b32 v3, v[0:1], off
	s_wait_loadcnt 0x0
	v_cvt_f32_i32_e32 v13, v3
.LBB118_2614:
	s_mov_b32 s5, 0
.LBB118_2615:
	s_delay_alu instid0(SALU_CYCLE_1)
	s_and_not1_b32 vcc_lo, exec_lo, s5
	s_cbranch_vccnz .LBB118_2617
; %bb.2616:
	global_load_i16 v3, v[0:1], off
	s_wait_loadcnt 0x0
	v_cvt_f32_i32_e32 v13, v3
.LBB118_2617:
	s_mov_b32 s5, 0
.LBB118_2618:
	s_delay_alu instid0(SALU_CYCLE_1)
	s_and_not1_b32 vcc_lo, exec_lo, s5
	s_cbranch_vccnz .LBB118_2624
; %bb.2619:
	s_cmp_gt_i32 s1, 0
	s_mov_b32 s1, 0
	s_cbranch_scc0 .LBB118_2621
; %bb.2620:
	global_load_i8 v3, v[0:1], off
	s_wait_loadcnt 0x0
	v_cvt_f32_i32_e32 v13, v3
	s_branch .LBB118_2622
.LBB118_2621:
	s_mov_b32 s1, -1
                                        ; implicit-def: $vgpr13
.LBB118_2622:
	s_delay_alu instid0(SALU_CYCLE_1)
	s_and_not1_b32 vcc_lo, exec_lo, s1
	s_cbranch_vccnz .LBB118_2624
; %bb.2623:
	global_load_u8 v0, v[0:1], off
	s_wait_loadcnt 0x0
	v_cvt_f32_ubyte0_e32 v13, v0
.LBB118_2624:
	s_mov_b32 s9, -1
.LBB118_2625:
	s_delay_alu instid0(SALU_CYCLE_1)
	s_and_not1_b32 vcc_lo, exec_lo, s9
	s_cbranch_vccnz .LBB118_3190
; %bb.2626:
	s_wait_xcnt 0x0
	v_add_nc_u32_e32 v0, s4, v2
	s_cmp_lt_i32 s0, 11
	s_delay_alu instid0(VALU_DEP_1) | instskip(NEXT) | instid1(VALU_DEP_1)
	v_ashrrev_i32_e32 v1, 31, v0
	v_add_nc_u64_e32 v[0:1], s[10:11], v[0:1]
	s_cbranch_scc1 .LBB118_2633
; %bb.2627:
	s_cmp_gt_i32 s0, 25
	s_mov_b32 s4, 0
	s_cbranch_scc0 .LBB118_2634
; %bb.2628:
	s_cmp_gt_i32 s0, 28
	s_cbranch_scc0 .LBB118_2635
; %bb.2629:
	s_cmp_gt_i32 s0, 43
	;; [unrolled: 3-line block ×3, first 2 shown]
	s_cbranch_scc0 .LBB118_2638
; %bb.2631:
	s_cmp_eq_u32 s0, 46
	s_mov_b32 s8, 0
	s_cbranch_scc0 .LBB118_2639
; %bb.2632:
	global_load_b32 v2, v[0:1], off
	s_mov_b32 s1, 0
	s_mov_b32 s5, -1
	s_wait_loadcnt 0x0
	v_lshlrev_b32_e32 v14, 16, v2
	s_branch .LBB118_2641
.LBB118_2633:
	s_mov_b32 s1, -1
	s_mov_b32 s5, 0
                                        ; implicit-def: $vgpr14
	s_branch .LBB118_2707
.LBB118_2634:
	s_mov_b32 s8, -1
	s_mov_b32 s5, 0
	s_mov_b32 s1, 0
                                        ; implicit-def: $vgpr14
	s_branch .LBB118_2670
.LBB118_2635:
	s_mov_b32 s8, -1
	s_mov_b32 s5, 0
	s_mov_b32 s1, 0
                                        ; implicit-def: $vgpr14
	s_branch .LBB118_2651
.LBB118_2636:
	s_mov_b32 s8, -1
	s_mov_b32 s5, 0
	s_mov_b32 s1, 0
                                        ; implicit-def: $vgpr14
	s_branch .LBB118_2646
.LBB118_2637:
	s_or_b32 s14, s14, exec_lo
	s_trap 2
	s_cbranch_execz .LBB118_2574
	s_branch .LBB118_2575
.LBB118_2638:
	s_mov_b32 s8, -1
	s_mov_b32 s5, 0
	s_mov_b32 s1, 0
	s_branch .LBB118_2640
.LBB118_2639:
	s_mov_b32 s1, -1
	s_mov_b32 s5, 0
.LBB118_2640:
                                        ; implicit-def: $vgpr14
.LBB118_2641:
	s_and_b32 vcc_lo, exec_lo, s8
	s_cbranch_vccz .LBB118_2645
; %bb.2642:
	s_cmp_eq_u32 s0, 44
	s_cbranch_scc0 .LBB118_2644
; %bb.2643:
	global_load_u8 v2, v[0:1], off
	s_mov_b32 s1, 0
	s_mov_b32 s5, -1
	s_wait_loadcnt 0x0
	v_lshlrev_b32_e32 v3, 23, v2
	v_cmp_ne_u32_e32 vcc_lo, 0xff, v2
	s_delay_alu instid0(VALU_DEP_2) | instskip(SKIP_1) | instid1(VALU_DEP_2)
	v_cndmask_b32_e32 v3, 0x7f800001, v3, vcc_lo
	v_cmp_ne_u32_e32 vcc_lo, 0, v2
	v_cndmask_b32_e32 v14, 0x400000, v3, vcc_lo
	s_branch .LBB118_2645
.LBB118_2644:
	s_mov_b32 s1, -1
                                        ; implicit-def: $vgpr14
.LBB118_2645:
	s_mov_b32 s8, 0
.LBB118_2646:
	s_delay_alu instid0(SALU_CYCLE_1)
	s_and_b32 vcc_lo, exec_lo, s8
	s_cbranch_vccz .LBB118_2650
; %bb.2647:
	s_cmp_eq_u32 s0, 29
	s_cbranch_scc0 .LBB118_2649
; %bb.2648:
	global_load_b64 v[2:3], v[0:1], off
	s_mov_b32 s1, 0
	s_mov_b32 s5, -1
	s_mov_b32 s8, 0
	s_wait_loadcnt 0x0
	v_clz_i32_u32_e32 v4, v3
	s_delay_alu instid0(VALU_DEP_1) | instskip(NEXT) | instid1(VALU_DEP_1)
	v_min_u32_e32 v4, 32, v4
	v_lshlrev_b64_e32 v[2:3], v4, v[2:3]
	s_delay_alu instid0(VALU_DEP_1) | instskip(NEXT) | instid1(VALU_DEP_1)
	v_min_u32_e32 v2, 1, v2
	v_dual_sub_nc_u32 v3, 32, v4 :: v_dual_bitop2_b32 v2, v3, v2 bitop3:0x54
	s_delay_alu instid0(VALU_DEP_1) | instskip(NEXT) | instid1(VALU_DEP_1)
	v_cvt_f32_u32_e32 v2, v2
	v_ldexp_f32 v14, v2, v3
	s_branch .LBB118_2651
.LBB118_2649:
	s_mov_b32 s1, -1
                                        ; implicit-def: $vgpr14
.LBB118_2650:
	s_mov_b32 s8, 0
.LBB118_2651:
	s_delay_alu instid0(SALU_CYCLE_1)
	s_and_b32 vcc_lo, exec_lo, s8
	s_cbranch_vccz .LBB118_2669
; %bb.2652:
	s_cmp_lt_i32 s0, 27
	s_cbranch_scc1 .LBB118_2655
; %bb.2653:
	s_cmp_gt_i32 s0, 27
	s_cbranch_scc0 .LBB118_2656
; %bb.2654:
	global_load_b32 v2, v[0:1], off
	s_mov_b32 s5, 0
	s_wait_loadcnt 0x0
	v_cvt_f32_u32_e32 v14, v2
	s_branch .LBB118_2657
.LBB118_2655:
	s_mov_b32 s5, -1
                                        ; implicit-def: $vgpr14
	s_branch .LBB118_2660
.LBB118_2656:
	s_mov_b32 s5, -1
                                        ; implicit-def: $vgpr14
.LBB118_2657:
	s_delay_alu instid0(SALU_CYCLE_1)
	s_and_not1_b32 vcc_lo, exec_lo, s5
	s_cbranch_vccnz .LBB118_2659
; %bb.2658:
	global_load_u16 v2, v[0:1], off
	s_wait_loadcnt 0x0
	v_cvt_f32_u32_e32 v14, v2
.LBB118_2659:
	s_mov_b32 s5, 0
.LBB118_2660:
	s_delay_alu instid0(SALU_CYCLE_1)
	s_and_not1_b32 vcc_lo, exec_lo, s5
	s_cbranch_vccnz .LBB118_2668
; %bb.2661:
	global_load_u8 v2, v[0:1], off
	s_mov_b32 s5, 0
	s_mov_b32 s8, exec_lo
	s_wait_loadcnt 0x0
	v_cmpx_lt_i16_e32 0x7f, v2
	s_xor_b32 s8, exec_lo, s8
	s_cbranch_execz .LBB118_2682
; %bb.2662:
	s_mov_b32 s5, -1
	s_mov_b32 s9, exec_lo
	v_cmpx_eq_u16_e32 0x80, v2
; %bb.2663:
	s_xor_b32 s5, exec_lo, -1
; %bb.2664:
	s_or_b32 exec_lo, exec_lo, s9
	s_delay_alu instid0(SALU_CYCLE_1)
	s_and_b32 s5, s5, exec_lo
	s_or_saveexec_b32 s8, s8
	v_mov_b32_e32 v14, 0x7f800001
	s_xor_b32 exec_lo, exec_lo, s8
	s_cbranch_execnz .LBB118_2683
.LBB118_2665:
	s_or_b32 exec_lo, exec_lo, s8
	s_and_saveexec_b32 s8, s5
	s_cbranch_execz .LBB118_2667
.LBB118_2666:
	v_and_b32_e32 v3, 0xffff, v2
	s_delay_alu instid0(VALU_DEP_1) | instskip(SKIP_1) | instid1(VALU_DEP_2)
	v_and_b32_e32 v4, 7, v3
	v_bfe_u32 v15, v3, 3, 4
	v_clz_i32_u32_e32 v5, v4
	s_delay_alu instid0(VALU_DEP_2) | instskip(NEXT) | instid1(VALU_DEP_2)
	v_cmp_eq_u32_e32 vcc_lo, 0, v15
	v_min_u32_e32 v5, 32, v5
	s_delay_alu instid0(VALU_DEP_1) | instskip(NEXT) | instid1(VALU_DEP_1)
	v_subrev_nc_u32_e32 v14, 28, v5
	v_dual_lshlrev_b32 v3, v14, v3 :: v_dual_sub_nc_u32 v5, 29, v5
	s_delay_alu instid0(VALU_DEP_1) | instskip(NEXT) | instid1(VALU_DEP_1)
	v_dual_lshlrev_b32 v2, 24, v2 :: v_dual_bitop2_b32 v3, 7, v3 bitop3:0x40
	v_dual_cndmask_b32 v5, v15, v5, vcc_lo :: v_dual_cndmask_b32 v3, v4, v3, vcc_lo
	s_delay_alu instid0(VALU_DEP_2) | instskip(NEXT) | instid1(VALU_DEP_2)
	v_and_b32_e32 v2, 0x80000000, v2
	v_lshl_add_u32 v4, v5, 23, 0x3b800000
	s_delay_alu instid0(VALU_DEP_3) | instskip(NEXT) | instid1(VALU_DEP_1)
	v_lshlrev_b32_e32 v3, 20, v3
	v_or3_b32 v14, v2, v4, v3
.LBB118_2667:
	s_or_b32 exec_lo, exec_lo, s8
.LBB118_2668:
	s_mov_b32 s5, -1
.LBB118_2669:
	s_mov_b32 s8, 0
.LBB118_2670:
	s_delay_alu instid0(SALU_CYCLE_1)
	s_and_b32 vcc_lo, exec_lo, s8
	s_cbranch_vccz .LBB118_2703
; %bb.2671:
	s_cmp_gt_i32 s0, 22
	s_cbranch_scc0 .LBB118_2681
; %bb.2672:
	s_cmp_lt_i32 s0, 24
	s_cbranch_scc1 .LBB118_2684
; %bb.2673:
	s_cmp_gt_i32 s0, 24
	s_cbranch_scc0 .LBB118_2685
; %bb.2674:
	global_load_u8 v2, v[0:1], off
	s_mov_b32 s5, exec_lo
	s_wait_loadcnt 0x0
	v_cmpx_lt_i16_e32 0x7f, v2
	s_xor_b32 s5, exec_lo, s5
	s_cbranch_execz .LBB118_2697
; %bb.2675:
	s_mov_b32 s4, -1
	s_mov_b32 s8, exec_lo
	v_cmpx_eq_u16_e32 0x80, v2
; %bb.2676:
	s_xor_b32 s4, exec_lo, -1
; %bb.2677:
	s_or_b32 exec_lo, exec_lo, s8
	s_delay_alu instid0(SALU_CYCLE_1)
	s_and_b32 s4, s4, exec_lo
	s_or_saveexec_b32 s5, s5
	v_mov_b32_e32 v14, 0x7f800001
	s_xor_b32 exec_lo, exec_lo, s5
	s_cbranch_execnz .LBB118_2698
.LBB118_2678:
	s_or_b32 exec_lo, exec_lo, s5
	s_and_saveexec_b32 s5, s4
	s_cbranch_execz .LBB118_2680
.LBB118_2679:
	v_and_b32_e32 v3, 0xffff, v2
	s_delay_alu instid0(VALU_DEP_1) | instskip(SKIP_1) | instid1(VALU_DEP_2)
	v_and_b32_e32 v4, 3, v3
	v_bfe_u32 v15, v3, 2, 5
	v_clz_i32_u32_e32 v5, v4
	s_delay_alu instid0(VALU_DEP_2) | instskip(NEXT) | instid1(VALU_DEP_2)
	v_cmp_eq_u32_e32 vcc_lo, 0, v15
	v_min_u32_e32 v5, 32, v5
	s_delay_alu instid0(VALU_DEP_1) | instskip(NEXT) | instid1(VALU_DEP_1)
	v_subrev_nc_u32_e32 v14, 29, v5
	v_dual_lshlrev_b32 v3, v14, v3 :: v_dual_sub_nc_u32 v5, 30, v5
	s_delay_alu instid0(VALU_DEP_1) | instskip(NEXT) | instid1(VALU_DEP_1)
	v_dual_lshlrev_b32 v2, 24, v2 :: v_dual_bitop2_b32 v3, 3, v3 bitop3:0x40
	v_dual_cndmask_b32 v5, v15, v5, vcc_lo :: v_dual_cndmask_b32 v3, v4, v3, vcc_lo
	s_delay_alu instid0(VALU_DEP_2) | instskip(NEXT) | instid1(VALU_DEP_2)
	v_and_b32_e32 v2, 0x80000000, v2
	v_lshl_add_u32 v4, v5, 23, 0x37800000
	s_delay_alu instid0(VALU_DEP_3) | instskip(NEXT) | instid1(VALU_DEP_1)
	v_lshlrev_b32_e32 v3, 21, v3
	v_or3_b32 v14, v2, v4, v3
.LBB118_2680:
	s_or_b32 exec_lo, exec_lo, s5
	s_mov_b32 s4, 0
	s_branch .LBB118_2686
.LBB118_2681:
	s_mov_b32 s4, -1
                                        ; implicit-def: $vgpr14
	s_branch .LBB118_2692
.LBB118_2682:
	s_or_saveexec_b32 s8, s8
	v_mov_b32_e32 v14, 0x7f800001
	s_xor_b32 exec_lo, exec_lo, s8
	s_cbranch_execz .LBB118_2665
.LBB118_2683:
	v_cmp_ne_u16_e32 vcc_lo, 0, v2
	v_mov_b32_e32 v14, 0
	s_and_not1_b32 s5, s5, exec_lo
	s_and_b32 s9, vcc_lo, exec_lo
	s_delay_alu instid0(SALU_CYCLE_1)
	s_or_b32 s5, s5, s9
	s_or_b32 exec_lo, exec_lo, s8
	s_and_saveexec_b32 s8, s5
	s_cbranch_execnz .LBB118_2666
	s_branch .LBB118_2667
.LBB118_2684:
	s_mov_b32 s4, -1
                                        ; implicit-def: $vgpr14
	s_branch .LBB118_2689
.LBB118_2685:
	s_mov_b32 s4, -1
                                        ; implicit-def: $vgpr14
.LBB118_2686:
	s_delay_alu instid0(SALU_CYCLE_1)
	s_and_b32 vcc_lo, exec_lo, s4
	s_cbranch_vccz .LBB118_2688
; %bb.2687:
	global_load_u8 v2, v[0:1], off
	s_wait_loadcnt 0x0
	v_lshlrev_b32_e32 v2, 24, v2
	s_delay_alu instid0(VALU_DEP_1) | instskip(NEXT) | instid1(VALU_DEP_1)
	v_and_b32_e32 v3, 0x7f000000, v2
	v_clz_i32_u32_e32 v4, v3
	v_cmp_ne_u32_e32 vcc_lo, 0, v3
	v_add_nc_u32_e32 v14, 0x1000000, v3
	s_delay_alu instid0(VALU_DEP_3) | instskip(NEXT) | instid1(VALU_DEP_1)
	v_min_u32_e32 v4, 32, v4
	v_sub_nc_u32_e64 v4, v4, 4 clamp
	s_delay_alu instid0(VALU_DEP_1) | instskip(NEXT) | instid1(VALU_DEP_1)
	v_dual_lshlrev_b32 v5, v4, v3 :: v_dual_lshlrev_b32 v4, 23, v4
	v_lshrrev_b32_e32 v5, 4, v5
	s_delay_alu instid0(VALU_DEP_1) | instskip(NEXT) | instid1(VALU_DEP_1)
	v_dual_sub_nc_u32 v4, v5, v4 :: v_dual_ashrrev_i32 v5, 8, v14
	v_add_nc_u32_e32 v4, 0x3c000000, v4
	s_delay_alu instid0(VALU_DEP_1) | instskip(NEXT) | instid1(VALU_DEP_1)
	v_and_or_b32 v4, 0x7f800000, v5, v4
	v_cndmask_b32_e32 v3, 0, v4, vcc_lo
	s_delay_alu instid0(VALU_DEP_1)
	v_and_or_b32 v14, 0x80000000, v2, v3
.LBB118_2688:
	s_mov_b32 s4, 0
.LBB118_2689:
	s_delay_alu instid0(SALU_CYCLE_1)
	s_and_not1_b32 vcc_lo, exec_lo, s4
	s_cbranch_vccnz .LBB118_2691
; %bb.2690:
	global_load_u8 v2, v[0:1], off
	s_wait_loadcnt 0x0
	v_lshlrev_b32_e32 v3, 25, v2
	v_lshlrev_b16 v2, 8, v2
	s_delay_alu instid0(VALU_DEP_1) | instskip(SKIP_1) | instid1(VALU_DEP_2)
	v_and_or_b32 v5, 0x7f00, v2, 0.5
	v_bfe_i32 v2, v2, 0, 16
	v_dual_add_f32 v5, -0.5, v5 :: v_dual_lshrrev_b32 v4, 4, v3
	v_cmp_gt_u32_e32 vcc_lo, 0x8000000, v3
	s_delay_alu instid0(VALU_DEP_2) | instskip(NEXT) | instid1(VALU_DEP_1)
	v_or_b32_e32 v4, 0x70000000, v4
	v_mul_f32_e32 v4, 0x7800000, v4
	s_delay_alu instid0(VALU_DEP_1) | instskip(NEXT) | instid1(VALU_DEP_1)
	v_cndmask_b32_e32 v3, v4, v5, vcc_lo
	v_and_or_b32 v14, 0x80000000, v2, v3
.LBB118_2691:
	s_mov_b32 s4, 0
	s_mov_b32 s5, -1
.LBB118_2692:
	s_and_not1_b32 vcc_lo, exec_lo, s4
	s_mov_b32 s4, 0
	s_cbranch_vccnz .LBB118_2703
; %bb.2693:
	s_cmp_gt_i32 s0, 14
	s_cbranch_scc0 .LBB118_2696
; %bb.2694:
	s_cmp_eq_u32 s0, 15
	s_cbranch_scc0 .LBB118_2699
; %bb.2695:
	global_load_u16 v2, v[0:1], off
	s_mov_b32 s1, 0
	s_mov_b32 s5, -1
	s_wait_loadcnt 0x0
	v_lshlrev_b32_e32 v14, 16, v2
	s_branch .LBB118_2701
.LBB118_2696:
	s_mov_b32 s4, -1
	s_branch .LBB118_2700
.LBB118_2697:
	s_or_saveexec_b32 s5, s5
	v_mov_b32_e32 v14, 0x7f800001
	s_xor_b32 exec_lo, exec_lo, s5
	s_cbranch_execz .LBB118_2678
.LBB118_2698:
	v_cmp_ne_u16_e32 vcc_lo, 0, v2
	v_mov_b32_e32 v14, 0
	s_and_not1_b32 s4, s4, exec_lo
	s_and_b32 s8, vcc_lo, exec_lo
	s_delay_alu instid0(SALU_CYCLE_1)
	s_or_b32 s4, s4, s8
	s_or_b32 exec_lo, exec_lo, s5
	s_and_saveexec_b32 s5, s4
	s_cbranch_execnz .LBB118_2679
	s_branch .LBB118_2680
.LBB118_2699:
	s_mov_b32 s1, -1
.LBB118_2700:
                                        ; implicit-def: $vgpr14
.LBB118_2701:
	s_and_b32 vcc_lo, exec_lo, s4
	s_mov_b32 s4, 0
	s_cbranch_vccz .LBB118_2703
; %bb.2702:
	s_cmp_lg_u32 s0, 11
	s_mov_b32 s4, -1
	s_cselect_b32 s1, -1, 0
.LBB118_2703:
	s_delay_alu instid0(SALU_CYCLE_1)
	s_and_b32 vcc_lo, exec_lo, s1
	s_cbranch_vccnz .LBB118_3236
; %bb.2704:
	s_and_not1_b32 vcc_lo, exec_lo, s4
	s_cbranch_vccnz .LBB118_2706
.LBB118_2705:
	global_load_u8 v2, v[0:1], off
	s_mov_b32 s5, -1
	s_wait_loadcnt 0x0
	v_cmp_ne_u16_e32 vcc_lo, 0, v2
	v_cndmask_b32_e64 v14, 0, 1.0, vcc_lo
.LBB118_2706:
	s_mov_b32 s1, 0
.LBB118_2707:
	s_delay_alu instid0(SALU_CYCLE_1)
	s_and_b32 vcc_lo, exec_lo, s1
	s_cbranch_vccz .LBB118_2756
; %bb.2708:
	s_cmp_lt_i32 s0, 5
	s_cbranch_scc1 .LBB118_2713
; %bb.2709:
	s_cmp_lt_i32 s0, 8
	s_cbranch_scc1 .LBB118_2714
	;; [unrolled: 3-line block ×3, first 2 shown]
; %bb.2711:
	s_cmp_gt_i32 s0, 9
	s_cbranch_scc0 .LBB118_2716
; %bb.2712:
	global_load_b64 v[2:3], v[0:1], off
	s_mov_b32 s1, 0
	s_wait_loadcnt 0x0
	v_cvt_f32_f64_e32 v14, v[2:3]
	s_branch .LBB118_2717
.LBB118_2713:
	s_mov_b32 s1, -1
                                        ; implicit-def: $vgpr14
	s_branch .LBB118_2735
.LBB118_2714:
	s_mov_b32 s1, -1
                                        ; implicit-def: $vgpr14
	s_branch .LBB118_2723
.LBB118_2715:
	s_mov_b32 s1, -1
                                        ; implicit-def: $vgpr14
	s_branch .LBB118_2720
.LBB118_2716:
	s_mov_b32 s1, -1
                                        ; implicit-def: $vgpr14
.LBB118_2717:
	s_delay_alu instid0(SALU_CYCLE_1)
	s_and_not1_b32 vcc_lo, exec_lo, s1
	s_cbranch_vccnz .LBB118_2719
; %bb.2718:
	global_load_b32 v14, v[0:1], off
.LBB118_2719:
	s_mov_b32 s1, 0
.LBB118_2720:
	s_delay_alu instid0(SALU_CYCLE_1)
	s_and_not1_b32 vcc_lo, exec_lo, s1
	s_cbranch_vccnz .LBB118_2722
; %bb.2721:
	global_load_b32 v2, v[0:1], off
	s_wait_loadcnt 0x0
	v_cvt_f32_f16_e32 v14, v2
.LBB118_2722:
	s_mov_b32 s1, 0
.LBB118_2723:
	s_delay_alu instid0(SALU_CYCLE_1)
	s_and_not1_b32 vcc_lo, exec_lo, s1
	s_cbranch_vccnz .LBB118_2734
; %bb.2724:
	s_cmp_lt_i32 s0, 6
	s_cbranch_scc1 .LBB118_2727
; %bb.2725:
	s_cmp_gt_i32 s0, 6
	s_cbranch_scc0 .LBB118_2728
; %bb.2726:
	global_load_b64 v[2:3], v[0:1], off
	s_mov_b32 s1, 0
	s_wait_loadcnt 0x0
	v_cvt_f32_f64_e32 v14, v[2:3]
	s_branch .LBB118_2729
.LBB118_2727:
	s_mov_b32 s1, -1
                                        ; implicit-def: $vgpr14
	s_branch .LBB118_2732
.LBB118_2728:
	s_mov_b32 s1, -1
                                        ; implicit-def: $vgpr14
.LBB118_2729:
	s_delay_alu instid0(SALU_CYCLE_1)
	s_and_not1_b32 vcc_lo, exec_lo, s1
	s_cbranch_vccnz .LBB118_2731
; %bb.2730:
	s_wait_loadcnt 0x0
	global_load_b32 v14, v[0:1], off
.LBB118_2731:
	s_mov_b32 s1, 0
.LBB118_2732:
	s_delay_alu instid0(SALU_CYCLE_1)
	s_and_not1_b32 vcc_lo, exec_lo, s1
	s_cbranch_vccnz .LBB118_2734
; %bb.2733:
	global_load_u16 v2, v[0:1], off
	s_wait_loadcnt 0x0
	v_cvt_f32_f16_e32 v14, v2
.LBB118_2734:
	s_mov_b32 s1, 0
.LBB118_2735:
	s_delay_alu instid0(SALU_CYCLE_1)
	s_and_not1_b32 vcc_lo, exec_lo, s1
	s_cbranch_vccnz .LBB118_2755
; %bb.2736:
	s_cmp_lt_i32 s0, 2
	s_cbranch_scc1 .LBB118_2740
; %bb.2737:
	s_cmp_lt_i32 s0, 3
	s_cbranch_scc1 .LBB118_2741
; %bb.2738:
	s_cmp_gt_i32 s0, 3
	s_cbranch_scc0 .LBB118_2742
; %bb.2739:
	global_load_b64 v[2:3], v[0:1], off
	s_mov_b32 s1, 0
	s_wait_loadcnt 0x0
	v_xor_b32_e32 v4, v2, v3
	v_cls_i32_e32 v5, v3
	s_delay_alu instid0(VALU_DEP_2) | instskip(NEXT) | instid1(VALU_DEP_1)
	v_ashrrev_i32_e32 v4, 31, v4
	v_add_nc_u32_e32 v4, 32, v4
	s_delay_alu instid0(VALU_DEP_1) | instskip(NEXT) | instid1(VALU_DEP_1)
	v_add_min_u32_e64 v4, v5, -1, v4
	v_lshlrev_b64_e32 v[2:3], v4, v[2:3]
	s_delay_alu instid0(VALU_DEP_1) | instskip(NEXT) | instid1(VALU_DEP_1)
	v_min_u32_e32 v2, 1, v2
	v_dual_sub_nc_u32 v3, 32, v4 :: v_dual_bitop2_b32 v2, v3, v2 bitop3:0x54
	s_delay_alu instid0(VALU_DEP_1) | instskip(NEXT) | instid1(VALU_DEP_1)
	v_cvt_f32_i32_e32 v2, v2
	v_ldexp_f32 v14, v2, v3
	s_branch .LBB118_2743
.LBB118_2740:
	s_mov_b32 s1, -1
                                        ; implicit-def: $vgpr14
	s_branch .LBB118_2749
.LBB118_2741:
	s_mov_b32 s1, -1
                                        ; implicit-def: $vgpr14
	s_branch .LBB118_2746
.LBB118_2742:
	s_mov_b32 s1, -1
                                        ; implicit-def: $vgpr14
.LBB118_2743:
	s_delay_alu instid0(SALU_CYCLE_1)
	s_and_not1_b32 vcc_lo, exec_lo, s1
	s_cbranch_vccnz .LBB118_2745
; %bb.2744:
	global_load_b32 v2, v[0:1], off
	s_wait_loadcnt 0x0
	v_cvt_f32_i32_e32 v14, v2
.LBB118_2745:
	s_mov_b32 s1, 0
.LBB118_2746:
	s_delay_alu instid0(SALU_CYCLE_1)
	s_and_not1_b32 vcc_lo, exec_lo, s1
	s_cbranch_vccnz .LBB118_2748
; %bb.2747:
	global_load_i16 v2, v[0:1], off
	s_wait_loadcnt 0x0
	v_cvt_f32_i32_e32 v14, v2
.LBB118_2748:
	s_mov_b32 s1, 0
.LBB118_2749:
	s_delay_alu instid0(SALU_CYCLE_1)
	s_and_not1_b32 vcc_lo, exec_lo, s1
	s_cbranch_vccnz .LBB118_2755
; %bb.2750:
	s_cmp_gt_i32 s0, 0
	s_mov_b32 s0, 0
	s_cbranch_scc0 .LBB118_2752
; %bb.2751:
	global_load_i8 v2, v[0:1], off
	s_wait_loadcnt 0x0
	v_cvt_f32_i32_e32 v14, v2
	s_branch .LBB118_2753
.LBB118_2752:
	s_mov_b32 s0, -1
                                        ; implicit-def: $vgpr14
.LBB118_2753:
	s_delay_alu instid0(SALU_CYCLE_1)
	s_and_not1_b32 vcc_lo, exec_lo, s0
	s_cbranch_vccnz .LBB118_2755
; %bb.2754:
	global_load_u8 v0, v[0:1], off
	s_wait_loadcnt 0x0
	v_cvt_f32_ubyte0_e32 v14, v0
.LBB118_2755:
	s_mov_b32 s5, -1
.LBB118_2756:
	s_delay_alu instid0(SALU_CYCLE_1)
	s_and_not1_b32 vcc_lo, exec_lo, s5
	s_cbranch_vccnz .LBB118_3190
; %bb.2757:
	s_wait_xcnt 0x0
	v_mul_lo_u32 v0, s12, v6
	s_and_b32 s18, s7, 0xff
	s_wait_loadcnt 0x0
	v_mul_f32_e32 v4, s6, v7
	s_cmp_lt_i32 s18, 11
	s_delay_alu instid0(VALU_DEP_1) | instskip(NEXT) | instid1(VALU_DEP_3)
	v_mul_f32_e32 v4, v4, v8
	v_ashrrev_i32_e32 v1, 31, v0
	s_delay_alu instid0(VALU_DEP_1)
	v_add_nc_u64_e32 v[2:3], s[2:3], v[0:1]
	s_cbranch_scc1 .LBB118_2835
; %bb.2758:
	s_and_b32 s1, 0xffff, s18
	s_mov_b32 s7, -1
	s_mov_b32 s4, 0
	s_cmp_gt_i32 s1, 25
	s_mov_b32 s5, 0
	s_mov_b32 s0, 0
	s_cbranch_scc0 .LBB118_2791
; %bb.2759:
	s_cmp_gt_i32 s1, 28
	s_cbranch_scc0 .LBB118_2774
; %bb.2760:
	s_cmp_gt_i32 s1, 43
	;; [unrolled: 3-line block ×3, first 2 shown]
	s_cbranch_scc0 .LBB118_2764
; %bb.2762:
	s_mov_b32 s0, -1
	s_mov_b32 s7, 0
	s_cmp_eq_u32 s1, 46
	s_cbranch_scc0 .LBB118_2764
; %bb.2763:
	v_bfe_u32 v1, v4, 16, 1
	v_cmp_o_f32_e32 vcc_lo, v4, v4
	s_mov_b32 s0, 0
	s_mov_b32 s5, -1
	s_delay_alu instid0(VALU_DEP_2) | instskip(NEXT) | instid1(VALU_DEP_1)
	v_add3_u32 v1, v4, v1, 0x7fff
	v_lshrrev_b32_e32 v1, 16, v1
	s_delay_alu instid0(VALU_DEP_1)
	v_cndmask_b32_e32 v1, 0x7fc0, v1, vcc_lo
	global_store_b32 v[2:3], v1, off
.LBB118_2764:
	s_and_b32 vcc_lo, exec_lo, s7
	s_cbranch_vccz .LBB118_2769
; %bb.2765:
	s_cmp_eq_u32 s1, 44
	s_mov_b32 s0, -1
	s_cbranch_scc0 .LBB118_2769
; %bb.2766:
	v_bfe_u32 v5, v4, 23, 8
	s_wait_xcnt 0x0
	v_mov_b32_e32 v1, 0xff
	s_mov_b32 s5, exec_lo
	s_delay_alu instid0(VALU_DEP_2)
	v_cmpx_ne_u32_e32 0xff, v5
	s_cbranch_execz .LBB118_2768
; %bb.2767:
	v_and_b32_e32 v1, 0x400000, v4
	v_and_or_b32 v5, 0x3fffff, v4, v5
	s_delay_alu instid0(VALU_DEP_2) | instskip(NEXT) | instid1(VALU_DEP_2)
	v_cmp_ne_u32_e32 vcc_lo, 0, v1
	v_cmp_ne_u32_e64 s0, 0, v5
	v_lshrrev_b32_e32 v1, 23, v4
	s_and_b32 s0, vcc_lo, s0
	s_delay_alu instid0(SALU_CYCLE_1) | instskip(NEXT) | instid1(VALU_DEP_1)
	v_cndmask_b32_e64 v5, 0, 1, s0
	v_add_nc_u32_e32 v1, v1, v5
.LBB118_2768:
	s_or_b32 exec_lo, exec_lo, s5
	s_mov_b32 s0, 0
	s_mov_b32 s5, -1
	global_store_b8 v[2:3], v1, off
.LBB118_2769:
	s_mov_b32 s7, 0
.LBB118_2770:
	s_delay_alu instid0(SALU_CYCLE_1)
	s_and_b32 vcc_lo, exec_lo, s7
	s_cbranch_vccz .LBB118_2773
; %bb.2771:
	s_cmp_eq_u32 s1, 29
	s_mov_b32 s0, -1
	s_cbranch_scc0 .LBB118_2773
; %bb.2772:
	s_wait_xcnt 0x0
	v_trunc_f32_e32 v1, v4
	s_mov_b32 s0, 0
	s_mov_b32 s5, -1
	s_delay_alu instid0(VALU_DEP_1) | instskip(NEXT) | instid1(VALU_DEP_1)
	v_mul_f32_e32 v5, 0x2f800000, v1
	v_floor_f32_e32 v5, v5
	s_delay_alu instid0(VALU_DEP_1) | instskip(SKIP_1) | instid1(VALU_DEP_2)
	v_fmamk_f32 v1, v5, 0xcf800000, v1
	v_cvt_u32_f32_e32 v7, v5
	v_cvt_u32_f32_e32 v6, v1
	global_store_b64 v[2:3], v[6:7], off
.LBB118_2773:
	s_mov_b32 s7, 0
.LBB118_2774:
	s_delay_alu instid0(SALU_CYCLE_1)
	s_and_b32 vcc_lo, exec_lo, s7
	s_cbranch_vccz .LBB118_2790
; %bb.2775:
	s_cmp_lt_i32 s1, 27
	s_mov_b32 s5, -1
	s_cbranch_scc1 .LBB118_2781
; %bb.2776:
	s_wait_xcnt 0x0
	v_cvt_u32_f32_e32 v1, v4
	s_cmp_gt_i32 s1, 27
	s_cbranch_scc0 .LBB118_2778
; %bb.2777:
	s_mov_b32 s5, 0
	global_store_b32 v[2:3], v1, off
.LBB118_2778:
	s_and_not1_b32 vcc_lo, exec_lo, s5
	s_cbranch_vccnz .LBB118_2780
; %bb.2779:
	global_store_b16 v[2:3], v1, off
.LBB118_2780:
	s_mov_b32 s5, 0
.LBB118_2781:
	s_delay_alu instid0(SALU_CYCLE_1)
	s_and_not1_b32 vcc_lo, exec_lo, s5
	s_cbranch_vccnz .LBB118_2789
; %bb.2782:
	s_wait_xcnt 0x0
	v_and_b32_e32 v1, 0x7fffffff, v4
	v_mov_b32_e32 v5, 0x80
	s_mov_b32 s5, exec_lo
	s_delay_alu instid0(VALU_DEP_2)
	v_cmpx_gt_u32_e32 0x43800000, v1
	s_cbranch_execz .LBB118_2788
; %bb.2783:
	v_cmp_lt_u32_e32 vcc_lo, 0x3bffffff, v1
	s_mov_b32 s7, 0
                                        ; implicit-def: $vgpr1
	s_and_saveexec_b32 s8, vcc_lo
	s_delay_alu instid0(SALU_CYCLE_1)
	s_xor_b32 s8, exec_lo, s8
	s_cbranch_execz .LBB118_3237
; %bb.2784:
	v_bfe_u32 v1, v4, 20, 1
	s_mov_b32 s7, exec_lo
	s_delay_alu instid0(VALU_DEP_1) | instskip(NEXT) | instid1(VALU_DEP_1)
	v_add3_u32 v1, v4, v1, 0x487ffff
	v_lshrrev_b32_e32 v1, 20, v1
	s_and_not1_saveexec_b32 s8, s8
	s_cbranch_execnz .LBB118_3238
.LBB118_2785:
	s_or_b32 exec_lo, exec_lo, s8
	v_mov_b32_e32 v5, 0
	s_and_saveexec_b32 s8, s7
.LBB118_2786:
	v_lshrrev_b32_e32 v5, 24, v4
	s_delay_alu instid0(VALU_DEP_1)
	v_and_or_b32 v5, 0x80, v5, v1
.LBB118_2787:
	s_or_b32 exec_lo, exec_lo, s8
.LBB118_2788:
	s_delay_alu instid0(SALU_CYCLE_1)
	s_or_b32 exec_lo, exec_lo, s5
	global_store_b8 v[2:3], v5, off
.LBB118_2789:
	s_mov_b32 s5, -1
.LBB118_2790:
	s_mov_b32 s7, 0
.LBB118_2791:
	s_delay_alu instid0(SALU_CYCLE_1)
	s_and_b32 vcc_lo, exec_lo, s7
	s_cbranch_vccz .LBB118_2831
; %bb.2792:
	s_cmp_gt_i32 s1, 22
	s_mov_b32 s4, -1
	s_cbranch_scc0 .LBB118_2824
; %bb.2793:
	s_cmp_lt_i32 s1, 24
	s_cbranch_scc1 .LBB118_2813
; %bb.2794:
	s_cmp_gt_i32 s1, 24
	s_cbranch_scc0 .LBB118_2802
; %bb.2795:
	s_wait_xcnt 0x0
	v_and_b32_e32 v1, 0x7fffffff, v4
	v_mov_b32_e32 v5, 0x80
	s_mov_b32 s4, exec_lo
	s_delay_alu instid0(VALU_DEP_2)
	v_cmpx_gt_u32_e32 0x47800000, v1
	s_cbranch_execz .LBB118_2801
; %bb.2796:
	v_cmp_lt_u32_e32 vcc_lo, 0x37ffffff, v1
	s_mov_b32 s5, 0
                                        ; implicit-def: $vgpr1
	s_and_saveexec_b32 s7, vcc_lo
	s_delay_alu instid0(SALU_CYCLE_1)
	s_xor_b32 s7, exec_lo, s7
	s_cbranch_execz .LBB118_3240
; %bb.2797:
	v_bfe_u32 v1, v4, 21, 1
	s_mov_b32 s5, exec_lo
	s_delay_alu instid0(VALU_DEP_1) | instskip(NEXT) | instid1(VALU_DEP_1)
	v_add3_u32 v1, v4, v1, 0x88fffff
	v_lshrrev_b32_e32 v1, 21, v1
	s_and_not1_saveexec_b32 s7, s7
	s_cbranch_execnz .LBB118_3241
.LBB118_2798:
	s_or_b32 exec_lo, exec_lo, s7
	v_mov_b32_e32 v5, 0
	s_and_saveexec_b32 s7, s5
.LBB118_2799:
	v_lshrrev_b32_e32 v5, 24, v4
	s_delay_alu instid0(VALU_DEP_1)
	v_and_or_b32 v5, 0x80, v5, v1
.LBB118_2800:
	s_or_b32 exec_lo, exec_lo, s7
.LBB118_2801:
	s_delay_alu instid0(SALU_CYCLE_1)
	s_or_b32 exec_lo, exec_lo, s4
	s_mov_b32 s4, 0
	global_store_b8 v[2:3], v5, off
.LBB118_2802:
	s_and_b32 vcc_lo, exec_lo, s4
	s_cbranch_vccz .LBB118_2812
; %bb.2803:
	s_wait_xcnt 0x0
	v_and_b32_e32 v5, 0x7fffffff, v4
	s_mov_b32 s4, exec_lo
                                        ; implicit-def: $vgpr1
	s_delay_alu instid0(VALU_DEP_1)
	v_cmpx_gt_u32_e32 0x43f00000, v5
	s_xor_b32 s4, exec_lo, s4
	s_cbranch_execz .LBB118_2809
; %bb.2804:
	s_mov_b32 s5, exec_lo
                                        ; implicit-def: $vgpr1
	v_cmpx_lt_u32_e32 0x3c7fffff, v5
	s_xor_b32 s5, exec_lo, s5
; %bb.2805:
	v_bfe_u32 v1, v4, 20, 1
	s_delay_alu instid0(VALU_DEP_1) | instskip(NEXT) | instid1(VALU_DEP_1)
	v_add3_u32 v1, v4, v1, 0x407ffff
	v_and_b32_e32 v5, 0xff00000, v1
	v_lshrrev_b32_e32 v1, 20, v1
	s_delay_alu instid0(VALU_DEP_2) | instskip(NEXT) | instid1(VALU_DEP_2)
	v_cmp_ne_u32_e32 vcc_lo, 0x7f00000, v5
	v_cndmask_b32_e32 v1, 0x7e, v1, vcc_lo
; %bb.2806:
	s_and_not1_saveexec_b32 s5, s5
; %bb.2807:
	v_add_f32_e64 v1, 0x46800000, |v4|
; %bb.2808:
	s_or_b32 exec_lo, exec_lo, s5
                                        ; implicit-def: $vgpr5
.LBB118_2809:
	s_and_not1_saveexec_b32 s4, s4
; %bb.2810:
	v_mov_b32_e32 v1, 0x7f
	v_cmp_lt_u32_e32 vcc_lo, 0x7f800000, v5
	s_delay_alu instid0(VALU_DEP_2)
	v_cndmask_b32_e32 v1, 0x7e, v1, vcc_lo
; %bb.2811:
	s_or_b32 exec_lo, exec_lo, s4
	v_lshrrev_b32_e32 v5, 24, v4
	s_delay_alu instid0(VALU_DEP_1)
	v_and_or_b32 v1, 0x80, v5, v1
	global_store_b8 v[2:3], v1, off
.LBB118_2812:
	s_mov_b32 s4, 0
.LBB118_2813:
	s_delay_alu instid0(SALU_CYCLE_1)
	s_and_not1_b32 vcc_lo, exec_lo, s4
	s_cbranch_vccnz .LBB118_2823
; %bb.2814:
	s_wait_xcnt 0x0
	v_and_b32_e32 v5, 0x7fffffff, v4
	s_mov_b32 s4, exec_lo
                                        ; implicit-def: $vgpr1
	s_delay_alu instid0(VALU_DEP_1)
	v_cmpx_gt_u32_e32 0x47800000, v5
	s_xor_b32 s4, exec_lo, s4
	s_cbranch_execz .LBB118_2820
; %bb.2815:
	s_mov_b32 s5, exec_lo
                                        ; implicit-def: $vgpr1
	v_cmpx_lt_u32_e32 0x387fffff, v5
	s_xor_b32 s5, exec_lo, s5
; %bb.2816:
	v_bfe_u32 v1, v4, 21, 1
	s_delay_alu instid0(VALU_DEP_1) | instskip(NEXT) | instid1(VALU_DEP_1)
	v_add3_u32 v1, v4, v1, 0x80fffff
	v_lshrrev_b32_e32 v1, 21, v1
; %bb.2817:
	s_and_not1_saveexec_b32 s5, s5
; %bb.2818:
	v_add_f32_e64 v1, 0x43000000, |v4|
; %bb.2819:
	s_or_b32 exec_lo, exec_lo, s5
                                        ; implicit-def: $vgpr5
.LBB118_2820:
	s_and_not1_saveexec_b32 s4, s4
; %bb.2821:
	v_mov_b32_e32 v1, 0x7f
	v_cmp_lt_u32_e32 vcc_lo, 0x7f800000, v5
	s_delay_alu instid0(VALU_DEP_2)
	v_cndmask_b32_e32 v1, 0x7c, v1, vcc_lo
; %bb.2822:
	s_or_b32 exec_lo, exec_lo, s4
	v_lshrrev_b32_e32 v5, 24, v4
	s_delay_alu instid0(VALU_DEP_1)
	v_and_or_b32 v1, 0x80, v5, v1
	global_store_b8 v[2:3], v1, off
.LBB118_2823:
	s_mov_b32 s4, 0
	s_mov_b32 s5, -1
.LBB118_2824:
	s_and_not1_b32 vcc_lo, exec_lo, s4
	s_mov_b32 s4, 0
	s_cbranch_vccnz .LBB118_2831
; %bb.2825:
	s_cmp_gt_i32 s1, 14
	s_mov_b32 s4, -1
	s_cbranch_scc0 .LBB118_2829
; %bb.2826:
	s_cmp_eq_u32 s1, 15
	s_mov_b32 s0, -1
	s_cbranch_scc0 .LBB118_2828
; %bb.2827:
	s_wait_xcnt 0x0
	v_bfe_u32 v1, v4, 16, 1
	v_cmp_o_f32_e32 vcc_lo, v4, v4
	s_mov_b32 s0, 0
	s_mov_b32 s5, -1
	s_delay_alu instid0(VALU_DEP_2) | instskip(NEXT) | instid1(VALU_DEP_1)
	v_add3_u32 v1, v4, v1, 0x7fff
	v_lshrrev_b32_e32 v1, 16, v1
	s_delay_alu instid0(VALU_DEP_1)
	v_cndmask_b32_e32 v1, 0x7fc0, v1, vcc_lo
	global_store_b16 v[2:3], v1, off
.LBB118_2828:
	s_mov_b32 s4, 0
.LBB118_2829:
	s_delay_alu instid0(SALU_CYCLE_1)
	s_and_b32 vcc_lo, exec_lo, s4
	s_mov_b32 s4, 0
	s_cbranch_vccz .LBB118_2831
; %bb.2830:
	s_cmp_lg_u32 s1, 11
	s_mov_b32 s4, -1
	s_cselect_b32 s0, -1, 0
.LBB118_2831:
	s_delay_alu instid0(SALU_CYCLE_1)
	s_and_b32 vcc_lo, exec_lo, s0
	s_cbranch_vccnz .LBB118_3239
; %bb.2832:
	s_and_not1_b32 vcc_lo, exec_lo, s4
	s_cbranch_vccnz .LBB118_2834
.LBB118_2833:
	v_cmp_neq_f32_e32 vcc_lo, 0, v4
	s_mov_b32 s5, -1
	s_wait_xcnt 0x0
	v_cndmask_b32_e64 v1, 0, 1, vcc_lo
	global_store_b8 v[2:3], v1, off
.LBB118_2834:
	s_mov_b32 s0, 0
	s_branch .LBB118_2836
.LBB118_2835:
	s_mov_b32 s0, -1
	s_mov_b32 s5, 0
.LBB118_2836:
	s_and_b32 vcc_lo, exec_lo, s0
	s_cbranch_vccz .LBB118_2875
; %bb.2837:
	s_and_b32 s0, 0xffff, s18
	s_mov_b32 s1, -1
	s_cmp_lt_i32 s0, 5
	s_cbranch_scc1 .LBB118_2858
; %bb.2838:
	s_cmp_lt_i32 s0, 8
	s_cbranch_scc1 .LBB118_2848
; %bb.2839:
	;; [unrolled: 3-line block ×3, first 2 shown]
	s_cmp_gt_i32 s0, 9
	s_cbranch_scc0 .LBB118_2842
; %bb.2841:
	v_cvt_f64_f32_e32 v[16:17], v4
	v_mov_b32_e32 v18, 0
	s_mov_b32 s1, 0
	s_delay_alu instid0(VALU_DEP_1)
	v_mov_b32_e32 v19, v18
	global_store_b128 v[2:3], v[16:19], off
.LBB118_2842:
	s_and_not1_b32 vcc_lo, exec_lo, s1
	s_cbranch_vccnz .LBB118_2844
; %bb.2843:
	s_wait_xcnt 0x0
	v_mov_b32_e32 v5, 0
	global_store_b64 v[2:3], v[4:5], off
.LBB118_2844:
	s_mov_b32 s1, 0
.LBB118_2845:
	s_delay_alu instid0(SALU_CYCLE_1)
	s_and_not1_b32 vcc_lo, exec_lo, s1
	s_cbranch_vccnz .LBB118_2847
; %bb.2846:
	s_wait_xcnt 0x0
	v_cvt_f16_f32_e32 v1, v4
	s_delay_alu instid0(VALU_DEP_1)
	v_and_b32_e32 v1, 0xffff, v1
	global_store_b32 v[2:3], v1, off
.LBB118_2847:
	s_mov_b32 s1, 0
.LBB118_2848:
	s_delay_alu instid0(SALU_CYCLE_1)
	s_and_not1_b32 vcc_lo, exec_lo, s1
	s_cbranch_vccnz .LBB118_2857
; %bb.2849:
	s_cmp_lt_i32 s0, 6
	s_mov_b32 s1, -1
	s_cbranch_scc1 .LBB118_2855
; %bb.2850:
	s_cmp_gt_i32 s0, 6
	s_cbranch_scc0 .LBB118_2852
; %bb.2851:
	s_wait_xcnt 0x0
	v_cvt_f64_f32_e32 v[6:7], v4
	s_mov_b32 s1, 0
	global_store_b64 v[2:3], v[6:7], off
.LBB118_2852:
	s_and_not1_b32 vcc_lo, exec_lo, s1
	s_cbranch_vccnz .LBB118_2854
; %bb.2853:
	global_store_b32 v[2:3], v4, off
.LBB118_2854:
	s_mov_b32 s1, 0
.LBB118_2855:
	s_delay_alu instid0(SALU_CYCLE_1)
	s_and_not1_b32 vcc_lo, exec_lo, s1
	s_cbranch_vccnz .LBB118_2857
; %bb.2856:
	s_wait_xcnt 0x0
	v_cvt_f16_f32_e32 v1, v4
	global_store_b16 v[2:3], v1, off
.LBB118_2857:
	s_mov_b32 s1, 0
.LBB118_2858:
	s_delay_alu instid0(SALU_CYCLE_1)
	s_and_not1_b32 vcc_lo, exec_lo, s1
	s_cbranch_vccnz .LBB118_2874
; %bb.2859:
	s_cmp_lt_i32 s0, 2
	s_mov_b32 s1, -1
	s_cbranch_scc1 .LBB118_2869
; %bb.2860:
	s_cmp_lt_i32 s0, 3
	s_cbranch_scc1 .LBB118_2866
; %bb.2861:
	s_cmp_gt_i32 s0, 3
	s_cbranch_scc0 .LBB118_2863
; %bb.2862:
	s_wait_xcnt 0x0
	v_trunc_f32_e32 v1, v4
	s_mov_b32 s1, 0
	s_delay_alu instid0(VALU_DEP_1) | instskip(SKIP_1) | instid1(VALU_DEP_2)
	v_mul_f32_e64 v5, 0x2f800000, |v1|
	v_ashrrev_i32_e32 v6, 31, v1
	v_floor_f32_e32 v5, v5
	s_delay_alu instid0(VALU_DEP_1) | instskip(SKIP_1) | instid1(VALU_DEP_2)
	v_fma_f32 v7, 0xcf800000, v5, |v1|
	v_cvt_u32_f32_e32 v1, v5
	v_cvt_u32_f32_e32 v5, v7
	s_delay_alu instid0(VALU_DEP_2) | instskip(NEXT) | instid1(VALU_DEP_2)
	v_dual_mov_b32 v7, v6 :: v_dual_bitop2_b32 v17, v1, v6 bitop3:0x14
	v_xor_b32_e32 v16, v5, v6
	s_delay_alu instid0(VALU_DEP_1)
	v_sub_nc_u64_e32 v[6:7], v[16:17], v[6:7]
	global_store_b64 v[2:3], v[6:7], off
.LBB118_2863:
	s_and_not1_b32 vcc_lo, exec_lo, s1
	s_cbranch_vccnz .LBB118_2865
; %bb.2864:
	s_wait_xcnt 0x0
	v_cvt_i32_f32_e32 v1, v4
	global_store_b32 v[2:3], v1, off
.LBB118_2865:
	s_mov_b32 s1, 0
.LBB118_2866:
	s_delay_alu instid0(SALU_CYCLE_1)
	s_and_not1_b32 vcc_lo, exec_lo, s1
	s_cbranch_vccnz .LBB118_2868
; %bb.2867:
	s_wait_xcnt 0x0
	v_cvt_i32_f32_e32 v1, v4
	global_store_b16 v[2:3], v1, off
.LBB118_2868:
	s_mov_b32 s1, 0
.LBB118_2869:
	s_delay_alu instid0(SALU_CYCLE_1)
	s_and_not1_b32 vcc_lo, exec_lo, s1
	s_cbranch_vccnz .LBB118_2874
; %bb.2870:
	s_cmp_gt_i32 s0, 0
	s_mov_b32 s0, -1
	s_cbranch_scc0 .LBB118_2872
; %bb.2871:
	s_wait_xcnt 0x0
	v_cvt_i32_f32_e32 v1, v4
	s_mov_b32 s0, 0
	global_store_b8 v[2:3], v1, off
.LBB118_2872:
	s_and_not1_b32 vcc_lo, exec_lo, s0
	s_cbranch_vccnz .LBB118_2874
; %bb.2873:
	s_wait_xcnt 0x0
	v_trunc_f32_e32 v1, v4
	s_delay_alu instid0(VALU_DEP_1) | instskip(NEXT) | instid1(VALU_DEP_1)
	v_mul_f32_e64 v4, 0x2f800000, |v1|
	v_floor_f32_e32 v4, v4
	s_delay_alu instid0(VALU_DEP_1) | instskip(SKIP_1) | instid1(VALU_DEP_2)
	v_fma_f32 v4, 0xcf800000, v4, |v1|
	v_ashrrev_i32_e32 v1, 31, v1
	v_cvt_u32_f32_e32 v4, v4
	s_delay_alu instid0(VALU_DEP_1) | instskip(NEXT) | instid1(VALU_DEP_1)
	v_xor_b32_e32 v4, v4, v1
	v_sub_nc_u32_e32 v1, v4, v1
	global_store_b8 v[2:3], v1, off
.LBB118_2874:
	s_mov_b32 s5, -1
.LBB118_2875:
	s_delay_alu instid0(SALU_CYCLE_1)
	s_and_not1_b32 vcc_lo, exec_lo, s5
	s_cbranch_vccnz .LBB118_3190
; %bb.2876:
	s_lshl_b32 s1, s12, 7
	s_cmp_lt_i32 s18, 11
	s_wait_xcnt 0x0
	v_dual_add_nc_u32 v0, s1, v0 :: v_dual_mul_f32 v4, s6, v9
	s_delay_alu instid0(VALU_DEP_1) | instskip(NEXT) | instid1(VALU_DEP_1)
	v_dual_mul_f32 v4, v4, v10 :: v_dual_ashrrev_i32 v1, 31, v0
	v_add_nc_u64_e32 v[2:3], s[2:3], v[0:1]
	s_cbranch_scc1 .LBB118_2954
; %bb.2877:
	s_and_b32 s4, 0xffff, s18
	s_mov_b32 s8, -1
	s_mov_b32 s5, 0
	s_cmp_gt_i32 s4, 25
	s_mov_b32 s7, 0
	s_mov_b32 s0, 0
	s_cbranch_scc0 .LBB118_2910
; %bb.2878:
	s_cmp_gt_i32 s4, 28
	s_cbranch_scc0 .LBB118_2893
; %bb.2879:
	s_cmp_gt_i32 s4, 43
	;; [unrolled: 3-line block ×3, first 2 shown]
	s_cbranch_scc0 .LBB118_2883
; %bb.2881:
	s_mov_b32 s0, -1
	s_mov_b32 s8, 0
	s_cmp_eq_u32 s4, 46
	s_cbranch_scc0 .LBB118_2883
; %bb.2882:
	v_bfe_u32 v1, v4, 16, 1
	v_cmp_o_f32_e32 vcc_lo, v4, v4
	s_mov_b32 s0, 0
	s_mov_b32 s7, -1
	s_delay_alu instid0(VALU_DEP_2) | instskip(NEXT) | instid1(VALU_DEP_1)
	v_add3_u32 v1, v4, v1, 0x7fff
	v_lshrrev_b32_e32 v1, 16, v1
	s_delay_alu instid0(VALU_DEP_1)
	v_cndmask_b32_e32 v1, 0x7fc0, v1, vcc_lo
	global_store_b32 v[2:3], v1, off
.LBB118_2883:
	s_and_b32 vcc_lo, exec_lo, s8
	s_cbranch_vccz .LBB118_2888
; %bb.2884:
	s_cmp_eq_u32 s4, 44
	s_mov_b32 s0, -1
	s_cbranch_scc0 .LBB118_2888
; %bb.2885:
	v_bfe_u32 v5, v4, 23, 8
	s_wait_xcnt 0x0
	v_mov_b32_e32 v1, 0xff
	s_mov_b32 s7, exec_lo
	s_delay_alu instid0(VALU_DEP_2)
	v_cmpx_ne_u32_e32 0xff, v5
	s_cbranch_execz .LBB118_2887
; %bb.2886:
	v_and_b32_e32 v1, 0x400000, v4
	v_and_or_b32 v5, 0x3fffff, v4, v5
	s_delay_alu instid0(VALU_DEP_2) | instskip(NEXT) | instid1(VALU_DEP_2)
	v_cmp_ne_u32_e32 vcc_lo, 0, v1
	v_cmp_ne_u32_e64 s0, 0, v5
	v_lshrrev_b32_e32 v1, 23, v4
	s_and_b32 s0, vcc_lo, s0
	s_delay_alu instid0(SALU_CYCLE_1) | instskip(NEXT) | instid1(VALU_DEP_1)
	v_cndmask_b32_e64 v5, 0, 1, s0
	v_add_nc_u32_e32 v1, v1, v5
.LBB118_2887:
	s_or_b32 exec_lo, exec_lo, s7
	s_mov_b32 s0, 0
	s_mov_b32 s7, -1
	global_store_b8 v[2:3], v1, off
.LBB118_2888:
	s_mov_b32 s8, 0
.LBB118_2889:
	s_delay_alu instid0(SALU_CYCLE_1)
	s_and_b32 vcc_lo, exec_lo, s8
	s_cbranch_vccz .LBB118_2892
; %bb.2890:
	s_cmp_eq_u32 s4, 29
	s_mov_b32 s0, -1
	s_cbranch_scc0 .LBB118_2892
; %bb.2891:
	s_wait_xcnt 0x0
	v_trunc_f32_e32 v1, v4
	s_mov_b32 s0, 0
	s_mov_b32 s7, -1
	s_delay_alu instid0(VALU_DEP_1) | instskip(NEXT) | instid1(VALU_DEP_1)
	v_mul_f32_e32 v5, 0x2f800000, v1
	v_floor_f32_e32 v5, v5
	s_delay_alu instid0(VALU_DEP_1) | instskip(SKIP_1) | instid1(VALU_DEP_2)
	v_fmamk_f32 v1, v5, 0xcf800000, v1
	v_cvt_u32_f32_e32 v7, v5
	v_cvt_u32_f32_e32 v6, v1
	global_store_b64 v[2:3], v[6:7], off
.LBB118_2892:
	s_mov_b32 s8, 0
.LBB118_2893:
	s_delay_alu instid0(SALU_CYCLE_1)
	s_and_b32 vcc_lo, exec_lo, s8
	s_cbranch_vccz .LBB118_2909
; %bb.2894:
	s_cmp_lt_i32 s4, 27
	s_mov_b32 s7, -1
	s_cbranch_scc1 .LBB118_2900
; %bb.2895:
	s_wait_xcnt 0x0
	v_cvt_u32_f32_e32 v1, v4
	s_cmp_gt_i32 s4, 27
	s_cbranch_scc0 .LBB118_2897
; %bb.2896:
	s_mov_b32 s7, 0
	global_store_b32 v[2:3], v1, off
.LBB118_2897:
	s_and_not1_b32 vcc_lo, exec_lo, s7
	s_cbranch_vccnz .LBB118_2899
; %bb.2898:
	global_store_b16 v[2:3], v1, off
.LBB118_2899:
	s_mov_b32 s7, 0
.LBB118_2900:
	s_delay_alu instid0(SALU_CYCLE_1)
	s_and_not1_b32 vcc_lo, exec_lo, s7
	s_cbranch_vccnz .LBB118_2908
; %bb.2901:
	s_wait_xcnt 0x0
	v_and_b32_e32 v1, 0x7fffffff, v4
	v_mov_b32_e32 v5, 0x80
	s_mov_b32 s7, exec_lo
	s_delay_alu instid0(VALU_DEP_2)
	v_cmpx_gt_u32_e32 0x43800000, v1
	s_cbranch_execz .LBB118_2907
; %bb.2902:
	v_cmp_lt_u32_e32 vcc_lo, 0x3bffffff, v1
	s_mov_b32 s8, 0
                                        ; implicit-def: $vgpr1
	s_and_saveexec_b32 s9, vcc_lo
	s_delay_alu instid0(SALU_CYCLE_1)
	s_xor_b32 s9, exec_lo, s9
	s_cbranch_execz .LBB118_3242
; %bb.2903:
	v_bfe_u32 v1, v4, 20, 1
	s_mov_b32 s8, exec_lo
	s_delay_alu instid0(VALU_DEP_1) | instskip(NEXT) | instid1(VALU_DEP_1)
	v_add3_u32 v1, v4, v1, 0x487ffff
	v_lshrrev_b32_e32 v1, 20, v1
	s_and_not1_saveexec_b32 s9, s9
	s_cbranch_execnz .LBB118_3243
.LBB118_2904:
	s_or_b32 exec_lo, exec_lo, s9
	v_mov_b32_e32 v5, 0
	s_and_saveexec_b32 s9, s8
.LBB118_2905:
	v_lshrrev_b32_e32 v5, 24, v4
	s_delay_alu instid0(VALU_DEP_1)
	v_and_or_b32 v5, 0x80, v5, v1
.LBB118_2906:
	s_or_b32 exec_lo, exec_lo, s9
.LBB118_2907:
	s_delay_alu instid0(SALU_CYCLE_1)
	s_or_b32 exec_lo, exec_lo, s7
	global_store_b8 v[2:3], v5, off
.LBB118_2908:
	s_mov_b32 s7, -1
.LBB118_2909:
	s_mov_b32 s8, 0
.LBB118_2910:
	s_delay_alu instid0(SALU_CYCLE_1)
	s_and_b32 vcc_lo, exec_lo, s8
	s_cbranch_vccz .LBB118_2950
; %bb.2911:
	s_cmp_gt_i32 s4, 22
	s_mov_b32 s5, -1
	s_cbranch_scc0 .LBB118_2943
; %bb.2912:
	s_cmp_lt_i32 s4, 24
	s_cbranch_scc1 .LBB118_2932
; %bb.2913:
	s_cmp_gt_i32 s4, 24
	s_cbranch_scc0 .LBB118_2921
; %bb.2914:
	s_wait_xcnt 0x0
	v_and_b32_e32 v1, 0x7fffffff, v4
	v_mov_b32_e32 v5, 0x80
	s_mov_b32 s5, exec_lo
	s_delay_alu instid0(VALU_DEP_2)
	v_cmpx_gt_u32_e32 0x47800000, v1
	s_cbranch_execz .LBB118_2920
; %bb.2915:
	v_cmp_lt_u32_e32 vcc_lo, 0x37ffffff, v1
	s_mov_b32 s7, 0
                                        ; implicit-def: $vgpr1
	s_and_saveexec_b32 s8, vcc_lo
	s_delay_alu instid0(SALU_CYCLE_1)
	s_xor_b32 s8, exec_lo, s8
	s_cbranch_execz .LBB118_3245
; %bb.2916:
	v_bfe_u32 v1, v4, 21, 1
	s_mov_b32 s7, exec_lo
	s_delay_alu instid0(VALU_DEP_1) | instskip(NEXT) | instid1(VALU_DEP_1)
	v_add3_u32 v1, v4, v1, 0x88fffff
	v_lshrrev_b32_e32 v1, 21, v1
	s_and_not1_saveexec_b32 s8, s8
	s_cbranch_execnz .LBB118_3246
.LBB118_2917:
	s_or_b32 exec_lo, exec_lo, s8
	v_mov_b32_e32 v5, 0
	s_and_saveexec_b32 s8, s7
.LBB118_2918:
	v_lshrrev_b32_e32 v5, 24, v4
	s_delay_alu instid0(VALU_DEP_1)
	v_and_or_b32 v5, 0x80, v5, v1
.LBB118_2919:
	s_or_b32 exec_lo, exec_lo, s8
.LBB118_2920:
	s_delay_alu instid0(SALU_CYCLE_1)
	s_or_b32 exec_lo, exec_lo, s5
	s_mov_b32 s5, 0
	global_store_b8 v[2:3], v5, off
.LBB118_2921:
	s_and_b32 vcc_lo, exec_lo, s5
	s_cbranch_vccz .LBB118_2931
; %bb.2922:
	s_wait_xcnt 0x0
	v_and_b32_e32 v5, 0x7fffffff, v4
	s_mov_b32 s5, exec_lo
                                        ; implicit-def: $vgpr1
	s_delay_alu instid0(VALU_DEP_1)
	v_cmpx_gt_u32_e32 0x43f00000, v5
	s_xor_b32 s5, exec_lo, s5
	s_cbranch_execz .LBB118_2928
; %bb.2923:
	s_mov_b32 s7, exec_lo
                                        ; implicit-def: $vgpr1
	v_cmpx_lt_u32_e32 0x3c7fffff, v5
	s_xor_b32 s7, exec_lo, s7
; %bb.2924:
	v_bfe_u32 v1, v4, 20, 1
	s_delay_alu instid0(VALU_DEP_1) | instskip(NEXT) | instid1(VALU_DEP_1)
	v_add3_u32 v1, v4, v1, 0x407ffff
	v_and_b32_e32 v5, 0xff00000, v1
	v_lshrrev_b32_e32 v1, 20, v1
	s_delay_alu instid0(VALU_DEP_2) | instskip(NEXT) | instid1(VALU_DEP_2)
	v_cmp_ne_u32_e32 vcc_lo, 0x7f00000, v5
	v_cndmask_b32_e32 v1, 0x7e, v1, vcc_lo
; %bb.2925:
	s_and_not1_saveexec_b32 s7, s7
; %bb.2926:
	v_add_f32_e64 v1, 0x46800000, |v4|
; %bb.2927:
	s_or_b32 exec_lo, exec_lo, s7
                                        ; implicit-def: $vgpr5
.LBB118_2928:
	s_and_not1_saveexec_b32 s5, s5
; %bb.2929:
	v_mov_b32_e32 v1, 0x7f
	v_cmp_lt_u32_e32 vcc_lo, 0x7f800000, v5
	s_delay_alu instid0(VALU_DEP_2)
	v_cndmask_b32_e32 v1, 0x7e, v1, vcc_lo
; %bb.2930:
	s_or_b32 exec_lo, exec_lo, s5
	v_lshrrev_b32_e32 v5, 24, v4
	s_delay_alu instid0(VALU_DEP_1)
	v_and_or_b32 v1, 0x80, v5, v1
	global_store_b8 v[2:3], v1, off
.LBB118_2931:
	s_mov_b32 s5, 0
.LBB118_2932:
	s_delay_alu instid0(SALU_CYCLE_1)
	s_and_not1_b32 vcc_lo, exec_lo, s5
	s_cbranch_vccnz .LBB118_2942
; %bb.2933:
	s_wait_xcnt 0x0
	v_and_b32_e32 v5, 0x7fffffff, v4
	s_mov_b32 s5, exec_lo
                                        ; implicit-def: $vgpr1
	s_delay_alu instid0(VALU_DEP_1)
	v_cmpx_gt_u32_e32 0x47800000, v5
	s_xor_b32 s5, exec_lo, s5
	s_cbranch_execz .LBB118_2939
; %bb.2934:
	s_mov_b32 s7, exec_lo
                                        ; implicit-def: $vgpr1
	v_cmpx_lt_u32_e32 0x387fffff, v5
	s_xor_b32 s7, exec_lo, s7
; %bb.2935:
	v_bfe_u32 v1, v4, 21, 1
	s_delay_alu instid0(VALU_DEP_1) | instskip(NEXT) | instid1(VALU_DEP_1)
	v_add3_u32 v1, v4, v1, 0x80fffff
	v_lshrrev_b32_e32 v1, 21, v1
; %bb.2936:
	s_and_not1_saveexec_b32 s7, s7
; %bb.2937:
	v_add_f32_e64 v1, 0x43000000, |v4|
; %bb.2938:
	s_or_b32 exec_lo, exec_lo, s7
                                        ; implicit-def: $vgpr5
.LBB118_2939:
	s_and_not1_saveexec_b32 s5, s5
; %bb.2940:
	v_mov_b32_e32 v1, 0x7f
	v_cmp_lt_u32_e32 vcc_lo, 0x7f800000, v5
	s_delay_alu instid0(VALU_DEP_2)
	v_cndmask_b32_e32 v1, 0x7c, v1, vcc_lo
; %bb.2941:
	s_or_b32 exec_lo, exec_lo, s5
	v_lshrrev_b32_e32 v5, 24, v4
	s_delay_alu instid0(VALU_DEP_1)
	v_and_or_b32 v1, 0x80, v5, v1
	global_store_b8 v[2:3], v1, off
.LBB118_2942:
	s_mov_b32 s5, 0
	s_mov_b32 s7, -1
.LBB118_2943:
	s_and_not1_b32 vcc_lo, exec_lo, s5
	s_mov_b32 s5, 0
	s_cbranch_vccnz .LBB118_2950
; %bb.2944:
	s_cmp_gt_i32 s4, 14
	s_mov_b32 s5, -1
	s_cbranch_scc0 .LBB118_2948
; %bb.2945:
	s_cmp_eq_u32 s4, 15
	s_mov_b32 s0, -1
	s_cbranch_scc0 .LBB118_2947
; %bb.2946:
	s_wait_xcnt 0x0
	v_bfe_u32 v1, v4, 16, 1
	v_cmp_o_f32_e32 vcc_lo, v4, v4
	s_mov_b32 s0, 0
	s_mov_b32 s7, -1
	s_delay_alu instid0(VALU_DEP_2) | instskip(NEXT) | instid1(VALU_DEP_1)
	v_add3_u32 v1, v4, v1, 0x7fff
	v_lshrrev_b32_e32 v1, 16, v1
	s_delay_alu instid0(VALU_DEP_1)
	v_cndmask_b32_e32 v1, 0x7fc0, v1, vcc_lo
	global_store_b16 v[2:3], v1, off
.LBB118_2947:
	s_mov_b32 s5, 0
.LBB118_2948:
	s_delay_alu instid0(SALU_CYCLE_1)
	s_and_b32 vcc_lo, exec_lo, s5
	s_mov_b32 s5, 0
	s_cbranch_vccz .LBB118_2950
; %bb.2949:
	s_cmp_lg_u32 s4, 11
	s_mov_b32 s5, -1
	s_cselect_b32 s0, -1, 0
.LBB118_2950:
	s_delay_alu instid0(SALU_CYCLE_1)
	s_and_b32 vcc_lo, exec_lo, s0
	s_cbranch_vccnz .LBB118_3244
; %bb.2951:
	s_and_not1_b32 vcc_lo, exec_lo, s5
	s_cbranch_vccnz .LBB118_2953
.LBB118_2952:
	v_cmp_neq_f32_e32 vcc_lo, 0, v4
	s_mov_b32 s7, -1
	s_wait_xcnt 0x0
	v_cndmask_b32_e64 v1, 0, 1, vcc_lo
	global_store_b8 v[2:3], v1, off
.LBB118_2953:
	s_mov_b32 s0, 0
	s_branch .LBB118_2955
.LBB118_2954:
	s_mov_b32 s0, -1
	s_mov_b32 s7, 0
.LBB118_2955:
	s_and_b32 vcc_lo, exec_lo, s0
	s_cbranch_vccz .LBB118_2994
; %bb.2956:
	s_and_b32 s0, 0xffff, s18
	s_mov_b32 s4, -1
	s_cmp_lt_i32 s0, 5
	s_cbranch_scc1 .LBB118_2977
; %bb.2957:
	s_cmp_lt_i32 s0, 8
	s_cbranch_scc1 .LBB118_2967
; %bb.2958:
	;; [unrolled: 3-line block ×3, first 2 shown]
	s_cmp_gt_i32 s0, 9
	s_cbranch_scc0 .LBB118_2961
; %bb.2960:
	s_wait_xcnt 0x0
	v_cvt_f64_f32_e32 v[6:7], v4
	v_mov_b32_e32 v8, 0
	s_mov_b32 s4, 0
	s_delay_alu instid0(VALU_DEP_1)
	v_mov_b32_e32 v9, v8
	global_store_b128 v[2:3], v[6:9], off
.LBB118_2961:
	s_and_not1_b32 vcc_lo, exec_lo, s4
	s_cbranch_vccnz .LBB118_2963
; %bb.2962:
	s_wait_xcnt 0x0
	v_mov_b32_e32 v5, 0
	global_store_b64 v[2:3], v[4:5], off
.LBB118_2963:
	s_mov_b32 s4, 0
.LBB118_2964:
	s_delay_alu instid0(SALU_CYCLE_1)
	s_and_not1_b32 vcc_lo, exec_lo, s4
	s_cbranch_vccnz .LBB118_2966
; %bb.2965:
	s_wait_xcnt 0x0
	v_cvt_f16_f32_e32 v1, v4
	s_delay_alu instid0(VALU_DEP_1)
	v_and_b32_e32 v1, 0xffff, v1
	global_store_b32 v[2:3], v1, off
.LBB118_2966:
	s_mov_b32 s4, 0
.LBB118_2967:
	s_delay_alu instid0(SALU_CYCLE_1)
	s_and_not1_b32 vcc_lo, exec_lo, s4
	s_cbranch_vccnz .LBB118_2976
; %bb.2968:
	s_cmp_lt_i32 s0, 6
	s_mov_b32 s4, -1
	s_cbranch_scc1 .LBB118_2974
; %bb.2969:
	s_cmp_gt_i32 s0, 6
	s_cbranch_scc0 .LBB118_2971
; %bb.2970:
	s_wait_xcnt 0x0
	v_cvt_f64_f32_e32 v[6:7], v4
	s_mov_b32 s4, 0
	global_store_b64 v[2:3], v[6:7], off
.LBB118_2971:
	s_and_not1_b32 vcc_lo, exec_lo, s4
	s_cbranch_vccnz .LBB118_2973
; %bb.2972:
	global_store_b32 v[2:3], v4, off
.LBB118_2973:
	s_mov_b32 s4, 0
.LBB118_2974:
	s_delay_alu instid0(SALU_CYCLE_1)
	s_and_not1_b32 vcc_lo, exec_lo, s4
	s_cbranch_vccnz .LBB118_2976
; %bb.2975:
	s_wait_xcnt 0x0
	v_cvt_f16_f32_e32 v1, v4
	global_store_b16 v[2:3], v1, off
.LBB118_2976:
	s_mov_b32 s4, 0
.LBB118_2977:
	s_delay_alu instid0(SALU_CYCLE_1)
	s_and_not1_b32 vcc_lo, exec_lo, s4
	s_cbranch_vccnz .LBB118_2993
; %bb.2978:
	s_cmp_lt_i32 s0, 2
	s_mov_b32 s4, -1
	s_cbranch_scc1 .LBB118_2988
; %bb.2979:
	s_cmp_lt_i32 s0, 3
	s_cbranch_scc1 .LBB118_2985
; %bb.2980:
	s_cmp_gt_i32 s0, 3
	s_cbranch_scc0 .LBB118_2982
; %bb.2981:
	s_wait_xcnt 0x0
	v_trunc_f32_e32 v1, v4
	s_mov_b32 s4, 0
	s_delay_alu instid0(VALU_DEP_1) | instskip(SKIP_1) | instid1(VALU_DEP_2)
	v_mul_f32_e64 v5, 0x2f800000, |v1|
	v_ashrrev_i32_e32 v6, 31, v1
	v_floor_f32_e32 v5, v5
	s_delay_alu instid0(VALU_DEP_1) | instskip(SKIP_1) | instid1(VALU_DEP_2)
	v_fma_f32 v7, 0xcf800000, v5, |v1|
	v_cvt_u32_f32_e32 v1, v5
	v_cvt_u32_f32_e32 v5, v7
	s_delay_alu instid0(VALU_DEP_2) | instskip(NEXT) | instid1(VALU_DEP_2)
	v_dual_mov_b32 v7, v6 :: v_dual_bitop2_b32 v9, v1, v6 bitop3:0x14
	v_xor_b32_e32 v8, v5, v6
	s_delay_alu instid0(VALU_DEP_1)
	v_sub_nc_u64_e32 v[6:7], v[8:9], v[6:7]
	global_store_b64 v[2:3], v[6:7], off
.LBB118_2982:
	s_and_not1_b32 vcc_lo, exec_lo, s4
	s_cbranch_vccnz .LBB118_2984
; %bb.2983:
	s_wait_xcnt 0x0
	v_cvt_i32_f32_e32 v1, v4
	global_store_b32 v[2:3], v1, off
.LBB118_2984:
	s_mov_b32 s4, 0
.LBB118_2985:
	s_delay_alu instid0(SALU_CYCLE_1)
	s_and_not1_b32 vcc_lo, exec_lo, s4
	s_cbranch_vccnz .LBB118_2987
; %bb.2986:
	s_wait_xcnt 0x0
	v_cvt_i32_f32_e32 v1, v4
	global_store_b16 v[2:3], v1, off
.LBB118_2987:
	s_mov_b32 s4, 0
.LBB118_2988:
	s_delay_alu instid0(SALU_CYCLE_1)
	s_and_not1_b32 vcc_lo, exec_lo, s4
	s_cbranch_vccnz .LBB118_2993
; %bb.2989:
	s_cmp_gt_i32 s0, 0
	s_mov_b32 s0, -1
	s_cbranch_scc0 .LBB118_2991
; %bb.2990:
	s_wait_xcnt 0x0
	v_cvt_i32_f32_e32 v1, v4
	s_mov_b32 s0, 0
	global_store_b8 v[2:3], v1, off
.LBB118_2991:
	s_and_not1_b32 vcc_lo, exec_lo, s0
	s_cbranch_vccnz .LBB118_2993
; %bb.2992:
	s_wait_xcnt 0x0
	v_trunc_f32_e32 v1, v4
	s_delay_alu instid0(VALU_DEP_1) | instskip(NEXT) | instid1(VALU_DEP_1)
	v_mul_f32_e64 v4, 0x2f800000, |v1|
	v_floor_f32_e32 v4, v4
	s_delay_alu instid0(VALU_DEP_1) | instskip(SKIP_1) | instid1(VALU_DEP_2)
	v_fma_f32 v4, 0xcf800000, v4, |v1|
	v_ashrrev_i32_e32 v1, 31, v1
	v_cvt_u32_f32_e32 v4, v4
	s_delay_alu instid0(VALU_DEP_1) | instskip(NEXT) | instid1(VALU_DEP_1)
	v_xor_b32_e32 v4, v4, v1
	v_sub_nc_u32_e32 v1, v4, v1
	global_store_b8 v[2:3], v1, off
.LBB118_2993:
	s_mov_b32 s7, -1
.LBB118_2994:
	s_delay_alu instid0(SALU_CYCLE_1)
	s_and_not1_b32 vcc_lo, exec_lo, s7
	s_cbranch_vccnz .LBB118_3190
; %bb.2995:
	s_wait_xcnt 0x0
	v_dual_add_nc_u32 v0, s1, v0 :: v_dual_mul_f32 v4, s6, v11
	s_cmp_lt_i32 s18, 11
	s_delay_alu instid0(VALU_DEP_1) | instskip(NEXT) | instid1(VALU_DEP_2)
	v_ashrrev_i32_e32 v1, 31, v0
	v_mul_f32_e32 v4, v4, v12
	s_delay_alu instid0(VALU_DEP_2)
	v_add_nc_u64_e32 v[2:3], s[2:3], v[0:1]
	s_cbranch_scc1 .LBB118_3073
; %bb.2996:
	s_and_b32 s4, 0xffff, s18
	s_mov_b32 s8, -1
	s_mov_b32 s5, 0
	s_cmp_gt_i32 s4, 25
	s_mov_b32 s7, 0
	s_mov_b32 s0, 0
	s_cbranch_scc0 .LBB118_3029
; %bb.2997:
	s_cmp_gt_i32 s4, 28
	s_cbranch_scc0 .LBB118_3012
; %bb.2998:
	s_cmp_gt_i32 s4, 43
	;; [unrolled: 3-line block ×3, first 2 shown]
	s_cbranch_scc0 .LBB118_3002
; %bb.3000:
	s_mov_b32 s0, -1
	s_mov_b32 s8, 0
	s_cmp_eq_u32 s4, 46
	s_cbranch_scc0 .LBB118_3002
; %bb.3001:
	v_bfe_u32 v1, v4, 16, 1
	v_cmp_o_f32_e32 vcc_lo, v4, v4
	s_mov_b32 s0, 0
	s_mov_b32 s7, -1
	s_delay_alu instid0(VALU_DEP_2) | instskip(NEXT) | instid1(VALU_DEP_1)
	v_add3_u32 v1, v4, v1, 0x7fff
	v_lshrrev_b32_e32 v1, 16, v1
	s_delay_alu instid0(VALU_DEP_1)
	v_cndmask_b32_e32 v1, 0x7fc0, v1, vcc_lo
	global_store_b32 v[2:3], v1, off
.LBB118_3002:
	s_and_b32 vcc_lo, exec_lo, s8
	s_cbranch_vccz .LBB118_3007
; %bb.3003:
	s_cmp_eq_u32 s4, 44
	s_mov_b32 s0, -1
	s_cbranch_scc0 .LBB118_3007
; %bb.3004:
	v_bfe_u32 v5, v4, 23, 8
	s_wait_xcnt 0x0
	v_mov_b32_e32 v1, 0xff
	s_mov_b32 s7, exec_lo
	s_delay_alu instid0(VALU_DEP_2)
	v_cmpx_ne_u32_e32 0xff, v5
	s_cbranch_execz .LBB118_3006
; %bb.3005:
	v_and_b32_e32 v1, 0x400000, v4
	v_and_or_b32 v5, 0x3fffff, v4, v5
	s_delay_alu instid0(VALU_DEP_2) | instskip(NEXT) | instid1(VALU_DEP_2)
	v_cmp_ne_u32_e32 vcc_lo, 0, v1
	v_cmp_ne_u32_e64 s0, 0, v5
	v_lshrrev_b32_e32 v1, 23, v4
	s_and_b32 s0, vcc_lo, s0
	s_delay_alu instid0(SALU_CYCLE_1) | instskip(NEXT) | instid1(VALU_DEP_1)
	v_cndmask_b32_e64 v5, 0, 1, s0
	v_add_nc_u32_e32 v1, v1, v5
.LBB118_3006:
	s_or_b32 exec_lo, exec_lo, s7
	s_mov_b32 s0, 0
	s_mov_b32 s7, -1
	global_store_b8 v[2:3], v1, off
.LBB118_3007:
	s_mov_b32 s8, 0
.LBB118_3008:
	s_delay_alu instid0(SALU_CYCLE_1)
	s_and_b32 vcc_lo, exec_lo, s8
	s_cbranch_vccz .LBB118_3011
; %bb.3009:
	s_cmp_eq_u32 s4, 29
	s_mov_b32 s0, -1
	s_cbranch_scc0 .LBB118_3011
; %bb.3010:
	s_wait_xcnt 0x0
	v_trunc_f32_e32 v1, v4
	s_mov_b32 s0, 0
	s_mov_b32 s7, -1
	s_delay_alu instid0(VALU_DEP_1) | instskip(NEXT) | instid1(VALU_DEP_1)
	v_mul_f32_e32 v5, 0x2f800000, v1
	v_floor_f32_e32 v5, v5
	s_delay_alu instid0(VALU_DEP_1) | instskip(SKIP_1) | instid1(VALU_DEP_2)
	v_fmamk_f32 v1, v5, 0xcf800000, v1
	v_cvt_u32_f32_e32 v7, v5
	v_cvt_u32_f32_e32 v6, v1
	global_store_b64 v[2:3], v[6:7], off
.LBB118_3011:
	s_mov_b32 s8, 0
.LBB118_3012:
	s_delay_alu instid0(SALU_CYCLE_1)
	s_and_b32 vcc_lo, exec_lo, s8
	s_cbranch_vccz .LBB118_3028
; %bb.3013:
	s_cmp_lt_i32 s4, 27
	s_mov_b32 s7, -1
	s_cbranch_scc1 .LBB118_3019
; %bb.3014:
	s_wait_xcnt 0x0
	v_cvt_u32_f32_e32 v1, v4
	s_cmp_gt_i32 s4, 27
	s_cbranch_scc0 .LBB118_3016
; %bb.3015:
	s_mov_b32 s7, 0
	global_store_b32 v[2:3], v1, off
.LBB118_3016:
	s_and_not1_b32 vcc_lo, exec_lo, s7
	s_cbranch_vccnz .LBB118_3018
; %bb.3017:
	global_store_b16 v[2:3], v1, off
.LBB118_3018:
	s_mov_b32 s7, 0
.LBB118_3019:
	s_delay_alu instid0(SALU_CYCLE_1)
	s_and_not1_b32 vcc_lo, exec_lo, s7
	s_cbranch_vccnz .LBB118_3027
; %bb.3020:
	s_wait_xcnt 0x0
	v_and_b32_e32 v1, 0x7fffffff, v4
	v_mov_b32_e32 v5, 0x80
	s_mov_b32 s7, exec_lo
	s_delay_alu instid0(VALU_DEP_2)
	v_cmpx_gt_u32_e32 0x43800000, v1
	s_cbranch_execz .LBB118_3026
; %bb.3021:
	v_cmp_lt_u32_e32 vcc_lo, 0x3bffffff, v1
	s_mov_b32 s8, 0
                                        ; implicit-def: $vgpr1
	s_and_saveexec_b32 s9, vcc_lo
	s_delay_alu instid0(SALU_CYCLE_1)
	s_xor_b32 s9, exec_lo, s9
	s_cbranch_execz .LBB118_3247
; %bb.3022:
	v_bfe_u32 v1, v4, 20, 1
	s_mov_b32 s8, exec_lo
	s_delay_alu instid0(VALU_DEP_1) | instskip(NEXT) | instid1(VALU_DEP_1)
	v_add3_u32 v1, v4, v1, 0x487ffff
	v_lshrrev_b32_e32 v1, 20, v1
	s_and_not1_saveexec_b32 s9, s9
	s_cbranch_execnz .LBB118_3248
.LBB118_3023:
	s_or_b32 exec_lo, exec_lo, s9
	v_mov_b32_e32 v5, 0
	s_and_saveexec_b32 s9, s8
.LBB118_3024:
	v_lshrrev_b32_e32 v5, 24, v4
	s_delay_alu instid0(VALU_DEP_1)
	v_and_or_b32 v5, 0x80, v5, v1
.LBB118_3025:
	s_or_b32 exec_lo, exec_lo, s9
.LBB118_3026:
	s_delay_alu instid0(SALU_CYCLE_1)
	s_or_b32 exec_lo, exec_lo, s7
	global_store_b8 v[2:3], v5, off
.LBB118_3027:
	s_mov_b32 s7, -1
.LBB118_3028:
	s_mov_b32 s8, 0
.LBB118_3029:
	s_delay_alu instid0(SALU_CYCLE_1)
	s_and_b32 vcc_lo, exec_lo, s8
	s_cbranch_vccz .LBB118_3069
; %bb.3030:
	s_cmp_gt_i32 s4, 22
	s_mov_b32 s5, -1
	s_cbranch_scc0 .LBB118_3062
; %bb.3031:
	s_cmp_lt_i32 s4, 24
	s_cbranch_scc1 .LBB118_3051
; %bb.3032:
	s_cmp_gt_i32 s4, 24
	s_cbranch_scc0 .LBB118_3040
; %bb.3033:
	s_wait_xcnt 0x0
	v_and_b32_e32 v1, 0x7fffffff, v4
	v_mov_b32_e32 v5, 0x80
	s_mov_b32 s5, exec_lo
	s_delay_alu instid0(VALU_DEP_2)
	v_cmpx_gt_u32_e32 0x47800000, v1
	s_cbranch_execz .LBB118_3039
; %bb.3034:
	v_cmp_lt_u32_e32 vcc_lo, 0x37ffffff, v1
	s_mov_b32 s7, 0
                                        ; implicit-def: $vgpr1
	s_and_saveexec_b32 s8, vcc_lo
	s_delay_alu instid0(SALU_CYCLE_1)
	s_xor_b32 s8, exec_lo, s8
	s_cbranch_execz .LBB118_3250
; %bb.3035:
	v_bfe_u32 v1, v4, 21, 1
	s_mov_b32 s7, exec_lo
	s_delay_alu instid0(VALU_DEP_1) | instskip(NEXT) | instid1(VALU_DEP_1)
	v_add3_u32 v1, v4, v1, 0x88fffff
	v_lshrrev_b32_e32 v1, 21, v1
	s_and_not1_saveexec_b32 s8, s8
	s_cbranch_execnz .LBB118_3251
.LBB118_3036:
	s_or_b32 exec_lo, exec_lo, s8
	v_mov_b32_e32 v5, 0
	s_and_saveexec_b32 s8, s7
.LBB118_3037:
	v_lshrrev_b32_e32 v5, 24, v4
	s_delay_alu instid0(VALU_DEP_1)
	v_and_or_b32 v5, 0x80, v5, v1
.LBB118_3038:
	s_or_b32 exec_lo, exec_lo, s8
.LBB118_3039:
	s_delay_alu instid0(SALU_CYCLE_1)
	s_or_b32 exec_lo, exec_lo, s5
	s_mov_b32 s5, 0
	global_store_b8 v[2:3], v5, off
.LBB118_3040:
	s_and_b32 vcc_lo, exec_lo, s5
	s_cbranch_vccz .LBB118_3050
; %bb.3041:
	s_wait_xcnt 0x0
	v_and_b32_e32 v5, 0x7fffffff, v4
	s_mov_b32 s5, exec_lo
                                        ; implicit-def: $vgpr1
	s_delay_alu instid0(VALU_DEP_1)
	v_cmpx_gt_u32_e32 0x43f00000, v5
	s_xor_b32 s5, exec_lo, s5
	s_cbranch_execz .LBB118_3047
; %bb.3042:
	s_mov_b32 s7, exec_lo
                                        ; implicit-def: $vgpr1
	v_cmpx_lt_u32_e32 0x3c7fffff, v5
	s_xor_b32 s7, exec_lo, s7
; %bb.3043:
	v_bfe_u32 v1, v4, 20, 1
	s_delay_alu instid0(VALU_DEP_1) | instskip(NEXT) | instid1(VALU_DEP_1)
	v_add3_u32 v1, v4, v1, 0x407ffff
	v_and_b32_e32 v5, 0xff00000, v1
	v_lshrrev_b32_e32 v1, 20, v1
	s_delay_alu instid0(VALU_DEP_2) | instskip(NEXT) | instid1(VALU_DEP_2)
	v_cmp_ne_u32_e32 vcc_lo, 0x7f00000, v5
	v_cndmask_b32_e32 v1, 0x7e, v1, vcc_lo
; %bb.3044:
	s_and_not1_saveexec_b32 s7, s7
; %bb.3045:
	v_add_f32_e64 v1, 0x46800000, |v4|
; %bb.3046:
	s_or_b32 exec_lo, exec_lo, s7
                                        ; implicit-def: $vgpr5
.LBB118_3047:
	s_and_not1_saveexec_b32 s5, s5
; %bb.3048:
	v_mov_b32_e32 v1, 0x7f
	v_cmp_lt_u32_e32 vcc_lo, 0x7f800000, v5
	s_delay_alu instid0(VALU_DEP_2)
	v_cndmask_b32_e32 v1, 0x7e, v1, vcc_lo
; %bb.3049:
	s_or_b32 exec_lo, exec_lo, s5
	v_lshrrev_b32_e32 v5, 24, v4
	s_delay_alu instid0(VALU_DEP_1)
	v_and_or_b32 v1, 0x80, v5, v1
	global_store_b8 v[2:3], v1, off
.LBB118_3050:
	s_mov_b32 s5, 0
.LBB118_3051:
	s_delay_alu instid0(SALU_CYCLE_1)
	s_and_not1_b32 vcc_lo, exec_lo, s5
	s_cbranch_vccnz .LBB118_3061
; %bb.3052:
	s_wait_xcnt 0x0
	v_and_b32_e32 v5, 0x7fffffff, v4
	s_mov_b32 s5, exec_lo
                                        ; implicit-def: $vgpr1
	s_delay_alu instid0(VALU_DEP_1)
	v_cmpx_gt_u32_e32 0x47800000, v5
	s_xor_b32 s5, exec_lo, s5
	s_cbranch_execz .LBB118_3058
; %bb.3053:
	s_mov_b32 s7, exec_lo
                                        ; implicit-def: $vgpr1
	v_cmpx_lt_u32_e32 0x387fffff, v5
	s_xor_b32 s7, exec_lo, s7
; %bb.3054:
	v_bfe_u32 v1, v4, 21, 1
	s_delay_alu instid0(VALU_DEP_1) | instskip(NEXT) | instid1(VALU_DEP_1)
	v_add3_u32 v1, v4, v1, 0x80fffff
	v_lshrrev_b32_e32 v1, 21, v1
; %bb.3055:
	s_and_not1_saveexec_b32 s7, s7
; %bb.3056:
	v_add_f32_e64 v1, 0x43000000, |v4|
; %bb.3057:
	s_or_b32 exec_lo, exec_lo, s7
                                        ; implicit-def: $vgpr5
.LBB118_3058:
	s_and_not1_saveexec_b32 s5, s5
; %bb.3059:
	v_mov_b32_e32 v1, 0x7f
	v_cmp_lt_u32_e32 vcc_lo, 0x7f800000, v5
	s_delay_alu instid0(VALU_DEP_2)
	v_cndmask_b32_e32 v1, 0x7c, v1, vcc_lo
; %bb.3060:
	s_or_b32 exec_lo, exec_lo, s5
	v_lshrrev_b32_e32 v5, 24, v4
	s_delay_alu instid0(VALU_DEP_1)
	v_and_or_b32 v1, 0x80, v5, v1
	global_store_b8 v[2:3], v1, off
.LBB118_3061:
	s_mov_b32 s5, 0
	s_mov_b32 s7, -1
.LBB118_3062:
	s_and_not1_b32 vcc_lo, exec_lo, s5
	s_mov_b32 s5, 0
	s_cbranch_vccnz .LBB118_3069
; %bb.3063:
	s_cmp_gt_i32 s4, 14
	s_mov_b32 s5, -1
	s_cbranch_scc0 .LBB118_3067
; %bb.3064:
	s_cmp_eq_u32 s4, 15
	s_mov_b32 s0, -1
	s_cbranch_scc0 .LBB118_3066
; %bb.3065:
	s_wait_xcnt 0x0
	v_bfe_u32 v1, v4, 16, 1
	v_cmp_o_f32_e32 vcc_lo, v4, v4
	s_mov_b32 s0, 0
	s_mov_b32 s7, -1
	s_delay_alu instid0(VALU_DEP_2) | instskip(NEXT) | instid1(VALU_DEP_1)
	v_add3_u32 v1, v4, v1, 0x7fff
	v_lshrrev_b32_e32 v1, 16, v1
	s_delay_alu instid0(VALU_DEP_1)
	v_cndmask_b32_e32 v1, 0x7fc0, v1, vcc_lo
	global_store_b16 v[2:3], v1, off
.LBB118_3066:
	s_mov_b32 s5, 0
.LBB118_3067:
	s_delay_alu instid0(SALU_CYCLE_1)
	s_and_b32 vcc_lo, exec_lo, s5
	s_mov_b32 s5, 0
	s_cbranch_vccz .LBB118_3069
; %bb.3068:
	s_cmp_lg_u32 s4, 11
	s_mov_b32 s5, -1
	s_cselect_b32 s0, -1, 0
.LBB118_3069:
	s_delay_alu instid0(SALU_CYCLE_1)
	s_and_b32 vcc_lo, exec_lo, s0
	s_cbranch_vccnz .LBB118_3249
; %bb.3070:
	s_and_not1_b32 vcc_lo, exec_lo, s5
	s_cbranch_vccnz .LBB118_3072
.LBB118_3071:
	v_cmp_neq_f32_e32 vcc_lo, 0, v4
	s_mov_b32 s7, -1
	s_wait_xcnt 0x0
	v_cndmask_b32_e64 v1, 0, 1, vcc_lo
	global_store_b8 v[2:3], v1, off
.LBB118_3072:
	s_mov_b32 s0, 0
	s_branch .LBB118_3074
.LBB118_3073:
	s_mov_b32 s0, -1
	s_mov_b32 s7, 0
.LBB118_3074:
	s_and_b32 vcc_lo, exec_lo, s0
	s_cbranch_vccz .LBB118_3113
; %bb.3075:
	s_and_b32 s0, 0xffff, s18
	s_mov_b32 s4, -1
	s_cmp_lt_i32 s0, 5
	s_cbranch_scc1 .LBB118_3096
; %bb.3076:
	s_cmp_lt_i32 s0, 8
	s_cbranch_scc1 .LBB118_3086
; %bb.3077:
	;; [unrolled: 3-line block ×3, first 2 shown]
	s_cmp_gt_i32 s0, 9
	s_cbranch_scc0 .LBB118_3080
; %bb.3079:
	s_wait_xcnt 0x0
	v_cvt_f64_f32_e32 v[6:7], v4
	v_mov_b32_e32 v8, 0
	s_mov_b32 s4, 0
	s_delay_alu instid0(VALU_DEP_1)
	v_mov_b32_e32 v9, v8
	global_store_b128 v[2:3], v[6:9], off
.LBB118_3080:
	s_and_not1_b32 vcc_lo, exec_lo, s4
	s_cbranch_vccnz .LBB118_3082
; %bb.3081:
	s_wait_xcnt 0x0
	v_mov_b32_e32 v5, 0
	global_store_b64 v[2:3], v[4:5], off
.LBB118_3082:
	s_mov_b32 s4, 0
.LBB118_3083:
	s_delay_alu instid0(SALU_CYCLE_1)
	s_and_not1_b32 vcc_lo, exec_lo, s4
	s_cbranch_vccnz .LBB118_3085
; %bb.3084:
	s_wait_xcnt 0x0
	v_cvt_f16_f32_e32 v1, v4
	s_delay_alu instid0(VALU_DEP_1)
	v_and_b32_e32 v1, 0xffff, v1
	global_store_b32 v[2:3], v1, off
.LBB118_3085:
	s_mov_b32 s4, 0
.LBB118_3086:
	s_delay_alu instid0(SALU_CYCLE_1)
	s_and_not1_b32 vcc_lo, exec_lo, s4
	s_cbranch_vccnz .LBB118_3095
; %bb.3087:
	s_cmp_lt_i32 s0, 6
	s_mov_b32 s4, -1
	s_cbranch_scc1 .LBB118_3093
; %bb.3088:
	s_cmp_gt_i32 s0, 6
	s_cbranch_scc0 .LBB118_3090
; %bb.3089:
	s_wait_xcnt 0x0
	v_cvt_f64_f32_e32 v[6:7], v4
	s_mov_b32 s4, 0
	global_store_b64 v[2:3], v[6:7], off
.LBB118_3090:
	s_and_not1_b32 vcc_lo, exec_lo, s4
	s_cbranch_vccnz .LBB118_3092
; %bb.3091:
	global_store_b32 v[2:3], v4, off
.LBB118_3092:
	s_mov_b32 s4, 0
.LBB118_3093:
	s_delay_alu instid0(SALU_CYCLE_1)
	s_and_not1_b32 vcc_lo, exec_lo, s4
	s_cbranch_vccnz .LBB118_3095
; %bb.3094:
	s_wait_xcnt 0x0
	v_cvt_f16_f32_e32 v1, v4
	global_store_b16 v[2:3], v1, off
.LBB118_3095:
	s_mov_b32 s4, 0
.LBB118_3096:
	s_delay_alu instid0(SALU_CYCLE_1)
	s_and_not1_b32 vcc_lo, exec_lo, s4
	s_cbranch_vccnz .LBB118_3112
; %bb.3097:
	s_cmp_lt_i32 s0, 2
	s_mov_b32 s4, -1
	s_cbranch_scc1 .LBB118_3107
; %bb.3098:
	s_cmp_lt_i32 s0, 3
	s_cbranch_scc1 .LBB118_3104
; %bb.3099:
	s_cmp_gt_i32 s0, 3
	s_cbranch_scc0 .LBB118_3101
; %bb.3100:
	s_wait_xcnt 0x0
	v_trunc_f32_e32 v1, v4
	s_mov_b32 s4, 0
	s_delay_alu instid0(VALU_DEP_1) | instskip(SKIP_1) | instid1(VALU_DEP_2)
	v_mul_f32_e64 v5, 0x2f800000, |v1|
	v_ashrrev_i32_e32 v6, 31, v1
	v_floor_f32_e32 v5, v5
	s_delay_alu instid0(VALU_DEP_1) | instskip(SKIP_1) | instid1(VALU_DEP_2)
	v_fma_f32 v7, 0xcf800000, v5, |v1|
	v_cvt_u32_f32_e32 v1, v5
	v_cvt_u32_f32_e32 v5, v7
	s_delay_alu instid0(VALU_DEP_2) | instskip(NEXT) | instid1(VALU_DEP_2)
	v_dual_mov_b32 v7, v6 :: v_dual_bitop2_b32 v9, v1, v6 bitop3:0x14
	v_xor_b32_e32 v8, v5, v6
	s_delay_alu instid0(VALU_DEP_1)
	v_sub_nc_u64_e32 v[6:7], v[8:9], v[6:7]
	global_store_b64 v[2:3], v[6:7], off
.LBB118_3101:
	s_and_not1_b32 vcc_lo, exec_lo, s4
	s_cbranch_vccnz .LBB118_3103
; %bb.3102:
	s_wait_xcnt 0x0
	v_cvt_i32_f32_e32 v1, v4
	global_store_b32 v[2:3], v1, off
.LBB118_3103:
	s_mov_b32 s4, 0
.LBB118_3104:
	s_delay_alu instid0(SALU_CYCLE_1)
	s_and_not1_b32 vcc_lo, exec_lo, s4
	s_cbranch_vccnz .LBB118_3106
; %bb.3105:
	s_wait_xcnt 0x0
	v_cvt_i32_f32_e32 v1, v4
	global_store_b16 v[2:3], v1, off
.LBB118_3106:
	s_mov_b32 s4, 0
.LBB118_3107:
	s_delay_alu instid0(SALU_CYCLE_1)
	s_and_not1_b32 vcc_lo, exec_lo, s4
	s_cbranch_vccnz .LBB118_3112
; %bb.3108:
	s_cmp_gt_i32 s0, 0
	s_mov_b32 s0, -1
	s_cbranch_scc0 .LBB118_3110
; %bb.3109:
	s_wait_xcnt 0x0
	v_cvt_i32_f32_e32 v1, v4
	s_mov_b32 s0, 0
	global_store_b8 v[2:3], v1, off
.LBB118_3110:
	s_and_not1_b32 vcc_lo, exec_lo, s0
	s_cbranch_vccnz .LBB118_3112
; %bb.3111:
	s_wait_xcnt 0x0
	v_trunc_f32_e32 v1, v4
	s_delay_alu instid0(VALU_DEP_1) | instskip(NEXT) | instid1(VALU_DEP_1)
	v_mul_f32_e64 v4, 0x2f800000, |v1|
	v_floor_f32_e32 v4, v4
	s_delay_alu instid0(VALU_DEP_1) | instskip(SKIP_1) | instid1(VALU_DEP_2)
	v_fma_f32 v4, 0xcf800000, v4, |v1|
	v_ashrrev_i32_e32 v1, 31, v1
	v_cvt_u32_f32_e32 v4, v4
	s_delay_alu instid0(VALU_DEP_1) | instskip(NEXT) | instid1(VALU_DEP_1)
	v_xor_b32_e32 v4, v4, v1
	v_sub_nc_u32_e32 v1, v4, v1
	global_store_b8 v[2:3], v1, off
.LBB118_3112:
	s_mov_b32 s7, -1
.LBB118_3113:
	s_delay_alu instid0(SALU_CYCLE_1)
	s_and_not1_b32 vcc_lo, exec_lo, s7
	s_cbranch_vccnz .LBB118_3190
; %bb.3114:
	s_wait_xcnt 0x0
	v_dual_add_nc_u32 v0, s1, v0 :: v_dual_mul_f32 v2, s6, v13
	s_cmp_lt_i32 s18, 11
	s_delay_alu instid0(VALU_DEP_1) | instskip(NEXT) | instid1(VALU_DEP_1)
	v_dual_mul_f32 v2, v2, v14 :: v_dual_ashrrev_i32 v1, 31, v0
	v_add_nc_u64_e32 v[0:1], s[2:3], v[0:1]
	s_cbranch_scc1 .LBB118_3235
; %bb.3115:
	s_and_b32 s2, 0xffff, s18
	s_mov_b32 s3, -1
	s_mov_b32 s1, 0
	s_cmp_gt_i32 s2, 25
	s_mov_b32 s0, 0
	s_cbranch_scc0 .LBB118_3148
; %bb.3116:
	s_cmp_gt_i32 s2, 28
	s_cbranch_scc0 .LBB118_3132
; %bb.3117:
	s_cmp_gt_i32 s2, 43
	s_cbranch_scc0 .LBB118_3128
; %bb.3118:
	s_cmp_gt_i32 s2, 45
	s_cbranch_scc0 .LBB118_3122
; %bb.3119:
	s_cmp_eq_u32 s2, 46
	s_mov_b32 s0, -1
	s_cbranch_scc0 .LBB118_3121
; %bb.3120:
	v_bfe_u32 v3, v2, 16, 1
	v_cmp_o_f32_e32 vcc_lo, v2, v2
	s_mov_b32 s0, 0
	s_delay_alu instid0(VALU_DEP_2) | instskip(NEXT) | instid1(VALU_DEP_1)
	v_add3_u32 v3, v2, v3, 0x7fff
	v_lshrrev_b32_e32 v3, 16, v3
	s_delay_alu instid0(VALU_DEP_1)
	v_cndmask_b32_e32 v3, 0x7fc0, v3, vcc_lo
	global_store_b32 v[0:1], v3, off
.LBB118_3121:
	s_mov_b32 s3, 0
.LBB118_3122:
	s_delay_alu instid0(SALU_CYCLE_1)
	s_and_b32 vcc_lo, exec_lo, s3
	s_cbranch_vccz .LBB118_3127
; %bb.3123:
	s_cmp_eq_u32 s2, 44
	s_mov_b32 s0, -1
	s_cbranch_scc0 .LBB118_3127
; %bb.3124:
	v_bfe_u32 v4, v2, 23, 8
	s_wait_xcnt 0x0
	v_mov_b32_e32 v3, 0xff
	s_mov_b32 s3, exec_lo
	s_delay_alu instid0(VALU_DEP_2)
	v_cmpx_ne_u32_e32 0xff, v4
	s_cbranch_execz .LBB118_3126
; %bb.3125:
	v_and_b32_e32 v3, 0x400000, v2
	v_and_or_b32 v4, 0x3fffff, v2, v4
	s_delay_alu instid0(VALU_DEP_2) | instskip(NEXT) | instid1(VALU_DEP_2)
	v_cmp_ne_u32_e32 vcc_lo, 0, v3
	v_cmp_ne_u32_e64 s0, 0, v4
	v_lshrrev_b32_e32 v3, 23, v2
	s_and_b32 s0, vcc_lo, s0
	s_delay_alu instid0(SALU_CYCLE_1) | instskip(NEXT) | instid1(VALU_DEP_1)
	v_cndmask_b32_e64 v4, 0, 1, s0
	v_add_nc_u32_e32 v3, v3, v4
.LBB118_3126:
	s_or_b32 exec_lo, exec_lo, s3
	s_mov_b32 s0, 0
	global_store_b8 v[0:1], v3, off
.LBB118_3127:
	s_mov_b32 s3, 0
.LBB118_3128:
	s_delay_alu instid0(SALU_CYCLE_1)
	s_and_b32 vcc_lo, exec_lo, s3
	s_cbranch_vccz .LBB118_3131
; %bb.3129:
	s_cmp_eq_u32 s2, 29
	s_mov_b32 s0, -1
	s_cbranch_scc0 .LBB118_3131
; %bb.3130:
	s_wait_xcnt 0x0
	v_trunc_f32_e32 v3, v2
	s_mov_b32 s0, 0
	s_delay_alu instid0(VALU_DEP_1) | instskip(NEXT) | instid1(VALU_DEP_1)
	v_mul_f32_e32 v4, 0x2f800000, v3
	v_floor_f32_e32 v4, v4
	s_delay_alu instid0(VALU_DEP_1) | instskip(SKIP_1) | instid1(VALU_DEP_2)
	v_fmamk_f32 v3, v4, 0xcf800000, v3
	v_cvt_u32_f32_e32 v5, v4
	v_cvt_u32_f32_e32 v4, v3
	global_store_b64 v[0:1], v[4:5], off
.LBB118_3131:
	s_mov_b32 s3, 0
.LBB118_3132:
	s_delay_alu instid0(SALU_CYCLE_1)
	s_and_b32 vcc_lo, exec_lo, s3
	s_cbranch_vccz .LBB118_3147
; %bb.3133:
	s_cmp_lt_i32 s2, 27
	s_mov_b32 s3, -1
	s_cbranch_scc1 .LBB118_3139
; %bb.3134:
	s_wait_xcnt 0x0
	v_cvt_u32_f32_e32 v3, v2
	s_cmp_gt_i32 s2, 27
	s_cbranch_scc0 .LBB118_3136
; %bb.3135:
	s_mov_b32 s3, 0
	global_store_b32 v[0:1], v3, off
.LBB118_3136:
	s_and_not1_b32 vcc_lo, exec_lo, s3
	s_cbranch_vccnz .LBB118_3138
; %bb.3137:
	global_store_b16 v[0:1], v3, off
.LBB118_3138:
	s_mov_b32 s3, 0
.LBB118_3139:
	s_delay_alu instid0(SALU_CYCLE_1)
	s_and_not1_b32 vcc_lo, exec_lo, s3
	s_cbranch_vccnz .LBB118_3147
; %bb.3140:
	s_wait_xcnt 0x0
	v_and_b32_e32 v3, 0x7fffffff, v2
	v_mov_b32_e32 v4, 0x80
	s_mov_b32 s3, exec_lo
	s_delay_alu instid0(VALU_DEP_2)
	v_cmpx_gt_u32_e32 0x43800000, v3
	s_cbranch_execz .LBB118_3146
; %bb.3141:
	v_cmp_lt_u32_e32 vcc_lo, 0x3bffffff, v3
	s_mov_b32 s4, 0
                                        ; implicit-def: $vgpr3
	s_and_saveexec_b32 s5, vcc_lo
	s_delay_alu instid0(SALU_CYCLE_1)
	s_xor_b32 s5, exec_lo, s5
	s_cbranch_execz .LBB118_3252
; %bb.3142:
	v_bfe_u32 v3, v2, 20, 1
	s_mov_b32 s4, exec_lo
	s_delay_alu instid0(VALU_DEP_1) | instskip(NEXT) | instid1(VALU_DEP_1)
	v_add3_u32 v3, v2, v3, 0x487ffff
	v_lshrrev_b32_e32 v3, 20, v3
	s_and_not1_saveexec_b32 s5, s5
	s_cbranch_execnz .LBB118_3253
.LBB118_3143:
	s_or_b32 exec_lo, exec_lo, s5
	v_mov_b32_e32 v4, 0
	s_and_saveexec_b32 s5, s4
.LBB118_3144:
	v_lshrrev_b32_e32 v4, 24, v2
	s_delay_alu instid0(VALU_DEP_1)
	v_and_or_b32 v4, 0x80, v4, v3
.LBB118_3145:
	s_or_b32 exec_lo, exec_lo, s5
.LBB118_3146:
	s_delay_alu instid0(SALU_CYCLE_1)
	s_or_b32 exec_lo, exec_lo, s3
	global_store_b8 v[0:1], v4, off
.LBB118_3147:
	s_mov_b32 s3, 0
.LBB118_3148:
	s_delay_alu instid0(SALU_CYCLE_1)
	s_and_b32 vcc_lo, exec_lo, s3
	s_cbranch_vccz .LBB118_3188
; %bb.3149:
	s_cmp_gt_i32 s2, 22
	s_mov_b32 s1, -1
	s_cbranch_scc0 .LBB118_3181
; %bb.3150:
	s_cmp_lt_i32 s2, 24
	s_cbranch_scc1 .LBB118_3170
; %bb.3151:
	s_cmp_gt_i32 s2, 24
	s_cbranch_scc0 .LBB118_3159
; %bb.3152:
	s_wait_xcnt 0x0
	v_and_b32_e32 v3, 0x7fffffff, v2
	v_mov_b32_e32 v4, 0x80
	s_mov_b32 s1, exec_lo
	s_delay_alu instid0(VALU_DEP_2)
	v_cmpx_gt_u32_e32 0x47800000, v3
	s_cbranch_execz .LBB118_3158
; %bb.3153:
	v_cmp_lt_u32_e32 vcc_lo, 0x37ffffff, v3
	s_mov_b32 s3, 0
                                        ; implicit-def: $vgpr3
	s_and_saveexec_b32 s4, vcc_lo
	s_delay_alu instid0(SALU_CYCLE_1)
	s_xor_b32 s4, exec_lo, s4
	s_cbranch_execz .LBB118_3255
; %bb.3154:
	v_bfe_u32 v3, v2, 21, 1
	s_mov_b32 s3, exec_lo
	s_delay_alu instid0(VALU_DEP_1) | instskip(NEXT) | instid1(VALU_DEP_1)
	v_add3_u32 v3, v2, v3, 0x88fffff
	v_lshrrev_b32_e32 v3, 21, v3
	s_and_not1_saveexec_b32 s4, s4
	s_cbranch_execnz .LBB118_3256
.LBB118_3155:
	s_or_b32 exec_lo, exec_lo, s4
	v_mov_b32_e32 v4, 0
	s_and_saveexec_b32 s4, s3
.LBB118_3156:
	v_lshrrev_b32_e32 v4, 24, v2
	s_delay_alu instid0(VALU_DEP_1)
	v_and_or_b32 v4, 0x80, v4, v3
.LBB118_3157:
	s_or_b32 exec_lo, exec_lo, s4
.LBB118_3158:
	s_delay_alu instid0(SALU_CYCLE_1)
	s_or_b32 exec_lo, exec_lo, s1
	s_mov_b32 s1, 0
	global_store_b8 v[0:1], v4, off
.LBB118_3159:
	s_and_b32 vcc_lo, exec_lo, s1
	s_cbranch_vccz .LBB118_3169
; %bb.3160:
	s_wait_xcnt 0x0
	v_and_b32_e32 v4, 0x7fffffff, v2
	s_mov_b32 s1, exec_lo
                                        ; implicit-def: $vgpr3
	s_delay_alu instid0(VALU_DEP_1)
	v_cmpx_gt_u32_e32 0x43f00000, v4
	s_xor_b32 s1, exec_lo, s1
	s_cbranch_execz .LBB118_3166
; %bb.3161:
	s_mov_b32 s3, exec_lo
                                        ; implicit-def: $vgpr3
	v_cmpx_lt_u32_e32 0x3c7fffff, v4
	s_xor_b32 s3, exec_lo, s3
; %bb.3162:
	v_bfe_u32 v3, v2, 20, 1
	s_delay_alu instid0(VALU_DEP_1) | instskip(NEXT) | instid1(VALU_DEP_1)
	v_add3_u32 v3, v2, v3, 0x407ffff
	v_and_b32_e32 v4, 0xff00000, v3
	v_lshrrev_b32_e32 v3, 20, v3
	s_delay_alu instid0(VALU_DEP_2) | instskip(NEXT) | instid1(VALU_DEP_2)
	v_cmp_ne_u32_e32 vcc_lo, 0x7f00000, v4
	v_cndmask_b32_e32 v3, 0x7e, v3, vcc_lo
; %bb.3163:
	s_and_not1_saveexec_b32 s3, s3
; %bb.3164:
	v_add_f32_e64 v3, 0x46800000, |v2|
; %bb.3165:
	s_or_b32 exec_lo, exec_lo, s3
                                        ; implicit-def: $vgpr4
.LBB118_3166:
	s_and_not1_saveexec_b32 s1, s1
; %bb.3167:
	v_mov_b32_e32 v3, 0x7f
	v_cmp_lt_u32_e32 vcc_lo, 0x7f800000, v4
	s_delay_alu instid0(VALU_DEP_2)
	v_cndmask_b32_e32 v3, 0x7e, v3, vcc_lo
; %bb.3168:
	s_or_b32 exec_lo, exec_lo, s1
	v_lshrrev_b32_e32 v4, 24, v2
	s_delay_alu instid0(VALU_DEP_1)
	v_and_or_b32 v3, 0x80, v4, v3
	global_store_b8 v[0:1], v3, off
.LBB118_3169:
	s_mov_b32 s1, 0
.LBB118_3170:
	s_delay_alu instid0(SALU_CYCLE_1)
	s_and_not1_b32 vcc_lo, exec_lo, s1
	s_cbranch_vccnz .LBB118_3180
; %bb.3171:
	s_wait_xcnt 0x0
	v_and_b32_e32 v4, 0x7fffffff, v2
	s_mov_b32 s1, exec_lo
                                        ; implicit-def: $vgpr3
	s_delay_alu instid0(VALU_DEP_1)
	v_cmpx_gt_u32_e32 0x47800000, v4
	s_xor_b32 s1, exec_lo, s1
	s_cbranch_execz .LBB118_3177
; %bb.3172:
	s_mov_b32 s3, exec_lo
                                        ; implicit-def: $vgpr3
	v_cmpx_lt_u32_e32 0x387fffff, v4
	s_xor_b32 s3, exec_lo, s3
; %bb.3173:
	v_bfe_u32 v3, v2, 21, 1
	s_delay_alu instid0(VALU_DEP_1) | instskip(NEXT) | instid1(VALU_DEP_1)
	v_add3_u32 v3, v2, v3, 0x80fffff
	v_lshrrev_b32_e32 v3, 21, v3
; %bb.3174:
	s_and_not1_saveexec_b32 s3, s3
; %bb.3175:
	v_add_f32_e64 v3, 0x43000000, |v2|
; %bb.3176:
	s_or_b32 exec_lo, exec_lo, s3
                                        ; implicit-def: $vgpr4
.LBB118_3177:
	s_and_not1_saveexec_b32 s1, s1
; %bb.3178:
	v_mov_b32_e32 v3, 0x7f
	v_cmp_lt_u32_e32 vcc_lo, 0x7f800000, v4
	s_delay_alu instid0(VALU_DEP_2)
	v_cndmask_b32_e32 v3, 0x7c, v3, vcc_lo
; %bb.3179:
	s_or_b32 exec_lo, exec_lo, s1
	v_lshrrev_b32_e32 v4, 24, v2
	s_delay_alu instid0(VALU_DEP_1)
	v_and_or_b32 v3, 0x80, v4, v3
	global_store_b8 v[0:1], v3, off
.LBB118_3180:
	s_mov_b32 s1, 0
.LBB118_3181:
	s_delay_alu instid0(SALU_CYCLE_1)
	s_and_not1_b32 vcc_lo, exec_lo, s1
	s_mov_b32 s1, 0
	s_cbranch_vccnz .LBB118_3188
; %bb.3182:
	s_cmp_gt_i32 s2, 14
	s_mov_b32 s1, -1
	s_cbranch_scc0 .LBB118_3186
; %bb.3183:
	s_cmp_eq_u32 s2, 15
	s_mov_b32 s0, -1
	s_cbranch_scc0 .LBB118_3185
; %bb.3184:
	s_wait_xcnt 0x0
	v_bfe_u32 v3, v2, 16, 1
	v_cmp_o_f32_e32 vcc_lo, v2, v2
	s_mov_b32 s0, 0
	s_delay_alu instid0(VALU_DEP_2) | instskip(NEXT) | instid1(VALU_DEP_1)
	v_add3_u32 v3, v2, v3, 0x7fff
	v_lshrrev_b32_e32 v3, 16, v3
	s_delay_alu instid0(VALU_DEP_1)
	v_cndmask_b32_e32 v3, 0x7fc0, v3, vcc_lo
	global_store_b16 v[0:1], v3, off
.LBB118_3185:
	s_mov_b32 s1, 0
.LBB118_3186:
	s_delay_alu instid0(SALU_CYCLE_1)
	s_and_b32 vcc_lo, exec_lo, s1
	s_mov_b32 s1, 0
	s_cbranch_vccz .LBB118_3188
; %bb.3187:
	s_cmp_lg_u32 s2, 11
	s_mov_b32 s1, -1
	s_cselect_b32 s0, -1, 0
.LBB118_3188:
	s_delay_alu instid0(SALU_CYCLE_1)
	s_and_b32 vcc_lo, exec_lo, s0
	s_cbranch_vccnz .LBB118_3254
.LBB118_3189:
	s_mov_b32 s0, 0
	s_branch .LBB118_3191
.LBB118_3190:
	s_mov_b32 s0, 0
	s_mov_b32 s1, 0
                                        ; implicit-def: $sgpr18
                                        ; implicit-def: $vgpr0_vgpr1
                                        ; implicit-def: $vgpr2
.LBB118_3191:
	s_and_not1_b32 s2, s17, exec_lo
	s_and_b32 s3, s14, exec_lo
	s_and_b32 s0, s0, exec_lo
	s_and_b32 s14, s1, exec_lo
	s_or_b32 s17, s2, s3
.LBB118_3192:
	s_wait_xcnt 0x0
	s_or_b32 exec_lo, exec_lo, s16
	s_and_saveexec_b32 s1, s17
	s_cbranch_execz .LBB118_3195
; %bb.3193:
	; divergent unreachable
	s_or_b32 exec_lo, exec_lo, s1
	s_and_saveexec_b32 s1, s14
	s_delay_alu instid0(SALU_CYCLE_1)
	s_xor_b32 s1, exec_lo, s1
	s_cbranch_execnz .LBB118_3196
.LBB118_3194:
	s_or_b32 exec_lo, exec_lo, s1
	s_and_saveexec_b32 s1, s0
	s_cbranch_execnz .LBB118_3197
	s_branch .LBB118_3234
.LBB118_3195:
	s_or_b32 exec_lo, exec_lo, s1
	s_and_saveexec_b32 s1, s14
	s_delay_alu instid0(SALU_CYCLE_1)
	s_xor_b32 s1, exec_lo, s1
	s_cbranch_execz .LBB118_3194
.LBB118_3196:
	s_wait_loadcnt 0x0
	v_cmp_neq_f32_e32 vcc_lo, 0, v2
	v_cndmask_b32_e64 v3, 0, 1, vcc_lo
	global_store_b8 v[0:1], v3, off
	s_wait_xcnt 0x0
	s_or_b32 exec_lo, exec_lo, s1
	s_and_saveexec_b32 s1, s0
	s_cbranch_execz .LBB118_3234
.LBB118_3197:
	s_sext_i32_i16 s1, s18
	s_mov_b32 s0, -1
	s_cmp_lt_i32 s1, 5
	s_cbranch_scc1 .LBB118_3218
; %bb.3198:
	s_cmp_lt_i32 s1, 8
	s_cbranch_scc1 .LBB118_3208
; %bb.3199:
	;; [unrolled: 3-line block ×3, first 2 shown]
	s_cmp_gt_i32 s1, 9
	s_cbranch_scc0 .LBB118_3202
; %bb.3201:
	s_wait_loadcnt 0x0
	v_cvt_f64_f32_e32 v[4:5], v2
	v_mov_b32_e32 v6, 0
	s_mov_b32 s0, 0
	s_delay_alu instid0(VALU_DEP_1)
	v_mov_b32_e32 v7, v6
	global_store_b128 v[0:1], v[4:7], off
.LBB118_3202:
	s_and_not1_b32 vcc_lo, exec_lo, s0
	s_cbranch_vccnz .LBB118_3204
; %bb.3203:
	s_wait_loadcnt 0x0
	v_mov_b32_e32 v3, 0
	global_store_b64 v[0:1], v[2:3], off
.LBB118_3204:
	s_mov_b32 s0, 0
.LBB118_3205:
	s_delay_alu instid0(SALU_CYCLE_1)
	s_and_not1_b32 vcc_lo, exec_lo, s0
	s_cbranch_vccnz .LBB118_3207
; %bb.3206:
	s_wait_loadcnt 0x0
	v_cvt_f16_f32_e32 v3, v2
	s_delay_alu instid0(VALU_DEP_1)
	v_and_b32_e32 v3, 0xffff, v3
	global_store_b32 v[0:1], v3, off
.LBB118_3207:
	s_mov_b32 s0, 0
.LBB118_3208:
	s_delay_alu instid0(SALU_CYCLE_1)
	s_and_not1_b32 vcc_lo, exec_lo, s0
	s_cbranch_vccnz .LBB118_3217
; %bb.3209:
	s_sext_i32_i16 s1, s18
	s_mov_b32 s0, -1
	s_cmp_lt_i32 s1, 6
	s_cbranch_scc1 .LBB118_3215
; %bb.3210:
	s_cmp_gt_i32 s1, 6
	s_cbranch_scc0 .LBB118_3212
; %bb.3211:
	s_wait_loadcnt 0x0
	v_cvt_f64_f32_e32 v[4:5], v2
	s_mov_b32 s0, 0
	global_store_b64 v[0:1], v[4:5], off
.LBB118_3212:
	s_and_not1_b32 vcc_lo, exec_lo, s0
	s_cbranch_vccnz .LBB118_3214
; %bb.3213:
	s_wait_loadcnt 0x0
	global_store_b32 v[0:1], v2, off
.LBB118_3214:
	s_mov_b32 s0, 0
.LBB118_3215:
	s_delay_alu instid0(SALU_CYCLE_1)
	s_and_not1_b32 vcc_lo, exec_lo, s0
	s_cbranch_vccnz .LBB118_3217
; %bb.3216:
	s_wait_loadcnt 0x0
	v_cvt_f16_f32_e32 v3, v2
	global_store_b16 v[0:1], v3, off
.LBB118_3217:
	s_mov_b32 s0, 0
.LBB118_3218:
	s_delay_alu instid0(SALU_CYCLE_1)
	s_and_not1_b32 vcc_lo, exec_lo, s0
	s_cbranch_vccnz .LBB118_3234
; %bb.3219:
	s_sext_i32_i16 s1, s18
	s_mov_b32 s0, -1
	s_cmp_lt_i32 s1, 2
	s_cbranch_scc1 .LBB118_3229
; %bb.3220:
	s_cmp_lt_i32 s1, 3
	s_cbranch_scc1 .LBB118_3226
; %bb.3221:
	s_cmp_gt_i32 s1, 3
	s_cbranch_scc0 .LBB118_3223
; %bb.3222:
	s_wait_loadcnt 0x0
	v_trunc_f32_e32 v3, v2
	s_mov_b32 s0, 0
	s_delay_alu instid0(VALU_DEP_1) | instskip(NEXT) | instid1(VALU_DEP_1)
	v_mul_f32_e64 v4, 0x2f800000, |v3|
	v_floor_f32_e32 v5, v4
	v_ashrrev_i32_e32 v4, 31, v3
	s_delay_alu instid0(VALU_DEP_2) | instskip(SKIP_1) | instid1(VALU_DEP_3)
	v_fma_f32 v6, 0xcf800000, v5, |v3|
	v_cvt_u32_f32_e32 v3, v5
	v_mov_b32_e32 v5, v4
	s_delay_alu instid0(VALU_DEP_3) | instskip(NEXT) | instid1(VALU_DEP_3)
	v_cvt_u32_f32_e32 v6, v6
	v_xor_b32_e32 v7, v3, v4
	s_delay_alu instid0(VALU_DEP_2) | instskip(NEXT) | instid1(VALU_DEP_1)
	v_xor_b32_e32 v6, v6, v4
	v_sub_nc_u64_e32 v[4:5], v[6:7], v[4:5]
	global_store_b64 v[0:1], v[4:5], off
.LBB118_3223:
	s_and_not1_b32 vcc_lo, exec_lo, s0
	s_cbranch_vccnz .LBB118_3225
; %bb.3224:
	s_wait_loadcnt 0x0
	v_cvt_i32_f32_e32 v3, v2
	global_store_b32 v[0:1], v3, off
.LBB118_3225:
	s_mov_b32 s0, 0
.LBB118_3226:
	s_delay_alu instid0(SALU_CYCLE_1)
	s_and_not1_b32 vcc_lo, exec_lo, s0
	s_cbranch_vccnz .LBB118_3228
; %bb.3227:
	s_wait_loadcnt 0x0
	v_cvt_i32_f32_e32 v3, v2
	global_store_b16 v[0:1], v3, off
.LBB118_3228:
	s_mov_b32 s0, 0
.LBB118_3229:
	s_delay_alu instid0(SALU_CYCLE_1)
	s_and_not1_b32 vcc_lo, exec_lo, s0
	s_cbranch_vccnz .LBB118_3234
; %bb.3230:
	s_sext_i32_i16 s0, s18
	s_delay_alu instid0(SALU_CYCLE_1)
	s_cmp_gt_i32 s0, 0
	s_mov_b32 s0, -1
	s_cbranch_scc0 .LBB118_3232
; %bb.3231:
	s_wait_loadcnt 0x0
	v_cvt_i32_f32_e32 v3, v2
	s_mov_b32 s0, 0
	global_store_b8 v[0:1], v3, off
.LBB118_3232:
	s_and_not1_b32 vcc_lo, exec_lo, s0
	s_cbranch_vccnz .LBB118_3234
; %bb.3233:
	s_wait_loadcnt 0x0
	v_trunc_f32_e32 v2, v2
	s_delay_alu instid0(VALU_DEP_1) | instskip(NEXT) | instid1(VALU_DEP_1)
	v_mul_f32_e64 v3, 0x2f800000, |v2|
	v_floor_f32_e32 v3, v3
	s_delay_alu instid0(VALU_DEP_1) | instskip(SKIP_1) | instid1(VALU_DEP_2)
	v_fma_f32 v3, 0xcf800000, v3, |v2|
	v_ashrrev_i32_e32 v2, 31, v2
	v_cvt_u32_f32_e32 v3, v3
	s_delay_alu instid0(VALU_DEP_1) | instskip(NEXT) | instid1(VALU_DEP_1)
	v_xor_b32_e32 v3, v3, v2
	v_sub_nc_u32_e32 v2, v3, v2
	global_store_b8 v[0:1], v2, off
	s_endpgm
.LBB118_3234:
	s_endpgm
.LBB118_3235:
	s_mov_b32 s1, 0
	s_mov_b32 s0, -1
	s_branch .LBB118_3191
.LBB118_3236:
	s_or_b32 s14, s14, exec_lo
	s_trap 2
	s_cbranch_execz .LBB118_2705
	s_branch .LBB118_2706
.LBB118_3237:
	s_and_not1_saveexec_b32 s8, s8
	s_cbranch_execz .LBB118_2785
.LBB118_3238:
	v_add_f32_e64 v1, 0x46000000, |v4|
	s_and_not1_b32 s7, s7, exec_lo
	s_delay_alu instid0(VALU_DEP_1) | instskip(NEXT) | instid1(VALU_DEP_1)
	v_and_b32_e32 v1, 0xff, v1
	v_cmp_ne_u32_e32 vcc_lo, 0, v1
	s_and_b32 s9, vcc_lo, exec_lo
	s_delay_alu instid0(SALU_CYCLE_1)
	s_or_b32 s7, s7, s9
	s_or_b32 exec_lo, exec_lo, s8
	v_mov_b32_e32 v5, 0
	s_and_saveexec_b32 s8, s7
	s_cbranch_execnz .LBB118_2786
	s_branch .LBB118_2787
.LBB118_3239:
	s_or_b32 s14, s14, exec_lo
	s_trap 2
	s_cbranch_execz .LBB118_2833
	s_branch .LBB118_2834
.LBB118_3240:
	s_and_not1_saveexec_b32 s7, s7
	s_cbranch_execz .LBB118_2798
.LBB118_3241:
	v_add_f32_e64 v1, 0x42800000, |v4|
	s_and_not1_b32 s5, s5, exec_lo
	s_delay_alu instid0(VALU_DEP_1) | instskip(NEXT) | instid1(VALU_DEP_1)
	v_and_b32_e32 v1, 0xff, v1
	v_cmp_ne_u32_e32 vcc_lo, 0, v1
	s_and_b32 s8, vcc_lo, exec_lo
	s_delay_alu instid0(SALU_CYCLE_1)
	s_or_b32 s5, s5, s8
	s_or_b32 exec_lo, exec_lo, s7
	v_mov_b32_e32 v5, 0
	s_and_saveexec_b32 s7, s5
	s_cbranch_execnz .LBB118_2799
	s_branch .LBB118_2800
.LBB118_3242:
	s_and_not1_saveexec_b32 s9, s9
	s_cbranch_execz .LBB118_2904
.LBB118_3243:
	v_add_f32_e64 v1, 0x46000000, |v4|
	s_and_not1_b32 s8, s8, exec_lo
	s_delay_alu instid0(VALU_DEP_1) | instskip(NEXT) | instid1(VALU_DEP_1)
	v_and_b32_e32 v1, 0xff, v1
	v_cmp_ne_u32_e32 vcc_lo, 0, v1
	s_and_b32 s10, vcc_lo, exec_lo
	s_delay_alu instid0(SALU_CYCLE_1)
	s_or_b32 s8, s8, s10
	s_or_b32 exec_lo, exec_lo, s9
	v_mov_b32_e32 v5, 0
	s_and_saveexec_b32 s9, s8
	s_cbranch_execnz .LBB118_2905
	s_branch .LBB118_2906
.LBB118_3244:
	s_or_b32 s14, s14, exec_lo
	s_trap 2
	s_cbranch_execz .LBB118_2952
	s_branch .LBB118_2953
.LBB118_3245:
	s_and_not1_saveexec_b32 s8, s8
	s_cbranch_execz .LBB118_2917
.LBB118_3246:
	v_add_f32_e64 v1, 0x42800000, |v4|
	s_and_not1_b32 s7, s7, exec_lo
	s_delay_alu instid0(VALU_DEP_1) | instskip(NEXT) | instid1(VALU_DEP_1)
	v_and_b32_e32 v1, 0xff, v1
	v_cmp_ne_u32_e32 vcc_lo, 0, v1
	s_and_b32 s9, vcc_lo, exec_lo
	s_delay_alu instid0(SALU_CYCLE_1)
	s_or_b32 s7, s7, s9
	s_or_b32 exec_lo, exec_lo, s8
	v_mov_b32_e32 v5, 0
	s_and_saveexec_b32 s8, s7
	s_cbranch_execnz .LBB118_2918
	s_branch .LBB118_2919
.LBB118_3247:
	s_and_not1_saveexec_b32 s9, s9
	s_cbranch_execz .LBB118_3023
.LBB118_3248:
	v_add_f32_e64 v1, 0x46000000, |v4|
	s_and_not1_b32 s8, s8, exec_lo
	s_delay_alu instid0(VALU_DEP_1) | instskip(NEXT) | instid1(VALU_DEP_1)
	v_and_b32_e32 v1, 0xff, v1
	v_cmp_ne_u32_e32 vcc_lo, 0, v1
	s_and_b32 s10, vcc_lo, exec_lo
	s_delay_alu instid0(SALU_CYCLE_1)
	s_or_b32 s8, s8, s10
	s_or_b32 exec_lo, exec_lo, s9
	v_mov_b32_e32 v5, 0
	s_and_saveexec_b32 s9, s8
	s_cbranch_execnz .LBB118_3024
	s_branch .LBB118_3025
.LBB118_3249:
	s_or_b32 s14, s14, exec_lo
	s_trap 2
	s_cbranch_execz .LBB118_3071
	s_branch .LBB118_3072
.LBB118_3250:
	s_and_not1_saveexec_b32 s8, s8
	s_cbranch_execz .LBB118_3036
.LBB118_3251:
	v_add_f32_e64 v1, 0x42800000, |v4|
	s_and_not1_b32 s7, s7, exec_lo
	s_delay_alu instid0(VALU_DEP_1) | instskip(NEXT) | instid1(VALU_DEP_1)
	v_and_b32_e32 v1, 0xff, v1
	v_cmp_ne_u32_e32 vcc_lo, 0, v1
	s_and_b32 s9, vcc_lo, exec_lo
	s_delay_alu instid0(SALU_CYCLE_1)
	s_or_b32 s7, s7, s9
	s_or_b32 exec_lo, exec_lo, s8
	v_mov_b32_e32 v5, 0
	s_and_saveexec_b32 s8, s7
	s_cbranch_execnz .LBB118_3037
	s_branch .LBB118_3038
.LBB118_3252:
	s_and_not1_saveexec_b32 s5, s5
	s_cbranch_execz .LBB118_3143
.LBB118_3253:
	v_add_f32_e64 v3, 0x46000000, |v2|
	s_and_not1_b32 s4, s4, exec_lo
	s_delay_alu instid0(VALU_DEP_1) | instskip(NEXT) | instid1(VALU_DEP_1)
	v_and_b32_e32 v3, 0xff, v3
	v_cmp_ne_u32_e32 vcc_lo, 0, v3
	s_and_b32 s6, vcc_lo, exec_lo
	s_delay_alu instid0(SALU_CYCLE_1)
	s_or_b32 s4, s4, s6
	s_or_b32 exec_lo, exec_lo, s5
	v_mov_b32_e32 v4, 0
	s_and_saveexec_b32 s5, s4
	s_cbranch_execnz .LBB118_3144
	s_branch .LBB118_3145
.LBB118_3254:
	s_mov_b32 s1, 0
	s_or_b32 s14, s14, exec_lo
	s_trap 2
	s_branch .LBB118_3189
.LBB118_3255:
	s_and_not1_saveexec_b32 s4, s4
	s_cbranch_execz .LBB118_3155
.LBB118_3256:
	v_add_f32_e64 v3, 0x42800000, |v2|
	s_and_not1_b32 s3, s3, exec_lo
	s_delay_alu instid0(VALU_DEP_1) | instskip(NEXT) | instid1(VALU_DEP_1)
	v_and_b32_e32 v3, 0xff, v3
	v_cmp_ne_u32_e32 vcc_lo, 0, v3
	s_and_b32 s5, vcc_lo, exec_lo
	s_delay_alu instid0(SALU_CYCLE_1)
	s_or_b32 s3, s3, s5
	s_or_b32 exec_lo, exec_lo, s4
	v_mov_b32_e32 v4, 0
	s_and_saveexec_b32 s4, s3
	s_cbranch_execnz .LBB118_3156
	s_branch .LBB118_3157
	.section	.rodata,"a",@progbits
	.p2align	6, 0x0
	.amdhsa_kernel _ZN2at6native32elementwise_kernel_manual_unrollILi128ELi4EZNS0_15gpu_kernel_implIZZZNS0_12_GLOBAL__N_116addr_kernel_cudaERNS_14TensorIteratorERKN3c106ScalarES9_ENKUlvE_clEvENKUlvE5_clEvEUlfffE_EEvRNS_18TensorIteratorBaseERKT_EUlibE_EEviT1_
		.amdhsa_group_segment_fixed_size 0
		.amdhsa_private_segment_fixed_size 0
		.amdhsa_kernarg_size 64
		.amdhsa_user_sgpr_count 2
		.amdhsa_user_sgpr_dispatch_ptr 0
		.amdhsa_user_sgpr_queue_ptr 0
		.amdhsa_user_sgpr_kernarg_segment_ptr 1
		.amdhsa_user_sgpr_dispatch_id 0
		.amdhsa_user_sgpr_kernarg_preload_length 0
		.amdhsa_user_sgpr_kernarg_preload_offset 0
		.amdhsa_user_sgpr_private_segment_size 0
		.amdhsa_wavefront_size32 1
		.amdhsa_uses_dynamic_stack 0
		.amdhsa_enable_private_segment 0
		.amdhsa_system_sgpr_workgroup_id_x 1
		.amdhsa_system_sgpr_workgroup_id_y 0
		.amdhsa_system_sgpr_workgroup_id_z 0
		.amdhsa_system_sgpr_workgroup_info 0
		.amdhsa_system_vgpr_workitem_id 0
		.amdhsa_next_free_vgpr 20
		.amdhsa_next_free_sgpr 39
		.amdhsa_named_barrier_count 0
		.amdhsa_reserve_vcc 1
		.amdhsa_float_round_mode_32 0
		.amdhsa_float_round_mode_16_64 0
		.amdhsa_float_denorm_mode_32 3
		.amdhsa_float_denorm_mode_16_64 3
		.amdhsa_fp16_overflow 0
		.amdhsa_memory_ordered 1
		.amdhsa_forward_progress 1
		.amdhsa_inst_pref_size 255
		.amdhsa_round_robin_scheduling 0
		.amdhsa_exception_fp_ieee_invalid_op 0
		.amdhsa_exception_fp_denorm_src 0
		.amdhsa_exception_fp_ieee_div_zero 0
		.amdhsa_exception_fp_ieee_overflow 0
		.amdhsa_exception_fp_ieee_underflow 0
		.amdhsa_exception_fp_ieee_inexact 0
		.amdhsa_exception_int_div_zero 0
	.end_amdhsa_kernel
	.section	.text._ZN2at6native32elementwise_kernel_manual_unrollILi128ELi4EZNS0_15gpu_kernel_implIZZZNS0_12_GLOBAL__N_116addr_kernel_cudaERNS_14TensorIteratorERKN3c106ScalarES9_ENKUlvE_clEvENKUlvE5_clEvEUlfffE_EEvRNS_18TensorIteratorBaseERKT_EUlibE_EEviT1_,"axG",@progbits,_ZN2at6native32elementwise_kernel_manual_unrollILi128ELi4EZNS0_15gpu_kernel_implIZZZNS0_12_GLOBAL__N_116addr_kernel_cudaERNS_14TensorIteratorERKN3c106ScalarES9_ENKUlvE_clEvENKUlvE5_clEvEUlfffE_EEvRNS_18TensorIteratorBaseERKT_EUlibE_EEviT1_,comdat
.Lfunc_end118:
	.size	_ZN2at6native32elementwise_kernel_manual_unrollILi128ELi4EZNS0_15gpu_kernel_implIZZZNS0_12_GLOBAL__N_116addr_kernel_cudaERNS_14TensorIteratorERKN3c106ScalarES9_ENKUlvE_clEvENKUlvE5_clEvEUlfffE_EEvRNS_18TensorIteratorBaseERKT_EUlibE_EEviT1_, .Lfunc_end118-_ZN2at6native32elementwise_kernel_manual_unrollILi128ELi4EZNS0_15gpu_kernel_implIZZZNS0_12_GLOBAL__N_116addr_kernel_cudaERNS_14TensorIteratorERKN3c106ScalarES9_ENKUlvE_clEvENKUlvE5_clEvEUlfffE_EEvRNS_18TensorIteratorBaseERKT_EUlibE_EEviT1_
                                        ; -- End function
	.set _ZN2at6native32elementwise_kernel_manual_unrollILi128ELi4EZNS0_15gpu_kernel_implIZZZNS0_12_GLOBAL__N_116addr_kernel_cudaERNS_14TensorIteratorERKN3c106ScalarES9_ENKUlvE_clEvENKUlvE5_clEvEUlfffE_EEvRNS_18TensorIteratorBaseERKT_EUlibE_EEviT1_.num_vgpr, 20
	.set _ZN2at6native32elementwise_kernel_manual_unrollILi128ELi4EZNS0_15gpu_kernel_implIZZZNS0_12_GLOBAL__N_116addr_kernel_cudaERNS_14TensorIteratorERKN3c106ScalarES9_ENKUlvE_clEvENKUlvE5_clEvEUlfffE_EEvRNS_18TensorIteratorBaseERKT_EUlibE_EEviT1_.num_agpr, 0
	.set _ZN2at6native32elementwise_kernel_manual_unrollILi128ELi4EZNS0_15gpu_kernel_implIZZZNS0_12_GLOBAL__N_116addr_kernel_cudaERNS_14TensorIteratorERKN3c106ScalarES9_ENKUlvE_clEvENKUlvE5_clEvEUlfffE_EEvRNS_18TensorIteratorBaseERKT_EUlibE_EEviT1_.numbered_sgpr, 39
	.set _ZN2at6native32elementwise_kernel_manual_unrollILi128ELi4EZNS0_15gpu_kernel_implIZZZNS0_12_GLOBAL__N_116addr_kernel_cudaERNS_14TensorIteratorERKN3c106ScalarES9_ENKUlvE_clEvENKUlvE5_clEvEUlfffE_EEvRNS_18TensorIteratorBaseERKT_EUlibE_EEviT1_.num_named_barrier, 0
	.set _ZN2at6native32elementwise_kernel_manual_unrollILi128ELi4EZNS0_15gpu_kernel_implIZZZNS0_12_GLOBAL__N_116addr_kernel_cudaERNS_14TensorIteratorERKN3c106ScalarES9_ENKUlvE_clEvENKUlvE5_clEvEUlfffE_EEvRNS_18TensorIteratorBaseERKT_EUlibE_EEviT1_.private_seg_size, 0
	.set _ZN2at6native32elementwise_kernel_manual_unrollILi128ELi4EZNS0_15gpu_kernel_implIZZZNS0_12_GLOBAL__N_116addr_kernel_cudaERNS_14TensorIteratorERKN3c106ScalarES9_ENKUlvE_clEvENKUlvE5_clEvEUlfffE_EEvRNS_18TensorIteratorBaseERKT_EUlibE_EEviT1_.uses_vcc, 1
	.set _ZN2at6native32elementwise_kernel_manual_unrollILi128ELi4EZNS0_15gpu_kernel_implIZZZNS0_12_GLOBAL__N_116addr_kernel_cudaERNS_14TensorIteratorERKN3c106ScalarES9_ENKUlvE_clEvENKUlvE5_clEvEUlfffE_EEvRNS_18TensorIteratorBaseERKT_EUlibE_EEviT1_.uses_flat_scratch, 0
	.set _ZN2at6native32elementwise_kernel_manual_unrollILi128ELi4EZNS0_15gpu_kernel_implIZZZNS0_12_GLOBAL__N_116addr_kernel_cudaERNS_14TensorIteratorERKN3c106ScalarES9_ENKUlvE_clEvENKUlvE5_clEvEUlfffE_EEvRNS_18TensorIteratorBaseERKT_EUlibE_EEviT1_.has_dyn_sized_stack, 0
	.set _ZN2at6native32elementwise_kernel_manual_unrollILi128ELi4EZNS0_15gpu_kernel_implIZZZNS0_12_GLOBAL__N_116addr_kernel_cudaERNS_14TensorIteratorERKN3c106ScalarES9_ENKUlvE_clEvENKUlvE5_clEvEUlfffE_EEvRNS_18TensorIteratorBaseERKT_EUlibE_EEviT1_.has_recursion, 0
	.set _ZN2at6native32elementwise_kernel_manual_unrollILi128ELi4EZNS0_15gpu_kernel_implIZZZNS0_12_GLOBAL__N_116addr_kernel_cudaERNS_14TensorIteratorERKN3c106ScalarES9_ENKUlvE_clEvENKUlvE5_clEvEUlfffE_EEvRNS_18TensorIteratorBaseERKT_EUlibE_EEviT1_.has_indirect_call, 0
	.section	.AMDGPU.csdata,"",@progbits
; Kernel info:
; codeLenInByte = 58284
; TotalNumSgprs: 41
; NumVgprs: 20
; ScratchSize: 0
; MemoryBound: 1
; FloatMode: 240
; IeeeMode: 1
; LDSByteSize: 0 bytes/workgroup (compile time only)
; SGPRBlocks: 0
; VGPRBlocks: 1
; NumSGPRsForWavesPerEU: 41
; NumVGPRsForWavesPerEU: 20
; NamedBarCnt: 0
; Occupancy: 16
; WaveLimiterHint : 0
; COMPUTE_PGM_RSRC2:SCRATCH_EN: 0
; COMPUTE_PGM_RSRC2:USER_SGPR: 2
; COMPUTE_PGM_RSRC2:TRAP_HANDLER: 0
; COMPUTE_PGM_RSRC2:TGID_X_EN: 1
; COMPUTE_PGM_RSRC2:TGID_Y_EN: 0
; COMPUTE_PGM_RSRC2:TGID_Z_EN: 0
; COMPUTE_PGM_RSRC2:TIDIG_COMP_CNT: 0
	.section	.text._ZN2at6native32elementwise_kernel_manual_unrollILi128ELi4EZNS0_15gpu_kernel_implIZZZNS0_12_GLOBAL__N_116addr_kernel_cudaERNS_14TensorIteratorERKN3c106ScalarES9_ENKUlvE_clEvENKUlvE5_clEvEUlfffE_EEvRNS_18TensorIteratorBaseERKT_EUlibE0_EEviT1_,"axG",@progbits,_ZN2at6native32elementwise_kernel_manual_unrollILi128ELi4EZNS0_15gpu_kernel_implIZZZNS0_12_GLOBAL__N_116addr_kernel_cudaERNS_14TensorIteratorERKN3c106ScalarES9_ENKUlvE_clEvENKUlvE5_clEvEUlfffE_EEvRNS_18TensorIteratorBaseERKT_EUlibE0_EEviT1_,comdat
	.globl	_ZN2at6native32elementwise_kernel_manual_unrollILi128ELi4EZNS0_15gpu_kernel_implIZZZNS0_12_GLOBAL__N_116addr_kernel_cudaERNS_14TensorIteratorERKN3c106ScalarES9_ENKUlvE_clEvENKUlvE5_clEvEUlfffE_EEvRNS_18TensorIteratorBaseERKT_EUlibE0_EEviT1_ ; -- Begin function _ZN2at6native32elementwise_kernel_manual_unrollILi128ELi4EZNS0_15gpu_kernel_implIZZZNS0_12_GLOBAL__N_116addr_kernel_cudaERNS_14TensorIteratorERKN3c106ScalarES9_ENKUlvE_clEvENKUlvE5_clEvEUlfffE_EEvRNS_18TensorIteratorBaseERKT_EUlibE0_EEviT1_
	.p2align	8
	.type	_ZN2at6native32elementwise_kernel_manual_unrollILi128ELi4EZNS0_15gpu_kernel_implIZZZNS0_12_GLOBAL__N_116addr_kernel_cudaERNS_14TensorIteratorERKN3c106ScalarES9_ENKUlvE_clEvENKUlvE5_clEvEUlfffE_EEvRNS_18TensorIteratorBaseERKT_EUlibE0_EEviT1_,@function
_ZN2at6native32elementwise_kernel_manual_unrollILi128ELi4EZNS0_15gpu_kernel_implIZZZNS0_12_GLOBAL__N_116addr_kernel_cudaERNS_14TensorIteratorERKN3c106ScalarES9_ENKUlvE_clEvENKUlvE5_clEvEUlfffE_EEvRNS_18TensorIteratorBaseERKT_EUlibE0_EEviT1_: ; @_ZN2at6native32elementwise_kernel_manual_unrollILi128ELi4EZNS0_15gpu_kernel_implIZZZNS0_12_GLOBAL__N_116addr_kernel_cudaERNS_14TensorIteratorERKN3c106ScalarES9_ENKUlvE_clEvENKUlvE5_clEvEUlfffE_EEvRNS_18TensorIteratorBaseERKT_EUlibE0_EEviT1_
; %bb.0:
	s_clause 0x1
	s_load_b32 s15, s[0:1], 0x8
	s_load_b32 s40, s[0:1], 0x0
	s_bfe_u32 s2, ttmp6, 0x4000c
	s_and_b32 s3, ttmp6, 15
	s_add_co_i32 s2, s2, 1
	s_getreg_b32 s4, hwreg(HW_REG_IB_STS2, 6, 4)
	s_mul_i32 s2, ttmp9, s2
	s_mov_b32 s31, 0
	s_add_co_i32 s3, s3, s2
	s_cmp_eq_u32 s4, 0
	s_mov_b32 s26, -1
	s_cselect_b32 s2, ttmp9, s3
	s_mov_b32 s8, 0
	v_lshl_or_b32 v0, s2, 9, v0
	s_add_nc_u64 s[2:3], s[0:1], 8
	s_wait_xcnt 0x0
	s_mov_b32 s0, exec_lo
	s_delay_alu instid0(VALU_DEP_1) | instskip(SKIP_2) | instid1(SALU_CYCLE_1)
	v_or_b32_e32 v1, 0x180, v0
	s_wait_kmcnt 0x0
	s_add_co_i32 s30, s15, -1
	s_cmp_gt_u32 s30, 1
	s_cselect_b32 s33, -1, 0
	v_cmpx_le_i32_e64 s40, v1
	s_xor_b32 s34, exec_lo, s0
	s_cbranch_execz .LBB119_1670
; %bb.1:
	s_clause 0x7
	s_load_b128 s[8:11], s[2:3], 0x4
	s_load_b64 s[0:1], s[2:3], 0x14
	s_load_b64 s[16:17], s[2:3], 0x1e8
	s_load_b32 s37, s[2:3], 0xc4
	s_load_b96 s[12:14], s[2:3], 0xcc
	s_load_b64 s[22:23], s[2:3], 0xdc
	s_load_b64 s[18:19], s[2:3], 0x1c8
	s_load_b128 s[4:7], s[2:3], 0x1d8
	s_cmp_lg_u32 s15, 0
	s_mov_b32 s21, 0
	s_cselect_b32 s41, -1, 0
	s_min_u32 s39, s30, 15
	s_cmp_gt_u32 s15, 1
	s_mov_b32 s25, s21
	s_cselect_b32 s38, -1, 0
	s_mov_b32 s45, s21
	s_mov_b32 s44, s21
	;; [unrolled: 1-line block ×4, first 2 shown]
	s_mov_b32 s46, exec_lo
	s_wait_kmcnt 0x0
	s_mov_b32 s20, s9
	s_mov_b32 s24, s0
	s_lshr_b32 s35, s17, 16
	s_lshr_b32 s36, s17, 8
	;; [unrolled: 1-line block ×3, first 2 shown]
	v_cmpx_gt_i32_e64 s40, v0
	s_cbranch_execz .LBB119_413
; %bb.2:
	s_and_not1_b32 vcc_lo, exec_lo, s33
	s_cbranch_vccnz .LBB119_8
; %bb.3:
	s_and_not1_b32 vcc_lo, exec_lo, s41
	s_cbranch_vccnz .LBB119_9
; %bb.4:
	v_dual_mov_b32 v2, 0 :: v_dual_mov_b32 v1, v0
	v_dual_mov_b32 v6, 0 :: v_dual_mov_b32 v4, 0
	s_add_co_i32 s0, s39, 1
	s_mov_b64 s[26:27], 0xffffffffffffffe0
	s_and_b32 s0, s0, 30
	s_add_nc_u64 s[26:27], s[2:3], s[26:27]
	s_mov_b64 s[28:29], s[2:3]
.LBB119_5:                              ; =>This Inner Loop Header: Depth=1
	s_clause 0x1
	s_load_b128 s[48:51], s[28:29], 0x4
	s_load_b64 s[42:43], s[28:29], 0x14
	s_load_b32 s44, s[26:27], 0xe4
	s_add_co_i32 s0, s0, -2
	s_wait_xcnt 0x0
	s_add_nc_u64 s[28:29], s[28:29], 24
	s_cmp_lg_u32 s0, 0
	s_wait_kmcnt 0x0
	v_mul_hi_u32 v3, s49, v1
	s_delay_alu instid0(VALU_DEP_1) | instskip(NEXT) | instid1(VALU_DEP_1)
	v_add_nc_u32_e32 v3, v1, v3
	v_lshrrev_b32_e32 v3, s50, v3
	s_delay_alu instid0(VALU_DEP_1) | instskip(SKIP_2) | instid1(VALU_DEP_1)
	v_mul_hi_u32 v5, s42, v3
	v_mul_lo_u32 v7, v3, s48
	s_load_b96 s[48:50], s[26:27], 0xec
	v_dual_add_nc_u32 v5, v3, v5 :: v_dual_sub_nc_u32 v7, v1, v7
	s_delay_alu instid0(VALU_DEP_1) | instskip(SKIP_1) | instid1(VALU_DEP_2)
	v_lshrrev_b32_e32 v1, s43, v5
	s_load_b64 s[42:43], s[26:27], 0xfc
	v_mad_u32 v2, v7, s44, v2
	s_wait_xcnt 0x0
	s_add_nc_u64 s[26:27], s[26:27], 32
	v_mul_lo_u32 v5, v1, s51
	s_wait_kmcnt 0x0
	v_mad_u32 v4, v7, s49, v4
	v_mad_u32 v6, v7, s48, v6
	s_delay_alu instid0(VALU_DEP_3) | instskip(NEXT) | instid1(VALU_DEP_1)
	v_sub_nc_u32_e32 v3, v3, v5
	v_mad_u32 v2, v3, s50, v2
	s_delay_alu instid0(VALU_DEP_4) | instskip(NEXT) | instid1(VALU_DEP_4)
	v_mad_u32 v4, v3, s43, v4
	v_mad_u32 v6, v3, s42, v6
	s_cbranch_scc1 .LBB119_5
; %bb.6:
	s_bitcmp1_b32 s39, 0
	s_cselect_b32 s0, -1, 0
	s_delay_alu instid0(SALU_CYCLE_1)
	s_and_b32 vcc_lo, exec_lo, s0
	s_cbranch_vccnz .LBB119_10
; %bb.7:
	s_load_b96 s[48:50], s[28:29], 0x4
	s_load_b32 s0, s[26:27], 0xe4
	s_wait_xcnt 0x0
	s_load_b64 s[28:29], s[26:27], 0xec
	s_wait_kmcnt 0x0
	v_mul_hi_u32 v3, s49, v1
	s_delay_alu instid0(VALU_DEP_1) | instskip(NEXT) | instid1(VALU_DEP_1)
	v_add_nc_u32_e32 v3, v1, v3
	v_lshrrev_b32_e32 v3, s50, v3
	s_delay_alu instid0(VALU_DEP_1) | instskip(NEXT) | instid1(VALU_DEP_1)
	v_mul_lo_u32 v3, v3, s48
	v_sub_nc_u32_e32 v1, v1, v3
	s_delay_alu instid0(VALU_DEP_1)
	v_mad_u32 v2, v1, s0, v2
	v_mad_u32 v6, v1, s28, v6
	;; [unrolled: 1-line block ×3, first 2 shown]
	s_cbranch_execz .LBB119_11
	s_branch .LBB119_13
.LBB119_8:
                                        ; implicit-def: $vgpr4
                                        ; implicit-def: $vgpr6
                                        ; implicit-def: $vgpr2
	s_branch .LBB119_11
.LBB119_9:
	v_dual_mov_b32 v4, 0 :: v_dual_mov_b32 v6, 0
	v_mov_b32_e32 v2, 0
.LBB119_10:
	s_cbranch_execnz .LBB119_13
.LBB119_11:
	v_mov_b32_e32 v1, 0
	s_and_not1_b32 vcc_lo, exec_lo, s38
	s_delay_alu instid0(VALU_DEP_1) | instskip(NEXT) | instid1(VALU_DEP_1)
	v_mul_u64_e32 v[2:3], s[20:21], v[0:1]
	v_add_nc_u32_e32 v2, v0, v3
	s_delay_alu instid0(VALU_DEP_1) | instskip(NEXT) | instid1(VALU_DEP_1)
	v_lshrrev_b32_e32 v8, s10, v2
	v_mul_lo_u32 v2, v8, s8
	s_delay_alu instid0(VALU_DEP_1) | instskip(NEXT) | instid1(VALU_DEP_1)
	v_sub_nc_u32_e32 v3, v0, v2
	v_mul_lo_u32 v2, v3, s37
	v_mul_lo_u32 v4, v3, s13
	;; [unrolled: 1-line block ×3, first 2 shown]
	s_cbranch_vccnz .LBB119_13
; %bb.12:
	v_mov_b32_e32 v9, v1
	s_delay_alu instid0(VALU_DEP_1) | instskip(NEXT) | instid1(VALU_DEP_1)
	v_mul_u64_e32 v[10:11], s[24:25], v[8:9]
	v_add_nc_u32_e32 v1, v8, v11
	s_delay_alu instid0(VALU_DEP_1) | instskip(NEXT) | instid1(VALU_DEP_1)
	v_lshrrev_b32_e32 v1, s1, v1
	v_mul_lo_u32 v1, v1, s11
	s_delay_alu instid0(VALU_DEP_1) | instskip(NEXT) | instid1(VALU_DEP_1)
	v_sub_nc_u32_e32 v1, v8, v1
	v_mad_u32 v2, v1, s14, v2
	v_mad_u32 v6, v1, s22, v6
	;; [unrolled: 1-line block ×3, first 2 shown]
.LBB119_13:
	s_and_b32 s26, s36, 0xff
	s_delay_alu instid0(SALU_CYCLE_1)
	s_cmp_lt_i32 s26, 23
	s_cbranch_scc1 .LBB119_17
; %bb.14:
	s_and_b32 s28, 0xffff, s26
	s_delay_alu instid0(SALU_CYCLE_1)
	s_cmp_gt_i32 s28, 43
	s_cbranch_scc0 .LBB119_18
; %bb.15:
	s_cmp_gt_i32 s28, 45
	s_cbranch_scc0 .LBB119_19
; %bb.16:
	s_cmp_eq_u32 s28, 46
	s_mov_b32 s29, 0
	s_mov_b32 s27, -1
	s_cselect_b32 s0, -1, 0
	s_branch .LBB119_20
.LBB119_17:
	s_mov_b32 s27, 0
	s_mov_b32 s0, 0
	s_cbranch_execnz .LBB119_25
	s_branch .LBB119_29
.LBB119_18:
	s_mov_b32 s27, 0
	s_mov_b32 s0, 0
	s_cbranch_execnz .LBB119_23
	s_branch .LBB119_24
.LBB119_19:
	s_mov_b32 s29, -1
	s_mov_b32 s27, 0
	s_mov_b32 s0, 0
.LBB119_20:
	s_and_not1_b32 vcc_lo, exec_lo, s29
	s_cbranch_vccnz .LBB119_22
; %bb.21:
	s_cmp_eq_u32 s28, 44
	s_cselect_b32 s0, -1, 0
	s_cmp_lg_u32 s28, 44
	s_cselect_b32 s27, -1, 0
.LBB119_22:
	s_branch .LBB119_24
.LBB119_23:
	s_cmp_lt_i32 s28, 30
	s_cselect_b32 s0, -1, 0
	s_cmp_gt_i32 s28, 29
	s_cselect_b32 s27, -1, 0
.LBB119_24:
	s_branch .LBB119_29
.LBB119_25:
	s_and_b32 s26, 0xffff, s26
	s_mov_b32 s28, -1
	s_cmp_gt_i32 s26, 14
	s_cbranch_scc0 .LBB119_27
; %bb.26:
	s_cmp_eq_u32 s26, 15
	s_mov_b32 s28, 0
	s_cselect_b32 s0, -1, 0
	s_cmp_lg_u32 s26, 15
	s_cselect_b32 s27, -1, 0
.LBB119_27:
	s_and_not1_b32 vcc_lo, exec_lo, s28
	s_cbranch_vccnz .LBB119_29
; %bb.28:
	s_cmp_lt_i32 s26, 12
	s_cselect_b32 s0, -1, 0
	s_cmp_gt_i32 s26, 11
	s_cselect_b32 s27, -1, 0
.LBB119_29:
	s_and_b32 vcc_lo, exec_lo, s0
	s_cbranch_vccz .LBB119_37
; %bb.30:
	v_mov_b32_e32 v7, 0
	s_and_b32 s0, s35, 0xff
	s_delay_alu instid0(SALU_CYCLE_1) | instskip(NEXT) | instid1(VALU_DEP_1)
	s_cmp_lt_i32 s0, 11
	v_add_nc_u64_e32 v[6:7], s[4:5], v[6:7]
	s_cbranch_scc1 .LBB119_39
; %bb.31:
	s_and_b32 s27, 0xffff, s0
	s_delay_alu instid0(SALU_CYCLE_1)
	s_cmp_gt_i32 s27, 25
	s_cbranch_scc0 .LBB119_40
; %bb.32:
	s_cmp_gt_i32 s27, 28
	s_cbranch_scc0 .LBB119_41
; %bb.33:
	;; [unrolled: 3-line block ×4, first 2 shown]
	s_cmp_eq_u32 s27, 46
	s_mov_b32 s29, 0
	s_cbranch_scc0 .LBB119_44
; %bb.36:
	global_load_b32 v1, v[6:7], off
	s_mov_b32 s28, -1
	s_mov_b32 s26, 0
	s_wait_loadcnt 0x0
	v_lshlrev_b32_e32 v1, 16, v1
	s_branch .LBB119_46
.LBB119_37:
	s_mov_b32 s0, 0
	s_mov_b32 s28, 0
	;; [unrolled: 1-line block ×3, first 2 shown]
.LBB119_38:
	s_mov_b32 s29, 0
                                        ; implicit-def: $vgpr0
	s_branch .LBB119_412
.LBB119_39:
	s_mov_b32 s26, 0
	s_mov_b32 s28, 0
                                        ; implicit-def: $vgpr1
	s_cbranch_execnz .LBB119_111
	s_branch .LBB119_159
.LBB119_40:
	s_mov_b32 s29, -1
	s_mov_b32 s26, 0
	s_mov_b32 s28, 0
                                        ; implicit-def: $vgpr1
	s_branch .LBB119_75
.LBB119_41:
	s_mov_b32 s29, -1
	s_mov_b32 s26, 0
	s_mov_b32 s28, 0
                                        ; implicit-def: $vgpr1
	s_branch .LBB119_56
.LBB119_42:
	s_mov_b32 s29, -1
	s_mov_b32 s26, 0
	s_mov_b32 s28, 0
                                        ; implicit-def: $vgpr1
	s_branch .LBB119_51
.LBB119_43:
	s_mov_b32 s29, -1
	s_mov_b32 s26, 0
	s_branch .LBB119_45
.LBB119_44:
	s_mov_b32 s26, -1
.LBB119_45:
	s_mov_b32 s28, 0
                                        ; implicit-def: $vgpr1
.LBB119_46:
	s_and_b32 vcc_lo, exec_lo, s29
	s_cbranch_vccz .LBB119_50
; %bb.47:
	s_cmp_eq_u32 s27, 44
	s_cbranch_scc0 .LBB119_49
; %bb.48:
	global_load_u8 v1, v[6:7], off
	s_mov_b32 s26, 0
	s_mov_b32 s28, -1
	s_wait_loadcnt 0x0
	v_lshlrev_b32_e32 v3, 23, v1
	v_cmp_ne_u32_e32 vcc_lo, 0xff, v1
	s_delay_alu instid0(VALU_DEP_2) | instskip(SKIP_1) | instid1(VALU_DEP_2)
	v_cndmask_b32_e32 v3, 0x7f800001, v3, vcc_lo
	v_cmp_ne_u32_e32 vcc_lo, 0, v1
	v_cndmask_b32_e32 v1, 0x400000, v3, vcc_lo
	s_branch .LBB119_50
.LBB119_49:
	s_mov_b32 s26, -1
                                        ; implicit-def: $vgpr1
.LBB119_50:
	s_mov_b32 s29, 0
.LBB119_51:
	s_delay_alu instid0(SALU_CYCLE_1)
	s_and_b32 vcc_lo, exec_lo, s29
	s_cbranch_vccz .LBB119_55
; %bb.52:
	s_cmp_eq_u32 s27, 29
	s_cbranch_scc0 .LBB119_54
; %bb.53:
	global_load_b64 v[8:9], v[6:7], off
	s_mov_b32 s28, -1
	s_mov_b32 s26, 0
	s_mov_b32 s29, 0
	s_wait_loadcnt 0x0
	v_clz_i32_u32_e32 v1, v9
	s_delay_alu instid0(VALU_DEP_1) | instskip(NEXT) | instid1(VALU_DEP_1)
	v_min_u32_e32 v1, 32, v1
	v_lshlrev_b64_e32 v[8:9], v1, v[8:9]
	v_sub_nc_u32_e32 v1, 32, v1
	s_delay_alu instid0(VALU_DEP_2) | instskip(NEXT) | instid1(VALU_DEP_1)
	v_min_u32_e32 v3, 1, v8
	v_or_b32_e32 v3, v9, v3
	s_delay_alu instid0(VALU_DEP_1) | instskip(NEXT) | instid1(VALU_DEP_1)
	v_cvt_f32_u32_e32 v3, v3
	v_ldexp_f32 v1, v3, v1
	s_branch .LBB119_56
.LBB119_54:
	s_mov_b32 s26, -1
                                        ; implicit-def: $vgpr1
.LBB119_55:
	s_mov_b32 s29, 0
.LBB119_56:
	s_delay_alu instid0(SALU_CYCLE_1)
	s_and_b32 vcc_lo, exec_lo, s29
	s_cbranch_vccz .LBB119_74
; %bb.57:
	s_cmp_lt_i32 s27, 27
	s_cbranch_scc1 .LBB119_60
; %bb.58:
	s_cmp_gt_i32 s27, 27
	s_cbranch_scc0 .LBB119_61
; %bb.59:
	global_load_b32 v1, v[6:7], off
	s_mov_b32 s28, 0
	s_wait_loadcnt 0x0
	v_cvt_f32_u32_e32 v1, v1
	s_branch .LBB119_62
.LBB119_60:
	s_mov_b32 s28, -1
                                        ; implicit-def: $vgpr1
	s_branch .LBB119_65
.LBB119_61:
	s_mov_b32 s28, -1
                                        ; implicit-def: $vgpr1
.LBB119_62:
	s_delay_alu instid0(SALU_CYCLE_1)
	s_and_not1_b32 vcc_lo, exec_lo, s28
	s_cbranch_vccnz .LBB119_64
; %bb.63:
	global_load_u16 v1, v[6:7], off
	s_wait_loadcnt 0x0
	v_cvt_f32_u32_e32 v1, v1
.LBB119_64:
	s_mov_b32 s28, 0
.LBB119_65:
	s_delay_alu instid0(SALU_CYCLE_1)
	s_and_not1_b32 vcc_lo, exec_lo, s28
	s_cbranch_vccnz .LBB119_73
; %bb.66:
	global_load_u8 v3, v[6:7], off
	s_mov_b32 s28, 0
	s_mov_b32 s29, exec_lo
	s_wait_loadcnt 0x0
	v_cmpx_lt_i16_e32 0x7f, v3
	s_xor_b32 s29, exec_lo, s29
	s_cbranch_execz .LBB119_87
; %bb.67:
	s_mov_b32 s28, -1
	s_mov_b32 s42, exec_lo
	v_cmpx_eq_u16_e32 0x80, v3
; %bb.68:
	s_xor_b32 s28, exec_lo, -1
; %bb.69:
	s_or_b32 exec_lo, exec_lo, s42
	s_delay_alu instid0(SALU_CYCLE_1)
	s_and_b32 s28, s28, exec_lo
	s_or_saveexec_b32 s29, s29
	v_mov_b32_e32 v1, 0x7f800001
	s_xor_b32 exec_lo, exec_lo, s29
	s_cbranch_execnz .LBB119_88
.LBB119_70:
	s_or_b32 exec_lo, exec_lo, s29
	s_and_saveexec_b32 s29, s28
	s_cbranch_execz .LBB119_72
.LBB119_71:
	v_and_b32_e32 v1, 0xffff, v3
	s_delay_alu instid0(VALU_DEP_1) | instskip(SKIP_1) | instid1(VALU_DEP_2)
	v_and_b32_e32 v5, 7, v1
	v_bfe_u32 v10, v1, 3, 4
	v_clz_i32_u32_e32 v8, v5
	s_delay_alu instid0(VALU_DEP_2) | instskip(NEXT) | instid1(VALU_DEP_2)
	v_cmp_eq_u32_e32 vcc_lo, 0, v10
	v_min_u32_e32 v8, 32, v8
	s_delay_alu instid0(VALU_DEP_1) | instskip(NEXT) | instid1(VALU_DEP_1)
	v_subrev_nc_u32_e32 v9, 28, v8
	v_dual_lshlrev_b32 v1, v9, v1 :: v_dual_sub_nc_u32 v8, 29, v8
	s_delay_alu instid0(VALU_DEP_1) | instskip(NEXT) | instid1(VALU_DEP_1)
	v_dual_lshlrev_b32 v3, 24, v3 :: v_dual_bitop2_b32 v1, 7, v1 bitop3:0x40
	v_dual_cndmask_b32 v8, v10, v8 :: v_dual_cndmask_b32 v1, v5, v1
	s_delay_alu instid0(VALU_DEP_2) | instskip(NEXT) | instid1(VALU_DEP_2)
	v_and_b32_e32 v3, 0x80000000, v3
	v_lshl_add_u32 v5, v8, 23, 0x3b800000
	s_delay_alu instid0(VALU_DEP_3) | instskip(NEXT) | instid1(VALU_DEP_1)
	v_lshlrev_b32_e32 v1, 20, v1
	v_or3_b32 v1, v3, v5, v1
.LBB119_72:
	s_or_b32 exec_lo, exec_lo, s29
.LBB119_73:
	s_mov_b32 s28, -1
.LBB119_74:
	s_mov_b32 s29, 0
.LBB119_75:
	s_delay_alu instid0(SALU_CYCLE_1)
	s_and_b32 vcc_lo, exec_lo, s29
	s_cbranch_vccz .LBB119_110
; %bb.76:
	s_cmp_gt_i32 s27, 22
	s_cbranch_scc0 .LBB119_86
; %bb.77:
	s_cmp_lt_i32 s27, 24
	s_cbranch_scc1 .LBB119_89
; %bb.78:
	s_cmp_gt_i32 s27, 24
	s_cbranch_scc0 .LBB119_90
; %bb.79:
	global_load_u8 v3, v[6:7], off
	s_mov_b32 s28, 0
	s_mov_b32 s29, exec_lo
	s_wait_loadcnt 0x0
	v_cmpx_lt_i16_e32 0x7f, v3
	s_xor_b32 s29, exec_lo, s29
	s_cbranch_execz .LBB119_102
; %bb.80:
	s_mov_b32 s28, -1
	s_mov_b32 s42, exec_lo
	v_cmpx_eq_u16_e32 0x80, v3
; %bb.81:
	s_xor_b32 s28, exec_lo, -1
; %bb.82:
	s_or_b32 exec_lo, exec_lo, s42
	s_delay_alu instid0(SALU_CYCLE_1)
	s_and_b32 s28, s28, exec_lo
	s_or_saveexec_b32 s29, s29
	v_mov_b32_e32 v1, 0x7f800001
	s_xor_b32 exec_lo, exec_lo, s29
	s_cbranch_execnz .LBB119_103
.LBB119_83:
	s_or_b32 exec_lo, exec_lo, s29
	s_and_saveexec_b32 s29, s28
	s_cbranch_execz .LBB119_85
.LBB119_84:
	v_and_b32_e32 v1, 0xffff, v3
	s_delay_alu instid0(VALU_DEP_1) | instskip(SKIP_1) | instid1(VALU_DEP_2)
	v_and_b32_e32 v5, 3, v1
	v_bfe_u32 v10, v1, 2, 5
	v_clz_i32_u32_e32 v8, v5
	s_delay_alu instid0(VALU_DEP_2) | instskip(NEXT) | instid1(VALU_DEP_2)
	v_cmp_eq_u32_e32 vcc_lo, 0, v10
	v_min_u32_e32 v8, 32, v8
	s_delay_alu instid0(VALU_DEP_1) | instskip(NEXT) | instid1(VALU_DEP_1)
	v_subrev_nc_u32_e32 v9, 29, v8
	v_dual_lshlrev_b32 v1, v9, v1 :: v_dual_sub_nc_u32 v8, 30, v8
	s_delay_alu instid0(VALU_DEP_1) | instskip(NEXT) | instid1(VALU_DEP_1)
	v_dual_lshlrev_b32 v3, 24, v3 :: v_dual_bitop2_b32 v1, 3, v1 bitop3:0x40
	v_dual_cndmask_b32 v8, v10, v8 :: v_dual_cndmask_b32 v1, v5, v1
	s_delay_alu instid0(VALU_DEP_2) | instskip(NEXT) | instid1(VALU_DEP_2)
	v_and_b32_e32 v3, 0x80000000, v3
	v_lshl_add_u32 v5, v8, 23, 0x37800000
	s_delay_alu instid0(VALU_DEP_3) | instskip(NEXT) | instid1(VALU_DEP_1)
	v_lshlrev_b32_e32 v1, 21, v1
	v_or3_b32 v1, v3, v5, v1
.LBB119_85:
	s_or_b32 exec_lo, exec_lo, s29
	s_mov_b32 s28, 0
	s_branch .LBB119_91
.LBB119_86:
	s_mov_b32 s29, -1
                                        ; implicit-def: $vgpr1
	s_branch .LBB119_97
.LBB119_87:
	s_or_saveexec_b32 s29, s29
	v_mov_b32_e32 v1, 0x7f800001
	s_xor_b32 exec_lo, exec_lo, s29
	s_cbranch_execz .LBB119_70
.LBB119_88:
	v_cmp_ne_u16_e32 vcc_lo, 0, v3
	v_mov_b32_e32 v1, 0
	s_and_not1_b32 s28, s28, exec_lo
	s_and_b32 s42, vcc_lo, exec_lo
	s_delay_alu instid0(SALU_CYCLE_1)
	s_or_b32 s28, s28, s42
	s_or_b32 exec_lo, exec_lo, s29
	s_and_saveexec_b32 s29, s28
	s_cbranch_execnz .LBB119_71
	s_branch .LBB119_72
.LBB119_89:
	s_mov_b32 s28, -1
                                        ; implicit-def: $vgpr1
	s_branch .LBB119_94
.LBB119_90:
	s_mov_b32 s28, -1
                                        ; implicit-def: $vgpr1
.LBB119_91:
	s_delay_alu instid0(SALU_CYCLE_1)
	s_and_b32 vcc_lo, exec_lo, s28
	s_cbranch_vccz .LBB119_93
; %bb.92:
	global_load_u8 v1, v[6:7], off
	s_wait_loadcnt 0x0
	v_lshlrev_b32_e32 v1, 24, v1
	s_delay_alu instid0(VALU_DEP_1) | instskip(NEXT) | instid1(VALU_DEP_1)
	v_and_b32_e32 v3, 0x7f000000, v1
	v_clz_i32_u32_e32 v5, v3
	v_add_nc_u32_e32 v9, 0x1000000, v3
	v_cmp_ne_u32_e32 vcc_lo, 0, v3
	s_delay_alu instid0(VALU_DEP_3) | instskip(NEXT) | instid1(VALU_DEP_1)
	v_min_u32_e32 v5, 32, v5
	v_sub_nc_u32_e64 v5, v5, 4 clamp
	s_delay_alu instid0(VALU_DEP_1) | instskip(NEXT) | instid1(VALU_DEP_1)
	v_dual_lshlrev_b32 v8, v5, v3 :: v_dual_lshlrev_b32 v5, 23, v5
	v_lshrrev_b32_e32 v8, 4, v8
	s_delay_alu instid0(VALU_DEP_1) | instskip(SKIP_1) | instid1(VALU_DEP_2)
	v_sub_nc_u32_e32 v5, v8, v5
	v_ashrrev_i32_e32 v8, 8, v9
	v_add_nc_u32_e32 v5, 0x3c000000, v5
	s_delay_alu instid0(VALU_DEP_1) | instskip(NEXT) | instid1(VALU_DEP_1)
	v_and_or_b32 v5, 0x7f800000, v8, v5
	v_cndmask_b32_e32 v3, 0, v5, vcc_lo
	s_delay_alu instid0(VALU_DEP_1)
	v_and_or_b32 v1, 0x80000000, v1, v3
.LBB119_93:
	s_mov_b32 s28, 0
.LBB119_94:
	s_delay_alu instid0(SALU_CYCLE_1)
	s_and_not1_b32 vcc_lo, exec_lo, s28
	s_cbranch_vccnz .LBB119_96
; %bb.95:
	global_load_u8 v1, v[6:7], off
	s_wait_loadcnt 0x0
	v_lshlrev_b32_e32 v3, 25, v1
	v_lshlrev_b16 v1, 8, v1
	s_delay_alu instid0(VALU_DEP_1) | instskip(SKIP_1) | instid1(VALU_DEP_2)
	v_and_or_b32 v8, 0x7f00, v1, 0.5
	v_bfe_i32 v1, v1, 0, 16
	v_dual_add_f32 v8, -0.5, v8 :: v_dual_lshrrev_b32 v5, 4, v3
	v_cmp_gt_u32_e32 vcc_lo, 0x8000000, v3
	s_delay_alu instid0(VALU_DEP_2) | instskip(NEXT) | instid1(VALU_DEP_1)
	v_or_b32_e32 v5, 0x70000000, v5
	v_mul_f32_e32 v5, 0x7800000, v5
	s_delay_alu instid0(VALU_DEP_1) | instskip(NEXT) | instid1(VALU_DEP_1)
	v_cndmask_b32_e32 v3, v5, v8, vcc_lo
	v_and_or_b32 v1, 0x80000000, v1, v3
.LBB119_96:
	s_mov_b32 s29, 0
	s_mov_b32 s28, -1
.LBB119_97:
	s_and_not1_b32 vcc_lo, exec_lo, s29
	s_cbranch_vccnz .LBB119_110
; %bb.98:
	s_cmp_gt_i32 s27, 14
	s_cbranch_scc0 .LBB119_101
; %bb.99:
	s_cmp_eq_u32 s27, 15
	s_cbranch_scc0 .LBB119_104
; %bb.100:
	global_load_u16 v1, v[6:7], off
	s_mov_b32 s28, -1
	s_mov_b32 s26, 0
	s_wait_loadcnt 0x0
	v_lshlrev_b32_e32 v1, 16, v1
	s_branch .LBB119_105
.LBB119_101:
	s_mov_b32 s29, -1
                                        ; implicit-def: $vgpr1
	s_branch .LBB119_106
.LBB119_102:
	s_or_saveexec_b32 s29, s29
	v_mov_b32_e32 v1, 0x7f800001
	s_xor_b32 exec_lo, exec_lo, s29
	s_cbranch_execz .LBB119_83
.LBB119_103:
	v_cmp_ne_u16_e32 vcc_lo, 0, v3
	v_mov_b32_e32 v1, 0
	s_and_not1_b32 s28, s28, exec_lo
	s_and_b32 s42, vcc_lo, exec_lo
	s_delay_alu instid0(SALU_CYCLE_1)
	s_or_b32 s28, s28, s42
	s_or_b32 exec_lo, exec_lo, s29
	s_and_saveexec_b32 s29, s28
	s_cbranch_execnz .LBB119_84
	s_branch .LBB119_85
.LBB119_104:
	s_mov_b32 s26, -1
                                        ; implicit-def: $vgpr1
.LBB119_105:
	s_mov_b32 s29, 0
.LBB119_106:
	s_delay_alu instid0(SALU_CYCLE_1)
	s_and_b32 vcc_lo, exec_lo, s29
	s_cbranch_vccz .LBB119_110
; %bb.107:
	s_cmp_eq_u32 s27, 11
	s_cbranch_scc0 .LBB119_109
; %bb.108:
	global_load_u8 v1, v[6:7], off
	s_mov_b32 s26, 0
	s_mov_b32 s28, -1
	s_wait_loadcnt 0x0
	v_cmp_ne_u16_e32 vcc_lo, 0, v1
	v_cndmask_b32_e64 v1, 0, 1.0, vcc_lo
	s_branch .LBB119_110
.LBB119_109:
	s_mov_b32 s26, -1
                                        ; implicit-def: $vgpr1
.LBB119_110:
	s_branch .LBB119_159
.LBB119_111:
	s_and_b32 s0, 0xffff, s0
	s_delay_alu instid0(SALU_CYCLE_1)
	s_cmp_lt_i32 s0, 5
	s_cbranch_scc1 .LBB119_116
; %bb.112:
	s_cmp_lt_i32 s0, 8
	s_cbranch_scc1 .LBB119_117
; %bb.113:
	;; [unrolled: 3-line block ×3, first 2 shown]
	s_cmp_gt_i32 s0, 9
	s_cbranch_scc0 .LBB119_119
; %bb.115:
	global_load_b64 v[8:9], v[6:7], off
	s_mov_b32 s27, 0
	s_wait_loadcnt 0x0
	v_cvt_f32_f64_e32 v1, v[8:9]
	s_branch .LBB119_120
.LBB119_116:
	s_mov_b32 s27, -1
                                        ; implicit-def: $vgpr1
	s_branch .LBB119_138
.LBB119_117:
	s_mov_b32 s27, -1
                                        ; implicit-def: $vgpr1
	s_branch .LBB119_126
.LBB119_118:
	s_mov_b32 s27, -1
                                        ; implicit-def: $vgpr1
	s_branch .LBB119_123
.LBB119_119:
	s_mov_b32 s27, -1
                                        ; implicit-def: $vgpr1
.LBB119_120:
	s_delay_alu instid0(SALU_CYCLE_1)
	s_and_not1_b32 vcc_lo, exec_lo, s27
	s_cbranch_vccnz .LBB119_122
; %bb.121:
	global_load_b32 v1, v[6:7], off
.LBB119_122:
	s_mov_b32 s27, 0
.LBB119_123:
	s_delay_alu instid0(SALU_CYCLE_1)
	s_and_not1_b32 vcc_lo, exec_lo, s27
	s_cbranch_vccnz .LBB119_125
; %bb.124:
	s_wait_loadcnt 0x0
	global_load_b32 v1, v[6:7], off
	s_wait_loadcnt 0x0
	v_cvt_f32_f16_e32 v1, v1
.LBB119_125:
	s_mov_b32 s27, 0
.LBB119_126:
	s_delay_alu instid0(SALU_CYCLE_1)
	s_and_not1_b32 vcc_lo, exec_lo, s27
	s_cbranch_vccnz .LBB119_137
; %bb.127:
	s_cmp_lt_i32 s0, 6
	s_cbranch_scc1 .LBB119_130
; %bb.128:
	s_cmp_gt_i32 s0, 6
	s_cbranch_scc0 .LBB119_131
; %bb.129:
	global_load_b64 v[8:9], v[6:7], off
	s_mov_b32 s27, 0
	s_wait_loadcnt 0x0
	v_cvt_f32_f64_e32 v1, v[8:9]
	s_branch .LBB119_132
.LBB119_130:
	s_mov_b32 s27, -1
                                        ; implicit-def: $vgpr1
	s_branch .LBB119_135
.LBB119_131:
	s_mov_b32 s27, -1
                                        ; implicit-def: $vgpr1
.LBB119_132:
	s_delay_alu instid0(SALU_CYCLE_1)
	s_and_not1_b32 vcc_lo, exec_lo, s27
	s_cbranch_vccnz .LBB119_134
; %bb.133:
	s_wait_loadcnt 0x0
	global_load_b32 v1, v[6:7], off
.LBB119_134:
	s_mov_b32 s27, 0
.LBB119_135:
	s_delay_alu instid0(SALU_CYCLE_1)
	s_and_not1_b32 vcc_lo, exec_lo, s27
	s_cbranch_vccnz .LBB119_137
; %bb.136:
	s_wait_loadcnt 0x0
	global_load_u16 v1, v[6:7], off
	s_wait_loadcnt 0x0
	v_cvt_f32_f16_e32 v1, v1
.LBB119_137:
	s_mov_b32 s27, 0
.LBB119_138:
	s_delay_alu instid0(SALU_CYCLE_1)
	s_and_not1_b32 vcc_lo, exec_lo, s27
	s_cbranch_vccnz .LBB119_158
; %bb.139:
	s_cmp_lt_i32 s0, 2
	s_cbranch_scc1 .LBB119_143
; %bb.140:
	s_cmp_lt_i32 s0, 3
	s_cbranch_scc1 .LBB119_144
; %bb.141:
	s_cmp_gt_i32 s0, 3
	s_cbranch_scc0 .LBB119_145
; %bb.142:
	global_load_b64 v[8:9], v[6:7], off
	s_mov_b32 s27, 0
	s_wait_loadcnt 0x0
	v_xor_b32_e32 v1, v8, v9
	v_cls_i32_e32 v3, v9
	s_delay_alu instid0(VALU_DEP_2) | instskip(NEXT) | instid1(VALU_DEP_1)
	v_ashrrev_i32_e32 v1, 31, v1
	v_add_nc_u32_e32 v1, 32, v1
	s_delay_alu instid0(VALU_DEP_1) | instskip(NEXT) | instid1(VALU_DEP_1)
	v_add_min_u32_e64 v1, v3, -1, v1
	v_lshlrev_b64_e32 v[8:9], v1, v[8:9]
	v_sub_nc_u32_e32 v1, 32, v1
	s_delay_alu instid0(VALU_DEP_2) | instskip(NEXT) | instid1(VALU_DEP_1)
	v_min_u32_e32 v3, 1, v8
	v_or_b32_e32 v3, v9, v3
	s_delay_alu instid0(VALU_DEP_1) | instskip(NEXT) | instid1(VALU_DEP_1)
	v_cvt_f32_i32_e32 v3, v3
	v_ldexp_f32 v1, v3, v1
	s_branch .LBB119_146
.LBB119_143:
	s_mov_b32 s27, -1
                                        ; implicit-def: $vgpr1
	s_branch .LBB119_152
.LBB119_144:
	s_mov_b32 s27, -1
                                        ; implicit-def: $vgpr1
	s_branch .LBB119_149
.LBB119_145:
	s_mov_b32 s27, -1
                                        ; implicit-def: $vgpr1
.LBB119_146:
	s_delay_alu instid0(SALU_CYCLE_1)
	s_and_not1_b32 vcc_lo, exec_lo, s27
	s_cbranch_vccnz .LBB119_148
; %bb.147:
	s_wait_loadcnt 0x0
	global_load_b32 v1, v[6:7], off
	s_wait_loadcnt 0x0
	v_cvt_f32_i32_e32 v1, v1
.LBB119_148:
	s_mov_b32 s27, 0
.LBB119_149:
	s_delay_alu instid0(SALU_CYCLE_1)
	s_and_not1_b32 vcc_lo, exec_lo, s27
	s_cbranch_vccnz .LBB119_151
; %bb.150:
	s_wait_loadcnt 0x0
	global_load_i16 v1, v[6:7], off
	s_wait_loadcnt 0x0
	v_cvt_f32_i32_e32 v1, v1
.LBB119_151:
	s_mov_b32 s27, 0
.LBB119_152:
	s_delay_alu instid0(SALU_CYCLE_1)
	s_and_not1_b32 vcc_lo, exec_lo, s27
	s_cbranch_vccnz .LBB119_158
; %bb.153:
	s_cmp_gt_i32 s0, 0
	s_mov_b32 s0, 0
	s_cbranch_scc0 .LBB119_155
; %bb.154:
	s_wait_loadcnt 0x0
	global_load_i8 v1, v[6:7], off
	s_wait_loadcnt 0x0
	v_cvt_f32_i32_e32 v1, v1
	s_branch .LBB119_156
.LBB119_155:
	s_mov_b32 s0, -1
                                        ; implicit-def: $vgpr1
.LBB119_156:
	s_delay_alu instid0(SALU_CYCLE_1)
	s_and_not1_b32 vcc_lo, exec_lo, s0
	s_cbranch_vccnz .LBB119_158
; %bb.157:
	s_wait_loadcnt 0x0
	global_load_u8 v1, v[6:7], off
	s_wait_loadcnt 0x0
	v_cvt_f32_ubyte0_e32 v1, v1
.LBB119_158:
	s_mov_b32 s28, -1
.LBB119_159:
	s_mov_b32 s27, 0
	s_mov_b32 s0, 0
	s_and_not1_b32 vcc_lo, exec_lo, s28
	s_mov_b32 s28, 0
	s_mov_b32 s29, 0
	s_cbranch_vccnz .LBB119_412
; %bb.160:
	v_mov_b32_e32 v5, 0
	s_and_b32 s0, 0xffff, s9
	s_delay_alu instid0(SALU_CYCLE_1) | instskip(NEXT) | instid1(VALU_DEP_1)
	s_cmp_lt_i32 s0, 11
	v_add_nc_u64_e32 v[4:5], s[6:7], v[4:5]
	s_cbranch_scc1 .LBB119_167
; %bb.161:
	s_cmp_gt_i32 s0, 25
	s_cbranch_scc0 .LBB119_168
; %bb.162:
	s_cmp_gt_i32 s0, 28
	s_cbranch_scc0 .LBB119_169
	;; [unrolled: 3-line block ×4, first 2 shown]
; %bb.165:
	s_cmp_eq_u32 s0, 46
	s_mov_b32 s42, 0
	s_cbranch_scc0 .LBB119_172
; %bb.166:
	global_load_b32 v3, v[4:5], off
	s_mov_b32 s29, -1
	s_wait_loadcnt 0x0
	v_lshlrev_b32_e32 v6, 16, v3
	s_branch .LBB119_174
.LBB119_167:
	s_mov_b32 s42, -1
                                        ; implicit-def: $vgpr6
	s_branch .LBB119_239
.LBB119_168:
	s_mov_b32 s42, -1
                                        ; implicit-def: $vgpr6
	s_branch .LBB119_203
.LBB119_169:
	s_mov_b32 s42, -1
                                        ; implicit-def: $vgpr6
	s_branch .LBB119_184
.LBB119_170:
	s_mov_b32 s42, -1
                                        ; implicit-def: $vgpr6
	s_branch .LBB119_179
.LBB119_171:
	s_mov_b32 s42, -1
	s_branch .LBB119_173
.LBB119_172:
	s_mov_b32 s28, -1
.LBB119_173:
                                        ; implicit-def: $vgpr6
.LBB119_174:
	s_and_b32 vcc_lo, exec_lo, s42
	s_cbranch_vccz .LBB119_178
; %bb.175:
	s_cmp_eq_u32 s0, 44
	s_cbranch_scc0 .LBB119_177
; %bb.176:
	global_load_u8 v3, v[4:5], off
	s_mov_b32 s28, 0
	s_mov_b32 s29, -1
	s_wait_loadcnt 0x0
	v_lshlrev_b32_e32 v6, 23, v3
	v_cmp_ne_u32_e32 vcc_lo, 0xff, v3
	s_delay_alu instid0(VALU_DEP_2) | instskip(SKIP_1) | instid1(VALU_DEP_2)
	v_cndmask_b32_e32 v6, 0x7f800001, v6, vcc_lo
	v_cmp_ne_u32_e32 vcc_lo, 0, v3
	v_cndmask_b32_e32 v6, 0x400000, v6, vcc_lo
	s_branch .LBB119_178
.LBB119_177:
	s_mov_b32 s28, -1
                                        ; implicit-def: $vgpr6
.LBB119_178:
	s_mov_b32 s42, 0
.LBB119_179:
	s_delay_alu instid0(SALU_CYCLE_1)
	s_and_b32 vcc_lo, exec_lo, s42
	s_cbranch_vccz .LBB119_183
; %bb.180:
	s_cmp_eq_u32 s0, 29
	s_cbranch_scc0 .LBB119_182
; %bb.181:
	global_load_b64 v[6:7], v[4:5], off
	s_mov_b32 s29, -1
	s_mov_b32 s28, 0
	s_mov_b32 s42, 0
	s_wait_loadcnt 0x0
	v_clz_i32_u32_e32 v3, v7
	s_delay_alu instid0(VALU_DEP_1) | instskip(NEXT) | instid1(VALU_DEP_1)
	v_min_u32_e32 v3, 32, v3
	v_lshlrev_b64_e32 v[6:7], v3, v[6:7]
	v_sub_nc_u32_e32 v3, 32, v3
	s_delay_alu instid0(VALU_DEP_2) | instskip(NEXT) | instid1(VALU_DEP_1)
	v_min_u32_e32 v6, 1, v6
	v_or_b32_e32 v6, v7, v6
	s_delay_alu instid0(VALU_DEP_1) | instskip(NEXT) | instid1(VALU_DEP_1)
	v_cvt_f32_u32_e32 v6, v6
	v_ldexp_f32 v6, v6, v3
	s_branch .LBB119_184
.LBB119_182:
	s_mov_b32 s28, -1
                                        ; implicit-def: $vgpr6
.LBB119_183:
	s_mov_b32 s42, 0
.LBB119_184:
	s_delay_alu instid0(SALU_CYCLE_1)
	s_and_b32 vcc_lo, exec_lo, s42
	s_cbranch_vccz .LBB119_202
; %bb.185:
	s_cmp_lt_i32 s0, 27
	s_cbranch_scc1 .LBB119_188
; %bb.186:
	s_cmp_gt_i32 s0, 27
	s_cbranch_scc0 .LBB119_189
; %bb.187:
	global_load_b32 v3, v[4:5], off
	s_mov_b32 s29, 0
	s_wait_loadcnt 0x0
	v_cvt_f32_u32_e32 v6, v3
	s_branch .LBB119_190
.LBB119_188:
	s_mov_b32 s29, -1
                                        ; implicit-def: $vgpr6
	s_branch .LBB119_193
.LBB119_189:
	s_mov_b32 s29, -1
                                        ; implicit-def: $vgpr6
.LBB119_190:
	s_delay_alu instid0(SALU_CYCLE_1)
	s_and_not1_b32 vcc_lo, exec_lo, s29
	s_cbranch_vccnz .LBB119_192
; %bb.191:
	global_load_u16 v3, v[4:5], off
	s_wait_loadcnt 0x0
	v_cvt_f32_u32_e32 v6, v3
.LBB119_192:
	s_mov_b32 s29, 0
.LBB119_193:
	s_delay_alu instid0(SALU_CYCLE_1)
	s_and_not1_b32 vcc_lo, exec_lo, s29
	s_cbranch_vccnz .LBB119_201
; %bb.194:
	global_load_u8 v3, v[4:5], off
	s_mov_b32 s29, 0
	s_mov_b32 s42, exec_lo
	s_wait_loadcnt 0x0
	v_cmpx_lt_i16_e32 0x7f, v3
	s_xor_b32 s42, exec_lo, s42
	s_cbranch_execz .LBB119_215
; %bb.195:
	s_mov_b32 s29, -1
	s_mov_b32 s43, exec_lo
	v_cmpx_eq_u16_e32 0x80, v3
; %bb.196:
	s_xor_b32 s29, exec_lo, -1
; %bb.197:
	s_or_b32 exec_lo, exec_lo, s43
	s_delay_alu instid0(SALU_CYCLE_1)
	s_and_b32 s29, s29, exec_lo
	s_or_saveexec_b32 s42, s42
	v_mov_b32_e32 v6, 0x7f800001
	s_xor_b32 exec_lo, exec_lo, s42
	s_cbranch_execnz .LBB119_216
.LBB119_198:
	s_or_b32 exec_lo, exec_lo, s42
	s_and_saveexec_b32 s42, s29
	s_cbranch_execz .LBB119_200
.LBB119_199:
	v_and_b32_e32 v6, 0xffff, v3
	s_delay_alu instid0(VALU_DEP_1) | instskip(SKIP_1) | instid1(VALU_DEP_2)
	v_and_b32_e32 v7, 7, v6
	v_bfe_u32 v10, v6, 3, 4
	v_clz_i32_u32_e32 v8, v7
	s_delay_alu instid0(VALU_DEP_2) | instskip(NEXT) | instid1(VALU_DEP_2)
	v_cmp_eq_u32_e32 vcc_lo, 0, v10
	v_min_u32_e32 v8, 32, v8
	s_delay_alu instid0(VALU_DEP_1) | instskip(NEXT) | instid1(VALU_DEP_1)
	v_subrev_nc_u32_e32 v9, 28, v8
	v_dual_lshlrev_b32 v6, v9, v6 :: v_dual_sub_nc_u32 v8, 29, v8
	s_delay_alu instid0(VALU_DEP_1) | instskip(NEXT) | instid1(VALU_DEP_1)
	v_dual_lshlrev_b32 v3, 24, v3 :: v_dual_bitop2_b32 v6, 7, v6 bitop3:0x40
	v_dual_cndmask_b32 v8, v10, v8, vcc_lo :: v_dual_cndmask_b32 v6, v7, v6, vcc_lo
	s_delay_alu instid0(VALU_DEP_2) | instskip(NEXT) | instid1(VALU_DEP_2)
	v_and_b32_e32 v3, 0x80000000, v3
	v_lshl_add_u32 v7, v8, 23, 0x3b800000
	s_delay_alu instid0(VALU_DEP_3) | instskip(NEXT) | instid1(VALU_DEP_1)
	v_lshlrev_b32_e32 v6, 20, v6
	v_or3_b32 v6, v3, v7, v6
.LBB119_200:
	s_or_b32 exec_lo, exec_lo, s42
.LBB119_201:
	s_mov_b32 s29, -1
.LBB119_202:
	s_mov_b32 s42, 0
.LBB119_203:
	s_delay_alu instid0(SALU_CYCLE_1)
	s_and_b32 vcc_lo, exec_lo, s42
	s_cbranch_vccz .LBB119_238
; %bb.204:
	s_cmp_gt_i32 s0, 22
	s_cbranch_scc0 .LBB119_214
; %bb.205:
	s_cmp_lt_i32 s0, 24
	s_cbranch_scc1 .LBB119_217
; %bb.206:
	s_cmp_gt_i32 s0, 24
	s_cbranch_scc0 .LBB119_218
; %bb.207:
	global_load_u8 v3, v[4:5], off
	s_mov_b32 s29, 0
	s_mov_b32 s42, exec_lo
	s_wait_loadcnt 0x0
	v_cmpx_lt_i16_e32 0x7f, v3
	s_xor_b32 s42, exec_lo, s42
	s_cbranch_execz .LBB119_230
; %bb.208:
	s_mov_b32 s29, -1
	s_mov_b32 s43, exec_lo
	v_cmpx_eq_u16_e32 0x80, v3
; %bb.209:
	s_xor_b32 s29, exec_lo, -1
; %bb.210:
	s_or_b32 exec_lo, exec_lo, s43
	s_delay_alu instid0(SALU_CYCLE_1)
	s_and_b32 s29, s29, exec_lo
	s_or_saveexec_b32 s42, s42
	v_mov_b32_e32 v6, 0x7f800001
	s_xor_b32 exec_lo, exec_lo, s42
	s_cbranch_execnz .LBB119_231
.LBB119_211:
	s_or_b32 exec_lo, exec_lo, s42
	s_and_saveexec_b32 s42, s29
	s_cbranch_execz .LBB119_213
.LBB119_212:
	v_and_b32_e32 v6, 0xffff, v3
	s_delay_alu instid0(VALU_DEP_1) | instskip(SKIP_1) | instid1(VALU_DEP_2)
	v_and_b32_e32 v7, 3, v6
	v_bfe_u32 v10, v6, 2, 5
	v_clz_i32_u32_e32 v8, v7
	s_delay_alu instid0(VALU_DEP_2) | instskip(NEXT) | instid1(VALU_DEP_2)
	v_cmp_eq_u32_e32 vcc_lo, 0, v10
	v_min_u32_e32 v8, 32, v8
	s_delay_alu instid0(VALU_DEP_1) | instskip(NEXT) | instid1(VALU_DEP_1)
	v_subrev_nc_u32_e32 v9, 29, v8
	v_dual_lshlrev_b32 v6, v9, v6 :: v_dual_sub_nc_u32 v8, 30, v8
	s_delay_alu instid0(VALU_DEP_1) | instskip(NEXT) | instid1(VALU_DEP_1)
	v_dual_lshlrev_b32 v3, 24, v3 :: v_dual_bitop2_b32 v6, 3, v6 bitop3:0x40
	v_dual_cndmask_b32 v8, v10, v8, vcc_lo :: v_dual_cndmask_b32 v6, v7, v6, vcc_lo
	s_delay_alu instid0(VALU_DEP_2) | instskip(NEXT) | instid1(VALU_DEP_2)
	v_and_b32_e32 v3, 0x80000000, v3
	v_lshl_add_u32 v7, v8, 23, 0x37800000
	s_delay_alu instid0(VALU_DEP_3) | instskip(NEXT) | instid1(VALU_DEP_1)
	v_lshlrev_b32_e32 v6, 21, v6
	v_or3_b32 v6, v3, v7, v6
.LBB119_213:
	s_or_b32 exec_lo, exec_lo, s42
	s_mov_b32 s29, 0
	s_branch .LBB119_219
.LBB119_214:
	s_mov_b32 s42, -1
                                        ; implicit-def: $vgpr6
	s_branch .LBB119_225
.LBB119_215:
	s_or_saveexec_b32 s42, s42
	v_mov_b32_e32 v6, 0x7f800001
	s_xor_b32 exec_lo, exec_lo, s42
	s_cbranch_execz .LBB119_198
.LBB119_216:
	v_cmp_ne_u16_e32 vcc_lo, 0, v3
	v_mov_b32_e32 v6, 0
	s_and_not1_b32 s29, s29, exec_lo
	s_and_b32 s43, vcc_lo, exec_lo
	s_delay_alu instid0(SALU_CYCLE_1)
	s_or_b32 s29, s29, s43
	s_or_b32 exec_lo, exec_lo, s42
	s_and_saveexec_b32 s42, s29
	s_cbranch_execnz .LBB119_199
	s_branch .LBB119_200
.LBB119_217:
	s_mov_b32 s29, -1
                                        ; implicit-def: $vgpr6
	s_branch .LBB119_222
.LBB119_218:
	s_mov_b32 s29, -1
                                        ; implicit-def: $vgpr6
.LBB119_219:
	s_delay_alu instid0(SALU_CYCLE_1)
	s_and_b32 vcc_lo, exec_lo, s29
	s_cbranch_vccz .LBB119_221
; %bb.220:
	global_load_u8 v3, v[4:5], off
	s_wait_loadcnt 0x0
	v_lshlrev_b32_e32 v3, 24, v3
	s_delay_alu instid0(VALU_DEP_1) | instskip(NEXT) | instid1(VALU_DEP_1)
	v_and_b32_e32 v6, 0x7f000000, v3
	v_clz_i32_u32_e32 v7, v6
	v_cmp_ne_u32_e32 vcc_lo, 0, v6
	v_add_nc_u32_e32 v9, 0x1000000, v6
	s_delay_alu instid0(VALU_DEP_3) | instskip(NEXT) | instid1(VALU_DEP_1)
	v_min_u32_e32 v7, 32, v7
	v_sub_nc_u32_e64 v7, v7, 4 clamp
	s_delay_alu instid0(VALU_DEP_1) | instskip(NEXT) | instid1(VALU_DEP_1)
	v_dual_lshlrev_b32 v8, v7, v6 :: v_dual_lshlrev_b32 v7, 23, v7
	v_lshrrev_b32_e32 v8, 4, v8
	s_delay_alu instid0(VALU_DEP_1) | instskip(NEXT) | instid1(VALU_DEP_1)
	v_dual_sub_nc_u32 v7, v8, v7 :: v_dual_ashrrev_i32 v8, 8, v9
	v_add_nc_u32_e32 v7, 0x3c000000, v7
	s_delay_alu instid0(VALU_DEP_1) | instskip(NEXT) | instid1(VALU_DEP_1)
	v_and_or_b32 v7, 0x7f800000, v8, v7
	v_cndmask_b32_e32 v6, 0, v7, vcc_lo
	s_delay_alu instid0(VALU_DEP_1)
	v_and_or_b32 v6, 0x80000000, v3, v6
.LBB119_221:
	s_mov_b32 s29, 0
.LBB119_222:
	s_delay_alu instid0(SALU_CYCLE_1)
	s_and_not1_b32 vcc_lo, exec_lo, s29
	s_cbranch_vccnz .LBB119_224
; %bb.223:
	global_load_u8 v3, v[4:5], off
	s_wait_loadcnt 0x0
	v_lshlrev_b32_e32 v6, 25, v3
	v_lshlrev_b16 v3, 8, v3
	s_delay_alu instid0(VALU_DEP_1) | instskip(SKIP_1) | instid1(VALU_DEP_2)
	v_and_or_b32 v8, 0x7f00, v3, 0.5
	v_bfe_i32 v3, v3, 0, 16
	v_dual_add_f32 v8, -0.5, v8 :: v_dual_lshrrev_b32 v7, 4, v6
	v_cmp_gt_u32_e32 vcc_lo, 0x8000000, v6
	s_delay_alu instid0(VALU_DEP_2) | instskip(NEXT) | instid1(VALU_DEP_1)
	v_or_b32_e32 v7, 0x70000000, v7
	v_mul_f32_e32 v7, 0x7800000, v7
	s_delay_alu instid0(VALU_DEP_1) | instskip(NEXT) | instid1(VALU_DEP_1)
	v_cndmask_b32_e32 v6, v7, v8, vcc_lo
	v_and_or_b32 v6, 0x80000000, v3, v6
.LBB119_224:
	s_mov_b32 s42, 0
	s_mov_b32 s29, -1
.LBB119_225:
	s_and_not1_b32 vcc_lo, exec_lo, s42
	s_cbranch_vccnz .LBB119_238
; %bb.226:
	s_cmp_gt_i32 s0, 14
	s_cbranch_scc0 .LBB119_229
; %bb.227:
	s_cmp_eq_u32 s0, 15
	s_cbranch_scc0 .LBB119_232
; %bb.228:
	global_load_u16 v3, v[4:5], off
	s_mov_b32 s29, -1
	s_mov_b32 s28, 0
	s_wait_loadcnt 0x0
	v_lshlrev_b32_e32 v6, 16, v3
	s_branch .LBB119_233
.LBB119_229:
	s_mov_b32 s42, -1
                                        ; implicit-def: $vgpr6
	s_branch .LBB119_234
.LBB119_230:
	s_or_saveexec_b32 s42, s42
	v_mov_b32_e32 v6, 0x7f800001
	s_xor_b32 exec_lo, exec_lo, s42
	s_cbranch_execz .LBB119_211
.LBB119_231:
	v_cmp_ne_u16_e32 vcc_lo, 0, v3
	v_mov_b32_e32 v6, 0
	s_and_not1_b32 s29, s29, exec_lo
	s_and_b32 s43, vcc_lo, exec_lo
	s_delay_alu instid0(SALU_CYCLE_1)
	s_or_b32 s29, s29, s43
	s_or_b32 exec_lo, exec_lo, s42
	s_and_saveexec_b32 s42, s29
	s_cbranch_execnz .LBB119_212
	s_branch .LBB119_213
.LBB119_232:
	s_mov_b32 s28, -1
                                        ; implicit-def: $vgpr6
.LBB119_233:
	s_mov_b32 s42, 0
.LBB119_234:
	s_delay_alu instid0(SALU_CYCLE_1)
	s_and_b32 vcc_lo, exec_lo, s42
	s_cbranch_vccz .LBB119_238
; %bb.235:
	s_cmp_eq_u32 s0, 11
	s_cbranch_scc0 .LBB119_237
; %bb.236:
	global_load_u8 v3, v[4:5], off
	s_mov_b32 s28, 0
	s_mov_b32 s29, -1
	s_wait_loadcnt 0x0
	v_cmp_ne_u16_e32 vcc_lo, 0, v3
	v_cndmask_b32_e64 v6, 0, 1.0, vcc_lo
	s_branch .LBB119_238
.LBB119_237:
	s_mov_b32 s28, -1
                                        ; implicit-def: $vgpr6
.LBB119_238:
	s_mov_b32 s42, 0
.LBB119_239:
	s_delay_alu instid0(SALU_CYCLE_1)
	s_and_b32 vcc_lo, exec_lo, s42
	s_cbranch_vccz .LBB119_288
; %bb.240:
	s_cmp_lt_i32 s0, 5
	s_cbranch_scc1 .LBB119_245
; %bb.241:
	s_cmp_lt_i32 s0, 8
	s_cbranch_scc1 .LBB119_246
	;; [unrolled: 3-line block ×3, first 2 shown]
; %bb.243:
	s_cmp_gt_i32 s0, 9
	s_cbranch_scc0 .LBB119_248
; %bb.244:
	global_load_b64 v[6:7], v[4:5], off
	s_mov_b32 s29, 0
	s_wait_loadcnt 0x0
	v_cvt_f32_f64_e32 v6, v[6:7]
	s_branch .LBB119_249
.LBB119_245:
	s_mov_b32 s29, -1
                                        ; implicit-def: $vgpr6
	s_branch .LBB119_267
.LBB119_246:
	s_mov_b32 s29, -1
                                        ; implicit-def: $vgpr6
	s_branch .LBB119_255
.LBB119_247:
	s_mov_b32 s29, -1
                                        ; implicit-def: $vgpr6
	s_branch .LBB119_252
.LBB119_248:
	s_mov_b32 s29, -1
                                        ; implicit-def: $vgpr6
.LBB119_249:
	s_delay_alu instid0(SALU_CYCLE_1)
	s_and_not1_b32 vcc_lo, exec_lo, s29
	s_cbranch_vccnz .LBB119_251
; %bb.250:
	global_load_b32 v6, v[4:5], off
.LBB119_251:
	s_mov_b32 s29, 0
.LBB119_252:
	s_delay_alu instid0(SALU_CYCLE_1)
	s_and_not1_b32 vcc_lo, exec_lo, s29
	s_cbranch_vccnz .LBB119_254
; %bb.253:
	global_load_b32 v3, v[4:5], off
	s_wait_loadcnt 0x0
	v_cvt_f32_f16_e32 v6, v3
.LBB119_254:
	s_mov_b32 s29, 0
.LBB119_255:
	s_delay_alu instid0(SALU_CYCLE_1)
	s_and_not1_b32 vcc_lo, exec_lo, s29
	s_cbranch_vccnz .LBB119_266
; %bb.256:
	s_cmp_lt_i32 s0, 6
	s_cbranch_scc1 .LBB119_259
; %bb.257:
	s_cmp_gt_i32 s0, 6
	s_cbranch_scc0 .LBB119_260
; %bb.258:
	s_wait_loadcnt 0x0
	global_load_b64 v[6:7], v[4:5], off
	s_mov_b32 s29, 0
	s_wait_loadcnt 0x0
	v_cvt_f32_f64_e32 v6, v[6:7]
	s_branch .LBB119_261
.LBB119_259:
	s_mov_b32 s29, -1
                                        ; implicit-def: $vgpr6
	s_branch .LBB119_264
.LBB119_260:
	s_mov_b32 s29, -1
                                        ; implicit-def: $vgpr6
.LBB119_261:
	s_delay_alu instid0(SALU_CYCLE_1)
	s_and_not1_b32 vcc_lo, exec_lo, s29
	s_cbranch_vccnz .LBB119_263
; %bb.262:
	s_wait_loadcnt 0x0
	global_load_b32 v6, v[4:5], off
.LBB119_263:
	s_mov_b32 s29, 0
.LBB119_264:
	s_delay_alu instid0(SALU_CYCLE_1)
	s_and_not1_b32 vcc_lo, exec_lo, s29
	s_cbranch_vccnz .LBB119_266
; %bb.265:
	global_load_u16 v3, v[4:5], off
	s_wait_loadcnt 0x0
	v_cvt_f32_f16_e32 v6, v3
.LBB119_266:
	s_mov_b32 s29, 0
.LBB119_267:
	s_delay_alu instid0(SALU_CYCLE_1)
	s_and_not1_b32 vcc_lo, exec_lo, s29
	s_cbranch_vccnz .LBB119_287
; %bb.268:
	s_cmp_lt_i32 s0, 2
	s_cbranch_scc1 .LBB119_272
; %bb.269:
	s_cmp_lt_i32 s0, 3
	s_cbranch_scc1 .LBB119_273
; %bb.270:
	s_cmp_gt_i32 s0, 3
	s_cbranch_scc0 .LBB119_274
; %bb.271:
	s_wait_loadcnt 0x0
	global_load_b64 v[6:7], v[4:5], off
	s_mov_b32 s29, 0
	s_wait_loadcnt 0x0
	v_xor_b32_e32 v3, v6, v7
	v_cls_i32_e32 v8, v7
	s_delay_alu instid0(VALU_DEP_2) | instskip(NEXT) | instid1(VALU_DEP_1)
	v_ashrrev_i32_e32 v3, 31, v3
	v_add_nc_u32_e32 v3, 32, v3
	s_delay_alu instid0(VALU_DEP_1) | instskip(NEXT) | instid1(VALU_DEP_1)
	v_add_min_u32_e64 v3, v8, -1, v3
	v_lshlrev_b64_e32 v[6:7], v3, v[6:7]
	v_sub_nc_u32_e32 v3, 32, v3
	s_delay_alu instid0(VALU_DEP_2) | instskip(NEXT) | instid1(VALU_DEP_1)
	v_min_u32_e32 v6, 1, v6
	v_or_b32_e32 v6, v7, v6
	s_delay_alu instid0(VALU_DEP_1) | instskip(NEXT) | instid1(VALU_DEP_1)
	v_cvt_f32_i32_e32 v6, v6
	v_ldexp_f32 v6, v6, v3
	s_branch .LBB119_275
.LBB119_272:
	s_mov_b32 s29, -1
                                        ; implicit-def: $vgpr6
	s_branch .LBB119_281
.LBB119_273:
	s_mov_b32 s29, -1
                                        ; implicit-def: $vgpr6
	s_branch .LBB119_278
.LBB119_274:
	s_mov_b32 s29, -1
                                        ; implicit-def: $vgpr6
.LBB119_275:
	s_delay_alu instid0(SALU_CYCLE_1)
	s_and_not1_b32 vcc_lo, exec_lo, s29
	s_cbranch_vccnz .LBB119_277
; %bb.276:
	global_load_b32 v3, v[4:5], off
	s_wait_loadcnt 0x0
	v_cvt_f32_i32_e32 v6, v3
.LBB119_277:
	s_mov_b32 s29, 0
.LBB119_278:
	s_delay_alu instid0(SALU_CYCLE_1)
	s_and_not1_b32 vcc_lo, exec_lo, s29
	s_cbranch_vccnz .LBB119_280
; %bb.279:
	global_load_i16 v3, v[4:5], off
	s_wait_loadcnt 0x0
	v_cvt_f32_i32_e32 v6, v3
.LBB119_280:
	s_mov_b32 s29, 0
.LBB119_281:
	s_delay_alu instid0(SALU_CYCLE_1)
	s_and_not1_b32 vcc_lo, exec_lo, s29
	s_cbranch_vccnz .LBB119_287
; %bb.282:
	s_cmp_gt_i32 s0, 0
	s_mov_b32 s0, 0
	s_cbranch_scc0 .LBB119_284
; %bb.283:
	global_load_i8 v3, v[4:5], off
	s_wait_loadcnt 0x0
	v_cvt_f32_i32_e32 v6, v3
	s_branch .LBB119_285
.LBB119_284:
	s_mov_b32 s0, -1
                                        ; implicit-def: $vgpr6
.LBB119_285:
	s_delay_alu instid0(SALU_CYCLE_1)
	s_and_not1_b32 vcc_lo, exec_lo, s0
	s_cbranch_vccnz .LBB119_287
; %bb.286:
	global_load_u8 v3, v[4:5], off
	s_wait_loadcnt 0x0
	v_cvt_f32_ubyte0_e32 v6, v3
.LBB119_287:
	s_mov_b32 s29, -1
.LBB119_288:
	s_delay_alu instid0(SALU_CYCLE_1)
	s_and_not1_b32 vcc_lo, exec_lo, s29
	s_cbranch_vccnz .LBB119_296
; %bb.289:
	s_wait_loadcnt 0x0
	s_delay_alu instid0(VALU_DEP_3) | instskip(SKIP_1) | instid1(SALU_CYCLE_1)
	v_dual_mov_b32 v3, 0 :: v_dual_mul_f32 v1, s16, v1
	s_and_b32 s29, s17, 0xff
	s_cmp_lt_i32 s29, 11
	s_delay_alu instid0(VALU_DEP_1) | instskip(NEXT) | instid1(VALU_DEP_2)
	v_add_nc_u64_e32 v[2:3], s[18:19], v[2:3]
	v_mul_f32_e32 v4, v1, v6
	s_cbranch_scc1 .LBB119_297
; %bb.290:
	s_and_b32 s42, 0xffff, s29
	s_delay_alu instid0(SALU_CYCLE_1)
	s_cmp_gt_i32 s42, 25
	s_cbranch_scc0 .LBB119_298
; %bb.291:
	s_cmp_gt_i32 s42, 28
	s_cbranch_scc0 .LBB119_299
; %bb.292:
	;; [unrolled: 3-line block ×4, first 2 shown]
	s_mov_b32 s44, 0
	s_mov_b32 s0, -1
	s_cmp_eq_u32 s42, 46
	s_mov_b32 s43, 0
	s_cbranch_scc0 .LBB119_302
; %bb.295:
	v_bfe_u32 v1, v4, 16, 1
	v_cmp_o_f32_e32 vcc_lo, v4, v4
	s_mov_b32 s43, -1
	s_mov_b32 s0, 0
	s_delay_alu instid0(VALU_DEP_2) | instskip(NEXT) | instid1(VALU_DEP_1)
	v_add3_u32 v1, v4, v1, 0x7fff
	v_lshrrev_b32_e32 v1, 16, v1
	s_delay_alu instid0(VALU_DEP_1)
	v_cndmask_b32_e32 v1, 0x7fc0, v1, vcc_lo
	global_store_b32 v[2:3], v1, off
	s_branch .LBB119_302
.LBB119_296:
	s_mov_b32 s0, 0
	s_branch .LBB119_38
.LBB119_297:
	s_mov_b32 s42, -1
	s_mov_b32 s0, 0
	s_mov_b32 s43, 0
	s_branch .LBB119_371
.LBB119_298:
	s_mov_b32 s44, -1
	s_mov_b32 s0, 0
	s_mov_b32 s43, 0
	s_branch .LBB119_329
.LBB119_299:
	s_mov_b32 s44, -1
	s_mov_b32 s0, 0
	s_mov_b32 s43, 0
	s_branch .LBB119_312
.LBB119_300:
	s_mov_b32 s44, -1
	s_mov_b32 s0, 0
	s_mov_b32 s43, 0
	s_branch .LBB119_308
.LBB119_301:
	s_mov_b32 s44, -1
	s_mov_b32 s0, 0
	s_mov_b32 s43, 0
.LBB119_302:
	s_and_b32 vcc_lo, exec_lo, s44
	s_cbranch_vccz .LBB119_307
; %bb.303:
	s_cmp_eq_u32 s42, 44
	s_mov_b32 s0, -1
	s_cbranch_scc0 .LBB119_307
; %bb.304:
	v_bfe_u32 v5, v4, 23, 8
	s_wait_xcnt 0x0
	v_mov_b32_e32 v1, 0xff
	s_mov_b32 s43, exec_lo
	s_delay_alu instid0(VALU_DEP_2)
	v_cmpx_ne_u32_e32 0xff, v5
	s_cbranch_execz .LBB119_306
; %bb.305:
	v_and_b32_e32 v1, 0x400000, v4
	v_and_or_b32 v5, 0x3fffff, v4, v5
	s_delay_alu instid0(VALU_DEP_2) | instskip(NEXT) | instid1(VALU_DEP_2)
	v_cmp_ne_u32_e32 vcc_lo, 0, v1
	v_cmp_ne_u32_e64 s0, 0, v5
	v_lshrrev_b32_e32 v1, 23, v4
	s_and_b32 s0, vcc_lo, s0
	s_delay_alu instid0(SALU_CYCLE_1) | instskip(NEXT) | instid1(VALU_DEP_1)
	v_cndmask_b32_e64 v5, 0, 1, s0
	v_add_nc_u32_e32 v1, v1, v5
.LBB119_306:
	s_or_b32 exec_lo, exec_lo, s43
	s_mov_b32 s43, -1
	s_mov_b32 s0, 0
	global_store_b8 v[2:3], v1, off
.LBB119_307:
	s_mov_b32 s44, 0
.LBB119_308:
	s_delay_alu instid0(SALU_CYCLE_1)
	s_and_b32 vcc_lo, exec_lo, s44
	s_cbranch_vccz .LBB119_311
; %bb.309:
	s_cmp_eq_u32 s42, 29
	s_mov_b32 s0, -1
	s_cbranch_scc0 .LBB119_311
; %bb.310:
	s_wait_xcnt 0x0
	v_trunc_f32_e32 v1, v4
	s_mov_b32 s43, -1
	s_mov_b32 s0, 0
	s_mov_b32 s44, 0
	s_delay_alu instid0(VALU_DEP_1) | instskip(NEXT) | instid1(VALU_DEP_1)
	v_mul_f32_e32 v5, 0x2f800000, v1
	v_floor_f32_e32 v5, v5
	s_delay_alu instid0(VALU_DEP_1) | instskip(SKIP_1) | instid1(VALU_DEP_2)
	v_fmamk_f32 v1, v5, 0xcf800000, v1
	v_cvt_u32_f32_e32 v7, v5
	v_cvt_u32_f32_e32 v6, v1
	global_store_b64 v[2:3], v[6:7], off
	s_branch .LBB119_312
.LBB119_311:
	s_mov_b32 s44, 0
.LBB119_312:
	s_delay_alu instid0(SALU_CYCLE_1)
	s_and_b32 vcc_lo, exec_lo, s44
	s_cbranch_vccz .LBB119_328
; %bb.313:
	s_cmp_lt_i32 s42, 27
	s_mov_b32 s43, -1
	s_cbranch_scc1 .LBB119_319
; %bb.314:
	s_wait_xcnt 0x0
	v_cvt_u32_f32_e32 v1, v4
	s_cmp_gt_i32 s42, 27
	s_cbranch_scc0 .LBB119_316
; %bb.315:
	s_mov_b32 s43, 0
	global_store_b32 v[2:3], v1, off
.LBB119_316:
	s_and_not1_b32 vcc_lo, exec_lo, s43
	s_cbranch_vccnz .LBB119_318
; %bb.317:
	global_store_b16 v[2:3], v1, off
.LBB119_318:
	s_mov_b32 s43, 0
.LBB119_319:
	s_delay_alu instid0(SALU_CYCLE_1)
	s_and_not1_b32 vcc_lo, exec_lo, s43
	s_cbranch_vccnz .LBB119_327
; %bb.320:
	s_wait_xcnt 0x0
	v_and_b32_e32 v1, 0x7fffffff, v4
	v_mov_b32_e32 v5, 0x80
	s_mov_b32 s43, exec_lo
	s_delay_alu instid0(VALU_DEP_2)
	v_cmpx_gt_u32_e32 0x43800000, v1
	s_cbranch_execz .LBB119_326
; %bb.321:
	v_cmp_lt_u32_e32 vcc_lo, 0x3bffffff, v1
	s_mov_b32 s44, 0
                                        ; implicit-def: $vgpr1
	s_and_saveexec_b32 s45, vcc_lo
	s_delay_alu instid0(SALU_CYCLE_1)
	s_xor_b32 s45, exec_lo, s45
	s_cbranch_execz .LBB119_458
; %bb.322:
	v_bfe_u32 v1, v4, 20, 1
	s_mov_b32 s44, exec_lo
	s_delay_alu instid0(VALU_DEP_1) | instskip(NEXT) | instid1(VALU_DEP_1)
	v_add3_u32 v1, v4, v1, 0x487ffff
	v_lshrrev_b32_e32 v1, 20, v1
	s_and_not1_saveexec_b32 s45, s45
	s_cbranch_execnz .LBB119_459
.LBB119_323:
	s_or_b32 exec_lo, exec_lo, s45
	v_mov_b32_e32 v5, 0
	s_and_saveexec_b32 s45, s44
.LBB119_324:
	v_lshrrev_b32_e32 v5, 24, v4
	s_delay_alu instid0(VALU_DEP_1)
	v_and_or_b32 v5, 0x80, v5, v1
.LBB119_325:
	s_or_b32 exec_lo, exec_lo, s45
.LBB119_326:
	s_delay_alu instid0(SALU_CYCLE_1)
	s_or_b32 exec_lo, exec_lo, s43
	global_store_b8 v[2:3], v5, off
.LBB119_327:
	s_mov_b32 s43, -1
.LBB119_328:
	s_mov_b32 s44, 0
.LBB119_329:
	s_delay_alu instid0(SALU_CYCLE_1)
	s_and_b32 vcc_lo, exec_lo, s44
	s_cbranch_vccz .LBB119_370
; %bb.330:
	s_cmp_gt_i32 s42, 22
	s_mov_b32 s44, -1
	s_cbranch_scc0 .LBB119_362
; %bb.331:
	s_cmp_lt_i32 s42, 24
	s_mov_b32 s43, -1
	s_cbranch_scc1 .LBB119_351
; %bb.332:
	s_cmp_gt_i32 s42, 24
	s_cbranch_scc0 .LBB119_340
; %bb.333:
	s_wait_xcnt 0x0
	v_and_b32_e32 v1, 0x7fffffff, v4
	v_mov_b32_e32 v5, 0x80
	s_mov_b32 s43, exec_lo
	s_delay_alu instid0(VALU_DEP_2)
	v_cmpx_gt_u32_e32 0x47800000, v1
	s_cbranch_execz .LBB119_339
; %bb.334:
	v_cmp_lt_u32_e32 vcc_lo, 0x37ffffff, v1
	s_mov_b32 s44, 0
                                        ; implicit-def: $vgpr1
	s_and_saveexec_b32 s45, vcc_lo
	s_delay_alu instid0(SALU_CYCLE_1)
	s_xor_b32 s45, exec_lo, s45
	s_cbranch_execz .LBB119_589
; %bb.335:
	v_bfe_u32 v1, v4, 21, 1
	s_mov_b32 s44, exec_lo
	s_delay_alu instid0(VALU_DEP_1) | instskip(NEXT) | instid1(VALU_DEP_1)
	v_add3_u32 v1, v4, v1, 0x88fffff
	v_lshrrev_b32_e32 v1, 21, v1
	s_and_not1_saveexec_b32 s45, s45
	s_cbranch_execnz .LBB119_590
.LBB119_336:
	s_or_b32 exec_lo, exec_lo, s45
	v_mov_b32_e32 v5, 0
	s_and_saveexec_b32 s45, s44
.LBB119_337:
	v_lshrrev_b32_e32 v5, 24, v4
	s_delay_alu instid0(VALU_DEP_1)
	v_and_or_b32 v5, 0x80, v5, v1
.LBB119_338:
	s_or_b32 exec_lo, exec_lo, s45
.LBB119_339:
	s_delay_alu instid0(SALU_CYCLE_1)
	s_or_b32 exec_lo, exec_lo, s43
	s_mov_b32 s43, 0
	global_store_b8 v[2:3], v5, off
.LBB119_340:
	s_and_b32 vcc_lo, exec_lo, s43
	s_cbranch_vccz .LBB119_350
; %bb.341:
	s_wait_xcnt 0x0
	v_and_b32_e32 v5, 0x7fffffff, v4
	s_mov_b32 s43, exec_lo
                                        ; implicit-def: $vgpr1
	s_delay_alu instid0(VALU_DEP_1)
	v_cmpx_gt_u32_e32 0x43f00000, v5
	s_xor_b32 s43, exec_lo, s43
	s_cbranch_execz .LBB119_347
; %bb.342:
	s_mov_b32 s44, exec_lo
                                        ; implicit-def: $vgpr1
	v_cmpx_lt_u32_e32 0x3c7fffff, v5
	s_xor_b32 s44, exec_lo, s44
; %bb.343:
	v_bfe_u32 v1, v4, 20, 1
	s_delay_alu instid0(VALU_DEP_1) | instskip(NEXT) | instid1(VALU_DEP_1)
	v_add3_u32 v1, v4, v1, 0x407ffff
	v_and_b32_e32 v5, 0xff00000, v1
	v_lshrrev_b32_e32 v1, 20, v1
	s_delay_alu instid0(VALU_DEP_2) | instskip(NEXT) | instid1(VALU_DEP_2)
	v_cmp_ne_u32_e32 vcc_lo, 0x7f00000, v5
	v_cndmask_b32_e32 v1, 0x7e, v1, vcc_lo
; %bb.344:
	s_and_not1_saveexec_b32 s44, s44
; %bb.345:
	v_add_f32_e64 v1, 0x46800000, |v4|
; %bb.346:
	s_or_b32 exec_lo, exec_lo, s44
                                        ; implicit-def: $vgpr5
.LBB119_347:
	s_and_not1_saveexec_b32 s43, s43
; %bb.348:
	v_mov_b32_e32 v1, 0x7f
	v_cmp_lt_u32_e32 vcc_lo, 0x7f800000, v5
	s_delay_alu instid0(VALU_DEP_2)
	v_cndmask_b32_e32 v1, 0x7e, v1, vcc_lo
; %bb.349:
	s_or_b32 exec_lo, exec_lo, s43
	v_lshrrev_b32_e32 v5, 24, v4
	s_delay_alu instid0(VALU_DEP_1)
	v_and_or_b32 v1, 0x80, v5, v1
	global_store_b8 v[2:3], v1, off
.LBB119_350:
	s_mov_b32 s43, 0
.LBB119_351:
	s_delay_alu instid0(SALU_CYCLE_1)
	s_and_not1_b32 vcc_lo, exec_lo, s43
	s_cbranch_vccnz .LBB119_361
; %bb.352:
	s_wait_xcnt 0x0
	v_and_b32_e32 v5, 0x7fffffff, v4
	s_mov_b32 s43, exec_lo
                                        ; implicit-def: $vgpr1
	s_delay_alu instid0(VALU_DEP_1)
	v_cmpx_gt_u32_e32 0x47800000, v5
	s_xor_b32 s43, exec_lo, s43
	s_cbranch_execz .LBB119_358
; %bb.353:
	s_mov_b32 s44, exec_lo
                                        ; implicit-def: $vgpr1
	v_cmpx_lt_u32_e32 0x387fffff, v5
	s_xor_b32 s44, exec_lo, s44
; %bb.354:
	v_bfe_u32 v1, v4, 21, 1
	s_delay_alu instid0(VALU_DEP_1) | instskip(NEXT) | instid1(VALU_DEP_1)
	v_add3_u32 v1, v4, v1, 0x80fffff
	v_lshrrev_b32_e32 v1, 21, v1
; %bb.355:
	s_and_not1_saveexec_b32 s44, s44
; %bb.356:
	v_add_f32_e64 v1, 0x43000000, |v4|
; %bb.357:
	s_or_b32 exec_lo, exec_lo, s44
                                        ; implicit-def: $vgpr5
.LBB119_358:
	s_and_not1_saveexec_b32 s43, s43
; %bb.359:
	v_mov_b32_e32 v1, 0x7f
	v_cmp_lt_u32_e32 vcc_lo, 0x7f800000, v5
	s_delay_alu instid0(VALU_DEP_2)
	v_cndmask_b32_e32 v1, 0x7c, v1, vcc_lo
; %bb.360:
	s_or_b32 exec_lo, exec_lo, s43
	v_lshrrev_b32_e32 v5, 24, v4
	s_delay_alu instid0(VALU_DEP_1)
	v_and_or_b32 v1, 0x80, v5, v1
	global_store_b8 v[2:3], v1, off
.LBB119_361:
	s_mov_b32 s44, 0
	s_mov_b32 s43, -1
.LBB119_362:
	s_and_not1_b32 vcc_lo, exec_lo, s44
	s_cbranch_vccnz .LBB119_370
; %bb.363:
	s_cmp_gt_i32 s42, 14
	s_mov_b32 s44, -1
	s_cbranch_scc0 .LBB119_367
; %bb.364:
	s_cmp_eq_u32 s42, 15
	s_mov_b32 s0, -1
	s_cbranch_scc0 .LBB119_366
; %bb.365:
	s_wait_xcnt 0x0
	v_bfe_u32 v1, v4, 16, 1
	v_cmp_o_f32_e32 vcc_lo, v4, v4
	s_mov_b32 s43, -1
	s_mov_b32 s0, 0
	s_delay_alu instid0(VALU_DEP_2) | instskip(NEXT) | instid1(VALU_DEP_1)
	v_add3_u32 v1, v4, v1, 0x7fff
	v_lshrrev_b32_e32 v1, 16, v1
	s_delay_alu instid0(VALU_DEP_1)
	v_cndmask_b32_e32 v1, 0x7fc0, v1, vcc_lo
	global_store_b16 v[2:3], v1, off
.LBB119_366:
	s_mov_b32 s44, 0
.LBB119_367:
	s_delay_alu instid0(SALU_CYCLE_1)
	s_and_b32 vcc_lo, exec_lo, s44
	s_cbranch_vccz .LBB119_370
; %bb.368:
	s_cmp_eq_u32 s42, 11
	s_mov_b32 s0, -1
	s_cbranch_scc0 .LBB119_370
; %bb.369:
	v_cmp_neq_f32_e32 vcc_lo, 0, v4
	s_mov_b32 s0, 0
	s_mov_b32 s43, -1
	s_wait_xcnt 0x0
	v_cndmask_b32_e64 v1, 0, 1, vcc_lo
	global_store_b8 v[2:3], v1, off
.LBB119_370:
	s_mov_b32 s42, 0
.LBB119_371:
	s_delay_alu instid0(SALU_CYCLE_1)
	s_and_b32 vcc_lo, exec_lo, s42
	s_cbranch_vccz .LBB119_410
; %bb.372:
	s_and_b32 s29, 0xffff, s29
	s_mov_b32 s42, -1
	s_cmp_lt_i32 s29, 5
	s_cbranch_scc1 .LBB119_393
; %bb.373:
	s_cmp_lt_i32 s29, 8
	s_cbranch_scc1 .LBB119_383
; %bb.374:
	;; [unrolled: 3-line block ×3, first 2 shown]
	s_cmp_gt_i32 s29, 9
	s_cbranch_scc0 .LBB119_377
; %bb.376:
	s_wait_xcnt 0x0
	v_cvt_f64_f32_e32 v[6:7], v4
	v_mov_b32_e32 v8, 0
	s_mov_b32 s42, 0
	s_delay_alu instid0(VALU_DEP_1)
	v_mov_b32_e32 v9, v8
	global_store_b128 v[2:3], v[6:9], off
.LBB119_377:
	s_and_not1_b32 vcc_lo, exec_lo, s42
	s_cbranch_vccnz .LBB119_379
; %bb.378:
	s_wait_xcnt 0x0
	v_mov_b32_e32 v5, 0
	global_store_b64 v[2:3], v[4:5], off
.LBB119_379:
	s_mov_b32 s42, 0
.LBB119_380:
	s_delay_alu instid0(SALU_CYCLE_1)
	s_and_not1_b32 vcc_lo, exec_lo, s42
	s_cbranch_vccnz .LBB119_382
; %bb.381:
	s_wait_xcnt 0x0
	v_cvt_f16_f32_e32 v1, v4
	s_delay_alu instid0(VALU_DEP_1)
	v_and_b32_e32 v1, 0xffff, v1
	global_store_b32 v[2:3], v1, off
.LBB119_382:
	s_mov_b32 s42, 0
.LBB119_383:
	s_delay_alu instid0(SALU_CYCLE_1)
	s_and_not1_b32 vcc_lo, exec_lo, s42
	s_cbranch_vccnz .LBB119_392
; %bb.384:
	s_cmp_lt_i32 s29, 6
	s_mov_b32 s42, -1
	s_cbranch_scc1 .LBB119_390
; %bb.385:
	s_cmp_gt_i32 s29, 6
	s_cbranch_scc0 .LBB119_387
; %bb.386:
	s_wait_xcnt 0x0
	v_cvt_f64_f32_e32 v[6:7], v4
	s_mov_b32 s42, 0
	global_store_b64 v[2:3], v[6:7], off
.LBB119_387:
	s_and_not1_b32 vcc_lo, exec_lo, s42
	s_cbranch_vccnz .LBB119_389
; %bb.388:
	global_store_b32 v[2:3], v4, off
.LBB119_389:
	s_mov_b32 s42, 0
.LBB119_390:
	s_delay_alu instid0(SALU_CYCLE_1)
	s_and_not1_b32 vcc_lo, exec_lo, s42
	s_cbranch_vccnz .LBB119_392
; %bb.391:
	s_wait_xcnt 0x0
	v_cvt_f16_f32_e32 v1, v4
	global_store_b16 v[2:3], v1, off
.LBB119_392:
	s_mov_b32 s42, 0
.LBB119_393:
	s_delay_alu instid0(SALU_CYCLE_1)
	s_and_not1_b32 vcc_lo, exec_lo, s42
	s_cbranch_vccnz .LBB119_409
; %bb.394:
	s_cmp_lt_i32 s29, 2
	s_mov_b32 s42, -1
	s_cbranch_scc1 .LBB119_404
; %bb.395:
	s_cmp_lt_i32 s29, 3
	s_cbranch_scc1 .LBB119_401
; %bb.396:
	s_cmp_gt_i32 s29, 3
	s_cbranch_scc0 .LBB119_398
; %bb.397:
	s_wait_xcnt 0x0
	v_trunc_f32_e32 v1, v4
	s_mov_b32 s42, 0
	s_delay_alu instid0(VALU_DEP_1) | instskip(SKIP_1) | instid1(VALU_DEP_2)
	v_mul_f32_e64 v5, 0x2f800000, |v1|
	v_ashrrev_i32_e32 v6, 31, v1
	v_floor_f32_e32 v5, v5
	s_delay_alu instid0(VALU_DEP_1) | instskip(SKIP_1) | instid1(VALU_DEP_2)
	v_fma_f32 v7, 0xcf800000, v5, |v1|
	v_cvt_u32_f32_e32 v1, v5
	v_cvt_u32_f32_e32 v5, v7
	s_delay_alu instid0(VALU_DEP_2) | instskip(NEXT) | instid1(VALU_DEP_2)
	v_dual_mov_b32 v7, v6 :: v_dual_bitop2_b32 v9, v1, v6 bitop3:0x14
	v_xor_b32_e32 v8, v5, v6
	s_delay_alu instid0(VALU_DEP_1)
	v_sub_nc_u64_e32 v[6:7], v[8:9], v[6:7]
	global_store_b64 v[2:3], v[6:7], off
.LBB119_398:
	s_and_not1_b32 vcc_lo, exec_lo, s42
	s_cbranch_vccnz .LBB119_400
; %bb.399:
	s_wait_xcnt 0x0
	v_cvt_i32_f32_e32 v1, v4
	global_store_b32 v[2:3], v1, off
.LBB119_400:
	s_mov_b32 s42, 0
.LBB119_401:
	s_delay_alu instid0(SALU_CYCLE_1)
	s_and_not1_b32 vcc_lo, exec_lo, s42
	s_cbranch_vccnz .LBB119_403
; %bb.402:
	s_wait_xcnt 0x0
	v_cvt_i32_f32_e32 v1, v4
	global_store_b16 v[2:3], v1, off
.LBB119_403:
	s_mov_b32 s42, 0
.LBB119_404:
	s_delay_alu instid0(SALU_CYCLE_1)
	s_and_not1_b32 vcc_lo, exec_lo, s42
	s_cbranch_vccnz .LBB119_409
; %bb.405:
	s_cmp_gt_i32 s29, 0
	s_mov_b32 s29, -1
	s_cbranch_scc0 .LBB119_407
; %bb.406:
	s_wait_xcnt 0x0
	v_cvt_i32_f32_e32 v1, v4
	s_mov_b32 s29, 0
	global_store_b8 v[2:3], v1, off
.LBB119_407:
	s_and_not1_b32 vcc_lo, exec_lo, s29
	s_cbranch_vccnz .LBB119_409
; %bb.408:
	s_wait_xcnt 0x0
	v_trunc_f32_e32 v1, v4
	s_delay_alu instid0(VALU_DEP_1) | instskip(NEXT) | instid1(VALU_DEP_1)
	v_mul_f32_e64 v4, 0x2f800000, |v1|
	v_floor_f32_e32 v4, v4
	s_delay_alu instid0(VALU_DEP_1) | instskip(SKIP_1) | instid1(VALU_DEP_2)
	v_fma_f32 v4, 0xcf800000, v4, |v1|
	v_ashrrev_i32_e32 v1, 31, v1
	v_cvt_u32_f32_e32 v4, v4
	s_delay_alu instid0(VALU_DEP_1) | instskip(NEXT) | instid1(VALU_DEP_1)
	v_xor_b32_e32 v4, v4, v1
	v_sub_nc_u32_e32 v1, v4, v1
	global_store_b8 v[2:3], v1, off
.LBB119_409:
	s_mov_b32 s43, -1
.LBB119_410:
	s_delay_alu instid0(SALU_CYCLE_1)
	s_and_not1_b32 vcc_lo, exec_lo, s43
	s_cbranch_vccnz .LBB119_38
; %bb.411:
	v_add_nc_u32_e32 v0, 0x80, v0
	s_mov_b32 s29, -1
.LBB119_412:
	s_and_b32 s42, s0, exec_lo
	s_and_b32 s43, s28, exec_lo
	;; [unrolled: 1-line block ×4, first 2 shown]
	s_or_not1_b32 s26, s29, exec_lo
.LBB119_413:
	s_wait_xcnt 0x0
	s_or_b32 exec_lo, exec_lo, s46
                                        ; implicit-def: $vgpr4
                                        ; implicit-def: $vgpr6
                                        ; implicit-def: $vgpr2
	s_and_saveexec_b32 s46, s26
	s_cbranch_execz .LBB119_1291
; %bb.414:
	s_mov_b32 s26, -1
	s_mov_b32 s47, s45
	s_mov_b32 s50, s44
	;; [unrolled: 1-line block ×4, first 2 shown]
	s_mov_b32 s51, exec_lo
	v_cmpx_gt_i32_e64 s40, v0
	s_cbranch_execz .LBB119_832
; %bb.415:
	s_and_not1_b32 vcc_lo, exec_lo, s33
	s_cbranch_vccnz .LBB119_421
; %bb.416:
	s_and_not1_b32 vcc_lo, exec_lo, s41
	s_cbranch_vccnz .LBB119_422
; %bb.417:
	s_wait_loadcnt 0x0
	v_dual_mov_b32 v2, 0 :: v_dual_mov_b32 v1, v0
	v_dual_mov_b32 v6, 0 :: v_dual_mov_b32 v4, 0
	s_add_co_i32 s0, s39, 1
	s_mov_b64 s[26:27], 0xffffffffffffffe0
	s_and_b32 s0, s0, 30
	s_add_nc_u64 s[26:27], s[2:3], s[26:27]
	s_mov_b64 s[28:29], s[2:3]
.LBB119_418:                            ; =>This Inner Loop Header: Depth=1
	s_clause 0x1
	s_load_b128 s[52:55], s[28:29], 0x4
	s_load_b64 s[56:57], s[28:29], 0x14
	s_clause 0x1
	s_load_b32 s47, s[26:27], 0xe4
	s_load_b96 s[48:50], s[26:27], 0xec
	s_add_co_i32 s0, s0, -2
	s_wait_xcnt 0x0
	s_add_nc_u64 s[28:29], s[28:29], 24
	s_cmp_eq_u32 s0, 0
	s_wait_kmcnt 0x0
	v_mul_hi_u32 v3, s53, v1
	s_delay_alu instid0(VALU_DEP_1) | instskip(NEXT) | instid1(VALU_DEP_1)
	v_add_nc_u32_e32 v3, v1, v3
	v_lshrrev_b32_e32 v3, s54, v3
	s_delay_alu instid0(VALU_DEP_1) | instskip(SKIP_4) | instid1(VALU_DEP_1)
	v_mul_hi_u32 v5, s56, v3
	v_mul_lo_u32 v7, v3, s52
	s_load_b64 s[52:53], s[26:27], 0xfc
	s_wait_xcnt 0x0
	s_add_nc_u64 s[26:27], s[26:27], 32
	v_dual_add_nc_u32 v5, v3, v5 :: v_dual_sub_nc_u32 v7, v1, v7
	s_delay_alu instid0(VALU_DEP_1) | instskip(NEXT) | instid1(VALU_DEP_2)
	v_lshrrev_b32_e32 v1, s57, v5
	v_mad_u32 v2, v7, s47, v2
	v_mad_u32 v4, v7, s49, v4
	;; [unrolled: 1-line block ×3, first 2 shown]
	s_delay_alu instid0(VALU_DEP_4) | instskip(NEXT) | instid1(VALU_DEP_1)
	v_mul_lo_u32 v5, v1, s55
	v_sub_nc_u32_e32 v3, v3, v5
	s_delay_alu instid0(VALU_DEP_1)
	v_mad_u32 v2, v3, s50, v2
	s_wait_kmcnt 0x0
	v_mad_u32 v4, v3, s53, v4
	v_mad_u32 v6, v3, s52, v6
	s_cbranch_scc0 .LBB119_418
; %bb.419:
	s_bitcmp1_b32 s39, 0
	s_cselect_b32 s0, -1, 0
	s_delay_alu instid0(SALU_CYCLE_1)
	s_and_b32 vcc_lo, exec_lo, s0
	s_cbranch_vccnz .LBB119_423
; %bb.420:
	s_load_b96 s[48:50], s[28:29], 0x4
	s_load_b32 s0, s[26:27], 0xe4
	s_wait_xcnt 0x0
	s_load_b64 s[28:29], s[26:27], 0xec
	s_wait_kmcnt 0x0
	v_mul_hi_u32 v3, s49, v1
	s_delay_alu instid0(VALU_DEP_1) | instskip(NEXT) | instid1(VALU_DEP_1)
	v_add_nc_u32_e32 v3, v1, v3
	v_lshrrev_b32_e32 v3, s50, v3
	s_delay_alu instid0(VALU_DEP_1) | instskip(NEXT) | instid1(VALU_DEP_1)
	v_mul_lo_u32 v3, v3, s48
	v_sub_nc_u32_e32 v1, v1, v3
	s_delay_alu instid0(VALU_DEP_1)
	v_mad_u32 v2, v1, s0, v2
	v_mad_u32 v6, v1, s28, v6
	;; [unrolled: 1-line block ×3, first 2 shown]
	s_branch .LBB119_423
.LBB119_421:
                                        ; implicit-def: $vgpr4
                                        ; implicit-def: $vgpr6
                                        ; implicit-def: $vgpr2
	s_branch .LBB119_424
.LBB119_422:
	s_wait_loadcnt 0x0
	v_dual_mov_b32 v4, 0 :: v_dual_mov_b32 v6, 0
	v_mov_b32_e32 v2, 0
.LBB119_423:
	s_cbranch_execnz .LBB119_426
.LBB119_424:
	s_wait_loadcnt 0x0
	v_mov_b32_e32 v1, 0
	s_and_not1_b32 vcc_lo, exec_lo, s38
	s_delay_alu instid0(VALU_DEP_1) | instskip(NEXT) | instid1(VALU_DEP_1)
	v_mul_u64_e32 v[2:3], s[20:21], v[0:1]
	v_add_nc_u32_e32 v2, v0, v3
	s_delay_alu instid0(VALU_DEP_1) | instskip(NEXT) | instid1(VALU_DEP_1)
	v_lshrrev_b32_e32 v8, s10, v2
	v_mul_lo_u32 v2, v8, s8
	s_delay_alu instid0(VALU_DEP_1) | instskip(NEXT) | instid1(VALU_DEP_1)
	v_sub_nc_u32_e32 v3, v0, v2
	v_mul_lo_u32 v2, v3, s37
	v_mul_lo_u32 v4, v3, s13
	;; [unrolled: 1-line block ×3, first 2 shown]
	s_cbranch_vccnz .LBB119_426
; %bb.425:
	v_mov_b32_e32 v9, v1
	s_delay_alu instid0(VALU_DEP_1) | instskip(NEXT) | instid1(VALU_DEP_1)
	v_mul_u64_e32 v[10:11], s[24:25], v[8:9]
	v_add_nc_u32_e32 v1, v8, v11
	s_delay_alu instid0(VALU_DEP_1) | instskip(NEXT) | instid1(VALU_DEP_1)
	v_lshrrev_b32_e32 v1, s1, v1
	v_mul_lo_u32 v1, v1, s11
	s_delay_alu instid0(VALU_DEP_1) | instskip(NEXT) | instid1(VALU_DEP_1)
	v_sub_nc_u32_e32 v1, v8, v1
	v_mad_u32 v2, v1, s14, v2
	v_mad_u32 v6, v1, s22, v6
	;; [unrolled: 1-line block ×3, first 2 shown]
.LBB119_426:
	s_and_b32 s26, s36, 0xff
	s_delay_alu instid0(SALU_CYCLE_1)
	s_cmp_lt_i32 s26, 23
	s_cbranch_scc1 .LBB119_430
; %bb.427:
	s_and_b32 s28, 0xffff, s26
	s_delay_alu instid0(SALU_CYCLE_1)
	s_cmp_gt_i32 s28, 43
	s_cbranch_scc0 .LBB119_431
; %bb.428:
	s_cmp_gt_i32 s28, 45
	s_cbranch_scc0 .LBB119_432
; %bb.429:
	s_cmp_eq_u32 s28, 46
	s_mov_b32 s29, 0
	s_cselect_b32 s0, -1, 0
	s_or_b32 s27, s45, exec_lo
	s_branch .LBB119_433
.LBB119_430:
	s_mov_b32 s0, 0
	s_mov_b32 s27, s45
	s_cbranch_execnz .LBB119_439
	s_branch .LBB119_443
.LBB119_431:
	s_mov_b32 s29, -1
	s_mov_b32 s0, 0
	s_mov_b32 s27, s45
	s_branch .LBB119_436
.LBB119_432:
	s_mov_b32 s29, -1
	s_mov_b32 s0, 0
	s_mov_b32 s27, s45
.LBB119_433:
	s_and_not1_b32 vcc_lo, exec_lo, s29
	s_cbranch_vccnz .LBB119_435
; %bb.434:
	s_cmp_eq_u32 s28, 44
	s_cselect_b32 s0, -1, 0
	s_cmp_lg_u32 s28, 44
	s_cselect_b32 s29, -1, 0
	s_and_not1_b32 s27, s27, exec_lo
	s_and_b32 s29, s29, exec_lo
	s_delay_alu instid0(SALU_CYCLE_1)
	s_or_b32 s27, s27, s29
.LBB119_435:
	s_mov_b32 s29, 0
.LBB119_436:
	s_delay_alu instid0(SALU_CYCLE_1)
	s_and_b32 vcc_lo, exec_lo, s29
	s_cbranch_vccz .LBB119_438
; %bb.437:
	s_cmp_lt_i32 s28, 30
	s_cselect_b32 s0, -1, 0
	s_cmp_gt_i32 s28, 29
	s_cselect_b32 s28, -1, 0
	s_and_not1_b32 s27, s27, exec_lo
	s_and_b32 s28, s28, exec_lo
	s_delay_alu instid0(SALU_CYCLE_1)
	s_or_b32 s27, s27, s28
.LBB119_438:
	s_branch .LBB119_443
.LBB119_439:
	s_and_b32 s26, 0xffff, s26
	s_mov_b32 s28, -1
	s_cmp_gt_i32 s26, 14
	s_cbranch_scc0 .LBB119_441
; %bb.440:
	s_cmp_eq_u32 s26, 15
	s_cselect_b32 s0, -1, 0
	s_cmp_lg_u32 s26, 15
	s_cselect_b32 s28, -1, 0
	s_and_not1_b32 s27, s27, exec_lo
	s_and_b32 s29, s28, exec_lo
	s_mov_b32 s28, 0
	s_or_b32 s27, s27, s29
.LBB119_441:
	s_and_not1_b32 vcc_lo, exec_lo, s28
	s_cbranch_vccnz .LBB119_443
; %bb.442:
	s_cmp_lt_i32 s26, 12
	s_cselect_b32 s0, -1, 0
	s_cmp_gt_i32 s26, 11
	s_cselect_b32 s26, -1, 0
	s_and_not1_b32 s27, s27, exec_lo
	s_and_b32 s26, s26, exec_lo
	s_delay_alu instid0(SALU_CYCLE_1)
	s_or_b32 s27, s27, s26
.LBB119_443:
	s_and_b32 vcc_lo, exec_lo, s0
	s_cbranch_vccz .LBB119_451
; %bb.444:
	v_mov_b32_e32 v7, 0
	s_and_b32 s0, s35, 0xff
	s_delay_alu instid0(SALU_CYCLE_1) | instskip(SKIP_1) | instid1(VALU_DEP_1)
	s_cmp_lt_i32 s0, 11
	s_wait_loadcnt 0x0
	v_add_nc_u64_e32 v[6:7], s[4:5], v[6:7]
	s_cbranch_scc1 .LBB119_453
; %bb.445:
	s_and_b32 s27, 0xffff, s0
	s_delay_alu instid0(SALU_CYCLE_1)
	s_cmp_gt_i32 s27, 25
	s_cbranch_scc0 .LBB119_454
; %bb.446:
	s_cmp_gt_i32 s27, 28
	s_cbranch_scc0 .LBB119_455
; %bb.447:
	;; [unrolled: 3-line block ×4, first 2 shown]
	s_cmp_eq_u32 s27, 46
	s_mov_b32 s29, 0
	s_cbranch_scc0 .LBB119_460
; %bb.450:
	global_load_b32 v1, v[6:7], off
	s_mov_b32 s28, -1
	s_mov_b32 s26, 0
	s_wait_loadcnt 0x0
	v_lshlrev_b32_e32 v1, 16, v1
	s_branch .LBB119_462
.LBB119_451:
	s_mov_b32 s29, 0
	s_mov_b32 s0, s42
	;; [unrolled: 1-line block ×4, first 2 shown]
.LBB119_452:
                                        ; implicit-def: $vgpr0
	s_branch .LBB119_831
.LBB119_453:
	s_mov_b32 s27, -1
	s_mov_b32 s28, 0
	s_mov_b32 s26, s44
                                        ; implicit-def: $vgpr1
	s_branch .LBB119_527
.LBB119_454:
	s_mov_b32 s29, -1
	s_mov_b32 s28, 0
	s_mov_b32 s26, s44
                                        ; implicit-def: $vgpr1
	s_branch .LBB119_491
.LBB119_455:
	s_mov_b32 s29, -1
	s_mov_b32 s28, 0
	s_mov_b32 s26, s44
                                        ; implicit-def: $vgpr1
	s_branch .LBB119_472
.LBB119_456:
	s_mov_b32 s29, -1
	s_mov_b32 s28, 0
	s_mov_b32 s26, s44
                                        ; implicit-def: $vgpr1
	s_branch .LBB119_467
.LBB119_457:
	s_mov_b32 s29, -1
	s_mov_b32 s28, 0
	s_mov_b32 s26, s44
	s_branch .LBB119_461
.LBB119_458:
	s_and_not1_saveexec_b32 s45, s45
	s_cbranch_execz .LBB119_323
.LBB119_459:
	v_add_f32_e64 v1, 0x46000000, |v4|
	s_and_not1_b32 s44, s44, exec_lo
	s_delay_alu instid0(VALU_DEP_1) | instskip(NEXT) | instid1(VALU_DEP_1)
	v_and_b32_e32 v1, 0xff, v1
	v_cmp_ne_u32_e32 vcc_lo, 0, v1
	s_and_b32 s47, vcc_lo, exec_lo
	s_delay_alu instid0(SALU_CYCLE_1)
	s_or_b32 s44, s44, s47
	s_or_b32 exec_lo, exec_lo, s45
	v_mov_b32_e32 v5, 0
	s_and_saveexec_b32 s45, s44
	s_cbranch_execnz .LBB119_324
	s_branch .LBB119_325
.LBB119_460:
	s_mov_b32 s26, -1
	s_mov_b32 s28, 0
.LBB119_461:
                                        ; implicit-def: $vgpr1
.LBB119_462:
	s_and_b32 vcc_lo, exec_lo, s29
	s_cbranch_vccz .LBB119_466
; %bb.463:
	s_cmp_eq_u32 s27, 44
	s_cbranch_scc0 .LBB119_465
; %bb.464:
	global_load_u8 v1, v[6:7], off
	s_mov_b32 s26, 0
	s_mov_b32 s28, -1
	s_wait_loadcnt 0x0
	v_lshlrev_b32_e32 v3, 23, v1
	v_cmp_ne_u32_e32 vcc_lo, 0xff, v1
	s_delay_alu instid0(VALU_DEP_2) | instskip(SKIP_1) | instid1(VALU_DEP_2)
	v_cndmask_b32_e32 v3, 0x7f800001, v3, vcc_lo
	v_cmp_ne_u32_e32 vcc_lo, 0, v1
	v_cndmask_b32_e32 v1, 0x400000, v3, vcc_lo
	s_branch .LBB119_466
.LBB119_465:
	s_mov_b32 s26, -1
                                        ; implicit-def: $vgpr1
.LBB119_466:
	s_mov_b32 s29, 0
.LBB119_467:
	s_delay_alu instid0(SALU_CYCLE_1)
	s_and_b32 vcc_lo, exec_lo, s29
	s_cbranch_vccz .LBB119_471
; %bb.468:
	s_cmp_eq_u32 s27, 29
	s_cbranch_scc0 .LBB119_470
; %bb.469:
	global_load_b64 v[8:9], v[6:7], off
	s_mov_b32 s28, -1
	s_mov_b32 s26, 0
	s_mov_b32 s29, 0
	s_wait_loadcnt 0x0
	v_clz_i32_u32_e32 v1, v9
	s_delay_alu instid0(VALU_DEP_1) | instskip(NEXT) | instid1(VALU_DEP_1)
	v_min_u32_e32 v1, 32, v1
	v_lshlrev_b64_e32 v[8:9], v1, v[8:9]
	v_sub_nc_u32_e32 v1, 32, v1
	s_delay_alu instid0(VALU_DEP_2) | instskip(NEXT) | instid1(VALU_DEP_1)
	v_min_u32_e32 v3, 1, v8
	v_or_b32_e32 v3, v9, v3
	s_delay_alu instid0(VALU_DEP_1) | instskip(NEXT) | instid1(VALU_DEP_1)
	v_cvt_f32_u32_e32 v3, v3
	v_ldexp_f32 v1, v3, v1
	s_branch .LBB119_472
.LBB119_470:
	s_mov_b32 s26, -1
                                        ; implicit-def: $vgpr1
.LBB119_471:
	s_mov_b32 s29, 0
.LBB119_472:
	s_delay_alu instid0(SALU_CYCLE_1)
	s_and_b32 vcc_lo, exec_lo, s29
	s_cbranch_vccz .LBB119_490
; %bb.473:
	s_cmp_lt_i32 s27, 27
	s_cbranch_scc1 .LBB119_476
; %bb.474:
	s_cmp_gt_i32 s27, 27
	s_cbranch_scc0 .LBB119_477
; %bb.475:
	global_load_b32 v1, v[6:7], off
	s_mov_b32 s28, 0
	s_wait_loadcnt 0x0
	v_cvt_f32_u32_e32 v1, v1
	s_branch .LBB119_478
.LBB119_476:
	s_mov_b32 s28, -1
                                        ; implicit-def: $vgpr1
	s_branch .LBB119_481
.LBB119_477:
	s_mov_b32 s28, -1
                                        ; implicit-def: $vgpr1
.LBB119_478:
	s_delay_alu instid0(SALU_CYCLE_1)
	s_and_not1_b32 vcc_lo, exec_lo, s28
	s_cbranch_vccnz .LBB119_480
; %bb.479:
	global_load_u16 v1, v[6:7], off
	s_wait_loadcnt 0x0
	v_cvt_f32_u32_e32 v1, v1
.LBB119_480:
	s_mov_b32 s28, 0
.LBB119_481:
	s_delay_alu instid0(SALU_CYCLE_1)
	s_and_not1_b32 vcc_lo, exec_lo, s28
	s_cbranch_vccnz .LBB119_489
; %bb.482:
	global_load_u8 v3, v[6:7], off
	s_mov_b32 s28, 0
	s_mov_b32 s29, exec_lo
	s_wait_loadcnt 0x0
	v_cmpx_lt_i16_e32 0x7f, v3
	s_xor_b32 s29, exec_lo, s29
	s_cbranch_execz .LBB119_503
; %bb.483:
	s_mov_b32 s28, -1
	s_mov_b32 s47, exec_lo
	v_cmpx_eq_u16_e32 0x80, v3
; %bb.484:
	s_xor_b32 s28, exec_lo, -1
; %bb.485:
	s_or_b32 exec_lo, exec_lo, s47
	s_delay_alu instid0(SALU_CYCLE_1)
	s_and_b32 s28, s28, exec_lo
	s_or_saveexec_b32 s29, s29
	v_mov_b32_e32 v1, 0x7f800001
	s_xor_b32 exec_lo, exec_lo, s29
	s_cbranch_execnz .LBB119_504
.LBB119_486:
	s_or_b32 exec_lo, exec_lo, s29
	s_and_saveexec_b32 s29, s28
	s_cbranch_execz .LBB119_488
.LBB119_487:
	v_and_b32_e32 v1, 0xffff, v3
	s_delay_alu instid0(VALU_DEP_1) | instskip(SKIP_1) | instid1(VALU_DEP_2)
	v_and_b32_e32 v5, 7, v1
	v_bfe_u32 v10, v1, 3, 4
	v_clz_i32_u32_e32 v8, v5
	s_delay_alu instid0(VALU_DEP_2) | instskip(NEXT) | instid1(VALU_DEP_2)
	v_cmp_eq_u32_e32 vcc_lo, 0, v10
	v_min_u32_e32 v8, 32, v8
	s_delay_alu instid0(VALU_DEP_1) | instskip(NEXT) | instid1(VALU_DEP_1)
	v_subrev_nc_u32_e32 v9, 28, v8
	v_dual_lshlrev_b32 v1, v9, v1 :: v_dual_sub_nc_u32 v8, 29, v8
	s_delay_alu instid0(VALU_DEP_1) | instskip(NEXT) | instid1(VALU_DEP_1)
	v_dual_lshlrev_b32 v3, 24, v3 :: v_dual_bitop2_b32 v1, 7, v1 bitop3:0x40
	v_dual_cndmask_b32 v8, v10, v8 :: v_dual_cndmask_b32 v1, v5, v1
	s_delay_alu instid0(VALU_DEP_2) | instskip(NEXT) | instid1(VALU_DEP_2)
	v_and_b32_e32 v3, 0x80000000, v3
	v_lshl_add_u32 v5, v8, 23, 0x3b800000
	s_delay_alu instid0(VALU_DEP_3) | instskip(NEXT) | instid1(VALU_DEP_1)
	v_lshlrev_b32_e32 v1, 20, v1
	v_or3_b32 v1, v3, v5, v1
.LBB119_488:
	s_or_b32 exec_lo, exec_lo, s29
.LBB119_489:
	s_mov_b32 s28, -1
.LBB119_490:
	s_mov_b32 s29, 0
.LBB119_491:
	s_delay_alu instid0(SALU_CYCLE_1)
	s_and_b32 vcc_lo, exec_lo, s29
	s_cbranch_vccz .LBB119_526
; %bb.492:
	s_cmp_gt_i32 s27, 22
	s_cbranch_scc0 .LBB119_502
; %bb.493:
	s_cmp_lt_i32 s27, 24
	s_cbranch_scc1 .LBB119_505
; %bb.494:
	s_cmp_gt_i32 s27, 24
	s_cbranch_scc0 .LBB119_506
; %bb.495:
	global_load_u8 v3, v[6:7], off
	s_mov_b32 s28, 0
	s_mov_b32 s29, exec_lo
	s_wait_loadcnt 0x0
	v_cmpx_lt_i16_e32 0x7f, v3
	s_xor_b32 s29, exec_lo, s29
	s_cbranch_execz .LBB119_518
; %bb.496:
	s_mov_b32 s28, -1
	s_mov_b32 s47, exec_lo
	v_cmpx_eq_u16_e32 0x80, v3
; %bb.497:
	s_xor_b32 s28, exec_lo, -1
; %bb.498:
	s_or_b32 exec_lo, exec_lo, s47
	s_delay_alu instid0(SALU_CYCLE_1)
	s_and_b32 s28, s28, exec_lo
	s_or_saveexec_b32 s29, s29
	v_mov_b32_e32 v1, 0x7f800001
	s_xor_b32 exec_lo, exec_lo, s29
	s_cbranch_execnz .LBB119_519
.LBB119_499:
	s_or_b32 exec_lo, exec_lo, s29
	s_and_saveexec_b32 s29, s28
	s_cbranch_execz .LBB119_501
.LBB119_500:
	v_and_b32_e32 v1, 0xffff, v3
	s_delay_alu instid0(VALU_DEP_1) | instskip(SKIP_1) | instid1(VALU_DEP_2)
	v_and_b32_e32 v5, 3, v1
	v_bfe_u32 v10, v1, 2, 5
	v_clz_i32_u32_e32 v8, v5
	s_delay_alu instid0(VALU_DEP_2) | instskip(NEXT) | instid1(VALU_DEP_2)
	v_cmp_eq_u32_e32 vcc_lo, 0, v10
	v_min_u32_e32 v8, 32, v8
	s_delay_alu instid0(VALU_DEP_1) | instskip(NEXT) | instid1(VALU_DEP_1)
	v_subrev_nc_u32_e32 v9, 29, v8
	v_dual_lshlrev_b32 v1, v9, v1 :: v_dual_sub_nc_u32 v8, 30, v8
	s_delay_alu instid0(VALU_DEP_1) | instskip(NEXT) | instid1(VALU_DEP_1)
	v_dual_lshlrev_b32 v3, 24, v3 :: v_dual_bitop2_b32 v1, 3, v1 bitop3:0x40
	v_dual_cndmask_b32 v8, v10, v8 :: v_dual_cndmask_b32 v1, v5, v1
	s_delay_alu instid0(VALU_DEP_2) | instskip(NEXT) | instid1(VALU_DEP_2)
	v_and_b32_e32 v3, 0x80000000, v3
	v_lshl_add_u32 v5, v8, 23, 0x37800000
	s_delay_alu instid0(VALU_DEP_3) | instskip(NEXT) | instid1(VALU_DEP_1)
	v_lshlrev_b32_e32 v1, 21, v1
	v_or3_b32 v1, v3, v5, v1
.LBB119_501:
	s_or_b32 exec_lo, exec_lo, s29
	s_mov_b32 s28, 0
	s_branch .LBB119_507
.LBB119_502:
	s_mov_b32 s29, -1
                                        ; implicit-def: $vgpr1
	s_branch .LBB119_513
.LBB119_503:
	s_or_saveexec_b32 s29, s29
	v_mov_b32_e32 v1, 0x7f800001
	s_xor_b32 exec_lo, exec_lo, s29
	s_cbranch_execz .LBB119_486
.LBB119_504:
	v_cmp_ne_u16_e32 vcc_lo, 0, v3
	v_mov_b32_e32 v1, 0
	s_and_not1_b32 s28, s28, exec_lo
	s_and_b32 s47, vcc_lo, exec_lo
	s_delay_alu instid0(SALU_CYCLE_1)
	s_or_b32 s28, s28, s47
	s_or_b32 exec_lo, exec_lo, s29
	s_and_saveexec_b32 s29, s28
	s_cbranch_execnz .LBB119_487
	s_branch .LBB119_488
.LBB119_505:
	s_mov_b32 s28, -1
                                        ; implicit-def: $vgpr1
	s_branch .LBB119_510
.LBB119_506:
	s_mov_b32 s28, -1
                                        ; implicit-def: $vgpr1
.LBB119_507:
	s_delay_alu instid0(SALU_CYCLE_1)
	s_and_b32 vcc_lo, exec_lo, s28
	s_cbranch_vccz .LBB119_509
; %bb.508:
	global_load_u8 v1, v[6:7], off
	s_wait_loadcnt 0x0
	v_lshlrev_b32_e32 v1, 24, v1
	s_delay_alu instid0(VALU_DEP_1) | instskip(NEXT) | instid1(VALU_DEP_1)
	v_and_b32_e32 v3, 0x7f000000, v1
	v_clz_i32_u32_e32 v5, v3
	v_add_nc_u32_e32 v9, 0x1000000, v3
	v_cmp_ne_u32_e32 vcc_lo, 0, v3
	s_delay_alu instid0(VALU_DEP_3) | instskip(NEXT) | instid1(VALU_DEP_1)
	v_min_u32_e32 v5, 32, v5
	v_sub_nc_u32_e64 v5, v5, 4 clamp
	s_delay_alu instid0(VALU_DEP_1) | instskip(NEXT) | instid1(VALU_DEP_1)
	v_dual_lshlrev_b32 v8, v5, v3 :: v_dual_lshlrev_b32 v5, 23, v5
	v_lshrrev_b32_e32 v8, 4, v8
	s_delay_alu instid0(VALU_DEP_1) | instskip(SKIP_1) | instid1(VALU_DEP_2)
	v_sub_nc_u32_e32 v5, v8, v5
	v_ashrrev_i32_e32 v8, 8, v9
	v_add_nc_u32_e32 v5, 0x3c000000, v5
	s_delay_alu instid0(VALU_DEP_1) | instskip(NEXT) | instid1(VALU_DEP_1)
	v_and_or_b32 v5, 0x7f800000, v8, v5
	v_cndmask_b32_e32 v3, 0, v5, vcc_lo
	s_delay_alu instid0(VALU_DEP_1)
	v_and_or_b32 v1, 0x80000000, v1, v3
.LBB119_509:
	s_mov_b32 s28, 0
.LBB119_510:
	s_delay_alu instid0(SALU_CYCLE_1)
	s_and_not1_b32 vcc_lo, exec_lo, s28
	s_cbranch_vccnz .LBB119_512
; %bb.511:
	global_load_u8 v1, v[6:7], off
	s_wait_loadcnt 0x0
	v_lshlrev_b32_e32 v3, 25, v1
	v_lshlrev_b16 v1, 8, v1
	s_delay_alu instid0(VALU_DEP_1) | instskip(SKIP_1) | instid1(VALU_DEP_2)
	v_and_or_b32 v8, 0x7f00, v1, 0.5
	v_bfe_i32 v1, v1, 0, 16
	v_dual_add_f32 v8, -0.5, v8 :: v_dual_lshrrev_b32 v5, 4, v3
	v_cmp_gt_u32_e32 vcc_lo, 0x8000000, v3
	s_delay_alu instid0(VALU_DEP_2) | instskip(NEXT) | instid1(VALU_DEP_1)
	v_or_b32_e32 v5, 0x70000000, v5
	v_mul_f32_e32 v5, 0x7800000, v5
	s_delay_alu instid0(VALU_DEP_1) | instskip(NEXT) | instid1(VALU_DEP_1)
	v_cndmask_b32_e32 v3, v5, v8, vcc_lo
	v_and_or_b32 v1, 0x80000000, v1, v3
.LBB119_512:
	s_mov_b32 s29, 0
	s_mov_b32 s28, -1
.LBB119_513:
	s_and_not1_b32 vcc_lo, exec_lo, s29
	s_cbranch_vccnz .LBB119_526
; %bb.514:
	s_cmp_gt_i32 s27, 14
	s_cbranch_scc0 .LBB119_517
; %bb.515:
	s_cmp_eq_u32 s27, 15
	s_cbranch_scc0 .LBB119_520
; %bb.516:
	global_load_u16 v1, v[6:7], off
	s_mov_b32 s28, -1
	s_mov_b32 s26, 0
	s_wait_loadcnt 0x0
	v_lshlrev_b32_e32 v1, 16, v1
	s_branch .LBB119_521
.LBB119_517:
	s_mov_b32 s29, -1
                                        ; implicit-def: $vgpr1
	s_branch .LBB119_522
.LBB119_518:
	s_or_saveexec_b32 s29, s29
	v_mov_b32_e32 v1, 0x7f800001
	s_xor_b32 exec_lo, exec_lo, s29
	s_cbranch_execz .LBB119_499
.LBB119_519:
	v_cmp_ne_u16_e32 vcc_lo, 0, v3
	v_mov_b32_e32 v1, 0
	s_and_not1_b32 s28, s28, exec_lo
	s_and_b32 s47, vcc_lo, exec_lo
	s_delay_alu instid0(SALU_CYCLE_1)
	s_or_b32 s28, s28, s47
	s_or_b32 exec_lo, exec_lo, s29
	s_and_saveexec_b32 s29, s28
	s_cbranch_execnz .LBB119_500
	s_branch .LBB119_501
.LBB119_520:
	s_mov_b32 s26, -1
                                        ; implicit-def: $vgpr1
.LBB119_521:
	s_mov_b32 s29, 0
.LBB119_522:
	s_delay_alu instid0(SALU_CYCLE_1)
	s_and_b32 vcc_lo, exec_lo, s29
	s_cbranch_vccz .LBB119_526
; %bb.523:
	s_cmp_eq_u32 s27, 11
	s_cbranch_scc0 .LBB119_525
; %bb.524:
	global_load_u8 v1, v[6:7], off
	s_mov_b32 s26, 0
	s_mov_b32 s28, -1
	s_wait_loadcnt 0x0
	v_cmp_ne_u16_e32 vcc_lo, 0, v1
	v_cndmask_b32_e64 v1, 0, 1.0, vcc_lo
	s_branch .LBB119_526
.LBB119_525:
	s_mov_b32 s26, -1
                                        ; implicit-def: $vgpr1
.LBB119_526:
	s_mov_b32 s27, 0
.LBB119_527:
	s_delay_alu instid0(SALU_CYCLE_1)
	s_and_b32 vcc_lo, exec_lo, s27
	s_cbranch_vccz .LBB119_576
; %bb.528:
	s_and_b32 s0, 0xffff, s0
	s_delay_alu instid0(SALU_CYCLE_1)
	s_cmp_lt_i32 s0, 5
	s_cbranch_scc1 .LBB119_533
; %bb.529:
	s_cmp_lt_i32 s0, 8
	s_cbranch_scc1 .LBB119_534
; %bb.530:
	;; [unrolled: 3-line block ×3, first 2 shown]
	s_cmp_gt_i32 s0, 9
	s_cbranch_scc0 .LBB119_536
; %bb.532:
	global_load_b64 v[8:9], v[6:7], off
	s_mov_b32 s27, 0
	s_wait_loadcnt 0x0
	v_cvt_f32_f64_e32 v1, v[8:9]
	s_branch .LBB119_537
.LBB119_533:
	s_mov_b32 s27, -1
                                        ; implicit-def: $vgpr1
	s_branch .LBB119_555
.LBB119_534:
	s_mov_b32 s27, -1
                                        ; implicit-def: $vgpr1
	s_branch .LBB119_543
.LBB119_535:
	s_mov_b32 s27, -1
                                        ; implicit-def: $vgpr1
	s_branch .LBB119_540
.LBB119_536:
	s_mov_b32 s27, -1
                                        ; implicit-def: $vgpr1
.LBB119_537:
	s_delay_alu instid0(SALU_CYCLE_1)
	s_and_not1_b32 vcc_lo, exec_lo, s27
	s_cbranch_vccnz .LBB119_539
; %bb.538:
	global_load_b32 v1, v[6:7], off
.LBB119_539:
	s_mov_b32 s27, 0
.LBB119_540:
	s_delay_alu instid0(SALU_CYCLE_1)
	s_and_not1_b32 vcc_lo, exec_lo, s27
	s_cbranch_vccnz .LBB119_542
; %bb.541:
	s_wait_loadcnt 0x0
	global_load_b32 v1, v[6:7], off
	s_wait_loadcnt 0x0
	v_cvt_f32_f16_e32 v1, v1
.LBB119_542:
	s_mov_b32 s27, 0
.LBB119_543:
	s_delay_alu instid0(SALU_CYCLE_1)
	s_and_not1_b32 vcc_lo, exec_lo, s27
	s_cbranch_vccnz .LBB119_554
; %bb.544:
	s_cmp_lt_i32 s0, 6
	s_cbranch_scc1 .LBB119_547
; %bb.545:
	s_cmp_gt_i32 s0, 6
	s_cbranch_scc0 .LBB119_548
; %bb.546:
	global_load_b64 v[8:9], v[6:7], off
	s_mov_b32 s27, 0
	s_wait_loadcnt 0x0
	v_cvt_f32_f64_e32 v1, v[8:9]
	s_branch .LBB119_549
.LBB119_547:
	s_mov_b32 s27, -1
                                        ; implicit-def: $vgpr1
	s_branch .LBB119_552
.LBB119_548:
	s_mov_b32 s27, -1
                                        ; implicit-def: $vgpr1
.LBB119_549:
	s_delay_alu instid0(SALU_CYCLE_1)
	s_and_not1_b32 vcc_lo, exec_lo, s27
	s_cbranch_vccnz .LBB119_551
; %bb.550:
	s_wait_loadcnt 0x0
	global_load_b32 v1, v[6:7], off
.LBB119_551:
	s_mov_b32 s27, 0
.LBB119_552:
	s_delay_alu instid0(SALU_CYCLE_1)
	s_and_not1_b32 vcc_lo, exec_lo, s27
	s_cbranch_vccnz .LBB119_554
; %bb.553:
	s_wait_loadcnt 0x0
	global_load_u16 v1, v[6:7], off
	s_wait_loadcnt 0x0
	v_cvt_f32_f16_e32 v1, v1
.LBB119_554:
	s_mov_b32 s27, 0
.LBB119_555:
	s_delay_alu instid0(SALU_CYCLE_1)
	s_and_not1_b32 vcc_lo, exec_lo, s27
	s_cbranch_vccnz .LBB119_575
; %bb.556:
	s_cmp_lt_i32 s0, 2
	s_cbranch_scc1 .LBB119_560
; %bb.557:
	s_cmp_lt_i32 s0, 3
	s_cbranch_scc1 .LBB119_561
; %bb.558:
	s_cmp_gt_i32 s0, 3
	s_cbranch_scc0 .LBB119_562
; %bb.559:
	global_load_b64 v[8:9], v[6:7], off
	s_mov_b32 s27, 0
	s_wait_loadcnt 0x0
	v_xor_b32_e32 v1, v8, v9
	v_cls_i32_e32 v3, v9
	s_delay_alu instid0(VALU_DEP_2) | instskip(NEXT) | instid1(VALU_DEP_1)
	v_ashrrev_i32_e32 v1, 31, v1
	v_add_nc_u32_e32 v1, 32, v1
	s_delay_alu instid0(VALU_DEP_1) | instskip(NEXT) | instid1(VALU_DEP_1)
	v_add_min_u32_e64 v1, v3, -1, v1
	v_lshlrev_b64_e32 v[8:9], v1, v[8:9]
	v_sub_nc_u32_e32 v1, 32, v1
	s_delay_alu instid0(VALU_DEP_2) | instskip(NEXT) | instid1(VALU_DEP_1)
	v_min_u32_e32 v3, 1, v8
	v_or_b32_e32 v3, v9, v3
	s_delay_alu instid0(VALU_DEP_1) | instskip(NEXT) | instid1(VALU_DEP_1)
	v_cvt_f32_i32_e32 v3, v3
	v_ldexp_f32 v1, v3, v1
	s_branch .LBB119_563
.LBB119_560:
	s_mov_b32 s27, -1
                                        ; implicit-def: $vgpr1
	s_branch .LBB119_569
.LBB119_561:
	s_mov_b32 s27, -1
                                        ; implicit-def: $vgpr1
	s_branch .LBB119_566
.LBB119_562:
	s_mov_b32 s27, -1
                                        ; implicit-def: $vgpr1
.LBB119_563:
	s_delay_alu instid0(SALU_CYCLE_1)
	s_and_not1_b32 vcc_lo, exec_lo, s27
	s_cbranch_vccnz .LBB119_565
; %bb.564:
	s_wait_loadcnt 0x0
	global_load_b32 v1, v[6:7], off
	s_wait_loadcnt 0x0
	v_cvt_f32_i32_e32 v1, v1
.LBB119_565:
	s_mov_b32 s27, 0
.LBB119_566:
	s_delay_alu instid0(SALU_CYCLE_1)
	s_and_not1_b32 vcc_lo, exec_lo, s27
	s_cbranch_vccnz .LBB119_568
; %bb.567:
	s_wait_loadcnt 0x0
	global_load_i16 v1, v[6:7], off
	s_wait_loadcnt 0x0
	v_cvt_f32_i32_e32 v1, v1
.LBB119_568:
	s_mov_b32 s27, 0
.LBB119_569:
	s_delay_alu instid0(SALU_CYCLE_1)
	s_and_not1_b32 vcc_lo, exec_lo, s27
	s_cbranch_vccnz .LBB119_575
; %bb.570:
	s_cmp_gt_i32 s0, 0
	s_mov_b32 s0, 0
	s_cbranch_scc0 .LBB119_572
; %bb.571:
	s_wait_loadcnt 0x0
	global_load_i8 v1, v[6:7], off
	s_wait_loadcnt 0x0
	v_cvt_f32_i32_e32 v1, v1
	s_branch .LBB119_573
.LBB119_572:
	s_mov_b32 s0, -1
                                        ; implicit-def: $vgpr1
.LBB119_573:
	s_delay_alu instid0(SALU_CYCLE_1)
	s_and_not1_b32 vcc_lo, exec_lo, s0
	s_cbranch_vccnz .LBB119_575
; %bb.574:
	s_wait_loadcnt 0x0
	global_load_u8 v1, v[6:7], off
	s_wait_loadcnt 0x0
	v_cvt_f32_ubyte0_e32 v1, v1
.LBB119_575:
	s_mov_b32 s28, -1
.LBB119_576:
	s_mov_b32 s27, 0
	s_mov_b32 s0, s42
	s_and_not1_b32 vcc_lo, exec_lo, s28
	s_mov_b32 s28, s43
	s_mov_b32 s29, 0
	s_cbranch_vccnz .LBB119_831
; %bb.577:
	v_mov_b32_e32 v5, 0
	s_and_b32 s0, 0xffff, s9
	s_delay_alu instid0(SALU_CYCLE_1) | instskip(NEXT) | instid1(VALU_DEP_1)
	s_cmp_lt_i32 s0, 11
	v_add_nc_u64_e32 v[4:5], s[6:7], v[4:5]
	s_cbranch_scc1 .LBB119_584
; %bb.578:
	s_cmp_gt_i32 s0, 25
	s_cbranch_scc0 .LBB119_585
; %bb.579:
	s_cmp_gt_i32 s0, 28
	s_cbranch_scc0 .LBB119_586
	;; [unrolled: 3-line block ×4, first 2 shown]
; %bb.582:
	s_cmp_eq_u32 s0, 46
	s_mov_b32 s47, 0
	s_cbranch_scc0 .LBB119_591
; %bb.583:
	global_load_b32 v3, v[4:5], off
	s_mov_b32 s29, -1
	s_mov_b32 s28, 0
	s_wait_loadcnt 0x0
	s_wait_xcnt 0x1
	v_lshlrev_b32_e32 v6, 16, v3
	s_branch .LBB119_593
.LBB119_584:
	s_mov_b32 s47, -1
	s_mov_b32 s28, s43
                                        ; implicit-def: $vgpr6
	s_branch .LBB119_658
.LBB119_585:
	s_mov_b32 s47, -1
	s_mov_b32 s28, s43
                                        ; implicit-def: $vgpr6
	s_branch .LBB119_622
.LBB119_586:
	s_mov_b32 s47, -1
	s_mov_b32 s28, s43
                                        ; implicit-def: $vgpr6
	s_branch .LBB119_603
.LBB119_587:
	s_mov_b32 s47, -1
	s_mov_b32 s28, s43
                                        ; implicit-def: $vgpr6
	s_branch .LBB119_598
.LBB119_588:
	s_mov_b32 s47, -1
	s_mov_b32 s28, s43
	s_branch .LBB119_592
.LBB119_589:
	s_and_not1_saveexec_b32 s45, s45
	s_cbranch_execz .LBB119_336
.LBB119_590:
	v_add_f32_e64 v1, 0x42800000, |v4|
	s_and_not1_b32 s44, s44, exec_lo
	s_delay_alu instid0(VALU_DEP_1) | instskip(NEXT) | instid1(VALU_DEP_1)
	v_and_b32_e32 v1, 0xff, v1
	v_cmp_ne_u32_e32 vcc_lo, 0, v1
	s_and_b32 s47, vcc_lo, exec_lo
	s_delay_alu instid0(SALU_CYCLE_1)
	s_or_b32 s44, s44, s47
	s_or_b32 exec_lo, exec_lo, s45
	v_mov_b32_e32 v5, 0
	s_and_saveexec_b32 s45, s44
	s_cbranch_execnz .LBB119_337
	s_branch .LBB119_338
.LBB119_591:
	s_mov_b32 s28, -1
.LBB119_592:
                                        ; implicit-def: $vgpr6
.LBB119_593:
	s_and_b32 vcc_lo, exec_lo, s47
	s_cbranch_vccz .LBB119_597
; %bb.594:
	s_cmp_eq_u32 s0, 44
	s_cbranch_scc0 .LBB119_596
; %bb.595:
	global_load_u8 v3, v[4:5], off
	s_mov_b32 s28, 0
	s_mov_b32 s29, -1
	s_wait_loadcnt 0x0
	s_wait_xcnt 0x1
	v_lshlrev_b32_e32 v6, 23, v3
	v_cmp_ne_u32_e32 vcc_lo, 0xff, v3
	s_delay_alu instid0(VALU_DEP_2) | instskip(SKIP_1) | instid1(VALU_DEP_2)
	v_cndmask_b32_e32 v6, 0x7f800001, v6, vcc_lo
	v_cmp_ne_u32_e32 vcc_lo, 0, v3
	v_cndmask_b32_e32 v6, 0x400000, v6, vcc_lo
	s_branch .LBB119_597
.LBB119_596:
	s_mov_b32 s28, -1
                                        ; implicit-def: $vgpr6
.LBB119_597:
	s_mov_b32 s47, 0
.LBB119_598:
	s_delay_alu instid0(SALU_CYCLE_1)
	s_and_b32 vcc_lo, exec_lo, s47
	s_cbranch_vccz .LBB119_602
; %bb.599:
	s_cmp_eq_u32 s0, 29
	s_cbranch_scc0 .LBB119_601
; %bb.600:
	global_load_b64 v[6:7], v[4:5], off
	s_mov_b32 s29, -1
	s_mov_b32 s28, 0
	s_mov_b32 s47, 0
	s_wait_loadcnt 0x0
	v_clz_i32_u32_e32 v3, v7
	s_delay_alu instid0(VALU_DEP_1) | instskip(NEXT) | instid1(VALU_DEP_1)
	v_min_u32_e32 v3, 32, v3
	v_lshlrev_b64_e32 v[6:7], v3, v[6:7]
	v_sub_nc_u32_e32 v3, 32, v3
	s_delay_alu instid0(VALU_DEP_2) | instskip(NEXT) | instid1(VALU_DEP_1)
	v_min_u32_e32 v6, 1, v6
	v_or_b32_e32 v6, v7, v6
	s_delay_alu instid0(VALU_DEP_1) | instskip(NEXT) | instid1(VALU_DEP_1)
	v_cvt_f32_u32_e32 v6, v6
	v_ldexp_f32 v6, v6, v3
	s_branch .LBB119_603
.LBB119_601:
	s_mov_b32 s28, -1
                                        ; implicit-def: $vgpr6
.LBB119_602:
	s_mov_b32 s47, 0
.LBB119_603:
	s_delay_alu instid0(SALU_CYCLE_1)
	s_and_b32 vcc_lo, exec_lo, s47
	s_cbranch_vccz .LBB119_621
; %bb.604:
	s_cmp_lt_i32 s0, 27
	s_cbranch_scc1 .LBB119_607
; %bb.605:
	s_cmp_gt_i32 s0, 27
	s_cbranch_scc0 .LBB119_608
; %bb.606:
	global_load_b32 v3, v[4:5], off
	s_mov_b32 s29, 0
	s_wait_loadcnt 0x0
	s_wait_xcnt 0x1
	v_cvt_f32_u32_e32 v6, v3
	s_branch .LBB119_609
.LBB119_607:
	s_mov_b32 s29, -1
                                        ; implicit-def: $vgpr6
	s_branch .LBB119_612
.LBB119_608:
	s_mov_b32 s29, -1
                                        ; implicit-def: $vgpr6
.LBB119_609:
	s_delay_alu instid0(SALU_CYCLE_1)
	s_and_not1_b32 vcc_lo, exec_lo, s29
	s_cbranch_vccnz .LBB119_611
; %bb.610:
	global_load_u16 v3, v[4:5], off
	s_wait_loadcnt 0x0
	s_wait_xcnt 0x1
	v_cvt_f32_u32_e32 v6, v3
.LBB119_611:
	s_mov_b32 s29, 0
.LBB119_612:
	s_delay_alu instid0(SALU_CYCLE_1)
	s_and_not1_b32 vcc_lo, exec_lo, s29
	s_cbranch_vccnz .LBB119_620
; %bb.613:
	global_load_u8 v3, v[4:5], off
	s_mov_b32 s29, 0
	s_mov_b32 s47, exec_lo
	s_wait_loadcnt 0x0
	v_cmpx_lt_i16_e32 0x7f, v3
	s_xor_b32 s47, exec_lo, s47
	s_cbranch_execz .LBB119_634
; %bb.614:
	s_mov_b32 s29, -1
	s_mov_b32 s48, exec_lo
	v_cmpx_eq_u16_e32 0x80, v3
; %bb.615:
	s_xor_b32 s29, exec_lo, -1
; %bb.616:
	s_or_b32 exec_lo, exec_lo, s48
	s_delay_alu instid0(SALU_CYCLE_1)
	s_and_b32 s29, s29, exec_lo
	s_or_saveexec_b32 s47, s47
	v_mov_b32_e32 v6, 0x7f800001
	s_xor_b32 exec_lo, exec_lo, s47
	s_cbranch_execnz .LBB119_635
.LBB119_617:
	s_or_b32 exec_lo, exec_lo, s47
	s_and_saveexec_b32 s47, s29
	s_cbranch_execz .LBB119_619
.LBB119_618:
	v_and_b32_e32 v6, 0xffff, v3
	s_delay_alu instid0(VALU_DEP_1) | instskip(SKIP_1) | instid1(VALU_DEP_2)
	v_and_b32_e32 v7, 7, v6
	v_bfe_u32 v10, v6, 3, 4
	v_clz_i32_u32_e32 v8, v7
	s_delay_alu instid0(VALU_DEP_2) | instskip(NEXT) | instid1(VALU_DEP_2)
	v_cmp_eq_u32_e32 vcc_lo, 0, v10
	v_min_u32_e32 v8, 32, v8
	s_delay_alu instid0(VALU_DEP_1) | instskip(NEXT) | instid1(VALU_DEP_1)
	v_subrev_nc_u32_e32 v9, 28, v8
	v_dual_lshlrev_b32 v6, v9, v6 :: v_dual_sub_nc_u32 v8, 29, v8
	s_delay_alu instid0(VALU_DEP_1) | instskip(NEXT) | instid1(VALU_DEP_1)
	v_dual_lshlrev_b32 v3, 24, v3 :: v_dual_bitop2_b32 v6, 7, v6 bitop3:0x40
	v_dual_cndmask_b32 v8, v10, v8, vcc_lo :: v_dual_cndmask_b32 v6, v7, v6, vcc_lo
	s_delay_alu instid0(VALU_DEP_2) | instskip(NEXT) | instid1(VALU_DEP_2)
	v_and_b32_e32 v3, 0x80000000, v3
	v_lshl_add_u32 v7, v8, 23, 0x3b800000
	s_delay_alu instid0(VALU_DEP_3) | instskip(NEXT) | instid1(VALU_DEP_1)
	v_lshlrev_b32_e32 v6, 20, v6
	v_or3_b32 v6, v3, v7, v6
.LBB119_619:
	s_or_b32 exec_lo, exec_lo, s47
.LBB119_620:
	s_mov_b32 s29, -1
.LBB119_621:
	s_mov_b32 s47, 0
.LBB119_622:
	s_delay_alu instid0(SALU_CYCLE_1)
	s_and_b32 vcc_lo, exec_lo, s47
	s_cbranch_vccz .LBB119_657
; %bb.623:
	s_cmp_gt_i32 s0, 22
	s_cbranch_scc0 .LBB119_633
; %bb.624:
	s_cmp_lt_i32 s0, 24
	s_cbranch_scc1 .LBB119_636
; %bb.625:
	s_cmp_gt_i32 s0, 24
	s_cbranch_scc0 .LBB119_637
; %bb.626:
	global_load_u8 v3, v[4:5], off
	s_mov_b32 s29, 0
	s_mov_b32 s47, exec_lo
	s_wait_loadcnt 0x0
	v_cmpx_lt_i16_e32 0x7f, v3
	s_xor_b32 s47, exec_lo, s47
	s_cbranch_execz .LBB119_649
; %bb.627:
	s_mov_b32 s29, -1
	s_mov_b32 s48, exec_lo
	v_cmpx_eq_u16_e32 0x80, v3
; %bb.628:
	s_xor_b32 s29, exec_lo, -1
; %bb.629:
	s_or_b32 exec_lo, exec_lo, s48
	s_delay_alu instid0(SALU_CYCLE_1)
	s_and_b32 s29, s29, exec_lo
	s_or_saveexec_b32 s47, s47
	v_mov_b32_e32 v6, 0x7f800001
	s_xor_b32 exec_lo, exec_lo, s47
	s_cbranch_execnz .LBB119_650
.LBB119_630:
	s_or_b32 exec_lo, exec_lo, s47
	s_and_saveexec_b32 s47, s29
	s_cbranch_execz .LBB119_632
.LBB119_631:
	v_and_b32_e32 v6, 0xffff, v3
	s_delay_alu instid0(VALU_DEP_1) | instskip(SKIP_1) | instid1(VALU_DEP_2)
	v_and_b32_e32 v7, 3, v6
	v_bfe_u32 v10, v6, 2, 5
	v_clz_i32_u32_e32 v8, v7
	s_delay_alu instid0(VALU_DEP_2) | instskip(NEXT) | instid1(VALU_DEP_2)
	v_cmp_eq_u32_e32 vcc_lo, 0, v10
	v_min_u32_e32 v8, 32, v8
	s_delay_alu instid0(VALU_DEP_1) | instskip(NEXT) | instid1(VALU_DEP_1)
	v_subrev_nc_u32_e32 v9, 29, v8
	v_dual_lshlrev_b32 v6, v9, v6 :: v_dual_sub_nc_u32 v8, 30, v8
	s_delay_alu instid0(VALU_DEP_1) | instskip(NEXT) | instid1(VALU_DEP_1)
	v_dual_lshlrev_b32 v3, 24, v3 :: v_dual_bitop2_b32 v6, 3, v6 bitop3:0x40
	v_dual_cndmask_b32 v8, v10, v8, vcc_lo :: v_dual_cndmask_b32 v6, v7, v6, vcc_lo
	s_delay_alu instid0(VALU_DEP_2) | instskip(NEXT) | instid1(VALU_DEP_2)
	v_and_b32_e32 v3, 0x80000000, v3
	v_lshl_add_u32 v7, v8, 23, 0x37800000
	s_delay_alu instid0(VALU_DEP_3) | instskip(NEXT) | instid1(VALU_DEP_1)
	v_lshlrev_b32_e32 v6, 21, v6
	v_or3_b32 v6, v3, v7, v6
.LBB119_632:
	s_or_b32 exec_lo, exec_lo, s47
	s_mov_b32 s29, 0
	s_branch .LBB119_638
.LBB119_633:
	s_mov_b32 s47, -1
                                        ; implicit-def: $vgpr6
	s_branch .LBB119_644
.LBB119_634:
	s_or_saveexec_b32 s47, s47
	v_mov_b32_e32 v6, 0x7f800001
	s_xor_b32 exec_lo, exec_lo, s47
	s_cbranch_execz .LBB119_617
.LBB119_635:
	v_cmp_ne_u16_e32 vcc_lo, 0, v3
	v_mov_b32_e32 v6, 0
	s_and_not1_b32 s29, s29, exec_lo
	s_and_b32 s48, vcc_lo, exec_lo
	s_delay_alu instid0(SALU_CYCLE_1)
	s_or_b32 s29, s29, s48
	s_or_b32 exec_lo, exec_lo, s47
	s_and_saveexec_b32 s47, s29
	s_cbranch_execnz .LBB119_618
	s_branch .LBB119_619
.LBB119_636:
	s_mov_b32 s29, -1
                                        ; implicit-def: $vgpr6
	s_branch .LBB119_641
.LBB119_637:
	s_mov_b32 s29, -1
                                        ; implicit-def: $vgpr6
.LBB119_638:
	s_delay_alu instid0(SALU_CYCLE_1)
	s_and_b32 vcc_lo, exec_lo, s29
	s_cbranch_vccz .LBB119_640
; %bb.639:
	global_load_u8 v3, v[4:5], off
	s_wait_loadcnt 0x0
	v_lshlrev_b32_e32 v3, 24, v3
	s_wait_xcnt 0x1
	s_delay_alu instid0(VALU_DEP_1) | instskip(NEXT) | instid1(VALU_DEP_1)
	v_and_b32_e32 v6, 0x7f000000, v3
	v_clz_i32_u32_e32 v7, v6
	v_cmp_ne_u32_e32 vcc_lo, 0, v6
	v_add_nc_u32_e32 v9, 0x1000000, v6
	s_delay_alu instid0(VALU_DEP_3) | instskip(NEXT) | instid1(VALU_DEP_1)
	v_min_u32_e32 v7, 32, v7
	v_sub_nc_u32_e64 v7, v7, 4 clamp
	s_delay_alu instid0(VALU_DEP_1) | instskip(NEXT) | instid1(VALU_DEP_1)
	v_dual_lshlrev_b32 v8, v7, v6 :: v_dual_lshlrev_b32 v7, 23, v7
	v_lshrrev_b32_e32 v8, 4, v8
	s_delay_alu instid0(VALU_DEP_1) | instskip(NEXT) | instid1(VALU_DEP_1)
	v_dual_sub_nc_u32 v7, v8, v7 :: v_dual_ashrrev_i32 v8, 8, v9
	v_add_nc_u32_e32 v7, 0x3c000000, v7
	s_delay_alu instid0(VALU_DEP_1) | instskip(NEXT) | instid1(VALU_DEP_1)
	v_and_or_b32 v7, 0x7f800000, v8, v7
	v_cndmask_b32_e32 v6, 0, v7, vcc_lo
	s_delay_alu instid0(VALU_DEP_1)
	v_and_or_b32 v6, 0x80000000, v3, v6
.LBB119_640:
	s_mov_b32 s29, 0
.LBB119_641:
	s_delay_alu instid0(SALU_CYCLE_1)
	s_and_not1_b32 vcc_lo, exec_lo, s29
	s_cbranch_vccnz .LBB119_643
; %bb.642:
	global_load_u8 v3, v[4:5], off
	s_wait_loadcnt 0x0
	s_wait_xcnt 0x1
	v_lshlrev_b32_e32 v6, 25, v3
	v_lshlrev_b16 v3, 8, v3
	s_delay_alu instid0(VALU_DEP_1) | instskip(SKIP_1) | instid1(VALU_DEP_2)
	v_and_or_b32 v8, 0x7f00, v3, 0.5
	v_bfe_i32 v3, v3, 0, 16
	v_dual_add_f32 v8, -0.5, v8 :: v_dual_lshrrev_b32 v7, 4, v6
	v_cmp_gt_u32_e32 vcc_lo, 0x8000000, v6
	s_delay_alu instid0(VALU_DEP_2) | instskip(NEXT) | instid1(VALU_DEP_1)
	v_or_b32_e32 v7, 0x70000000, v7
	v_mul_f32_e32 v7, 0x7800000, v7
	s_delay_alu instid0(VALU_DEP_1) | instskip(NEXT) | instid1(VALU_DEP_1)
	v_cndmask_b32_e32 v6, v7, v8, vcc_lo
	v_and_or_b32 v6, 0x80000000, v3, v6
.LBB119_643:
	s_mov_b32 s47, 0
	s_mov_b32 s29, -1
.LBB119_644:
	s_and_not1_b32 vcc_lo, exec_lo, s47
	s_cbranch_vccnz .LBB119_657
; %bb.645:
	s_cmp_gt_i32 s0, 14
	s_cbranch_scc0 .LBB119_648
; %bb.646:
	s_cmp_eq_u32 s0, 15
	s_cbranch_scc0 .LBB119_651
; %bb.647:
	global_load_u16 v3, v[4:5], off
	s_mov_b32 s29, -1
	s_mov_b32 s28, 0
	s_wait_loadcnt 0x0
	s_wait_xcnt 0x1
	v_lshlrev_b32_e32 v6, 16, v3
	s_branch .LBB119_652
.LBB119_648:
	s_mov_b32 s47, -1
                                        ; implicit-def: $vgpr6
	s_branch .LBB119_653
.LBB119_649:
	s_or_saveexec_b32 s47, s47
	v_mov_b32_e32 v6, 0x7f800001
	s_xor_b32 exec_lo, exec_lo, s47
	s_cbranch_execz .LBB119_630
.LBB119_650:
	v_cmp_ne_u16_e32 vcc_lo, 0, v3
	v_mov_b32_e32 v6, 0
	s_and_not1_b32 s29, s29, exec_lo
	s_and_b32 s48, vcc_lo, exec_lo
	s_delay_alu instid0(SALU_CYCLE_1)
	s_or_b32 s29, s29, s48
	s_or_b32 exec_lo, exec_lo, s47
	s_and_saveexec_b32 s47, s29
	s_cbranch_execnz .LBB119_631
	s_branch .LBB119_632
.LBB119_651:
	s_mov_b32 s28, -1
                                        ; implicit-def: $vgpr6
.LBB119_652:
	s_mov_b32 s47, 0
.LBB119_653:
	s_delay_alu instid0(SALU_CYCLE_1)
	s_and_b32 vcc_lo, exec_lo, s47
	s_cbranch_vccz .LBB119_657
; %bb.654:
	s_cmp_eq_u32 s0, 11
	s_cbranch_scc0 .LBB119_656
; %bb.655:
	global_load_u8 v3, v[4:5], off
	s_mov_b32 s28, 0
	s_mov_b32 s29, -1
	s_wait_loadcnt 0x0
	v_cmp_ne_u16_e32 vcc_lo, 0, v3
	s_wait_xcnt 0x1
	v_cndmask_b32_e64 v6, 0, 1.0, vcc_lo
	s_branch .LBB119_657
.LBB119_656:
	s_mov_b32 s28, -1
                                        ; implicit-def: $vgpr6
.LBB119_657:
	s_mov_b32 s47, 0
.LBB119_658:
	s_delay_alu instid0(SALU_CYCLE_1)
	s_and_b32 vcc_lo, exec_lo, s47
	s_cbranch_vccz .LBB119_707
; %bb.659:
	s_cmp_lt_i32 s0, 5
	s_cbranch_scc1 .LBB119_664
; %bb.660:
	s_cmp_lt_i32 s0, 8
	s_cbranch_scc1 .LBB119_665
	;; [unrolled: 3-line block ×3, first 2 shown]
; %bb.662:
	s_cmp_gt_i32 s0, 9
	s_cbranch_scc0 .LBB119_667
; %bb.663:
	global_load_b64 v[6:7], v[4:5], off
	s_mov_b32 s29, 0
	s_wait_loadcnt 0x0
	v_cvt_f32_f64_e32 v6, v[6:7]
	s_branch .LBB119_668
.LBB119_664:
	s_mov_b32 s29, -1
                                        ; implicit-def: $vgpr6
	s_branch .LBB119_686
.LBB119_665:
	s_mov_b32 s29, -1
                                        ; implicit-def: $vgpr6
	s_branch .LBB119_674
.LBB119_666:
	s_mov_b32 s29, -1
                                        ; implicit-def: $vgpr6
	s_branch .LBB119_671
.LBB119_667:
	s_mov_b32 s29, -1
                                        ; implicit-def: $vgpr6
.LBB119_668:
	s_delay_alu instid0(SALU_CYCLE_1)
	s_and_not1_b32 vcc_lo, exec_lo, s29
	s_cbranch_vccnz .LBB119_670
; %bb.669:
	global_load_b32 v6, v[4:5], off
.LBB119_670:
	s_mov_b32 s29, 0
.LBB119_671:
	s_delay_alu instid0(SALU_CYCLE_1)
	s_and_not1_b32 vcc_lo, exec_lo, s29
	s_cbranch_vccnz .LBB119_673
; %bb.672:
	global_load_b32 v3, v[4:5], off
	s_wait_loadcnt 0x0
	s_wait_xcnt 0x1
	v_cvt_f32_f16_e32 v6, v3
.LBB119_673:
	s_mov_b32 s29, 0
.LBB119_674:
	s_delay_alu instid0(SALU_CYCLE_1)
	s_and_not1_b32 vcc_lo, exec_lo, s29
	s_cbranch_vccnz .LBB119_685
; %bb.675:
	s_cmp_lt_i32 s0, 6
	s_cbranch_scc1 .LBB119_678
; %bb.676:
	s_cmp_gt_i32 s0, 6
	s_cbranch_scc0 .LBB119_679
; %bb.677:
	s_wait_loadcnt 0x0
	global_load_b64 v[6:7], v[4:5], off
	s_mov_b32 s29, 0
	s_wait_loadcnt 0x0
	v_cvt_f32_f64_e32 v6, v[6:7]
	s_branch .LBB119_680
.LBB119_678:
	s_mov_b32 s29, -1
                                        ; implicit-def: $vgpr6
	s_branch .LBB119_683
.LBB119_679:
	s_mov_b32 s29, -1
                                        ; implicit-def: $vgpr6
.LBB119_680:
	s_delay_alu instid0(SALU_CYCLE_1)
	s_and_not1_b32 vcc_lo, exec_lo, s29
	s_cbranch_vccnz .LBB119_682
; %bb.681:
	s_wait_loadcnt 0x0
	global_load_b32 v6, v[4:5], off
.LBB119_682:
	s_mov_b32 s29, 0
.LBB119_683:
	s_delay_alu instid0(SALU_CYCLE_1)
	s_and_not1_b32 vcc_lo, exec_lo, s29
	s_cbranch_vccnz .LBB119_685
; %bb.684:
	global_load_u16 v3, v[4:5], off
	s_wait_loadcnt 0x0
	s_wait_xcnt 0x1
	v_cvt_f32_f16_e32 v6, v3
.LBB119_685:
	s_mov_b32 s29, 0
.LBB119_686:
	s_delay_alu instid0(SALU_CYCLE_1)
	s_and_not1_b32 vcc_lo, exec_lo, s29
	s_cbranch_vccnz .LBB119_706
; %bb.687:
	s_cmp_lt_i32 s0, 2
	s_cbranch_scc1 .LBB119_691
; %bb.688:
	s_cmp_lt_i32 s0, 3
	s_cbranch_scc1 .LBB119_692
; %bb.689:
	s_cmp_gt_i32 s0, 3
	s_cbranch_scc0 .LBB119_693
; %bb.690:
	s_wait_loadcnt 0x0
	global_load_b64 v[6:7], v[4:5], off
	s_mov_b32 s29, 0
	s_wait_loadcnt 0x0
	v_xor_b32_e32 v3, v6, v7
	v_cls_i32_e32 v8, v7
	s_delay_alu instid0(VALU_DEP_2) | instskip(NEXT) | instid1(VALU_DEP_1)
	v_ashrrev_i32_e32 v3, 31, v3
	v_add_nc_u32_e32 v3, 32, v3
	s_delay_alu instid0(VALU_DEP_1) | instskip(NEXT) | instid1(VALU_DEP_1)
	v_add_min_u32_e64 v3, v8, -1, v3
	v_lshlrev_b64_e32 v[6:7], v3, v[6:7]
	v_sub_nc_u32_e32 v3, 32, v3
	s_delay_alu instid0(VALU_DEP_2) | instskip(NEXT) | instid1(VALU_DEP_1)
	v_min_u32_e32 v6, 1, v6
	v_or_b32_e32 v6, v7, v6
	s_delay_alu instid0(VALU_DEP_1) | instskip(NEXT) | instid1(VALU_DEP_1)
	v_cvt_f32_i32_e32 v6, v6
	v_ldexp_f32 v6, v6, v3
	s_branch .LBB119_694
.LBB119_691:
	s_mov_b32 s29, -1
                                        ; implicit-def: $vgpr6
	s_branch .LBB119_700
.LBB119_692:
	s_mov_b32 s29, -1
                                        ; implicit-def: $vgpr6
	s_branch .LBB119_697
.LBB119_693:
	s_mov_b32 s29, -1
                                        ; implicit-def: $vgpr6
.LBB119_694:
	s_delay_alu instid0(SALU_CYCLE_1)
	s_and_not1_b32 vcc_lo, exec_lo, s29
	s_cbranch_vccnz .LBB119_696
; %bb.695:
	global_load_b32 v3, v[4:5], off
	s_wait_loadcnt 0x0
	s_wait_xcnt 0x1
	v_cvt_f32_i32_e32 v6, v3
.LBB119_696:
	s_mov_b32 s29, 0
.LBB119_697:
	s_delay_alu instid0(SALU_CYCLE_1)
	s_and_not1_b32 vcc_lo, exec_lo, s29
	s_cbranch_vccnz .LBB119_699
; %bb.698:
	global_load_i16 v3, v[4:5], off
	s_wait_loadcnt 0x0
	s_wait_xcnt 0x1
	v_cvt_f32_i32_e32 v6, v3
.LBB119_699:
	s_mov_b32 s29, 0
.LBB119_700:
	s_delay_alu instid0(SALU_CYCLE_1)
	s_and_not1_b32 vcc_lo, exec_lo, s29
	s_cbranch_vccnz .LBB119_706
; %bb.701:
	s_cmp_gt_i32 s0, 0
	s_mov_b32 s0, 0
	s_cbranch_scc0 .LBB119_703
; %bb.702:
	global_load_i8 v3, v[4:5], off
	s_wait_loadcnt 0x0
	s_wait_xcnt 0x1
	v_cvt_f32_i32_e32 v6, v3
	s_branch .LBB119_704
.LBB119_703:
	s_mov_b32 s0, -1
                                        ; implicit-def: $vgpr6
.LBB119_704:
	s_delay_alu instid0(SALU_CYCLE_1)
	s_and_not1_b32 vcc_lo, exec_lo, s0
	s_cbranch_vccnz .LBB119_706
; %bb.705:
	global_load_u8 v3, v[4:5], off
	s_wait_loadcnt 0x0
	s_wait_xcnt 0x1
	v_cvt_f32_ubyte0_e32 v6, v3
.LBB119_706:
	s_mov_b32 s29, -1
.LBB119_707:
	s_delay_alu instid0(SALU_CYCLE_1)
	s_and_not1_b32 vcc_lo, exec_lo, s29
	s_cbranch_vccnz .LBB119_715
; %bb.708:
	s_wait_loadcnt 0x0
	s_delay_alu instid0(VALU_DEP_3) | instskip(SKIP_1) | instid1(SALU_CYCLE_1)
	v_dual_mov_b32 v3, 0 :: v_dual_mul_f32 v1, s16, v1
	s_and_b32 s29, s17, 0xff
	s_cmp_lt_i32 s29, 11
	s_delay_alu instid0(VALU_DEP_1) | instskip(SKIP_1) | instid1(VALU_DEP_3)
	v_add_nc_u64_e32 v[2:3], s[18:19], v[2:3]
	s_wait_xcnt 0x0
	v_mul_f32_e32 v4, v1, v6
	s_cbranch_scc1 .LBB119_716
; %bb.709:
	s_and_b32 s47, 0xffff, s29
	s_delay_alu instid0(SALU_CYCLE_1)
	s_cmp_gt_i32 s47, 25
	s_cbranch_scc0 .LBB119_717
; %bb.710:
	s_cmp_gt_i32 s47, 28
	s_cbranch_scc0 .LBB119_718
; %bb.711:
	;; [unrolled: 3-line block ×4, first 2 shown]
	s_mov_b32 s49, 0
	s_mov_b32 s0, -1
	s_cmp_eq_u32 s47, 46
	s_mov_b32 s48, 0
	s_cbranch_scc0 .LBB119_721
; %bb.714:
	v_bfe_u32 v1, v4, 16, 1
	v_cmp_o_f32_e32 vcc_lo, v4, v4
	s_mov_b32 s48, -1
	s_mov_b32 s0, 0
	s_delay_alu instid0(VALU_DEP_2) | instskip(NEXT) | instid1(VALU_DEP_1)
	v_add3_u32 v1, v4, v1, 0x7fff
	v_lshrrev_b32_e32 v1, 16, v1
	s_delay_alu instid0(VALU_DEP_1)
	v_cndmask_b32_e32 v1, 0x7fc0, v1, vcc_lo
	global_store_b32 v[2:3], v1, off
	s_branch .LBB119_721
.LBB119_715:
	s_mov_b32 s29, 0
	s_mov_b32 s0, s42
	s_branch .LBB119_452
.LBB119_716:
	s_mov_b32 s47, -1
	s_mov_b32 s48, 0
	s_mov_b32 s0, s42
	s_branch .LBB119_790
.LBB119_717:
	s_mov_b32 s49, -1
	s_mov_b32 s48, 0
	s_mov_b32 s0, s42
	s_branch .LBB119_748
.LBB119_718:
	s_mov_b32 s49, -1
	s_mov_b32 s48, 0
	s_mov_b32 s0, s42
	s_branch .LBB119_731
.LBB119_719:
	s_mov_b32 s49, -1
	s_mov_b32 s48, 0
	s_mov_b32 s0, s42
	s_branch .LBB119_727
.LBB119_720:
	s_mov_b32 s49, -1
	s_mov_b32 s48, 0
	s_mov_b32 s0, s42
.LBB119_721:
	s_and_b32 vcc_lo, exec_lo, s49
	s_cbranch_vccz .LBB119_726
; %bb.722:
	s_cmp_eq_u32 s47, 44
	s_mov_b32 s0, -1
	s_cbranch_scc0 .LBB119_726
; %bb.723:
	v_bfe_u32 v5, v4, 23, 8
	s_wait_xcnt 0x0
	v_mov_b32_e32 v1, 0xff
	s_mov_b32 s48, exec_lo
	s_delay_alu instid0(VALU_DEP_2)
	v_cmpx_ne_u32_e32 0xff, v5
	s_cbranch_execz .LBB119_725
; %bb.724:
	v_and_b32_e32 v1, 0x400000, v4
	v_and_or_b32 v5, 0x3fffff, v4, v5
	s_delay_alu instid0(VALU_DEP_2) | instskip(NEXT) | instid1(VALU_DEP_2)
	v_cmp_ne_u32_e32 vcc_lo, 0, v1
	v_cmp_ne_u32_e64 s0, 0, v5
	v_lshrrev_b32_e32 v1, 23, v4
	s_and_b32 s0, vcc_lo, s0
	s_delay_alu instid0(SALU_CYCLE_1) | instskip(NEXT) | instid1(VALU_DEP_1)
	v_cndmask_b32_e64 v5, 0, 1, s0
	v_add_nc_u32_e32 v1, v1, v5
.LBB119_725:
	s_or_b32 exec_lo, exec_lo, s48
	s_mov_b32 s48, -1
	s_mov_b32 s0, 0
	global_store_b8 v[2:3], v1, off
.LBB119_726:
	s_mov_b32 s49, 0
.LBB119_727:
	s_delay_alu instid0(SALU_CYCLE_1)
	s_and_b32 vcc_lo, exec_lo, s49
	s_cbranch_vccz .LBB119_730
; %bb.728:
	s_cmp_eq_u32 s47, 29
	s_mov_b32 s0, -1
	s_cbranch_scc0 .LBB119_730
; %bb.729:
	s_wait_xcnt 0x0
	v_trunc_f32_e32 v1, v4
	s_mov_b32 s48, -1
	s_mov_b32 s0, 0
	s_mov_b32 s49, 0
	s_delay_alu instid0(VALU_DEP_1) | instskip(NEXT) | instid1(VALU_DEP_1)
	v_mul_f32_e32 v5, 0x2f800000, v1
	v_floor_f32_e32 v5, v5
	s_delay_alu instid0(VALU_DEP_1) | instskip(SKIP_1) | instid1(VALU_DEP_2)
	v_fmamk_f32 v1, v5, 0xcf800000, v1
	v_cvt_u32_f32_e32 v7, v5
	v_cvt_u32_f32_e32 v6, v1
	global_store_b64 v[2:3], v[6:7], off
	s_branch .LBB119_731
.LBB119_730:
	s_mov_b32 s49, 0
.LBB119_731:
	s_delay_alu instid0(SALU_CYCLE_1)
	s_and_b32 vcc_lo, exec_lo, s49
	s_cbranch_vccz .LBB119_747
; %bb.732:
	s_cmp_lt_i32 s47, 27
	s_mov_b32 s48, -1
	s_cbranch_scc1 .LBB119_738
; %bb.733:
	s_cmp_gt_i32 s47, 27
	s_cbranch_scc0 .LBB119_735
; %bb.734:
	s_wait_xcnt 0x0
	v_cvt_u32_f32_e32 v1, v4
	s_mov_b32 s48, 0
	global_store_b32 v[2:3], v1, off
.LBB119_735:
	s_and_not1_b32 vcc_lo, exec_lo, s48
	s_cbranch_vccnz .LBB119_737
; %bb.736:
	s_wait_xcnt 0x0
	v_cvt_u32_f32_e32 v1, v4
	global_store_b16 v[2:3], v1, off
.LBB119_737:
	s_mov_b32 s48, 0
.LBB119_738:
	s_delay_alu instid0(SALU_CYCLE_1)
	s_and_not1_b32 vcc_lo, exec_lo, s48
	s_cbranch_vccnz .LBB119_746
; %bb.739:
	s_wait_xcnt 0x0
	v_and_b32_e32 v1, 0x7fffffff, v4
	v_mov_b32_e32 v5, 0x80
	s_mov_b32 s48, exec_lo
	s_delay_alu instid0(VALU_DEP_2)
	v_cmpx_gt_u32_e32 0x43800000, v1
	s_cbranch_execz .LBB119_745
; %bb.740:
	v_cmp_lt_u32_e32 vcc_lo, 0x3bffffff, v1
	s_mov_b32 s49, 0
                                        ; implicit-def: $vgpr1
	s_and_saveexec_b32 s50, vcc_lo
	s_delay_alu instid0(SALU_CYCLE_1)
	s_xor_b32 s50, exec_lo, s50
	s_cbranch_execz .LBB119_880
; %bb.741:
	v_bfe_u32 v1, v4, 20, 1
	s_mov_b32 s49, exec_lo
	s_delay_alu instid0(VALU_DEP_1) | instskip(NEXT) | instid1(VALU_DEP_1)
	v_add3_u32 v1, v4, v1, 0x487ffff
	v_lshrrev_b32_e32 v1, 20, v1
	s_and_not1_saveexec_b32 s50, s50
	s_cbranch_execnz .LBB119_881
.LBB119_742:
	s_or_b32 exec_lo, exec_lo, s50
	v_mov_b32_e32 v5, 0
	s_and_saveexec_b32 s50, s49
.LBB119_743:
	v_lshrrev_b32_e32 v5, 24, v4
	s_delay_alu instid0(VALU_DEP_1)
	v_and_or_b32 v5, 0x80, v5, v1
.LBB119_744:
	s_or_b32 exec_lo, exec_lo, s50
.LBB119_745:
	s_delay_alu instid0(SALU_CYCLE_1)
	s_or_b32 exec_lo, exec_lo, s48
	global_store_b8 v[2:3], v5, off
.LBB119_746:
	s_mov_b32 s48, -1
.LBB119_747:
	s_mov_b32 s49, 0
.LBB119_748:
	s_delay_alu instid0(SALU_CYCLE_1)
	s_and_b32 vcc_lo, exec_lo, s49
	s_cbranch_vccz .LBB119_789
; %bb.749:
	s_cmp_gt_i32 s47, 22
	s_mov_b32 s49, -1
	s_cbranch_scc0 .LBB119_781
; %bb.750:
	s_cmp_lt_i32 s47, 24
	s_mov_b32 s48, -1
	s_cbranch_scc1 .LBB119_770
; %bb.751:
	s_cmp_gt_i32 s47, 24
	s_cbranch_scc0 .LBB119_759
; %bb.752:
	s_wait_xcnt 0x0
	v_and_b32_e32 v1, 0x7fffffff, v4
	v_mov_b32_e32 v5, 0x80
	s_mov_b32 s48, exec_lo
	s_delay_alu instid0(VALU_DEP_2)
	v_cmpx_gt_u32_e32 0x47800000, v1
	s_cbranch_execz .LBB119_758
; %bb.753:
	v_cmp_lt_u32_e32 vcc_lo, 0x37ffffff, v1
	s_mov_b32 s49, 0
                                        ; implicit-def: $vgpr1
	s_and_saveexec_b32 s50, vcc_lo
	s_delay_alu instid0(SALU_CYCLE_1)
	s_xor_b32 s50, exec_lo, s50
	s_cbranch_execz .LBB119_1011
; %bb.754:
	v_bfe_u32 v1, v4, 21, 1
	s_mov_b32 s49, exec_lo
	s_delay_alu instid0(VALU_DEP_1) | instskip(NEXT) | instid1(VALU_DEP_1)
	v_add3_u32 v1, v4, v1, 0x88fffff
	v_lshrrev_b32_e32 v1, 21, v1
	s_and_not1_saveexec_b32 s50, s50
	s_cbranch_execnz .LBB119_1012
.LBB119_755:
	s_or_b32 exec_lo, exec_lo, s50
	v_mov_b32_e32 v5, 0
	s_and_saveexec_b32 s50, s49
.LBB119_756:
	v_lshrrev_b32_e32 v5, 24, v4
	s_delay_alu instid0(VALU_DEP_1)
	v_and_or_b32 v5, 0x80, v5, v1
.LBB119_757:
	s_or_b32 exec_lo, exec_lo, s50
.LBB119_758:
	s_delay_alu instid0(SALU_CYCLE_1)
	s_or_b32 exec_lo, exec_lo, s48
	s_mov_b32 s48, 0
	global_store_b8 v[2:3], v5, off
.LBB119_759:
	s_and_b32 vcc_lo, exec_lo, s48
	s_cbranch_vccz .LBB119_769
; %bb.760:
	s_wait_xcnt 0x0
	v_and_b32_e32 v5, 0x7fffffff, v4
	s_mov_b32 s48, exec_lo
                                        ; implicit-def: $vgpr1
	s_delay_alu instid0(VALU_DEP_1)
	v_cmpx_gt_u32_e32 0x43f00000, v5
	s_xor_b32 s48, exec_lo, s48
	s_cbranch_execz .LBB119_766
; %bb.761:
	s_mov_b32 s49, exec_lo
                                        ; implicit-def: $vgpr1
	v_cmpx_lt_u32_e32 0x3c7fffff, v5
	s_xor_b32 s49, exec_lo, s49
; %bb.762:
	v_bfe_u32 v1, v4, 20, 1
	s_delay_alu instid0(VALU_DEP_1) | instskip(NEXT) | instid1(VALU_DEP_1)
	v_add3_u32 v1, v4, v1, 0x407ffff
	v_and_b32_e32 v5, 0xff00000, v1
	v_lshrrev_b32_e32 v1, 20, v1
	s_delay_alu instid0(VALU_DEP_2) | instskip(NEXT) | instid1(VALU_DEP_2)
	v_cmp_ne_u32_e32 vcc_lo, 0x7f00000, v5
	v_cndmask_b32_e32 v1, 0x7e, v1, vcc_lo
; %bb.763:
	s_and_not1_saveexec_b32 s49, s49
; %bb.764:
	v_add_f32_e64 v1, 0x46800000, |v4|
; %bb.765:
	s_or_b32 exec_lo, exec_lo, s49
                                        ; implicit-def: $vgpr5
.LBB119_766:
	s_and_not1_saveexec_b32 s48, s48
; %bb.767:
	v_mov_b32_e32 v1, 0x7f
	v_cmp_lt_u32_e32 vcc_lo, 0x7f800000, v5
	s_delay_alu instid0(VALU_DEP_2)
	v_cndmask_b32_e32 v1, 0x7e, v1, vcc_lo
; %bb.768:
	s_or_b32 exec_lo, exec_lo, s48
	v_lshrrev_b32_e32 v5, 24, v4
	s_delay_alu instid0(VALU_DEP_1)
	v_and_or_b32 v1, 0x80, v5, v1
	global_store_b8 v[2:3], v1, off
.LBB119_769:
	s_mov_b32 s48, 0
.LBB119_770:
	s_delay_alu instid0(SALU_CYCLE_1)
	s_and_not1_b32 vcc_lo, exec_lo, s48
	s_cbranch_vccnz .LBB119_780
; %bb.771:
	s_wait_xcnt 0x0
	v_and_b32_e32 v5, 0x7fffffff, v4
	s_mov_b32 s48, exec_lo
                                        ; implicit-def: $vgpr1
	s_delay_alu instid0(VALU_DEP_1)
	v_cmpx_gt_u32_e32 0x47800000, v5
	s_xor_b32 s48, exec_lo, s48
	s_cbranch_execz .LBB119_777
; %bb.772:
	s_mov_b32 s49, exec_lo
                                        ; implicit-def: $vgpr1
	v_cmpx_lt_u32_e32 0x387fffff, v5
	s_xor_b32 s49, exec_lo, s49
; %bb.773:
	v_bfe_u32 v1, v4, 21, 1
	s_delay_alu instid0(VALU_DEP_1) | instskip(NEXT) | instid1(VALU_DEP_1)
	v_add3_u32 v1, v4, v1, 0x80fffff
	v_lshrrev_b32_e32 v1, 21, v1
; %bb.774:
	s_and_not1_saveexec_b32 s49, s49
; %bb.775:
	v_add_f32_e64 v1, 0x43000000, |v4|
; %bb.776:
	s_or_b32 exec_lo, exec_lo, s49
                                        ; implicit-def: $vgpr5
.LBB119_777:
	s_and_not1_saveexec_b32 s48, s48
; %bb.778:
	v_mov_b32_e32 v1, 0x7f
	v_cmp_lt_u32_e32 vcc_lo, 0x7f800000, v5
	s_delay_alu instid0(VALU_DEP_2)
	v_cndmask_b32_e32 v1, 0x7c, v1, vcc_lo
; %bb.779:
	s_or_b32 exec_lo, exec_lo, s48
	v_lshrrev_b32_e32 v5, 24, v4
	s_delay_alu instid0(VALU_DEP_1)
	v_and_or_b32 v1, 0x80, v5, v1
	global_store_b8 v[2:3], v1, off
.LBB119_780:
	s_mov_b32 s49, 0
	s_mov_b32 s48, -1
.LBB119_781:
	s_and_not1_b32 vcc_lo, exec_lo, s49
	s_cbranch_vccnz .LBB119_789
; %bb.782:
	s_cmp_gt_i32 s47, 14
	s_mov_b32 s49, -1
	s_cbranch_scc0 .LBB119_786
; %bb.783:
	s_cmp_eq_u32 s47, 15
	s_mov_b32 s0, -1
	s_cbranch_scc0 .LBB119_785
; %bb.784:
	s_wait_xcnt 0x0
	v_bfe_u32 v1, v4, 16, 1
	v_cmp_o_f32_e32 vcc_lo, v4, v4
	s_mov_b32 s48, -1
	s_mov_b32 s0, 0
	s_delay_alu instid0(VALU_DEP_2) | instskip(NEXT) | instid1(VALU_DEP_1)
	v_add3_u32 v1, v4, v1, 0x7fff
	v_lshrrev_b32_e32 v1, 16, v1
	s_delay_alu instid0(VALU_DEP_1)
	v_cndmask_b32_e32 v1, 0x7fc0, v1, vcc_lo
	global_store_b16 v[2:3], v1, off
.LBB119_785:
	s_mov_b32 s49, 0
.LBB119_786:
	s_delay_alu instid0(SALU_CYCLE_1)
	s_and_b32 vcc_lo, exec_lo, s49
	s_cbranch_vccz .LBB119_789
; %bb.787:
	s_cmp_eq_u32 s47, 11
	s_mov_b32 s0, -1
	s_cbranch_scc0 .LBB119_789
; %bb.788:
	v_cmp_neq_f32_e32 vcc_lo, 0, v4
	s_mov_b32 s0, 0
	s_mov_b32 s48, -1
	s_wait_xcnt 0x0
	v_cndmask_b32_e64 v1, 0, 1, vcc_lo
	global_store_b8 v[2:3], v1, off
.LBB119_789:
	s_mov_b32 s47, 0
.LBB119_790:
	s_delay_alu instid0(SALU_CYCLE_1)
	s_and_b32 vcc_lo, exec_lo, s47
	s_cbranch_vccz .LBB119_829
; %bb.791:
	s_and_b32 s29, 0xffff, s29
	s_mov_b32 s47, -1
	s_cmp_lt_i32 s29, 5
	s_cbranch_scc1 .LBB119_812
; %bb.792:
	s_cmp_lt_i32 s29, 8
	s_cbranch_scc1 .LBB119_802
; %bb.793:
	;; [unrolled: 3-line block ×3, first 2 shown]
	s_cmp_gt_i32 s29, 9
	s_cbranch_scc0 .LBB119_796
; %bb.795:
	s_wait_xcnt 0x0
	v_cvt_f64_f32_e32 v[6:7], v4
	v_mov_b32_e32 v8, 0
	s_mov_b32 s47, 0
	s_delay_alu instid0(VALU_DEP_1)
	v_mov_b32_e32 v9, v8
	global_store_b128 v[2:3], v[6:9], off
.LBB119_796:
	s_and_not1_b32 vcc_lo, exec_lo, s47
	s_cbranch_vccnz .LBB119_798
; %bb.797:
	s_wait_xcnt 0x0
	v_mov_b32_e32 v5, 0
	global_store_b64 v[2:3], v[4:5], off
.LBB119_798:
	s_mov_b32 s47, 0
.LBB119_799:
	s_delay_alu instid0(SALU_CYCLE_1)
	s_and_not1_b32 vcc_lo, exec_lo, s47
	s_cbranch_vccnz .LBB119_801
; %bb.800:
	s_wait_xcnt 0x0
	v_cvt_f16_f32_e32 v1, v4
	s_delay_alu instid0(VALU_DEP_1)
	v_and_b32_e32 v1, 0xffff, v1
	global_store_b32 v[2:3], v1, off
.LBB119_801:
	s_mov_b32 s47, 0
.LBB119_802:
	s_delay_alu instid0(SALU_CYCLE_1)
	s_and_not1_b32 vcc_lo, exec_lo, s47
	s_cbranch_vccnz .LBB119_811
; %bb.803:
	s_cmp_lt_i32 s29, 6
	s_mov_b32 s47, -1
	s_cbranch_scc1 .LBB119_809
; %bb.804:
	s_cmp_gt_i32 s29, 6
	s_cbranch_scc0 .LBB119_806
; %bb.805:
	s_wait_xcnt 0x0
	v_cvt_f64_f32_e32 v[6:7], v4
	s_mov_b32 s47, 0
	global_store_b64 v[2:3], v[6:7], off
.LBB119_806:
	s_and_not1_b32 vcc_lo, exec_lo, s47
	s_cbranch_vccnz .LBB119_808
; %bb.807:
	global_store_b32 v[2:3], v4, off
.LBB119_808:
	s_mov_b32 s47, 0
.LBB119_809:
	s_delay_alu instid0(SALU_CYCLE_1)
	s_and_not1_b32 vcc_lo, exec_lo, s47
	s_cbranch_vccnz .LBB119_811
; %bb.810:
	s_wait_xcnt 0x0
	v_cvt_f16_f32_e32 v1, v4
	global_store_b16 v[2:3], v1, off
.LBB119_811:
	s_mov_b32 s47, 0
.LBB119_812:
	s_delay_alu instid0(SALU_CYCLE_1)
	s_and_not1_b32 vcc_lo, exec_lo, s47
	s_cbranch_vccnz .LBB119_828
; %bb.813:
	s_cmp_lt_i32 s29, 2
	s_mov_b32 s47, -1
	s_cbranch_scc1 .LBB119_823
; %bb.814:
	s_cmp_lt_i32 s29, 3
	s_cbranch_scc1 .LBB119_820
; %bb.815:
	s_cmp_gt_i32 s29, 3
	s_cbranch_scc0 .LBB119_817
; %bb.816:
	s_wait_xcnt 0x0
	v_trunc_f32_e32 v1, v4
	s_mov_b32 s47, 0
	s_delay_alu instid0(VALU_DEP_1) | instskip(SKIP_1) | instid1(VALU_DEP_2)
	v_mul_f32_e64 v5, 0x2f800000, |v1|
	v_ashrrev_i32_e32 v6, 31, v1
	v_floor_f32_e32 v5, v5
	s_delay_alu instid0(VALU_DEP_1) | instskip(SKIP_1) | instid1(VALU_DEP_2)
	v_fma_f32 v7, 0xcf800000, v5, |v1|
	v_cvt_u32_f32_e32 v1, v5
	v_cvt_u32_f32_e32 v5, v7
	s_delay_alu instid0(VALU_DEP_2) | instskip(NEXT) | instid1(VALU_DEP_2)
	v_dual_mov_b32 v7, v6 :: v_dual_bitop2_b32 v9, v1, v6 bitop3:0x14
	v_xor_b32_e32 v8, v5, v6
	s_delay_alu instid0(VALU_DEP_1)
	v_sub_nc_u64_e32 v[6:7], v[8:9], v[6:7]
	global_store_b64 v[2:3], v[6:7], off
.LBB119_817:
	s_and_not1_b32 vcc_lo, exec_lo, s47
	s_cbranch_vccnz .LBB119_819
; %bb.818:
	s_wait_xcnt 0x0
	v_cvt_i32_f32_e32 v1, v4
	global_store_b32 v[2:3], v1, off
.LBB119_819:
	s_mov_b32 s47, 0
.LBB119_820:
	s_delay_alu instid0(SALU_CYCLE_1)
	s_and_not1_b32 vcc_lo, exec_lo, s47
	s_cbranch_vccnz .LBB119_822
; %bb.821:
	s_wait_xcnt 0x0
	v_cvt_i32_f32_e32 v1, v4
	global_store_b16 v[2:3], v1, off
.LBB119_822:
	s_mov_b32 s47, 0
.LBB119_823:
	s_delay_alu instid0(SALU_CYCLE_1)
	s_and_not1_b32 vcc_lo, exec_lo, s47
	s_cbranch_vccnz .LBB119_828
; %bb.824:
	s_cmp_gt_i32 s29, 0
	s_mov_b32 s29, -1
	s_cbranch_scc0 .LBB119_826
; %bb.825:
	s_wait_xcnt 0x0
	v_cvt_i32_f32_e32 v1, v4
	s_mov_b32 s29, 0
	global_store_b8 v[2:3], v1, off
.LBB119_826:
	s_and_not1_b32 vcc_lo, exec_lo, s29
	s_cbranch_vccnz .LBB119_828
; %bb.827:
	s_wait_xcnt 0x0
	v_trunc_f32_e32 v1, v4
	s_delay_alu instid0(VALU_DEP_1) | instskip(NEXT) | instid1(VALU_DEP_1)
	v_mul_f32_e64 v4, 0x2f800000, |v1|
	v_floor_f32_e32 v4, v4
	s_delay_alu instid0(VALU_DEP_1) | instskip(SKIP_1) | instid1(VALU_DEP_2)
	v_fma_f32 v4, 0xcf800000, v4, |v1|
	v_ashrrev_i32_e32 v1, 31, v1
	v_cvt_u32_f32_e32 v4, v4
	s_delay_alu instid0(VALU_DEP_1) | instskip(NEXT) | instid1(VALU_DEP_1)
	v_xor_b32_e32 v4, v4, v1
	v_sub_nc_u32_e32 v1, v4, v1
	global_store_b8 v[2:3], v1, off
.LBB119_828:
	s_mov_b32 s48, -1
.LBB119_829:
	s_delay_alu instid0(SALU_CYCLE_1)
	s_and_not1_b32 vcc_lo, exec_lo, s48
	s_cbranch_vccnz .LBB119_852
; %bb.830:
	v_add_nc_u32_e32 v0, 0x80, v0
	s_mov_b32 s29, -1
.LBB119_831:
	s_and_not1_b32 s47, s42, exec_lo
	s_and_b32 s0, s0, exec_lo
	s_and_not1_b32 s49, s43, exec_lo
	s_and_b32 s28, s28, exec_lo
	s_or_b32 s48, s47, s0
	s_or_b32 s49, s49, s28
	s_and_not1_b32 s0, s44, exec_lo
	s_and_b32 s26, s26, exec_lo
	s_and_not1_b32 s28, s45, exec_lo
	s_and_b32 s27, s27, exec_lo
	s_or_b32 s50, s0, s26
	s_or_b32 s47, s28, s27
	s_or_not1_b32 s26, s29, exec_lo
.LBB119_832:
	s_wait_xcnt 0x0
	s_or_b32 exec_lo, exec_lo, s51
	s_mov_b32 s0, 0
                                        ; implicit-def: $vgpr4
                                        ; implicit-def: $vgpr6
                                        ; implicit-def: $vgpr2
	s_and_saveexec_b32 s51, s26
	s_cbranch_execz .LBB119_1290
; %bb.833:
	s_mov_b32 s27, -1
	s_mov_b32 s0, s47
	s_mov_b32 s54, s50
	;; [unrolled: 1-line block ×4, first 2 shown]
	s_mov_b32 s52, exec_lo
	v_cmpx_gt_i32_e64 s40, v0
	s_cbranch_execz .LBB119_1254
; %bb.834:
	s_and_not1_b32 vcc_lo, exec_lo, s33
	s_cbranch_vccnz .LBB119_840
; %bb.835:
	s_and_not1_b32 vcc_lo, exec_lo, s41
	s_cbranch_vccnz .LBB119_841
; %bb.836:
	s_wait_loadcnt 0x0
	v_dual_mov_b32 v2, 0 :: v_dual_mov_b32 v1, v0
	v_dual_mov_b32 v6, 0 :: v_dual_mov_b32 v4, 0
	s_add_co_i32 s0, s39, 1
	s_mov_b64 s[26:27], 0xffffffffffffffe0
	s_and_b32 s0, s0, 30
	s_add_nc_u64 s[26:27], s[2:3], s[26:27]
	s_mov_b64 s[28:29], s[2:3]
.LBB119_837:                            ; =>This Inner Loop Header: Depth=1
	s_clause 0x1
	s_load_b128 s[56:59], s[28:29], 0x4
	s_load_b64 s[54:55], s[28:29], 0x14
	s_load_b32 s53, s[26:27], 0xe4
	s_add_co_i32 s0, s0, -2
	s_wait_xcnt 0x0
	s_add_nc_u64 s[28:29], s[28:29], 24
	s_cmp_eq_u32 s0, 0
	s_wait_kmcnt 0x0
	v_mul_hi_u32 v3, s57, v1
	s_delay_alu instid0(VALU_DEP_1) | instskip(NEXT) | instid1(VALU_DEP_1)
	v_add_nc_u32_e32 v3, v1, v3
	v_lshrrev_b32_e32 v3, s58, v3
	s_delay_alu instid0(VALU_DEP_1) | instskip(SKIP_2) | instid1(VALU_DEP_1)
	v_mul_hi_u32 v5, s54, v3
	v_mul_lo_u32 v7, v3, s56
	s_load_b96 s[56:58], s[26:27], 0xec
	v_dual_add_nc_u32 v5, v3, v5 :: v_dual_sub_nc_u32 v7, v1, v7
	s_delay_alu instid0(VALU_DEP_1) | instskip(SKIP_1) | instid1(VALU_DEP_2)
	v_lshrrev_b32_e32 v1, s55, v5
	s_load_b64 s[54:55], s[26:27], 0xfc
	v_mad_u32 v2, v7, s53, v2
	s_wait_xcnt 0x0
	s_add_nc_u64 s[26:27], s[26:27], 32
	v_mul_lo_u32 v5, v1, s59
	s_wait_kmcnt 0x0
	v_mad_u32 v4, v7, s57, v4
	v_mad_u32 v6, v7, s56, v6
	s_delay_alu instid0(VALU_DEP_3) | instskip(NEXT) | instid1(VALU_DEP_1)
	v_sub_nc_u32_e32 v3, v3, v5
	v_mad_u32 v2, v3, s58, v2
	s_delay_alu instid0(VALU_DEP_4) | instskip(NEXT) | instid1(VALU_DEP_4)
	v_mad_u32 v4, v3, s55, v4
	v_mad_u32 v6, v3, s54, v6
	s_cbranch_scc0 .LBB119_837
; %bb.838:
	s_bitcmp1_b32 s39, 0
	s_cselect_b32 s0, -1, 0
	s_delay_alu instid0(SALU_CYCLE_1)
	s_and_b32 vcc_lo, exec_lo, s0
	s_cbranch_vccnz .LBB119_842
; %bb.839:
	s_load_b96 s[56:58], s[28:29], 0x4
	s_load_b32 s0, s[26:27], 0xe4
	s_wait_xcnt 0x0
	s_load_b64 s[28:29], s[26:27], 0xec
	s_wait_kmcnt 0x0
	v_mul_hi_u32 v3, s57, v1
	s_delay_alu instid0(VALU_DEP_1) | instskip(NEXT) | instid1(VALU_DEP_1)
	v_add_nc_u32_e32 v3, v1, v3
	v_lshrrev_b32_e32 v3, s58, v3
	s_delay_alu instid0(VALU_DEP_1) | instskip(NEXT) | instid1(VALU_DEP_1)
	v_mul_lo_u32 v3, v3, s56
	v_sub_nc_u32_e32 v1, v1, v3
	s_delay_alu instid0(VALU_DEP_1)
	v_mad_u32 v2, v1, s0, v2
	v_mad_u32 v6, v1, s28, v6
	;; [unrolled: 1-line block ×3, first 2 shown]
	s_branch .LBB119_842
.LBB119_840:
	s_mov_b32 s0, -1
                                        ; implicit-def: $vgpr4
                                        ; implicit-def: $vgpr6
                                        ; implicit-def: $vgpr2
	s_branch .LBB119_843
.LBB119_841:
	s_wait_loadcnt 0x0
	v_dual_mov_b32 v4, 0 :: v_dual_mov_b32 v6, 0
	v_mov_b32_e32 v2, 0
.LBB119_842:
	s_mov_b32 s0, 0
.LBB119_843:
	s_delay_alu instid0(SALU_CYCLE_1)
	s_and_not1_b32 vcc_lo, exec_lo, s0
	s_cbranch_vccnz .LBB119_846
; %bb.844:
	s_wait_loadcnt 0x0
	v_mov_b32_e32 v1, 0
	s_and_not1_b32 vcc_lo, exec_lo, s38
	s_delay_alu instid0(VALU_DEP_1) | instskip(NEXT) | instid1(VALU_DEP_1)
	v_mul_u64_e32 v[2:3], s[20:21], v[0:1]
	v_add_nc_u32_e32 v2, v0, v3
	s_delay_alu instid0(VALU_DEP_1) | instskip(NEXT) | instid1(VALU_DEP_1)
	v_lshrrev_b32_e32 v8, s10, v2
	v_mul_lo_u32 v2, v8, s8
	s_delay_alu instid0(VALU_DEP_1) | instskip(NEXT) | instid1(VALU_DEP_1)
	v_sub_nc_u32_e32 v3, v0, v2
	v_mul_lo_u32 v2, v3, s37
	v_mul_lo_u32 v4, v3, s13
	;; [unrolled: 1-line block ×3, first 2 shown]
	s_cbranch_vccnz .LBB119_846
; %bb.845:
	v_mov_b32_e32 v9, v1
	s_delay_alu instid0(VALU_DEP_1) | instskip(NEXT) | instid1(VALU_DEP_1)
	v_mul_u64_e32 v[10:11], s[24:25], v[8:9]
	v_add_nc_u32_e32 v1, v8, v11
	s_delay_alu instid0(VALU_DEP_1) | instskip(NEXT) | instid1(VALU_DEP_1)
	v_lshrrev_b32_e32 v1, s1, v1
	v_mul_lo_u32 v1, v1, s11
	s_delay_alu instid0(VALU_DEP_1) | instskip(NEXT) | instid1(VALU_DEP_1)
	v_sub_nc_u32_e32 v1, v8, v1
	v_mad_u32 v2, v1, s14, v2
	v_mad_u32 v6, v1, s22, v6
	;; [unrolled: 1-line block ×3, first 2 shown]
.LBB119_846:
	s_and_b32 s26, s36, 0xff
	s_delay_alu instid0(SALU_CYCLE_1)
	s_cmp_lt_i32 s26, 23
	s_cbranch_scc1 .LBB119_850
; %bb.847:
	s_and_b32 s28, 0xffff, s26
	s_delay_alu instid0(SALU_CYCLE_1)
	s_cmp_gt_i32 s28, 43
	s_cbranch_scc0 .LBB119_851
; %bb.848:
	s_cmp_gt_i32 s28, 45
	s_cbranch_scc0 .LBB119_853
; %bb.849:
	s_cmp_eq_u32 s28, 46
	s_mov_b32 s29, 0
	s_cselect_b32 s0, -1, 0
	s_or_b32 s27, s47, exec_lo
	s_branch .LBB119_854
.LBB119_850:
	s_mov_b32 s28, -1
	s_mov_b32 s0, 0
	s_mov_b32 s27, s47
	s_branch .LBB119_860
.LBB119_851:
	s_mov_b32 s29, -1
	s_mov_b32 s0, 0
	s_mov_b32 s27, s47
	s_branch .LBB119_857
.LBB119_852:
	s_mov_b32 s29, 0
	s_branch .LBB119_452
.LBB119_853:
	s_mov_b32 s29, -1
	s_mov_b32 s0, 0
	s_mov_b32 s27, s47
.LBB119_854:
	s_and_not1_b32 vcc_lo, exec_lo, s29
	s_cbranch_vccnz .LBB119_856
; %bb.855:
	s_cmp_eq_u32 s28, 44
	s_cselect_b32 s0, -1, 0
	s_cmp_lg_u32 s28, 44
	s_cselect_b32 s29, -1, 0
	s_and_not1_b32 s27, s27, exec_lo
	s_and_b32 s29, s29, exec_lo
	s_delay_alu instid0(SALU_CYCLE_1)
	s_or_b32 s27, s27, s29
.LBB119_856:
	s_mov_b32 s29, 0
.LBB119_857:
	s_delay_alu instid0(SALU_CYCLE_1)
	s_and_b32 vcc_lo, exec_lo, s29
	s_cbranch_vccz .LBB119_859
; %bb.858:
	s_cmp_lt_i32 s28, 30
	s_cselect_b32 s0, -1, 0
	s_cmp_gt_i32 s28, 29
	s_cselect_b32 s28, -1, 0
	s_and_not1_b32 s27, s27, exec_lo
	s_and_b32 s28, s28, exec_lo
	s_delay_alu instid0(SALU_CYCLE_1)
	s_or_b32 s27, s27, s28
.LBB119_859:
	s_mov_b32 s28, 0
.LBB119_860:
	s_delay_alu instid0(SALU_CYCLE_1)
	s_and_b32 vcc_lo, exec_lo, s28
	s_cbranch_vccz .LBB119_865
; %bb.861:
	s_and_b32 s26, 0xffff, s26
	s_mov_b32 s28, -1
	s_cmp_gt_i32 s26, 14
	s_cbranch_scc0 .LBB119_863
; %bb.862:
	s_cmp_eq_u32 s26, 15
	s_cselect_b32 s0, -1, 0
	s_cmp_lg_u32 s26, 15
	s_cselect_b32 s28, -1, 0
	s_and_not1_b32 s27, s27, exec_lo
	s_and_b32 s29, s28, exec_lo
	s_mov_b32 s28, 0
	s_or_b32 s27, s27, s29
.LBB119_863:
	s_and_not1_b32 vcc_lo, exec_lo, s28
	s_cbranch_vccnz .LBB119_865
; %bb.864:
	s_cmp_lt_i32 s26, 12
	s_cselect_b32 s0, -1, 0
	s_cmp_gt_i32 s26, 11
	s_cselect_b32 s26, -1, 0
	s_and_not1_b32 s27, s27, exec_lo
	s_and_b32 s26, s26, exec_lo
	s_delay_alu instid0(SALU_CYCLE_1)
	s_or_b32 s27, s27, s26
.LBB119_865:
	s_and_b32 vcc_lo, exec_lo, s0
	s_cbranch_vccz .LBB119_873
; %bb.866:
	v_mov_b32_e32 v7, 0
	s_and_b32 s0, s35, 0xff
	s_delay_alu instid0(SALU_CYCLE_1) | instskip(SKIP_1) | instid1(VALU_DEP_1)
	s_cmp_lt_i32 s0, 11
	s_wait_loadcnt 0x0
	v_add_nc_u64_e32 v[6:7], s[4:5], v[6:7]
	s_cbranch_scc1 .LBB119_875
; %bb.867:
	s_and_b32 s27, 0xffff, s0
	s_delay_alu instid0(SALU_CYCLE_1)
	s_cmp_gt_i32 s27, 25
	s_cbranch_scc0 .LBB119_876
; %bb.868:
	s_cmp_gt_i32 s27, 28
	s_cbranch_scc0 .LBB119_877
; %bb.869:
	;; [unrolled: 3-line block ×4, first 2 shown]
	s_cmp_eq_u32 s27, 46
	s_mov_b32 s29, 0
	s_cbranch_scc0 .LBB119_882
; %bb.872:
	global_load_b32 v1, v[6:7], off
	s_mov_b32 s28, -1
	s_mov_b32 s26, 0
	s_wait_loadcnt 0x0
	v_lshlrev_b32_e32 v1, 16, v1
	s_branch .LBB119_884
.LBB119_873:
	s_mov_b32 s29, 0
	s_mov_b32 s0, s48
	;; [unrolled: 1-line block ×4, first 2 shown]
.LBB119_874:
                                        ; implicit-def: $vgpr0
	s_branch .LBB119_1253
.LBB119_875:
	s_mov_b32 s27, -1
	s_mov_b32 s28, 0
	s_mov_b32 s26, s50
                                        ; implicit-def: $vgpr1
	s_branch .LBB119_949
.LBB119_876:
	s_mov_b32 s29, -1
	s_mov_b32 s28, 0
	s_mov_b32 s26, s50
                                        ; implicit-def: $vgpr1
	s_branch .LBB119_913
.LBB119_877:
	s_mov_b32 s29, -1
	s_mov_b32 s28, 0
	s_mov_b32 s26, s50
                                        ; implicit-def: $vgpr1
	s_branch .LBB119_894
.LBB119_878:
	s_mov_b32 s29, -1
	s_mov_b32 s28, 0
	s_mov_b32 s26, s50
                                        ; implicit-def: $vgpr1
	s_branch .LBB119_889
.LBB119_879:
	s_mov_b32 s29, -1
	s_mov_b32 s28, 0
	s_mov_b32 s26, s50
	s_branch .LBB119_883
.LBB119_880:
	s_and_not1_saveexec_b32 s50, s50
	s_cbranch_execz .LBB119_742
.LBB119_881:
	v_add_f32_e64 v1, 0x46000000, |v4|
	s_and_not1_b32 s49, s49, exec_lo
	s_delay_alu instid0(VALU_DEP_1) | instskip(NEXT) | instid1(VALU_DEP_1)
	v_and_b32_e32 v1, 0xff, v1
	v_cmp_ne_u32_e32 vcc_lo, 0, v1
	s_and_b32 s52, vcc_lo, exec_lo
	s_delay_alu instid0(SALU_CYCLE_1)
	s_or_b32 s49, s49, s52
	s_or_b32 exec_lo, exec_lo, s50
	v_mov_b32_e32 v5, 0
	s_and_saveexec_b32 s50, s49
	s_cbranch_execnz .LBB119_743
	s_branch .LBB119_744
.LBB119_882:
	s_mov_b32 s26, -1
	s_mov_b32 s28, 0
.LBB119_883:
                                        ; implicit-def: $vgpr1
.LBB119_884:
	s_and_b32 vcc_lo, exec_lo, s29
	s_cbranch_vccz .LBB119_888
; %bb.885:
	s_cmp_eq_u32 s27, 44
	s_cbranch_scc0 .LBB119_887
; %bb.886:
	global_load_u8 v1, v[6:7], off
	s_mov_b32 s26, 0
	s_mov_b32 s28, -1
	s_wait_loadcnt 0x0
	v_lshlrev_b32_e32 v3, 23, v1
	v_cmp_ne_u32_e32 vcc_lo, 0xff, v1
	s_delay_alu instid0(VALU_DEP_2) | instskip(SKIP_1) | instid1(VALU_DEP_2)
	v_cndmask_b32_e32 v3, 0x7f800001, v3, vcc_lo
	v_cmp_ne_u32_e32 vcc_lo, 0, v1
	v_cndmask_b32_e32 v1, 0x400000, v3, vcc_lo
	s_branch .LBB119_888
.LBB119_887:
	s_mov_b32 s26, -1
                                        ; implicit-def: $vgpr1
.LBB119_888:
	s_mov_b32 s29, 0
.LBB119_889:
	s_delay_alu instid0(SALU_CYCLE_1)
	s_and_b32 vcc_lo, exec_lo, s29
	s_cbranch_vccz .LBB119_893
; %bb.890:
	s_cmp_eq_u32 s27, 29
	s_cbranch_scc0 .LBB119_892
; %bb.891:
	global_load_b64 v[8:9], v[6:7], off
	s_mov_b32 s28, -1
	s_mov_b32 s26, 0
	s_mov_b32 s29, 0
	s_wait_loadcnt 0x0
	v_clz_i32_u32_e32 v1, v9
	s_delay_alu instid0(VALU_DEP_1) | instskip(NEXT) | instid1(VALU_DEP_1)
	v_min_u32_e32 v1, 32, v1
	v_lshlrev_b64_e32 v[8:9], v1, v[8:9]
	v_sub_nc_u32_e32 v1, 32, v1
	s_delay_alu instid0(VALU_DEP_2) | instskip(NEXT) | instid1(VALU_DEP_1)
	v_min_u32_e32 v3, 1, v8
	v_or_b32_e32 v3, v9, v3
	s_delay_alu instid0(VALU_DEP_1) | instskip(NEXT) | instid1(VALU_DEP_1)
	v_cvt_f32_u32_e32 v3, v3
	v_ldexp_f32 v1, v3, v1
	s_branch .LBB119_894
.LBB119_892:
	s_mov_b32 s26, -1
                                        ; implicit-def: $vgpr1
.LBB119_893:
	s_mov_b32 s29, 0
.LBB119_894:
	s_delay_alu instid0(SALU_CYCLE_1)
	s_and_b32 vcc_lo, exec_lo, s29
	s_cbranch_vccz .LBB119_912
; %bb.895:
	s_cmp_lt_i32 s27, 27
	s_cbranch_scc1 .LBB119_898
; %bb.896:
	s_cmp_gt_i32 s27, 27
	s_cbranch_scc0 .LBB119_899
; %bb.897:
	global_load_b32 v1, v[6:7], off
	s_mov_b32 s28, 0
	s_wait_loadcnt 0x0
	v_cvt_f32_u32_e32 v1, v1
	s_branch .LBB119_900
.LBB119_898:
	s_mov_b32 s28, -1
                                        ; implicit-def: $vgpr1
	s_branch .LBB119_903
.LBB119_899:
	s_mov_b32 s28, -1
                                        ; implicit-def: $vgpr1
.LBB119_900:
	s_delay_alu instid0(SALU_CYCLE_1)
	s_and_not1_b32 vcc_lo, exec_lo, s28
	s_cbranch_vccnz .LBB119_902
; %bb.901:
	global_load_u16 v1, v[6:7], off
	s_wait_loadcnt 0x0
	v_cvt_f32_u32_e32 v1, v1
.LBB119_902:
	s_mov_b32 s28, 0
.LBB119_903:
	s_delay_alu instid0(SALU_CYCLE_1)
	s_and_not1_b32 vcc_lo, exec_lo, s28
	s_cbranch_vccnz .LBB119_911
; %bb.904:
	global_load_u8 v3, v[6:7], off
	s_mov_b32 s28, 0
	s_mov_b32 s29, exec_lo
	s_wait_loadcnt 0x0
	v_cmpx_lt_i16_e32 0x7f, v3
	s_xor_b32 s29, exec_lo, s29
	s_cbranch_execz .LBB119_925
; %bb.905:
	s_mov_b32 s28, -1
	s_mov_b32 s53, exec_lo
	v_cmpx_eq_u16_e32 0x80, v3
; %bb.906:
	s_xor_b32 s28, exec_lo, -1
; %bb.907:
	s_or_b32 exec_lo, exec_lo, s53
	s_delay_alu instid0(SALU_CYCLE_1)
	s_and_b32 s28, s28, exec_lo
	s_or_saveexec_b32 s29, s29
	v_mov_b32_e32 v1, 0x7f800001
	s_xor_b32 exec_lo, exec_lo, s29
	s_cbranch_execnz .LBB119_926
.LBB119_908:
	s_or_b32 exec_lo, exec_lo, s29
	s_and_saveexec_b32 s29, s28
	s_cbranch_execz .LBB119_910
.LBB119_909:
	v_and_b32_e32 v1, 0xffff, v3
	s_delay_alu instid0(VALU_DEP_1) | instskip(SKIP_1) | instid1(VALU_DEP_2)
	v_and_b32_e32 v5, 7, v1
	v_bfe_u32 v10, v1, 3, 4
	v_clz_i32_u32_e32 v8, v5
	s_delay_alu instid0(VALU_DEP_2) | instskip(NEXT) | instid1(VALU_DEP_2)
	v_cmp_eq_u32_e32 vcc_lo, 0, v10
	v_min_u32_e32 v8, 32, v8
	s_delay_alu instid0(VALU_DEP_1) | instskip(NEXT) | instid1(VALU_DEP_1)
	v_subrev_nc_u32_e32 v9, 28, v8
	v_dual_lshlrev_b32 v1, v9, v1 :: v_dual_sub_nc_u32 v8, 29, v8
	s_delay_alu instid0(VALU_DEP_1) | instskip(NEXT) | instid1(VALU_DEP_1)
	v_dual_lshlrev_b32 v3, 24, v3 :: v_dual_bitop2_b32 v1, 7, v1 bitop3:0x40
	v_dual_cndmask_b32 v8, v10, v8 :: v_dual_cndmask_b32 v1, v5, v1
	s_delay_alu instid0(VALU_DEP_2) | instskip(NEXT) | instid1(VALU_DEP_2)
	v_and_b32_e32 v3, 0x80000000, v3
	v_lshl_add_u32 v5, v8, 23, 0x3b800000
	s_delay_alu instid0(VALU_DEP_3) | instskip(NEXT) | instid1(VALU_DEP_1)
	v_lshlrev_b32_e32 v1, 20, v1
	v_or3_b32 v1, v3, v5, v1
.LBB119_910:
	s_or_b32 exec_lo, exec_lo, s29
.LBB119_911:
	s_mov_b32 s28, -1
.LBB119_912:
	s_mov_b32 s29, 0
.LBB119_913:
	s_delay_alu instid0(SALU_CYCLE_1)
	s_and_b32 vcc_lo, exec_lo, s29
	s_cbranch_vccz .LBB119_948
; %bb.914:
	s_cmp_gt_i32 s27, 22
	s_cbranch_scc0 .LBB119_924
; %bb.915:
	s_cmp_lt_i32 s27, 24
	s_cbranch_scc1 .LBB119_927
; %bb.916:
	s_cmp_gt_i32 s27, 24
	s_cbranch_scc0 .LBB119_928
; %bb.917:
	global_load_u8 v3, v[6:7], off
	s_mov_b32 s28, 0
	s_mov_b32 s29, exec_lo
	s_wait_loadcnt 0x0
	v_cmpx_lt_i16_e32 0x7f, v3
	s_xor_b32 s29, exec_lo, s29
	s_cbranch_execz .LBB119_940
; %bb.918:
	s_mov_b32 s28, -1
	s_mov_b32 s53, exec_lo
	v_cmpx_eq_u16_e32 0x80, v3
; %bb.919:
	s_xor_b32 s28, exec_lo, -1
; %bb.920:
	s_or_b32 exec_lo, exec_lo, s53
	s_delay_alu instid0(SALU_CYCLE_1)
	s_and_b32 s28, s28, exec_lo
	s_or_saveexec_b32 s29, s29
	v_mov_b32_e32 v1, 0x7f800001
	s_xor_b32 exec_lo, exec_lo, s29
	s_cbranch_execnz .LBB119_941
.LBB119_921:
	s_or_b32 exec_lo, exec_lo, s29
	s_and_saveexec_b32 s29, s28
	s_cbranch_execz .LBB119_923
.LBB119_922:
	v_and_b32_e32 v1, 0xffff, v3
	s_delay_alu instid0(VALU_DEP_1) | instskip(SKIP_1) | instid1(VALU_DEP_2)
	v_and_b32_e32 v5, 3, v1
	v_bfe_u32 v10, v1, 2, 5
	v_clz_i32_u32_e32 v8, v5
	s_delay_alu instid0(VALU_DEP_2) | instskip(NEXT) | instid1(VALU_DEP_2)
	v_cmp_eq_u32_e32 vcc_lo, 0, v10
	v_min_u32_e32 v8, 32, v8
	s_delay_alu instid0(VALU_DEP_1) | instskip(NEXT) | instid1(VALU_DEP_1)
	v_subrev_nc_u32_e32 v9, 29, v8
	v_dual_lshlrev_b32 v1, v9, v1 :: v_dual_sub_nc_u32 v8, 30, v8
	s_delay_alu instid0(VALU_DEP_1) | instskip(NEXT) | instid1(VALU_DEP_1)
	v_dual_lshlrev_b32 v3, 24, v3 :: v_dual_bitop2_b32 v1, 3, v1 bitop3:0x40
	v_dual_cndmask_b32 v8, v10, v8 :: v_dual_cndmask_b32 v1, v5, v1
	s_delay_alu instid0(VALU_DEP_2) | instskip(NEXT) | instid1(VALU_DEP_2)
	v_and_b32_e32 v3, 0x80000000, v3
	v_lshl_add_u32 v5, v8, 23, 0x37800000
	s_delay_alu instid0(VALU_DEP_3) | instskip(NEXT) | instid1(VALU_DEP_1)
	v_lshlrev_b32_e32 v1, 21, v1
	v_or3_b32 v1, v3, v5, v1
.LBB119_923:
	s_or_b32 exec_lo, exec_lo, s29
	s_mov_b32 s28, 0
	s_branch .LBB119_929
.LBB119_924:
	s_mov_b32 s29, -1
                                        ; implicit-def: $vgpr1
	s_branch .LBB119_935
.LBB119_925:
	s_or_saveexec_b32 s29, s29
	v_mov_b32_e32 v1, 0x7f800001
	s_xor_b32 exec_lo, exec_lo, s29
	s_cbranch_execz .LBB119_908
.LBB119_926:
	v_cmp_ne_u16_e32 vcc_lo, 0, v3
	v_mov_b32_e32 v1, 0
	s_and_not1_b32 s28, s28, exec_lo
	s_and_b32 s53, vcc_lo, exec_lo
	s_delay_alu instid0(SALU_CYCLE_1)
	s_or_b32 s28, s28, s53
	s_or_b32 exec_lo, exec_lo, s29
	s_and_saveexec_b32 s29, s28
	s_cbranch_execnz .LBB119_909
	s_branch .LBB119_910
.LBB119_927:
	s_mov_b32 s28, -1
                                        ; implicit-def: $vgpr1
	s_branch .LBB119_932
.LBB119_928:
	s_mov_b32 s28, -1
                                        ; implicit-def: $vgpr1
.LBB119_929:
	s_delay_alu instid0(SALU_CYCLE_1)
	s_and_b32 vcc_lo, exec_lo, s28
	s_cbranch_vccz .LBB119_931
; %bb.930:
	global_load_u8 v1, v[6:7], off
	s_wait_loadcnt 0x0
	v_lshlrev_b32_e32 v1, 24, v1
	s_delay_alu instid0(VALU_DEP_1) | instskip(NEXT) | instid1(VALU_DEP_1)
	v_and_b32_e32 v3, 0x7f000000, v1
	v_clz_i32_u32_e32 v5, v3
	v_add_nc_u32_e32 v9, 0x1000000, v3
	v_cmp_ne_u32_e32 vcc_lo, 0, v3
	s_delay_alu instid0(VALU_DEP_3) | instskip(NEXT) | instid1(VALU_DEP_1)
	v_min_u32_e32 v5, 32, v5
	v_sub_nc_u32_e64 v5, v5, 4 clamp
	s_delay_alu instid0(VALU_DEP_1) | instskip(NEXT) | instid1(VALU_DEP_1)
	v_dual_lshlrev_b32 v8, v5, v3 :: v_dual_lshlrev_b32 v5, 23, v5
	v_lshrrev_b32_e32 v8, 4, v8
	s_delay_alu instid0(VALU_DEP_1) | instskip(SKIP_1) | instid1(VALU_DEP_2)
	v_sub_nc_u32_e32 v5, v8, v5
	v_ashrrev_i32_e32 v8, 8, v9
	v_add_nc_u32_e32 v5, 0x3c000000, v5
	s_delay_alu instid0(VALU_DEP_1) | instskip(NEXT) | instid1(VALU_DEP_1)
	v_and_or_b32 v5, 0x7f800000, v8, v5
	v_cndmask_b32_e32 v3, 0, v5, vcc_lo
	s_delay_alu instid0(VALU_DEP_1)
	v_and_or_b32 v1, 0x80000000, v1, v3
.LBB119_931:
	s_mov_b32 s28, 0
.LBB119_932:
	s_delay_alu instid0(SALU_CYCLE_1)
	s_and_not1_b32 vcc_lo, exec_lo, s28
	s_cbranch_vccnz .LBB119_934
; %bb.933:
	global_load_u8 v1, v[6:7], off
	s_wait_loadcnt 0x0
	v_lshlrev_b32_e32 v3, 25, v1
	v_lshlrev_b16 v1, 8, v1
	s_delay_alu instid0(VALU_DEP_1) | instskip(SKIP_1) | instid1(VALU_DEP_2)
	v_and_or_b32 v8, 0x7f00, v1, 0.5
	v_bfe_i32 v1, v1, 0, 16
	v_dual_add_f32 v8, -0.5, v8 :: v_dual_lshrrev_b32 v5, 4, v3
	v_cmp_gt_u32_e32 vcc_lo, 0x8000000, v3
	s_delay_alu instid0(VALU_DEP_2) | instskip(NEXT) | instid1(VALU_DEP_1)
	v_or_b32_e32 v5, 0x70000000, v5
	v_mul_f32_e32 v5, 0x7800000, v5
	s_delay_alu instid0(VALU_DEP_1) | instskip(NEXT) | instid1(VALU_DEP_1)
	v_cndmask_b32_e32 v3, v5, v8, vcc_lo
	v_and_or_b32 v1, 0x80000000, v1, v3
.LBB119_934:
	s_mov_b32 s29, 0
	s_mov_b32 s28, -1
.LBB119_935:
	s_and_not1_b32 vcc_lo, exec_lo, s29
	s_cbranch_vccnz .LBB119_948
; %bb.936:
	s_cmp_gt_i32 s27, 14
	s_cbranch_scc0 .LBB119_939
; %bb.937:
	s_cmp_eq_u32 s27, 15
	s_cbranch_scc0 .LBB119_942
; %bb.938:
	global_load_u16 v1, v[6:7], off
	s_mov_b32 s28, -1
	s_mov_b32 s26, 0
	s_wait_loadcnt 0x0
	v_lshlrev_b32_e32 v1, 16, v1
	s_branch .LBB119_943
.LBB119_939:
	s_mov_b32 s29, -1
                                        ; implicit-def: $vgpr1
	s_branch .LBB119_944
.LBB119_940:
	s_or_saveexec_b32 s29, s29
	v_mov_b32_e32 v1, 0x7f800001
	s_xor_b32 exec_lo, exec_lo, s29
	s_cbranch_execz .LBB119_921
.LBB119_941:
	v_cmp_ne_u16_e32 vcc_lo, 0, v3
	v_mov_b32_e32 v1, 0
	s_and_not1_b32 s28, s28, exec_lo
	s_and_b32 s53, vcc_lo, exec_lo
	s_delay_alu instid0(SALU_CYCLE_1)
	s_or_b32 s28, s28, s53
	s_or_b32 exec_lo, exec_lo, s29
	s_and_saveexec_b32 s29, s28
	s_cbranch_execnz .LBB119_922
	s_branch .LBB119_923
.LBB119_942:
	s_mov_b32 s26, -1
                                        ; implicit-def: $vgpr1
.LBB119_943:
	s_mov_b32 s29, 0
.LBB119_944:
	s_delay_alu instid0(SALU_CYCLE_1)
	s_and_b32 vcc_lo, exec_lo, s29
	s_cbranch_vccz .LBB119_948
; %bb.945:
	s_cmp_eq_u32 s27, 11
	s_cbranch_scc0 .LBB119_947
; %bb.946:
	global_load_u8 v1, v[6:7], off
	s_mov_b32 s26, 0
	s_mov_b32 s28, -1
	s_wait_loadcnt 0x0
	v_cmp_ne_u16_e32 vcc_lo, 0, v1
	v_cndmask_b32_e64 v1, 0, 1.0, vcc_lo
	s_branch .LBB119_948
.LBB119_947:
	s_mov_b32 s26, -1
                                        ; implicit-def: $vgpr1
.LBB119_948:
	s_mov_b32 s27, 0
.LBB119_949:
	s_delay_alu instid0(SALU_CYCLE_1)
	s_and_b32 vcc_lo, exec_lo, s27
	s_cbranch_vccz .LBB119_998
; %bb.950:
	s_and_b32 s0, 0xffff, s0
	s_delay_alu instid0(SALU_CYCLE_1)
	s_cmp_lt_i32 s0, 5
	s_cbranch_scc1 .LBB119_955
; %bb.951:
	s_cmp_lt_i32 s0, 8
	s_cbranch_scc1 .LBB119_956
; %bb.952:
	;; [unrolled: 3-line block ×3, first 2 shown]
	s_cmp_gt_i32 s0, 9
	s_cbranch_scc0 .LBB119_958
; %bb.954:
	global_load_b64 v[8:9], v[6:7], off
	s_mov_b32 s27, 0
	s_wait_loadcnt 0x0
	v_cvt_f32_f64_e32 v1, v[8:9]
	s_branch .LBB119_959
.LBB119_955:
	s_mov_b32 s27, -1
                                        ; implicit-def: $vgpr1
	s_branch .LBB119_977
.LBB119_956:
	s_mov_b32 s27, -1
                                        ; implicit-def: $vgpr1
	s_branch .LBB119_965
.LBB119_957:
	s_mov_b32 s27, -1
                                        ; implicit-def: $vgpr1
	s_branch .LBB119_962
.LBB119_958:
	s_mov_b32 s27, -1
                                        ; implicit-def: $vgpr1
.LBB119_959:
	s_delay_alu instid0(SALU_CYCLE_1)
	s_and_not1_b32 vcc_lo, exec_lo, s27
	s_cbranch_vccnz .LBB119_961
; %bb.960:
	global_load_b32 v1, v[6:7], off
.LBB119_961:
	s_mov_b32 s27, 0
.LBB119_962:
	s_delay_alu instid0(SALU_CYCLE_1)
	s_and_not1_b32 vcc_lo, exec_lo, s27
	s_cbranch_vccnz .LBB119_964
; %bb.963:
	s_wait_loadcnt 0x0
	global_load_b32 v1, v[6:7], off
	s_wait_loadcnt 0x0
	v_cvt_f32_f16_e32 v1, v1
.LBB119_964:
	s_mov_b32 s27, 0
.LBB119_965:
	s_delay_alu instid0(SALU_CYCLE_1)
	s_and_not1_b32 vcc_lo, exec_lo, s27
	s_cbranch_vccnz .LBB119_976
; %bb.966:
	s_cmp_lt_i32 s0, 6
	s_cbranch_scc1 .LBB119_969
; %bb.967:
	s_cmp_gt_i32 s0, 6
	s_cbranch_scc0 .LBB119_970
; %bb.968:
	global_load_b64 v[8:9], v[6:7], off
	s_mov_b32 s27, 0
	s_wait_loadcnt 0x0
	v_cvt_f32_f64_e32 v1, v[8:9]
	s_branch .LBB119_971
.LBB119_969:
	s_mov_b32 s27, -1
                                        ; implicit-def: $vgpr1
	s_branch .LBB119_974
.LBB119_970:
	s_mov_b32 s27, -1
                                        ; implicit-def: $vgpr1
.LBB119_971:
	s_delay_alu instid0(SALU_CYCLE_1)
	s_and_not1_b32 vcc_lo, exec_lo, s27
	s_cbranch_vccnz .LBB119_973
; %bb.972:
	s_wait_loadcnt 0x0
	global_load_b32 v1, v[6:7], off
.LBB119_973:
	s_mov_b32 s27, 0
.LBB119_974:
	s_delay_alu instid0(SALU_CYCLE_1)
	s_and_not1_b32 vcc_lo, exec_lo, s27
	s_cbranch_vccnz .LBB119_976
; %bb.975:
	s_wait_loadcnt 0x0
	global_load_u16 v1, v[6:7], off
	s_wait_loadcnt 0x0
	v_cvt_f32_f16_e32 v1, v1
.LBB119_976:
	s_mov_b32 s27, 0
.LBB119_977:
	s_delay_alu instid0(SALU_CYCLE_1)
	s_and_not1_b32 vcc_lo, exec_lo, s27
	s_cbranch_vccnz .LBB119_997
; %bb.978:
	s_cmp_lt_i32 s0, 2
	s_cbranch_scc1 .LBB119_982
; %bb.979:
	s_cmp_lt_i32 s0, 3
	s_cbranch_scc1 .LBB119_983
; %bb.980:
	s_cmp_gt_i32 s0, 3
	s_cbranch_scc0 .LBB119_984
; %bb.981:
	global_load_b64 v[8:9], v[6:7], off
	s_mov_b32 s27, 0
	s_wait_loadcnt 0x0
	v_xor_b32_e32 v1, v8, v9
	v_cls_i32_e32 v3, v9
	s_delay_alu instid0(VALU_DEP_2) | instskip(NEXT) | instid1(VALU_DEP_1)
	v_ashrrev_i32_e32 v1, 31, v1
	v_add_nc_u32_e32 v1, 32, v1
	s_delay_alu instid0(VALU_DEP_1) | instskip(NEXT) | instid1(VALU_DEP_1)
	v_add_min_u32_e64 v1, v3, -1, v1
	v_lshlrev_b64_e32 v[8:9], v1, v[8:9]
	v_sub_nc_u32_e32 v1, 32, v1
	s_delay_alu instid0(VALU_DEP_2) | instskip(NEXT) | instid1(VALU_DEP_1)
	v_min_u32_e32 v3, 1, v8
	v_or_b32_e32 v3, v9, v3
	s_delay_alu instid0(VALU_DEP_1) | instskip(NEXT) | instid1(VALU_DEP_1)
	v_cvt_f32_i32_e32 v3, v3
	v_ldexp_f32 v1, v3, v1
	s_branch .LBB119_985
.LBB119_982:
	s_mov_b32 s27, -1
                                        ; implicit-def: $vgpr1
	s_branch .LBB119_991
.LBB119_983:
	s_mov_b32 s27, -1
                                        ; implicit-def: $vgpr1
	s_branch .LBB119_988
.LBB119_984:
	s_mov_b32 s27, -1
                                        ; implicit-def: $vgpr1
.LBB119_985:
	s_delay_alu instid0(SALU_CYCLE_1)
	s_and_not1_b32 vcc_lo, exec_lo, s27
	s_cbranch_vccnz .LBB119_987
; %bb.986:
	s_wait_loadcnt 0x0
	global_load_b32 v1, v[6:7], off
	s_wait_loadcnt 0x0
	v_cvt_f32_i32_e32 v1, v1
.LBB119_987:
	s_mov_b32 s27, 0
.LBB119_988:
	s_delay_alu instid0(SALU_CYCLE_1)
	s_and_not1_b32 vcc_lo, exec_lo, s27
	s_cbranch_vccnz .LBB119_990
; %bb.989:
	s_wait_loadcnt 0x0
	global_load_i16 v1, v[6:7], off
	s_wait_loadcnt 0x0
	v_cvt_f32_i32_e32 v1, v1
.LBB119_990:
	s_mov_b32 s27, 0
.LBB119_991:
	s_delay_alu instid0(SALU_CYCLE_1)
	s_and_not1_b32 vcc_lo, exec_lo, s27
	s_cbranch_vccnz .LBB119_997
; %bb.992:
	s_cmp_gt_i32 s0, 0
	s_mov_b32 s0, 0
	s_cbranch_scc0 .LBB119_994
; %bb.993:
	s_wait_loadcnt 0x0
	global_load_i8 v1, v[6:7], off
	s_wait_loadcnt 0x0
	v_cvt_f32_i32_e32 v1, v1
	s_branch .LBB119_995
.LBB119_994:
	s_mov_b32 s0, -1
                                        ; implicit-def: $vgpr1
.LBB119_995:
	s_delay_alu instid0(SALU_CYCLE_1)
	s_and_not1_b32 vcc_lo, exec_lo, s0
	s_cbranch_vccnz .LBB119_997
; %bb.996:
	s_wait_loadcnt 0x0
	global_load_u8 v1, v[6:7], off
	s_wait_loadcnt 0x0
	v_cvt_f32_ubyte0_e32 v1, v1
.LBB119_997:
	s_mov_b32 s28, -1
.LBB119_998:
	s_mov_b32 s27, 0
	s_mov_b32 s0, s48
	s_and_not1_b32 vcc_lo, exec_lo, s28
	s_mov_b32 s28, s49
	s_mov_b32 s29, 0
	s_cbranch_vccnz .LBB119_1253
; %bb.999:
	v_mov_b32_e32 v5, 0
	s_and_b32 s0, 0xffff, s9
	s_delay_alu instid0(SALU_CYCLE_1) | instskip(NEXT) | instid1(VALU_DEP_1)
	s_cmp_lt_i32 s0, 11
	v_add_nc_u64_e32 v[4:5], s[6:7], v[4:5]
	s_cbranch_scc1 .LBB119_1006
; %bb.1000:
	s_cmp_gt_i32 s0, 25
	s_cbranch_scc0 .LBB119_1007
; %bb.1001:
	s_cmp_gt_i32 s0, 28
	s_cbranch_scc0 .LBB119_1008
	;; [unrolled: 3-line block ×4, first 2 shown]
; %bb.1004:
	s_cmp_eq_u32 s0, 46
	s_mov_b32 s53, 0
	s_cbranch_scc0 .LBB119_1013
; %bb.1005:
	global_load_b32 v3, v[4:5], off
	s_mov_b32 s29, -1
	s_mov_b32 s28, 0
	s_wait_loadcnt 0x0
	s_wait_xcnt 0x1
	v_lshlrev_b32_e32 v6, 16, v3
	s_branch .LBB119_1015
.LBB119_1006:
	s_mov_b32 s53, -1
	s_mov_b32 s28, s49
                                        ; implicit-def: $vgpr6
	s_branch .LBB119_1080
.LBB119_1007:
	s_mov_b32 s53, -1
	s_mov_b32 s28, s49
                                        ; implicit-def: $vgpr6
	s_branch .LBB119_1044
.LBB119_1008:
	s_mov_b32 s53, -1
	s_mov_b32 s28, s49
                                        ; implicit-def: $vgpr6
	s_branch .LBB119_1025
.LBB119_1009:
	s_mov_b32 s53, -1
	s_mov_b32 s28, s49
                                        ; implicit-def: $vgpr6
	s_branch .LBB119_1020
.LBB119_1010:
	s_mov_b32 s53, -1
	s_mov_b32 s28, s49
	s_branch .LBB119_1014
.LBB119_1011:
	s_and_not1_saveexec_b32 s50, s50
	s_cbranch_execz .LBB119_755
.LBB119_1012:
	v_add_f32_e64 v1, 0x42800000, |v4|
	s_and_not1_b32 s49, s49, exec_lo
	s_delay_alu instid0(VALU_DEP_1) | instskip(NEXT) | instid1(VALU_DEP_1)
	v_and_b32_e32 v1, 0xff, v1
	v_cmp_ne_u32_e32 vcc_lo, 0, v1
	s_and_b32 s52, vcc_lo, exec_lo
	s_delay_alu instid0(SALU_CYCLE_1)
	s_or_b32 s49, s49, s52
	s_or_b32 exec_lo, exec_lo, s50
	v_mov_b32_e32 v5, 0
	s_and_saveexec_b32 s50, s49
	s_cbranch_execnz .LBB119_756
	s_branch .LBB119_757
.LBB119_1013:
	s_mov_b32 s28, -1
.LBB119_1014:
                                        ; implicit-def: $vgpr6
.LBB119_1015:
	s_and_b32 vcc_lo, exec_lo, s53
	s_cbranch_vccz .LBB119_1019
; %bb.1016:
	s_cmp_eq_u32 s0, 44
	s_cbranch_scc0 .LBB119_1018
; %bb.1017:
	global_load_u8 v3, v[4:5], off
	s_mov_b32 s28, 0
	s_mov_b32 s29, -1
	s_wait_loadcnt 0x0
	s_wait_xcnt 0x1
	v_lshlrev_b32_e32 v6, 23, v3
	v_cmp_ne_u32_e32 vcc_lo, 0xff, v3
	s_delay_alu instid0(VALU_DEP_2) | instskip(SKIP_1) | instid1(VALU_DEP_2)
	v_cndmask_b32_e32 v6, 0x7f800001, v6, vcc_lo
	v_cmp_ne_u32_e32 vcc_lo, 0, v3
	v_cndmask_b32_e32 v6, 0x400000, v6, vcc_lo
	s_branch .LBB119_1019
.LBB119_1018:
	s_mov_b32 s28, -1
                                        ; implicit-def: $vgpr6
.LBB119_1019:
	s_mov_b32 s53, 0
.LBB119_1020:
	s_delay_alu instid0(SALU_CYCLE_1)
	s_and_b32 vcc_lo, exec_lo, s53
	s_cbranch_vccz .LBB119_1024
; %bb.1021:
	s_cmp_eq_u32 s0, 29
	s_cbranch_scc0 .LBB119_1023
; %bb.1022:
	global_load_b64 v[6:7], v[4:5], off
	s_mov_b32 s29, -1
	s_mov_b32 s28, 0
	s_mov_b32 s53, 0
	s_wait_loadcnt 0x0
	v_clz_i32_u32_e32 v3, v7
	s_delay_alu instid0(VALU_DEP_1) | instskip(NEXT) | instid1(VALU_DEP_1)
	v_min_u32_e32 v3, 32, v3
	v_lshlrev_b64_e32 v[6:7], v3, v[6:7]
	v_sub_nc_u32_e32 v3, 32, v3
	s_delay_alu instid0(VALU_DEP_2) | instskip(NEXT) | instid1(VALU_DEP_1)
	v_min_u32_e32 v6, 1, v6
	v_or_b32_e32 v6, v7, v6
	s_delay_alu instid0(VALU_DEP_1) | instskip(NEXT) | instid1(VALU_DEP_1)
	v_cvt_f32_u32_e32 v6, v6
	v_ldexp_f32 v6, v6, v3
	s_branch .LBB119_1025
.LBB119_1023:
	s_mov_b32 s28, -1
                                        ; implicit-def: $vgpr6
.LBB119_1024:
	s_mov_b32 s53, 0
.LBB119_1025:
	s_delay_alu instid0(SALU_CYCLE_1)
	s_and_b32 vcc_lo, exec_lo, s53
	s_cbranch_vccz .LBB119_1043
; %bb.1026:
	s_cmp_lt_i32 s0, 27
	s_cbranch_scc1 .LBB119_1029
; %bb.1027:
	s_cmp_gt_i32 s0, 27
	s_cbranch_scc0 .LBB119_1030
; %bb.1028:
	global_load_b32 v3, v[4:5], off
	s_mov_b32 s29, 0
	s_wait_loadcnt 0x0
	s_wait_xcnt 0x1
	v_cvt_f32_u32_e32 v6, v3
	s_branch .LBB119_1031
.LBB119_1029:
	s_mov_b32 s29, -1
                                        ; implicit-def: $vgpr6
	s_branch .LBB119_1034
.LBB119_1030:
	s_mov_b32 s29, -1
                                        ; implicit-def: $vgpr6
.LBB119_1031:
	s_delay_alu instid0(SALU_CYCLE_1)
	s_and_not1_b32 vcc_lo, exec_lo, s29
	s_cbranch_vccnz .LBB119_1033
; %bb.1032:
	global_load_u16 v3, v[4:5], off
	s_wait_loadcnt 0x0
	s_wait_xcnt 0x1
	v_cvt_f32_u32_e32 v6, v3
.LBB119_1033:
	s_mov_b32 s29, 0
.LBB119_1034:
	s_delay_alu instid0(SALU_CYCLE_1)
	s_and_not1_b32 vcc_lo, exec_lo, s29
	s_cbranch_vccnz .LBB119_1042
; %bb.1035:
	global_load_u8 v3, v[4:5], off
	s_mov_b32 s29, 0
	s_mov_b32 s53, exec_lo
	s_wait_loadcnt 0x0
	v_cmpx_lt_i16_e32 0x7f, v3
	s_xor_b32 s53, exec_lo, s53
	s_cbranch_execz .LBB119_1056
; %bb.1036:
	s_mov_b32 s29, -1
	s_mov_b32 s54, exec_lo
	v_cmpx_eq_u16_e32 0x80, v3
; %bb.1037:
	s_xor_b32 s29, exec_lo, -1
; %bb.1038:
	s_or_b32 exec_lo, exec_lo, s54
	s_delay_alu instid0(SALU_CYCLE_1)
	s_and_b32 s29, s29, exec_lo
	s_or_saveexec_b32 s53, s53
	v_mov_b32_e32 v6, 0x7f800001
	s_xor_b32 exec_lo, exec_lo, s53
	s_cbranch_execnz .LBB119_1057
.LBB119_1039:
	s_or_b32 exec_lo, exec_lo, s53
	s_and_saveexec_b32 s53, s29
	s_cbranch_execz .LBB119_1041
.LBB119_1040:
	v_and_b32_e32 v6, 0xffff, v3
	s_delay_alu instid0(VALU_DEP_1) | instskip(SKIP_1) | instid1(VALU_DEP_2)
	v_and_b32_e32 v7, 7, v6
	v_bfe_u32 v10, v6, 3, 4
	v_clz_i32_u32_e32 v8, v7
	s_delay_alu instid0(VALU_DEP_2) | instskip(NEXT) | instid1(VALU_DEP_2)
	v_cmp_eq_u32_e32 vcc_lo, 0, v10
	v_min_u32_e32 v8, 32, v8
	s_delay_alu instid0(VALU_DEP_1) | instskip(NEXT) | instid1(VALU_DEP_1)
	v_subrev_nc_u32_e32 v9, 28, v8
	v_dual_lshlrev_b32 v6, v9, v6 :: v_dual_sub_nc_u32 v8, 29, v8
	s_delay_alu instid0(VALU_DEP_1) | instskip(NEXT) | instid1(VALU_DEP_1)
	v_dual_lshlrev_b32 v3, 24, v3 :: v_dual_bitop2_b32 v6, 7, v6 bitop3:0x40
	v_dual_cndmask_b32 v8, v10, v8, vcc_lo :: v_dual_cndmask_b32 v6, v7, v6, vcc_lo
	s_delay_alu instid0(VALU_DEP_2) | instskip(NEXT) | instid1(VALU_DEP_2)
	v_and_b32_e32 v3, 0x80000000, v3
	v_lshl_add_u32 v7, v8, 23, 0x3b800000
	s_delay_alu instid0(VALU_DEP_3) | instskip(NEXT) | instid1(VALU_DEP_1)
	v_lshlrev_b32_e32 v6, 20, v6
	v_or3_b32 v6, v3, v7, v6
.LBB119_1041:
	s_or_b32 exec_lo, exec_lo, s53
.LBB119_1042:
	s_mov_b32 s29, -1
.LBB119_1043:
	s_mov_b32 s53, 0
.LBB119_1044:
	s_delay_alu instid0(SALU_CYCLE_1)
	s_and_b32 vcc_lo, exec_lo, s53
	s_cbranch_vccz .LBB119_1079
; %bb.1045:
	s_cmp_gt_i32 s0, 22
	s_cbranch_scc0 .LBB119_1055
; %bb.1046:
	s_cmp_lt_i32 s0, 24
	s_cbranch_scc1 .LBB119_1058
; %bb.1047:
	s_cmp_gt_i32 s0, 24
	s_cbranch_scc0 .LBB119_1059
; %bb.1048:
	global_load_u8 v3, v[4:5], off
	s_mov_b32 s29, 0
	s_mov_b32 s53, exec_lo
	s_wait_loadcnt 0x0
	v_cmpx_lt_i16_e32 0x7f, v3
	s_xor_b32 s53, exec_lo, s53
	s_cbranch_execz .LBB119_1071
; %bb.1049:
	s_mov_b32 s29, -1
	s_mov_b32 s54, exec_lo
	v_cmpx_eq_u16_e32 0x80, v3
; %bb.1050:
	s_xor_b32 s29, exec_lo, -1
; %bb.1051:
	s_or_b32 exec_lo, exec_lo, s54
	s_delay_alu instid0(SALU_CYCLE_1)
	s_and_b32 s29, s29, exec_lo
	s_or_saveexec_b32 s53, s53
	v_mov_b32_e32 v6, 0x7f800001
	s_xor_b32 exec_lo, exec_lo, s53
	s_cbranch_execnz .LBB119_1072
.LBB119_1052:
	s_or_b32 exec_lo, exec_lo, s53
	s_and_saveexec_b32 s53, s29
	s_cbranch_execz .LBB119_1054
.LBB119_1053:
	v_and_b32_e32 v6, 0xffff, v3
	s_delay_alu instid0(VALU_DEP_1) | instskip(SKIP_1) | instid1(VALU_DEP_2)
	v_and_b32_e32 v7, 3, v6
	v_bfe_u32 v10, v6, 2, 5
	v_clz_i32_u32_e32 v8, v7
	s_delay_alu instid0(VALU_DEP_2) | instskip(NEXT) | instid1(VALU_DEP_2)
	v_cmp_eq_u32_e32 vcc_lo, 0, v10
	v_min_u32_e32 v8, 32, v8
	s_delay_alu instid0(VALU_DEP_1) | instskip(NEXT) | instid1(VALU_DEP_1)
	v_subrev_nc_u32_e32 v9, 29, v8
	v_dual_lshlrev_b32 v6, v9, v6 :: v_dual_sub_nc_u32 v8, 30, v8
	s_delay_alu instid0(VALU_DEP_1) | instskip(NEXT) | instid1(VALU_DEP_1)
	v_dual_lshlrev_b32 v3, 24, v3 :: v_dual_bitop2_b32 v6, 3, v6 bitop3:0x40
	v_dual_cndmask_b32 v8, v10, v8, vcc_lo :: v_dual_cndmask_b32 v6, v7, v6, vcc_lo
	s_delay_alu instid0(VALU_DEP_2) | instskip(NEXT) | instid1(VALU_DEP_2)
	v_and_b32_e32 v3, 0x80000000, v3
	v_lshl_add_u32 v7, v8, 23, 0x37800000
	s_delay_alu instid0(VALU_DEP_3) | instskip(NEXT) | instid1(VALU_DEP_1)
	v_lshlrev_b32_e32 v6, 21, v6
	v_or3_b32 v6, v3, v7, v6
.LBB119_1054:
	s_or_b32 exec_lo, exec_lo, s53
	s_mov_b32 s29, 0
	s_branch .LBB119_1060
.LBB119_1055:
	s_mov_b32 s53, -1
                                        ; implicit-def: $vgpr6
	s_branch .LBB119_1066
.LBB119_1056:
	s_or_saveexec_b32 s53, s53
	v_mov_b32_e32 v6, 0x7f800001
	s_xor_b32 exec_lo, exec_lo, s53
	s_cbranch_execz .LBB119_1039
.LBB119_1057:
	v_cmp_ne_u16_e32 vcc_lo, 0, v3
	v_mov_b32_e32 v6, 0
	s_and_not1_b32 s29, s29, exec_lo
	s_and_b32 s54, vcc_lo, exec_lo
	s_delay_alu instid0(SALU_CYCLE_1)
	s_or_b32 s29, s29, s54
	s_or_b32 exec_lo, exec_lo, s53
	s_and_saveexec_b32 s53, s29
	s_cbranch_execnz .LBB119_1040
	s_branch .LBB119_1041
.LBB119_1058:
	s_mov_b32 s29, -1
                                        ; implicit-def: $vgpr6
	s_branch .LBB119_1063
.LBB119_1059:
	s_mov_b32 s29, -1
                                        ; implicit-def: $vgpr6
.LBB119_1060:
	s_delay_alu instid0(SALU_CYCLE_1)
	s_and_b32 vcc_lo, exec_lo, s29
	s_cbranch_vccz .LBB119_1062
; %bb.1061:
	global_load_u8 v3, v[4:5], off
	s_wait_loadcnt 0x0
	v_lshlrev_b32_e32 v3, 24, v3
	s_wait_xcnt 0x1
	s_delay_alu instid0(VALU_DEP_1) | instskip(NEXT) | instid1(VALU_DEP_1)
	v_and_b32_e32 v6, 0x7f000000, v3
	v_clz_i32_u32_e32 v7, v6
	v_cmp_ne_u32_e32 vcc_lo, 0, v6
	v_add_nc_u32_e32 v9, 0x1000000, v6
	s_delay_alu instid0(VALU_DEP_3) | instskip(NEXT) | instid1(VALU_DEP_1)
	v_min_u32_e32 v7, 32, v7
	v_sub_nc_u32_e64 v7, v7, 4 clamp
	s_delay_alu instid0(VALU_DEP_1) | instskip(NEXT) | instid1(VALU_DEP_1)
	v_dual_lshlrev_b32 v8, v7, v6 :: v_dual_lshlrev_b32 v7, 23, v7
	v_lshrrev_b32_e32 v8, 4, v8
	s_delay_alu instid0(VALU_DEP_1) | instskip(NEXT) | instid1(VALU_DEP_1)
	v_dual_sub_nc_u32 v7, v8, v7 :: v_dual_ashrrev_i32 v8, 8, v9
	v_add_nc_u32_e32 v7, 0x3c000000, v7
	s_delay_alu instid0(VALU_DEP_1) | instskip(NEXT) | instid1(VALU_DEP_1)
	v_and_or_b32 v7, 0x7f800000, v8, v7
	v_cndmask_b32_e32 v6, 0, v7, vcc_lo
	s_delay_alu instid0(VALU_DEP_1)
	v_and_or_b32 v6, 0x80000000, v3, v6
.LBB119_1062:
	s_mov_b32 s29, 0
.LBB119_1063:
	s_delay_alu instid0(SALU_CYCLE_1)
	s_and_not1_b32 vcc_lo, exec_lo, s29
	s_cbranch_vccnz .LBB119_1065
; %bb.1064:
	global_load_u8 v3, v[4:5], off
	s_wait_loadcnt 0x0
	s_wait_xcnt 0x1
	v_lshlrev_b32_e32 v6, 25, v3
	v_lshlrev_b16 v3, 8, v3
	s_delay_alu instid0(VALU_DEP_1) | instskip(SKIP_1) | instid1(VALU_DEP_2)
	v_and_or_b32 v8, 0x7f00, v3, 0.5
	v_bfe_i32 v3, v3, 0, 16
	v_dual_add_f32 v8, -0.5, v8 :: v_dual_lshrrev_b32 v7, 4, v6
	v_cmp_gt_u32_e32 vcc_lo, 0x8000000, v6
	s_delay_alu instid0(VALU_DEP_2) | instskip(NEXT) | instid1(VALU_DEP_1)
	v_or_b32_e32 v7, 0x70000000, v7
	v_mul_f32_e32 v7, 0x7800000, v7
	s_delay_alu instid0(VALU_DEP_1) | instskip(NEXT) | instid1(VALU_DEP_1)
	v_cndmask_b32_e32 v6, v7, v8, vcc_lo
	v_and_or_b32 v6, 0x80000000, v3, v6
.LBB119_1065:
	s_mov_b32 s53, 0
	s_mov_b32 s29, -1
.LBB119_1066:
	s_and_not1_b32 vcc_lo, exec_lo, s53
	s_cbranch_vccnz .LBB119_1079
; %bb.1067:
	s_cmp_gt_i32 s0, 14
	s_cbranch_scc0 .LBB119_1070
; %bb.1068:
	s_cmp_eq_u32 s0, 15
	s_cbranch_scc0 .LBB119_1073
; %bb.1069:
	global_load_u16 v3, v[4:5], off
	s_mov_b32 s29, -1
	s_mov_b32 s28, 0
	s_wait_loadcnt 0x0
	s_wait_xcnt 0x1
	v_lshlrev_b32_e32 v6, 16, v3
	s_branch .LBB119_1074
.LBB119_1070:
	s_mov_b32 s53, -1
                                        ; implicit-def: $vgpr6
	s_branch .LBB119_1075
.LBB119_1071:
	s_or_saveexec_b32 s53, s53
	v_mov_b32_e32 v6, 0x7f800001
	s_xor_b32 exec_lo, exec_lo, s53
	s_cbranch_execz .LBB119_1052
.LBB119_1072:
	v_cmp_ne_u16_e32 vcc_lo, 0, v3
	v_mov_b32_e32 v6, 0
	s_and_not1_b32 s29, s29, exec_lo
	s_and_b32 s54, vcc_lo, exec_lo
	s_delay_alu instid0(SALU_CYCLE_1)
	s_or_b32 s29, s29, s54
	s_or_b32 exec_lo, exec_lo, s53
	s_and_saveexec_b32 s53, s29
	s_cbranch_execnz .LBB119_1053
	s_branch .LBB119_1054
.LBB119_1073:
	s_mov_b32 s28, -1
                                        ; implicit-def: $vgpr6
.LBB119_1074:
	s_mov_b32 s53, 0
.LBB119_1075:
	s_delay_alu instid0(SALU_CYCLE_1)
	s_and_b32 vcc_lo, exec_lo, s53
	s_cbranch_vccz .LBB119_1079
; %bb.1076:
	s_cmp_eq_u32 s0, 11
	s_cbranch_scc0 .LBB119_1078
; %bb.1077:
	global_load_u8 v3, v[4:5], off
	s_mov_b32 s28, 0
	s_mov_b32 s29, -1
	s_wait_loadcnt 0x0
	v_cmp_ne_u16_e32 vcc_lo, 0, v3
	s_wait_xcnt 0x1
	v_cndmask_b32_e64 v6, 0, 1.0, vcc_lo
	s_branch .LBB119_1079
.LBB119_1078:
	s_mov_b32 s28, -1
                                        ; implicit-def: $vgpr6
.LBB119_1079:
	s_mov_b32 s53, 0
.LBB119_1080:
	s_delay_alu instid0(SALU_CYCLE_1)
	s_and_b32 vcc_lo, exec_lo, s53
	s_cbranch_vccz .LBB119_1129
; %bb.1081:
	s_cmp_lt_i32 s0, 5
	s_cbranch_scc1 .LBB119_1086
; %bb.1082:
	s_cmp_lt_i32 s0, 8
	s_cbranch_scc1 .LBB119_1087
	;; [unrolled: 3-line block ×3, first 2 shown]
; %bb.1084:
	s_cmp_gt_i32 s0, 9
	s_cbranch_scc0 .LBB119_1089
; %bb.1085:
	global_load_b64 v[6:7], v[4:5], off
	s_mov_b32 s29, 0
	s_wait_loadcnt 0x0
	v_cvt_f32_f64_e32 v6, v[6:7]
	s_branch .LBB119_1090
.LBB119_1086:
	s_mov_b32 s29, -1
                                        ; implicit-def: $vgpr6
	s_branch .LBB119_1108
.LBB119_1087:
	s_mov_b32 s29, -1
                                        ; implicit-def: $vgpr6
	s_branch .LBB119_1096
.LBB119_1088:
	s_mov_b32 s29, -1
                                        ; implicit-def: $vgpr6
	s_branch .LBB119_1093
.LBB119_1089:
	s_mov_b32 s29, -1
                                        ; implicit-def: $vgpr6
.LBB119_1090:
	s_delay_alu instid0(SALU_CYCLE_1)
	s_and_not1_b32 vcc_lo, exec_lo, s29
	s_cbranch_vccnz .LBB119_1092
; %bb.1091:
	global_load_b32 v6, v[4:5], off
.LBB119_1092:
	s_mov_b32 s29, 0
.LBB119_1093:
	s_delay_alu instid0(SALU_CYCLE_1)
	s_and_not1_b32 vcc_lo, exec_lo, s29
	s_cbranch_vccnz .LBB119_1095
; %bb.1094:
	global_load_b32 v3, v[4:5], off
	s_wait_loadcnt 0x0
	s_wait_xcnt 0x1
	v_cvt_f32_f16_e32 v6, v3
.LBB119_1095:
	s_mov_b32 s29, 0
.LBB119_1096:
	s_delay_alu instid0(SALU_CYCLE_1)
	s_and_not1_b32 vcc_lo, exec_lo, s29
	s_cbranch_vccnz .LBB119_1107
; %bb.1097:
	s_cmp_lt_i32 s0, 6
	s_cbranch_scc1 .LBB119_1100
; %bb.1098:
	s_cmp_gt_i32 s0, 6
	s_cbranch_scc0 .LBB119_1101
; %bb.1099:
	s_wait_loadcnt 0x0
	global_load_b64 v[6:7], v[4:5], off
	s_mov_b32 s29, 0
	s_wait_loadcnt 0x0
	v_cvt_f32_f64_e32 v6, v[6:7]
	s_branch .LBB119_1102
.LBB119_1100:
	s_mov_b32 s29, -1
                                        ; implicit-def: $vgpr6
	s_branch .LBB119_1105
.LBB119_1101:
	s_mov_b32 s29, -1
                                        ; implicit-def: $vgpr6
.LBB119_1102:
	s_delay_alu instid0(SALU_CYCLE_1)
	s_and_not1_b32 vcc_lo, exec_lo, s29
	s_cbranch_vccnz .LBB119_1104
; %bb.1103:
	s_wait_loadcnt 0x0
	global_load_b32 v6, v[4:5], off
.LBB119_1104:
	s_mov_b32 s29, 0
.LBB119_1105:
	s_delay_alu instid0(SALU_CYCLE_1)
	s_and_not1_b32 vcc_lo, exec_lo, s29
	s_cbranch_vccnz .LBB119_1107
; %bb.1106:
	global_load_u16 v3, v[4:5], off
	s_wait_loadcnt 0x0
	s_wait_xcnt 0x1
	v_cvt_f32_f16_e32 v6, v3
.LBB119_1107:
	s_mov_b32 s29, 0
.LBB119_1108:
	s_delay_alu instid0(SALU_CYCLE_1)
	s_and_not1_b32 vcc_lo, exec_lo, s29
	s_cbranch_vccnz .LBB119_1128
; %bb.1109:
	s_cmp_lt_i32 s0, 2
	s_cbranch_scc1 .LBB119_1113
; %bb.1110:
	s_cmp_lt_i32 s0, 3
	s_cbranch_scc1 .LBB119_1114
; %bb.1111:
	s_cmp_gt_i32 s0, 3
	s_cbranch_scc0 .LBB119_1115
; %bb.1112:
	s_wait_loadcnt 0x0
	global_load_b64 v[6:7], v[4:5], off
	s_mov_b32 s29, 0
	s_wait_loadcnt 0x0
	v_xor_b32_e32 v3, v6, v7
	v_cls_i32_e32 v8, v7
	s_delay_alu instid0(VALU_DEP_2) | instskip(NEXT) | instid1(VALU_DEP_1)
	v_ashrrev_i32_e32 v3, 31, v3
	v_add_nc_u32_e32 v3, 32, v3
	s_delay_alu instid0(VALU_DEP_1) | instskip(NEXT) | instid1(VALU_DEP_1)
	v_add_min_u32_e64 v3, v8, -1, v3
	v_lshlrev_b64_e32 v[6:7], v3, v[6:7]
	v_sub_nc_u32_e32 v3, 32, v3
	s_delay_alu instid0(VALU_DEP_2) | instskip(NEXT) | instid1(VALU_DEP_1)
	v_min_u32_e32 v6, 1, v6
	v_or_b32_e32 v6, v7, v6
	s_delay_alu instid0(VALU_DEP_1) | instskip(NEXT) | instid1(VALU_DEP_1)
	v_cvt_f32_i32_e32 v6, v6
	v_ldexp_f32 v6, v6, v3
	s_branch .LBB119_1116
.LBB119_1113:
	s_mov_b32 s29, -1
                                        ; implicit-def: $vgpr6
	s_branch .LBB119_1122
.LBB119_1114:
	s_mov_b32 s29, -1
                                        ; implicit-def: $vgpr6
	s_branch .LBB119_1119
.LBB119_1115:
	s_mov_b32 s29, -1
                                        ; implicit-def: $vgpr6
.LBB119_1116:
	s_delay_alu instid0(SALU_CYCLE_1)
	s_and_not1_b32 vcc_lo, exec_lo, s29
	s_cbranch_vccnz .LBB119_1118
; %bb.1117:
	global_load_b32 v3, v[4:5], off
	s_wait_loadcnt 0x0
	s_wait_xcnt 0x1
	v_cvt_f32_i32_e32 v6, v3
.LBB119_1118:
	s_mov_b32 s29, 0
.LBB119_1119:
	s_delay_alu instid0(SALU_CYCLE_1)
	s_and_not1_b32 vcc_lo, exec_lo, s29
	s_cbranch_vccnz .LBB119_1121
; %bb.1120:
	global_load_i16 v3, v[4:5], off
	s_wait_loadcnt 0x0
	s_wait_xcnt 0x1
	v_cvt_f32_i32_e32 v6, v3
.LBB119_1121:
	s_mov_b32 s29, 0
.LBB119_1122:
	s_delay_alu instid0(SALU_CYCLE_1)
	s_and_not1_b32 vcc_lo, exec_lo, s29
	s_cbranch_vccnz .LBB119_1128
; %bb.1123:
	s_cmp_gt_i32 s0, 0
	s_mov_b32 s0, 0
	s_cbranch_scc0 .LBB119_1125
; %bb.1124:
	global_load_i8 v3, v[4:5], off
	s_wait_loadcnt 0x0
	s_wait_xcnt 0x1
	v_cvt_f32_i32_e32 v6, v3
	s_branch .LBB119_1126
.LBB119_1125:
	s_mov_b32 s0, -1
                                        ; implicit-def: $vgpr6
.LBB119_1126:
	s_delay_alu instid0(SALU_CYCLE_1)
	s_and_not1_b32 vcc_lo, exec_lo, s0
	s_cbranch_vccnz .LBB119_1128
; %bb.1127:
	global_load_u8 v3, v[4:5], off
	s_wait_loadcnt 0x0
	s_wait_xcnt 0x1
	v_cvt_f32_ubyte0_e32 v6, v3
.LBB119_1128:
	s_mov_b32 s29, -1
.LBB119_1129:
	s_delay_alu instid0(SALU_CYCLE_1)
	s_and_not1_b32 vcc_lo, exec_lo, s29
	s_cbranch_vccnz .LBB119_1137
; %bb.1130:
	s_wait_loadcnt 0x0
	s_delay_alu instid0(VALU_DEP_3) | instskip(SKIP_1) | instid1(SALU_CYCLE_1)
	v_dual_mov_b32 v3, 0 :: v_dual_mul_f32 v1, s16, v1
	s_and_b32 s29, s17, 0xff
	s_cmp_lt_i32 s29, 11
	s_delay_alu instid0(VALU_DEP_1) | instskip(SKIP_1) | instid1(VALU_DEP_3)
	v_add_nc_u64_e32 v[2:3], s[18:19], v[2:3]
	s_wait_xcnt 0x0
	v_mul_f32_e32 v4, v1, v6
	s_cbranch_scc1 .LBB119_1138
; %bb.1131:
	s_and_b32 s53, 0xffff, s29
	s_delay_alu instid0(SALU_CYCLE_1)
	s_cmp_gt_i32 s53, 25
	s_cbranch_scc0 .LBB119_1139
; %bb.1132:
	s_cmp_gt_i32 s53, 28
	s_cbranch_scc0 .LBB119_1140
; %bb.1133:
	;; [unrolled: 3-line block ×4, first 2 shown]
	s_mov_b32 s55, 0
	s_mov_b32 s0, -1
	s_cmp_eq_u32 s53, 46
	s_mov_b32 s54, 0
	s_cbranch_scc0 .LBB119_1143
; %bb.1136:
	v_bfe_u32 v1, v4, 16, 1
	v_cmp_o_f32_e32 vcc_lo, v4, v4
	s_mov_b32 s54, -1
	s_mov_b32 s0, 0
	s_delay_alu instid0(VALU_DEP_2) | instskip(NEXT) | instid1(VALU_DEP_1)
	v_add3_u32 v1, v4, v1, 0x7fff
	v_lshrrev_b32_e32 v1, 16, v1
	s_delay_alu instid0(VALU_DEP_1)
	v_cndmask_b32_e32 v1, 0x7fc0, v1, vcc_lo
	global_store_b32 v[2:3], v1, off
	s_branch .LBB119_1143
.LBB119_1137:
	s_mov_b32 s29, 0
	s_mov_b32 s0, s48
	s_branch .LBB119_874
.LBB119_1138:
	s_mov_b32 s53, -1
	s_mov_b32 s54, 0
	s_mov_b32 s0, s48
	s_branch .LBB119_1212
.LBB119_1139:
	s_mov_b32 s55, -1
	s_mov_b32 s54, 0
	s_mov_b32 s0, s48
	s_branch .LBB119_1170
.LBB119_1140:
	s_mov_b32 s55, -1
	s_mov_b32 s54, 0
	s_mov_b32 s0, s48
	s_branch .LBB119_1153
.LBB119_1141:
	s_mov_b32 s55, -1
	s_mov_b32 s54, 0
	s_mov_b32 s0, s48
	s_branch .LBB119_1149
.LBB119_1142:
	s_mov_b32 s55, -1
	s_mov_b32 s54, 0
	s_mov_b32 s0, s48
.LBB119_1143:
	s_and_b32 vcc_lo, exec_lo, s55
	s_cbranch_vccz .LBB119_1148
; %bb.1144:
	s_cmp_eq_u32 s53, 44
	s_mov_b32 s0, -1
	s_cbranch_scc0 .LBB119_1148
; %bb.1145:
	v_bfe_u32 v5, v4, 23, 8
	s_wait_xcnt 0x0
	v_mov_b32_e32 v1, 0xff
	s_mov_b32 s54, exec_lo
	s_delay_alu instid0(VALU_DEP_2)
	v_cmpx_ne_u32_e32 0xff, v5
	s_cbranch_execz .LBB119_1147
; %bb.1146:
	v_and_b32_e32 v1, 0x400000, v4
	v_and_or_b32 v5, 0x3fffff, v4, v5
	s_delay_alu instid0(VALU_DEP_2) | instskip(NEXT) | instid1(VALU_DEP_2)
	v_cmp_ne_u32_e32 vcc_lo, 0, v1
	v_cmp_ne_u32_e64 s0, 0, v5
	v_lshrrev_b32_e32 v1, 23, v4
	s_and_b32 s0, vcc_lo, s0
	s_delay_alu instid0(SALU_CYCLE_1) | instskip(NEXT) | instid1(VALU_DEP_1)
	v_cndmask_b32_e64 v5, 0, 1, s0
	v_add_nc_u32_e32 v1, v1, v5
.LBB119_1147:
	s_or_b32 exec_lo, exec_lo, s54
	s_mov_b32 s54, -1
	s_mov_b32 s0, 0
	global_store_b8 v[2:3], v1, off
.LBB119_1148:
	s_mov_b32 s55, 0
.LBB119_1149:
	s_delay_alu instid0(SALU_CYCLE_1)
	s_and_b32 vcc_lo, exec_lo, s55
	s_cbranch_vccz .LBB119_1152
; %bb.1150:
	s_cmp_eq_u32 s53, 29
	s_mov_b32 s0, -1
	s_cbranch_scc0 .LBB119_1152
; %bb.1151:
	s_wait_xcnt 0x0
	v_trunc_f32_e32 v1, v4
	s_mov_b32 s54, -1
	s_mov_b32 s0, 0
	s_mov_b32 s55, 0
	s_delay_alu instid0(VALU_DEP_1) | instskip(NEXT) | instid1(VALU_DEP_1)
	v_mul_f32_e32 v5, 0x2f800000, v1
	v_floor_f32_e32 v5, v5
	s_delay_alu instid0(VALU_DEP_1) | instskip(SKIP_1) | instid1(VALU_DEP_2)
	v_fmamk_f32 v1, v5, 0xcf800000, v1
	v_cvt_u32_f32_e32 v7, v5
	v_cvt_u32_f32_e32 v6, v1
	global_store_b64 v[2:3], v[6:7], off
	s_branch .LBB119_1153
.LBB119_1152:
	s_mov_b32 s55, 0
.LBB119_1153:
	s_delay_alu instid0(SALU_CYCLE_1)
	s_and_b32 vcc_lo, exec_lo, s55
	s_cbranch_vccz .LBB119_1169
; %bb.1154:
	s_cmp_lt_i32 s53, 27
	s_mov_b32 s54, -1
	s_cbranch_scc1 .LBB119_1160
; %bb.1155:
	s_cmp_gt_i32 s53, 27
	s_cbranch_scc0 .LBB119_1157
; %bb.1156:
	s_wait_xcnt 0x0
	v_cvt_u32_f32_e32 v1, v4
	s_mov_b32 s54, 0
	global_store_b32 v[2:3], v1, off
.LBB119_1157:
	s_and_not1_b32 vcc_lo, exec_lo, s54
	s_cbranch_vccnz .LBB119_1159
; %bb.1158:
	s_wait_xcnt 0x0
	v_cvt_u32_f32_e32 v1, v4
	global_store_b16 v[2:3], v1, off
.LBB119_1159:
	s_mov_b32 s54, 0
.LBB119_1160:
	s_delay_alu instid0(SALU_CYCLE_1)
	s_and_not1_b32 vcc_lo, exec_lo, s54
	s_cbranch_vccnz .LBB119_1168
; %bb.1161:
	s_wait_xcnt 0x0
	v_and_b32_e32 v1, 0x7fffffff, v4
	v_mov_b32_e32 v5, 0x80
	s_mov_b32 s54, exec_lo
	s_delay_alu instid0(VALU_DEP_2)
	v_cmpx_gt_u32_e32 0x43800000, v1
	s_cbranch_execz .LBB119_1167
; %bb.1162:
	v_cmp_lt_u32_e32 vcc_lo, 0x3bffffff, v1
	s_mov_b32 s55, 0
                                        ; implicit-def: $vgpr1
	s_and_saveexec_b32 s56, vcc_lo
	s_delay_alu instid0(SALU_CYCLE_1)
	s_xor_b32 s56, exec_lo, s56
	s_cbranch_execz .LBB119_2159
; %bb.1163:
	v_bfe_u32 v1, v4, 20, 1
	s_mov_b32 s55, exec_lo
	s_delay_alu instid0(VALU_DEP_1) | instskip(NEXT) | instid1(VALU_DEP_1)
	v_add3_u32 v1, v4, v1, 0x487ffff
	v_lshrrev_b32_e32 v1, 20, v1
	s_and_not1_saveexec_b32 s56, s56
	s_cbranch_execnz .LBB119_2160
.LBB119_1164:
	s_or_b32 exec_lo, exec_lo, s56
	v_mov_b32_e32 v5, 0
	s_and_saveexec_b32 s56, s55
.LBB119_1165:
	v_lshrrev_b32_e32 v5, 24, v4
	s_delay_alu instid0(VALU_DEP_1)
	v_and_or_b32 v5, 0x80, v5, v1
.LBB119_1166:
	s_or_b32 exec_lo, exec_lo, s56
.LBB119_1167:
	s_delay_alu instid0(SALU_CYCLE_1)
	s_or_b32 exec_lo, exec_lo, s54
	global_store_b8 v[2:3], v5, off
.LBB119_1168:
	s_mov_b32 s54, -1
.LBB119_1169:
	s_mov_b32 s55, 0
.LBB119_1170:
	s_delay_alu instid0(SALU_CYCLE_1)
	s_and_b32 vcc_lo, exec_lo, s55
	s_cbranch_vccz .LBB119_1211
; %bb.1171:
	s_cmp_gt_i32 s53, 22
	s_mov_b32 s55, -1
	s_cbranch_scc0 .LBB119_1203
; %bb.1172:
	s_cmp_lt_i32 s53, 24
	s_mov_b32 s54, -1
	s_cbranch_scc1 .LBB119_1192
; %bb.1173:
	s_cmp_gt_i32 s53, 24
	s_cbranch_scc0 .LBB119_1181
; %bb.1174:
	s_wait_xcnt 0x0
	v_and_b32_e32 v1, 0x7fffffff, v4
	v_mov_b32_e32 v5, 0x80
	s_mov_b32 s54, exec_lo
	s_delay_alu instid0(VALU_DEP_2)
	v_cmpx_gt_u32_e32 0x47800000, v1
	s_cbranch_execz .LBB119_1180
; %bb.1175:
	v_cmp_lt_u32_e32 vcc_lo, 0x37ffffff, v1
	s_mov_b32 s55, 0
                                        ; implicit-def: $vgpr1
	s_and_saveexec_b32 s56, vcc_lo
	s_delay_alu instid0(SALU_CYCLE_1)
	s_xor_b32 s56, exec_lo, s56
	s_cbranch_execz .LBB119_2312
; %bb.1176:
	v_bfe_u32 v1, v4, 21, 1
	s_mov_b32 s55, exec_lo
	s_delay_alu instid0(VALU_DEP_1) | instskip(NEXT) | instid1(VALU_DEP_1)
	v_add3_u32 v1, v4, v1, 0x88fffff
	v_lshrrev_b32_e32 v1, 21, v1
	s_and_not1_saveexec_b32 s56, s56
	s_cbranch_execnz .LBB119_2313
.LBB119_1177:
	s_or_b32 exec_lo, exec_lo, s56
	v_mov_b32_e32 v5, 0
	s_and_saveexec_b32 s56, s55
.LBB119_1178:
	v_lshrrev_b32_e32 v5, 24, v4
	s_delay_alu instid0(VALU_DEP_1)
	v_and_or_b32 v5, 0x80, v5, v1
.LBB119_1179:
	s_or_b32 exec_lo, exec_lo, s56
.LBB119_1180:
	s_delay_alu instid0(SALU_CYCLE_1)
	s_or_b32 exec_lo, exec_lo, s54
	s_mov_b32 s54, 0
	global_store_b8 v[2:3], v5, off
.LBB119_1181:
	s_and_b32 vcc_lo, exec_lo, s54
	s_cbranch_vccz .LBB119_1191
; %bb.1182:
	s_wait_xcnt 0x0
	v_and_b32_e32 v5, 0x7fffffff, v4
	s_mov_b32 s54, exec_lo
                                        ; implicit-def: $vgpr1
	s_delay_alu instid0(VALU_DEP_1)
	v_cmpx_gt_u32_e32 0x43f00000, v5
	s_xor_b32 s54, exec_lo, s54
	s_cbranch_execz .LBB119_1188
; %bb.1183:
	s_mov_b32 s55, exec_lo
                                        ; implicit-def: $vgpr1
	v_cmpx_lt_u32_e32 0x3c7fffff, v5
	s_xor_b32 s55, exec_lo, s55
; %bb.1184:
	v_bfe_u32 v1, v4, 20, 1
	s_delay_alu instid0(VALU_DEP_1) | instskip(NEXT) | instid1(VALU_DEP_1)
	v_add3_u32 v1, v4, v1, 0x407ffff
	v_and_b32_e32 v5, 0xff00000, v1
	v_lshrrev_b32_e32 v1, 20, v1
	s_delay_alu instid0(VALU_DEP_2) | instskip(NEXT) | instid1(VALU_DEP_2)
	v_cmp_ne_u32_e32 vcc_lo, 0x7f00000, v5
	v_cndmask_b32_e32 v1, 0x7e, v1, vcc_lo
; %bb.1185:
	s_and_not1_saveexec_b32 s55, s55
; %bb.1186:
	v_add_f32_e64 v1, 0x46800000, |v4|
; %bb.1187:
	s_or_b32 exec_lo, exec_lo, s55
                                        ; implicit-def: $vgpr5
.LBB119_1188:
	s_and_not1_saveexec_b32 s54, s54
; %bb.1189:
	v_mov_b32_e32 v1, 0x7f
	v_cmp_lt_u32_e32 vcc_lo, 0x7f800000, v5
	s_delay_alu instid0(VALU_DEP_2)
	v_cndmask_b32_e32 v1, 0x7e, v1, vcc_lo
; %bb.1190:
	s_or_b32 exec_lo, exec_lo, s54
	v_lshrrev_b32_e32 v5, 24, v4
	s_delay_alu instid0(VALU_DEP_1)
	v_and_or_b32 v1, 0x80, v5, v1
	global_store_b8 v[2:3], v1, off
.LBB119_1191:
	s_mov_b32 s54, 0
.LBB119_1192:
	s_delay_alu instid0(SALU_CYCLE_1)
	s_and_not1_b32 vcc_lo, exec_lo, s54
	s_cbranch_vccnz .LBB119_1202
; %bb.1193:
	s_wait_xcnt 0x0
	v_and_b32_e32 v5, 0x7fffffff, v4
	s_mov_b32 s54, exec_lo
                                        ; implicit-def: $vgpr1
	s_delay_alu instid0(VALU_DEP_1)
	v_cmpx_gt_u32_e32 0x47800000, v5
	s_xor_b32 s54, exec_lo, s54
	s_cbranch_execz .LBB119_1199
; %bb.1194:
	s_mov_b32 s55, exec_lo
                                        ; implicit-def: $vgpr1
	v_cmpx_lt_u32_e32 0x387fffff, v5
	s_xor_b32 s55, exec_lo, s55
; %bb.1195:
	v_bfe_u32 v1, v4, 21, 1
	s_delay_alu instid0(VALU_DEP_1) | instskip(NEXT) | instid1(VALU_DEP_1)
	v_add3_u32 v1, v4, v1, 0x80fffff
	v_lshrrev_b32_e32 v1, 21, v1
; %bb.1196:
	s_and_not1_saveexec_b32 s55, s55
; %bb.1197:
	v_add_f32_e64 v1, 0x43000000, |v4|
; %bb.1198:
	s_or_b32 exec_lo, exec_lo, s55
                                        ; implicit-def: $vgpr5
.LBB119_1199:
	s_and_not1_saveexec_b32 s54, s54
; %bb.1200:
	v_mov_b32_e32 v1, 0x7f
	v_cmp_lt_u32_e32 vcc_lo, 0x7f800000, v5
	s_delay_alu instid0(VALU_DEP_2)
	v_cndmask_b32_e32 v1, 0x7c, v1, vcc_lo
; %bb.1201:
	s_or_b32 exec_lo, exec_lo, s54
	v_lshrrev_b32_e32 v5, 24, v4
	s_delay_alu instid0(VALU_DEP_1)
	v_and_or_b32 v1, 0x80, v5, v1
	global_store_b8 v[2:3], v1, off
.LBB119_1202:
	s_mov_b32 s55, 0
	s_mov_b32 s54, -1
.LBB119_1203:
	s_and_not1_b32 vcc_lo, exec_lo, s55
	s_cbranch_vccnz .LBB119_1211
; %bb.1204:
	s_cmp_gt_i32 s53, 14
	s_mov_b32 s55, -1
	s_cbranch_scc0 .LBB119_1208
; %bb.1205:
	s_cmp_eq_u32 s53, 15
	s_mov_b32 s0, -1
	s_cbranch_scc0 .LBB119_1207
; %bb.1206:
	s_wait_xcnt 0x0
	v_bfe_u32 v1, v4, 16, 1
	v_cmp_o_f32_e32 vcc_lo, v4, v4
	s_mov_b32 s54, -1
	s_mov_b32 s0, 0
	s_delay_alu instid0(VALU_DEP_2) | instskip(NEXT) | instid1(VALU_DEP_1)
	v_add3_u32 v1, v4, v1, 0x7fff
	v_lshrrev_b32_e32 v1, 16, v1
	s_delay_alu instid0(VALU_DEP_1)
	v_cndmask_b32_e32 v1, 0x7fc0, v1, vcc_lo
	global_store_b16 v[2:3], v1, off
.LBB119_1207:
	s_mov_b32 s55, 0
.LBB119_1208:
	s_delay_alu instid0(SALU_CYCLE_1)
	s_and_b32 vcc_lo, exec_lo, s55
	s_cbranch_vccz .LBB119_1211
; %bb.1209:
	s_cmp_eq_u32 s53, 11
	s_mov_b32 s0, -1
	s_cbranch_scc0 .LBB119_1211
; %bb.1210:
	v_cmp_neq_f32_e32 vcc_lo, 0, v4
	s_mov_b32 s0, 0
	s_mov_b32 s54, -1
	s_wait_xcnt 0x0
	v_cndmask_b32_e64 v1, 0, 1, vcc_lo
	global_store_b8 v[2:3], v1, off
.LBB119_1211:
	s_mov_b32 s53, 0
.LBB119_1212:
	s_delay_alu instid0(SALU_CYCLE_1)
	s_and_b32 vcc_lo, exec_lo, s53
	s_cbranch_vccz .LBB119_1251
; %bb.1213:
	s_and_b32 s29, 0xffff, s29
	s_mov_b32 s53, -1
	s_cmp_lt_i32 s29, 5
	s_cbranch_scc1 .LBB119_1234
; %bb.1214:
	s_cmp_lt_i32 s29, 8
	s_cbranch_scc1 .LBB119_1224
; %bb.1215:
	s_cmp_lt_i32 s29, 9
	s_cbranch_scc1 .LBB119_1221
; %bb.1216:
	s_cmp_gt_i32 s29, 9
	s_cbranch_scc0 .LBB119_1218
; %bb.1217:
	s_wait_xcnt 0x0
	v_cvt_f64_f32_e32 v[6:7], v4
	v_mov_b32_e32 v8, 0
	s_mov_b32 s53, 0
	s_delay_alu instid0(VALU_DEP_1)
	v_mov_b32_e32 v9, v8
	global_store_b128 v[2:3], v[6:9], off
.LBB119_1218:
	s_and_not1_b32 vcc_lo, exec_lo, s53
	s_cbranch_vccnz .LBB119_1220
; %bb.1219:
	s_wait_xcnt 0x0
	v_mov_b32_e32 v5, 0
	global_store_b64 v[2:3], v[4:5], off
.LBB119_1220:
	s_mov_b32 s53, 0
.LBB119_1221:
	s_delay_alu instid0(SALU_CYCLE_1)
	s_and_not1_b32 vcc_lo, exec_lo, s53
	s_cbranch_vccnz .LBB119_1223
; %bb.1222:
	s_wait_xcnt 0x0
	v_cvt_f16_f32_e32 v1, v4
	s_delay_alu instid0(VALU_DEP_1)
	v_and_b32_e32 v1, 0xffff, v1
	global_store_b32 v[2:3], v1, off
.LBB119_1223:
	s_mov_b32 s53, 0
.LBB119_1224:
	s_delay_alu instid0(SALU_CYCLE_1)
	s_and_not1_b32 vcc_lo, exec_lo, s53
	s_cbranch_vccnz .LBB119_1233
; %bb.1225:
	s_cmp_lt_i32 s29, 6
	s_mov_b32 s53, -1
	s_cbranch_scc1 .LBB119_1231
; %bb.1226:
	s_cmp_gt_i32 s29, 6
	s_cbranch_scc0 .LBB119_1228
; %bb.1227:
	s_wait_xcnt 0x0
	v_cvt_f64_f32_e32 v[6:7], v4
	s_mov_b32 s53, 0
	global_store_b64 v[2:3], v[6:7], off
.LBB119_1228:
	s_and_not1_b32 vcc_lo, exec_lo, s53
	s_cbranch_vccnz .LBB119_1230
; %bb.1229:
	global_store_b32 v[2:3], v4, off
.LBB119_1230:
	s_mov_b32 s53, 0
.LBB119_1231:
	s_delay_alu instid0(SALU_CYCLE_1)
	s_and_not1_b32 vcc_lo, exec_lo, s53
	s_cbranch_vccnz .LBB119_1233
; %bb.1232:
	s_wait_xcnt 0x0
	v_cvt_f16_f32_e32 v1, v4
	global_store_b16 v[2:3], v1, off
.LBB119_1233:
	s_mov_b32 s53, 0
.LBB119_1234:
	s_delay_alu instid0(SALU_CYCLE_1)
	s_and_not1_b32 vcc_lo, exec_lo, s53
	s_cbranch_vccnz .LBB119_1250
; %bb.1235:
	s_cmp_lt_i32 s29, 2
	s_mov_b32 s53, -1
	s_cbranch_scc1 .LBB119_1245
; %bb.1236:
	s_cmp_lt_i32 s29, 3
	s_cbranch_scc1 .LBB119_1242
; %bb.1237:
	s_cmp_gt_i32 s29, 3
	s_cbranch_scc0 .LBB119_1239
; %bb.1238:
	s_wait_xcnt 0x0
	v_trunc_f32_e32 v1, v4
	s_mov_b32 s53, 0
	s_delay_alu instid0(VALU_DEP_1) | instskip(SKIP_1) | instid1(VALU_DEP_2)
	v_mul_f32_e64 v5, 0x2f800000, |v1|
	v_ashrrev_i32_e32 v6, 31, v1
	v_floor_f32_e32 v5, v5
	s_delay_alu instid0(VALU_DEP_1) | instskip(SKIP_1) | instid1(VALU_DEP_2)
	v_fma_f32 v7, 0xcf800000, v5, |v1|
	v_cvt_u32_f32_e32 v1, v5
	v_cvt_u32_f32_e32 v5, v7
	s_delay_alu instid0(VALU_DEP_2) | instskip(NEXT) | instid1(VALU_DEP_2)
	v_dual_mov_b32 v7, v6 :: v_dual_bitop2_b32 v9, v1, v6 bitop3:0x14
	v_xor_b32_e32 v8, v5, v6
	s_delay_alu instid0(VALU_DEP_1)
	v_sub_nc_u64_e32 v[6:7], v[8:9], v[6:7]
	global_store_b64 v[2:3], v[6:7], off
.LBB119_1239:
	s_and_not1_b32 vcc_lo, exec_lo, s53
	s_cbranch_vccnz .LBB119_1241
; %bb.1240:
	s_wait_xcnt 0x0
	v_cvt_i32_f32_e32 v1, v4
	global_store_b32 v[2:3], v1, off
.LBB119_1241:
	s_mov_b32 s53, 0
.LBB119_1242:
	s_delay_alu instid0(SALU_CYCLE_1)
	s_and_not1_b32 vcc_lo, exec_lo, s53
	s_cbranch_vccnz .LBB119_1244
; %bb.1243:
	s_wait_xcnt 0x0
	v_cvt_i32_f32_e32 v1, v4
	global_store_b16 v[2:3], v1, off
.LBB119_1244:
	s_mov_b32 s53, 0
.LBB119_1245:
	s_delay_alu instid0(SALU_CYCLE_1)
	s_and_not1_b32 vcc_lo, exec_lo, s53
	s_cbranch_vccnz .LBB119_1250
; %bb.1246:
	s_cmp_gt_i32 s29, 0
	s_mov_b32 s29, -1
	s_cbranch_scc0 .LBB119_1248
; %bb.1247:
	s_wait_xcnt 0x0
	v_cvt_i32_f32_e32 v1, v4
	s_mov_b32 s29, 0
	global_store_b8 v[2:3], v1, off
.LBB119_1248:
	s_and_not1_b32 vcc_lo, exec_lo, s29
	s_cbranch_vccnz .LBB119_1250
; %bb.1249:
	s_wait_xcnt 0x0
	v_trunc_f32_e32 v1, v4
	s_delay_alu instid0(VALU_DEP_1) | instskip(NEXT) | instid1(VALU_DEP_1)
	v_mul_f32_e64 v4, 0x2f800000, |v1|
	v_floor_f32_e32 v4, v4
	s_delay_alu instid0(VALU_DEP_1) | instskip(SKIP_1) | instid1(VALU_DEP_2)
	v_fma_f32 v4, 0xcf800000, v4, |v1|
	v_ashrrev_i32_e32 v1, 31, v1
	v_cvt_u32_f32_e32 v4, v4
	s_delay_alu instid0(VALU_DEP_1) | instskip(NEXT) | instid1(VALU_DEP_1)
	v_xor_b32_e32 v4, v4, v1
	v_sub_nc_u32_e32 v1, v4, v1
	global_store_b8 v[2:3], v1, off
.LBB119_1250:
	s_mov_b32 s54, -1
.LBB119_1251:
	s_delay_alu instid0(SALU_CYCLE_1)
	s_and_not1_b32 vcc_lo, exec_lo, s54
	s_cbranch_vccnz .LBB119_1274
; %bb.1252:
	v_add_nc_u32_e32 v0, 0x80, v0
	s_mov_b32 s29, -1
.LBB119_1253:
	s_and_not1_b32 s53, s48, exec_lo
	s_and_b32 s0, s0, exec_lo
	s_and_not1_b32 s54, s49, exec_lo
	s_and_b32 s28, s28, exec_lo
	s_or_b32 s55, s53, s0
	s_or_b32 s53, s54, s28
	s_and_not1_b32 s0, s50, exec_lo
	s_and_b32 s26, s26, exec_lo
	s_and_not1_b32 s28, s47, exec_lo
	s_and_b32 s27, s27, exec_lo
	s_or_b32 s54, s0, s26
	s_or_b32 s0, s28, s27
	s_or_not1_b32 s27, s29, exec_lo
.LBB119_1254:
	s_wait_xcnt 0x0
	s_or_b32 exec_lo, exec_lo, s52
	s_mov_b32 s26, 0
                                        ; implicit-def: $vgpr4
                                        ; implicit-def: $vgpr6
                                        ; implicit-def: $vgpr2
	s_and_saveexec_b32 s52, s27
	s_cbranch_execz .LBB119_1289
; %bb.1255:
	v_cmp_gt_i32_e32 vcc_lo, s40, v0
	s_mov_b32 s27, s0
                                        ; implicit-def: $vgpr4
                                        ; implicit-def: $vgpr6
                                        ; implicit-def: $vgpr2
	s_and_saveexec_b32 s40, vcc_lo
	s_cbranch_execz .LBB119_1288
; %bb.1256:
	s_and_not1_b32 vcc_lo, exec_lo, s33
	s_cbranch_vccnz .LBB119_1262
; %bb.1257:
	s_and_not1_b32 vcc_lo, exec_lo, s41
	s_cbranch_vccnz .LBB119_1263
; %bb.1258:
	s_wait_loadcnt 0x0
	v_dual_mov_b32 v2, 0 :: v_dual_mov_b32 v1, v0
	v_dual_mov_b32 v6, 0 :: v_dual_mov_b32 v4, 0
	s_add_co_i32 s28, s39, 1
	s_mov_b64 s[26:27], 0xffffffffffffffe0
	s_and_b32 s41, s28, 30
	s_add_nc_u64 s[26:27], s[2:3], s[26:27]
	s_mov_b64 s[28:29], s[2:3]
.LBB119_1259:                           ; =>This Inner Loop Header: Depth=1
	s_clause 0x1
	s_load_b128 s[56:59], s[28:29], 0x4
	s_load_b64 s[60:61], s[28:29], 0x14
	s_load_b32 s62, s[26:27], 0xe4
	s_add_co_i32 s41, s41, -2
	s_wait_xcnt 0x0
	s_add_nc_u64 s[28:29], s[28:29], 24
	s_cmp_eq_u32 s41, 0
	s_wait_kmcnt 0x0
	v_mul_hi_u32 v3, s57, v1
	s_delay_alu instid0(VALU_DEP_1) | instskip(NEXT) | instid1(VALU_DEP_1)
	v_add_nc_u32_e32 v3, v1, v3
	v_lshrrev_b32_e32 v3, s58, v3
	s_delay_alu instid0(VALU_DEP_1) | instskip(SKIP_2) | instid1(VALU_DEP_1)
	v_mul_hi_u32 v5, s60, v3
	v_mul_lo_u32 v7, v3, s56
	s_load_b96 s[56:58], s[26:27], 0xec
	v_dual_add_nc_u32 v5, v3, v5 :: v_dual_sub_nc_u32 v7, v1, v7
	s_delay_alu instid0(VALU_DEP_1) | instskip(SKIP_1) | instid1(VALU_DEP_2)
	v_lshrrev_b32_e32 v1, s61, v5
	s_load_b64 s[60:61], s[26:27], 0xfc
	v_mad_u32 v2, v7, s62, v2
	s_wait_xcnt 0x0
	s_add_nc_u64 s[26:27], s[26:27], 32
	v_mul_lo_u32 v5, v1, s59
	s_wait_kmcnt 0x0
	v_mad_u32 v4, v7, s57, v4
	v_mad_u32 v6, v7, s56, v6
	s_delay_alu instid0(VALU_DEP_3) | instskip(NEXT) | instid1(VALU_DEP_1)
	v_sub_nc_u32_e32 v3, v3, v5
	v_mad_u32 v2, v3, s58, v2
	s_delay_alu instid0(VALU_DEP_4) | instskip(NEXT) | instid1(VALU_DEP_4)
	v_mad_u32 v4, v3, s61, v4
	v_mad_u32 v6, v3, s60, v6
	s_cbranch_scc0 .LBB119_1259
; %bb.1260:
	s_bitcmp1_b32 s39, 0
	s_cselect_b32 s39, -1, 0
	s_delay_alu instid0(SALU_CYCLE_1)
	s_and_b32 vcc_lo, exec_lo, s39
	s_cbranch_vccnz .LBB119_1264
; %bb.1261:
	s_load_b96 s[56:58], s[28:29], 0x4
	s_load_b32 s39, s[26:27], 0xe4
	s_wait_xcnt 0x0
	s_load_b64 s[28:29], s[26:27], 0xec
	s_wait_kmcnt 0x0
	v_mul_hi_u32 v3, s57, v1
	s_delay_alu instid0(VALU_DEP_1) | instskip(NEXT) | instid1(VALU_DEP_1)
	v_add_nc_u32_e32 v3, v1, v3
	v_lshrrev_b32_e32 v3, s58, v3
	s_delay_alu instid0(VALU_DEP_1) | instskip(NEXT) | instid1(VALU_DEP_1)
	v_mul_lo_u32 v3, v3, s56
	v_sub_nc_u32_e32 v1, v1, v3
	s_delay_alu instid0(VALU_DEP_1)
	v_mad_u32 v2, v1, s39, v2
	v_mad_u32 v6, v1, s28, v6
	;; [unrolled: 1-line block ×3, first 2 shown]
	s_branch .LBB119_1264
.LBB119_1262:
	s_mov_b32 s26, -1
                                        ; implicit-def: $vgpr4
                                        ; implicit-def: $vgpr6
                                        ; implicit-def: $vgpr2
	s_branch .LBB119_1265
.LBB119_1263:
	s_wait_loadcnt 0x0
	v_dual_mov_b32 v4, 0 :: v_dual_mov_b32 v6, 0
	v_mov_b32_e32 v2, 0
.LBB119_1264:
	s_mov_b32 s26, 0
.LBB119_1265:
	s_delay_alu instid0(SALU_CYCLE_1)
	s_and_not1_b32 vcc_lo, exec_lo, s26
	s_cbranch_vccnz .LBB119_1268
; %bb.1266:
	s_wait_loadcnt 0x0
	v_mov_b32_e32 v1, 0
	s_and_not1_b32 vcc_lo, exec_lo, s38
	s_delay_alu instid0(VALU_DEP_1) | instskip(NEXT) | instid1(VALU_DEP_1)
	v_mul_u64_e32 v[2:3], s[20:21], v[0:1]
	v_add_nc_u32_e32 v2, v0, v3
	s_delay_alu instid0(VALU_DEP_1) | instskip(NEXT) | instid1(VALU_DEP_1)
	v_lshrrev_b32_e32 v8, s10, v2
	v_mul_lo_u32 v2, v8, s8
	s_delay_alu instid0(VALU_DEP_1) | instskip(NEXT) | instid1(VALU_DEP_1)
	v_sub_nc_u32_e32 v0, v0, v2
	v_mul_lo_u32 v2, v0, s37
	v_mul_lo_u32 v4, v0, s13
	;; [unrolled: 1-line block ×3, first 2 shown]
	s_cbranch_vccnz .LBB119_1268
; %bb.1267:
	v_mov_b32_e32 v9, v1
	s_delay_alu instid0(VALU_DEP_1) | instskip(NEXT) | instid1(VALU_DEP_1)
	v_mul_u64_e32 v[0:1], s[24:25], v[8:9]
	v_add_nc_u32_e32 v0, v8, v1
	s_delay_alu instid0(VALU_DEP_1) | instskip(NEXT) | instid1(VALU_DEP_1)
	v_lshrrev_b32_e32 v0, s1, v0
	v_mul_lo_u32 v0, v0, s11
	s_delay_alu instid0(VALU_DEP_1) | instskip(NEXT) | instid1(VALU_DEP_1)
	v_sub_nc_u32_e32 v0, v8, v0
	v_mad_u32 v2, v0, s14, v2
	v_mad_u32 v6, v0, s22, v6
	;; [unrolled: 1-line block ×3, first 2 shown]
.LBB119_1268:
	s_and_b32 s10, s36, 0xff
	s_delay_alu instid0(SALU_CYCLE_1)
	s_cmp_lt_i32 s10, 23
	s_cbranch_scc1 .LBB119_1272
; %bb.1269:
	s_and_b32 s11, 0xffff, s10
	s_delay_alu instid0(SALU_CYCLE_1)
	s_cmp_gt_i32 s11, 43
	s_cbranch_scc0 .LBB119_1273
; %bb.1270:
	s_cmp_gt_i32 s11, 45
	s_cbranch_scc0 .LBB119_1275
; %bb.1271:
	s_cmp_lg_u32 s11, 46
	s_mov_b32 s12, 0
	s_cselect_b32 s1, -1, 0
	s_and_not1_b32 s8, s0, exec_lo
	s_and_b32 s13, s1, exec_lo
	s_mov_b32 s1, -1
	s_or_b32 s8, s8, s13
	s_branch .LBB119_1276
.LBB119_1272:
	s_mov_b32 s11, -1
	s_mov_b32 s1, 0
	s_mov_b32 s8, s0
	s_branch .LBB119_1282
.LBB119_1273:
	s_mov_b32 s12, -1
	s_mov_b32 s1, 0
	s_mov_b32 s8, s0
	s_branch .LBB119_1279
.LBB119_1274:
	s_mov_b32 s29, 0
	s_branch .LBB119_874
.LBB119_1275:
	s_mov_b32 s12, -1
	s_mov_b32 s1, 0
	s_mov_b32 s8, s0
.LBB119_1276:
	s_and_not1_b32 vcc_lo, exec_lo, s12
	s_cbranch_vccnz .LBB119_1278
; %bb.1277:
	s_cmp_eq_u32 s11, 44
	s_cselect_b32 s1, -1, 0
	s_cmp_lg_u32 s11, 44
	s_cselect_b32 s12, -1, 0
	s_and_not1_b32 s8, s8, exec_lo
	s_and_b32 s12, s12, exec_lo
	s_delay_alu instid0(SALU_CYCLE_1)
	s_or_b32 s8, s8, s12
.LBB119_1278:
	s_mov_b32 s12, 0
.LBB119_1279:
	s_delay_alu instid0(SALU_CYCLE_1)
	s_and_b32 vcc_lo, exec_lo, s12
	s_cbranch_vccz .LBB119_1281
; %bb.1280:
	s_cmp_lt_i32 s11, 30
	s_cselect_b32 s1, -1, 0
	s_cmp_gt_i32 s11, 29
	s_cselect_b32 s11, -1, 0
	s_and_not1_b32 s8, s8, exec_lo
	s_and_b32 s11, s11, exec_lo
	s_delay_alu instid0(SALU_CYCLE_1)
	s_or_b32 s8, s8, s11
.LBB119_1281:
	s_mov_b32 s11, 0
.LBB119_1282:
	s_delay_alu instid0(SALU_CYCLE_1)
	s_and_b32 vcc_lo, exec_lo, s11
	s_cbranch_vccz .LBB119_1287
; %bb.1283:
	s_and_b32 s10, 0xffff, s10
	s_mov_b32 s11, -1
	s_cmp_gt_i32 s10, 14
	s_cbranch_scc0 .LBB119_1285
; %bb.1284:
	s_cmp_eq_u32 s10, 15
	s_cselect_b32 s1, -1, 0
	s_cmp_lg_u32 s10, 15
	s_cselect_b32 s11, -1, 0
	s_and_not1_b32 s8, s8, exec_lo
	s_and_b32 s12, s11, exec_lo
	s_mov_b32 s11, 0
	s_or_b32 s8, s8, s12
.LBB119_1285:
	s_and_not1_b32 vcc_lo, exec_lo, s11
	s_cbranch_vccnz .LBB119_1287
; %bb.1286:
	s_cmp_lt_i32 s10, 12
	s_cselect_b32 s1, -1, 0
	s_cmp_gt_i32 s10, 11
	s_cselect_b32 s10, -1, 0
	s_and_not1_b32 s8, s8, exec_lo
	s_and_b32 s10, s10, exec_lo
	s_delay_alu instid0(SALU_CYCLE_1)
	s_or_b32 s8, s8, s10
.LBB119_1287:
	s_and_not1_b32 s10, s0, exec_lo
	s_and_b32 s8, s8, exec_lo
	s_and_b32 s26, s1, exec_lo
	s_or_b32 s27, s10, s8
.LBB119_1288:
	s_or_b32 exec_lo, exec_lo, s40
	s_delay_alu instid0(SALU_CYCLE_1)
	s_and_not1_b32 s0, s0, exec_lo
	s_and_b32 s1, s27, exec_lo
	s_and_b32 s26, s26, exec_lo
	s_or_b32 s0, s0, s1
.LBB119_1289:
	s_or_b32 exec_lo, exec_lo, s52
	s_delay_alu instid0(SALU_CYCLE_1)
	s_and_not1_b32 s1, s48, exec_lo
	s_and_b32 s8, s55, exec_lo
	s_and_not1_b32 s10, s50, exec_lo
	s_or_b32 s48, s1, s8
	s_and_not1_b32 s1, s49, exec_lo
	s_and_b32 s8, s53, exec_lo
	s_and_b32 s11, s54, exec_lo
	s_or_b32 s49, s1, s8
	s_and_not1_b32 s1, s47, exec_lo
	s_and_b32 s8, s0, exec_lo
	s_or_b32 s50, s10, s11
	s_and_b32 s0, s26, exec_lo
	s_or_b32 s47, s1, s8
.LBB119_1290:
	s_or_b32 exec_lo, exec_lo, s51
	s_delay_alu instid0(SALU_CYCLE_1)
	s_and_not1_b32 s1, s42, exec_lo
	s_and_b32 s8, s48, exec_lo
	s_and_not1_b32 s10, s44, exec_lo
	s_or_b32 s42, s1, s8
	s_and_not1_b32 s1, s43, exec_lo
	s_and_b32 s8, s49, exec_lo
	s_and_b32 s11, s50, exec_lo
	s_or_b32 s43, s1, s8
	s_and_not1_b32 s1, s45, exec_lo
	s_and_b32 s8, s47, exec_lo
	s_or_b32 s44, s10, s11
	s_and_b32 s21, s0, exec_lo
	s_or_b32 s45, s1, s8
.LBB119_1291:
	s_or_b32 exec_lo, exec_lo, s46
	s_mov_b32 s10, 0
	s_mov_b32 s1, 0
	s_and_saveexec_b32 s0, s45
	s_cbranch_execnz .LBB119_1306
.LBB119_1292:
	s_or_b32 exec_lo, exec_lo, s0
	s_mov_b32 s12, 0
	s_mov_b32 s11, 0
                                        ; implicit-def: $sgpr0
                                        ; implicit-def: $vgpr0_vgpr1
                                        ; implicit-def: $vgpr7
	s_and_saveexec_b32 s8, s21
	s_cbranch_execz .LBB119_1300
; %bb.1293:
	v_mov_b32_e32 v7, 0
	s_and_b32 s0, s35, 0xff
	s_delay_alu instid0(SALU_CYCLE_1) | instskip(SKIP_1) | instid1(VALU_DEP_1)
	s_cmp_lt_i32 s0, 11
	s_wait_loadcnt 0x0
	v_add_nc_u64_e32 v[0:1], s[4:5], v[6:7]
	s_cbranch_scc1 .LBB119_1303
; %bb.1294:
	s_and_b32 s4, 0xffff, s0
	s_delay_alu instid0(SALU_CYCLE_1)
	s_cmp_gt_i32 s4, 25
	s_cbranch_scc0 .LBB119_1304
; %bb.1295:
	s_cmp_gt_i32 s4, 28
	s_cbranch_scc0 .LBB119_1305
; %bb.1296:
	;; [unrolled: 3-line block ×4, first 2 shown]
	s_cmp_eq_u32 s4, 46
	s_cbranch_scc0 .LBB119_1309
; %bb.1299:
	global_load_b32 v3, v[0:1], off
	s_mov_b32 s5, 0
	s_mov_b32 s11, -1
	s_wait_loadcnt 0x0
	v_lshlrev_b32_e32 v7, 16, v3
	s_branch .LBB119_1311
.LBB119_1300:
	s_or_b32 exec_lo, exec_lo, s8
	s_and_saveexec_b32 s4, s44
	s_cbranch_execnz .LBB119_1374
.LBB119_1301:
	s_or_b32 exec_lo, exec_lo, s4
	s_and_saveexec_b32 s4, s10
	s_delay_alu instid0(SALU_CYCLE_1)
	s_xor_b32 s4, exec_lo, s4
	s_cbranch_execz .LBB119_1375
.LBB119_1302:
	s_wait_loadcnt 0x0
	global_load_u8 v3, v[0:1], off
	s_or_b32 s11, s11, exec_lo
	s_wait_loadcnt 0x0
	v_cmp_ne_u16_e32 vcc_lo, 0, v3
	v_cndmask_b32_e64 v7, 0, 1.0, vcc_lo
	s_wait_xcnt 0x0
	s_or_b32 exec_lo, exec_lo, s4
	s_and_saveexec_b32 s4, s12
	s_cbranch_execz .LBB119_1421
	s_branch .LBB119_1376
.LBB119_1303:
	s_mov_b32 s4, -1
	s_mov_b32 s5, s44
                                        ; implicit-def: $vgpr7
	s_branch .LBB119_1373
.LBB119_1304:
	s_mov_b32 s5, s44
                                        ; implicit-def: $vgpr7
	s_cbranch_execnz .LBB119_1340
	s_branch .LBB119_1372
.LBB119_1305:
	s_mov_b32 s12, -1
	s_mov_b32 s5, s44
                                        ; implicit-def: $vgpr7
	s_branch .LBB119_1321
.LBB119_1306:
	s_mov_b32 s1, exec_lo
	s_and_not1_b32 s21, s21, exec_lo
	s_trap 2
	s_branch .LBB119_1292
.LBB119_1307:
	s_mov_b32 s12, -1
	s_mov_b32 s5, s44
                                        ; implicit-def: $vgpr7
	s_branch .LBB119_1316
.LBB119_1308:
	s_mov_b32 s12, -1
	s_mov_b32 s5, s44
	s_branch .LBB119_1310
.LBB119_1309:
	s_mov_b32 s5, -1
.LBB119_1310:
                                        ; implicit-def: $vgpr7
.LBB119_1311:
	s_and_b32 vcc_lo, exec_lo, s12
	s_cbranch_vccz .LBB119_1315
; %bb.1312:
	s_cmp_eq_u32 s4, 44
	s_cbranch_scc0 .LBB119_1314
; %bb.1313:
	global_load_u8 v3, v[0:1], off
	s_mov_b32 s5, 0
	s_mov_b32 s11, -1
	s_wait_loadcnt 0x0
	v_lshlrev_b32_e32 v5, 23, v3
	v_cmp_ne_u32_e32 vcc_lo, 0xff, v3
	s_delay_alu instid0(VALU_DEP_2) | instskip(SKIP_1) | instid1(VALU_DEP_2)
	v_cndmask_b32_e32 v5, 0x7f800001, v5, vcc_lo
	v_cmp_ne_u32_e32 vcc_lo, 0, v3
	v_cndmask_b32_e32 v7, 0x400000, v5, vcc_lo
	s_branch .LBB119_1315
.LBB119_1314:
	s_mov_b32 s5, -1
                                        ; implicit-def: $vgpr7
.LBB119_1315:
	s_mov_b32 s12, 0
.LBB119_1316:
	s_delay_alu instid0(SALU_CYCLE_1)
	s_and_b32 vcc_lo, exec_lo, s12
	s_cbranch_vccz .LBB119_1320
; %bb.1317:
	s_cmp_eq_u32 s4, 29
	s_cbranch_scc0 .LBB119_1319
; %bb.1318:
	global_load_b64 v[6:7], v[0:1], off
	s_mov_b32 s5, 0
	s_mov_b32 s11, -1
	s_mov_b32 s12, 0
	s_wait_loadcnt 0x0
	v_clz_i32_u32_e32 v3, v7
	s_delay_alu instid0(VALU_DEP_1) | instskip(NEXT) | instid1(VALU_DEP_1)
	v_min_u32_e32 v3, 32, v3
	v_lshlrev_b64_e32 v[6:7], v3, v[6:7]
	v_sub_nc_u32_e32 v3, 32, v3
	s_delay_alu instid0(VALU_DEP_2) | instskip(NEXT) | instid1(VALU_DEP_1)
	v_min_u32_e32 v5, 1, v6
	v_or_b32_e32 v5, v7, v5
	s_delay_alu instid0(VALU_DEP_1) | instskip(NEXT) | instid1(VALU_DEP_1)
	v_cvt_f32_u32_e32 v5, v5
	v_ldexp_f32 v7, v5, v3
	s_branch .LBB119_1321
.LBB119_1319:
	s_mov_b32 s5, -1
                                        ; implicit-def: $vgpr7
.LBB119_1320:
	s_mov_b32 s12, 0
.LBB119_1321:
	s_delay_alu instid0(SALU_CYCLE_1)
	s_and_b32 vcc_lo, exec_lo, s12
	s_cbranch_vccz .LBB119_1339
; %bb.1322:
	s_cmp_lt_i32 s4, 27
	s_cbranch_scc1 .LBB119_1325
; %bb.1323:
	s_cmp_gt_i32 s4, 27
	s_cbranch_scc0 .LBB119_1326
; %bb.1324:
	global_load_b32 v3, v[0:1], off
	s_mov_b32 s11, 0
	s_wait_loadcnt 0x0
	v_cvt_f32_u32_e32 v7, v3
	s_branch .LBB119_1327
.LBB119_1325:
	s_mov_b32 s11, -1
                                        ; implicit-def: $vgpr7
	s_branch .LBB119_1330
.LBB119_1326:
	s_mov_b32 s11, -1
                                        ; implicit-def: $vgpr7
.LBB119_1327:
	s_delay_alu instid0(SALU_CYCLE_1)
	s_and_not1_b32 vcc_lo, exec_lo, s11
	s_cbranch_vccnz .LBB119_1329
; %bb.1328:
	global_load_u16 v3, v[0:1], off
	s_wait_loadcnt 0x0
	v_cvt_f32_u32_e32 v7, v3
.LBB119_1329:
	s_mov_b32 s11, 0
.LBB119_1330:
	s_delay_alu instid0(SALU_CYCLE_1)
	s_and_not1_b32 vcc_lo, exec_lo, s11
	s_cbranch_vccnz .LBB119_1338
; %bb.1331:
	global_load_u8 v3, v[0:1], off
	s_mov_b32 s11, 0
	s_mov_b32 s12, exec_lo
	s_wait_loadcnt 0x0
	v_cmpx_lt_i16_e32 0x7f, v3
	s_xor_b32 s12, exec_lo, s12
	s_cbranch_execz .LBB119_1351
; %bb.1332:
	s_mov_b32 s11, -1
	s_mov_b32 s13, exec_lo
	v_cmpx_eq_u16_e32 0x80, v3
; %bb.1333:
	s_xor_b32 s11, exec_lo, -1
; %bb.1334:
	s_or_b32 exec_lo, exec_lo, s13
	s_delay_alu instid0(SALU_CYCLE_1)
	s_and_b32 s11, s11, exec_lo
	s_or_saveexec_b32 s12, s12
	v_mov_b32_e32 v7, 0x7f800001
	s_xor_b32 exec_lo, exec_lo, s12
	s_cbranch_execnz .LBB119_1352
.LBB119_1335:
	s_or_b32 exec_lo, exec_lo, s12
	s_and_saveexec_b32 s12, s11
	s_cbranch_execz .LBB119_1337
.LBB119_1336:
	v_and_b32_e32 v5, 0xffff, v3
	s_delay_alu instid0(VALU_DEP_1) | instskip(SKIP_1) | instid1(VALU_DEP_2)
	v_and_b32_e32 v6, 7, v5
	v_bfe_u32 v9, v5, 3, 4
	v_clz_i32_u32_e32 v7, v6
	s_delay_alu instid0(VALU_DEP_2) | instskip(NEXT) | instid1(VALU_DEP_2)
	v_cmp_eq_u32_e32 vcc_lo, 0, v9
	v_min_u32_e32 v7, 32, v7
	s_delay_alu instid0(VALU_DEP_1) | instskip(NEXT) | instid1(VALU_DEP_1)
	v_subrev_nc_u32_e32 v8, 28, v7
	v_dual_lshlrev_b32 v5, v8, v5 :: v_dual_sub_nc_u32 v7, 29, v7
	s_delay_alu instid0(VALU_DEP_1) | instskip(NEXT) | instid1(VALU_DEP_1)
	v_dual_lshlrev_b32 v3, 24, v3 :: v_dual_bitop2_b32 v5, 7, v5 bitop3:0x40
	v_dual_cndmask_b32 v5, v6, v5, vcc_lo :: v_dual_cndmask_b32 v7, v9, v7, vcc_lo
	s_delay_alu instid0(VALU_DEP_2) | instskip(NEXT) | instid1(VALU_DEP_2)
	v_and_b32_e32 v3, 0x80000000, v3
	v_lshlrev_b32_e32 v5, 20, v5
	s_delay_alu instid0(VALU_DEP_3) | instskip(NEXT) | instid1(VALU_DEP_1)
	v_lshl_add_u32 v6, v7, 23, 0x3b800000
	v_or3_b32 v7, v3, v6, v5
.LBB119_1337:
	s_or_b32 exec_lo, exec_lo, s12
.LBB119_1338:
	s_mov_b32 s11, -1
.LBB119_1339:
	s_branch .LBB119_1372
.LBB119_1340:
	s_cmp_gt_i32 s4, 22
	s_cbranch_scc0 .LBB119_1350
; %bb.1341:
	s_cmp_lt_i32 s4, 24
	s_cbranch_scc1 .LBB119_1353
; %bb.1342:
	s_cmp_gt_i32 s4, 24
	s_cbranch_scc0 .LBB119_1354
; %bb.1343:
	global_load_u8 v3, v[0:1], off
	s_mov_b32 s11, exec_lo
	s_wait_loadcnt 0x0
	v_cmpx_lt_i16_e32 0x7f, v3
	s_xor_b32 s11, exec_lo, s11
	s_cbranch_execz .LBB119_1366
; %bb.1344:
	s_mov_b32 s10, -1
	s_mov_b32 s12, exec_lo
	v_cmpx_eq_u16_e32 0x80, v3
; %bb.1345:
	s_xor_b32 s10, exec_lo, -1
; %bb.1346:
	s_or_b32 exec_lo, exec_lo, s12
	s_delay_alu instid0(SALU_CYCLE_1)
	s_and_b32 s10, s10, exec_lo
	s_or_saveexec_b32 s11, s11
	v_mov_b32_e32 v7, 0x7f800001
	s_xor_b32 exec_lo, exec_lo, s11
	s_cbranch_execnz .LBB119_1367
.LBB119_1347:
	s_or_b32 exec_lo, exec_lo, s11
	s_and_saveexec_b32 s11, s10
	s_cbranch_execz .LBB119_1349
.LBB119_1348:
	v_and_b32_e32 v5, 0xffff, v3
	s_delay_alu instid0(VALU_DEP_1) | instskip(SKIP_1) | instid1(VALU_DEP_2)
	v_and_b32_e32 v6, 3, v5
	v_bfe_u32 v9, v5, 2, 5
	v_clz_i32_u32_e32 v7, v6
	s_delay_alu instid0(VALU_DEP_2) | instskip(NEXT) | instid1(VALU_DEP_2)
	v_cmp_eq_u32_e32 vcc_lo, 0, v9
	v_min_u32_e32 v7, 32, v7
	s_delay_alu instid0(VALU_DEP_1) | instskip(NEXT) | instid1(VALU_DEP_1)
	v_subrev_nc_u32_e32 v8, 29, v7
	v_dual_lshlrev_b32 v5, v8, v5 :: v_dual_sub_nc_u32 v7, 30, v7
	s_delay_alu instid0(VALU_DEP_1) | instskip(NEXT) | instid1(VALU_DEP_1)
	v_dual_lshlrev_b32 v3, 24, v3 :: v_dual_bitop2_b32 v5, 3, v5 bitop3:0x40
	v_dual_cndmask_b32 v5, v6, v5, vcc_lo :: v_dual_cndmask_b32 v7, v9, v7, vcc_lo
	s_delay_alu instid0(VALU_DEP_2) | instskip(NEXT) | instid1(VALU_DEP_2)
	v_and_b32_e32 v3, 0x80000000, v3
	v_lshlrev_b32_e32 v5, 21, v5
	s_delay_alu instid0(VALU_DEP_3) | instskip(NEXT) | instid1(VALU_DEP_1)
	v_lshl_add_u32 v6, v7, 23, 0x37800000
	v_or3_b32 v7, v3, v6, v5
.LBB119_1349:
	s_or_b32 exec_lo, exec_lo, s11
	s_mov_b32 s10, 0
	s_branch .LBB119_1355
.LBB119_1350:
	s_mov_b32 s10, -1
                                        ; implicit-def: $vgpr7
	s_branch .LBB119_1361
.LBB119_1351:
	s_or_saveexec_b32 s12, s12
	v_mov_b32_e32 v7, 0x7f800001
	s_xor_b32 exec_lo, exec_lo, s12
	s_cbranch_execz .LBB119_1335
.LBB119_1352:
	v_cmp_ne_u16_e32 vcc_lo, 0, v3
	v_mov_b32_e32 v7, 0
	s_and_not1_b32 s11, s11, exec_lo
	s_and_b32 s13, vcc_lo, exec_lo
	s_delay_alu instid0(SALU_CYCLE_1)
	s_or_b32 s11, s11, s13
	s_or_b32 exec_lo, exec_lo, s12
	s_and_saveexec_b32 s12, s11
	s_cbranch_execnz .LBB119_1336
	s_branch .LBB119_1337
.LBB119_1353:
	s_mov_b32 s10, -1
                                        ; implicit-def: $vgpr7
	s_branch .LBB119_1358
.LBB119_1354:
	s_mov_b32 s10, -1
                                        ; implicit-def: $vgpr7
.LBB119_1355:
	s_delay_alu instid0(SALU_CYCLE_1)
	s_and_b32 vcc_lo, exec_lo, s10
	s_cbranch_vccz .LBB119_1357
; %bb.1356:
	global_load_u8 v3, v[0:1], off
	s_wait_loadcnt 0x0
	v_lshlrev_b32_e32 v3, 24, v3
	s_delay_alu instid0(VALU_DEP_1) | instskip(NEXT) | instid1(VALU_DEP_1)
	v_and_b32_e32 v5, 0x7f000000, v3
	v_clz_i32_u32_e32 v6, v5
	v_cmp_ne_u32_e32 vcc_lo, 0, v5
	v_add_nc_u32_e32 v8, 0x1000000, v5
	s_delay_alu instid0(VALU_DEP_3) | instskip(NEXT) | instid1(VALU_DEP_1)
	v_min_u32_e32 v6, 32, v6
	v_sub_nc_u32_e64 v6, v6, 4 clamp
	s_delay_alu instid0(VALU_DEP_1) | instskip(NEXT) | instid1(VALU_DEP_1)
	v_dual_lshlrev_b32 v7, v6, v5 :: v_dual_lshlrev_b32 v6, 23, v6
	v_lshrrev_b32_e32 v7, 4, v7
	s_delay_alu instid0(VALU_DEP_1) | instskip(NEXT) | instid1(VALU_DEP_1)
	v_dual_sub_nc_u32 v6, v7, v6 :: v_dual_ashrrev_i32 v7, 8, v8
	v_add_nc_u32_e32 v6, 0x3c000000, v6
	s_delay_alu instid0(VALU_DEP_1) | instskip(NEXT) | instid1(VALU_DEP_1)
	v_and_or_b32 v6, 0x7f800000, v7, v6
	v_cndmask_b32_e32 v5, 0, v6, vcc_lo
	s_delay_alu instid0(VALU_DEP_1)
	v_and_or_b32 v7, 0x80000000, v3, v5
.LBB119_1357:
	s_mov_b32 s10, 0
.LBB119_1358:
	s_delay_alu instid0(SALU_CYCLE_1)
	s_and_not1_b32 vcc_lo, exec_lo, s10
	s_cbranch_vccnz .LBB119_1360
; %bb.1359:
	global_load_u8 v3, v[0:1], off
	s_wait_loadcnt 0x0
	v_lshlrev_b32_e32 v5, 25, v3
	v_lshlrev_b16 v3, 8, v3
	s_delay_alu instid0(VALU_DEP_1) | instskip(NEXT) | instid1(VALU_DEP_3)
	v_and_or_b32 v7, 0x7f00, v3, 0.5
	v_lshrrev_b32_e32 v6, 4, v5
	v_bfe_i32 v3, v3, 0, 16
	s_delay_alu instid0(VALU_DEP_3) | instskip(NEXT) | instid1(VALU_DEP_3)
	v_add_f32_e32 v7, -0.5, v7
	v_or_b32_e32 v6, 0x70000000, v6
	s_delay_alu instid0(VALU_DEP_1) | instskip(SKIP_1) | instid1(VALU_DEP_2)
	v_mul_f32_e32 v6, 0x7800000, v6
	v_cmp_gt_u32_e32 vcc_lo, 0x8000000, v5
	v_cndmask_b32_e32 v5, v6, v7, vcc_lo
	s_delay_alu instid0(VALU_DEP_1)
	v_and_or_b32 v7, 0x80000000, v3, v5
.LBB119_1360:
	s_mov_b32 s10, 0
	s_mov_b32 s11, -1
.LBB119_1361:
	s_and_not1_b32 vcc_lo, exec_lo, s10
	s_mov_b32 s10, 0
	s_cbranch_vccnz .LBB119_1372
; %bb.1362:
	s_cmp_gt_i32 s4, 14
	s_cbranch_scc0 .LBB119_1365
; %bb.1363:
	s_cmp_eq_u32 s4, 15
	s_cbranch_scc0 .LBB119_1368
; %bb.1364:
	global_load_u16 v3, v[0:1], off
	s_mov_b32 s5, 0
	s_mov_b32 s11, -1
	s_wait_loadcnt 0x0
	v_lshlrev_b32_e32 v7, 16, v3
	s_branch .LBB119_1370
.LBB119_1365:
	s_mov_b32 s10, -1
	s_branch .LBB119_1369
.LBB119_1366:
	s_or_saveexec_b32 s11, s11
	v_mov_b32_e32 v7, 0x7f800001
	s_xor_b32 exec_lo, exec_lo, s11
	s_cbranch_execz .LBB119_1347
.LBB119_1367:
	v_cmp_ne_u16_e32 vcc_lo, 0, v3
	v_mov_b32_e32 v7, 0
	s_and_not1_b32 s10, s10, exec_lo
	s_and_b32 s12, vcc_lo, exec_lo
	s_delay_alu instid0(SALU_CYCLE_1)
	s_or_b32 s10, s10, s12
	s_or_b32 exec_lo, exec_lo, s11
	s_and_saveexec_b32 s11, s10
	s_cbranch_execnz .LBB119_1348
	s_branch .LBB119_1349
.LBB119_1368:
	s_mov_b32 s5, -1
.LBB119_1369:
                                        ; implicit-def: $vgpr7
.LBB119_1370:
	s_and_b32 vcc_lo, exec_lo, s10
	s_mov_b32 s10, 0
	s_cbranch_vccz .LBB119_1372
; %bb.1371:
	s_cmp_lg_u32 s4, 11
	s_mov_b32 s10, -1
	s_cselect_b32 s4, -1, 0
	s_and_not1_b32 s5, s5, exec_lo
	s_and_b32 s4, s4, exec_lo
	s_delay_alu instid0(SALU_CYCLE_1)
	s_or_b32 s5, s5, s4
.LBB119_1372:
	s_mov_b32 s4, 0
.LBB119_1373:
	s_delay_alu instid0(SALU_CYCLE_1)
	s_and_b32 s12, s4, exec_lo
	s_and_not1_b32 s4, s44, exec_lo
	s_and_b32 s5, s5, exec_lo
	s_and_b32 s11, s11, exec_lo
	;; [unrolled: 1-line block ×3, first 2 shown]
	s_or_b32 s44, s4, s5
	s_wait_xcnt 0x0
	s_or_b32 exec_lo, exec_lo, s8
	s_and_saveexec_b32 s4, s44
	s_cbranch_execz .LBB119_1301
.LBB119_1374:
	s_or_b32 s1, s1, exec_lo
	s_and_not1_b32 s10, s10, exec_lo
	s_trap 2
	s_or_b32 exec_lo, exec_lo, s4
	s_and_saveexec_b32 s4, s10
	s_delay_alu instid0(SALU_CYCLE_1)
	s_xor_b32 s4, exec_lo, s4
	s_cbranch_execnz .LBB119_1302
.LBB119_1375:
	s_or_b32 exec_lo, exec_lo, s4
	s_and_saveexec_b32 s4, s12
	s_cbranch_execz .LBB119_1421
.LBB119_1376:
	s_sext_i32_i16 s5, s0
	s_delay_alu instid0(SALU_CYCLE_1)
	s_cmp_lt_i32 s5, 5
	s_cbranch_scc1 .LBB119_1381
; %bb.1377:
	s_cmp_lt_i32 s5, 8
	s_cbranch_scc1 .LBB119_1382
; %bb.1378:
	s_cmp_lt_i32 s5, 9
	s_cbranch_scc1 .LBB119_1383
; %bb.1379:
	s_cmp_gt_i32 s5, 9
	s_cbranch_scc0 .LBB119_1384
; %bb.1380:
	s_wait_loadcnt 0x0
	global_load_b64 v[6:7], v[0:1], off
	s_mov_b32 s5, 0
	s_wait_loadcnt 0x0
	v_cvt_f32_f64_e32 v7, v[6:7]
	s_branch .LBB119_1385
.LBB119_1381:
                                        ; implicit-def: $vgpr7
	s_branch .LBB119_1402
.LBB119_1382:
                                        ; implicit-def: $vgpr7
	s_branch .LBB119_1391
.LBB119_1383:
	s_mov_b32 s5, -1
                                        ; implicit-def: $vgpr7
	s_branch .LBB119_1388
.LBB119_1384:
	s_mov_b32 s5, -1
                                        ; implicit-def: $vgpr7
.LBB119_1385:
	s_delay_alu instid0(SALU_CYCLE_1)
	s_and_not1_b32 vcc_lo, exec_lo, s5
	s_cbranch_vccnz .LBB119_1387
; %bb.1386:
	s_wait_loadcnt 0x0
	global_load_b32 v7, v[0:1], off
.LBB119_1387:
	s_mov_b32 s5, 0
.LBB119_1388:
	s_delay_alu instid0(SALU_CYCLE_1)
	s_and_not1_b32 vcc_lo, exec_lo, s5
	s_cbranch_vccnz .LBB119_1390
; %bb.1389:
	s_wait_loadcnt 0x0
	global_load_b32 v3, v[0:1], off
	s_wait_loadcnt 0x0
	v_cvt_f32_f16_e32 v7, v3
.LBB119_1390:
	s_cbranch_execnz .LBB119_1401
.LBB119_1391:
	s_sext_i32_i16 s5, s0
	s_delay_alu instid0(SALU_CYCLE_1)
	s_cmp_lt_i32 s5, 6
	s_cbranch_scc1 .LBB119_1394
; %bb.1392:
	s_cmp_gt_i32 s5, 6
	s_cbranch_scc0 .LBB119_1395
; %bb.1393:
	s_wait_loadcnt 0x0
	global_load_b64 v[6:7], v[0:1], off
	s_mov_b32 s5, 0
	s_wait_loadcnt 0x0
	v_cvt_f32_f64_e32 v7, v[6:7]
	s_branch .LBB119_1396
.LBB119_1394:
	s_mov_b32 s5, -1
                                        ; implicit-def: $vgpr7
	s_branch .LBB119_1399
.LBB119_1395:
	s_mov_b32 s5, -1
                                        ; implicit-def: $vgpr7
.LBB119_1396:
	s_delay_alu instid0(SALU_CYCLE_1)
	s_and_not1_b32 vcc_lo, exec_lo, s5
	s_cbranch_vccnz .LBB119_1398
; %bb.1397:
	s_wait_loadcnt 0x0
	global_load_b32 v7, v[0:1], off
.LBB119_1398:
	s_mov_b32 s5, 0
.LBB119_1399:
	s_delay_alu instid0(SALU_CYCLE_1)
	s_and_not1_b32 vcc_lo, exec_lo, s5
	s_cbranch_vccnz .LBB119_1401
; %bb.1400:
	s_wait_loadcnt 0x0
	global_load_u16 v3, v[0:1], off
	s_wait_loadcnt 0x0
	v_cvt_f32_f16_e32 v7, v3
.LBB119_1401:
	s_cbranch_execnz .LBB119_1420
.LBB119_1402:
	s_sext_i32_i16 s5, s0
	s_delay_alu instid0(SALU_CYCLE_1)
	s_cmp_lt_i32 s5, 2
	s_cbranch_scc1 .LBB119_1406
; %bb.1403:
	s_cmp_lt_i32 s5, 3
	s_cbranch_scc1 .LBB119_1407
; %bb.1404:
	s_cmp_gt_i32 s5, 3
	s_cbranch_scc0 .LBB119_1408
; %bb.1405:
	s_wait_loadcnt 0x0
	global_load_b64 v[6:7], v[0:1], off
	s_mov_b32 s5, 0
	s_wait_loadcnt 0x0
	v_xor_b32_e32 v3, v6, v7
	v_cls_i32_e32 v5, v7
	s_delay_alu instid0(VALU_DEP_2) | instskip(NEXT) | instid1(VALU_DEP_1)
	v_ashrrev_i32_e32 v3, 31, v3
	v_add_nc_u32_e32 v3, 32, v3
	s_delay_alu instid0(VALU_DEP_1) | instskip(NEXT) | instid1(VALU_DEP_1)
	v_add_min_u32_e64 v3, v5, -1, v3
	v_lshlrev_b64_e32 v[6:7], v3, v[6:7]
	v_sub_nc_u32_e32 v3, 32, v3
	s_delay_alu instid0(VALU_DEP_2) | instskip(NEXT) | instid1(VALU_DEP_1)
	v_min_u32_e32 v5, 1, v6
	v_or_b32_e32 v5, v7, v5
	s_delay_alu instid0(VALU_DEP_1) | instskip(NEXT) | instid1(VALU_DEP_1)
	v_cvt_f32_i32_e32 v5, v5
	v_ldexp_f32 v7, v5, v3
	s_branch .LBB119_1409
.LBB119_1406:
                                        ; implicit-def: $vgpr7
	s_branch .LBB119_1415
.LBB119_1407:
	s_mov_b32 s5, -1
                                        ; implicit-def: $vgpr7
	s_branch .LBB119_1412
.LBB119_1408:
	s_mov_b32 s5, -1
                                        ; implicit-def: $vgpr7
.LBB119_1409:
	s_delay_alu instid0(SALU_CYCLE_1)
	s_and_not1_b32 vcc_lo, exec_lo, s5
	s_cbranch_vccnz .LBB119_1411
; %bb.1410:
	s_wait_loadcnt 0x0
	global_load_b32 v3, v[0:1], off
	s_wait_loadcnt 0x0
	v_cvt_f32_i32_e32 v7, v3
.LBB119_1411:
	s_mov_b32 s5, 0
.LBB119_1412:
	s_delay_alu instid0(SALU_CYCLE_1)
	s_and_not1_b32 vcc_lo, exec_lo, s5
	s_cbranch_vccnz .LBB119_1414
; %bb.1413:
	s_wait_loadcnt 0x0
	global_load_i16 v3, v[0:1], off
	s_wait_loadcnt 0x0
	v_cvt_f32_i32_e32 v7, v3
.LBB119_1414:
	s_cbranch_execnz .LBB119_1420
.LBB119_1415:
	s_sext_i32_i16 s0, s0
	s_delay_alu instid0(SALU_CYCLE_1)
	s_cmp_gt_i32 s0, 0
	s_mov_b32 s0, 0
	s_cbranch_scc0 .LBB119_1417
; %bb.1416:
	s_wait_loadcnt 0x0
	global_load_i8 v3, v[0:1], off
	s_wait_loadcnt 0x0
	v_cvt_f32_i32_e32 v7, v3
	s_branch .LBB119_1418
.LBB119_1417:
	s_mov_b32 s0, -1
                                        ; implicit-def: $vgpr7
.LBB119_1418:
	s_delay_alu instid0(SALU_CYCLE_1)
	s_and_not1_b32 vcc_lo, exec_lo, s0
	s_cbranch_vccnz .LBB119_1420
; %bb.1419:
	s_wait_loadcnt 0x0
	global_load_u8 v0, v[0:1], off
	s_wait_loadcnt 0x0
	v_cvt_f32_ubyte0_e32 v7, v0
.LBB119_1420:
	s_or_b32 s11, s11, exec_lo
.LBB119_1421:
	s_wait_xcnt 0x0
	s_or_b32 exec_lo, exec_lo, s4
	s_mov_b32 s5, 0
	s_mov_b32 s4, 0
	;; [unrolled: 1-line block ×3, first 2 shown]
                                        ; implicit-def: $vgpr0_vgpr1
                                        ; implicit-def: $vgpr5
	s_and_saveexec_b32 s0, s11
	s_cbranch_execz .LBB119_1429
; %bb.1422:
	v_mov_b32_e32 v5, 0
	s_and_b32 s4, 0xffff, s9
	s_delay_alu instid0(SALU_CYCLE_1) | instskip(SKIP_1) | instid1(VALU_DEP_1)
	s_cmp_lt_i32 s4, 11
	s_wait_loadcnt 0x0
	v_add_nc_u64_e32 v[0:1], s[6:7], v[4:5]
	s_cbranch_scc1 .LBB119_1432
; %bb.1423:
	s_cmp_gt_i32 s4, 25
	s_mov_b32 s6, 0
	s_cbranch_scc0 .LBB119_1433
; %bb.1424:
	s_cmp_gt_i32 s4, 28
	s_cbranch_scc0 .LBB119_1434
; %bb.1425:
	s_cmp_gt_i32 s4, 43
	;; [unrolled: 3-line block ×3, first 2 shown]
	s_cbranch_scc0 .LBB119_1436
; %bb.1427:
	s_cmp_eq_u32 s4, 46
	s_cbranch_scc0 .LBB119_1437
; %bb.1428:
	global_load_b32 v3, v[0:1], off
	s_mov_b32 s7, -1
	s_wait_loadcnt 0x0
	v_lshlrev_b32_e32 v5, 16, v3
	s_branch .LBB119_1439
.LBB119_1429:
	s_or_b32 exec_lo, exec_lo, s0
	s_and_saveexec_b32 s0, s43
	s_cbranch_execnz .LBB119_1502
.LBB119_1430:
	s_or_b32 exec_lo, exec_lo, s0
	s_and_saveexec_b32 s0, s5
	s_delay_alu instid0(SALU_CYCLE_1)
	s_xor_b32 s0, exec_lo, s0
	s_cbranch_execz .LBB119_1503
.LBB119_1431:
	s_wait_loadcnt 0x0
	global_load_u8 v3, v[0:1], off
	s_or_b32 s8, s8, exec_lo
	s_wait_loadcnt 0x0
	v_cmp_ne_u16_e32 vcc_lo, 0, v3
	v_cndmask_b32_e64 v5, 0, 1.0, vcc_lo
	s_wait_xcnt 0x0
	s_or_b32 exec_lo, exec_lo, s0
	s_and_saveexec_b32 s0, s4
	s_cbranch_execz .LBB119_1549
	s_branch .LBB119_1504
.LBB119_1432:
	s_mov_b32 s4, -1
	s_mov_b32 s7, 0
	s_mov_b32 s6, 0
	s_mov_b32 s5, s43
                                        ; implicit-def: $vgpr5
	s_branch .LBB119_1501
.LBB119_1433:
	s_mov_b32 s7, 0
	s_mov_b32 s5, s43
                                        ; implicit-def: $vgpr5
	s_cbranch_execnz .LBB119_1468
	s_branch .LBB119_1500
.LBB119_1434:
	s_mov_b32 s8, -1
	s_mov_b32 s7, 0
	s_mov_b32 s5, s43
                                        ; implicit-def: $vgpr5
	s_branch .LBB119_1449
.LBB119_1435:
	s_mov_b32 s8, -1
	s_mov_b32 s7, 0
	s_mov_b32 s5, s43
                                        ; implicit-def: $vgpr5
	s_branch .LBB119_1444
.LBB119_1436:
	s_mov_b32 s8, -1
	s_mov_b32 s7, 0
	s_mov_b32 s5, s43
	s_branch .LBB119_1438
.LBB119_1437:
	s_mov_b32 s5, -1
	s_mov_b32 s7, 0
.LBB119_1438:
                                        ; implicit-def: $vgpr5
.LBB119_1439:
	s_and_b32 vcc_lo, exec_lo, s8
	s_cbranch_vccz .LBB119_1443
; %bb.1440:
	s_cmp_eq_u32 s4, 44
	s_cbranch_scc0 .LBB119_1442
; %bb.1441:
	global_load_u8 v3, v[0:1], off
	s_mov_b32 s5, 0
	s_mov_b32 s7, -1
	s_wait_loadcnt 0x0
	v_lshlrev_b32_e32 v4, 23, v3
	v_cmp_ne_u32_e32 vcc_lo, 0xff, v3
	s_delay_alu instid0(VALU_DEP_2) | instskip(SKIP_1) | instid1(VALU_DEP_2)
	v_cndmask_b32_e32 v4, 0x7f800001, v4, vcc_lo
	v_cmp_ne_u32_e32 vcc_lo, 0, v3
	v_cndmask_b32_e32 v5, 0x400000, v4, vcc_lo
	s_branch .LBB119_1443
.LBB119_1442:
	s_mov_b32 s5, -1
                                        ; implicit-def: $vgpr5
.LBB119_1443:
	s_mov_b32 s8, 0
.LBB119_1444:
	s_delay_alu instid0(SALU_CYCLE_1)
	s_and_b32 vcc_lo, exec_lo, s8
	s_cbranch_vccz .LBB119_1448
; %bb.1445:
	s_cmp_eq_u32 s4, 29
	s_cbranch_scc0 .LBB119_1447
; %bb.1446:
	global_load_b64 v[4:5], v[0:1], off
	s_mov_b32 s5, 0
	s_mov_b32 s7, -1
	s_mov_b32 s8, 0
	s_wait_loadcnt 0x0
	v_clz_i32_u32_e32 v3, v5
	s_delay_alu instid0(VALU_DEP_1) | instskip(NEXT) | instid1(VALU_DEP_1)
	v_min_u32_e32 v3, 32, v3
	v_lshlrev_b64_e32 v[4:5], v3, v[4:5]
	v_sub_nc_u32_e32 v3, 32, v3
	s_delay_alu instid0(VALU_DEP_2) | instskip(NEXT) | instid1(VALU_DEP_1)
	v_min_u32_e32 v4, 1, v4
	v_or_b32_e32 v4, v5, v4
	s_delay_alu instid0(VALU_DEP_1) | instskip(NEXT) | instid1(VALU_DEP_1)
	v_cvt_f32_u32_e32 v4, v4
	v_ldexp_f32 v5, v4, v3
	s_branch .LBB119_1449
.LBB119_1447:
	s_mov_b32 s5, -1
                                        ; implicit-def: $vgpr5
.LBB119_1448:
	s_mov_b32 s8, 0
.LBB119_1449:
	s_delay_alu instid0(SALU_CYCLE_1)
	s_and_b32 vcc_lo, exec_lo, s8
	s_cbranch_vccz .LBB119_1467
; %bb.1450:
	s_cmp_lt_i32 s4, 27
	s_cbranch_scc1 .LBB119_1453
; %bb.1451:
	s_cmp_gt_i32 s4, 27
	s_cbranch_scc0 .LBB119_1454
; %bb.1452:
	global_load_b32 v3, v[0:1], off
	s_mov_b32 s7, 0
	s_wait_loadcnt 0x0
	v_cvt_f32_u32_e32 v5, v3
	s_branch .LBB119_1455
.LBB119_1453:
	s_mov_b32 s7, -1
                                        ; implicit-def: $vgpr5
	s_branch .LBB119_1458
.LBB119_1454:
	s_mov_b32 s7, -1
                                        ; implicit-def: $vgpr5
.LBB119_1455:
	s_delay_alu instid0(SALU_CYCLE_1)
	s_and_not1_b32 vcc_lo, exec_lo, s7
	s_cbranch_vccnz .LBB119_1457
; %bb.1456:
	global_load_u16 v3, v[0:1], off
	s_wait_loadcnt 0x0
	v_cvt_f32_u32_e32 v5, v3
.LBB119_1457:
	s_mov_b32 s7, 0
.LBB119_1458:
	s_delay_alu instid0(SALU_CYCLE_1)
	s_and_not1_b32 vcc_lo, exec_lo, s7
	s_cbranch_vccnz .LBB119_1466
; %bb.1459:
	global_load_u8 v3, v[0:1], off
	s_mov_b32 s7, 0
	s_mov_b32 s8, exec_lo
	s_wait_loadcnt 0x0
	v_cmpx_lt_i16_e32 0x7f, v3
	s_xor_b32 s8, exec_lo, s8
	s_cbranch_execz .LBB119_1479
; %bb.1460:
	s_mov_b32 s7, -1
	s_mov_b32 s10, exec_lo
	v_cmpx_eq_u16_e32 0x80, v3
; %bb.1461:
	s_xor_b32 s7, exec_lo, -1
; %bb.1462:
	s_or_b32 exec_lo, exec_lo, s10
	s_delay_alu instid0(SALU_CYCLE_1)
	s_and_b32 s7, s7, exec_lo
	s_or_saveexec_b32 s8, s8
	v_mov_b32_e32 v5, 0x7f800001
	s_xor_b32 exec_lo, exec_lo, s8
	s_cbranch_execnz .LBB119_1480
.LBB119_1463:
	s_or_b32 exec_lo, exec_lo, s8
	s_and_saveexec_b32 s8, s7
	s_cbranch_execz .LBB119_1465
.LBB119_1464:
	v_and_b32_e32 v4, 0xffff, v3
	s_delay_alu instid0(VALU_DEP_1) | instskip(SKIP_1) | instid1(VALU_DEP_2)
	v_and_b32_e32 v5, 7, v4
	v_bfe_u32 v9, v4, 3, 4
	v_clz_i32_u32_e32 v6, v5
	s_delay_alu instid0(VALU_DEP_2) | instskip(NEXT) | instid1(VALU_DEP_2)
	v_cmp_eq_u32_e32 vcc_lo, 0, v9
	v_min_u32_e32 v6, 32, v6
	s_delay_alu instid0(VALU_DEP_1) | instskip(NEXT) | instid1(VALU_DEP_1)
	v_subrev_nc_u32_e32 v8, 28, v6
	v_dual_lshlrev_b32 v4, v8, v4 :: v_dual_sub_nc_u32 v6, 29, v6
	s_delay_alu instid0(VALU_DEP_1) | instskip(NEXT) | instid1(VALU_DEP_2)
	v_dual_lshlrev_b32 v3, 24, v3 :: v_dual_bitop2_b32 v4, 7, v4 bitop3:0x40
	v_cndmask_b32_e32 v6, v9, v6, vcc_lo
	s_delay_alu instid0(VALU_DEP_2) | instskip(NEXT) | instid1(VALU_DEP_3)
	v_cndmask_b32_e32 v4, v5, v4, vcc_lo
	v_and_b32_e32 v3, 0x80000000, v3
	s_delay_alu instid0(VALU_DEP_3) | instskip(NEXT) | instid1(VALU_DEP_3)
	v_lshl_add_u32 v5, v6, 23, 0x3b800000
	v_lshlrev_b32_e32 v4, 20, v4
	s_delay_alu instid0(VALU_DEP_1)
	v_or3_b32 v5, v3, v5, v4
.LBB119_1465:
	s_or_b32 exec_lo, exec_lo, s8
.LBB119_1466:
	s_mov_b32 s7, -1
.LBB119_1467:
	s_branch .LBB119_1500
.LBB119_1468:
	s_cmp_gt_i32 s4, 22
	s_cbranch_scc0 .LBB119_1478
; %bb.1469:
	s_cmp_lt_i32 s4, 24
	s_cbranch_scc1 .LBB119_1481
; %bb.1470:
	s_cmp_gt_i32 s4, 24
	s_cbranch_scc0 .LBB119_1482
; %bb.1471:
	global_load_u8 v3, v[0:1], off
	s_mov_b32 s7, exec_lo
	s_wait_loadcnt 0x0
	v_cmpx_lt_i16_e32 0x7f, v3
	s_xor_b32 s7, exec_lo, s7
	s_cbranch_execz .LBB119_1494
; %bb.1472:
	s_mov_b32 s6, -1
	s_mov_b32 s8, exec_lo
	v_cmpx_eq_u16_e32 0x80, v3
; %bb.1473:
	s_xor_b32 s6, exec_lo, -1
; %bb.1474:
	s_or_b32 exec_lo, exec_lo, s8
	s_delay_alu instid0(SALU_CYCLE_1)
	s_and_b32 s6, s6, exec_lo
	s_or_saveexec_b32 s7, s7
	v_mov_b32_e32 v5, 0x7f800001
	s_xor_b32 exec_lo, exec_lo, s7
	s_cbranch_execnz .LBB119_1495
.LBB119_1475:
	s_or_b32 exec_lo, exec_lo, s7
	s_and_saveexec_b32 s7, s6
	s_cbranch_execz .LBB119_1477
.LBB119_1476:
	v_and_b32_e32 v4, 0xffff, v3
	s_delay_alu instid0(VALU_DEP_1) | instskip(SKIP_1) | instid1(VALU_DEP_2)
	v_and_b32_e32 v5, 3, v4
	v_bfe_u32 v9, v4, 2, 5
	v_clz_i32_u32_e32 v6, v5
	s_delay_alu instid0(VALU_DEP_2) | instskip(NEXT) | instid1(VALU_DEP_2)
	v_cmp_eq_u32_e32 vcc_lo, 0, v9
	v_min_u32_e32 v6, 32, v6
	s_delay_alu instid0(VALU_DEP_1) | instskip(NEXT) | instid1(VALU_DEP_1)
	v_subrev_nc_u32_e32 v8, 29, v6
	v_dual_lshlrev_b32 v4, v8, v4 :: v_dual_sub_nc_u32 v6, 30, v6
	s_delay_alu instid0(VALU_DEP_1) | instskip(NEXT) | instid1(VALU_DEP_2)
	v_dual_lshlrev_b32 v3, 24, v3 :: v_dual_bitop2_b32 v4, 3, v4 bitop3:0x40
	v_cndmask_b32_e32 v6, v9, v6, vcc_lo
	s_delay_alu instid0(VALU_DEP_2) | instskip(NEXT) | instid1(VALU_DEP_3)
	v_cndmask_b32_e32 v4, v5, v4, vcc_lo
	v_and_b32_e32 v3, 0x80000000, v3
	s_delay_alu instid0(VALU_DEP_3) | instskip(NEXT) | instid1(VALU_DEP_3)
	v_lshl_add_u32 v5, v6, 23, 0x37800000
	v_lshlrev_b32_e32 v4, 21, v4
	s_delay_alu instid0(VALU_DEP_1)
	v_or3_b32 v5, v3, v5, v4
.LBB119_1477:
	s_or_b32 exec_lo, exec_lo, s7
	s_mov_b32 s6, 0
	s_branch .LBB119_1483
.LBB119_1478:
	s_mov_b32 s6, -1
                                        ; implicit-def: $vgpr5
	s_branch .LBB119_1489
.LBB119_1479:
	s_or_saveexec_b32 s8, s8
	v_mov_b32_e32 v5, 0x7f800001
	s_xor_b32 exec_lo, exec_lo, s8
	s_cbranch_execz .LBB119_1463
.LBB119_1480:
	v_cmp_ne_u16_e32 vcc_lo, 0, v3
	v_mov_b32_e32 v5, 0
	s_and_not1_b32 s7, s7, exec_lo
	s_and_b32 s10, vcc_lo, exec_lo
	s_delay_alu instid0(SALU_CYCLE_1)
	s_or_b32 s7, s7, s10
	s_or_b32 exec_lo, exec_lo, s8
	s_and_saveexec_b32 s8, s7
	s_cbranch_execnz .LBB119_1464
	s_branch .LBB119_1465
.LBB119_1481:
	s_mov_b32 s6, -1
                                        ; implicit-def: $vgpr5
	s_branch .LBB119_1486
.LBB119_1482:
	s_mov_b32 s6, -1
                                        ; implicit-def: $vgpr5
.LBB119_1483:
	s_delay_alu instid0(SALU_CYCLE_1)
	s_and_b32 vcc_lo, exec_lo, s6
	s_cbranch_vccz .LBB119_1485
; %bb.1484:
	global_load_u8 v3, v[0:1], off
	s_wait_loadcnt 0x0
	v_lshlrev_b32_e32 v3, 24, v3
	s_delay_alu instid0(VALU_DEP_1) | instskip(NEXT) | instid1(VALU_DEP_1)
	v_and_b32_e32 v4, 0x7f000000, v3
	v_clz_i32_u32_e32 v5, v4
	v_add_nc_u32_e32 v8, 0x1000000, v4
	v_cmp_ne_u32_e32 vcc_lo, 0, v4
	s_delay_alu instid0(VALU_DEP_3) | instskip(NEXT) | instid1(VALU_DEP_1)
	v_min_u32_e32 v5, 32, v5
	v_sub_nc_u32_e64 v5, v5, 4 clamp
	s_delay_alu instid0(VALU_DEP_1) | instskip(NEXT) | instid1(VALU_DEP_1)
	v_dual_lshlrev_b32 v6, v5, v4 :: v_dual_lshlrev_b32 v5, 23, v5
	v_lshrrev_b32_e32 v6, 4, v6
	s_delay_alu instid0(VALU_DEP_1) | instskip(NEXT) | instid1(VALU_DEP_1)
	v_dual_sub_nc_u32 v5, v6, v5 :: v_dual_ashrrev_i32 v6, 8, v8
	v_add_nc_u32_e32 v5, 0x3c000000, v5
	s_delay_alu instid0(VALU_DEP_1) | instskip(NEXT) | instid1(VALU_DEP_1)
	v_and_or_b32 v5, 0x7f800000, v6, v5
	v_cndmask_b32_e32 v4, 0, v5, vcc_lo
	s_delay_alu instid0(VALU_DEP_1)
	v_and_or_b32 v5, 0x80000000, v3, v4
.LBB119_1485:
	s_mov_b32 s6, 0
.LBB119_1486:
	s_delay_alu instid0(SALU_CYCLE_1)
	s_and_not1_b32 vcc_lo, exec_lo, s6
	s_cbranch_vccnz .LBB119_1488
; %bb.1487:
	global_load_u8 v3, v[0:1], off
	s_wait_loadcnt 0x0
	v_lshlrev_b32_e32 v4, 25, v3
	v_lshlrev_b16 v3, 8, v3
	s_delay_alu instid0(VALU_DEP_1) | instskip(SKIP_1) | instid1(VALU_DEP_2)
	v_and_or_b32 v6, 0x7f00, v3, 0.5
	v_bfe_i32 v3, v3, 0, 16
	v_dual_add_f32 v6, -0.5, v6 :: v_dual_lshrrev_b32 v5, 4, v4
	v_cmp_gt_u32_e32 vcc_lo, 0x8000000, v4
	s_delay_alu instid0(VALU_DEP_2) | instskip(NEXT) | instid1(VALU_DEP_1)
	v_or_b32_e32 v5, 0x70000000, v5
	v_mul_f32_e32 v5, 0x7800000, v5
	s_delay_alu instid0(VALU_DEP_1) | instskip(NEXT) | instid1(VALU_DEP_1)
	v_cndmask_b32_e32 v4, v5, v6, vcc_lo
	v_and_or_b32 v5, 0x80000000, v3, v4
.LBB119_1488:
	s_mov_b32 s6, 0
	s_mov_b32 s7, -1
.LBB119_1489:
	s_and_not1_b32 vcc_lo, exec_lo, s6
	s_mov_b32 s6, 0
	s_cbranch_vccnz .LBB119_1500
; %bb.1490:
	s_cmp_gt_i32 s4, 14
	s_cbranch_scc0 .LBB119_1493
; %bb.1491:
	s_cmp_eq_u32 s4, 15
	s_cbranch_scc0 .LBB119_1496
; %bb.1492:
	global_load_u16 v3, v[0:1], off
	s_mov_b32 s5, 0
	s_mov_b32 s7, -1
	s_wait_loadcnt 0x0
	v_lshlrev_b32_e32 v5, 16, v3
	s_branch .LBB119_1498
.LBB119_1493:
	s_mov_b32 s6, -1
	s_branch .LBB119_1497
.LBB119_1494:
	s_or_saveexec_b32 s7, s7
	v_mov_b32_e32 v5, 0x7f800001
	s_xor_b32 exec_lo, exec_lo, s7
	s_cbranch_execz .LBB119_1475
.LBB119_1495:
	v_cmp_ne_u16_e32 vcc_lo, 0, v3
	v_mov_b32_e32 v5, 0
	s_and_not1_b32 s6, s6, exec_lo
	s_and_b32 s8, vcc_lo, exec_lo
	s_delay_alu instid0(SALU_CYCLE_1)
	s_or_b32 s6, s6, s8
	s_or_b32 exec_lo, exec_lo, s7
	s_and_saveexec_b32 s7, s6
	s_cbranch_execnz .LBB119_1476
	s_branch .LBB119_1477
.LBB119_1496:
	s_mov_b32 s5, -1
.LBB119_1497:
                                        ; implicit-def: $vgpr5
.LBB119_1498:
	s_and_b32 vcc_lo, exec_lo, s6
	s_mov_b32 s6, 0
	s_cbranch_vccz .LBB119_1500
; %bb.1499:
	s_cmp_lg_u32 s4, 11
	s_mov_b32 s6, -1
	s_cselect_b32 s4, -1, 0
	s_and_not1_b32 s5, s5, exec_lo
	s_and_b32 s4, s4, exec_lo
	s_delay_alu instid0(SALU_CYCLE_1)
	s_or_b32 s5, s5, s4
.LBB119_1500:
	s_mov_b32 s4, 0
.LBB119_1501:
	s_and_b32 s8, s7, exec_lo
	s_and_not1_b32 s7, s43, exec_lo
	s_and_b32 s10, s5, exec_lo
	s_and_b32 s4, s4, exec_lo
	;; [unrolled: 1-line block ×3, first 2 shown]
	s_or_b32 s43, s7, s10
	s_wait_xcnt 0x0
	s_or_b32 exec_lo, exec_lo, s0
	s_and_saveexec_b32 s0, s43
	s_cbranch_execz .LBB119_1430
.LBB119_1502:
	s_or_b32 s1, s1, exec_lo
	s_and_not1_b32 s5, s5, exec_lo
	s_trap 2
	s_or_b32 exec_lo, exec_lo, s0
	s_and_saveexec_b32 s0, s5
	s_delay_alu instid0(SALU_CYCLE_1)
	s_xor_b32 s0, exec_lo, s0
	s_cbranch_execnz .LBB119_1431
.LBB119_1503:
	s_or_b32 exec_lo, exec_lo, s0
	s_and_saveexec_b32 s0, s4
	s_cbranch_execz .LBB119_1549
.LBB119_1504:
	s_sext_i32_i16 s4, s9
	s_delay_alu instid0(SALU_CYCLE_1)
	s_cmp_lt_i32 s4, 5
	s_cbranch_scc1 .LBB119_1509
; %bb.1505:
	s_cmp_lt_i32 s4, 8
	s_cbranch_scc1 .LBB119_1510
; %bb.1506:
	;; [unrolled: 3-line block ×3, first 2 shown]
	s_cmp_gt_i32 s4, 9
	s_cbranch_scc0 .LBB119_1512
; %bb.1508:
	s_wait_loadcnt 0x0
	global_load_b64 v[4:5], v[0:1], off
	s_mov_b32 s4, 0
	s_wait_loadcnt 0x0
	v_cvt_f32_f64_e32 v5, v[4:5]
	s_branch .LBB119_1513
.LBB119_1509:
                                        ; implicit-def: $vgpr5
	s_branch .LBB119_1530
.LBB119_1510:
                                        ; implicit-def: $vgpr5
	s_branch .LBB119_1519
.LBB119_1511:
	s_mov_b32 s4, -1
                                        ; implicit-def: $vgpr5
	s_branch .LBB119_1516
.LBB119_1512:
	s_mov_b32 s4, -1
                                        ; implicit-def: $vgpr5
.LBB119_1513:
	s_delay_alu instid0(SALU_CYCLE_1)
	s_and_not1_b32 vcc_lo, exec_lo, s4
	s_cbranch_vccnz .LBB119_1515
; %bb.1514:
	s_wait_loadcnt 0x0
	global_load_b32 v5, v[0:1], off
.LBB119_1515:
	s_mov_b32 s4, 0
.LBB119_1516:
	s_delay_alu instid0(SALU_CYCLE_1)
	s_and_not1_b32 vcc_lo, exec_lo, s4
	s_cbranch_vccnz .LBB119_1518
; %bb.1517:
	s_wait_loadcnt 0x0
	global_load_b32 v3, v[0:1], off
	s_wait_loadcnt 0x0
	v_cvt_f32_f16_e32 v5, v3
.LBB119_1518:
	s_cbranch_execnz .LBB119_1529
.LBB119_1519:
	s_sext_i32_i16 s4, s9
	s_delay_alu instid0(SALU_CYCLE_1)
	s_cmp_lt_i32 s4, 6
	s_cbranch_scc1 .LBB119_1522
; %bb.1520:
	s_cmp_gt_i32 s4, 6
	s_cbranch_scc0 .LBB119_1523
; %bb.1521:
	s_wait_loadcnt 0x0
	global_load_b64 v[4:5], v[0:1], off
	s_mov_b32 s4, 0
	s_wait_loadcnt 0x0
	v_cvt_f32_f64_e32 v5, v[4:5]
	s_branch .LBB119_1524
.LBB119_1522:
	s_mov_b32 s4, -1
                                        ; implicit-def: $vgpr5
	s_branch .LBB119_1527
.LBB119_1523:
	s_mov_b32 s4, -1
                                        ; implicit-def: $vgpr5
.LBB119_1524:
	s_delay_alu instid0(SALU_CYCLE_1)
	s_and_not1_b32 vcc_lo, exec_lo, s4
	s_cbranch_vccnz .LBB119_1526
; %bb.1525:
	s_wait_loadcnt 0x0
	global_load_b32 v5, v[0:1], off
.LBB119_1526:
	s_mov_b32 s4, 0
.LBB119_1527:
	s_delay_alu instid0(SALU_CYCLE_1)
	s_and_not1_b32 vcc_lo, exec_lo, s4
	s_cbranch_vccnz .LBB119_1529
; %bb.1528:
	s_wait_loadcnt 0x0
	global_load_u16 v3, v[0:1], off
	s_wait_loadcnt 0x0
	v_cvt_f32_f16_e32 v5, v3
.LBB119_1529:
	s_cbranch_execnz .LBB119_1548
.LBB119_1530:
	s_sext_i32_i16 s4, s9
	s_delay_alu instid0(SALU_CYCLE_1)
	s_cmp_lt_i32 s4, 2
	s_cbranch_scc1 .LBB119_1534
; %bb.1531:
	s_cmp_lt_i32 s4, 3
	s_cbranch_scc1 .LBB119_1535
; %bb.1532:
	s_cmp_gt_i32 s4, 3
	s_cbranch_scc0 .LBB119_1536
; %bb.1533:
	s_wait_loadcnt 0x0
	global_load_b64 v[4:5], v[0:1], off
	s_mov_b32 s4, 0
	s_wait_loadcnt 0x0
	v_xor_b32_e32 v3, v4, v5
	v_cls_i32_e32 v6, v5
	s_delay_alu instid0(VALU_DEP_2) | instskip(NEXT) | instid1(VALU_DEP_1)
	v_ashrrev_i32_e32 v3, 31, v3
	v_add_nc_u32_e32 v3, 32, v3
	s_delay_alu instid0(VALU_DEP_1) | instskip(NEXT) | instid1(VALU_DEP_1)
	v_add_min_u32_e64 v3, v6, -1, v3
	v_lshlrev_b64_e32 v[4:5], v3, v[4:5]
	v_sub_nc_u32_e32 v3, 32, v3
	s_delay_alu instid0(VALU_DEP_2) | instskip(NEXT) | instid1(VALU_DEP_1)
	v_min_u32_e32 v4, 1, v4
	v_or_b32_e32 v4, v5, v4
	s_delay_alu instid0(VALU_DEP_1) | instskip(NEXT) | instid1(VALU_DEP_1)
	v_cvt_f32_i32_e32 v4, v4
	v_ldexp_f32 v5, v4, v3
	s_branch .LBB119_1537
.LBB119_1534:
                                        ; implicit-def: $vgpr5
	s_branch .LBB119_1543
.LBB119_1535:
	s_mov_b32 s4, -1
                                        ; implicit-def: $vgpr5
	s_branch .LBB119_1540
.LBB119_1536:
	s_mov_b32 s4, -1
                                        ; implicit-def: $vgpr5
.LBB119_1537:
	s_delay_alu instid0(SALU_CYCLE_1)
	s_and_not1_b32 vcc_lo, exec_lo, s4
	s_cbranch_vccnz .LBB119_1539
; %bb.1538:
	s_wait_loadcnt 0x0
	global_load_b32 v3, v[0:1], off
	s_wait_loadcnt 0x0
	v_cvt_f32_i32_e32 v5, v3
.LBB119_1539:
	s_mov_b32 s4, 0
.LBB119_1540:
	s_delay_alu instid0(SALU_CYCLE_1)
	s_and_not1_b32 vcc_lo, exec_lo, s4
	s_cbranch_vccnz .LBB119_1542
; %bb.1541:
	s_wait_loadcnt 0x0
	global_load_i16 v3, v[0:1], off
	s_wait_loadcnt 0x0
	v_cvt_f32_i32_e32 v5, v3
.LBB119_1542:
	s_cbranch_execnz .LBB119_1548
.LBB119_1543:
	s_sext_i32_i16 s4, s9
	s_delay_alu instid0(SALU_CYCLE_1)
	s_cmp_gt_i32 s4, 0
	s_mov_b32 s4, 0
	s_cbranch_scc0 .LBB119_1545
; %bb.1544:
	s_wait_loadcnt 0x0
	global_load_i8 v3, v[0:1], off
	s_wait_loadcnt 0x0
	v_cvt_f32_i32_e32 v5, v3
	s_branch .LBB119_1546
.LBB119_1545:
	s_mov_b32 s4, -1
                                        ; implicit-def: $vgpr5
.LBB119_1546:
	s_delay_alu instid0(SALU_CYCLE_1)
	s_and_not1_b32 vcc_lo, exec_lo, s4
	s_cbranch_vccnz .LBB119_1548
; %bb.1547:
	s_wait_loadcnt 0x0
	global_load_u8 v0, v[0:1], off
	s_wait_loadcnt 0x0
	v_cvt_f32_ubyte0_e32 v5, v0
.LBB119_1548:
	s_or_b32 s8, s8, exec_lo
.LBB119_1549:
	s_wait_xcnt 0x0
	s_or_b32 exec_lo, exec_lo, s0
	s_mov_b32 s0, 0
	s_mov_b32 s6, 0
                                        ; implicit-def: $sgpr4
                                        ; implicit-def: $vgpr0_vgpr1
                                        ; implicit-def: $vgpr4
	s_and_saveexec_b32 s5, s8
	s_cbranch_execz .LBB119_1557
; %bb.1550:
	s_wait_loadcnt 0x0
	v_dual_mov_b32 v3, 0 :: v_dual_mul_f32 v4, s16, v7
	s_and_b32 s4, s17, 0xff
	s_delay_alu instid0(SALU_CYCLE_1) | instskip(NEXT) | instid1(VALU_DEP_1)
	s_cmp_lt_i32 s4, 11
	v_add_nc_u64_e32 v[0:1], s[18:19], v[2:3]
	s_delay_alu instid0(VALU_DEP_2)
	v_mul_f32_e32 v4, v4, v5
	s_cbranch_scc1 .LBB119_1560
; %bb.1551:
	s_and_b32 s6, 0xffff, s4
	s_mov_b32 s7, -1
	s_cmp_gt_i32 s6, 25
	s_mov_b32 s0, s42
	s_cbranch_scc0 .LBB119_1588
; %bb.1552:
	s_cmp_gt_i32 s6, 28
	s_mov_b32 s0, s42
	s_cbranch_scc0 .LBB119_1572
; %bb.1553:
	;; [unrolled: 4-line block ×4, first 2 shown]
	s_cmp_eq_u32 s6, 46
	s_mov_b32 s0, -1
	s_cbranch_scc0 .LBB119_1561
; %bb.1556:
	v_bfe_u32 v2, v4, 16, 1
	v_cmp_o_f32_e32 vcc_lo, v4, v4
	s_mov_b32 s0, 0
	s_mov_b32 s7, 0
	s_delay_alu instid0(VALU_DEP_2) | instskip(NEXT) | instid1(VALU_DEP_1)
	v_add3_u32 v2, v4, v2, 0x7fff
	v_lshrrev_b32_e32 v2, 16, v2
	s_delay_alu instid0(VALU_DEP_1)
	v_cndmask_b32_e32 v2, 0x7fc0, v2, vcc_lo
	global_store_b32 v[0:1], v2, off
	s_branch .LBB119_1562
.LBB119_1557:
	s_or_b32 exec_lo, exec_lo, s5
	s_and_saveexec_b32 s5, s42
	s_cbranch_execnz .LBB119_1630
.LBB119_1558:
	s_or_b32 exec_lo, exec_lo, s5
	s_and_saveexec_b32 s5, s0
	s_delay_alu instid0(SALU_CYCLE_1)
	s_xor_b32 s0, exec_lo, s5
	s_cbranch_execz .LBB119_1631
.LBB119_1559:
	v_cmp_neq_f32_e32 vcc_lo, 0, v4
	v_cndmask_b32_e64 v2, 0, 1, vcc_lo
	s_wait_loadcnt 0x0
	global_store_b8 v[0:1], v2, off
	s_wait_xcnt 0x0
	s_or_b32 exec_lo, exec_lo, s0
	s_and_saveexec_b32 s0, s6
	s_delay_alu instid0(SALU_CYCLE_1)
	s_xor_b32 s0, exec_lo, s0
	s_cbranch_execz .LBB119_1669
	s_branch .LBB119_1632
.LBB119_1560:
	s_mov_b32 s8, 0
	s_mov_b32 s7, -1
	s_mov_b32 s0, s42
	s_branch .LBB119_1629
.LBB119_1561:
	s_mov_b32 s7, 0
.LBB119_1562:
	s_delay_alu instid0(SALU_CYCLE_1)
	s_and_b32 vcc_lo, exec_lo, s7
	s_cbranch_vccz .LBB119_1567
; %bb.1563:
	s_cmp_eq_u32 s6, 44
	s_mov_b32 s0, -1
	s_cbranch_scc0 .LBB119_1567
; %bb.1564:
	v_bfe_u32 v3, v4, 23, 8
	s_wait_xcnt 0x0
	v_mov_b32_e32 v2, 0xff
	s_mov_b32 s7, exec_lo
	s_delay_alu instid0(VALU_DEP_2)
	v_cmpx_ne_u32_e32 0xff, v3
	s_cbranch_execz .LBB119_1566
; %bb.1565:
	v_and_b32_e32 v2, 0x400000, v4
	v_and_or_b32 v3, 0x3fffff, v4, v3
	s_delay_alu instid0(VALU_DEP_2) | instskip(NEXT) | instid1(VALU_DEP_2)
	v_cmp_ne_u32_e32 vcc_lo, 0, v2
	v_cmp_ne_u32_e64 s0, 0, v3
	v_lshrrev_b32_e32 v2, 23, v4
	s_and_b32 s0, vcc_lo, s0
	s_delay_alu instid0(SALU_CYCLE_1) | instskip(NEXT) | instid1(VALU_DEP_1)
	v_cndmask_b32_e64 v3, 0, 1, s0
	v_add_nc_u32_e32 v2, v2, v3
.LBB119_1566:
	s_or_b32 exec_lo, exec_lo, s7
	s_mov_b32 s0, 0
	global_store_b8 v[0:1], v2, off
.LBB119_1567:
	s_mov_b32 s7, 0
.LBB119_1568:
	s_delay_alu instid0(SALU_CYCLE_1)
	s_and_b32 vcc_lo, exec_lo, s7
	s_cbranch_vccz .LBB119_1571
; %bb.1569:
	s_cmp_eq_u32 s6, 29
	s_mov_b32 s0, -1
	s_cbranch_scc0 .LBB119_1571
; %bb.1570:
	s_wait_xcnt 0x0
	v_trunc_f32_e32 v2, v4
	s_mov_b32 s0, 0
	s_mov_b32 s7, 0
	s_delay_alu instid0(VALU_DEP_1) | instskip(NEXT) | instid1(VALU_DEP_1)
	v_mul_f32_e32 v3, 0x2f800000, v2
	v_floor_f32_e32 v3, v3
	s_delay_alu instid0(VALU_DEP_1) | instskip(SKIP_1) | instid1(VALU_DEP_2)
	v_fmamk_f32 v2, v3, 0xcf800000, v2
	v_cvt_u32_f32_e32 v3, v3
	v_cvt_u32_f32_e32 v2, v2
	global_store_b64 v[0:1], v[2:3], off
	s_branch .LBB119_1572
.LBB119_1571:
	s_mov_b32 s7, 0
.LBB119_1572:
	s_delay_alu instid0(SALU_CYCLE_1)
	s_and_b32 vcc_lo, exec_lo, s7
	s_cbranch_vccz .LBB119_1587
; %bb.1573:
	s_cmp_lt_i32 s6, 27
	s_mov_b32 s7, -1
	s_cbranch_scc1 .LBB119_1579
; %bb.1574:
	s_cmp_gt_i32 s6, 27
	s_cbranch_scc0 .LBB119_1576
; %bb.1575:
	s_wait_xcnt 0x0
	v_cvt_u32_f32_e32 v2, v4
	s_mov_b32 s7, 0
	global_store_b32 v[0:1], v2, off
.LBB119_1576:
	s_and_not1_b32 vcc_lo, exec_lo, s7
	s_cbranch_vccnz .LBB119_1578
; %bb.1577:
	s_wait_xcnt 0x0
	v_cvt_u32_f32_e32 v2, v4
	global_store_b16 v[0:1], v2, off
.LBB119_1578:
	s_mov_b32 s7, 0
.LBB119_1579:
	s_delay_alu instid0(SALU_CYCLE_1)
	s_and_not1_b32 vcc_lo, exec_lo, s7
	s_cbranch_vccnz .LBB119_1587
; %bb.1580:
	s_wait_xcnt 0x0
	v_and_b32_e32 v2, 0x7fffffff, v4
	v_mov_b32_e32 v3, 0x80
	s_mov_b32 s7, exec_lo
	s_delay_alu instid0(VALU_DEP_2)
	v_cmpx_gt_u32_e32 0x43800000, v2
	s_cbranch_execz .LBB119_1586
; %bb.1581:
	v_cmp_lt_u32_e32 vcc_lo, 0x3bffffff, v2
	s_mov_b32 s8, 0
                                        ; implicit-def: $vgpr2
	s_and_saveexec_b32 s9, vcc_lo
	s_delay_alu instid0(SALU_CYCLE_1)
	s_xor_b32 s9, exec_lo, s9
	s_cbranch_execz .LBB119_1745
; %bb.1582:
	v_bfe_u32 v2, v4, 20, 1
	s_mov_b32 s8, exec_lo
	s_delay_alu instid0(VALU_DEP_1) | instskip(NEXT) | instid1(VALU_DEP_1)
	v_add3_u32 v2, v4, v2, 0x487ffff
	v_lshrrev_b32_e32 v2, 20, v2
	s_and_not1_saveexec_b32 s9, s9
	s_cbranch_execnz .LBB119_1746
.LBB119_1583:
	s_or_b32 exec_lo, exec_lo, s9
	v_mov_b32_e32 v3, 0
	s_and_saveexec_b32 s9, s8
.LBB119_1584:
	v_lshrrev_b32_e32 v3, 24, v4
	s_delay_alu instid0(VALU_DEP_1)
	v_and_or_b32 v3, 0x80, v3, v2
.LBB119_1585:
	s_or_b32 exec_lo, exec_lo, s9
.LBB119_1586:
	s_delay_alu instid0(SALU_CYCLE_1)
	s_or_b32 exec_lo, exec_lo, s7
	global_store_b8 v[0:1], v3, off
.LBB119_1587:
	s_mov_b32 s7, 0
.LBB119_1588:
	s_delay_alu instid0(SALU_CYCLE_1)
	s_and_b32 vcc_lo, exec_lo, s7
	s_mov_b32 s7, 0
	s_cbranch_vccz .LBB119_1628
; %bb.1589:
	s_cmp_gt_i32 s6, 22
	s_mov_b32 s8, -1
	s_cbranch_scc0 .LBB119_1621
; %bb.1590:
	s_cmp_lt_i32 s6, 24
	s_cbranch_scc1 .LBB119_1610
; %bb.1591:
	s_cmp_gt_i32 s6, 24
	s_cbranch_scc0 .LBB119_1599
; %bb.1592:
	s_wait_xcnt 0x0
	v_and_b32_e32 v2, 0x7fffffff, v4
	v_mov_b32_e32 v3, 0x80
	s_mov_b32 s8, exec_lo
	s_delay_alu instid0(VALU_DEP_2)
	v_cmpx_gt_u32_e32 0x47800000, v2
	s_cbranch_execz .LBB119_1598
; %bb.1593:
	v_cmp_lt_u32_e32 vcc_lo, 0x37ffffff, v2
	s_mov_b32 s9, 0
                                        ; implicit-def: $vgpr2
	s_and_saveexec_b32 s10, vcc_lo
	s_delay_alu instid0(SALU_CYCLE_1)
	s_xor_b32 s10, exec_lo, s10
	s_cbranch_execz .LBB119_1748
; %bb.1594:
	v_bfe_u32 v2, v4, 21, 1
	s_mov_b32 s9, exec_lo
	s_delay_alu instid0(VALU_DEP_1) | instskip(NEXT) | instid1(VALU_DEP_1)
	v_add3_u32 v2, v4, v2, 0x88fffff
	v_lshrrev_b32_e32 v2, 21, v2
	s_and_not1_saveexec_b32 s10, s10
	s_cbranch_execnz .LBB119_1749
.LBB119_1595:
	s_or_b32 exec_lo, exec_lo, s10
	v_mov_b32_e32 v3, 0
	s_and_saveexec_b32 s10, s9
.LBB119_1596:
	v_lshrrev_b32_e32 v3, 24, v4
	s_delay_alu instid0(VALU_DEP_1)
	v_and_or_b32 v3, 0x80, v3, v2
.LBB119_1597:
	s_or_b32 exec_lo, exec_lo, s10
.LBB119_1598:
	s_delay_alu instid0(SALU_CYCLE_1)
	s_or_b32 exec_lo, exec_lo, s8
	s_mov_b32 s8, 0
	global_store_b8 v[0:1], v3, off
.LBB119_1599:
	s_and_b32 vcc_lo, exec_lo, s8
	s_cbranch_vccz .LBB119_1609
; %bb.1600:
	s_wait_xcnt 0x0
	v_and_b32_e32 v3, 0x7fffffff, v4
	s_mov_b32 s8, exec_lo
                                        ; implicit-def: $vgpr2
	s_delay_alu instid0(VALU_DEP_1)
	v_cmpx_gt_u32_e32 0x43f00000, v3
	s_xor_b32 s8, exec_lo, s8
	s_cbranch_execz .LBB119_1606
; %bb.1601:
	s_mov_b32 s9, exec_lo
                                        ; implicit-def: $vgpr2
	v_cmpx_lt_u32_e32 0x3c7fffff, v3
	s_xor_b32 s9, exec_lo, s9
; %bb.1602:
	v_bfe_u32 v2, v4, 20, 1
	s_delay_alu instid0(VALU_DEP_1) | instskip(NEXT) | instid1(VALU_DEP_1)
	v_add3_u32 v2, v4, v2, 0x407ffff
	v_and_b32_e32 v3, 0xff00000, v2
	v_lshrrev_b32_e32 v2, 20, v2
	s_delay_alu instid0(VALU_DEP_2) | instskip(NEXT) | instid1(VALU_DEP_2)
	v_cmp_ne_u32_e32 vcc_lo, 0x7f00000, v3
	v_cndmask_b32_e32 v2, 0x7e, v2, vcc_lo
; %bb.1603:
	s_and_not1_saveexec_b32 s9, s9
; %bb.1604:
	v_add_f32_e64 v2, 0x46800000, |v4|
; %bb.1605:
	s_or_b32 exec_lo, exec_lo, s9
                                        ; implicit-def: $vgpr3
.LBB119_1606:
	s_and_not1_saveexec_b32 s8, s8
; %bb.1607:
	v_mov_b32_e32 v2, 0x7f
	v_cmp_lt_u32_e32 vcc_lo, 0x7f800000, v3
	s_delay_alu instid0(VALU_DEP_2)
	v_cndmask_b32_e32 v2, 0x7e, v2, vcc_lo
; %bb.1608:
	s_or_b32 exec_lo, exec_lo, s8
	v_lshrrev_b32_e32 v3, 24, v4
	s_delay_alu instid0(VALU_DEP_1)
	v_and_or_b32 v2, 0x80, v3, v2
	global_store_b8 v[0:1], v2, off
.LBB119_1609:
	s_mov_b32 s8, 0
.LBB119_1610:
	s_delay_alu instid0(SALU_CYCLE_1)
	s_and_not1_b32 vcc_lo, exec_lo, s8
	s_cbranch_vccnz .LBB119_1620
; %bb.1611:
	s_wait_xcnt 0x0
	v_and_b32_e32 v3, 0x7fffffff, v4
	s_mov_b32 s8, exec_lo
                                        ; implicit-def: $vgpr2
	s_delay_alu instid0(VALU_DEP_1)
	v_cmpx_gt_u32_e32 0x47800000, v3
	s_xor_b32 s8, exec_lo, s8
	s_cbranch_execz .LBB119_1617
; %bb.1612:
	s_mov_b32 s9, exec_lo
                                        ; implicit-def: $vgpr2
	v_cmpx_lt_u32_e32 0x387fffff, v3
	s_xor_b32 s9, exec_lo, s9
; %bb.1613:
	v_bfe_u32 v2, v4, 21, 1
	s_delay_alu instid0(VALU_DEP_1) | instskip(NEXT) | instid1(VALU_DEP_1)
	v_add3_u32 v2, v4, v2, 0x80fffff
	v_lshrrev_b32_e32 v2, 21, v2
; %bb.1614:
	s_and_not1_saveexec_b32 s9, s9
; %bb.1615:
	v_add_f32_e64 v2, 0x43000000, |v4|
; %bb.1616:
	s_or_b32 exec_lo, exec_lo, s9
                                        ; implicit-def: $vgpr3
.LBB119_1617:
	s_and_not1_saveexec_b32 s8, s8
; %bb.1618:
	v_mov_b32_e32 v2, 0x7f
	v_cmp_lt_u32_e32 vcc_lo, 0x7f800000, v3
	s_delay_alu instid0(VALU_DEP_2)
	v_cndmask_b32_e32 v2, 0x7c, v2, vcc_lo
; %bb.1619:
	s_or_b32 exec_lo, exec_lo, s8
	v_lshrrev_b32_e32 v3, 24, v4
	s_delay_alu instid0(VALU_DEP_1)
	v_and_or_b32 v2, 0x80, v3, v2
	global_store_b8 v[0:1], v2, off
.LBB119_1620:
	s_mov_b32 s8, 0
.LBB119_1621:
	s_delay_alu instid0(SALU_CYCLE_1)
	s_and_not1_b32 vcc_lo, exec_lo, s8
	s_mov_b32 s8, 0
	s_cbranch_vccnz .LBB119_1629
; %bb.1622:
	s_cmp_gt_i32 s6, 14
	s_mov_b32 s8, -1
	s_cbranch_scc0 .LBB119_1626
; %bb.1623:
	s_cmp_eq_u32 s6, 15
	s_mov_b32 s0, -1
	s_cbranch_scc0 .LBB119_1625
; %bb.1624:
	s_wait_xcnt 0x0
	v_bfe_u32 v2, v4, 16, 1
	v_cmp_o_f32_e32 vcc_lo, v4, v4
	s_mov_b32 s0, 0
	s_delay_alu instid0(VALU_DEP_2) | instskip(NEXT) | instid1(VALU_DEP_1)
	v_add3_u32 v2, v4, v2, 0x7fff
	v_lshrrev_b32_e32 v2, 16, v2
	s_delay_alu instid0(VALU_DEP_1)
	v_cndmask_b32_e32 v2, 0x7fc0, v2, vcc_lo
	global_store_b16 v[0:1], v2, off
.LBB119_1625:
	s_mov_b32 s8, 0
.LBB119_1626:
	s_delay_alu instid0(SALU_CYCLE_1)
	s_and_b32 vcc_lo, exec_lo, s8
	s_mov_b32 s8, 0
	s_cbranch_vccz .LBB119_1629
; %bb.1627:
	s_cmp_lg_u32 s6, 11
	s_mov_b32 s8, -1
	s_cselect_b32 s6, -1, 0
	s_and_not1_b32 s0, s0, exec_lo
	s_and_b32 s6, s6, exec_lo
	s_delay_alu instid0(SALU_CYCLE_1)
	s_or_b32 s0, s0, s6
	s_branch .LBB119_1629
.LBB119_1628:
	s_mov_b32 s8, 0
.LBB119_1629:
	s_and_b32 s6, s7, exec_lo
	s_and_not1_b32 s7, s42, exec_lo
	s_and_b32 s9, s0, exec_lo
	s_and_b32 s0, s8, exec_lo
	s_or_b32 s42, s7, s9
	s_wait_xcnt 0x0
	s_or_b32 exec_lo, exec_lo, s5
	s_and_saveexec_b32 s5, s42
	s_cbranch_execz .LBB119_1558
.LBB119_1630:
	s_or_b32 s1, s1, exec_lo
	s_and_not1_b32 s0, s0, exec_lo
	s_trap 2
	s_or_b32 exec_lo, exec_lo, s5
	s_and_saveexec_b32 s5, s0
	s_delay_alu instid0(SALU_CYCLE_1)
	s_xor_b32 s0, exec_lo, s5
	s_cbranch_execnz .LBB119_1559
.LBB119_1631:
	s_or_b32 exec_lo, exec_lo, s0
	s_and_saveexec_b32 s0, s6
	s_delay_alu instid0(SALU_CYCLE_1)
	s_xor_b32 s0, exec_lo, s0
	s_cbranch_execz .LBB119_1669
.LBB119_1632:
	s_sext_i32_i16 s6, s4
	s_mov_b32 s5, -1
	s_cmp_lt_i32 s6, 5
	s_cbranch_scc1 .LBB119_1653
; %bb.1633:
	s_cmp_lt_i32 s6, 8
	s_cbranch_scc1 .LBB119_1643
; %bb.1634:
	;; [unrolled: 3-line block ×3, first 2 shown]
	s_cmp_gt_i32 s6, 9
	s_cbranch_scc0 .LBB119_1637
; %bb.1636:
	s_wait_loadcnt 0x0
	v_cvt_f64_f32_e32 v[6:7], v4
	v_mov_b32_e32 v8, 0
	s_mov_b32 s5, 0
	s_delay_alu instid0(VALU_DEP_1)
	v_mov_b32_e32 v9, v8
	global_store_b128 v[0:1], v[6:9], off
.LBB119_1637:
	s_and_not1_b32 vcc_lo, exec_lo, s5
	s_cbranch_vccnz .LBB119_1639
; %bb.1638:
	s_wait_loadcnt 0x0
	v_mov_b32_e32 v5, 0
	global_store_b64 v[0:1], v[4:5], off
.LBB119_1639:
	s_mov_b32 s5, 0
.LBB119_1640:
	s_delay_alu instid0(SALU_CYCLE_1)
	s_and_not1_b32 vcc_lo, exec_lo, s5
	s_cbranch_vccnz .LBB119_1642
; %bb.1641:
	v_cvt_f16_f32_e32 v2, v4
	s_delay_alu instid0(VALU_DEP_1)
	v_and_b32_e32 v2, 0xffff, v2
	s_wait_loadcnt 0x0
	global_store_b32 v[0:1], v2, off
.LBB119_1642:
	s_mov_b32 s5, 0
.LBB119_1643:
	s_delay_alu instid0(SALU_CYCLE_1)
	s_and_not1_b32 vcc_lo, exec_lo, s5
	s_cbranch_vccnz .LBB119_1652
; %bb.1644:
	s_sext_i32_i16 s6, s4
	s_mov_b32 s5, -1
	s_cmp_lt_i32 s6, 6
	s_cbranch_scc1 .LBB119_1650
; %bb.1645:
	s_cmp_gt_i32 s6, 6
	s_cbranch_scc0 .LBB119_1647
; %bb.1646:
	s_wait_xcnt 0x0
	v_cvt_f64_f32_e32 v[2:3], v4
	s_mov_b32 s5, 0
	s_wait_loadcnt 0x0
	global_store_b64 v[0:1], v[2:3], off
.LBB119_1647:
	s_and_not1_b32 vcc_lo, exec_lo, s5
	s_cbranch_vccnz .LBB119_1649
; %bb.1648:
	s_wait_loadcnt 0x0
	global_store_b32 v[0:1], v4, off
.LBB119_1649:
	s_mov_b32 s5, 0
.LBB119_1650:
	s_delay_alu instid0(SALU_CYCLE_1)
	s_and_not1_b32 vcc_lo, exec_lo, s5
	s_cbranch_vccnz .LBB119_1652
; %bb.1651:
	s_wait_xcnt 0x0
	v_cvt_f16_f32_e32 v2, v4
	s_wait_loadcnt 0x0
	global_store_b16 v[0:1], v2, off
.LBB119_1652:
	s_mov_b32 s5, 0
.LBB119_1653:
	s_delay_alu instid0(SALU_CYCLE_1)
	s_and_not1_b32 vcc_lo, exec_lo, s5
	s_cbranch_vccnz .LBB119_1669
; %bb.1654:
	s_sext_i32_i16 s6, s4
	s_mov_b32 s5, -1
	s_cmp_lt_i32 s6, 2
	s_cbranch_scc1 .LBB119_1664
; %bb.1655:
	s_cmp_lt_i32 s6, 3
	s_cbranch_scc1 .LBB119_1661
; %bb.1656:
	s_cmp_gt_i32 s6, 3
	s_cbranch_scc0 .LBB119_1658
; %bb.1657:
	s_wait_xcnt 0x0
	v_trunc_f32_e32 v2, v4
	s_mov_b32 s5, 0
	s_delay_alu instid0(VALU_DEP_1) | instskip(NEXT) | instid1(VALU_DEP_1)
	v_mul_f32_e64 v3, 0x2f800000, |v2|
	v_floor_f32_e32 v3, v3
	s_wait_loadcnt 0x0
	s_delay_alu instid0(VALU_DEP_1) | instskip(SKIP_2) | instid1(VALU_DEP_3)
	v_fma_f32 v5, 0xcf800000, v3, |v2|
	v_ashrrev_i32_e32 v2, 31, v2
	v_cvt_u32_f32_e32 v6, v3
	v_cvt_u32_f32_e32 v5, v5
	s_delay_alu instid0(VALU_DEP_3) | instskip(NEXT) | instid1(VALU_DEP_3)
	v_mov_b32_e32 v3, v2
	v_xor_b32_e32 v7, v6, v2
	s_delay_alu instid0(VALU_DEP_3) | instskip(NEXT) | instid1(VALU_DEP_1)
	v_xor_b32_e32 v6, v5, v2
	v_sub_nc_u64_e32 v[2:3], v[6:7], v[2:3]
	global_store_b64 v[0:1], v[2:3], off
.LBB119_1658:
	s_and_not1_b32 vcc_lo, exec_lo, s5
	s_cbranch_vccnz .LBB119_1660
; %bb.1659:
	s_wait_xcnt 0x0
	v_cvt_i32_f32_e32 v2, v4
	s_wait_loadcnt 0x0
	global_store_b32 v[0:1], v2, off
.LBB119_1660:
	s_mov_b32 s5, 0
.LBB119_1661:
	s_delay_alu instid0(SALU_CYCLE_1)
	s_and_not1_b32 vcc_lo, exec_lo, s5
	s_cbranch_vccnz .LBB119_1663
; %bb.1662:
	s_wait_xcnt 0x0
	v_cvt_i32_f32_e32 v2, v4
	s_wait_loadcnt 0x0
	global_store_b16 v[0:1], v2, off
.LBB119_1663:
	s_mov_b32 s5, 0
.LBB119_1664:
	s_delay_alu instid0(SALU_CYCLE_1)
	s_and_not1_b32 vcc_lo, exec_lo, s5
	s_cbranch_vccnz .LBB119_1669
; %bb.1665:
	s_sext_i32_i16 s4, s4
	s_delay_alu instid0(SALU_CYCLE_1)
	s_cmp_gt_i32 s4, 0
	s_mov_b32 s4, -1
	s_cbranch_scc0 .LBB119_1667
; %bb.1666:
	s_wait_xcnt 0x0
	v_cvt_i32_f32_e32 v2, v4
	s_mov_b32 s4, 0
	s_wait_loadcnt 0x0
	global_store_b8 v[0:1], v2, off
.LBB119_1667:
	s_and_not1_b32 vcc_lo, exec_lo, s4
	s_cbranch_vccnz .LBB119_1669
; %bb.1668:
	s_wait_xcnt 0x0
	v_trunc_f32_e32 v2, v4
	s_delay_alu instid0(VALU_DEP_1) | instskip(NEXT) | instid1(VALU_DEP_1)
	v_mul_f32_e64 v3, 0x2f800000, |v2|
	v_floor_f32_e32 v3, v3
	s_delay_alu instid0(VALU_DEP_1) | instskip(SKIP_1) | instid1(VALU_DEP_2)
	v_fma_f32 v3, 0xcf800000, v3, |v2|
	v_ashrrev_i32_e32 v2, 31, v2
	v_cvt_u32_f32_e32 v3, v3
	s_delay_alu instid0(VALU_DEP_1) | instskip(NEXT) | instid1(VALU_DEP_1)
	v_xor_b32_e32 v3, v3, v2
	v_sub_nc_u32_e32 v2, v3, v2
	s_wait_loadcnt 0x0
	global_store_b8 v[0:1], v2, off
.LBB119_1669:
	s_wait_xcnt 0x0
	s_or_b32 exec_lo, exec_lo, s0
	s_delay_alu instid0(SALU_CYCLE_1)
	s_and_b32 s8, s1, exec_lo
                                        ; implicit-def: $vgpr1
                                        ; implicit-def: $vgpr0
.LBB119_1670:
	s_or_saveexec_b32 s9, s34
	s_mov_b32 s0, 0
                                        ; implicit-def: $vgpr2_vgpr3
                                        ; implicit-def: $sgpr1
                                        ; implicit-def: $vgpr4
	s_xor_b32 exec_lo, exec_lo, s9
	s_cbranch_execz .LBB119_3282
; %bb.1671:
	v_cndmask_b32_e64 v3, 0, 1, s33
	s_and_not1_b32 vcc_lo, exec_lo, s33
	s_cbranch_vccnz .LBB119_1677
; %bb.1672:
	s_cmp_lg_u32 s15, 0
	s_mov_b32 s6, 0
	s_cbranch_scc0 .LBB119_1681
; %bb.1673:
	s_min_u32 s7, s30, 15
	s_wait_loadcnt 0x0
	v_dual_mov_b32 v6, 0 :: v_dual_mov_b32 v2, v0
	v_dual_mov_b32 v22, 0 :: v_dual_mov_b32 v20, 0
	s_add_co_i32 s4, s7, 1
	s_mov_b64 s[0:1], 0xffffffffffffffe0
	s_and_b32 s10, s4, 30
	s_add_nc_u64 s[0:1], s[2:3], s[0:1]
	s_mov_b64 s[4:5], s[2:3]
.LBB119_1674:                           ; =>This Inner Loop Header: Depth=1
	s_clause 0x1
	s_load_b128 s[16:19], s[4:5], 0x4
	s_load_b64 s[20:21], s[4:5], 0x14
	s_clause 0x1
	s_load_b32 s11, s[0:1], 0xe4
	s_load_b96 s[12:14], s[0:1], 0xec
	s_add_co_i32 s10, s10, -2
	s_wait_xcnt 0x0
	s_add_nc_u64 s[4:5], s[4:5], 24
	s_cmp_lg_u32 s10, 0
	s_wait_kmcnt 0x0
	v_mul_hi_u32 v4, s17, v2
	s_delay_alu instid0(VALU_DEP_1) | instskip(NEXT) | instid1(VALU_DEP_1)
	v_add_nc_u32_e32 v4, v2, v4
	v_lshrrev_b32_e32 v4, s18, v4
	s_delay_alu instid0(VALU_DEP_1) | instskip(SKIP_4) | instid1(VALU_DEP_1)
	v_mul_hi_u32 v5, s20, v4
	v_mul_lo_u32 v7, v4, s16
	s_load_b64 s[16:17], s[0:1], 0xfc
	s_wait_xcnt 0x0
	s_add_nc_u64 s[0:1], s[0:1], 32
	v_dual_add_nc_u32 v5, v4, v5 :: v_dual_sub_nc_u32 v7, v2, v7
	s_delay_alu instid0(VALU_DEP_1) | instskip(NEXT) | instid1(VALU_DEP_2)
	v_lshrrev_b32_e32 v2, s21, v5
	v_mad_u32 v6, v7, s11, v6
	v_mad_u32 v8, v7, s13, v20
	;; [unrolled: 1-line block ×3, first 2 shown]
	s_delay_alu instid0(VALU_DEP_4) | instskip(NEXT) | instid1(VALU_DEP_1)
	v_mul_lo_u32 v5, v2, s19
	v_sub_nc_u32_e32 v4, v4, v5
	s_delay_alu instid0(VALU_DEP_1)
	v_mad_u32 v6, v4, s14, v6
	s_wait_kmcnt 0x0
	v_mad_u32 v20, v4, s17, v8
	v_mad_u32 v22, v4, s16, v7
	s_cbranch_scc1 .LBB119_1674
; %bb.1675:
	s_bitcmp1_b32 s7, 0
	s_cselect_b32 s7, -1, 0
	s_delay_alu instid0(SALU_CYCLE_1)
	s_and_b32 vcc_lo, exec_lo, s7
	s_cbranch_vccnz .LBB119_1678
; %bb.1676:
	s_load_b96 s[12:14], s[4:5], 0x4
	s_load_b32 s7, s[0:1], 0xe4
	s_wait_xcnt 0x0
	s_load_b64 s[4:5], s[0:1], 0xec
	s_wait_kmcnt 0x0
	v_mul_hi_u32 v4, s13, v2
	s_delay_alu instid0(VALU_DEP_1) | instskip(NEXT) | instid1(VALU_DEP_1)
	v_add_nc_u32_e32 v4, v2, v4
	v_lshrrev_b32_e32 v4, s14, v4
	s_delay_alu instid0(VALU_DEP_1) | instskip(NEXT) | instid1(VALU_DEP_1)
	v_mul_lo_u32 v4, v4, s12
	v_sub_nc_u32_e32 v2, v2, v4
	s_delay_alu instid0(VALU_DEP_1)
	v_mad_u32 v6, v2, s7, v6
	v_mad_u32 v22, v2, s4, v22
	;; [unrolled: 1-line block ×3, first 2 shown]
	s_and_not1_b32 vcc_lo, exec_lo, s6
	s_cbranch_vccz .LBB119_1679
	s_branch .LBB119_1682
.LBB119_1677:
	s_mov_b32 s6, -1
                                        ; implicit-def: $vgpr20
                                        ; implicit-def: $vgpr22
                                        ; implicit-def: $vgpr6
.LBB119_1678:
	s_delay_alu instid0(SALU_CYCLE_1)
	s_and_not1_b32 vcc_lo, exec_lo, s6
	s_cbranch_vccnz .LBB119_1682
.LBB119_1679:
	s_clause 0x2
	s_load_b96 s[4:6], s[2:3], 0x4
	s_load_b32 s7, s[2:3], 0xc4
	s_load_b64 s[0:1], s[2:3], 0xcc
	s_cmp_lt_u32 s15, 2
	s_wait_kmcnt 0x0
	v_mul_hi_u32 v2, s5, v0
	s_delay_alu instid0(VALU_DEP_1) | instskip(NEXT) | instid1(VALU_DEP_1)
	v_add_nc_u32_e32 v2, v0, v2
	v_lshrrev_b32_e32 v2, s6, v2
	s_delay_alu instid0(VALU_DEP_1) | instskip(NEXT) | instid1(VALU_DEP_1)
	v_mul_lo_u32 v4, v2, s4
	v_sub_nc_u32_e32 v4, v0, v4
	s_wait_loadcnt 0x0
	s_delay_alu instid0(VALU_DEP_1)
	v_mul_lo_u32 v6, v4, s7
	v_mul_lo_u32 v20, v4, s1
	;; [unrolled: 1-line block ×3, first 2 shown]
	s_cbranch_scc1 .LBB119_1682
; %bb.1680:
	s_clause 0x2
	s_load_b96 s[4:6], s[2:3], 0x10
	s_load_b32 s7, s[2:3], 0xd4
	s_load_b64 s[0:1], s[2:3], 0xdc
	s_wait_kmcnt 0x0
	v_mul_hi_u32 v4, s5, v2
	s_delay_alu instid0(VALU_DEP_1) | instskip(NEXT) | instid1(VALU_DEP_1)
	v_add_nc_u32_e32 v4, v2, v4
	v_lshrrev_b32_e32 v4, s6, v4
	s_delay_alu instid0(VALU_DEP_1) | instskip(NEXT) | instid1(VALU_DEP_1)
	v_mul_lo_u32 v4, v4, s4
	v_sub_nc_u32_e32 v2, v2, v4
	s_delay_alu instid0(VALU_DEP_1)
	v_mad_u32 v6, v2, s7, v6
	v_mad_u32 v22, v2, s0, v22
	;; [unrolled: 1-line block ×3, first 2 shown]
	s_branch .LBB119_1682
.LBB119_1681:
	v_dual_mov_b32 v20, 0 :: v_dual_mov_b32 v22, 0
	s_wait_loadcnt 0x0
	v_mov_b32_e32 v6, 0
	s_and_not1_b32 vcc_lo, exec_lo, s6
	s_cbranch_vccz .LBB119_1679
.LBB119_1682:
	v_cmp_ne_u32_e32 vcc_lo, 1, v3
	v_add_nc_u32_e32 v2, 0x80, v0
	s_cbranch_vccnz .LBB119_1688
; %bb.1683:
	s_cmp_lg_u32 s15, 0
	s_mov_b32 s6, 0
	s_cbranch_scc0 .LBB119_1692
; %bb.1684:
	s_min_u32 s7, s30, 15
	s_wait_loadcnt 0x0
	v_dual_mov_b32 v4, 0 :: v_dual_mov_b32 v5, v2
	v_dual_mov_b32 v18, 0 :: v_dual_mov_b32 v16, 0
	s_add_co_i32 s4, s7, 1
	s_mov_b64 s[0:1], 0xffffffffffffffe0
	s_and_b32 s10, s4, 30
	s_add_nc_u64 s[0:1], s[2:3], s[0:1]
	s_mov_b64 s[4:5], s[2:3]
.LBB119_1685:                           ; =>This Inner Loop Header: Depth=1
	s_clause 0x1
	s_load_b128 s[16:19], s[4:5], 0x4
	s_load_b64 s[20:21], s[4:5], 0x14
	s_clause 0x1
	s_load_b32 s11, s[0:1], 0xe4
	s_load_b96 s[12:14], s[0:1], 0xec
	s_add_co_i32 s10, s10, -2
	s_wait_xcnt 0x0
	s_add_nc_u64 s[4:5], s[4:5], 24
	s_cmp_lg_u32 s10, 0
	s_wait_kmcnt 0x0
	v_mul_hi_u32 v7, s17, v5
	s_delay_alu instid0(VALU_DEP_1) | instskip(NEXT) | instid1(VALU_DEP_1)
	v_add_nc_u32_e32 v7, v5, v7
	v_lshrrev_b32_e32 v7, s18, v7
	s_delay_alu instid0(VALU_DEP_1) | instskip(SKIP_4) | instid1(VALU_DEP_1)
	v_mul_hi_u32 v8, s20, v7
	v_mul_lo_u32 v9, v7, s16
	s_load_b64 s[16:17], s[0:1], 0xfc
	s_wait_xcnt 0x0
	s_add_nc_u64 s[0:1], s[0:1], 32
	v_dual_add_nc_u32 v8, v7, v8 :: v_dual_sub_nc_u32 v9, v5, v9
	s_delay_alu instid0(VALU_DEP_1) | instskip(NEXT) | instid1(VALU_DEP_2)
	v_lshrrev_b32_e32 v5, s21, v8
	v_mad_u32 v4, v9, s11, v4
	v_mad_u32 v10, v9, s13, v16
	;; [unrolled: 1-line block ×3, first 2 shown]
	s_delay_alu instid0(VALU_DEP_4) | instskip(NEXT) | instid1(VALU_DEP_1)
	v_mul_lo_u32 v8, v5, s19
	v_sub_nc_u32_e32 v7, v7, v8
	s_delay_alu instid0(VALU_DEP_1)
	v_mad_u32 v4, v7, s14, v4
	s_wait_kmcnt 0x0
	v_mad_u32 v16, v7, s17, v10
	v_mad_u32 v18, v7, s16, v9
	s_cbranch_scc1 .LBB119_1685
; %bb.1686:
	s_bitcmp1_b32 s7, 0
	s_cselect_b32 s7, -1, 0
	s_delay_alu instid0(SALU_CYCLE_1)
	s_and_b32 vcc_lo, exec_lo, s7
	s_cbranch_vccnz .LBB119_1689
; %bb.1687:
	s_load_b96 s[12:14], s[4:5], 0x4
	s_load_b32 s7, s[0:1], 0xe4
	s_wait_xcnt 0x0
	s_load_b64 s[4:5], s[0:1], 0xec
	s_wait_kmcnt 0x0
	v_mul_hi_u32 v7, s13, v5
	s_delay_alu instid0(VALU_DEP_1) | instskip(NEXT) | instid1(VALU_DEP_1)
	v_add_nc_u32_e32 v7, v5, v7
	v_lshrrev_b32_e32 v7, s14, v7
	s_delay_alu instid0(VALU_DEP_1) | instskip(NEXT) | instid1(VALU_DEP_1)
	v_mul_lo_u32 v7, v7, s12
	v_sub_nc_u32_e32 v5, v5, v7
	s_delay_alu instid0(VALU_DEP_1)
	v_mad_u32 v4, v5, s7, v4
	v_mad_u32 v18, v5, s4, v18
	;; [unrolled: 1-line block ×3, first 2 shown]
	s_and_not1_b32 vcc_lo, exec_lo, s6
	s_cbranch_vccz .LBB119_1690
	s_branch .LBB119_1693
.LBB119_1688:
	s_mov_b32 s6, -1
                                        ; implicit-def: $vgpr16
                                        ; implicit-def: $vgpr18
                                        ; implicit-def: $vgpr4
.LBB119_1689:
	s_delay_alu instid0(SALU_CYCLE_1)
	s_and_not1_b32 vcc_lo, exec_lo, s6
	s_cbranch_vccnz .LBB119_1693
.LBB119_1690:
	s_clause 0x2
	s_load_b96 s[4:6], s[2:3], 0x4
	s_load_b32 s7, s[2:3], 0xc4
	s_load_b64 s[0:1], s[2:3], 0xcc
	s_cmp_lt_u32 s15, 2
	s_wait_kmcnt 0x0
	v_mul_hi_u32 v4, s5, v2
	s_delay_alu instid0(VALU_DEP_1) | instskip(SKIP_1) | instid1(VALU_DEP_1)
	v_add_nc_u32_e32 v4, v2, v4
	s_wait_loadcnt 0x0
	v_lshrrev_b32_e32 v5, s6, v4
	s_delay_alu instid0(VALU_DEP_1) | instskip(NEXT) | instid1(VALU_DEP_1)
	v_mul_lo_u32 v4, v5, s4
	v_sub_nc_u32_e32 v2, v2, v4
	s_delay_alu instid0(VALU_DEP_1)
	v_mul_lo_u32 v4, v2, s7
	v_mul_lo_u32 v16, v2, s1
	;; [unrolled: 1-line block ×3, first 2 shown]
	s_cbranch_scc1 .LBB119_1693
; %bb.1691:
	s_clause 0x2
	s_load_b96 s[4:6], s[2:3], 0x10
	s_load_b32 s7, s[2:3], 0xd4
	s_load_b64 s[0:1], s[2:3], 0xdc
	s_wait_kmcnt 0x0
	v_mul_hi_u32 v2, s5, v5
	s_delay_alu instid0(VALU_DEP_1) | instskip(NEXT) | instid1(VALU_DEP_1)
	v_add_nc_u32_e32 v2, v5, v2
	v_lshrrev_b32_e32 v2, s6, v2
	s_delay_alu instid0(VALU_DEP_1) | instskip(NEXT) | instid1(VALU_DEP_1)
	v_mul_lo_u32 v2, v2, s4
	v_sub_nc_u32_e32 v2, v5, v2
	s_delay_alu instid0(VALU_DEP_1)
	v_mad_u32 v4, v2, s7, v4
	v_mad_u32 v18, v2, s0, v18
	;; [unrolled: 1-line block ×3, first 2 shown]
	s_branch .LBB119_1693
.LBB119_1692:
	v_dual_mov_b32 v16, 0 :: v_dual_mov_b32 v18, 0
	v_mov_b32_e32 v4, 0
	s_and_not1_b32 vcc_lo, exec_lo, s6
	s_cbranch_vccz .LBB119_1690
.LBB119_1693:
	v_cmp_ne_u32_e32 vcc_lo, 1, v3
	v_add_nc_u32_e32 v0, 0x100, v0
	s_cbranch_vccnz .LBB119_1699
; %bb.1694:
	s_cmp_lg_u32 s15, 0
	s_mov_b32 s6, 0
	s_cbranch_scc0 .LBB119_1703
; %bb.1695:
	s_min_u32 s7, s30, 15
	s_wait_loadcnt 0x0
	v_dual_mov_b32 v2, 0 :: v_dual_mov_b32 v5, v0
	v_dual_mov_b32 v14, 0 :: v_dual_mov_b32 v12, 0
	s_add_co_i32 s4, s7, 1
	s_mov_b64 s[0:1], 0xffffffffffffffe0
	s_and_b32 s10, s4, 30
	s_add_nc_u64 s[0:1], s[2:3], s[0:1]
	s_mov_b64 s[4:5], s[2:3]
.LBB119_1696:                           ; =>This Inner Loop Header: Depth=1
	s_clause 0x1
	s_load_b128 s[16:19], s[4:5], 0x4
	s_load_b64 s[20:21], s[4:5], 0x14
	s_clause 0x1
	s_load_b32 s11, s[0:1], 0xe4
	s_load_b96 s[12:14], s[0:1], 0xec
	s_add_co_i32 s10, s10, -2
	s_wait_xcnt 0x0
	s_add_nc_u64 s[4:5], s[4:5], 24
	s_cmp_lg_u32 s10, 0
	s_wait_kmcnt 0x0
	v_mul_hi_u32 v7, s17, v5
	s_delay_alu instid0(VALU_DEP_1) | instskip(NEXT) | instid1(VALU_DEP_1)
	v_add_nc_u32_e32 v7, v5, v7
	v_lshrrev_b32_e32 v7, s18, v7
	s_delay_alu instid0(VALU_DEP_1) | instskip(SKIP_4) | instid1(VALU_DEP_1)
	v_mul_hi_u32 v8, s20, v7
	v_mul_lo_u32 v9, v7, s16
	s_load_b64 s[16:17], s[0:1], 0xfc
	s_wait_xcnt 0x0
	s_add_nc_u64 s[0:1], s[0:1], 32
	v_dual_add_nc_u32 v8, v7, v8 :: v_dual_sub_nc_u32 v9, v5, v9
	s_delay_alu instid0(VALU_DEP_1) | instskip(NEXT) | instid1(VALU_DEP_2)
	v_lshrrev_b32_e32 v5, s21, v8
	v_mad_u32 v2, v9, s11, v2
	v_mad_u32 v10, v9, s13, v12
	;; [unrolled: 1-line block ×3, first 2 shown]
	s_delay_alu instid0(VALU_DEP_4) | instskip(NEXT) | instid1(VALU_DEP_1)
	v_mul_lo_u32 v8, v5, s19
	v_sub_nc_u32_e32 v7, v7, v8
	s_delay_alu instid0(VALU_DEP_1)
	v_mad_u32 v2, v7, s14, v2
	s_wait_kmcnt 0x0
	v_mad_u32 v12, v7, s17, v10
	v_mad_u32 v14, v7, s16, v9
	s_cbranch_scc1 .LBB119_1696
; %bb.1697:
	s_bitcmp1_b32 s7, 0
	s_cselect_b32 s7, -1, 0
	s_delay_alu instid0(SALU_CYCLE_1)
	s_and_b32 vcc_lo, exec_lo, s7
	s_cbranch_vccnz .LBB119_1700
; %bb.1698:
	s_load_b96 s[12:14], s[4:5], 0x4
	s_load_b32 s7, s[0:1], 0xe4
	s_wait_xcnt 0x0
	s_load_b64 s[4:5], s[0:1], 0xec
	s_wait_kmcnt 0x0
	v_mul_hi_u32 v7, s13, v5
	s_delay_alu instid0(VALU_DEP_1) | instskip(NEXT) | instid1(VALU_DEP_1)
	v_add_nc_u32_e32 v7, v5, v7
	v_lshrrev_b32_e32 v7, s14, v7
	s_delay_alu instid0(VALU_DEP_1) | instskip(NEXT) | instid1(VALU_DEP_1)
	v_mul_lo_u32 v7, v7, s12
	v_sub_nc_u32_e32 v5, v5, v7
	s_delay_alu instid0(VALU_DEP_1)
	v_mad_u32 v2, v5, s7, v2
	v_mad_u32 v14, v5, s4, v14
	;; [unrolled: 1-line block ×3, first 2 shown]
	s_and_not1_b32 vcc_lo, exec_lo, s6
	s_cbranch_vccz .LBB119_1701
	s_branch .LBB119_1704
.LBB119_1699:
	s_mov_b32 s6, -1
                                        ; implicit-def: $vgpr12
                                        ; implicit-def: $vgpr14
                                        ; implicit-def: $vgpr2
.LBB119_1700:
	s_delay_alu instid0(SALU_CYCLE_1)
	s_and_not1_b32 vcc_lo, exec_lo, s6
	s_cbranch_vccnz .LBB119_1704
.LBB119_1701:
	s_clause 0x2
	s_load_b96 s[4:6], s[2:3], 0x4
	s_load_b32 s7, s[2:3], 0xc4
	s_load_b64 s[0:1], s[2:3], 0xcc
	s_cmp_lt_u32 s15, 2
	s_wait_kmcnt 0x0
	v_mul_hi_u32 v2, s5, v0
	s_delay_alu instid0(VALU_DEP_1) | instskip(SKIP_1) | instid1(VALU_DEP_1)
	v_add_nc_u32_e32 v2, v0, v2
	s_wait_loadcnt 0x0
	v_lshrrev_b32_e32 v5, s6, v2
	s_delay_alu instid0(VALU_DEP_1) | instskip(NEXT) | instid1(VALU_DEP_1)
	v_mul_lo_u32 v2, v5, s4
	v_sub_nc_u32_e32 v0, v0, v2
	s_delay_alu instid0(VALU_DEP_1)
	v_mul_lo_u32 v2, v0, s7
	v_mul_lo_u32 v12, v0, s1
	;; [unrolled: 1-line block ×3, first 2 shown]
	s_cbranch_scc1 .LBB119_1704
; %bb.1702:
	s_clause 0x2
	s_load_b96 s[4:6], s[2:3], 0x10
	s_load_b32 s7, s[2:3], 0xd4
	s_load_b64 s[0:1], s[2:3], 0xdc
	s_wait_kmcnt 0x0
	v_mul_hi_u32 v0, s5, v5
	s_delay_alu instid0(VALU_DEP_1) | instskip(NEXT) | instid1(VALU_DEP_1)
	v_add_nc_u32_e32 v0, v5, v0
	v_lshrrev_b32_e32 v0, s6, v0
	s_delay_alu instid0(VALU_DEP_1) | instskip(NEXT) | instid1(VALU_DEP_1)
	v_mul_lo_u32 v0, v0, s4
	v_sub_nc_u32_e32 v0, v5, v0
	s_delay_alu instid0(VALU_DEP_1)
	v_mad_u32 v2, v0, s7, v2
	v_mad_u32 v14, v0, s0, v14
	;; [unrolled: 1-line block ×3, first 2 shown]
	s_branch .LBB119_1704
.LBB119_1703:
	v_dual_mov_b32 v12, 0 :: v_dual_mov_b32 v14, 0
	v_mov_b32_e32 v2, 0
	s_and_not1_b32 vcc_lo, exec_lo, s6
	s_cbranch_vccz .LBB119_1701
.LBB119_1704:
	v_cmp_ne_u32_e32 vcc_lo, 1, v3
	s_cbranch_vccnz .LBB119_1710
; %bb.1705:
	s_cmp_lg_u32 s15, 0
	s_mov_b32 s6, 0
	s_cbranch_scc0 .LBB119_1714
; %bb.1706:
	s_min_u32 s7, s30, 15
	s_wait_loadcnt 0x0
	v_dual_mov_b32 v0, 0 :: v_dual_mov_b32 v3, v1
	v_dual_mov_b32 v10, 0 :: v_dual_mov_b32 v8, 0
	s_add_co_i32 s4, s7, 1
	s_mov_b64 s[0:1], 0xffffffffffffffe0
	s_and_b32 s10, s4, 30
	s_add_nc_u64 s[0:1], s[2:3], s[0:1]
	s_mov_b64 s[4:5], s[2:3]
.LBB119_1707:                           ; =>This Inner Loop Header: Depth=1
	s_clause 0x1
	s_load_b128 s[16:19], s[4:5], 0x4
	s_load_b64 s[20:21], s[4:5], 0x14
	s_clause 0x1
	s_load_b32 s11, s[0:1], 0xe4
	s_load_b96 s[12:14], s[0:1], 0xec
	s_add_co_i32 s10, s10, -2
	s_wait_xcnt 0x0
	s_add_nc_u64 s[4:5], s[4:5], 24
	s_cmp_lg_u32 s10, 0
	s_wait_kmcnt 0x0
	v_mul_hi_u32 v5, s17, v3
	s_delay_alu instid0(VALU_DEP_1) | instskip(NEXT) | instid1(VALU_DEP_1)
	v_add_nc_u32_e32 v5, v3, v5
	v_lshrrev_b32_e32 v5, s18, v5
	s_delay_alu instid0(VALU_DEP_1) | instskip(SKIP_4) | instid1(VALU_DEP_1)
	v_mul_hi_u32 v7, s20, v5
	v_mul_lo_u32 v9, v5, s16
	s_load_b64 s[16:17], s[0:1], 0xfc
	s_wait_xcnt 0x0
	s_add_nc_u64 s[0:1], s[0:1], 32
	v_dual_add_nc_u32 v7, v5, v7 :: v_dual_sub_nc_u32 v9, v3, v9
	s_delay_alu instid0(VALU_DEP_1) | instskip(NEXT) | instid1(VALU_DEP_2)
	v_lshrrev_b32_e32 v3, s21, v7
	v_mad_u32 v0, v9, s11, v0
	v_mad_u32 v8, v9, s13, v8
	;; [unrolled: 1-line block ×3, first 2 shown]
	s_delay_alu instid0(VALU_DEP_4) | instskip(NEXT) | instid1(VALU_DEP_1)
	v_mul_lo_u32 v7, v3, s19
	v_sub_nc_u32_e32 v5, v5, v7
	s_delay_alu instid0(VALU_DEP_1)
	v_mad_u32 v0, v5, s14, v0
	s_wait_kmcnt 0x0
	v_mad_u32 v8, v5, s17, v8
	v_mad_u32 v10, v5, s16, v9
	s_cbranch_scc1 .LBB119_1707
; %bb.1708:
	s_bitcmp1_b32 s7, 0
	s_cselect_b32 s7, -1, 0
	s_delay_alu instid0(SALU_CYCLE_1)
	s_and_b32 vcc_lo, exec_lo, s7
	s_cbranch_vccnz .LBB119_1711
; %bb.1709:
	s_load_b96 s[12:14], s[4:5], 0x4
	s_load_b32 s7, s[0:1], 0xe4
	s_wait_xcnt 0x0
	s_load_b64 s[4:5], s[0:1], 0xec
	s_wait_kmcnt 0x0
	v_mul_hi_u32 v5, s13, v3
	s_delay_alu instid0(VALU_DEP_1) | instskip(NEXT) | instid1(VALU_DEP_1)
	v_add_nc_u32_e32 v5, v3, v5
	v_lshrrev_b32_e32 v5, s14, v5
	s_delay_alu instid0(VALU_DEP_1) | instskip(NEXT) | instid1(VALU_DEP_1)
	v_mul_lo_u32 v5, v5, s12
	v_sub_nc_u32_e32 v3, v3, v5
	s_delay_alu instid0(VALU_DEP_1)
	v_mad_u32 v0, v3, s7, v0
	v_mad_u32 v10, v3, s4, v10
	;; [unrolled: 1-line block ×3, first 2 shown]
	s_and_not1_b32 vcc_lo, exec_lo, s6
	s_cbranch_vccz .LBB119_1712
	s_branch .LBB119_1715
.LBB119_1710:
	s_mov_b32 s6, -1
                                        ; implicit-def: $vgpr8
                                        ; implicit-def: $vgpr10
                                        ; implicit-def: $vgpr0
.LBB119_1711:
	s_delay_alu instid0(SALU_CYCLE_1)
	s_and_not1_b32 vcc_lo, exec_lo, s6
	s_cbranch_vccnz .LBB119_1715
.LBB119_1712:
	s_clause 0x2
	s_load_b96 s[4:6], s[2:3], 0x4
	s_load_b32 s7, s[2:3], 0xc4
	s_load_b64 s[0:1], s[2:3], 0xcc
	s_cmp_lt_u32 s15, 2
	s_wait_loadcnt 0x0
	s_wait_kmcnt 0x0
	v_mul_hi_u32 v0, s5, v1
	s_delay_alu instid0(VALU_DEP_1) | instskip(NEXT) | instid1(VALU_DEP_1)
	v_add_nc_u32_e32 v0, v1, v0
	v_lshrrev_b32_e32 v3, s6, v0
	s_delay_alu instid0(VALU_DEP_1) | instskip(NEXT) | instid1(VALU_DEP_1)
	v_mul_lo_u32 v0, v3, s4
	v_sub_nc_u32_e32 v1, v1, v0
	s_delay_alu instid0(VALU_DEP_1)
	v_mul_lo_u32 v0, v1, s7
	v_mul_lo_u32 v8, v1, s1
	;; [unrolled: 1-line block ×3, first 2 shown]
	s_cbranch_scc1 .LBB119_1715
; %bb.1713:
	s_clause 0x2
	s_load_b96 s[4:6], s[2:3], 0x10
	s_load_b32 s7, s[2:3], 0xd4
	s_load_b64 s[0:1], s[2:3], 0xdc
	s_wait_kmcnt 0x0
	v_mul_hi_u32 v1, s5, v3
	s_delay_alu instid0(VALU_DEP_1) | instskip(NEXT) | instid1(VALU_DEP_1)
	v_add_nc_u32_e32 v1, v3, v1
	v_lshrrev_b32_e32 v1, s6, v1
	s_delay_alu instid0(VALU_DEP_1) | instskip(NEXT) | instid1(VALU_DEP_1)
	v_mul_lo_u32 v1, v1, s4
	v_sub_nc_u32_e32 v1, v3, v1
	s_delay_alu instid0(VALU_DEP_1)
	v_mad_u32 v0, v1, s7, v0
	v_mad_u32 v10, v1, s0, v10
	;; [unrolled: 1-line block ×3, first 2 shown]
	s_branch .LBB119_1715
.LBB119_1714:
	v_dual_mov_b32 v8, 0 :: v_dual_mov_b32 v10, 0
	v_mov_b32_e32 v0, 0
	s_and_not1_b32 vcc_lo, exec_lo, s6
	s_cbranch_vccz .LBB119_1712
.LBB119_1715:
	s_wait_loadcnt 0x0
	v_mov_b32_e32 v1, 0
	global_load_u8 v1, v1, s[2:3] offset:493
	s_wait_loadcnt 0x0
	v_and_b32_e32 v3, 0xffff, v1
	v_readfirstlane_b32 s6, v1
	s_delay_alu instid0(VALU_DEP_2)
	v_cmp_gt_i32_e32 vcc_lo, 23, v3
	s_cbranch_vccnz .LBB119_1719
; %bb.1716:
	s_and_b32 s4, 0xffff, s6
	s_delay_alu instid0(SALU_CYCLE_1)
	s_cmp_gt_i32 s4, 43
	s_cbranch_scc0 .LBB119_1720
; %bb.1717:
	s_cmp_gt_i32 s4, 45
	s_cbranch_scc0 .LBB119_1721
; %bb.1718:
	s_cmp_lg_u32 s4, 46
	s_mov_b32 s0, -1
	s_cselect_b32 s1, -1, 0
	s_cbranch_execz .LBB119_1722
	s_branch .LBB119_1723
.LBB119_1719:
	s_mov_b32 s0, 0
	s_mov_b32 s1, 0
	s_cbranch_execnz .LBB119_1726
	s_branch .LBB119_1730
.LBB119_1720:
	s_mov_b32 s0, 0
	s_mov_b32 s1, 0
	s_cbranch_execnz .LBB119_1724
	s_branch .LBB119_1725
.LBB119_1721:
	s_mov_b32 s0, 0
	s_mov_b32 s1, 0
.LBB119_1722:
	s_cmp_eq_u32 s4, 44
	s_cselect_b32 s0, -1, 0
	s_cmp_lg_u32 s4, 44
	s_cselect_b32 s1, -1, 0
.LBB119_1723:
	s_branch .LBB119_1725
.LBB119_1724:
	s_cmp_lt_i32 s4, 30
	s_cselect_b32 s0, -1, 0
	s_cmp_gt_i32 s4, 29
	s_cselect_b32 s1, -1, 0
.LBB119_1725:
	s_branch .LBB119_1730
.LBB119_1726:
	s_and_b32 s4, 0xffff, s6
	s_mov_b32 s5, -1
	s_cmp_gt_i32 s4, 14
	s_cbranch_scc0 .LBB119_1728
; %bb.1727:
	s_cmp_eq_u32 s4, 15
	s_mov_b32 s5, 0
	s_cselect_b32 s0, -1, 0
	s_cmp_lg_u32 s4, 15
	s_cselect_b32 s1, -1, 0
.LBB119_1728:
	s_and_not1_b32 vcc_lo, exec_lo, s5
	s_cbranch_vccnz .LBB119_1730
; %bb.1729:
	s_cmp_lt_i32 s4, 12
	s_cselect_b32 s0, -1, 0
	s_cmp_gt_i32 s4, 11
	s_cselect_b32 s1, -1, 0
.LBB119_1730:
	s_delay_alu instid0(SALU_CYCLE_1)
	s_and_b32 vcc_lo, exec_lo, s1
	s_mov_b32 s10, s8
	s_cbranch_vccnz .LBB119_1743
; %bb.1731:
	s_and_not1_b32 vcc_lo, exec_lo, s0
	s_cbranch_vccnz .LBB119_3280
.LBB119_1732:
	v_mov_b32_e32 v23, 0
	s_load_b64 s[0:1], s[2:3], 0x1d8
	global_load_u8 v1, v23, s[2:3] offset:494
	s_wait_kmcnt 0x0
	v_add_nc_u64_e32 v[22:23], s[0:1], v[22:23]
	s_wait_loadcnt 0x0
	v_and_b32_e32 v3, 0xffff, v1
	v_readfirstlane_b32 s7, v1
	s_delay_alu instid0(VALU_DEP_2)
	v_cmp_gt_i32_e32 vcc_lo, 11, v3
	s_cbranch_vccnz .LBB119_1739
; %bb.1733:
	s_and_b32 s4, 0xffff, s7
	s_mov_b32 s11, 0
	s_cmp_gt_i32 s4, 25
	s_cbranch_scc0 .LBB119_1741
; %bb.1734:
	s_cmp_gt_i32 s4, 28
	s_cbranch_scc0 .LBB119_1742
; %bb.1735:
	;; [unrolled: 3-line block ×4, first 2 shown]
	s_cmp_eq_u32 s4, 46
	s_mov_b32 s13, 0
	s_cbranch_scc0 .LBB119_1750
; %bb.1738:
	global_load_b32 v1, v[22:23], off
	s_mov_b32 s5, 0
	s_mov_b32 s12, -1
	s_wait_loadcnt 0x0
	v_lshlrev_b32_e32 v1, 16, v1
	s_branch .LBB119_1752
.LBB119_1739:
	s_mov_b32 s12, 0
                                        ; implicit-def: $vgpr1
	s_cbranch_execnz .LBB119_1817
.LBB119_1740:
	s_and_not1_b32 vcc_lo, exec_lo, s12
	s_cbranch_vccz .LBB119_1864
	s_branch .LBB119_3280
.LBB119_1741:
	s_mov_b32 s12, 0
	s_mov_b32 s5, 0
                                        ; implicit-def: $vgpr1
	s_cbranch_execnz .LBB119_1781
	s_branch .LBB119_1813
.LBB119_1742:
	s_mov_b32 s13, -1
	s_mov_b32 s12, 0
	s_mov_b32 s5, 0
                                        ; implicit-def: $vgpr1
	s_branch .LBB119_1762
.LBB119_1743:
	s_or_b32 s10, s8, exec_lo
	s_trap 2
	s_cbranch_execz .LBB119_1732
	s_branch .LBB119_3280
.LBB119_1744:
	s_mov_b32 s13, -1
	s_mov_b32 s12, 0
	s_mov_b32 s5, 0
                                        ; implicit-def: $vgpr1
	s_branch .LBB119_1757
.LBB119_1745:
	s_and_not1_saveexec_b32 s9, s9
	s_cbranch_execz .LBB119_1583
.LBB119_1746:
	v_add_f32_e64 v2, 0x46000000, |v4|
	s_and_not1_b32 s8, s8, exec_lo
	s_delay_alu instid0(VALU_DEP_1) | instskip(NEXT) | instid1(VALU_DEP_1)
	v_and_b32_e32 v2, 0xff, v2
	v_cmp_ne_u32_e32 vcc_lo, 0, v2
	s_and_b32 s10, vcc_lo, exec_lo
	s_delay_alu instid0(SALU_CYCLE_1)
	s_or_b32 s8, s8, s10
	s_or_b32 exec_lo, exec_lo, s9
	v_mov_b32_e32 v3, 0
	s_and_saveexec_b32 s9, s8
	s_cbranch_execnz .LBB119_1584
	s_branch .LBB119_1585
.LBB119_1747:
	s_mov_b32 s13, -1
	s_mov_b32 s12, 0
	s_mov_b32 s5, 0
	s_branch .LBB119_1751
.LBB119_1748:
	s_and_not1_saveexec_b32 s10, s10
	s_cbranch_execz .LBB119_1595
.LBB119_1749:
	v_add_f32_e64 v2, 0x42800000, |v4|
	s_and_not1_b32 s9, s9, exec_lo
	s_delay_alu instid0(VALU_DEP_1) | instskip(NEXT) | instid1(VALU_DEP_1)
	v_and_b32_e32 v2, 0xff, v2
	v_cmp_ne_u32_e32 vcc_lo, 0, v2
	s_and_b32 s11, vcc_lo, exec_lo
	s_delay_alu instid0(SALU_CYCLE_1)
	s_or_b32 s9, s9, s11
	s_or_b32 exec_lo, exec_lo, s10
	v_mov_b32_e32 v3, 0
	s_and_saveexec_b32 s10, s9
	s_cbranch_execnz .LBB119_1596
	s_branch .LBB119_1597
.LBB119_1750:
	s_mov_b32 s5, -1
	s_mov_b32 s12, 0
.LBB119_1751:
                                        ; implicit-def: $vgpr1
.LBB119_1752:
	s_and_b32 vcc_lo, exec_lo, s13
	s_cbranch_vccz .LBB119_1756
; %bb.1753:
	s_cmp_eq_u32 s4, 44
	s_cbranch_scc0 .LBB119_1755
; %bb.1754:
	global_load_u8 v1, v[22:23], off
	s_mov_b32 s5, 0
	s_mov_b32 s12, -1
	s_wait_loadcnt 0x0
	v_lshlrev_b32_e32 v3, 23, v1
	v_cmp_ne_u32_e32 vcc_lo, 0xff, v1
	s_delay_alu instid0(VALU_DEP_2) | instskip(SKIP_1) | instid1(VALU_DEP_2)
	v_cndmask_b32_e32 v3, 0x7f800001, v3, vcc_lo
	v_cmp_ne_u32_e32 vcc_lo, 0, v1
	v_cndmask_b32_e32 v1, 0x400000, v3, vcc_lo
	s_branch .LBB119_1756
.LBB119_1755:
	s_mov_b32 s5, -1
                                        ; implicit-def: $vgpr1
.LBB119_1756:
	s_mov_b32 s13, 0
.LBB119_1757:
	s_delay_alu instid0(SALU_CYCLE_1)
	s_and_b32 vcc_lo, exec_lo, s13
	s_cbranch_vccz .LBB119_1761
; %bb.1758:
	s_cmp_eq_u32 s4, 29
	s_cbranch_scc0 .LBB119_1760
; %bb.1759:
	global_load_b64 v[24:25], v[22:23], off
	s_mov_b32 s5, 0
	s_mov_b32 s12, -1
	s_mov_b32 s13, 0
	s_wait_loadcnt 0x0
	v_clz_i32_u32_e32 v1, v25
	s_delay_alu instid0(VALU_DEP_1) | instskip(NEXT) | instid1(VALU_DEP_1)
	v_min_u32_e32 v1, 32, v1
	v_lshlrev_b64_e32 v[24:25], v1, v[24:25]
	v_sub_nc_u32_e32 v1, 32, v1
	s_delay_alu instid0(VALU_DEP_2) | instskip(NEXT) | instid1(VALU_DEP_1)
	v_min_u32_e32 v3, 1, v24
	v_or_b32_e32 v3, v25, v3
	s_delay_alu instid0(VALU_DEP_1) | instskip(NEXT) | instid1(VALU_DEP_1)
	v_cvt_f32_u32_e32 v3, v3
	v_ldexp_f32 v1, v3, v1
	s_branch .LBB119_1762
.LBB119_1760:
	s_mov_b32 s5, -1
                                        ; implicit-def: $vgpr1
.LBB119_1761:
	s_mov_b32 s13, 0
.LBB119_1762:
	s_delay_alu instid0(SALU_CYCLE_1)
	s_and_b32 vcc_lo, exec_lo, s13
	s_cbranch_vccz .LBB119_1780
; %bb.1763:
	s_cmp_lt_i32 s4, 27
	s_cbranch_scc1 .LBB119_1766
; %bb.1764:
	s_cmp_gt_i32 s4, 27
	s_cbranch_scc0 .LBB119_1767
; %bb.1765:
	global_load_b32 v1, v[22:23], off
	s_mov_b32 s12, 0
	s_wait_loadcnt 0x0
	v_cvt_f32_u32_e32 v1, v1
	s_branch .LBB119_1768
.LBB119_1766:
	s_mov_b32 s12, -1
                                        ; implicit-def: $vgpr1
	s_branch .LBB119_1771
.LBB119_1767:
	s_mov_b32 s12, -1
                                        ; implicit-def: $vgpr1
.LBB119_1768:
	s_delay_alu instid0(SALU_CYCLE_1)
	s_and_not1_b32 vcc_lo, exec_lo, s12
	s_cbranch_vccnz .LBB119_1770
; %bb.1769:
	global_load_u16 v1, v[22:23], off
	s_wait_loadcnt 0x0
	v_cvt_f32_u32_e32 v1, v1
.LBB119_1770:
	s_mov_b32 s12, 0
.LBB119_1771:
	s_delay_alu instid0(SALU_CYCLE_1)
	s_and_not1_b32 vcc_lo, exec_lo, s12
	s_cbranch_vccnz .LBB119_1779
; %bb.1772:
	global_load_u8 v3, v[22:23], off
	s_mov_b32 s12, 0
	s_mov_b32 s13, exec_lo
	s_wait_loadcnt 0x0
	v_cmpx_lt_i16_e32 0x7f, v3
	s_xor_b32 s13, exec_lo, s13
	s_cbranch_execz .LBB119_1792
; %bb.1773:
	s_mov_b32 s12, -1
	s_mov_b32 s14, exec_lo
	v_cmpx_eq_u16_e32 0x80, v3
; %bb.1774:
	s_xor_b32 s12, exec_lo, -1
; %bb.1775:
	s_or_b32 exec_lo, exec_lo, s14
	s_delay_alu instid0(SALU_CYCLE_1)
	s_and_b32 s12, s12, exec_lo
	s_or_saveexec_b32 s13, s13
	v_mov_b32_e32 v1, 0x7f800001
	s_xor_b32 exec_lo, exec_lo, s13
	s_cbranch_execnz .LBB119_1793
.LBB119_1776:
	s_or_b32 exec_lo, exec_lo, s13
	s_and_saveexec_b32 s13, s12
	s_cbranch_execz .LBB119_1778
.LBB119_1777:
	v_and_b32_e32 v1, 0xffff, v3
	s_delay_alu instid0(VALU_DEP_1) | instskip(SKIP_1) | instid1(VALU_DEP_2)
	v_and_b32_e32 v5, 7, v1
	v_bfe_u32 v11, v1, 3, 4
	v_clz_i32_u32_e32 v7, v5
	s_delay_alu instid0(VALU_DEP_2) | instskip(NEXT) | instid1(VALU_DEP_2)
	v_cmp_eq_u32_e32 vcc_lo, 0, v11
	v_min_u32_e32 v7, 32, v7
	s_delay_alu instid0(VALU_DEP_1) | instskip(NEXT) | instid1(VALU_DEP_1)
	v_subrev_nc_u32_e32 v9, 28, v7
	v_dual_lshlrev_b32 v1, v9, v1 :: v_dual_sub_nc_u32 v7, 29, v7
	s_delay_alu instid0(VALU_DEP_1) | instskip(NEXT) | instid1(VALU_DEP_1)
	v_dual_lshlrev_b32 v3, 24, v3 :: v_dual_bitop2_b32 v1, 7, v1 bitop3:0x40
	v_dual_cndmask_b32 v1, v5, v1, vcc_lo :: v_dual_cndmask_b32 v7, v11, v7, vcc_lo
	s_delay_alu instid0(VALU_DEP_2) | instskip(NEXT) | instid1(VALU_DEP_2)
	v_and_b32_e32 v3, 0x80000000, v3
	v_lshlrev_b32_e32 v1, 20, v1
	s_delay_alu instid0(VALU_DEP_3) | instskip(NEXT) | instid1(VALU_DEP_1)
	v_lshl_add_u32 v5, v7, 23, 0x3b800000
	v_or3_b32 v1, v3, v5, v1
.LBB119_1778:
	s_or_b32 exec_lo, exec_lo, s13
.LBB119_1779:
	s_mov_b32 s12, -1
.LBB119_1780:
	s_branch .LBB119_1813
.LBB119_1781:
	s_cmp_gt_i32 s4, 22
	s_cbranch_scc0 .LBB119_1791
; %bb.1782:
	s_cmp_lt_i32 s4, 24
	s_cbranch_scc1 .LBB119_1794
; %bb.1783:
	s_cmp_gt_i32 s4, 24
	s_cbranch_scc0 .LBB119_1795
; %bb.1784:
	global_load_u8 v3, v[22:23], off
	s_mov_b32 s12, exec_lo
	s_wait_loadcnt 0x0
	v_cmpx_lt_i16_e32 0x7f, v3
	s_xor_b32 s12, exec_lo, s12
	s_cbranch_execz .LBB119_1807
; %bb.1785:
	s_mov_b32 s11, -1
	s_mov_b32 s13, exec_lo
	v_cmpx_eq_u16_e32 0x80, v3
; %bb.1786:
	s_xor_b32 s11, exec_lo, -1
; %bb.1787:
	s_or_b32 exec_lo, exec_lo, s13
	s_delay_alu instid0(SALU_CYCLE_1)
	s_and_b32 s11, s11, exec_lo
	s_or_saveexec_b32 s12, s12
	v_mov_b32_e32 v1, 0x7f800001
	s_xor_b32 exec_lo, exec_lo, s12
	s_cbranch_execnz .LBB119_1808
.LBB119_1788:
	s_or_b32 exec_lo, exec_lo, s12
	s_and_saveexec_b32 s12, s11
	s_cbranch_execz .LBB119_1790
.LBB119_1789:
	v_and_b32_e32 v1, 0xffff, v3
	s_delay_alu instid0(VALU_DEP_1) | instskip(SKIP_1) | instid1(VALU_DEP_2)
	v_and_b32_e32 v5, 3, v1
	v_bfe_u32 v11, v1, 2, 5
	v_clz_i32_u32_e32 v7, v5
	s_delay_alu instid0(VALU_DEP_2) | instskip(NEXT) | instid1(VALU_DEP_2)
	v_cmp_eq_u32_e32 vcc_lo, 0, v11
	v_min_u32_e32 v7, 32, v7
	s_delay_alu instid0(VALU_DEP_1) | instskip(NEXT) | instid1(VALU_DEP_1)
	v_subrev_nc_u32_e32 v9, 29, v7
	v_dual_lshlrev_b32 v1, v9, v1 :: v_dual_sub_nc_u32 v7, 30, v7
	s_delay_alu instid0(VALU_DEP_1) | instskip(NEXT) | instid1(VALU_DEP_1)
	v_dual_lshlrev_b32 v3, 24, v3 :: v_dual_bitop2_b32 v1, 3, v1 bitop3:0x40
	v_dual_cndmask_b32 v1, v5, v1, vcc_lo :: v_dual_cndmask_b32 v7, v11, v7, vcc_lo
	s_delay_alu instid0(VALU_DEP_2) | instskip(NEXT) | instid1(VALU_DEP_2)
	v_and_b32_e32 v3, 0x80000000, v3
	v_lshlrev_b32_e32 v1, 21, v1
	s_delay_alu instid0(VALU_DEP_3) | instskip(NEXT) | instid1(VALU_DEP_1)
	v_lshl_add_u32 v5, v7, 23, 0x37800000
	v_or3_b32 v1, v3, v5, v1
.LBB119_1790:
	s_or_b32 exec_lo, exec_lo, s12
	s_mov_b32 s11, 0
	s_branch .LBB119_1796
.LBB119_1791:
	s_mov_b32 s11, -1
                                        ; implicit-def: $vgpr1
	s_branch .LBB119_1802
.LBB119_1792:
	s_or_saveexec_b32 s13, s13
	v_mov_b32_e32 v1, 0x7f800001
	s_xor_b32 exec_lo, exec_lo, s13
	s_cbranch_execz .LBB119_1776
.LBB119_1793:
	v_cmp_ne_u16_e32 vcc_lo, 0, v3
	v_mov_b32_e32 v1, 0
	s_and_not1_b32 s12, s12, exec_lo
	s_and_b32 s14, vcc_lo, exec_lo
	s_delay_alu instid0(SALU_CYCLE_1)
	s_or_b32 s12, s12, s14
	s_or_b32 exec_lo, exec_lo, s13
	s_and_saveexec_b32 s13, s12
	s_cbranch_execnz .LBB119_1777
	s_branch .LBB119_1778
.LBB119_1794:
	s_mov_b32 s11, -1
                                        ; implicit-def: $vgpr1
	s_branch .LBB119_1799
.LBB119_1795:
	s_mov_b32 s11, -1
                                        ; implicit-def: $vgpr1
.LBB119_1796:
	s_delay_alu instid0(SALU_CYCLE_1)
	s_and_b32 vcc_lo, exec_lo, s11
	s_cbranch_vccz .LBB119_1798
; %bb.1797:
	global_load_u8 v1, v[22:23], off
	s_wait_loadcnt 0x0
	v_lshlrev_b32_e32 v1, 24, v1
	s_delay_alu instid0(VALU_DEP_1) | instskip(NEXT) | instid1(VALU_DEP_1)
	v_and_b32_e32 v3, 0x7f000000, v1
	v_clz_i32_u32_e32 v5, v3
	v_add_nc_u32_e32 v9, 0x1000000, v3
	v_cmp_ne_u32_e32 vcc_lo, 0, v3
	s_delay_alu instid0(VALU_DEP_3) | instskip(NEXT) | instid1(VALU_DEP_1)
	v_min_u32_e32 v5, 32, v5
	v_sub_nc_u32_e64 v5, v5, 4 clamp
	s_delay_alu instid0(VALU_DEP_1) | instskip(NEXT) | instid1(VALU_DEP_1)
	v_dual_lshlrev_b32 v7, v5, v3 :: v_dual_lshlrev_b32 v5, 23, v5
	v_lshrrev_b32_e32 v7, 4, v7
	s_delay_alu instid0(VALU_DEP_1) | instskip(SKIP_1) | instid1(VALU_DEP_2)
	v_sub_nc_u32_e32 v5, v7, v5
	v_ashrrev_i32_e32 v7, 8, v9
	v_add_nc_u32_e32 v5, 0x3c000000, v5
	s_delay_alu instid0(VALU_DEP_1) | instskip(NEXT) | instid1(VALU_DEP_1)
	v_and_or_b32 v5, 0x7f800000, v7, v5
	v_cndmask_b32_e32 v3, 0, v5, vcc_lo
	s_delay_alu instid0(VALU_DEP_1)
	v_and_or_b32 v1, 0x80000000, v1, v3
.LBB119_1798:
	s_mov_b32 s11, 0
.LBB119_1799:
	s_delay_alu instid0(SALU_CYCLE_1)
	s_and_not1_b32 vcc_lo, exec_lo, s11
	s_cbranch_vccnz .LBB119_1801
; %bb.1800:
	global_load_u8 v1, v[22:23], off
	s_wait_loadcnt 0x0
	v_lshlrev_b32_e32 v3, 25, v1
	v_lshlrev_b16 v1, 8, v1
	s_delay_alu instid0(VALU_DEP_1) | instskip(SKIP_1) | instid1(VALU_DEP_2)
	v_and_or_b32 v7, 0x7f00, v1, 0.5
	v_bfe_i32 v1, v1, 0, 16
	v_add_f32_e32 v7, -0.5, v7
	v_lshrrev_b32_e32 v5, 4, v3
	v_cmp_gt_u32_e32 vcc_lo, 0x8000000, v3
	s_delay_alu instid0(VALU_DEP_2) | instskip(NEXT) | instid1(VALU_DEP_1)
	v_or_b32_e32 v5, 0x70000000, v5
	v_mul_f32_e32 v5, 0x7800000, v5
	s_delay_alu instid0(VALU_DEP_1) | instskip(NEXT) | instid1(VALU_DEP_1)
	v_cndmask_b32_e32 v3, v5, v7, vcc_lo
	v_and_or_b32 v1, 0x80000000, v1, v3
.LBB119_1801:
	s_mov_b32 s11, 0
	s_mov_b32 s12, -1
.LBB119_1802:
	s_and_not1_b32 vcc_lo, exec_lo, s11
	s_mov_b32 s11, 0
	s_cbranch_vccnz .LBB119_1813
; %bb.1803:
	s_cmp_gt_i32 s4, 14
	s_cbranch_scc0 .LBB119_1806
; %bb.1804:
	s_cmp_eq_u32 s4, 15
	s_cbranch_scc0 .LBB119_1809
; %bb.1805:
	global_load_u16 v1, v[22:23], off
	s_mov_b32 s5, 0
	s_mov_b32 s12, -1
	s_wait_loadcnt 0x0
	v_lshlrev_b32_e32 v1, 16, v1
	s_branch .LBB119_1811
.LBB119_1806:
	s_mov_b32 s11, -1
	s_branch .LBB119_1810
.LBB119_1807:
	s_or_saveexec_b32 s12, s12
	v_mov_b32_e32 v1, 0x7f800001
	s_xor_b32 exec_lo, exec_lo, s12
	s_cbranch_execz .LBB119_1788
.LBB119_1808:
	v_cmp_ne_u16_e32 vcc_lo, 0, v3
	v_mov_b32_e32 v1, 0
	s_and_not1_b32 s11, s11, exec_lo
	s_and_b32 s13, vcc_lo, exec_lo
	s_delay_alu instid0(SALU_CYCLE_1)
	s_or_b32 s11, s11, s13
	s_or_b32 exec_lo, exec_lo, s12
	s_and_saveexec_b32 s12, s11
	s_cbranch_execnz .LBB119_1789
	s_branch .LBB119_1790
.LBB119_1809:
	s_mov_b32 s5, -1
.LBB119_1810:
                                        ; implicit-def: $vgpr1
.LBB119_1811:
	s_and_b32 vcc_lo, exec_lo, s11
	s_mov_b32 s11, 0
	s_cbranch_vccz .LBB119_1813
; %bb.1812:
	s_cmp_lg_u32 s4, 11
	s_mov_b32 s11, -1
	s_cselect_b32 s5, -1, 0
.LBB119_1813:
	s_delay_alu instid0(SALU_CYCLE_1)
	s_and_b32 vcc_lo, exec_lo, s5
	s_cbranch_vccnz .LBB119_1876
; %bb.1814:
	s_and_not1_b32 vcc_lo, exec_lo, s11
	s_cbranch_vccnz .LBB119_1816
.LBB119_1815:
	global_load_u8 v1, v[22:23], off
	s_mov_b32 s12, -1
	s_wait_loadcnt 0x0
	v_cmp_ne_u16_e32 vcc_lo, 0, v1
	v_cndmask_b32_e64 v1, 0, 1.0, vcc_lo
.LBB119_1816:
	s_branch .LBB119_1740
.LBB119_1817:
	s_and_b32 s4, 0xffff, s7
	s_delay_alu instid0(SALU_CYCLE_1)
	s_cmp_lt_i32 s4, 5
	s_cbranch_scc1 .LBB119_1822
; %bb.1818:
	s_cmp_lt_i32 s4, 8
	s_cbranch_scc1 .LBB119_1823
; %bb.1819:
	;; [unrolled: 3-line block ×3, first 2 shown]
	s_cmp_gt_i32 s4, 9
	s_cbranch_scc0 .LBB119_1825
; %bb.1821:
	global_load_b64 v[24:25], v[22:23], off
	s_mov_b32 s5, 0
	s_wait_loadcnt 0x0
	v_cvt_f32_f64_e32 v1, v[24:25]
	s_branch .LBB119_1826
.LBB119_1822:
                                        ; implicit-def: $vgpr1
	s_branch .LBB119_1844
.LBB119_1823:
	s_mov_b32 s5, -1
                                        ; implicit-def: $vgpr1
	s_branch .LBB119_1832
.LBB119_1824:
	s_mov_b32 s5, -1
                                        ; implicit-def: $vgpr1
	s_branch .LBB119_1829
.LBB119_1825:
	s_mov_b32 s5, -1
                                        ; implicit-def: $vgpr1
.LBB119_1826:
	s_delay_alu instid0(SALU_CYCLE_1)
	s_and_not1_b32 vcc_lo, exec_lo, s5
	s_cbranch_vccnz .LBB119_1828
; %bb.1827:
	global_load_b32 v1, v[22:23], off
.LBB119_1828:
	s_mov_b32 s5, 0
.LBB119_1829:
	s_delay_alu instid0(SALU_CYCLE_1)
	s_and_not1_b32 vcc_lo, exec_lo, s5
	s_cbranch_vccnz .LBB119_1831
; %bb.1830:
	s_wait_loadcnt 0x0
	global_load_b32 v1, v[22:23], off
	s_wait_loadcnt 0x0
	v_cvt_f32_f16_e32 v1, v1
.LBB119_1831:
	s_mov_b32 s5, 0
.LBB119_1832:
	s_delay_alu instid0(SALU_CYCLE_1)
	s_and_not1_b32 vcc_lo, exec_lo, s5
	s_cbranch_vccnz .LBB119_1843
; %bb.1833:
	s_cmp_lt_i32 s4, 6
	s_cbranch_scc1 .LBB119_1836
; %bb.1834:
	s_cmp_gt_i32 s4, 6
	s_cbranch_scc0 .LBB119_1837
; %bb.1835:
	global_load_b64 v[24:25], v[22:23], off
	s_mov_b32 s5, 0
	s_wait_loadcnt 0x0
	v_cvt_f32_f64_e32 v1, v[24:25]
	s_branch .LBB119_1838
.LBB119_1836:
	s_mov_b32 s5, -1
                                        ; implicit-def: $vgpr1
	s_branch .LBB119_1841
.LBB119_1837:
	s_mov_b32 s5, -1
                                        ; implicit-def: $vgpr1
.LBB119_1838:
	s_delay_alu instid0(SALU_CYCLE_1)
	s_and_not1_b32 vcc_lo, exec_lo, s5
	s_cbranch_vccnz .LBB119_1840
; %bb.1839:
	s_wait_loadcnt 0x0
	global_load_b32 v1, v[22:23], off
.LBB119_1840:
	s_mov_b32 s5, 0
.LBB119_1841:
	s_delay_alu instid0(SALU_CYCLE_1)
	s_and_not1_b32 vcc_lo, exec_lo, s5
	s_cbranch_vccnz .LBB119_1843
; %bb.1842:
	s_wait_loadcnt 0x0
	global_load_u16 v1, v[22:23], off
	s_wait_loadcnt 0x0
	v_cvt_f32_f16_e32 v1, v1
.LBB119_1843:
	s_cbranch_execnz .LBB119_1863
.LBB119_1844:
	s_cmp_lt_i32 s4, 2
	s_cbranch_scc1 .LBB119_1848
; %bb.1845:
	s_cmp_lt_i32 s4, 3
	s_cbranch_scc1 .LBB119_1849
; %bb.1846:
	s_cmp_gt_i32 s4, 3
	s_cbranch_scc0 .LBB119_1850
; %bb.1847:
	global_load_b64 v[24:25], v[22:23], off
	s_mov_b32 s5, 0
	s_wait_loadcnt 0x0
	v_xor_b32_e32 v1, v24, v25
	v_cls_i32_e32 v3, v25
	s_delay_alu instid0(VALU_DEP_2) | instskip(NEXT) | instid1(VALU_DEP_1)
	v_ashrrev_i32_e32 v1, 31, v1
	v_add_nc_u32_e32 v1, 32, v1
	s_delay_alu instid0(VALU_DEP_1) | instskip(NEXT) | instid1(VALU_DEP_1)
	v_add_min_u32_e64 v1, v3, -1, v1
	v_lshlrev_b64_e32 v[24:25], v1, v[24:25]
	v_sub_nc_u32_e32 v1, 32, v1
	s_delay_alu instid0(VALU_DEP_2) | instskip(NEXT) | instid1(VALU_DEP_1)
	v_min_u32_e32 v3, 1, v24
	v_or_b32_e32 v3, v25, v3
	s_delay_alu instid0(VALU_DEP_1) | instskip(NEXT) | instid1(VALU_DEP_1)
	v_cvt_f32_i32_e32 v3, v3
	v_ldexp_f32 v1, v3, v1
	s_branch .LBB119_1851
.LBB119_1848:
	s_mov_b32 s5, -1
                                        ; implicit-def: $vgpr1
	s_branch .LBB119_1857
.LBB119_1849:
	s_mov_b32 s5, -1
                                        ; implicit-def: $vgpr1
	s_branch .LBB119_1854
.LBB119_1850:
	s_mov_b32 s5, -1
                                        ; implicit-def: $vgpr1
.LBB119_1851:
	s_delay_alu instid0(SALU_CYCLE_1)
	s_and_not1_b32 vcc_lo, exec_lo, s5
	s_cbranch_vccnz .LBB119_1853
; %bb.1852:
	s_wait_loadcnt 0x0
	global_load_b32 v1, v[22:23], off
	s_wait_loadcnt 0x0
	v_cvt_f32_i32_e32 v1, v1
.LBB119_1853:
	s_mov_b32 s5, 0
.LBB119_1854:
	s_delay_alu instid0(SALU_CYCLE_1)
	s_and_not1_b32 vcc_lo, exec_lo, s5
	s_cbranch_vccnz .LBB119_1856
; %bb.1855:
	s_wait_loadcnt 0x0
	global_load_i16 v1, v[22:23], off
	s_wait_loadcnt 0x0
	v_cvt_f32_i32_e32 v1, v1
.LBB119_1856:
	s_mov_b32 s5, 0
.LBB119_1857:
	s_delay_alu instid0(SALU_CYCLE_1)
	s_and_not1_b32 vcc_lo, exec_lo, s5
	s_cbranch_vccnz .LBB119_1863
; %bb.1858:
	s_cmp_gt_i32 s4, 0
	s_mov_b32 s4, 0
	s_cbranch_scc0 .LBB119_1860
; %bb.1859:
	s_wait_loadcnt 0x0
	global_load_i8 v1, v[22:23], off
	s_wait_loadcnt 0x0
	v_cvt_f32_i32_e32 v1, v1
	s_branch .LBB119_1861
.LBB119_1860:
	s_mov_b32 s4, -1
                                        ; implicit-def: $vgpr1
.LBB119_1861:
	s_delay_alu instid0(SALU_CYCLE_1)
	s_and_not1_b32 vcc_lo, exec_lo, s4
	s_cbranch_vccnz .LBB119_1863
; %bb.1862:
	s_wait_loadcnt 0x0
	global_load_u8 v1, v[22:23], off
	s_wait_loadcnt 0x0
	v_cvt_f32_ubyte0_e32 v1, v1
.LBB119_1863:
.LBB119_1864:
	v_mov_b32_e32 v21, 0
	s_load_b64 s[4:5], s[2:3], 0x1e0
	global_load_u8 v3, v21, s[2:3] offset:495
	s_wait_kmcnt 0x0
	v_add_nc_u64_e32 v[20:21], s[4:5], v[20:21]
	s_wait_loadcnt 0x0
	v_and_b32_e32 v5, 0xffff, v3
	v_readfirstlane_b32 s12, v3
	s_delay_alu instid0(VALU_DEP_2)
	v_cmp_gt_i32_e32 vcc_lo, 11, v5
	s_cbranch_vccnz .LBB119_1871
; %bb.1865:
	s_and_b32 s11, 0xffff, s12
	s_mov_b32 s14, 0
	s_cmp_gt_i32 s11, 25
	s_cbranch_scc0 .LBB119_1873
; %bb.1866:
	s_cmp_gt_i32 s11, 28
	s_cbranch_scc0 .LBB119_1874
; %bb.1867:
	;; [unrolled: 3-line block ×4, first 2 shown]
	s_cmp_eq_u32 s11, 46
	s_mov_b32 s16, 0
	s_cbranch_scc0 .LBB119_1878
; %bb.1870:
	global_load_b32 v3, v[20:21], off
	s_mov_b32 s13, 0
	s_mov_b32 s15, -1
	s_wait_loadcnt 0x0
	v_lshlrev_b32_e32 v3, 16, v3
	s_branch .LBB119_1880
.LBB119_1871:
	s_mov_b32 s15, 0
                                        ; implicit-def: $vgpr3
	s_cbranch_execnz .LBB119_1946
.LBB119_1872:
	s_and_not1_b32 vcc_lo, exec_lo, s15
	s_cbranch_vccz .LBB119_1994
	s_branch .LBB119_3280
.LBB119_1873:
	s_mov_b32 s16, -1
	s_mov_b32 s15, 0
	s_mov_b32 s13, 0
                                        ; implicit-def: $vgpr3
	s_branch .LBB119_1909
.LBB119_1874:
	s_mov_b32 s16, -1
	s_mov_b32 s15, 0
	s_mov_b32 s13, 0
                                        ; implicit-def: $vgpr3
	s_branch .LBB119_1890
.LBB119_1875:
	s_mov_b32 s16, -1
	s_mov_b32 s15, 0
	s_mov_b32 s13, 0
                                        ; implicit-def: $vgpr3
	s_branch .LBB119_1885
.LBB119_1876:
	s_or_b32 s10, s10, exec_lo
	s_trap 2
	s_cbranch_execz .LBB119_1815
	s_branch .LBB119_1816
.LBB119_1877:
	s_mov_b32 s16, -1
	s_mov_b32 s15, 0
	s_mov_b32 s13, 0
	s_branch .LBB119_1879
.LBB119_1878:
	s_mov_b32 s13, -1
	s_mov_b32 s15, 0
.LBB119_1879:
                                        ; implicit-def: $vgpr3
.LBB119_1880:
	s_and_b32 vcc_lo, exec_lo, s16
	s_cbranch_vccz .LBB119_1884
; %bb.1881:
	s_cmp_eq_u32 s11, 44
	s_cbranch_scc0 .LBB119_1883
; %bb.1882:
	global_load_u8 v3, v[20:21], off
	s_mov_b32 s13, 0
	s_mov_b32 s15, -1
	s_wait_loadcnt 0x0
	v_lshlrev_b32_e32 v5, 23, v3
	v_cmp_ne_u32_e32 vcc_lo, 0xff, v3
	s_delay_alu instid0(VALU_DEP_2) | instskip(SKIP_1) | instid1(VALU_DEP_2)
	v_cndmask_b32_e32 v5, 0x7f800001, v5, vcc_lo
	v_cmp_ne_u32_e32 vcc_lo, 0, v3
	v_cndmask_b32_e32 v3, 0x400000, v5, vcc_lo
	s_branch .LBB119_1884
.LBB119_1883:
	s_mov_b32 s13, -1
                                        ; implicit-def: $vgpr3
.LBB119_1884:
	s_mov_b32 s16, 0
.LBB119_1885:
	s_delay_alu instid0(SALU_CYCLE_1)
	s_and_b32 vcc_lo, exec_lo, s16
	s_cbranch_vccz .LBB119_1889
; %bb.1886:
	s_cmp_eq_u32 s11, 29
	s_cbranch_scc0 .LBB119_1888
; %bb.1887:
	global_load_b64 v[22:23], v[20:21], off
	s_mov_b32 s13, 0
	s_mov_b32 s15, -1
	s_mov_b32 s16, 0
	s_wait_loadcnt 0x0
	v_clz_i32_u32_e32 v3, v23
	s_delay_alu instid0(VALU_DEP_1) | instskip(NEXT) | instid1(VALU_DEP_1)
	v_min_u32_e32 v3, 32, v3
	v_lshlrev_b64_e32 v[22:23], v3, v[22:23]
	v_sub_nc_u32_e32 v3, 32, v3
	s_delay_alu instid0(VALU_DEP_2) | instskip(NEXT) | instid1(VALU_DEP_1)
	v_min_u32_e32 v5, 1, v22
	v_or_b32_e32 v5, v23, v5
	s_delay_alu instid0(VALU_DEP_1) | instskip(NEXT) | instid1(VALU_DEP_1)
	v_cvt_f32_u32_e32 v5, v5
	v_ldexp_f32 v3, v5, v3
	s_branch .LBB119_1890
.LBB119_1888:
	s_mov_b32 s13, -1
                                        ; implicit-def: $vgpr3
.LBB119_1889:
	s_mov_b32 s16, 0
.LBB119_1890:
	s_delay_alu instid0(SALU_CYCLE_1)
	s_and_b32 vcc_lo, exec_lo, s16
	s_cbranch_vccz .LBB119_1908
; %bb.1891:
	s_cmp_lt_i32 s11, 27
	s_cbranch_scc1 .LBB119_1894
; %bb.1892:
	s_cmp_gt_i32 s11, 27
	s_cbranch_scc0 .LBB119_1895
; %bb.1893:
	global_load_b32 v3, v[20:21], off
	s_mov_b32 s15, 0
	s_wait_loadcnt 0x0
	v_cvt_f32_u32_e32 v3, v3
	s_branch .LBB119_1896
.LBB119_1894:
	s_mov_b32 s15, -1
                                        ; implicit-def: $vgpr3
	s_branch .LBB119_1899
.LBB119_1895:
	s_mov_b32 s15, -1
                                        ; implicit-def: $vgpr3
.LBB119_1896:
	s_delay_alu instid0(SALU_CYCLE_1)
	s_and_not1_b32 vcc_lo, exec_lo, s15
	s_cbranch_vccnz .LBB119_1898
; %bb.1897:
	global_load_u16 v3, v[20:21], off
	s_wait_loadcnt 0x0
	v_cvt_f32_u32_e32 v3, v3
.LBB119_1898:
	s_mov_b32 s15, 0
.LBB119_1899:
	s_delay_alu instid0(SALU_CYCLE_1)
	s_and_not1_b32 vcc_lo, exec_lo, s15
	s_cbranch_vccnz .LBB119_1907
; %bb.1900:
	global_load_u8 v5, v[20:21], off
	s_mov_b32 s15, 0
	s_mov_b32 s16, exec_lo
	s_wait_loadcnt 0x0
	v_cmpx_lt_i16_e32 0x7f, v5
	s_xor_b32 s16, exec_lo, s16
	s_cbranch_execz .LBB119_1921
; %bb.1901:
	s_mov_b32 s15, -1
	s_mov_b32 s17, exec_lo
	v_cmpx_eq_u16_e32 0x80, v5
; %bb.1902:
	s_xor_b32 s15, exec_lo, -1
; %bb.1903:
	s_or_b32 exec_lo, exec_lo, s17
	s_delay_alu instid0(SALU_CYCLE_1)
	s_and_b32 s15, s15, exec_lo
	s_or_saveexec_b32 s16, s16
	v_mov_b32_e32 v3, 0x7f800001
	s_xor_b32 exec_lo, exec_lo, s16
	s_cbranch_execnz .LBB119_1922
.LBB119_1904:
	s_or_b32 exec_lo, exec_lo, s16
	s_and_saveexec_b32 s16, s15
	s_cbranch_execz .LBB119_1906
.LBB119_1905:
	v_and_b32_e32 v3, 0xffff, v5
	s_delay_alu instid0(VALU_DEP_1) | instskip(SKIP_1) | instid1(VALU_DEP_2)
	v_and_b32_e32 v7, 7, v3
	v_bfe_u32 v13, v3, 3, 4
	v_clz_i32_u32_e32 v9, v7
	s_delay_alu instid0(VALU_DEP_2) | instskip(NEXT) | instid1(VALU_DEP_2)
	v_cmp_eq_u32_e32 vcc_lo, 0, v13
	v_min_u32_e32 v9, 32, v9
	s_delay_alu instid0(VALU_DEP_1) | instskip(NEXT) | instid1(VALU_DEP_1)
	v_subrev_nc_u32_e32 v11, 28, v9
	v_dual_lshlrev_b32 v3, v11, v3 :: v_dual_sub_nc_u32 v9, 29, v9
	s_delay_alu instid0(VALU_DEP_1) | instskip(NEXT) | instid1(VALU_DEP_1)
	v_dual_lshlrev_b32 v5, 24, v5 :: v_dual_bitop2_b32 v3, 7, v3 bitop3:0x40
	v_dual_cndmask_b32 v3, v7, v3, vcc_lo :: v_dual_cndmask_b32 v9, v13, v9, vcc_lo
	s_delay_alu instid0(VALU_DEP_2) | instskip(NEXT) | instid1(VALU_DEP_2)
	v_and_b32_e32 v5, 0x80000000, v5
	v_lshlrev_b32_e32 v3, 20, v3
	s_delay_alu instid0(VALU_DEP_3) | instskip(NEXT) | instid1(VALU_DEP_1)
	v_lshl_add_u32 v7, v9, 23, 0x3b800000
	v_or3_b32 v3, v5, v7, v3
.LBB119_1906:
	s_or_b32 exec_lo, exec_lo, s16
.LBB119_1907:
	s_mov_b32 s15, -1
.LBB119_1908:
	s_mov_b32 s16, 0
.LBB119_1909:
	s_delay_alu instid0(SALU_CYCLE_1)
	s_and_b32 vcc_lo, exec_lo, s16
	s_cbranch_vccz .LBB119_1942
; %bb.1910:
	s_cmp_gt_i32 s11, 22
	s_cbranch_scc0 .LBB119_1920
; %bb.1911:
	s_cmp_lt_i32 s11, 24
	s_cbranch_scc1 .LBB119_1923
; %bb.1912:
	s_cmp_gt_i32 s11, 24
	s_cbranch_scc0 .LBB119_1924
; %bb.1913:
	global_load_u8 v5, v[20:21], off
	s_mov_b32 s15, exec_lo
	s_wait_loadcnt 0x0
	v_cmpx_lt_i16_e32 0x7f, v5
	s_xor_b32 s15, exec_lo, s15
	s_cbranch_execz .LBB119_1936
; %bb.1914:
	s_mov_b32 s14, -1
	s_mov_b32 s16, exec_lo
	v_cmpx_eq_u16_e32 0x80, v5
; %bb.1915:
	s_xor_b32 s14, exec_lo, -1
; %bb.1916:
	s_or_b32 exec_lo, exec_lo, s16
	s_delay_alu instid0(SALU_CYCLE_1)
	s_and_b32 s14, s14, exec_lo
	s_or_saveexec_b32 s15, s15
	v_mov_b32_e32 v3, 0x7f800001
	s_xor_b32 exec_lo, exec_lo, s15
	s_cbranch_execnz .LBB119_1937
.LBB119_1917:
	s_or_b32 exec_lo, exec_lo, s15
	s_and_saveexec_b32 s15, s14
	s_cbranch_execz .LBB119_1919
.LBB119_1918:
	v_and_b32_e32 v3, 0xffff, v5
	s_delay_alu instid0(VALU_DEP_1) | instskip(SKIP_1) | instid1(VALU_DEP_2)
	v_and_b32_e32 v7, 3, v3
	v_bfe_u32 v13, v3, 2, 5
	v_clz_i32_u32_e32 v9, v7
	s_delay_alu instid0(VALU_DEP_2) | instskip(NEXT) | instid1(VALU_DEP_2)
	v_cmp_eq_u32_e32 vcc_lo, 0, v13
	v_min_u32_e32 v9, 32, v9
	s_delay_alu instid0(VALU_DEP_1) | instskip(NEXT) | instid1(VALU_DEP_1)
	v_subrev_nc_u32_e32 v11, 29, v9
	v_dual_lshlrev_b32 v3, v11, v3 :: v_dual_sub_nc_u32 v9, 30, v9
	s_delay_alu instid0(VALU_DEP_1) | instskip(NEXT) | instid1(VALU_DEP_1)
	v_dual_lshlrev_b32 v5, 24, v5 :: v_dual_bitop2_b32 v3, 3, v3 bitop3:0x40
	v_dual_cndmask_b32 v3, v7, v3, vcc_lo :: v_dual_cndmask_b32 v9, v13, v9, vcc_lo
	s_delay_alu instid0(VALU_DEP_2) | instskip(NEXT) | instid1(VALU_DEP_2)
	v_and_b32_e32 v5, 0x80000000, v5
	v_lshlrev_b32_e32 v3, 21, v3
	s_delay_alu instid0(VALU_DEP_3) | instskip(NEXT) | instid1(VALU_DEP_1)
	v_lshl_add_u32 v7, v9, 23, 0x37800000
	v_or3_b32 v3, v5, v7, v3
.LBB119_1919:
	s_or_b32 exec_lo, exec_lo, s15
	s_mov_b32 s14, 0
	s_branch .LBB119_1925
.LBB119_1920:
	s_mov_b32 s14, -1
                                        ; implicit-def: $vgpr3
	s_branch .LBB119_1931
.LBB119_1921:
	s_or_saveexec_b32 s16, s16
	v_mov_b32_e32 v3, 0x7f800001
	s_xor_b32 exec_lo, exec_lo, s16
	s_cbranch_execz .LBB119_1904
.LBB119_1922:
	v_cmp_ne_u16_e32 vcc_lo, 0, v5
	v_mov_b32_e32 v3, 0
	s_and_not1_b32 s15, s15, exec_lo
	s_and_b32 s17, vcc_lo, exec_lo
	s_delay_alu instid0(SALU_CYCLE_1)
	s_or_b32 s15, s15, s17
	s_or_b32 exec_lo, exec_lo, s16
	s_and_saveexec_b32 s16, s15
	s_cbranch_execnz .LBB119_1905
	s_branch .LBB119_1906
.LBB119_1923:
	s_mov_b32 s14, -1
                                        ; implicit-def: $vgpr3
	s_branch .LBB119_1928
.LBB119_1924:
	s_mov_b32 s14, -1
                                        ; implicit-def: $vgpr3
.LBB119_1925:
	s_delay_alu instid0(SALU_CYCLE_1)
	s_and_b32 vcc_lo, exec_lo, s14
	s_cbranch_vccz .LBB119_1927
; %bb.1926:
	global_load_u8 v3, v[20:21], off
	s_wait_loadcnt 0x0
	v_lshlrev_b32_e32 v3, 24, v3
	s_delay_alu instid0(VALU_DEP_1) | instskip(NEXT) | instid1(VALU_DEP_1)
	v_and_b32_e32 v5, 0x7f000000, v3
	v_clz_i32_u32_e32 v7, v5
	v_add_nc_u32_e32 v11, 0x1000000, v5
	v_cmp_ne_u32_e32 vcc_lo, 0, v5
	s_delay_alu instid0(VALU_DEP_3) | instskip(NEXT) | instid1(VALU_DEP_1)
	v_min_u32_e32 v7, 32, v7
	v_sub_nc_u32_e64 v7, v7, 4 clamp
	s_delay_alu instid0(VALU_DEP_1) | instskip(NEXT) | instid1(VALU_DEP_1)
	v_dual_lshlrev_b32 v9, v7, v5 :: v_dual_lshlrev_b32 v7, 23, v7
	v_lshrrev_b32_e32 v9, 4, v9
	s_delay_alu instid0(VALU_DEP_1) | instskip(SKIP_1) | instid1(VALU_DEP_2)
	v_sub_nc_u32_e32 v7, v9, v7
	v_ashrrev_i32_e32 v9, 8, v11
	v_add_nc_u32_e32 v7, 0x3c000000, v7
	s_delay_alu instid0(VALU_DEP_1) | instskip(NEXT) | instid1(VALU_DEP_1)
	v_and_or_b32 v7, 0x7f800000, v9, v7
	v_cndmask_b32_e32 v5, 0, v7, vcc_lo
	s_delay_alu instid0(VALU_DEP_1)
	v_and_or_b32 v3, 0x80000000, v3, v5
.LBB119_1927:
	s_mov_b32 s14, 0
.LBB119_1928:
	s_delay_alu instid0(SALU_CYCLE_1)
	s_and_not1_b32 vcc_lo, exec_lo, s14
	s_cbranch_vccnz .LBB119_1930
; %bb.1929:
	global_load_u8 v3, v[20:21], off
	s_wait_loadcnt 0x0
	v_lshlrev_b32_e32 v5, 25, v3
	v_lshlrev_b16 v3, 8, v3
	s_delay_alu instid0(VALU_DEP_1) | instskip(SKIP_1) | instid1(VALU_DEP_2)
	v_and_or_b32 v9, 0x7f00, v3, 0.5
	v_bfe_i32 v3, v3, 0, 16
	v_add_f32_e32 v9, -0.5, v9
	v_lshrrev_b32_e32 v7, 4, v5
	v_cmp_gt_u32_e32 vcc_lo, 0x8000000, v5
	s_delay_alu instid0(VALU_DEP_2) | instskip(NEXT) | instid1(VALU_DEP_1)
	v_or_b32_e32 v7, 0x70000000, v7
	v_mul_f32_e32 v7, 0x7800000, v7
	s_delay_alu instid0(VALU_DEP_1) | instskip(NEXT) | instid1(VALU_DEP_1)
	v_cndmask_b32_e32 v5, v7, v9, vcc_lo
	v_and_or_b32 v3, 0x80000000, v3, v5
.LBB119_1930:
	s_mov_b32 s14, 0
	s_mov_b32 s15, -1
.LBB119_1931:
	s_and_not1_b32 vcc_lo, exec_lo, s14
	s_mov_b32 s14, 0
	s_cbranch_vccnz .LBB119_1942
; %bb.1932:
	s_cmp_gt_i32 s11, 14
	s_cbranch_scc0 .LBB119_1935
; %bb.1933:
	s_cmp_eq_u32 s11, 15
	s_cbranch_scc0 .LBB119_1938
; %bb.1934:
	global_load_u16 v3, v[20:21], off
	s_mov_b32 s13, 0
	s_mov_b32 s15, -1
	s_wait_loadcnt 0x0
	v_lshlrev_b32_e32 v3, 16, v3
	s_branch .LBB119_1940
.LBB119_1935:
	s_mov_b32 s14, -1
	s_branch .LBB119_1939
.LBB119_1936:
	s_or_saveexec_b32 s15, s15
	v_mov_b32_e32 v3, 0x7f800001
	s_xor_b32 exec_lo, exec_lo, s15
	s_cbranch_execz .LBB119_1917
.LBB119_1937:
	v_cmp_ne_u16_e32 vcc_lo, 0, v5
	v_mov_b32_e32 v3, 0
	s_and_not1_b32 s14, s14, exec_lo
	s_and_b32 s16, vcc_lo, exec_lo
	s_delay_alu instid0(SALU_CYCLE_1)
	s_or_b32 s14, s14, s16
	s_or_b32 exec_lo, exec_lo, s15
	s_and_saveexec_b32 s15, s14
	s_cbranch_execnz .LBB119_1918
	s_branch .LBB119_1919
.LBB119_1938:
	s_mov_b32 s13, -1
.LBB119_1939:
                                        ; implicit-def: $vgpr3
.LBB119_1940:
	s_and_b32 vcc_lo, exec_lo, s14
	s_mov_b32 s14, 0
	s_cbranch_vccz .LBB119_1942
; %bb.1941:
	s_cmp_lg_u32 s11, 11
	s_mov_b32 s14, -1
	s_cselect_b32 s13, -1, 0
.LBB119_1942:
	s_delay_alu instid0(SALU_CYCLE_1)
	s_and_b32 vcc_lo, exec_lo, s13
	s_cbranch_vccnz .LBB119_2024
; %bb.1943:
	s_and_not1_b32 vcc_lo, exec_lo, s14
	s_cbranch_vccnz .LBB119_1945
.LBB119_1944:
	global_load_u8 v3, v[20:21], off
	s_mov_b32 s15, -1
	s_wait_loadcnt 0x0
	v_cmp_ne_u16_e32 vcc_lo, 0, v3
	v_cndmask_b32_e64 v3, 0, 1.0, vcc_lo
.LBB119_1945:
	s_branch .LBB119_1872
.LBB119_1946:
	s_and_b32 s11, 0xffff, s12
	s_delay_alu instid0(SALU_CYCLE_1)
	s_cmp_lt_i32 s11, 5
	s_cbranch_scc1 .LBB119_1951
; %bb.1947:
	s_cmp_lt_i32 s11, 8
	s_cbranch_scc1 .LBB119_1952
; %bb.1948:
	s_cmp_lt_i32 s11, 9
	s_cbranch_scc1 .LBB119_1953
; %bb.1949:
	s_cmp_gt_i32 s11, 9
	s_cbranch_scc0 .LBB119_1954
; %bb.1950:
	global_load_b64 v[22:23], v[20:21], off
	s_mov_b32 s13, 0
	s_wait_loadcnt 0x0
	v_cvt_f32_f64_e32 v3, v[22:23]
	s_branch .LBB119_1955
.LBB119_1951:
	s_mov_b32 s13, -1
                                        ; implicit-def: $vgpr3
	s_branch .LBB119_1973
.LBB119_1952:
	s_mov_b32 s13, -1
                                        ; implicit-def: $vgpr3
	s_branch .LBB119_1961
.LBB119_1953:
	s_mov_b32 s13, -1
                                        ; implicit-def: $vgpr3
	s_branch .LBB119_1958
.LBB119_1954:
	s_mov_b32 s13, -1
                                        ; implicit-def: $vgpr3
.LBB119_1955:
	s_delay_alu instid0(SALU_CYCLE_1)
	s_and_not1_b32 vcc_lo, exec_lo, s13
	s_cbranch_vccnz .LBB119_1957
; %bb.1956:
	global_load_b32 v3, v[20:21], off
.LBB119_1957:
	s_mov_b32 s13, 0
.LBB119_1958:
	s_delay_alu instid0(SALU_CYCLE_1)
	s_and_not1_b32 vcc_lo, exec_lo, s13
	s_cbranch_vccnz .LBB119_1960
; %bb.1959:
	s_wait_loadcnt 0x0
	global_load_b32 v3, v[20:21], off
	s_wait_loadcnt 0x0
	v_cvt_f32_f16_e32 v3, v3
.LBB119_1960:
	s_mov_b32 s13, 0
.LBB119_1961:
	s_delay_alu instid0(SALU_CYCLE_1)
	s_and_not1_b32 vcc_lo, exec_lo, s13
	s_cbranch_vccnz .LBB119_1972
; %bb.1962:
	s_cmp_lt_i32 s11, 6
	s_cbranch_scc1 .LBB119_1965
; %bb.1963:
	s_cmp_gt_i32 s11, 6
	s_cbranch_scc0 .LBB119_1966
; %bb.1964:
	global_load_b64 v[22:23], v[20:21], off
	s_mov_b32 s13, 0
	s_wait_loadcnt 0x0
	v_cvt_f32_f64_e32 v3, v[22:23]
	s_branch .LBB119_1967
.LBB119_1965:
	s_mov_b32 s13, -1
                                        ; implicit-def: $vgpr3
	s_branch .LBB119_1970
.LBB119_1966:
	s_mov_b32 s13, -1
                                        ; implicit-def: $vgpr3
.LBB119_1967:
	s_delay_alu instid0(SALU_CYCLE_1)
	s_and_not1_b32 vcc_lo, exec_lo, s13
	s_cbranch_vccnz .LBB119_1969
; %bb.1968:
	s_wait_loadcnt 0x0
	global_load_b32 v3, v[20:21], off
.LBB119_1969:
	s_mov_b32 s13, 0
.LBB119_1970:
	s_delay_alu instid0(SALU_CYCLE_1)
	s_and_not1_b32 vcc_lo, exec_lo, s13
	s_cbranch_vccnz .LBB119_1972
; %bb.1971:
	s_wait_loadcnt 0x0
	global_load_u16 v3, v[20:21], off
	s_wait_loadcnt 0x0
	v_cvt_f32_f16_e32 v3, v3
.LBB119_1972:
	s_mov_b32 s13, 0
.LBB119_1973:
	s_delay_alu instid0(SALU_CYCLE_1)
	s_and_not1_b32 vcc_lo, exec_lo, s13
	s_cbranch_vccnz .LBB119_1993
; %bb.1974:
	s_cmp_lt_i32 s11, 2
	s_cbranch_scc1 .LBB119_1978
; %bb.1975:
	s_cmp_lt_i32 s11, 3
	s_cbranch_scc1 .LBB119_1979
; %bb.1976:
	s_cmp_gt_i32 s11, 3
	s_cbranch_scc0 .LBB119_1980
; %bb.1977:
	global_load_b64 v[22:23], v[20:21], off
	s_mov_b32 s13, 0
	s_wait_loadcnt 0x0
	v_xor_b32_e32 v3, v22, v23
	v_cls_i32_e32 v5, v23
	s_delay_alu instid0(VALU_DEP_2) | instskip(NEXT) | instid1(VALU_DEP_1)
	v_ashrrev_i32_e32 v3, 31, v3
	v_add_nc_u32_e32 v3, 32, v3
	s_delay_alu instid0(VALU_DEP_1) | instskip(NEXT) | instid1(VALU_DEP_1)
	v_add_min_u32_e64 v3, v5, -1, v3
	v_lshlrev_b64_e32 v[22:23], v3, v[22:23]
	v_sub_nc_u32_e32 v3, 32, v3
	s_delay_alu instid0(VALU_DEP_2) | instskip(NEXT) | instid1(VALU_DEP_1)
	v_min_u32_e32 v5, 1, v22
	v_or_b32_e32 v5, v23, v5
	s_delay_alu instid0(VALU_DEP_1) | instskip(NEXT) | instid1(VALU_DEP_1)
	v_cvt_f32_i32_e32 v5, v5
	v_ldexp_f32 v3, v5, v3
	s_branch .LBB119_1981
.LBB119_1978:
	s_mov_b32 s13, -1
                                        ; implicit-def: $vgpr3
	s_branch .LBB119_1987
.LBB119_1979:
	s_mov_b32 s13, -1
                                        ; implicit-def: $vgpr3
	s_branch .LBB119_1984
.LBB119_1980:
	s_mov_b32 s13, -1
                                        ; implicit-def: $vgpr3
.LBB119_1981:
	s_delay_alu instid0(SALU_CYCLE_1)
	s_and_not1_b32 vcc_lo, exec_lo, s13
	s_cbranch_vccnz .LBB119_1983
; %bb.1982:
	s_wait_loadcnt 0x0
	global_load_b32 v3, v[20:21], off
	s_wait_loadcnt 0x0
	v_cvt_f32_i32_e32 v3, v3
.LBB119_1983:
	s_mov_b32 s13, 0
.LBB119_1984:
	s_delay_alu instid0(SALU_CYCLE_1)
	s_and_not1_b32 vcc_lo, exec_lo, s13
	s_cbranch_vccnz .LBB119_1986
; %bb.1985:
	s_wait_loadcnt 0x0
	global_load_i16 v3, v[20:21], off
	s_wait_loadcnt 0x0
	v_cvt_f32_i32_e32 v3, v3
.LBB119_1986:
	s_mov_b32 s13, 0
.LBB119_1987:
	s_delay_alu instid0(SALU_CYCLE_1)
	s_and_not1_b32 vcc_lo, exec_lo, s13
	s_cbranch_vccnz .LBB119_1993
; %bb.1988:
	s_cmp_gt_i32 s11, 0
	s_mov_b32 s11, 0
	s_cbranch_scc0 .LBB119_1990
; %bb.1989:
	s_wait_loadcnt 0x0
	global_load_i8 v3, v[20:21], off
	s_wait_loadcnt 0x0
	v_cvt_f32_i32_e32 v3, v3
	s_branch .LBB119_1991
.LBB119_1990:
	s_mov_b32 s11, -1
                                        ; implicit-def: $vgpr3
.LBB119_1991:
	s_delay_alu instid0(SALU_CYCLE_1)
	s_and_not1_b32 vcc_lo, exec_lo, s11
	s_cbranch_vccnz .LBB119_1993
; %bb.1992:
	s_wait_loadcnt 0x0
	global_load_u8 v3, v[20:21], off
	s_wait_loadcnt 0x0
	v_cvt_f32_ubyte0_e32 v3, v3
.LBB119_1993:
.LBB119_1994:
	s_and_b32 s11, 0xffff, s6
	s_delay_alu instid0(SALU_CYCLE_1)
	s_cmp_lt_i32 s11, 23
	s_cbranch_scc1 .LBB119_1998
; %bb.1995:
	s_cmp_gt_i32 s11, 43
	s_cbranch_scc0 .LBB119_1999
; %bb.1996:
	s_cmp_gt_i32 s11, 45
	s_cbranch_scc0 .LBB119_2000
; %bb.1997:
	s_cmp_lg_u32 s11, 46
	s_mov_b32 s14, 0
	s_mov_b32 s6, -1
	s_cselect_b32 s13, -1, 0
	s_branch .LBB119_2001
.LBB119_1998:
	s_mov_b32 s14, -1
	s_mov_b32 s6, 0
	s_mov_b32 s13, 0
	s_branch .LBB119_2007
.LBB119_1999:
	s_mov_b32 s14, -1
	s_mov_b32 s6, 0
	s_mov_b32 s13, 0
	s_branch .LBB119_2004
.LBB119_2000:
	s_mov_b32 s14, -1
	s_mov_b32 s6, 0
	s_mov_b32 s13, 0
.LBB119_2001:
	s_and_not1_b32 vcc_lo, exec_lo, s14
	s_cbranch_vccnz .LBB119_2003
; %bb.2002:
	s_cmp_eq_u32 s11, 44
	s_cselect_b32 s6, -1, 0
	s_cmp_lg_u32 s11, 44
	s_cselect_b32 s13, -1, 0
.LBB119_2003:
	s_mov_b32 s14, 0
.LBB119_2004:
	s_delay_alu instid0(SALU_CYCLE_1)
	s_and_b32 vcc_lo, exec_lo, s14
	s_cbranch_vccz .LBB119_2006
; %bb.2005:
	s_cmp_lt_i32 s11, 30
	s_cselect_b32 s6, -1, 0
	s_cmp_gt_i32 s11, 29
	s_cselect_b32 s13, -1, 0
.LBB119_2006:
	s_mov_b32 s14, 0
.LBB119_2007:
	s_delay_alu instid0(SALU_CYCLE_1)
	s_and_b32 vcc_lo, exec_lo, s14
	s_cbranch_vccz .LBB119_2012
; %bb.2008:
	s_cmp_gt_i32 s11, 14
	s_mov_b32 s14, -1
	s_cbranch_scc0 .LBB119_2010
; %bb.2009:
	s_cmp_eq_u32 s11, 15
	s_mov_b32 s14, 0
	s_cselect_b32 s6, -1, 0
	s_cmp_lg_u32 s11, 15
	s_cselect_b32 s13, -1, 0
.LBB119_2010:
	s_and_not1_b32 vcc_lo, exec_lo, s14
	s_cbranch_vccnz .LBB119_2012
; %bb.2011:
	s_cmp_lt_i32 s11, 12
	s_cselect_b32 s6, -1, 0
	s_cmp_gt_i32 s11, 11
	s_cselect_b32 s13, -1, 0
.LBB119_2012:
	s_delay_alu instid0(SALU_CYCLE_1)
	s_and_b32 vcc_lo, exec_lo, s13
	s_cbranch_vccnz .LBB119_2025
; %bb.2013:
	s_and_not1_b32 vcc_lo, exec_lo, s6
	s_cbranch_vccnz .LBB119_3280
.LBB119_2014:
	v_mov_b32_e32 v19, 0
	s_and_b32 s6, 0xffff, s7
	s_delay_alu instid0(SALU_CYCLE_1) | instskip(NEXT) | instid1(VALU_DEP_1)
	s_cmp_lt_i32 s6, 11
	v_add_nc_u64_e32 v[18:19], s[0:1], v[18:19]
	s_cbranch_scc1 .LBB119_2021
; %bb.2015:
	s_cmp_gt_i32 s6, 25
	s_mov_b32 s13, 0
	s_cbranch_scc0 .LBB119_2022
; %bb.2016:
	s_cmp_gt_i32 s6, 28
	s_cbranch_scc0 .LBB119_2023
; %bb.2017:
	s_cmp_gt_i32 s6, 43
	;; [unrolled: 3-line block ×3, first 2 shown]
	s_cbranch_scc0 .LBB119_2027
; %bb.2019:
	s_cmp_eq_u32 s6, 46
	s_mov_b32 s15, 0
	s_cbranch_scc0 .LBB119_2028
; %bb.2020:
	global_load_b32 v5, v[18:19], off
	s_mov_b32 s7, 0
	s_mov_b32 s14, -1
	s_wait_loadcnt 0x0
	s_wait_xcnt 0x1
	v_lshlrev_b32_e32 v20, 16, v5
	s_branch .LBB119_2030
.LBB119_2021:
	s_mov_b32 s7, -1
	s_mov_b32 s14, 0
                                        ; implicit-def: $vgpr20
	s_branch .LBB119_2096
.LBB119_2022:
	s_mov_b32 s15, -1
	s_mov_b32 s14, 0
	s_mov_b32 s7, 0
                                        ; implicit-def: $vgpr20
	s_branch .LBB119_2059
.LBB119_2023:
	s_mov_b32 s15, -1
	s_mov_b32 s14, 0
	s_mov_b32 s7, 0
                                        ; implicit-def: $vgpr20
	s_branch .LBB119_2040
.LBB119_2024:
	s_or_b32 s10, s10, exec_lo
	s_trap 2
	s_cbranch_execz .LBB119_1944
	s_branch .LBB119_1945
.LBB119_2025:
	s_or_b32 s10, s10, exec_lo
	s_trap 2
	s_cbranch_execz .LBB119_2014
	s_branch .LBB119_3280
.LBB119_2026:
	s_mov_b32 s15, -1
	s_mov_b32 s14, 0
	s_mov_b32 s7, 0
                                        ; implicit-def: $vgpr20
	s_branch .LBB119_2035
.LBB119_2027:
	s_mov_b32 s15, -1
	s_mov_b32 s14, 0
	s_mov_b32 s7, 0
	s_branch .LBB119_2029
.LBB119_2028:
	s_mov_b32 s7, -1
	s_mov_b32 s14, 0
.LBB119_2029:
                                        ; implicit-def: $vgpr20
.LBB119_2030:
	s_and_b32 vcc_lo, exec_lo, s15
	s_cbranch_vccz .LBB119_2034
; %bb.2031:
	s_cmp_eq_u32 s6, 44
	s_cbranch_scc0 .LBB119_2033
; %bb.2032:
	global_load_u8 v5, v[18:19], off
	s_mov_b32 s7, 0
	s_mov_b32 s14, -1
	s_wait_loadcnt 0x0
	v_lshlrev_b32_e32 v7, 23, v5
	v_cmp_ne_u32_e32 vcc_lo, 0xff, v5
	s_delay_alu instid0(VALU_DEP_2) | instskip(SKIP_2) | instid1(VALU_DEP_2)
	v_cndmask_b32_e32 v7, 0x7f800001, v7, vcc_lo
	v_cmp_ne_u32_e32 vcc_lo, 0, v5
	s_wait_xcnt 0x1
	v_cndmask_b32_e32 v20, 0x400000, v7, vcc_lo
	s_branch .LBB119_2034
.LBB119_2033:
	s_mov_b32 s7, -1
                                        ; implicit-def: $vgpr20
.LBB119_2034:
	s_mov_b32 s15, 0
.LBB119_2035:
	s_delay_alu instid0(SALU_CYCLE_1)
	s_and_b32 vcc_lo, exec_lo, s15
	s_cbranch_vccz .LBB119_2039
; %bb.2036:
	s_cmp_eq_u32 s6, 29
	s_cbranch_scc0 .LBB119_2038
; %bb.2037:
	global_load_b64 v[20:21], v[18:19], off
	s_mov_b32 s7, 0
	s_mov_b32 s14, -1
	s_mov_b32 s15, 0
	s_wait_loadcnt 0x0
	v_clz_i32_u32_e32 v5, v21
	s_delay_alu instid0(VALU_DEP_1) | instskip(NEXT) | instid1(VALU_DEP_1)
	v_min_u32_e32 v5, 32, v5
	v_lshlrev_b64_e32 v[20:21], v5, v[20:21]
	v_sub_nc_u32_e32 v5, 32, v5
	s_delay_alu instid0(VALU_DEP_2) | instskip(NEXT) | instid1(VALU_DEP_1)
	v_min_u32_e32 v7, 1, v20
	v_or_b32_e32 v7, v21, v7
	s_delay_alu instid0(VALU_DEP_1) | instskip(NEXT) | instid1(VALU_DEP_1)
	v_cvt_f32_u32_e32 v7, v7
	v_ldexp_f32 v20, v7, v5
	s_branch .LBB119_2040
.LBB119_2038:
	s_mov_b32 s7, -1
                                        ; implicit-def: $vgpr20
.LBB119_2039:
	s_mov_b32 s15, 0
.LBB119_2040:
	s_delay_alu instid0(SALU_CYCLE_1)
	s_and_b32 vcc_lo, exec_lo, s15
	s_cbranch_vccz .LBB119_2058
; %bb.2041:
	s_cmp_lt_i32 s6, 27
	s_cbranch_scc1 .LBB119_2044
; %bb.2042:
	s_cmp_gt_i32 s6, 27
	s_cbranch_scc0 .LBB119_2045
; %bb.2043:
	global_load_b32 v5, v[18:19], off
	s_mov_b32 s14, 0
	s_wait_loadcnt 0x0
	s_wait_xcnt 0x1
	v_cvt_f32_u32_e32 v20, v5
	s_branch .LBB119_2046
.LBB119_2044:
	s_mov_b32 s14, -1
                                        ; implicit-def: $vgpr20
	s_branch .LBB119_2049
.LBB119_2045:
	s_mov_b32 s14, -1
                                        ; implicit-def: $vgpr20
.LBB119_2046:
	s_delay_alu instid0(SALU_CYCLE_1)
	s_and_not1_b32 vcc_lo, exec_lo, s14
	s_cbranch_vccnz .LBB119_2048
; %bb.2047:
	global_load_u16 v5, v[18:19], off
	s_wait_loadcnt 0x0
	s_wait_xcnt 0x1
	v_cvt_f32_u32_e32 v20, v5
.LBB119_2048:
	s_mov_b32 s14, 0
.LBB119_2049:
	s_delay_alu instid0(SALU_CYCLE_1)
	s_and_not1_b32 vcc_lo, exec_lo, s14
	s_cbranch_vccnz .LBB119_2057
; %bb.2050:
	global_load_u8 v5, v[18:19], off
	s_mov_b32 s14, 0
	s_mov_b32 s15, exec_lo
	s_wait_loadcnt 0x0
	v_cmpx_lt_i16_e32 0x7f, v5
	s_xor_b32 s15, exec_lo, s15
	s_cbranch_execz .LBB119_2071
; %bb.2051:
	s_mov_b32 s14, -1
	s_mov_b32 s16, exec_lo
	v_cmpx_eq_u16_e32 0x80, v5
; %bb.2052:
	s_xor_b32 s14, exec_lo, -1
; %bb.2053:
	s_or_b32 exec_lo, exec_lo, s16
	s_delay_alu instid0(SALU_CYCLE_1)
	s_and_b32 s14, s14, exec_lo
	s_or_saveexec_b32 s15, s15
	v_mov_b32_e32 v20, 0x7f800001
	s_xor_b32 exec_lo, exec_lo, s15
	s_cbranch_execnz .LBB119_2072
.LBB119_2054:
	s_or_b32 exec_lo, exec_lo, s15
	s_and_saveexec_b32 s15, s14
	s_cbranch_execz .LBB119_2056
.LBB119_2055:
	v_and_b32_e32 v7, 0xffff, v5
	s_delay_alu instid0(VALU_DEP_1) | instskip(SKIP_1) | instid1(VALU_DEP_2)
	v_dual_lshlrev_b32 v5, 24, v5 :: v_dual_bitop2_b32 v9, 7, v7 bitop3:0x40
	v_bfe_u32 v15, v7, 3, 4
	v_and_b32_e32 v5, 0x80000000, v5
	s_delay_alu instid0(VALU_DEP_3) | instskip(NEXT) | instid1(VALU_DEP_3)
	v_clz_i32_u32_e32 v11, v9
	v_cmp_eq_u32_e32 vcc_lo, 0, v15
	s_delay_alu instid0(VALU_DEP_2) | instskip(NEXT) | instid1(VALU_DEP_1)
	v_min_u32_e32 v11, 32, v11
	v_subrev_nc_u32_e32 v13, 28, v11
	v_sub_nc_u32_e32 v11, 29, v11
	s_delay_alu instid0(VALU_DEP_2) | instskip(NEXT) | instid1(VALU_DEP_2)
	v_lshlrev_b32_e32 v7, v13, v7
	v_cndmask_b32_e32 v11, v15, v11, vcc_lo
	s_delay_alu instid0(VALU_DEP_2) | instskip(NEXT) | instid1(VALU_DEP_1)
	v_and_b32_e32 v7, 7, v7
	v_cndmask_b32_e32 v7, v9, v7, vcc_lo
	s_delay_alu instid0(VALU_DEP_3) | instskip(NEXT) | instid1(VALU_DEP_2)
	v_lshl_add_u32 v9, v11, 23, 0x3b800000
	v_lshlrev_b32_e32 v7, 20, v7
	s_delay_alu instid0(VALU_DEP_1)
	v_or3_b32 v20, v5, v9, v7
.LBB119_2056:
	s_or_b32 exec_lo, exec_lo, s15
.LBB119_2057:
	s_mov_b32 s14, -1
.LBB119_2058:
	s_mov_b32 s15, 0
.LBB119_2059:
	s_delay_alu instid0(SALU_CYCLE_1)
	s_and_b32 vcc_lo, exec_lo, s15
	s_cbranch_vccz .LBB119_2092
; %bb.2060:
	s_cmp_gt_i32 s6, 22
	s_cbranch_scc0 .LBB119_2070
; %bb.2061:
	s_cmp_lt_i32 s6, 24
	s_cbranch_scc1 .LBB119_2073
; %bb.2062:
	s_cmp_gt_i32 s6, 24
	s_cbranch_scc0 .LBB119_2074
; %bb.2063:
	global_load_u8 v5, v[18:19], off
	s_mov_b32 s14, exec_lo
	s_wait_loadcnt 0x0
	v_cmpx_lt_i16_e32 0x7f, v5
	s_xor_b32 s14, exec_lo, s14
	s_cbranch_execz .LBB119_2086
; %bb.2064:
	s_mov_b32 s13, -1
	s_mov_b32 s15, exec_lo
	v_cmpx_eq_u16_e32 0x80, v5
; %bb.2065:
	s_xor_b32 s13, exec_lo, -1
; %bb.2066:
	s_or_b32 exec_lo, exec_lo, s15
	s_delay_alu instid0(SALU_CYCLE_1)
	s_and_b32 s13, s13, exec_lo
	s_or_saveexec_b32 s14, s14
	v_mov_b32_e32 v20, 0x7f800001
	s_xor_b32 exec_lo, exec_lo, s14
	s_cbranch_execnz .LBB119_2087
.LBB119_2067:
	s_or_b32 exec_lo, exec_lo, s14
	s_and_saveexec_b32 s14, s13
	s_cbranch_execz .LBB119_2069
.LBB119_2068:
	v_and_b32_e32 v7, 0xffff, v5
	s_delay_alu instid0(VALU_DEP_1) | instskip(SKIP_1) | instid1(VALU_DEP_2)
	v_dual_lshlrev_b32 v5, 24, v5 :: v_dual_bitop2_b32 v9, 3, v7 bitop3:0x40
	v_bfe_u32 v15, v7, 2, 5
	v_and_b32_e32 v5, 0x80000000, v5
	s_delay_alu instid0(VALU_DEP_3) | instskip(NEXT) | instid1(VALU_DEP_3)
	v_clz_i32_u32_e32 v11, v9
	v_cmp_eq_u32_e32 vcc_lo, 0, v15
	s_delay_alu instid0(VALU_DEP_2) | instskip(NEXT) | instid1(VALU_DEP_1)
	v_min_u32_e32 v11, 32, v11
	v_subrev_nc_u32_e32 v13, 29, v11
	v_sub_nc_u32_e32 v11, 30, v11
	s_delay_alu instid0(VALU_DEP_2) | instskip(NEXT) | instid1(VALU_DEP_2)
	v_lshlrev_b32_e32 v7, v13, v7
	v_cndmask_b32_e32 v11, v15, v11, vcc_lo
	s_delay_alu instid0(VALU_DEP_2) | instskip(NEXT) | instid1(VALU_DEP_1)
	v_and_b32_e32 v7, 3, v7
	v_cndmask_b32_e32 v7, v9, v7, vcc_lo
	s_delay_alu instid0(VALU_DEP_3) | instskip(NEXT) | instid1(VALU_DEP_2)
	v_lshl_add_u32 v9, v11, 23, 0x37800000
	v_lshlrev_b32_e32 v7, 21, v7
	s_delay_alu instid0(VALU_DEP_1)
	v_or3_b32 v20, v5, v9, v7
.LBB119_2069:
	s_or_b32 exec_lo, exec_lo, s14
	s_mov_b32 s13, 0
	s_branch .LBB119_2075
.LBB119_2070:
	s_mov_b32 s13, -1
                                        ; implicit-def: $vgpr20
	s_branch .LBB119_2081
.LBB119_2071:
	s_or_saveexec_b32 s15, s15
	v_mov_b32_e32 v20, 0x7f800001
	s_xor_b32 exec_lo, exec_lo, s15
	s_cbranch_execz .LBB119_2054
.LBB119_2072:
	v_cmp_ne_u16_e32 vcc_lo, 0, v5
	v_mov_b32_e32 v20, 0
	s_and_not1_b32 s14, s14, exec_lo
	s_and_b32 s16, vcc_lo, exec_lo
	s_delay_alu instid0(SALU_CYCLE_1)
	s_or_b32 s14, s14, s16
	s_or_b32 exec_lo, exec_lo, s15
	s_and_saveexec_b32 s15, s14
	s_cbranch_execnz .LBB119_2055
	s_branch .LBB119_2056
.LBB119_2073:
	s_mov_b32 s13, -1
                                        ; implicit-def: $vgpr20
	s_branch .LBB119_2078
.LBB119_2074:
	s_mov_b32 s13, -1
                                        ; implicit-def: $vgpr20
.LBB119_2075:
	s_delay_alu instid0(SALU_CYCLE_1)
	s_and_b32 vcc_lo, exec_lo, s13
	s_cbranch_vccz .LBB119_2077
; %bb.2076:
	global_load_u8 v5, v[18:19], off
	s_wait_loadcnt 0x0
	v_lshlrev_b32_e32 v5, 24, v5
	s_delay_alu instid0(VALU_DEP_1) | instskip(NEXT) | instid1(VALU_DEP_1)
	v_and_b32_e32 v7, 0x7f000000, v5
	v_clz_i32_u32_e32 v9, v7
	v_add_nc_u32_e32 v13, 0x1000000, v7
	v_cmp_ne_u32_e32 vcc_lo, 0, v7
	s_delay_alu instid0(VALU_DEP_3) | instskip(NEXT) | instid1(VALU_DEP_1)
	v_min_u32_e32 v9, 32, v9
	v_sub_nc_u32_e64 v9, v9, 4 clamp
	s_delay_alu instid0(VALU_DEP_1) | instskip(NEXT) | instid1(VALU_DEP_1)
	v_dual_lshlrev_b32 v11, v9, v7 :: v_dual_lshlrev_b32 v9, 23, v9
	v_lshrrev_b32_e32 v11, 4, v11
	s_delay_alu instid0(VALU_DEP_1) | instskip(SKIP_1) | instid1(VALU_DEP_2)
	v_sub_nc_u32_e32 v9, v11, v9
	v_ashrrev_i32_e32 v11, 8, v13
	v_add_nc_u32_e32 v9, 0x3c000000, v9
	s_delay_alu instid0(VALU_DEP_1) | instskip(NEXT) | instid1(VALU_DEP_1)
	v_and_or_b32 v9, 0x7f800000, v11, v9
	v_cndmask_b32_e32 v7, 0, v9, vcc_lo
	s_wait_xcnt 0x1
	s_delay_alu instid0(VALU_DEP_1)
	v_and_or_b32 v20, 0x80000000, v5, v7
.LBB119_2077:
	s_mov_b32 s13, 0
.LBB119_2078:
	s_delay_alu instid0(SALU_CYCLE_1)
	s_and_not1_b32 vcc_lo, exec_lo, s13
	s_cbranch_vccnz .LBB119_2080
; %bb.2079:
	global_load_u8 v5, v[18:19], off
	s_wait_loadcnt 0x0
	v_lshlrev_b32_e32 v7, 25, v5
	v_lshlrev_b16 v5, 8, v5
	s_delay_alu instid0(VALU_DEP_1) | instskip(SKIP_1) | instid1(VALU_DEP_2)
	v_and_or_b32 v11, 0x7f00, v5, 0.5
	v_bfe_i32 v5, v5, 0, 16
	v_add_f32_e32 v11, -0.5, v11
	v_lshrrev_b32_e32 v9, 4, v7
	v_cmp_gt_u32_e32 vcc_lo, 0x8000000, v7
	s_delay_alu instid0(VALU_DEP_2) | instskip(NEXT) | instid1(VALU_DEP_1)
	v_or_b32_e32 v9, 0x70000000, v9
	v_mul_f32_e32 v9, 0x7800000, v9
	s_delay_alu instid0(VALU_DEP_1) | instskip(SKIP_1) | instid1(VALU_DEP_1)
	v_cndmask_b32_e32 v7, v9, v11, vcc_lo
	s_wait_xcnt 0x1
	v_and_or_b32 v20, 0x80000000, v5, v7
.LBB119_2080:
	s_mov_b32 s13, 0
	s_mov_b32 s14, -1
.LBB119_2081:
	s_and_not1_b32 vcc_lo, exec_lo, s13
	s_mov_b32 s13, 0
	s_cbranch_vccnz .LBB119_2092
; %bb.2082:
	s_cmp_gt_i32 s6, 14
	s_cbranch_scc0 .LBB119_2085
; %bb.2083:
	s_cmp_eq_u32 s6, 15
	s_cbranch_scc0 .LBB119_2088
; %bb.2084:
	global_load_u16 v5, v[18:19], off
	s_mov_b32 s7, 0
	s_mov_b32 s14, -1
	s_wait_loadcnt 0x0
	s_wait_xcnt 0x1
	v_lshlrev_b32_e32 v20, 16, v5
	s_branch .LBB119_2090
.LBB119_2085:
	s_mov_b32 s13, -1
	s_branch .LBB119_2089
.LBB119_2086:
	s_or_saveexec_b32 s14, s14
	v_mov_b32_e32 v20, 0x7f800001
	s_xor_b32 exec_lo, exec_lo, s14
	s_cbranch_execz .LBB119_2067
.LBB119_2087:
	v_cmp_ne_u16_e32 vcc_lo, 0, v5
	v_mov_b32_e32 v20, 0
	s_and_not1_b32 s13, s13, exec_lo
	s_and_b32 s15, vcc_lo, exec_lo
	s_delay_alu instid0(SALU_CYCLE_1)
	s_or_b32 s13, s13, s15
	s_or_b32 exec_lo, exec_lo, s14
	s_and_saveexec_b32 s14, s13
	s_cbranch_execnz .LBB119_2068
	s_branch .LBB119_2069
.LBB119_2088:
	s_mov_b32 s7, -1
.LBB119_2089:
                                        ; implicit-def: $vgpr20
.LBB119_2090:
	s_and_b32 vcc_lo, exec_lo, s13
	s_mov_b32 s13, 0
	s_cbranch_vccz .LBB119_2092
; %bb.2091:
	s_cmp_lg_u32 s6, 11
	s_mov_b32 s13, -1
	s_cselect_b32 s7, -1, 0
.LBB119_2092:
	s_delay_alu instid0(SALU_CYCLE_1)
	s_and_b32 vcc_lo, exec_lo, s7
	s_cbranch_vccnz .LBB119_2157
; %bb.2093:
	s_and_not1_b32 vcc_lo, exec_lo, s13
	s_cbranch_vccnz .LBB119_2095
.LBB119_2094:
	global_load_u8 v5, v[18:19], off
	s_mov_b32 s14, -1
	s_wait_loadcnt 0x0
	v_cmp_ne_u16_e32 vcc_lo, 0, v5
	s_wait_xcnt 0x1
	v_cndmask_b32_e64 v20, 0, 1.0, vcc_lo
.LBB119_2095:
	s_mov_b32 s7, 0
.LBB119_2096:
	s_delay_alu instid0(SALU_CYCLE_1)
	s_and_b32 vcc_lo, exec_lo, s7
	s_cbranch_vccz .LBB119_2145
; %bb.2097:
	s_cmp_lt_i32 s6, 5
	s_cbranch_scc1 .LBB119_2102
; %bb.2098:
	s_cmp_lt_i32 s6, 8
	s_cbranch_scc1 .LBB119_2103
	;; [unrolled: 3-line block ×3, first 2 shown]
; %bb.2100:
	s_cmp_gt_i32 s6, 9
	s_cbranch_scc0 .LBB119_2105
; %bb.2101:
	global_load_b64 v[20:21], v[18:19], off
	s_mov_b32 s7, 0
	s_wait_loadcnt 0x0
	v_cvt_f32_f64_e32 v20, v[20:21]
	s_branch .LBB119_2106
.LBB119_2102:
	s_mov_b32 s7, -1
                                        ; implicit-def: $vgpr20
	s_branch .LBB119_2124
.LBB119_2103:
	s_mov_b32 s7, -1
                                        ; implicit-def: $vgpr20
	s_branch .LBB119_2112
.LBB119_2104:
	s_mov_b32 s7, -1
                                        ; implicit-def: $vgpr20
	s_branch .LBB119_2109
.LBB119_2105:
	s_mov_b32 s7, -1
                                        ; implicit-def: $vgpr20
.LBB119_2106:
	s_delay_alu instid0(SALU_CYCLE_1)
	s_and_not1_b32 vcc_lo, exec_lo, s7
	s_cbranch_vccnz .LBB119_2108
; %bb.2107:
	global_load_b32 v20, v[18:19], off
.LBB119_2108:
	s_mov_b32 s7, 0
.LBB119_2109:
	s_delay_alu instid0(SALU_CYCLE_1)
	s_and_not1_b32 vcc_lo, exec_lo, s7
	s_cbranch_vccnz .LBB119_2111
; %bb.2110:
	global_load_b32 v5, v[18:19], off
	s_wait_loadcnt 0x0
	s_wait_xcnt 0x1
	v_cvt_f32_f16_e32 v20, v5
.LBB119_2111:
	s_mov_b32 s7, 0
.LBB119_2112:
	s_delay_alu instid0(SALU_CYCLE_1)
	s_and_not1_b32 vcc_lo, exec_lo, s7
	s_cbranch_vccnz .LBB119_2123
; %bb.2113:
	s_cmp_lt_i32 s6, 6
	s_cbranch_scc1 .LBB119_2116
; %bb.2114:
	s_cmp_gt_i32 s6, 6
	s_cbranch_scc0 .LBB119_2117
; %bb.2115:
	s_wait_loadcnt 0x0
	global_load_b64 v[20:21], v[18:19], off
	s_mov_b32 s7, 0
	s_wait_loadcnt 0x0
	v_cvt_f32_f64_e32 v20, v[20:21]
	s_branch .LBB119_2118
.LBB119_2116:
	s_mov_b32 s7, -1
                                        ; implicit-def: $vgpr20
	s_branch .LBB119_2121
.LBB119_2117:
	s_mov_b32 s7, -1
                                        ; implicit-def: $vgpr20
.LBB119_2118:
	s_delay_alu instid0(SALU_CYCLE_1)
	s_and_not1_b32 vcc_lo, exec_lo, s7
	s_cbranch_vccnz .LBB119_2120
; %bb.2119:
	s_wait_loadcnt 0x0
	global_load_b32 v20, v[18:19], off
.LBB119_2120:
	s_mov_b32 s7, 0
.LBB119_2121:
	s_delay_alu instid0(SALU_CYCLE_1)
	s_and_not1_b32 vcc_lo, exec_lo, s7
	s_cbranch_vccnz .LBB119_2123
; %bb.2122:
	global_load_u16 v5, v[18:19], off
	s_wait_loadcnt 0x0
	s_wait_xcnt 0x1
	v_cvt_f32_f16_e32 v20, v5
.LBB119_2123:
	s_mov_b32 s7, 0
.LBB119_2124:
	s_delay_alu instid0(SALU_CYCLE_1)
	s_and_not1_b32 vcc_lo, exec_lo, s7
	s_cbranch_vccnz .LBB119_2144
; %bb.2125:
	s_cmp_lt_i32 s6, 2
	s_cbranch_scc1 .LBB119_2129
; %bb.2126:
	s_cmp_lt_i32 s6, 3
	s_cbranch_scc1 .LBB119_2130
; %bb.2127:
	s_cmp_gt_i32 s6, 3
	s_cbranch_scc0 .LBB119_2131
; %bb.2128:
	s_wait_loadcnt 0x0
	global_load_b64 v[20:21], v[18:19], off
	s_mov_b32 s7, 0
	s_wait_loadcnt 0x0
	v_xor_b32_e32 v5, v20, v21
	v_cls_i32_e32 v7, v21
	s_delay_alu instid0(VALU_DEP_2) | instskip(NEXT) | instid1(VALU_DEP_1)
	v_ashrrev_i32_e32 v5, 31, v5
	v_add_nc_u32_e32 v5, 32, v5
	s_delay_alu instid0(VALU_DEP_1) | instskip(NEXT) | instid1(VALU_DEP_1)
	v_add_min_u32_e64 v5, v7, -1, v5
	v_lshlrev_b64_e32 v[20:21], v5, v[20:21]
	v_sub_nc_u32_e32 v5, 32, v5
	s_delay_alu instid0(VALU_DEP_2) | instskip(NEXT) | instid1(VALU_DEP_1)
	v_min_u32_e32 v7, 1, v20
	v_or_b32_e32 v7, v21, v7
	s_delay_alu instid0(VALU_DEP_1) | instskip(NEXT) | instid1(VALU_DEP_1)
	v_cvt_f32_i32_e32 v7, v7
	v_ldexp_f32 v20, v7, v5
	s_branch .LBB119_2132
.LBB119_2129:
	s_mov_b32 s7, -1
                                        ; implicit-def: $vgpr20
	s_branch .LBB119_2138
.LBB119_2130:
	s_mov_b32 s7, -1
                                        ; implicit-def: $vgpr20
	s_branch .LBB119_2135
.LBB119_2131:
	s_mov_b32 s7, -1
                                        ; implicit-def: $vgpr20
.LBB119_2132:
	s_delay_alu instid0(SALU_CYCLE_1)
	s_and_not1_b32 vcc_lo, exec_lo, s7
	s_cbranch_vccnz .LBB119_2134
; %bb.2133:
	global_load_b32 v5, v[18:19], off
	s_wait_loadcnt 0x0
	s_wait_xcnt 0x1
	v_cvt_f32_i32_e32 v20, v5
.LBB119_2134:
	s_mov_b32 s7, 0
.LBB119_2135:
	s_delay_alu instid0(SALU_CYCLE_1)
	s_and_not1_b32 vcc_lo, exec_lo, s7
	s_cbranch_vccnz .LBB119_2137
; %bb.2136:
	global_load_i16 v5, v[18:19], off
	s_wait_loadcnt 0x0
	s_wait_xcnt 0x1
	v_cvt_f32_i32_e32 v20, v5
.LBB119_2137:
	s_mov_b32 s7, 0
.LBB119_2138:
	s_delay_alu instid0(SALU_CYCLE_1)
	s_and_not1_b32 vcc_lo, exec_lo, s7
	s_cbranch_vccnz .LBB119_2144
; %bb.2139:
	s_cmp_gt_i32 s6, 0
	s_mov_b32 s7, 0
	s_cbranch_scc0 .LBB119_2141
; %bb.2140:
	global_load_i8 v5, v[18:19], off
	s_wait_loadcnt 0x0
	s_wait_xcnt 0x1
	v_cvt_f32_i32_e32 v20, v5
	s_branch .LBB119_2142
.LBB119_2141:
	s_mov_b32 s7, -1
                                        ; implicit-def: $vgpr20
.LBB119_2142:
	s_delay_alu instid0(SALU_CYCLE_1)
	s_and_not1_b32 vcc_lo, exec_lo, s7
	s_cbranch_vccnz .LBB119_2144
; %bb.2143:
	global_load_u8 v5, v[18:19], off
	s_wait_loadcnt 0x0
	s_wait_xcnt 0x1
	v_cvt_f32_ubyte0_e32 v20, v5
.LBB119_2144:
	s_mov_b32 s14, -1
.LBB119_2145:
	s_delay_alu instid0(SALU_CYCLE_1)
	s_and_not1_b32 vcc_lo, exec_lo, s14
	s_cbranch_vccnz .LBB119_3280
; %bb.2146:
	v_mov_b32_e32 v17, 0
	s_and_b32 s7, 0xffff, s12
	s_delay_alu instid0(SALU_CYCLE_1) | instskip(NEXT) | instid1(VALU_DEP_1)
	s_cmp_lt_i32 s7, 11
	v_add_nc_u64_e32 v[16:17], s[4:5], v[16:17]
	s_cbranch_scc1 .LBB119_2153
; %bb.2147:
	s_cmp_gt_i32 s7, 25
	s_mov_b32 s13, 0
	s_cbranch_scc0 .LBB119_2154
; %bb.2148:
	s_cmp_gt_i32 s7, 28
	s_cbranch_scc0 .LBB119_2155
; %bb.2149:
	s_cmp_gt_i32 s7, 43
	;; [unrolled: 3-line block ×3, first 2 shown]
	s_cbranch_scc0 .LBB119_2158
; %bb.2151:
	s_cmp_eq_u32 s7, 46
	s_mov_b32 s15, 0
	s_cbranch_scc0 .LBB119_2161
; %bb.2152:
	global_load_b32 v5, v[16:17], off
	s_mov_b32 s12, 0
	s_mov_b32 s14, -1
	s_wait_loadcnt 0x0
	s_wait_xcnt 0x1
	v_lshlrev_b32_e32 v18, 16, v5
	s_branch .LBB119_2163
.LBB119_2153:
	s_mov_b32 s12, -1
	s_mov_b32 s14, 0
                                        ; implicit-def: $vgpr18
	s_branch .LBB119_2229
.LBB119_2154:
	s_mov_b32 s15, -1
	s_mov_b32 s14, 0
	s_mov_b32 s12, 0
                                        ; implicit-def: $vgpr18
	s_branch .LBB119_2192
.LBB119_2155:
	s_mov_b32 s15, -1
	s_mov_b32 s14, 0
	s_mov_b32 s12, 0
                                        ; implicit-def: $vgpr18
	s_branch .LBB119_2173
.LBB119_2156:
	s_mov_b32 s15, -1
	s_mov_b32 s14, 0
	s_mov_b32 s12, 0
                                        ; implicit-def: $vgpr18
	s_branch .LBB119_2168
.LBB119_2157:
	s_or_b32 s10, s10, exec_lo
	s_trap 2
	s_cbranch_execz .LBB119_2094
	s_branch .LBB119_2095
.LBB119_2158:
	s_mov_b32 s15, -1
	s_mov_b32 s14, 0
	s_mov_b32 s12, 0
	s_branch .LBB119_2162
.LBB119_2159:
	s_and_not1_saveexec_b32 s56, s56
	s_cbranch_execz .LBB119_1164
.LBB119_2160:
	v_add_f32_e64 v1, 0x46000000, |v4|
	s_and_not1_b32 s55, s55, exec_lo
	s_delay_alu instid0(VALU_DEP_1) | instskip(NEXT) | instid1(VALU_DEP_1)
	v_and_b32_e32 v1, 0xff, v1
	v_cmp_ne_u32_e32 vcc_lo, 0, v1
	s_and_b32 s57, vcc_lo, exec_lo
	s_delay_alu instid0(SALU_CYCLE_1)
	s_or_b32 s55, s55, s57
	s_or_b32 exec_lo, exec_lo, s56
	v_mov_b32_e32 v5, 0
	s_and_saveexec_b32 s56, s55
	s_cbranch_execnz .LBB119_1165
	s_branch .LBB119_1166
.LBB119_2161:
	s_mov_b32 s12, -1
	s_mov_b32 s14, 0
.LBB119_2162:
                                        ; implicit-def: $vgpr18
.LBB119_2163:
	s_and_b32 vcc_lo, exec_lo, s15
	s_cbranch_vccz .LBB119_2167
; %bb.2164:
	s_cmp_eq_u32 s7, 44
	s_cbranch_scc0 .LBB119_2166
; %bb.2165:
	global_load_u8 v5, v[16:17], off
	s_mov_b32 s12, 0
	s_mov_b32 s14, -1
	s_wait_loadcnt 0x0
	v_lshlrev_b32_e32 v7, 23, v5
	v_cmp_ne_u32_e32 vcc_lo, 0xff, v5
	s_delay_alu instid0(VALU_DEP_2) | instskip(SKIP_2) | instid1(VALU_DEP_2)
	v_cndmask_b32_e32 v7, 0x7f800001, v7, vcc_lo
	v_cmp_ne_u32_e32 vcc_lo, 0, v5
	s_wait_xcnt 0x1
	v_cndmask_b32_e32 v18, 0x400000, v7, vcc_lo
	s_branch .LBB119_2167
.LBB119_2166:
	s_mov_b32 s12, -1
                                        ; implicit-def: $vgpr18
.LBB119_2167:
	s_mov_b32 s15, 0
.LBB119_2168:
	s_delay_alu instid0(SALU_CYCLE_1)
	s_and_b32 vcc_lo, exec_lo, s15
	s_cbranch_vccz .LBB119_2172
; %bb.2169:
	s_cmp_eq_u32 s7, 29
	s_cbranch_scc0 .LBB119_2171
; %bb.2170:
	global_load_b64 v[18:19], v[16:17], off
	s_mov_b32 s12, 0
	s_mov_b32 s14, -1
	s_mov_b32 s15, 0
	s_wait_loadcnt 0x0
	v_clz_i32_u32_e32 v5, v19
	s_delay_alu instid0(VALU_DEP_1) | instskip(NEXT) | instid1(VALU_DEP_1)
	v_min_u32_e32 v5, 32, v5
	v_lshlrev_b64_e32 v[18:19], v5, v[18:19]
	v_sub_nc_u32_e32 v5, 32, v5
	s_delay_alu instid0(VALU_DEP_2) | instskip(NEXT) | instid1(VALU_DEP_1)
	v_min_u32_e32 v7, 1, v18
	v_or_b32_e32 v7, v19, v7
	s_delay_alu instid0(VALU_DEP_1) | instskip(NEXT) | instid1(VALU_DEP_1)
	v_cvt_f32_u32_e32 v7, v7
	v_ldexp_f32 v18, v7, v5
	s_branch .LBB119_2173
.LBB119_2171:
	s_mov_b32 s12, -1
                                        ; implicit-def: $vgpr18
.LBB119_2172:
	s_mov_b32 s15, 0
.LBB119_2173:
	s_delay_alu instid0(SALU_CYCLE_1)
	s_and_b32 vcc_lo, exec_lo, s15
	s_cbranch_vccz .LBB119_2191
; %bb.2174:
	s_cmp_lt_i32 s7, 27
	s_cbranch_scc1 .LBB119_2177
; %bb.2175:
	s_cmp_gt_i32 s7, 27
	s_cbranch_scc0 .LBB119_2178
; %bb.2176:
	global_load_b32 v5, v[16:17], off
	s_mov_b32 s14, 0
	s_wait_loadcnt 0x0
	s_wait_xcnt 0x1
	v_cvt_f32_u32_e32 v18, v5
	s_branch .LBB119_2179
.LBB119_2177:
	s_mov_b32 s14, -1
                                        ; implicit-def: $vgpr18
	s_branch .LBB119_2182
.LBB119_2178:
	s_mov_b32 s14, -1
                                        ; implicit-def: $vgpr18
.LBB119_2179:
	s_delay_alu instid0(SALU_CYCLE_1)
	s_and_not1_b32 vcc_lo, exec_lo, s14
	s_cbranch_vccnz .LBB119_2181
; %bb.2180:
	global_load_u16 v5, v[16:17], off
	s_wait_loadcnt 0x0
	s_wait_xcnt 0x1
	v_cvt_f32_u32_e32 v18, v5
.LBB119_2181:
	s_mov_b32 s14, 0
.LBB119_2182:
	s_delay_alu instid0(SALU_CYCLE_1)
	s_and_not1_b32 vcc_lo, exec_lo, s14
	s_cbranch_vccnz .LBB119_2190
; %bb.2183:
	global_load_u8 v5, v[16:17], off
	s_mov_b32 s14, 0
	s_mov_b32 s15, exec_lo
	s_wait_loadcnt 0x0
	v_cmpx_lt_i16_e32 0x7f, v5
	s_xor_b32 s15, exec_lo, s15
	s_cbranch_execz .LBB119_2204
; %bb.2184:
	s_mov_b32 s14, -1
	s_mov_b32 s16, exec_lo
	v_cmpx_eq_u16_e32 0x80, v5
; %bb.2185:
	s_xor_b32 s14, exec_lo, -1
; %bb.2186:
	s_or_b32 exec_lo, exec_lo, s16
	s_delay_alu instid0(SALU_CYCLE_1)
	s_and_b32 s14, s14, exec_lo
	s_or_saveexec_b32 s15, s15
	v_mov_b32_e32 v18, 0x7f800001
	s_xor_b32 exec_lo, exec_lo, s15
	s_cbranch_execnz .LBB119_2205
.LBB119_2187:
	s_or_b32 exec_lo, exec_lo, s15
	s_and_saveexec_b32 s15, s14
	s_cbranch_execz .LBB119_2189
.LBB119_2188:
	v_and_b32_e32 v7, 0xffff, v5
	s_delay_alu instid0(VALU_DEP_1) | instskip(SKIP_1) | instid1(VALU_DEP_2)
	v_dual_lshlrev_b32 v5, 24, v5 :: v_dual_bitop2_b32 v9, 7, v7 bitop3:0x40
	v_bfe_u32 v15, v7, 3, 4
	v_and_b32_e32 v5, 0x80000000, v5
	s_delay_alu instid0(VALU_DEP_3) | instskip(NEXT) | instid1(VALU_DEP_3)
	v_clz_i32_u32_e32 v11, v9
	v_cmp_eq_u32_e32 vcc_lo, 0, v15
	s_delay_alu instid0(VALU_DEP_2) | instskip(NEXT) | instid1(VALU_DEP_1)
	v_min_u32_e32 v11, 32, v11
	v_subrev_nc_u32_e32 v13, 28, v11
	v_sub_nc_u32_e32 v11, 29, v11
	s_delay_alu instid0(VALU_DEP_2) | instskip(NEXT) | instid1(VALU_DEP_2)
	v_lshlrev_b32_e32 v7, v13, v7
	v_cndmask_b32_e32 v11, v15, v11, vcc_lo
	s_delay_alu instid0(VALU_DEP_2) | instskip(NEXT) | instid1(VALU_DEP_1)
	v_and_b32_e32 v7, 7, v7
	v_cndmask_b32_e32 v7, v9, v7, vcc_lo
	s_delay_alu instid0(VALU_DEP_3) | instskip(NEXT) | instid1(VALU_DEP_2)
	v_lshl_add_u32 v9, v11, 23, 0x3b800000
	v_lshlrev_b32_e32 v7, 20, v7
	s_delay_alu instid0(VALU_DEP_1)
	v_or3_b32 v18, v5, v9, v7
.LBB119_2189:
	s_or_b32 exec_lo, exec_lo, s15
.LBB119_2190:
	s_mov_b32 s14, -1
.LBB119_2191:
	s_mov_b32 s15, 0
.LBB119_2192:
	s_delay_alu instid0(SALU_CYCLE_1)
	s_and_b32 vcc_lo, exec_lo, s15
	s_cbranch_vccz .LBB119_2225
; %bb.2193:
	s_cmp_gt_i32 s7, 22
	s_cbranch_scc0 .LBB119_2203
; %bb.2194:
	s_cmp_lt_i32 s7, 24
	s_cbranch_scc1 .LBB119_2206
; %bb.2195:
	s_cmp_gt_i32 s7, 24
	s_cbranch_scc0 .LBB119_2207
; %bb.2196:
	global_load_u8 v5, v[16:17], off
	s_mov_b32 s14, exec_lo
	s_wait_loadcnt 0x0
	v_cmpx_lt_i16_e32 0x7f, v5
	s_xor_b32 s14, exec_lo, s14
	s_cbranch_execz .LBB119_2219
; %bb.2197:
	s_mov_b32 s13, -1
	s_mov_b32 s15, exec_lo
	v_cmpx_eq_u16_e32 0x80, v5
; %bb.2198:
	s_xor_b32 s13, exec_lo, -1
; %bb.2199:
	s_or_b32 exec_lo, exec_lo, s15
	s_delay_alu instid0(SALU_CYCLE_1)
	s_and_b32 s13, s13, exec_lo
	s_or_saveexec_b32 s14, s14
	v_mov_b32_e32 v18, 0x7f800001
	s_xor_b32 exec_lo, exec_lo, s14
	s_cbranch_execnz .LBB119_2220
.LBB119_2200:
	s_or_b32 exec_lo, exec_lo, s14
	s_and_saveexec_b32 s14, s13
	s_cbranch_execz .LBB119_2202
.LBB119_2201:
	v_and_b32_e32 v7, 0xffff, v5
	s_delay_alu instid0(VALU_DEP_1) | instskip(SKIP_1) | instid1(VALU_DEP_2)
	v_dual_lshlrev_b32 v5, 24, v5 :: v_dual_bitop2_b32 v9, 3, v7 bitop3:0x40
	v_bfe_u32 v15, v7, 2, 5
	v_and_b32_e32 v5, 0x80000000, v5
	s_delay_alu instid0(VALU_DEP_3) | instskip(NEXT) | instid1(VALU_DEP_3)
	v_clz_i32_u32_e32 v11, v9
	v_cmp_eq_u32_e32 vcc_lo, 0, v15
	s_delay_alu instid0(VALU_DEP_2) | instskip(NEXT) | instid1(VALU_DEP_1)
	v_min_u32_e32 v11, 32, v11
	v_subrev_nc_u32_e32 v13, 29, v11
	v_sub_nc_u32_e32 v11, 30, v11
	s_delay_alu instid0(VALU_DEP_2) | instskip(NEXT) | instid1(VALU_DEP_2)
	v_lshlrev_b32_e32 v7, v13, v7
	v_cndmask_b32_e32 v11, v15, v11, vcc_lo
	s_delay_alu instid0(VALU_DEP_2) | instskip(NEXT) | instid1(VALU_DEP_1)
	v_and_b32_e32 v7, 3, v7
	v_cndmask_b32_e32 v7, v9, v7, vcc_lo
	s_delay_alu instid0(VALU_DEP_3) | instskip(NEXT) | instid1(VALU_DEP_2)
	v_lshl_add_u32 v9, v11, 23, 0x37800000
	v_lshlrev_b32_e32 v7, 21, v7
	s_delay_alu instid0(VALU_DEP_1)
	v_or3_b32 v18, v5, v9, v7
.LBB119_2202:
	s_or_b32 exec_lo, exec_lo, s14
	s_mov_b32 s13, 0
	s_branch .LBB119_2208
.LBB119_2203:
	s_mov_b32 s13, -1
                                        ; implicit-def: $vgpr18
	s_branch .LBB119_2214
.LBB119_2204:
	s_or_saveexec_b32 s15, s15
	v_mov_b32_e32 v18, 0x7f800001
	s_xor_b32 exec_lo, exec_lo, s15
	s_cbranch_execz .LBB119_2187
.LBB119_2205:
	v_cmp_ne_u16_e32 vcc_lo, 0, v5
	v_mov_b32_e32 v18, 0
	s_and_not1_b32 s14, s14, exec_lo
	s_and_b32 s16, vcc_lo, exec_lo
	s_delay_alu instid0(SALU_CYCLE_1)
	s_or_b32 s14, s14, s16
	s_or_b32 exec_lo, exec_lo, s15
	s_and_saveexec_b32 s15, s14
	s_cbranch_execnz .LBB119_2188
	s_branch .LBB119_2189
.LBB119_2206:
	s_mov_b32 s13, -1
                                        ; implicit-def: $vgpr18
	s_branch .LBB119_2211
.LBB119_2207:
	s_mov_b32 s13, -1
                                        ; implicit-def: $vgpr18
.LBB119_2208:
	s_delay_alu instid0(SALU_CYCLE_1)
	s_and_b32 vcc_lo, exec_lo, s13
	s_cbranch_vccz .LBB119_2210
; %bb.2209:
	global_load_u8 v5, v[16:17], off
	s_wait_loadcnt 0x0
	v_lshlrev_b32_e32 v5, 24, v5
	s_delay_alu instid0(VALU_DEP_1) | instskip(NEXT) | instid1(VALU_DEP_1)
	v_and_b32_e32 v7, 0x7f000000, v5
	v_clz_i32_u32_e32 v9, v7
	v_add_nc_u32_e32 v13, 0x1000000, v7
	v_cmp_ne_u32_e32 vcc_lo, 0, v7
	s_delay_alu instid0(VALU_DEP_3) | instskip(NEXT) | instid1(VALU_DEP_1)
	v_min_u32_e32 v9, 32, v9
	v_sub_nc_u32_e64 v9, v9, 4 clamp
	s_delay_alu instid0(VALU_DEP_1) | instskip(NEXT) | instid1(VALU_DEP_1)
	v_dual_lshlrev_b32 v11, v9, v7 :: v_dual_lshlrev_b32 v9, 23, v9
	v_lshrrev_b32_e32 v11, 4, v11
	s_delay_alu instid0(VALU_DEP_1) | instskip(SKIP_1) | instid1(VALU_DEP_2)
	v_sub_nc_u32_e32 v9, v11, v9
	v_ashrrev_i32_e32 v11, 8, v13
	v_add_nc_u32_e32 v9, 0x3c000000, v9
	s_delay_alu instid0(VALU_DEP_1) | instskip(NEXT) | instid1(VALU_DEP_1)
	v_and_or_b32 v9, 0x7f800000, v11, v9
	v_cndmask_b32_e32 v7, 0, v9, vcc_lo
	s_wait_xcnt 0x1
	s_delay_alu instid0(VALU_DEP_1)
	v_and_or_b32 v18, 0x80000000, v5, v7
.LBB119_2210:
	s_mov_b32 s13, 0
.LBB119_2211:
	s_delay_alu instid0(SALU_CYCLE_1)
	s_and_not1_b32 vcc_lo, exec_lo, s13
	s_cbranch_vccnz .LBB119_2213
; %bb.2212:
	global_load_u8 v5, v[16:17], off
	s_wait_loadcnt 0x0
	v_lshlrev_b32_e32 v7, 25, v5
	v_lshlrev_b16 v5, 8, v5
	s_delay_alu instid0(VALU_DEP_1) | instskip(SKIP_1) | instid1(VALU_DEP_2)
	v_and_or_b32 v11, 0x7f00, v5, 0.5
	v_bfe_i32 v5, v5, 0, 16
	v_add_f32_e32 v11, -0.5, v11
	v_lshrrev_b32_e32 v9, 4, v7
	v_cmp_gt_u32_e32 vcc_lo, 0x8000000, v7
	s_delay_alu instid0(VALU_DEP_2) | instskip(NEXT) | instid1(VALU_DEP_1)
	v_or_b32_e32 v9, 0x70000000, v9
	v_mul_f32_e32 v9, 0x7800000, v9
	s_delay_alu instid0(VALU_DEP_1) | instskip(SKIP_1) | instid1(VALU_DEP_1)
	v_cndmask_b32_e32 v7, v9, v11, vcc_lo
	s_wait_xcnt 0x1
	v_and_or_b32 v18, 0x80000000, v5, v7
.LBB119_2213:
	s_mov_b32 s13, 0
	s_mov_b32 s14, -1
.LBB119_2214:
	s_and_not1_b32 vcc_lo, exec_lo, s13
	s_mov_b32 s13, 0
	s_cbranch_vccnz .LBB119_2225
; %bb.2215:
	s_cmp_gt_i32 s7, 14
	s_cbranch_scc0 .LBB119_2218
; %bb.2216:
	s_cmp_eq_u32 s7, 15
	s_cbranch_scc0 .LBB119_2221
; %bb.2217:
	global_load_u16 v5, v[16:17], off
	s_mov_b32 s12, 0
	s_mov_b32 s14, -1
	s_wait_loadcnt 0x0
	s_wait_xcnt 0x1
	v_lshlrev_b32_e32 v18, 16, v5
	s_branch .LBB119_2223
.LBB119_2218:
	s_mov_b32 s13, -1
	s_branch .LBB119_2222
.LBB119_2219:
	s_or_saveexec_b32 s14, s14
	v_mov_b32_e32 v18, 0x7f800001
	s_xor_b32 exec_lo, exec_lo, s14
	s_cbranch_execz .LBB119_2200
.LBB119_2220:
	v_cmp_ne_u16_e32 vcc_lo, 0, v5
	v_mov_b32_e32 v18, 0
	s_and_not1_b32 s13, s13, exec_lo
	s_and_b32 s15, vcc_lo, exec_lo
	s_delay_alu instid0(SALU_CYCLE_1)
	s_or_b32 s13, s13, s15
	s_or_b32 exec_lo, exec_lo, s14
	s_and_saveexec_b32 s14, s13
	s_cbranch_execnz .LBB119_2201
	s_branch .LBB119_2202
.LBB119_2221:
	s_mov_b32 s12, -1
.LBB119_2222:
                                        ; implicit-def: $vgpr18
.LBB119_2223:
	s_and_b32 vcc_lo, exec_lo, s13
	s_mov_b32 s13, 0
	s_cbranch_vccz .LBB119_2225
; %bb.2224:
	s_cmp_lg_u32 s7, 11
	s_mov_b32 s13, -1
	s_cselect_b32 s12, -1, 0
.LBB119_2225:
	s_delay_alu instid0(SALU_CYCLE_1)
	s_and_b32 vcc_lo, exec_lo, s12
	s_cbranch_vccnz .LBB119_2309
; %bb.2226:
	s_and_not1_b32 vcc_lo, exec_lo, s13
	s_cbranch_vccnz .LBB119_2228
.LBB119_2227:
	global_load_u8 v5, v[16:17], off
	s_mov_b32 s14, -1
	s_wait_loadcnt 0x0
	v_cmp_ne_u16_e32 vcc_lo, 0, v5
	s_wait_xcnt 0x1
	v_cndmask_b32_e64 v18, 0, 1.0, vcc_lo
.LBB119_2228:
	s_mov_b32 s12, 0
.LBB119_2229:
	s_delay_alu instid0(SALU_CYCLE_1)
	s_and_b32 vcc_lo, exec_lo, s12
	s_cbranch_vccz .LBB119_2278
; %bb.2230:
	s_cmp_lt_i32 s7, 5
	s_cbranch_scc1 .LBB119_2235
; %bb.2231:
	s_cmp_lt_i32 s7, 8
	s_cbranch_scc1 .LBB119_2236
	;; [unrolled: 3-line block ×3, first 2 shown]
; %bb.2233:
	s_cmp_gt_i32 s7, 9
	s_cbranch_scc0 .LBB119_2238
; %bb.2234:
	global_load_b64 v[18:19], v[16:17], off
	s_mov_b32 s12, 0
	s_wait_loadcnt 0x0
	v_cvt_f32_f64_e32 v18, v[18:19]
	s_branch .LBB119_2239
.LBB119_2235:
	s_mov_b32 s12, -1
                                        ; implicit-def: $vgpr18
	s_branch .LBB119_2257
.LBB119_2236:
	s_mov_b32 s12, -1
                                        ; implicit-def: $vgpr18
	s_branch .LBB119_2245
.LBB119_2237:
	s_mov_b32 s12, -1
                                        ; implicit-def: $vgpr18
	s_branch .LBB119_2242
.LBB119_2238:
	s_mov_b32 s12, -1
                                        ; implicit-def: $vgpr18
.LBB119_2239:
	s_delay_alu instid0(SALU_CYCLE_1)
	s_and_not1_b32 vcc_lo, exec_lo, s12
	s_cbranch_vccnz .LBB119_2241
; %bb.2240:
	global_load_b32 v18, v[16:17], off
.LBB119_2241:
	s_mov_b32 s12, 0
.LBB119_2242:
	s_delay_alu instid0(SALU_CYCLE_1)
	s_and_not1_b32 vcc_lo, exec_lo, s12
	s_cbranch_vccnz .LBB119_2244
; %bb.2243:
	global_load_b32 v5, v[16:17], off
	s_wait_loadcnt 0x0
	s_wait_xcnt 0x1
	v_cvt_f32_f16_e32 v18, v5
.LBB119_2244:
	s_mov_b32 s12, 0
.LBB119_2245:
	s_delay_alu instid0(SALU_CYCLE_1)
	s_and_not1_b32 vcc_lo, exec_lo, s12
	s_cbranch_vccnz .LBB119_2256
; %bb.2246:
	s_cmp_lt_i32 s7, 6
	s_cbranch_scc1 .LBB119_2249
; %bb.2247:
	s_cmp_gt_i32 s7, 6
	s_cbranch_scc0 .LBB119_2250
; %bb.2248:
	s_wait_loadcnt 0x0
	global_load_b64 v[18:19], v[16:17], off
	s_mov_b32 s12, 0
	s_wait_loadcnt 0x0
	v_cvt_f32_f64_e32 v18, v[18:19]
	s_branch .LBB119_2251
.LBB119_2249:
	s_mov_b32 s12, -1
                                        ; implicit-def: $vgpr18
	s_branch .LBB119_2254
.LBB119_2250:
	s_mov_b32 s12, -1
                                        ; implicit-def: $vgpr18
.LBB119_2251:
	s_delay_alu instid0(SALU_CYCLE_1)
	s_and_not1_b32 vcc_lo, exec_lo, s12
	s_cbranch_vccnz .LBB119_2253
; %bb.2252:
	s_wait_loadcnt 0x0
	global_load_b32 v18, v[16:17], off
.LBB119_2253:
	s_mov_b32 s12, 0
.LBB119_2254:
	s_delay_alu instid0(SALU_CYCLE_1)
	s_and_not1_b32 vcc_lo, exec_lo, s12
	s_cbranch_vccnz .LBB119_2256
; %bb.2255:
	global_load_u16 v5, v[16:17], off
	s_wait_loadcnt 0x0
	s_wait_xcnt 0x1
	v_cvt_f32_f16_e32 v18, v5
.LBB119_2256:
	s_mov_b32 s12, 0
.LBB119_2257:
	s_delay_alu instid0(SALU_CYCLE_1)
	s_and_not1_b32 vcc_lo, exec_lo, s12
	s_cbranch_vccnz .LBB119_2277
; %bb.2258:
	s_cmp_lt_i32 s7, 2
	s_cbranch_scc1 .LBB119_2262
; %bb.2259:
	s_cmp_lt_i32 s7, 3
	s_cbranch_scc1 .LBB119_2263
; %bb.2260:
	s_cmp_gt_i32 s7, 3
	s_cbranch_scc0 .LBB119_2264
; %bb.2261:
	s_wait_loadcnt 0x0
	global_load_b64 v[18:19], v[16:17], off
	s_mov_b32 s12, 0
	s_wait_loadcnt 0x0
	v_xor_b32_e32 v5, v18, v19
	v_cls_i32_e32 v7, v19
	s_delay_alu instid0(VALU_DEP_2) | instskip(NEXT) | instid1(VALU_DEP_1)
	v_ashrrev_i32_e32 v5, 31, v5
	v_add_nc_u32_e32 v5, 32, v5
	s_delay_alu instid0(VALU_DEP_1) | instskip(NEXT) | instid1(VALU_DEP_1)
	v_add_min_u32_e64 v5, v7, -1, v5
	v_lshlrev_b64_e32 v[18:19], v5, v[18:19]
	v_sub_nc_u32_e32 v5, 32, v5
	s_delay_alu instid0(VALU_DEP_2) | instskip(NEXT) | instid1(VALU_DEP_1)
	v_min_u32_e32 v7, 1, v18
	v_or_b32_e32 v7, v19, v7
	s_delay_alu instid0(VALU_DEP_1) | instskip(NEXT) | instid1(VALU_DEP_1)
	v_cvt_f32_i32_e32 v7, v7
	v_ldexp_f32 v18, v7, v5
	s_branch .LBB119_2265
.LBB119_2262:
	s_mov_b32 s12, -1
                                        ; implicit-def: $vgpr18
	s_branch .LBB119_2271
.LBB119_2263:
	s_mov_b32 s12, -1
                                        ; implicit-def: $vgpr18
	s_branch .LBB119_2268
.LBB119_2264:
	s_mov_b32 s12, -1
                                        ; implicit-def: $vgpr18
.LBB119_2265:
	s_delay_alu instid0(SALU_CYCLE_1)
	s_and_not1_b32 vcc_lo, exec_lo, s12
	s_cbranch_vccnz .LBB119_2267
; %bb.2266:
	global_load_b32 v5, v[16:17], off
	s_wait_loadcnt 0x0
	s_wait_xcnt 0x1
	v_cvt_f32_i32_e32 v18, v5
.LBB119_2267:
	s_mov_b32 s12, 0
.LBB119_2268:
	s_delay_alu instid0(SALU_CYCLE_1)
	s_and_not1_b32 vcc_lo, exec_lo, s12
	s_cbranch_vccnz .LBB119_2270
; %bb.2269:
	global_load_i16 v5, v[16:17], off
	s_wait_loadcnt 0x0
	s_wait_xcnt 0x1
	v_cvt_f32_i32_e32 v18, v5
.LBB119_2270:
	s_mov_b32 s12, 0
.LBB119_2271:
	s_delay_alu instid0(SALU_CYCLE_1)
	s_and_not1_b32 vcc_lo, exec_lo, s12
	s_cbranch_vccnz .LBB119_2277
; %bb.2272:
	s_cmp_gt_i32 s7, 0
	s_mov_b32 s12, 0
	s_cbranch_scc0 .LBB119_2274
; %bb.2273:
	global_load_i8 v5, v[16:17], off
	s_wait_loadcnt 0x0
	s_wait_xcnt 0x1
	v_cvt_f32_i32_e32 v18, v5
	s_branch .LBB119_2275
.LBB119_2274:
	s_mov_b32 s12, -1
                                        ; implicit-def: $vgpr18
.LBB119_2275:
	s_delay_alu instid0(SALU_CYCLE_1)
	s_and_not1_b32 vcc_lo, exec_lo, s12
	s_cbranch_vccnz .LBB119_2277
; %bb.2276:
	global_load_u8 v5, v[16:17], off
	s_wait_loadcnt 0x0
	s_wait_xcnt 0x1
	v_cvt_f32_ubyte0_e32 v18, v5
.LBB119_2277:
	s_mov_b32 s14, -1
.LBB119_2278:
	s_delay_alu instid0(SALU_CYCLE_1)
	s_and_not1_b32 vcc_lo, exec_lo, s14
	s_cbranch_vccnz .LBB119_3280
; %bb.2279:
	s_cmp_lt_i32 s11, 23
	s_cbranch_scc1 .LBB119_2283
; %bb.2280:
	s_cmp_gt_i32 s11, 43
	s_cbranch_scc0 .LBB119_2284
; %bb.2281:
	s_cmp_gt_i32 s11, 45
	s_cbranch_scc0 .LBB119_2285
; %bb.2282:
	s_cmp_lg_u32 s11, 46
	s_mov_b32 s14, 0
	s_mov_b32 s12, -1
	s_cselect_b32 s13, -1, 0
	s_branch .LBB119_2286
.LBB119_2283:
	s_mov_b32 s14, -1
	s_mov_b32 s12, 0
	s_mov_b32 s13, 0
	s_branch .LBB119_2292
.LBB119_2284:
	s_mov_b32 s14, -1
	s_mov_b32 s12, 0
	s_mov_b32 s13, 0
	s_branch .LBB119_2289
.LBB119_2285:
	s_mov_b32 s14, -1
	s_mov_b32 s12, 0
	s_mov_b32 s13, 0
.LBB119_2286:
	s_and_not1_b32 vcc_lo, exec_lo, s14
	s_cbranch_vccnz .LBB119_2288
; %bb.2287:
	s_cmp_eq_u32 s11, 44
	s_cselect_b32 s12, -1, 0
	s_cmp_lg_u32 s11, 44
	s_cselect_b32 s13, -1, 0
.LBB119_2288:
	s_mov_b32 s14, 0
.LBB119_2289:
	s_delay_alu instid0(SALU_CYCLE_1)
	s_and_b32 vcc_lo, exec_lo, s14
	s_cbranch_vccz .LBB119_2291
; %bb.2290:
	s_cmp_lt_i32 s11, 30
	s_cselect_b32 s12, -1, 0
	s_cmp_gt_i32 s11, 29
	s_cselect_b32 s13, -1, 0
.LBB119_2291:
	s_mov_b32 s14, 0
.LBB119_2292:
	s_delay_alu instid0(SALU_CYCLE_1)
	s_and_b32 vcc_lo, exec_lo, s14
	s_cbranch_vccz .LBB119_2297
; %bb.2293:
	s_cmp_gt_i32 s11, 14
	s_mov_b32 s14, -1
	s_cbranch_scc0 .LBB119_2295
; %bb.2294:
	s_cmp_eq_u32 s11, 15
	s_mov_b32 s14, 0
	s_cselect_b32 s12, -1, 0
	s_cmp_lg_u32 s11, 15
	s_cselect_b32 s13, -1, 0
.LBB119_2295:
	s_and_not1_b32 vcc_lo, exec_lo, s14
	s_cbranch_vccnz .LBB119_2297
; %bb.2296:
	s_cmp_lt_i32 s11, 12
	s_cselect_b32 s12, -1, 0
	s_cmp_gt_i32 s11, 11
	s_cselect_b32 s13, -1, 0
.LBB119_2297:
	s_delay_alu instid0(SALU_CYCLE_1)
	s_and_b32 vcc_lo, exec_lo, s13
	s_cbranch_vccnz .LBB119_2310
; %bb.2298:
	s_and_not1_b32 vcc_lo, exec_lo, s12
	s_cbranch_vccnz .LBB119_3280
.LBB119_2299:
	v_mov_b32_e32 v15, 0
	s_cmp_lt_i32 s6, 11
	s_delay_alu instid0(VALU_DEP_1)
	v_add_nc_u64_e32 v[14:15], s[0:1], v[14:15]
	s_cbranch_scc1 .LBB119_2306
; %bb.2300:
	s_cmp_gt_i32 s6, 25
	s_mov_b32 s13, 0
	s_cbranch_scc0 .LBB119_2307
; %bb.2301:
	s_cmp_gt_i32 s6, 28
	s_cbranch_scc0 .LBB119_2308
; %bb.2302:
	s_cmp_gt_i32 s6, 43
	;; [unrolled: 3-line block ×3, first 2 shown]
	s_cbranch_scc0 .LBB119_2314
; %bb.2304:
	s_cmp_eq_u32 s6, 46
	s_mov_b32 s15, 0
	s_cbranch_scc0 .LBB119_2315
; %bb.2305:
	global_load_b32 v5, v[14:15], off
	s_mov_b32 s12, 0
	s_mov_b32 s14, -1
	s_wait_loadcnt 0x0
	s_wait_xcnt 0x1
	v_lshlrev_b32_e32 v16, 16, v5
	s_branch .LBB119_2317
.LBB119_2306:
	s_mov_b32 s12, -1
	s_mov_b32 s14, 0
                                        ; implicit-def: $vgpr16
	s_branch .LBB119_2383
.LBB119_2307:
	s_mov_b32 s15, -1
	s_mov_b32 s14, 0
	s_mov_b32 s12, 0
                                        ; implicit-def: $vgpr16
	s_branch .LBB119_2346
.LBB119_2308:
	s_mov_b32 s15, -1
	s_mov_b32 s14, 0
	s_mov_b32 s12, 0
                                        ; implicit-def: $vgpr16
	s_branch .LBB119_2327
.LBB119_2309:
	s_or_b32 s10, s10, exec_lo
	s_trap 2
	s_cbranch_execz .LBB119_2227
	s_branch .LBB119_2228
.LBB119_2310:
	s_or_b32 s10, s10, exec_lo
	s_trap 2
	s_cbranch_execz .LBB119_2299
	s_branch .LBB119_3280
.LBB119_2311:
	s_mov_b32 s15, -1
	s_mov_b32 s14, 0
	s_mov_b32 s12, 0
                                        ; implicit-def: $vgpr16
	s_branch .LBB119_2322
.LBB119_2312:
	s_and_not1_saveexec_b32 s56, s56
	s_cbranch_execz .LBB119_1177
.LBB119_2313:
	v_add_f32_e64 v1, 0x42800000, |v4|
	s_and_not1_b32 s55, s55, exec_lo
	s_delay_alu instid0(VALU_DEP_1) | instskip(NEXT) | instid1(VALU_DEP_1)
	v_and_b32_e32 v1, 0xff, v1
	v_cmp_ne_u32_e32 vcc_lo, 0, v1
	s_and_b32 s57, vcc_lo, exec_lo
	s_delay_alu instid0(SALU_CYCLE_1)
	s_or_b32 s55, s55, s57
	s_or_b32 exec_lo, exec_lo, s56
	v_mov_b32_e32 v5, 0
	s_and_saveexec_b32 s56, s55
	s_cbranch_execnz .LBB119_1178
	s_branch .LBB119_1179
.LBB119_2314:
	s_mov_b32 s15, -1
	s_mov_b32 s14, 0
	s_mov_b32 s12, 0
	s_branch .LBB119_2316
.LBB119_2315:
	s_mov_b32 s12, -1
	s_mov_b32 s14, 0
.LBB119_2316:
                                        ; implicit-def: $vgpr16
.LBB119_2317:
	s_and_b32 vcc_lo, exec_lo, s15
	s_cbranch_vccz .LBB119_2321
; %bb.2318:
	s_cmp_eq_u32 s6, 44
	s_cbranch_scc0 .LBB119_2320
; %bb.2319:
	global_load_u8 v5, v[14:15], off
	s_mov_b32 s12, 0
	s_mov_b32 s14, -1
	s_wait_loadcnt 0x0
	v_lshlrev_b32_e32 v7, 23, v5
	v_cmp_ne_u32_e32 vcc_lo, 0xff, v5
	s_delay_alu instid0(VALU_DEP_2) | instskip(SKIP_2) | instid1(VALU_DEP_2)
	v_cndmask_b32_e32 v7, 0x7f800001, v7, vcc_lo
	v_cmp_ne_u32_e32 vcc_lo, 0, v5
	s_wait_xcnt 0x1
	v_cndmask_b32_e32 v16, 0x400000, v7, vcc_lo
	s_branch .LBB119_2321
.LBB119_2320:
	s_mov_b32 s12, -1
                                        ; implicit-def: $vgpr16
.LBB119_2321:
	s_mov_b32 s15, 0
.LBB119_2322:
	s_delay_alu instid0(SALU_CYCLE_1)
	s_and_b32 vcc_lo, exec_lo, s15
	s_cbranch_vccz .LBB119_2326
; %bb.2323:
	s_cmp_eq_u32 s6, 29
	s_cbranch_scc0 .LBB119_2325
; %bb.2324:
	global_load_b64 v[16:17], v[14:15], off
	s_mov_b32 s12, 0
	s_mov_b32 s14, -1
	s_mov_b32 s15, 0
	s_wait_loadcnt 0x0
	v_clz_i32_u32_e32 v5, v17
	s_delay_alu instid0(VALU_DEP_1) | instskip(NEXT) | instid1(VALU_DEP_1)
	v_min_u32_e32 v5, 32, v5
	v_lshlrev_b64_e32 v[16:17], v5, v[16:17]
	v_sub_nc_u32_e32 v5, 32, v5
	s_delay_alu instid0(VALU_DEP_2) | instskip(NEXT) | instid1(VALU_DEP_1)
	v_min_u32_e32 v7, 1, v16
	v_or_b32_e32 v7, v17, v7
	s_delay_alu instid0(VALU_DEP_1) | instskip(NEXT) | instid1(VALU_DEP_1)
	v_cvt_f32_u32_e32 v7, v7
	v_ldexp_f32 v16, v7, v5
	s_branch .LBB119_2327
.LBB119_2325:
	s_mov_b32 s12, -1
                                        ; implicit-def: $vgpr16
.LBB119_2326:
	s_mov_b32 s15, 0
.LBB119_2327:
	s_delay_alu instid0(SALU_CYCLE_1)
	s_and_b32 vcc_lo, exec_lo, s15
	s_cbranch_vccz .LBB119_2345
; %bb.2328:
	s_cmp_lt_i32 s6, 27
	s_cbranch_scc1 .LBB119_2331
; %bb.2329:
	s_cmp_gt_i32 s6, 27
	s_cbranch_scc0 .LBB119_2332
; %bb.2330:
	global_load_b32 v5, v[14:15], off
	s_mov_b32 s14, 0
	s_wait_loadcnt 0x0
	s_wait_xcnt 0x1
	v_cvt_f32_u32_e32 v16, v5
	s_branch .LBB119_2333
.LBB119_2331:
	s_mov_b32 s14, -1
                                        ; implicit-def: $vgpr16
	s_branch .LBB119_2336
.LBB119_2332:
	s_mov_b32 s14, -1
                                        ; implicit-def: $vgpr16
.LBB119_2333:
	s_delay_alu instid0(SALU_CYCLE_1)
	s_and_not1_b32 vcc_lo, exec_lo, s14
	s_cbranch_vccnz .LBB119_2335
; %bb.2334:
	global_load_u16 v5, v[14:15], off
	s_wait_loadcnt 0x0
	s_wait_xcnt 0x1
	v_cvt_f32_u32_e32 v16, v5
.LBB119_2335:
	s_mov_b32 s14, 0
.LBB119_2336:
	s_delay_alu instid0(SALU_CYCLE_1)
	s_and_not1_b32 vcc_lo, exec_lo, s14
	s_cbranch_vccnz .LBB119_2344
; %bb.2337:
	global_load_u8 v5, v[14:15], off
	s_mov_b32 s14, 0
	s_mov_b32 s15, exec_lo
	s_wait_loadcnt 0x0
	v_cmpx_lt_i16_e32 0x7f, v5
	s_xor_b32 s15, exec_lo, s15
	s_cbranch_execz .LBB119_2358
; %bb.2338:
	s_mov_b32 s14, -1
	s_mov_b32 s16, exec_lo
	v_cmpx_eq_u16_e32 0x80, v5
; %bb.2339:
	s_xor_b32 s14, exec_lo, -1
; %bb.2340:
	s_or_b32 exec_lo, exec_lo, s16
	s_delay_alu instid0(SALU_CYCLE_1)
	s_and_b32 s14, s14, exec_lo
	s_or_saveexec_b32 s15, s15
	v_mov_b32_e32 v16, 0x7f800001
	s_xor_b32 exec_lo, exec_lo, s15
	s_cbranch_execnz .LBB119_2359
.LBB119_2341:
	s_or_b32 exec_lo, exec_lo, s15
	s_and_saveexec_b32 s15, s14
	s_cbranch_execz .LBB119_2343
.LBB119_2342:
	v_and_b32_e32 v7, 0xffff, v5
	s_delay_alu instid0(VALU_DEP_1) | instskip(SKIP_1) | instid1(VALU_DEP_2)
	v_dual_lshlrev_b32 v5, 24, v5 :: v_dual_bitop2_b32 v9, 7, v7 bitop3:0x40
	v_bfe_u32 v16, v7, 3, 4
	v_and_b32_e32 v5, 0x80000000, v5
	s_delay_alu instid0(VALU_DEP_3) | instskip(NEXT) | instid1(VALU_DEP_3)
	v_clz_i32_u32_e32 v11, v9
	v_cmp_eq_u32_e32 vcc_lo, 0, v16
	s_delay_alu instid0(VALU_DEP_2) | instskip(NEXT) | instid1(VALU_DEP_1)
	v_min_u32_e32 v11, 32, v11
	v_subrev_nc_u32_e32 v13, 28, v11
	v_sub_nc_u32_e32 v11, 29, v11
	s_delay_alu instid0(VALU_DEP_2) | instskip(NEXT) | instid1(VALU_DEP_2)
	v_lshlrev_b32_e32 v7, v13, v7
	v_cndmask_b32_e32 v11, v16, v11, vcc_lo
	s_delay_alu instid0(VALU_DEP_2) | instskip(NEXT) | instid1(VALU_DEP_1)
	v_and_b32_e32 v7, 7, v7
	v_cndmask_b32_e32 v7, v9, v7, vcc_lo
	s_delay_alu instid0(VALU_DEP_3) | instskip(NEXT) | instid1(VALU_DEP_2)
	v_lshl_add_u32 v9, v11, 23, 0x3b800000
	v_lshlrev_b32_e32 v7, 20, v7
	s_delay_alu instid0(VALU_DEP_1)
	v_or3_b32 v16, v5, v9, v7
.LBB119_2343:
	s_or_b32 exec_lo, exec_lo, s15
.LBB119_2344:
	s_mov_b32 s14, -1
.LBB119_2345:
	s_mov_b32 s15, 0
.LBB119_2346:
	s_delay_alu instid0(SALU_CYCLE_1)
	s_and_b32 vcc_lo, exec_lo, s15
	s_cbranch_vccz .LBB119_2379
; %bb.2347:
	s_cmp_gt_i32 s6, 22
	s_cbranch_scc0 .LBB119_2357
; %bb.2348:
	s_cmp_lt_i32 s6, 24
	s_cbranch_scc1 .LBB119_2360
; %bb.2349:
	s_cmp_gt_i32 s6, 24
	s_cbranch_scc0 .LBB119_2361
; %bb.2350:
	global_load_u8 v5, v[14:15], off
	s_mov_b32 s14, exec_lo
	s_wait_loadcnt 0x0
	v_cmpx_lt_i16_e32 0x7f, v5
	s_xor_b32 s14, exec_lo, s14
	s_cbranch_execz .LBB119_2373
; %bb.2351:
	s_mov_b32 s13, -1
	s_mov_b32 s15, exec_lo
	v_cmpx_eq_u16_e32 0x80, v5
; %bb.2352:
	s_xor_b32 s13, exec_lo, -1
; %bb.2353:
	s_or_b32 exec_lo, exec_lo, s15
	s_delay_alu instid0(SALU_CYCLE_1)
	s_and_b32 s13, s13, exec_lo
	s_or_saveexec_b32 s14, s14
	v_mov_b32_e32 v16, 0x7f800001
	s_xor_b32 exec_lo, exec_lo, s14
	s_cbranch_execnz .LBB119_2374
.LBB119_2354:
	s_or_b32 exec_lo, exec_lo, s14
	s_and_saveexec_b32 s14, s13
	s_cbranch_execz .LBB119_2356
.LBB119_2355:
	v_and_b32_e32 v7, 0xffff, v5
	s_delay_alu instid0(VALU_DEP_1) | instskip(SKIP_1) | instid1(VALU_DEP_2)
	v_dual_lshlrev_b32 v5, 24, v5 :: v_dual_bitop2_b32 v9, 3, v7 bitop3:0x40
	v_bfe_u32 v16, v7, 2, 5
	v_and_b32_e32 v5, 0x80000000, v5
	s_delay_alu instid0(VALU_DEP_3) | instskip(NEXT) | instid1(VALU_DEP_3)
	v_clz_i32_u32_e32 v11, v9
	v_cmp_eq_u32_e32 vcc_lo, 0, v16
	s_delay_alu instid0(VALU_DEP_2) | instskip(NEXT) | instid1(VALU_DEP_1)
	v_min_u32_e32 v11, 32, v11
	v_subrev_nc_u32_e32 v13, 29, v11
	v_sub_nc_u32_e32 v11, 30, v11
	s_delay_alu instid0(VALU_DEP_2) | instskip(NEXT) | instid1(VALU_DEP_2)
	v_lshlrev_b32_e32 v7, v13, v7
	v_cndmask_b32_e32 v11, v16, v11, vcc_lo
	s_delay_alu instid0(VALU_DEP_2) | instskip(NEXT) | instid1(VALU_DEP_1)
	v_and_b32_e32 v7, 3, v7
	v_cndmask_b32_e32 v7, v9, v7, vcc_lo
	s_delay_alu instid0(VALU_DEP_3) | instskip(NEXT) | instid1(VALU_DEP_2)
	v_lshl_add_u32 v9, v11, 23, 0x37800000
	v_lshlrev_b32_e32 v7, 21, v7
	s_delay_alu instid0(VALU_DEP_1)
	v_or3_b32 v16, v5, v9, v7
.LBB119_2356:
	s_or_b32 exec_lo, exec_lo, s14
	s_mov_b32 s13, 0
	s_branch .LBB119_2362
.LBB119_2357:
	s_mov_b32 s13, -1
                                        ; implicit-def: $vgpr16
	s_branch .LBB119_2368
.LBB119_2358:
	s_or_saveexec_b32 s15, s15
	v_mov_b32_e32 v16, 0x7f800001
	s_xor_b32 exec_lo, exec_lo, s15
	s_cbranch_execz .LBB119_2341
.LBB119_2359:
	v_cmp_ne_u16_e32 vcc_lo, 0, v5
	v_mov_b32_e32 v16, 0
	s_and_not1_b32 s14, s14, exec_lo
	s_and_b32 s16, vcc_lo, exec_lo
	s_delay_alu instid0(SALU_CYCLE_1)
	s_or_b32 s14, s14, s16
	s_or_b32 exec_lo, exec_lo, s15
	s_and_saveexec_b32 s15, s14
	s_cbranch_execnz .LBB119_2342
	s_branch .LBB119_2343
.LBB119_2360:
	s_mov_b32 s13, -1
                                        ; implicit-def: $vgpr16
	s_branch .LBB119_2365
.LBB119_2361:
	s_mov_b32 s13, -1
                                        ; implicit-def: $vgpr16
.LBB119_2362:
	s_delay_alu instid0(SALU_CYCLE_1)
	s_and_b32 vcc_lo, exec_lo, s13
	s_cbranch_vccz .LBB119_2364
; %bb.2363:
	global_load_u8 v5, v[14:15], off
	s_wait_loadcnt 0x0
	v_lshlrev_b32_e32 v5, 24, v5
	s_delay_alu instid0(VALU_DEP_1) | instskip(NEXT) | instid1(VALU_DEP_1)
	v_and_b32_e32 v7, 0x7f000000, v5
	v_clz_i32_u32_e32 v9, v7
	v_add_nc_u32_e32 v13, 0x1000000, v7
	v_cmp_ne_u32_e32 vcc_lo, 0, v7
	s_delay_alu instid0(VALU_DEP_3) | instskip(NEXT) | instid1(VALU_DEP_1)
	v_min_u32_e32 v9, 32, v9
	v_sub_nc_u32_e64 v9, v9, 4 clamp
	s_delay_alu instid0(VALU_DEP_1) | instskip(NEXT) | instid1(VALU_DEP_1)
	v_dual_lshlrev_b32 v11, v9, v7 :: v_dual_lshlrev_b32 v9, 23, v9
	v_lshrrev_b32_e32 v11, 4, v11
	s_delay_alu instid0(VALU_DEP_1) | instskip(SKIP_1) | instid1(VALU_DEP_2)
	v_sub_nc_u32_e32 v9, v11, v9
	v_ashrrev_i32_e32 v11, 8, v13
	v_add_nc_u32_e32 v9, 0x3c000000, v9
	s_delay_alu instid0(VALU_DEP_1) | instskip(NEXT) | instid1(VALU_DEP_1)
	v_and_or_b32 v9, 0x7f800000, v11, v9
	v_cndmask_b32_e32 v7, 0, v9, vcc_lo
	s_wait_xcnt 0x1
	s_delay_alu instid0(VALU_DEP_1)
	v_and_or_b32 v16, 0x80000000, v5, v7
.LBB119_2364:
	s_mov_b32 s13, 0
.LBB119_2365:
	s_delay_alu instid0(SALU_CYCLE_1)
	s_and_not1_b32 vcc_lo, exec_lo, s13
	s_cbranch_vccnz .LBB119_2367
; %bb.2366:
	global_load_u8 v5, v[14:15], off
	s_wait_loadcnt 0x0
	v_lshlrev_b32_e32 v7, 25, v5
	v_lshlrev_b16 v5, 8, v5
	s_delay_alu instid0(VALU_DEP_1) | instskip(SKIP_1) | instid1(VALU_DEP_2)
	v_and_or_b32 v11, 0x7f00, v5, 0.5
	v_bfe_i32 v5, v5, 0, 16
	v_add_f32_e32 v11, -0.5, v11
	v_lshrrev_b32_e32 v9, 4, v7
	v_cmp_gt_u32_e32 vcc_lo, 0x8000000, v7
	s_delay_alu instid0(VALU_DEP_2) | instskip(NEXT) | instid1(VALU_DEP_1)
	v_or_b32_e32 v9, 0x70000000, v9
	v_mul_f32_e32 v9, 0x7800000, v9
	s_delay_alu instid0(VALU_DEP_1) | instskip(SKIP_1) | instid1(VALU_DEP_1)
	v_cndmask_b32_e32 v7, v9, v11, vcc_lo
	s_wait_xcnt 0x1
	v_and_or_b32 v16, 0x80000000, v5, v7
.LBB119_2367:
	s_mov_b32 s13, 0
	s_mov_b32 s14, -1
.LBB119_2368:
	s_and_not1_b32 vcc_lo, exec_lo, s13
	s_mov_b32 s13, 0
	s_cbranch_vccnz .LBB119_2379
; %bb.2369:
	s_cmp_gt_i32 s6, 14
	s_cbranch_scc0 .LBB119_2372
; %bb.2370:
	s_cmp_eq_u32 s6, 15
	s_cbranch_scc0 .LBB119_2375
; %bb.2371:
	global_load_u16 v5, v[14:15], off
	s_mov_b32 s12, 0
	s_mov_b32 s14, -1
	s_wait_loadcnt 0x0
	s_wait_xcnt 0x1
	v_lshlrev_b32_e32 v16, 16, v5
	s_branch .LBB119_2377
.LBB119_2372:
	s_mov_b32 s13, -1
	s_branch .LBB119_2376
.LBB119_2373:
	s_or_saveexec_b32 s14, s14
	v_mov_b32_e32 v16, 0x7f800001
	s_xor_b32 exec_lo, exec_lo, s14
	s_cbranch_execz .LBB119_2354
.LBB119_2374:
	v_cmp_ne_u16_e32 vcc_lo, 0, v5
	v_mov_b32_e32 v16, 0
	s_and_not1_b32 s13, s13, exec_lo
	s_and_b32 s15, vcc_lo, exec_lo
	s_delay_alu instid0(SALU_CYCLE_1)
	s_or_b32 s13, s13, s15
	s_or_b32 exec_lo, exec_lo, s14
	s_and_saveexec_b32 s14, s13
	s_cbranch_execnz .LBB119_2355
	s_branch .LBB119_2356
.LBB119_2375:
	s_mov_b32 s12, -1
.LBB119_2376:
                                        ; implicit-def: $vgpr16
.LBB119_2377:
	s_and_b32 vcc_lo, exec_lo, s13
	s_mov_b32 s13, 0
	s_cbranch_vccz .LBB119_2379
; %bb.2378:
	s_cmp_lg_u32 s6, 11
	s_mov_b32 s13, -1
	s_cselect_b32 s12, -1, 0
.LBB119_2379:
	s_delay_alu instid0(SALU_CYCLE_1)
	s_and_b32 vcc_lo, exec_lo, s12
	s_cbranch_vccnz .LBB119_2444
; %bb.2380:
	s_and_not1_b32 vcc_lo, exec_lo, s13
	s_cbranch_vccnz .LBB119_2382
.LBB119_2381:
	global_load_u8 v5, v[14:15], off
	s_mov_b32 s14, -1
	s_wait_loadcnt 0x0
	v_cmp_ne_u16_e32 vcc_lo, 0, v5
	s_wait_xcnt 0x1
	v_cndmask_b32_e64 v16, 0, 1.0, vcc_lo
.LBB119_2382:
	s_mov_b32 s12, 0
.LBB119_2383:
	s_delay_alu instid0(SALU_CYCLE_1)
	s_and_b32 vcc_lo, exec_lo, s12
	s_cbranch_vccz .LBB119_2432
; %bb.2384:
	s_cmp_lt_i32 s6, 5
	s_cbranch_scc1 .LBB119_2389
; %bb.2385:
	s_cmp_lt_i32 s6, 8
	s_cbranch_scc1 .LBB119_2390
	;; [unrolled: 3-line block ×3, first 2 shown]
; %bb.2387:
	s_cmp_gt_i32 s6, 9
	s_cbranch_scc0 .LBB119_2392
; %bb.2388:
	global_load_b64 v[16:17], v[14:15], off
	s_mov_b32 s12, 0
	s_wait_loadcnt 0x0
	v_cvt_f32_f64_e32 v16, v[16:17]
	s_branch .LBB119_2393
.LBB119_2389:
	s_mov_b32 s12, -1
                                        ; implicit-def: $vgpr16
	s_branch .LBB119_2411
.LBB119_2390:
	s_mov_b32 s12, -1
                                        ; implicit-def: $vgpr16
	s_branch .LBB119_2399
.LBB119_2391:
	s_mov_b32 s12, -1
                                        ; implicit-def: $vgpr16
	s_branch .LBB119_2396
.LBB119_2392:
	s_mov_b32 s12, -1
                                        ; implicit-def: $vgpr16
.LBB119_2393:
	s_delay_alu instid0(SALU_CYCLE_1)
	s_and_not1_b32 vcc_lo, exec_lo, s12
	s_cbranch_vccnz .LBB119_2395
; %bb.2394:
	global_load_b32 v16, v[14:15], off
.LBB119_2395:
	s_mov_b32 s12, 0
.LBB119_2396:
	s_delay_alu instid0(SALU_CYCLE_1)
	s_and_not1_b32 vcc_lo, exec_lo, s12
	s_cbranch_vccnz .LBB119_2398
; %bb.2397:
	global_load_b32 v5, v[14:15], off
	s_wait_loadcnt 0x0
	s_wait_xcnt 0x1
	v_cvt_f32_f16_e32 v16, v5
.LBB119_2398:
	s_mov_b32 s12, 0
.LBB119_2399:
	s_delay_alu instid0(SALU_CYCLE_1)
	s_and_not1_b32 vcc_lo, exec_lo, s12
	s_cbranch_vccnz .LBB119_2410
; %bb.2400:
	s_cmp_lt_i32 s6, 6
	s_cbranch_scc1 .LBB119_2403
; %bb.2401:
	s_cmp_gt_i32 s6, 6
	s_cbranch_scc0 .LBB119_2404
; %bb.2402:
	s_wait_loadcnt 0x0
	global_load_b64 v[16:17], v[14:15], off
	s_mov_b32 s12, 0
	s_wait_loadcnt 0x0
	v_cvt_f32_f64_e32 v16, v[16:17]
	s_branch .LBB119_2405
.LBB119_2403:
	s_mov_b32 s12, -1
                                        ; implicit-def: $vgpr16
	s_branch .LBB119_2408
.LBB119_2404:
	s_mov_b32 s12, -1
                                        ; implicit-def: $vgpr16
.LBB119_2405:
	s_delay_alu instid0(SALU_CYCLE_1)
	s_and_not1_b32 vcc_lo, exec_lo, s12
	s_cbranch_vccnz .LBB119_2407
; %bb.2406:
	s_wait_loadcnt 0x0
	global_load_b32 v16, v[14:15], off
.LBB119_2407:
	s_mov_b32 s12, 0
.LBB119_2408:
	s_delay_alu instid0(SALU_CYCLE_1)
	s_and_not1_b32 vcc_lo, exec_lo, s12
	s_cbranch_vccnz .LBB119_2410
; %bb.2409:
	global_load_u16 v5, v[14:15], off
	s_wait_loadcnt 0x0
	s_wait_xcnt 0x1
	v_cvt_f32_f16_e32 v16, v5
.LBB119_2410:
	s_mov_b32 s12, 0
.LBB119_2411:
	s_delay_alu instid0(SALU_CYCLE_1)
	s_and_not1_b32 vcc_lo, exec_lo, s12
	s_cbranch_vccnz .LBB119_2431
; %bb.2412:
	s_cmp_lt_i32 s6, 2
	s_cbranch_scc1 .LBB119_2416
; %bb.2413:
	s_cmp_lt_i32 s6, 3
	s_cbranch_scc1 .LBB119_2417
; %bb.2414:
	s_cmp_gt_i32 s6, 3
	s_cbranch_scc0 .LBB119_2418
; %bb.2415:
	s_wait_loadcnt 0x0
	global_load_b64 v[16:17], v[14:15], off
	s_mov_b32 s12, 0
	s_wait_loadcnt 0x0
	v_xor_b32_e32 v5, v16, v17
	v_cls_i32_e32 v7, v17
	s_delay_alu instid0(VALU_DEP_2) | instskip(NEXT) | instid1(VALU_DEP_1)
	v_ashrrev_i32_e32 v5, 31, v5
	v_add_nc_u32_e32 v5, 32, v5
	s_delay_alu instid0(VALU_DEP_1) | instskip(NEXT) | instid1(VALU_DEP_1)
	v_add_min_u32_e64 v5, v7, -1, v5
	v_lshlrev_b64_e32 v[16:17], v5, v[16:17]
	v_sub_nc_u32_e32 v5, 32, v5
	s_delay_alu instid0(VALU_DEP_2) | instskip(NEXT) | instid1(VALU_DEP_1)
	v_min_u32_e32 v7, 1, v16
	v_or_b32_e32 v7, v17, v7
	s_delay_alu instid0(VALU_DEP_1) | instskip(NEXT) | instid1(VALU_DEP_1)
	v_cvt_f32_i32_e32 v7, v7
	v_ldexp_f32 v16, v7, v5
	s_branch .LBB119_2419
.LBB119_2416:
	s_mov_b32 s12, -1
                                        ; implicit-def: $vgpr16
	s_branch .LBB119_2425
.LBB119_2417:
	s_mov_b32 s12, -1
                                        ; implicit-def: $vgpr16
	s_branch .LBB119_2422
.LBB119_2418:
	s_mov_b32 s12, -1
                                        ; implicit-def: $vgpr16
.LBB119_2419:
	s_delay_alu instid0(SALU_CYCLE_1)
	s_and_not1_b32 vcc_lo, exec_lo, s12
	s_cbranch_vccnz .LBB119_2421
; %bb.2420:
	global_load_b32 v5, v[14:15], off
	s_wait_loadcnt 0x0
	s_wait_xcnt 0x1
	v_cvt_f32_i32_e32 v16, v5
.LBB119_2421:
	s_mov_b32 s12, 0
.LBB119_2422:
	s_delay_alu instid0(SALU_CYCLE_1)
	s_and_not1_b32 vcc_lo, exec_lo, s12
	s_cbranch_vccnz .LBB119_2424
; %bb.2423:
	global_load_i16 v5, v[14:15], off
	s_wait_loadcnt 0x0
	s_wait_xcnt 0x1
	v_cvt_f32_i32_e32 v16, v5
.LBB119_2424:
	s_mov_b32 s12, 0
.LBB119_2425:
	s_delay_alu instid0(SALU_CYCLE_1)
	s_and_not1_b32 vcc_lo, exec_lo, s12
	s_cbranch_vccnz .LBB119_2431
; %bb.2426:
	s_cmp_gt_i32 s6, 0
	s_mov_b32 s12, 0
	s_cbranch_scc0 .LBB119_2428
; %bb.2427:
	global_load_i8 v5, v[14:15], off
	s_wait_loadcnt 0x0
	s_wait_xcnt 0x1
	v_cvt_f32_i32_e32 v16, v5
	s_branch .LBB119_2429
.LBB119_2428:
	s_mov_b32 s12, -1
                                        ; implicit-def: $vgpr16
.LBB119_2429:
	s_delay_alu instid0(SALU_CYCLE_1)
	s_and_not1_b32 vcc_lo, exec_lo, s12
	s_cbranch_vccnz .LBB119_2431
; %bb.2430:
	global_load_u8 v5, v[14:15], off
	s_wait_loadcnt 0x0
	s_wait_xcnt 0x1
	v_cvt_f32_ubyte0_e32 v16, v5
.LBB119_2431:
	s_mov_b32 s14, -1
.LBB119_2432:
	s_delay_alu instid0(SALU_CYCLE_1)
	s_and_not1_b32 vcc_lo, exec_lo, s14
	s_cbranch_vccnz .LBB119_3280
; %bb.2433:
	v_mov_b32_e32 v13, 0
	s_cmp_lt_i32 s7, 11
	s_delay_alu instid0(VALU_DEP_1)
	v_add_nc_u64_e32 v[12:13], s[4:5], v[12:13]
	s_cbranch_scc1 .LBB119_2440
; %bb.2434:
	s_cmp_gt_i32 s7, 25
	s_mov_b32 s13, 0
	s_cbranch_scc0 .LBB119_2441
; %bb.2435:
	s_cmp_gt_i32 s7, 28
	s_cbranch_scc0 .LBB119_2442
; %bb.2436:
	s_cmp_gt_i32 s7, 43
	;; [unrolled: 3-line block ×3, first 2 shown]
	s_cbranch_scc0 .LBB119_2445
; %bb.2438:
	s_cmp_eq_u32 s7, 46
	s_mov_b32 s15, 0
	s_cbranch_scc0 .LBB119_2446
; %bb.2439:
	global_load_b32 v5, v[12:13], off
	s_mov_b32 s12, 0
	s_mov_b32 s14, -1
	s_wait_loadcnt 0x0
	s_wait_xcnt 0x1
	v_lshlrev_b32_e32 v14, 16, v5
	s_branch .LBB119_2448
.LBB119_2440:
	s_mov_b32 s12, -1
	s_mov_b32 s14, 0
                                        ; implicit-def: $vgpr14
	s_branch .LBB119_2514
.LBB119_2441:
	s_mov_b32 s15, -1
	s_mov_b32 s14, 0
	s_mov_b32 s12, 0
                                        ; implicit-def: $vgpr14
	s_branch .LBB119_2477
.LBB119_2442:
	s_mov_b32 s15, -1
	s_mov_b32 s14, 0
	s_mov_b32 s12, 0
                                        ; implicit-def: $vgpr14
	s_branch .LBB119_2458
.LBB119_2443:
	s_mov_b32 s15, -1
	s_mov_b32 s14, 0
	s_mov_b32 s12, 0
                                        ; implicit-def: $vgpr14
	s_branch .LBB119_2453
.LBB119_2444:
	s_or_b32 s10, s10, exec_lo
	s_trap 2
	s_cbranch_execz .LBB119_2381
	s_branch .LBB119_2382
.LBB119_2445:
	s_mov_b32 s15, -1
	s_mov_b32 s14, 0
	s_mov_b32 s12, 0
	s_branch .LBB119_2447
.LBB119_2446:
	s_mov_b32 s12, -1
	s_mov_b32 s14, 0
.LBB119_2447:
                                        ; implicit-def: $vgpr14
.LBB119_2448:
	s_and_b32 vcc_lo, exec_lo, s15
	s_cbranch_vccz .LBB119_2452
; %bb.2449:
	s_cmp_eq_u32 s7, 44
	s_cbranch_scc0 .LBB119_2451
; %bb.2450:
	global_load_u8 v5, v[12:13], off
	s_mov_b32 s12, 0
	s_mov_b32 s14, -1
	s_wait_loadcnt 0x0
	v_lshlrev_b32_e32 v7, 23, v5
	v_cmp_ne_u32_e32 vcc_lo, 0xff, v5
	s_delay_alu instid0(VALU_DEP_2) | instskip(SKIP_2) | instid1(VALU_DEP_2)
	v_cndmask_b32_e32 v7, 0x7f800001, v7, vcc_lo
	v_cmp_ne_u32_e32 vcc_lo, 0, v5
	s_wait_xcnt 0x1
	v_cndmask_b32_e32 v14, 0x400000, v7, vcc_lo
	s_branch .LBB119_2452
.LBB119_2451:
	s_mov_b32 s12, -1
                                        ; implicit-def: $vgpr14
.LBB119_2452:
	s_mov_b32 s15, 0
.LBB119_2453:
	s_delay_alu instid0(SALU_CYCLE_1)
	s_and_b32 vcc_lo, exec_lo, s15
	s_cbranch_vccz .LBB119_2457
; %bb.2454:
	s_cmp_eq_u32 s7, 29
	s_cbranch_scc0 .LBB119_2456
; %bb.2455:
	global_load_b64 v[14:15], v[12:13], off
	s_mov_b32 s12, 0
	s_mov_b32 s14, -1
	s_mov_b32 s15, 0
	s_wait_loadcnt 0x0
	v_clz_i32_u32_e32 v5, v15
	s_delay_alu instid0(VALU_DEP_1) | instskip(NEXT) | instid1(VALU_DEP_1)
	v_min_u32_e32 v5, 32, v5
	v_lshlrev_b64_e32 v[14:15], v5, v[14:15]
	v_sub_nc_u32_e32 v5, 32, v5
	s_delay_alu instid0(VALU_DEP_2) | instskip(NEXT) | instid1(VALU_DEP_1)
	v_min_u32_e32 v7, 1, v14
	v_or_b32_e32 v7, v15, v7
	s_delay_alu instid0(VALU_DEP_1) | instskip(NEXT) | instid1(VALU_DEP_1)
	v_cvt_f32_u32_e32 v7, v7
	v_ldexp_f32 v14, v7, v5
	s_branch .LBB119_2458
.LBB119_2456:
	s_mov_b32 s12, -1
                                        ; implicit-def: $vgpr14
.LBB119_2457:
	s_mov_b32 s15, 0
.LBB119_2458:
	s_delay_alu instid0(SALU_CYCLE_1)
	s_and_b32 vcc_lo, exec_lo, s15
	s_cbranch_vccz .LBB119_2476
; %bb.2459:
	s_cmp_lt_i32 s7, 27
	s_cbranch_scc1 .LBB119_2462
; %bb.2460:
	s_cmp_gt_i32 s7, 27
	s_cbranch_scc0 .LBB119_2463
; %bb.2461:
	global_load_b32 v5, v[12:13], off
	s_mov_b32 s14, 0
	s_wait_loadcnt 0x0
	s_wait_xcnt 0x1
	v_cvt_f32_u32_e32 v14, v5
	s_branch .LBB119_2464
.LBB119_2462:
	s_mov_b32 s14, -1
                                        ; implicit-def: $vgpr14
	s_branch .LBB119_2467
.LBB119_2463:
	s_mov_b32 s14, -1
                                        ; implicit-def: $vgpr14
.LBB119_2464:
	s_delay_alu instid0(SALU_CYCLE_1)
	s_and_not1_b32 vcc_lo, exec_lo, s14
	s_cbranch_vccnz .LBB119_2466
; %bb.2465:
	global_load_u16 v5, v[12:13], off
	s_wait_loadcnt 0x0
	s_wait_xcnt 0x1
	v_cvt_f32_u32_e32 v14, v5
.LBB119_2466:
	s_mov_b32 s14, 0
.LBB119_2467:
	s_delay_alu instid0(SALU_CYCLE_1)
	s_and_not1_b32 vcc_lo, exec_lo, s14
	s_cbranch_vccnz .LBB119_2475
; %bb.2468:
	global_load_u8 v5, v[12:13], off
	s_mov_b32 s14, 0
	s_mov_b32 s15, exec_lo
	s_wait_loadcnt 0x0
	v_cmpx_lt_i16_e32 0x7f, v5
	s_xor_b32 s15, exec_lo, s15
	s_cbranch_execz .LBB119_2489
; %bb.2469:
	s_mov_b32 s14, -1
	s_mov_b32 s16, exec_lo
	v_cmpx_eq_u16_e32 0x80, v5
; %bb.2470:
	s_xor_b32 s14, exec_lo, -1
; %bb.2471:
	s_or_b32 exec_lo, exec_lo, s16
	s_delay_alu instid0(SALU_CYCLE_1)
	s_and_b32 s14, s14, exec_lo
	s_or_saveexec_b32 s15, s15
	v_mov_b32_e32 v14, 0x7f800001
	s_xor_b32 exec_lo, exec_lo, s15
	s_cbranch_execnz .LBB119_2490
.LBB119_2472:
	s_or_b32 exec_lo, exec_lo, s15
	s_and_saveexec_b32 s15, s14
	s_cbranch_execz .LBB119_2474
.LBB119_2473:
	v_and_b32_e32 v7, 0xffff, v5
	s_delay_alu instid0(VALU_DEP_1) | instskip(SKIP_1) | instid1(VALU_DEP_2)
	v_dual_lshlrev_b32 v5, 24, v5 :: v_dual_bitop2_b32 v9, 7, v7 bitop3:0x40
	v_bfe_u32 v15, v7, 3, 4
	v_and_b32_e32 v5, 0x80000000, v5
	s_delay_alu instid0(VALU_DEP_3) | instskip(NEXT) | instid1(VALU_DEP_3)
	v_clz_i32_u32_e32 v11, v9
	v_cmp_eq_u32_e32 vcc_lo, 0, v15
	s_delay_alu instid0(VALU_DEP_2) | instskip(NEXT) | instid1(VALU_DEP_1)
	v_min_u32_e32 v11, 32, v11
	v_subrev_nc_u32_e32 v14, 28, v11
	v_sub_nc_u32_e32 v11, 29, v11
	s_delay_alu instid0(VALU_DEP_2) | instskip(NEXT) | instid1(VALU_DEP_2)
	v_lshlrev_b32_e32 v7, v14, v7
	v_cndmask_b32_e32 v11, v15, v11, vcc_lo
	s_delay_alu instid0(VALU_DEP_2) | instskip(NEXT) | instid1(VALU_DEP_1)
	v_and_b32_e32 v7, 7, v7
	v_cndmask_b32_e32 v7, v9, v7, vcc_lo
	s_delay_alu instid0(VALU_DEP_3) | instskip(NEXT) | instid1(VALU_DEP_2)
	v_lshl_add_u32 v9, v11, 23, 0x3b800000
	v_lshlrev_b32_e32 v7, 20, v7
	s_delay_alu instid0(VALU_DEP_1)
	v_or3_b32 v14, v5, v9, v7
.LBB119_2474:
	s_or_b32 exec_lo, exec_lo, s15
.LBB119_2475:
	s_mov_b32 s14, -1
.LBB119_2476:
	s_mov_b32 s15, 0
.LBB119_2477:
	s_delay_alu instid0(SALU_CYCLE_1)
	s_and_b32 vcc_lo, exec_lo, s15
	s_cbranch_vccz .LBB119_2510
; %bb.2478:
	s_cmp_gt_i32 s7, 22
	s_cbranch_scc0 .LBB119_2488
; %bb.2479:
	s_cmp_lt_i32 s7, 24
	s_cbranch_scc1 .LBB119_2491
; %bb.2480:
	s_cmp_gt_i32 s7, 24
	s_cbranch_scc0 .LBB119_2492
; %bb.2481:
	global_load_u8 v5, v[12:13], off
	s_mov_b32 s14, exec_lo
	s_wait_loadcnt 0x0
	v_cmpx_lt_i16_e32 0x7f, v5
	s_xor_b32 s14, exec_lo, s14
	s_cbranch_execz .LBB119_2504
; %bb.2482:
	s_mov_b32 s13, -1
	s_mov_b32 s15, exec_lo
	v_cmpx_eq_u16_e32 0x80, v5
; %bb.2483:
	s_xor_b32 s13, exec_lo, -1
; %bb.2484:
	s_or_b32 exec_lo, exec_lo, s15
	s_delay_alu instid0(SALU_CYCLE_1)
	s_and_b32 s13, s13, exec_lo
	s_or_saveexec_b32 s14, s14
	v_mov_b32_e32 v14, 0x7f800001
	s_xor_b32 exec_lo, exec_lo, s14
	s_cbranch_execnz .LBB119_2505
.LBB119_2485:
	s_or_b32 exec_lo, exec_lo, s14
	s_and_saveexec_b32 s14, s13
	s_cbranch_execz .LBB119_2487
.LBB119_2486:
	v_and_b32_e32 v7, 0xffff, v5
	s_delay_alu instid0(VALU_DEP_1) | instskip(SKIP_1) | instid1(VALU_DEP_2)
	v_dual_lshlrev_b32 v5, 24, v5 :: v_dual_bitop2_b32 v9, 3, v7 bitop3:0x40
	v_bfe_u32 v15, v7, 2, 5
	v_and_b32_e32 v5, 0x80000000, v5
	s_delay_alu instid0(VALU_DEP_3) | instskip(NEXT) | instid1(VALU_DEP_3)
	v_clz_i32_u32_e32 v11, v9
	v_cmp_eq_u32_e32 vcc_lo, 0, v15
	s_delay_alu instid0(VALU_DEP_2) | instskip(NEXT) | instid1(VALU_DEP_1)
	v_min_u32_e32 v11, 32, v11
	v_subrev_nc_u32_e32 v14, 29, v11
	v_sub_nc_u32_e32 v11, 30, v11
	s_delay_alu instid0(VALU_DEP_2) | instskip(NEXT) | instid1(VALU_DEP_2)
	v_lshlrev_b32_e32 v7, v14, v7
	v_cndmask_b32_e32 v11, v15, v11, vcc_lo
	s_delay_alu instid0(VALU_DEP_2) | instskip(NEXT) | instid1(VALU_DEP_1)
	v_and_b32_e32 v7, 3, v7
	v_cndmask_b32_e32 v7, v9, v7, vcc_lo
	s_delay_alu instid0(VALU_DEP_3) | instskip(NEXT) | instid1(VALU_DEP_2)
	v_lshl_add_u32 v9, v11, 23, 0x37800000
	v_lshlrev_b32_e32 v7, 21, v7
	s_delay_alu instid0(VALU_DEP_1)
	v_or3_b32 v14, v5, v9, v7
.LBB119_2487:
	s_or_b32 exec_lo, exec_lo, s14
	s_mov_b32 s13, 0
	s_branch .LBB119_2493
.LBB119_2488:
	s_mov_b32 s13, -1
                                        ; implicit-def: $vgpr14
	s_branch .LBB119_2499
.LBB119_2489:
	s_or_saveexec_b32 s15, s15
	v_mov_b32_e32 v14, 0x7f800001
	s_xor_b32 exec_lo, exec_lo, s15
	s_cbranch_execz .LBB119_2472
.LBB119_2490:
	v_cmp_ne_u16_e32 vcc_lo, 0, v5
	v_mov_b32_e32 v14, 0
	s_and_not1_b32 s14, s14, exec_lo
	s_and_b32 s16, vcc_lo, exec_lo
	s_delay_alu instid0(SALU_CYCLE_1)
	s_or_b32 s14, s14, s16
	s_or_b32 exec_lo, exec_lo, s15
	s_and_saveexec_b32 s15, s14
	s_cbranch_execnz .LBB119_2473
	s_branch .LBB119_2474
.LBB119_2491:
	s_mov_b32 s13, -1
                                        ; implicit-def: $vgpr14
	s_branch .LBB119_2496
.LBB119_2492:
	s_mov_b32 s13, -1
                                        ; implicit-def: $vgpr14
.LBB119_2493:
	s_delay_alu instid0(SALU_CYCLE_1)
	s_and_b32 vcc_lo, exec_lo, s13
	s_cbranch_vccz .LBB119_2495
; %bb.2494:
	global_load_u8 v5, v[12:13], off
	s_wait_loadcnt 0x0
	v_lshlrev_b32_e32 v5, 24, v5
	s_delay_alu instid0(VALU_DEP_1) | instskip(NEXT) | instid1(VALU_DEP_1)
	v_and_b32_e32 v7, 0x7f000000, v5
	v_clz_i32_u32_e32 v9, v7
	v_cmp_ne_u32_e32 vcc_lo, 0, v7
	s_wait_xcnt 0x1
	v_add_nc_u32_e32 v14, 0x1000000, v7
	s_delay_alu instid0(VALU_DEP_3) | instskip(NEXT) | instid1(VALU_DEP_1)
	v_min_u32_e32 v9, 32, v9
	v_sub_nc_u32_e64 v9, v9, 4 clamp
	s_delay_alu instid0(VALU_DEP_1) | instskip(NEXT) | instid1(VALU_DEP_1)
	v_dual_lshlrev_b32 v11, v9, v7 :: v_dual_lshlrev_b32 v9, 23, v9
	v_lshrrev_b32_e32 v11, 4, v11
	s_delay_alu instid0(VALU_DEP_1) | instskip(NEXT) | instid1(VALU_DEP_1)
	v_dual_sub_nc_u32 v9, v11, v9 :: v_dual_ashrrev_i32 v11, 8, v14
	v_add_nc_u32_e32 v9, 0x3c000000, v9
	s_delay_alu instid0(VALU_DEP_1) | instskip(NEXT) | instid1(VALU_DEP_1)
	v_and_or_b32 v9, 0x7f800000, v11, v9
	v_cndmask_b32_e32 v7, 0, v9, vcc_lo
	s_delay_alu instid0(VALU_DEP_1)
	v_and_or_b32 v14, 0x80000000, v5, v7
.LBB119_2495:
	s_mov_b32 s13, 0
.LBB119_2496:
	s_delay_alu instid0(SALU_CYCLE_1)
	s_and_not1_b32 vcc_lo, exec_lo, s13
	s_cbranch_vccnz .LBB119_2498
; %bb.2497:
	global_load_u8 v5, v[12:13], off
	s_wait_loadcnt 0x0
	v_lshlrev_b32_e32 v7, 25, v5
	v_lshlrev_b16 v5, 8, v5
	s_delay_alu instid0(VALU_DEP_1) | instskip(SKIP_1) | instid1(VALU_DEP_2)
	v_and_or_b32 v11, 0x7f00, v5, 0.5
	v_bfe_i32 v5, v5, 0, 16
	v_add_f32_e32 v11, -0.5, v11
	v_lshrrev_b32_e32 v9, 4, v7
	v_cmp_gt_u32_e32 vcc_lo, 0x8000000, v7
	s_delay_alu instid0(VALU_DEP_2) | instskip(NEXT) | instid1(VALU_DEP_1)
	v_or_b32_e32 v9, 0x70000000, v9
	v_mul_f32_e32 v9, 0x7800000, v9
	s_delay_alu instid0(VALU_DEP_1) | instskip(SKIP_1) | instid1(VALU_DEP_1)
	v_cndmask_b32_e32 v7, v9, v11, vcc_lo
	s_wait_xcnt 0x1
	v_and_or_b32 v14, 0x80000000, v5, v7
.LBB119_2498:
	s_mov_b32 s13, 0
	s_mov_b32 s14, -1
.LBB119_2499:
	s_and_not1_b32 vcc_lo, exec_lo, s13
	s_mov_b32 s13, 0
	s_cbranch_vccnz .LBB119_2510
; %bb.2500:
	s_cmp_gt_i32 s7, 14
	s_cbranch_scc0 .LBB119_2503
; %bb.2501:
	s_cmp_eq_u32 s7, 15
	s_cbranch_scc0 .LBB119_2506
; %bb.2502:
	global_load_u16 v5, v[12:13], off
	s_mov_b32 s12, 0
	s_mov_b32 s14, -1
	s_wait_loadcnt 0x0
	s_wait_xcnt 0x1
	v_lshlrev_b32_e32 v14, 16, v5
	s_branch .LBB119_2508
.LBB119_2503:
	s_mov_b32 s13, -1
	s_branch .LBB119_2507
.LBB119_2504:
	s_or_saveexec_b32 s14, s14
	v_mov_b32_e32 v14, 0x7f800001
	s_xor_b32 exec_lo, exec_lo, s14
	s_cbranch_execz .LBB119_2485
.LBB119_2505:
	v_cmp_ne_u16_e32 vcc_lo, 0, v5
	v_mov_b32_e32 v14, 0
	s_and_not1_b32 s13, s13, exec_lo
	s_and_b32 s15, vcc_lo, exec_lo
	s_delay_alu instid0(SALU_CYCLE_1)
	s_or_b32 s13, s13, s15
	s_or_b32 exec_lo, exec_lo, s14
	s_and_saveexec_b32 s14, s13
	s_cbranch_execnz .LBB119_2486
	s_branch .LBB119_2487
.LBB119_2506:
	s_mov_b32 s12, -1
.LBB119_2507:
                                        ; implicit-def: $vgpr14
.LBB119_2508:
	s_and_b32 vcc_lo, exec_lo, s13
	s_mov_b32 s13, 0
	s_cbranch_vccz .LBB119_2510
; %bb.2509:
	s_cmp_lg_u32 s7, 11
	s_mov_b32 s13, -1
	s_cselect_b32 s12, -1, 0
.LBB119_2510:
	s_delay_alu instid0(SALU_CYCLE_1)
	s_and_b32 vcc_lo, exec_lo, s12
	s_cbranch_vccnz .LBB119_2594
; %bb.2511:
	s_and_not1_b32 vcc_lo, exec_lo, s13
	s_cbranch_vccnz .LBB119_2513
.LBB119_2512:
	global_load_u8 v5, v[12:13], off
	s_mov_b32 s14, -1
	s_wait_loadcnt 0x0
	v_cmp_ne_u16_e32 vcc_lo, 0, v5
	s_wait_xcnt 0x1
	v_cndmask_b32_e64 v14, 0, 1.0, vcc_lo
.LBB119_2513:
	s_mov_b32 s12, 0
.LBB119_2514:
	s_delay_alu instid0(SALU_CYCLE_1)
	s_and_b32 vcc_lo, exec_lo, s12
	s_cbranch_vccz .LBB119_2563
; %bb.2515:
	s_cmp_lt_i32 s7, 5
	s_cbranch_scc1 .LBB119_2520
; %bb.2516:
	s_cmp_lt_i32 s7, 8
	s_cbranch_scc1 .LBB119_2521
; %bb.2517:
	s_cmp_lt_i32 s7, 9
	s_cbranch_scc1 .LBB119_2522
; %bb.2518:
	s_cmp_gt_i32 s7, 9
	s_cbranch_scc0 .LBB119_2523
; %bb.2519:
	global_load_b64 v[14:15], v[12:13], off
	s_mov_b32 s12, 0
	s_wait_loadcnt 0x0
	v_cvt_f32_f64_e32 v14, v[14:15]
	s_branch .LBB119_2524
.LBB119_2520:
	s_mov_b32 s12, -1
                                        ; implicit-def: $vgpr14
	s_branch .LBB119_2542
.LBB119_2521:
	s_mov_b32 s12, -1
                                        ; implicit-def: $vgpr14
	s_branch .LBB119_2530
.LBB119_2522:
	s_mov_b32 s12, -1
                                        ; implicit-def: $vgpr14
	s_branch .LBB119_2527
.LBB119_2523:
	s_mov_b32 s12, -1
                                        ; implicit-def: $vgpr14
.LBB119_2524:
	s_delay_alu instid0(SALU_CYCLE_1)
	s_and_not1_b32 vcc_lo, exec_lo, s12
	s_cbranch_vccnz .LBB119_2526
; %bb.2525:
	global_load_b32 v14, v[12:13], off
.LBB119_2526:
	s_mov_b32 s12, 0
.LBB119_2527:
	s_delay_alu instid0(SALU_CYCLE_1)
	s_and_not1_b32 vcc_lo, exec_lo, s12
	s_cbranch_vccnz .LBB119_2529
; %bb.2528:
	global_load_b32 v5, v[12:13], off
	s_wait_loadcnt 0x0
	s_wait_xcnt 0x1
	v_cvt_f32_f16_e32 v14, v5
.LBB119_2529:
	s_mov_b32 s12, 0
.LBB119_2530:
	s_delay_alu instid0(SALU_CYCLE_1)
	s_and_not1_b32 vcc_lo, exec_lo, s12
	s_cbranch_vccnz .LBB119_2541
; %bb.2531:
	s_cmp_lt_i32 s7, 6
	s_cbranch_scc1 .LBB119_2534
; %bb.2532:
	s_cmp_gt_i32 s7, 6
	s_cbranch_scc0 .LBB119_2535
; %bb.2533:
	s_wait_loadcnt 0x0
	global_load_b64 v[14:15], v[12:13], off
	s_mov_b32 s12, 0
	s_wait_loadcnt 0x0
	v_cvt_f32_f64_e32 v14, v[14:15]
	s_branch .LBB119_2536
.LBB119_2534:
	s_mov_b32 s12, -1
                                        ; implicit-def: $vgpr14
	s_branch .LBB119_2539
.LBB119_2535:
	s_mov_b32 s12, -1
                                        ; implicit-def: $vgpr14
.LBB119_2536:
	s_delay_alu instid0(SALU_CYCLE_1)
	s_and_not1_b32 vcc_lo, exec_lo, s12
	s_cbranch_vccnz .LBB119_2538
; %bb.2537:
	s_wait_loadcnt 0x0
	global_load_b32 v14, v[12:13], off
.LBB119_2538:
	s_mov_b32 s12, 0
.LBB119_2539:
	s_delay_alu instid0(SALU_CYCLE_1)
	s_and_not1_b32 vcc_lo, exec_lo, s12
	s_cbranch_vccnz .LBB119_2541
; %bb.2540:
	global_load_u16 v5, v[12:13], off
	s_wait_loadcnt 0x0
	s_wait_xcnt 0x1
	v_cvt_f32_f16_e32 v14, v5
.LBB119_2541:
	s_mov_b32 s12, 0
.LBB119_2542:
	s_delay_alu instid0(SALU_CYCLE_1)
	s_and_not1_b32 vcc_lo, exec_lo, s12
	s_cbranch_vccnz .LBB119_2562
; %bb.2543:
	s_cmp_lt_i32 s7, 2
	s_cbranch_scc1 .LBB119_2547
; %bb.2544:
	s_cmp_lt_i32 s7, 3
	s_cbranch_scc1 .LBB119_2548
; %bb.2545:
	s_cmp_gt_i32 s7, 3
	s_cbranch_scc0 .LBB119_2549
; %bb.2546:
	s_wait_loadcnt 0x0
	global_load_b64 v[14:15], v[12:13], off
	s_mov_b32 s12, 0
	s_wait_loadcnt 0x0
	v_xor_b32_e32 v5, v14, v15
	v_cls_i32_e32 v7, v15
	s_delay_alu instid0(VALU_DEP_2) | instskip(NEXT) | instid1(VALU_DEP_1)
	v_ashrrev_i32_e32 v5, 31, v5
	v_add_nc_u32_e32 v5, 32, v5
	s_delay_alu instid0(VALU_DEP_1) | instskip(NEXT) | instid1(VALU_DEP_1)
	v_add_min_u32_e64 v5, v7, -1, v5
	v_lshlrev_b64_e32 v[14:15], v5, v[14:15]
	v_sub_nc_u32_e32 v5, 32, v5
	s_delay_alu instid0(VALU_DEP_2) | instskip(NEXT) | instid1(VALU_DEP_1)
	v_min_u32_e32 v7, 1, v14
	v_or_b32_e32 v7, v15, v7
	s_delay_alu instid0(VALU_DEP_1) | instskip(NEXT) | instid1(VALU_DEP_1)
	v_cvt_f32_i32_e32 v7, v7
	v_ldexp_f32 v14, v7, v5
	s_branch .LBB119_2550
.LBB119_2547:
	s_mov_b32 s12, -1
                                        ; implicit-def: $vgpr14
	s_branch .LBB119_2556
.LBB119_2548:
	s_mov_b32 s12, -1
                                        ; implicit-def: $vgpr14
	s_branch .LBB119_2553
.LBB119_2549:
	s_mov_b32 s12, -1
                                        ; implicit-def: $vgpr14
.LBB119_2550:
	s_delay_alu instid0(SALU_CYCLE_1)
	s_and_not1_b32 vcc_lo, exec_lo, s12
	s_cbranch_vccnz .LBB119_2552
; %bb.2551:
	global_load_b32 v5, v[12:13], off
	s_wait_loadcnt 0x0
	s_wait_xcnt 0x1
	v_cvt_f32_i32_e32 v14, v5
.LBB119_2552:
	s_mov_b32 s12, 0
.LBB119_2553:
	s_delay_alu instid0(SALU_CYCLE_1)
	s_and_not1_b32 vcc_lo, exec_lo, s12
	s_cbranch_vccnz .LBB119_2555
; %bb.2554:
	global_load_i16 v5, v[12:13], off
	s_wait_loadcnt 0x0
	s_wait_xcnt 0x1
	v_cvt_f32_i32_e32 v14, v5
.LBB119_2555:
	s_mov_b32 s12, 0
.LBB119_2556:
	s_delay_alu instid0(SALU_CYCLE_1)
	s_and_not1_b32 vcc_lo, exec_lo, s12
	s_cbranch_vccnz .LBB119_2562
; %bb.2557:
	s_cmp_gt_i32 s7, 0
	s_mov_b32 s12, 0
	s_cbranch_scc0 .LBB119_2559
; %bb.2558:
	global_load_i8 v5, v[12:13], off
	s_wait_loadcnt 0x0
	s_wait_xcnt 0x1
	v_cvt_f32_i32_e32 v14, v5
	s_branch .LBB119_2560
.LBB119_2559:
	s_mov_b32 s12, -1
                                        ; implicit-def: $vgpr14
.LBB119_2560:
	s_delay_alu instid0(SALU_CYCLE_1)
	s_and_not1_b32 vcc_lo, exec_lo, s12
	s_cbranch_vccnz .LBB119_2562
; %bb.2561:
	global_load_u8 v5, v[12:13], off
	s_wait_loadcnt 0x0
	s_wait_xcnt 0x1
	v_cvt_f32_ubyte0_e32 v14, v5
.LBB119_2562:
	s_mov_b32 s14, -1
.LBB119_2563:
	s_delay_alu instid0(SALU_CYCLE_1)
	s_and_not1_b32 vcc_lo, exec_lo, s14
	s_cbranch_vccnz .LBB119_3280
; %bb.2564:
	s_cmp_lt_i32 s11, 23
	s_cbranch_scc1 .LBB119_2568
; %bb.2565:
	s_cmp_gt_i32 s11, 43
	s_cbranch_scc0 .LBB119_2569
; %bb.2566:
	s_cmp_gt_i32 s11, 45
	s_cbranch_scc0 .LBB119_2570
; %bb.2567:
	s_cmp_lg_u32 s11, 46
	s_mov_b32 s14, 0
	s_mov_b32 s12, -1
	s_cselect_b32 s13, -1, 0
	s_branch .LBB119_2571
.LBB119_2568:
	s_mov_b32 s14, -1
	s_mov_b32 s12, 0
	s_mov_b32 s13, 0
	s_branch .LBB119_2577
.LBB119_2569:
	s_mov_b32 s14, -1
	s_mov_b32 s12, 0
	s_mov_b32 s13, 0
	s_branch .LBB119_2574
.LBB119_2570:
	s_mov_b32 s14, -1
	s_mov_b32 s12, 0
	s_mov_b32 s13, 0
.LBB119_2571:
	s_and_not1_b32 vcc_lo, exec_lo, s14
	s_cbranch_vccnz .LBB119_2573
; %bb.2572:
	s_cmp_eq_u32 s11, 44
	s_cselect_b32 s12, -1, 0
	s_cmp_lg_u32 s11, 44
	s_cselect_b32 s13, -1, 0
.LBB119_2573:
	s_mov_b32 s14, 0
.LBB119_2574:
	s_delay_alu instid0(SALU_CYCLE_1)
	s_and_b32 vcc_lo, exec_lo, s14
	s_cbranch_vccz .LBB119_2576
; %bb.2575:
	s_cmp_lt_i32 s11, 30
	s_cselect_b32 s12, -1, 0
	s_cmp_gt_i32 s11, 29
	s_cselect_b32 s13, -1, 0
.LBB119_2576:
	s_mov_b32 s14, 0
.LBB119_2577:
	s_delay_alu instid0(SALU_CYCLE_1)
	s_and_b32 vcc_lo, exec_lo, s14
	s_cbranch_vccz .LBB119_2582
; %bb.2578:
	s_cmp_gt_i32 s11, 14
	s_mov_b32 s14, -1
	s_cbranch_scc0 .LBB119_2580
; %bb.2579:
	s_cmp_eq_u32 s11, 15
	s_mov_b32 s14, 0
	s_cselect_b32 s12, -1, 0
	s_cmp_lg_u32 s11, 15
	s_cselect_b32 s13, -1, 0
.LBB119_2580:
	s_and_not1_b32 vcc_lo, exec_lo, s14
	s_cbranch_vccnz .LBB119_2582
; %bb.2581:
	s_cmp_lt_i32 s11, 12
	s_cselect_b32 s12, -1, 0
	s_cmp_gt_i32 s11, 11
	s_cselect_b32 s13, -1, 0
.LBB119_2582:
	s_delay_alu instid0(SALU_CYCLE_1)
	s_and_b32 vcc_lo, exec_lo, s13
	s_cbranch_vccnz .LBB119_2595
; %bb.2583:
	s_and_not1_b32 vcc_lo, exec_lo, s12
	s_cbranch_vccnz .LBB119_3280
.LBB119_2584:
	v_mov_b32_e32 v11, 0
	s_cmp_lt_i32 s6, 11
	s_delay_alu instid0(VALU_DEP_1)
	v_add_nc_u64_e32 v[10:11], s[0:1], v[10:11]
	s_cbranch_scc1 .LBB119_2591
; %bb.2585:
	s_cmp_gt_i32 s6, 25
	s_mov_b32 s1, 0
	s_cbranch_scc0 .LBB119_2592
; %bb.2586:
	s_cmp_gt_i32 s6, 28
	s_cbranch_scc0 .LBB119_2593
; %bb.2587:
	s_cmp_gt_i32 s6, 43
	;; [unrolled: 3-line block ×3, first 2 shown]
	s_cbranch_scc0 .LBB119_2597
; %bb.2589:
	s_cmp_eq_u32 s6, 46
	s_mov_b32 s12, 0
	s_cbranch_scc0 .LBB119_2598
; %bb.2590:
	global_load_b32 v5, v[10:11], off
	s_mov_b32 s0, 0
	s_mov_b32 s11, -1
	s_wait_loadcnt 0x0
	s_wait_xcnt 0x1
	v_lshlrev_b32_e32 v12, 16, v5
	s_branch .LBB119_2600
.LBB119_2591:
	s_mov_b32 s0, -1
	s_mov_b32 s11, 0
                                        ; implicit-def: $vgpr12
	s_branch .LBB119_2666
.LBB119_2592:
	s_mov_b32 s12, -1
	s_mov_b32 s11, 0
	s_mov_b32 s0, 0
                                        ; implicit-def: $vgpr12
	s_branch .LBB119_2629
.LBB119_2593:
	s_mov_b32 s12, -1
	s_mov_b32 s11, 0
	s_mov_b32 s0, 0
                                        ; implicit-def: $vgpr12
	s_branch .LBB119_2610
.LBB119_2594:
	s_or_b32 s10, s10, exec_lo
	s_trap 2
	s_cbranch_execz .LBB119_2512
	s_branch .LBB119_2513
.LBB119_2595:
	s_or_b32 s10, s10, exec_lo
	s_trap 2
	s_cbranch_execz .LBB119_2584
	s_branch .LBB119_3280
.LBB119_2596:
	s_mov_b32 s12, -1
	s_mov_b32 s11, 0
	s_mov_b32 s0, 0
                                        ; implicit-def: $vgpr12
	s_branch .LBB119_2605
.LBB119_2597:
	s_mov_b32 s12, -1
	s_mov_b32 s11, 0
	s_mov_b32 s0, 0
	s_branch .LBB119_2599
.LBB119_2598:
	s_mov_b32 s0, -1
	s_mov_b32 s11, 0
.LBB119_2599:
                                        ; implicit-def: $vgpr12
.LBB119_2600:
	s_and_b32 vcc_lo, exec_lo, s12
	s_cbranch_vccz .LBB119_2604
; %bb.2601:
	s_cmp_eq_u32 s6, 44
	s_cbranch_scc0 .LBB119_2603
; %bb.2602:
	global_load_u8 v5, v[10:11], off
	s_mov_b32 s0, 0
	s_mov_b32 s11, -1
	s_wait_loadcnt 0x0
	v_lshlrev_b32_e32 v7, 23, v5
	v_cmp_ne_u32_e32 vcc_lo, 0xff, v5
	s_delay_alu instid0(VALU_DEP_2) | instskip(SKIP_2) | instid1(VALU_DEP_2)
	v_cndmask_b32_e32 v7, 0x7f800001, v7, vcc_lo
	v_cmp_ne_u32_e32 vcc_lo, 0, v5
	s_wait_xcnt 0x1
	v_cndmask_b32_e32 v12, 0x400000, v7, vcc_lo
	s_branch .LBB119_2604
.LBB119_2603:
	s_mov_b32 s0, -1
                                        ; implicit-def: $vgpr12
.LBB119_2604:
	s_mov_b32 s12, 0
.LBB119_2605:
	s_delay_alu instid0(SALU_CYCLE_1)
	s_and_b32 vcc_lo, exec_lo, s12
	s_cbranch_vccz .LBB119_2609
; %bb.2606:
	s_cmp_eq_u32 s6, 29
	s_cbranch_scc0 .LBB119_2608
; %bb.2607:
	global_load_b64 v[12:13], v[10:11], off
	s_mov_b32 s0, 0
	s_mov_b32 s11, -1
	s_mov_b32 s12, 0
	s_wait_loadcnt 0x0
	v_clz_i32_u32_e32 v5, v13
	s_delay_alu instid0(VALU_DEP_1) | instskip(NEXT) | instid1(VALU_DEP_1)
	v_min_u32_e32 v5, 32, v5
	v_lshlrev_b64_e32 v[12:13], v5, v[12:13]
	v_sub_nc_u32_e32 v5, 32, v5
	s_delay_alu instid0(VALU_DEP_2) | instskip(NEXT) | instid1(VALU_DEP_1)
	v_min_u32_e32 v7, 1, v12
	v_or_b32_e32 v7, v13, v7
	s_delay_alu instid0(VALU_DEP_1) | instskip(NEXT) | instid1(VALU_DEP_1)
	v_cvt_f32_u32_e32 v7, v7
	v_ldexp_f32 v12, v7, v5
	s_branch .LBB119_2610
.LBB119_2608:
	s_mov_b32 s0, -1
                                        ; implicit-def: $vgpr12
.LBB119_2609:
	s_mov_b32 s12, 0
.LBB119_2610:
	s_delay_alu instid0(SALU_CYCLE_1)
	s_and_b32 vcc_lo, exec_lo, s12
	s_cbranch_vccz .LBB119_2628
; %bb.2611:
	s_cmp_lt_i32 s6, 27
	s_cbranch_scc1 .LBB119_2614
; %bb.2612:
	s_cmp_gt_i32 s6, 27
	s_cbranch_scc0 .LBB119_2615
; %bb.2613:
	global_load_b32 v5, v[10:11], off
	s_mov_b32 s11, 0
	s_wait_loadcnt 0x0
	s_wait_xcnt 0x1
	v_cvt_f32_u32_e32 v12, v5
	s_branch .LBB119_2616
.LBB119_2614:
	s_mov_b32 s11, -1
                                        ; implicit-def: $vgpr12
	s_branch .LBB119_2619
.LBB119_2615:
	s_mov_b32 s11, -1
                                        ; implicit-def: $vgpr12
.LBB119_2616:
	s_delay_alu instid0(SALU_CYCLE_1)
	s_and_not1_b32 vcc_lo, exec_lo, s11
	s_cbranch_vccnz .LBB119_2618
; %bb.2617:
	global_load_u16 v5, v[10:11], off
	s_wait_loadcnt 0x0
	s_wait_xcnt 0x1
	v_cvt_f32_u32_e32 v12, v5
.LBB119_2618:
	s_mov_b32 s11, 0
.LBB119_2619:
	s_delay_alu instid0(SALU_CYCLE_1)
	s_and_not1_b32 vcc_lo, exec_lo, s11
	s_cbranch_vccnz .LBB119_2627
; %bb.2620:
	global_load_u8 v5, v[10:11], off
	s_mov_b32 s11, 0
	s_mov_b32 s12, exec_lo
	s_wait_loadcnt 0x0
	v_cmpx_lt_i16_e32 0x7f, v5
	s_xor_b32 s12, exec_lo, s12
	s_cbranch_execz .LBB119_2641
; %bb.2621:
	s_mov_b32 s11, -1
	s_mov_b32 s13, exec_lo
	v_cmpx_eq_u16_e32 0x80, v5
; %bb.2622:
	s_xor_b32 s11, exec_lo, -1
; %bb.2623:
	s_or_b32 exec_lo, exec_lo, s13
	s_delay_alu instid0(SALU_CYCLE_1)
	s_and_b32 s11, s11, exec_lo
	s_or_saveexec_b32 s12, s12
	v_mov_b32_e32 v12, 0x7f800001
	s_xor_b32 exec_lo, exec_lo, s12
	s_cbranch_execnz .LBB119_2642
.LBB119_2624:
	s_or_b32 exec_lo, exec_lo, s12
	s_and_saveexec_b32 s12, s11
	s_cbranch_execz .LBB119_2626
.LBB119_2625:
	v_and_b32_e32 v7, 0xffff, v5
	s_delay_alu instid0(VALU_DEP_1) | instskip(SKIP_1) | instid1(VALU_DEP_2)
	v_and_b32_e32 v9, 7, v7
	v_bfe_u32 v15, v7, 3, 4
	v_clz_i32_u32_e32 v12, v9
	s_delay_alu instid0(VALU_DEP_2) | instskip(NEXT) | instid1(VALU_DEP_2)
	v_cmp_eq_u32_e32 vcc_lo, 0, v15
	v_min_u32_e32 v12, 32, v12
	s_delay_alu instid0(VALU_DEP_1) | instskip(NEXT) | instid1(VALU_DEP_1)
	v_subrev_nc_u32_e32 v13, 28, v12
	v_dual_lshlrev_b32 v7, v13, v7 :: v_dual_sub_nc_u32 v12, 29, v12
	s_delay_alu instid0(VALU_DEP_1) | instskip(NEXT) | instid1(VALU_DEP_1)
	v_dual_lshlrev_b32 v5, 24, v5 :: v_dual_bitop2_b32 v7, 7, v7 bitop3:0x40
	v_dual_cndmask_b32 v12, v15, v12 :: v_dual_cndmask_b32 v7, v9, v7
	s_delay_alu instid0(VALU_DEP_2) | instskip(NEXT) | instid1(VALU_DEP_2)
	v_and_b32_e32 v5, 0x80000000, v5
	v_lshl_add_u32 v9, v12, 23, 0x3b800000
	s_delay_alu instid0(VALU_DEP_3) | instskip(NEXT) | instid1(VALU_DEP_1)
	v_lshlrev_b32_e32 v7, 20, v7
	v_or3_b32 v12, v5, v9, v7
.LBB119_2626:
	s_or_b32 exec_lo, exec_lo, s12
.LBB119_2627:
	s_mov_b32 s11, -1
.LBB119_2628:
	s_mov_b32 s12, 0
.LBB119_2629:
	s_delay_alu instid0(SALU_CYCLE_1)
	s_and_b32 vcc_lo, exec_lo, s12
	s_cbranch_vccz .LBB119_2662
; %bb.2630:
	s_cmp_gt_i32 s6, 22
	s_cbranch_scc0 .LBB119_2640
; %bb.2631:
	s_cmp_lt_i32 s6, 24
	s_cbranch_scc1 .LBB119_2643
; %bb.2632:
	s_cmp_gt_i32 s6, 24
	s_cbranch_scc0 .LBB119_2644
; %bb.2633:
	global_load_u8 v5, v[10:11], off
	s_mov_b32 s11, exec_lo
	s_wait_loadcnt 0x0
	v_cmpx_lt_i16_e32 0x7f, v5
	s_xor_b32 s11, exec_lo, s11
	s_cbranch_execz .LBB119_2656
; %bb.2634:
	s_mov_b32 s1, -1
	s_mov_b32 s12, exec_lo
	v_cmpx_eq_u16_e32 0x80, v5
; %bb.2635:
	s_xor_b32 s1, exec_lo, -1
; %bb.2636:
	s_or_b32 exec_lo, exec_lo, s12
	s_delay_alu instid0(SALU_CYCLE_1)
	s_and_b32 s1, s1, exec_lo
	s_or_saveexec_b32 s11, s11
	v_mov_b32_e32 v12, 0x7f800001
	s_xor_b32 exec_lo, exec_lo, s11
	s_cbranch_execnz .LBB119_2657
.LBB119_2637:
	s_or_b32 exec_lo, exec_lo, s11
	s_and_saveexec_b32 s11, s1
	s_cbranch_execz .LBB119_2639
.LBB119_2638:
	v_and_b32_e32 v7, 0xffff, v5
	s_delay_alu instid0(VALU_DEP_1) | instskip(SKIP_1) | instid1(VALU_DEP_2)
	v_and_b32_e32 v9, 3, v7
	v_bfe_u32 v15, v7, 2, 5
	v_clz_i32_u32_e32 v12, v9
	s_delay_alu instid0(VALU_DEP_2) | instskip(NEXT) | instid1(VALU_DEP_2)
	v_cmp_eq_u32_e32 vcc_lo, 0, v15
	v_min_u32_e32 v12, 32, v12
	s_delay_alu instid0(VALU_DEP_1) | instskip(NEXT) | instid1(VALU_DEP_1)
	v_subrev_nc_u32_e32 v13, 29, v12
	v_dual_lshlrev_b32 v7, v13, v7 :: v_dual_sub_nc_u32 v12, 30, v12
	s_delay_alu instid0(VALU_DEP_1) | instskip(NEXT) | instid1(VALU_DEP_1)
	v_dual_lshlrev_b32 v5, 24, v5 :: v_dual_bitop2_b32 v7, 3, v7 bitop3:0x40
	v_dual_cndmask_b32 v12, v15, v12 :: v_dual_cndmask_b32 v7, v9, v7
	s_delay_alu instid0(VALU_DEP_2) | instskip(NEXT) | instid1(VALU_DEP_2)
	v_and_b32_e32 v5, 0x80000000, v5
	v_lshl_add_u32 v9, v12, 23, 0x37800000
	s_delay_alu instid0(VALU_DEP_3) | instskip(NEXT) | instid1(VALU_DEP_1)
	v_lshlrev_b32_e32 v7, 21, v7
	v_or3_b32 v12, v5, v9, v7
.LBB119_2639:
	s_or_b32 exec_lo, exec_lo, s11
	s_mov_b32 s1, 0
	s_branch .LBB119_2645
.LBB119_2640:
	s_mov_b32 s1, -1
                                        ; implicit-def: $vgpr12
	s_branch .LBB119_2651
.LBB119_2641:
	s_or_saveexec_b32 s12, s12
	v_mov_b32_e32 v12, 0x7f800001
	s_xor_b32 exec_lo, exec_lo, s12
	s_cbranch_execz .LBB119_2624
.LBB119_2642:
	v_cmp_ne_u16_e32 vcc_lo, 0, v5
	v_mov_b32_e32 v12, 0
	s_and_not1_b32 s11, s11, exec_lo
	s_and_b32 s13, vcc_lo, exec_lo
	s_delay_alu instid0(SALU_CYCLE_1)
	s_or_b32 s11, s11, s13
	s_or_b32 exec_lo, exec_lo, s12
	s_and_saveexec_b32 s12, s11
	s_cbranch_execnz .LBB119_2625
	s_branch .LBB119_2626
.LBB119_2643:
	s_mov_b32 s1, -1
                                        ; implicit-def: $vgpr12
	s_branch .LBB119_2648
.LBB119_2644:
	s_mov_b32 s1, -1
                                        ; implicit-def: $vgpr12
.LBB119_2645:
	s_delay_alu instid0(SALU_CYCLE_1)
	s_and_b32 vcc_lo, exec_lo, s1
	s_cbranch_vccz .LBB119_2647
; %bb.2646:
	global_load_u8 v5, v[10:11], off
	s_wait_loadcnt 0x0
	v_lshlrev_b32_e32 v5, 24, v5
	s_delay_alu instid0(VALU_DEP_1) | instskip(NEXT) | instid1(VALU_DEP_1)
	v_and_b32_e32 v7, 0x7f000000, v5
	v_clz_i32_u32_e32 v9, v7
	s_wait_xcnt 0x1
	v_add_nc_u32_e32 v13, 0x1000000, v7
	v_cmp_ne_u32_e32 vcc_lo, 0, v7
	s_delay_alu instid0(VALU_DEP_3) | instskip(NEXT) | instid1(VALU_DEP_1)
	v_min_u32_e32 v9, 32, v9
	v_sub_nc_u32_e64 v9, v9, 4 clamp
	s_delay_alu instid0(VALU_DEP_1) | instskip(NEXT) | instid1(VALU_DEP_1)
	v_dual_lshlrev_b32 v12, v9, v7 :: v_dual_lshlrev_b32 v9, 23, v9
	v_lshrrev_b32_e32 v12, 4, v12
	s_delay_alu instid0(VALU_DEP_1) | instskip(SKIP_1) | instid1(VALU_DEP_2)
	v_sub_nc_u32_e32 v9, v12, v9
	v_ashrrev_i32_e32 v12, 8, v13
	v_add_nc_u32_e32 v9, 0x3c000000, v9
	s_delay_alu instid0(VALU_DEP_1) | instskip(NEXT) | instid1(VALU_DEP_1)
	v_and_or_b32 v9, 0x7f800000, v12, v9
	v_cndmask_b32_e32 v7, 0, v9, vcc_lo
	s_delay_alu instid0(VALU_DEP_1)
	v_and_or_b32 v12, 0x80000000, v5, v7
.LBB119_2647:
	s_mov_b32 s1, 0
.LBB119_2648:
	s_delay_alu instid0(SALU_CYCLE_1)
	s_and_not1_b32 vcc_lo, exec_lo, s1
	s_cbranch_vccnz .LBB119_2650
; %bb.2649:
	global_load_u8 v5, v[10:11], off
	s_wait_loadcnt 0x0
	v_lshlrev_b32_e32 v7, 25, v5
	v_lshlrev_b16 v5, 8, v5
	s_wait_xcnt 0x1
	s_delay_alu instid0(VALU_DEP_1) | instskip(SKIP_1) | instid1(VALU_DEP_2)
	v_and_or_b32 v12, 0x7f00, v5, 0.5
	v_bfe_i32 v5, v5, 0, 16
	v_dual_add_f32 v12, -0.5, v12 :: v_dual_lshrrev_b32 v9, 4, v7
	v_cmp_gt_u32_e32 vcc_lo, 0x8000000, v7
	s_delay_alu instid0(VALU_DEP_2) | instskip(NEXT) | instid1(VALU_DEP_1)
	v_or_b32_e32 v9, 0x70000000, v9
	v_mul_f32_e32 v9, 0x7800000, v9
	s_delay_alu instid0(VALU_DEP_1) | instskip(NEXT) | instid1(VALU_DEP_1)
	v_cndmask_b32_e32 v7, v9, v12, vcc_lo
	v_and_or_b32 v12, 0x80000000, v5, v7
.LBB119_2650:
	s_mov_b32 s1, 0
	s_mov_b32 s11, -1
.LBB119_2651:
	s_and_not1_b32 vcc_lo, exec_lo, s1
	s_mov_b32 s1, 0
	s_cbranch_vccnz .LBB119_2662
; %bb.2652:
	s_cmp_gt_i32 s6, 14
	s_cbranch_scc0 .LBB119_2655
; %bb.2653:
	s_cmp_eq_u32 s6, 15
	s_cbranch_scc0 .LBB119_2658
; %bb.2654:
	global_load_u16 v5, v[10:11], off
	s_mov_b32 s0, 0
	s_mov_b32 s11, -1
	s_wait_loadcnt 0x0
	s_wait_xcnt 0x1
	v_lshlrev_b32_e32 v12, 16, v5
	s_branch .LBB119_2660
.LBB119_2655:
	s_mov_b32 s1, -1
	s_branch .LBB119_2659
.LBB119_2656:
	s_or_saveexec_b32 s11, s11
	v_mov_b32_e32 v12, 0x7f800001
	s_xor_b32 exec_lo, exec_lo, s11
	s_cbranch_execz .LBB119_2637
.LBB119_2657:
	v_cmp_ne_u16_e32 vcc_lo, 0, v5
	v_mov_b32_e32 v12, 0
	s_and_not1_b32 s1, s1, exec_lo
	s_and_b32 s12, vcc_lo, exec_lo
	s_delay_alu instid0(SALU_CYCLE_1)
	s_or_b32 s1, s1, s12
	s_or_b32 exec_lo, exec_lo, s11
	s_and_saveexec_b32 s11, s1
	s_cbranch_execnz .LBB119_2638
	s_branch .LBB119_2639
.LBB119_2658:
	s_mov_b32 s0, -1
.LBB119_2659:
                                        ; implicit-def: $vgpr12
.LBB119_2660:
	s_and_b32 vcc_lo, exec_lo, s1
	s_mov_b32 s1, 0
	s_cbranch_vccz .LBB119_2662
; %bb.2661:
	s_cmp_lg_u32 s6, 11
	s_mov_b32 s1, -1
	s_cselect_b32 s0, -1, 0
.LBB119_2662:
	s_delay_alu instid0(SALU_CYCLE_1)
	s_and_b32 vcc_lo, exec_lo, s0
	s_cbranch_vccnz .LBB119_2727
; %bb.2663:
	s_and_not1_b32 vcc_lo, exec_lo, s1
	s_cbranch_vccnz .LBB119_2665
.LBB119_2664:
	global_load_u8 v5, v[10:11], off
	s_mov_b32 s11, -1
	s_wait_loadcnt 0x0
	v_cmp_ne_u16_e32 vcc_lo, 0, v5
	s_wait_xcnt 0x1
	v_cndmask_b32_e64 v12, 0, 1.0, vcc_lo
.LBB119_2665:
	s_mov_b32 s0, 0
.LBB119_2666:
	s_delay_alu instid0(SALU_CYCLE_1)
	s_and_b32 vcc_lo, exec_lo, s0
	s_cbranch_vccz .LBB119_2715
; %bb.2667:
	s_cmp_lt_i32 s6, 5
	s_cbranch_scc1 .LBB119_2672
; %bb.2668:
	s_cmp_lt_i32 s6, 8
	s_cbranch_scc1 .LBB119_2673
	;; [unrolled: 3-line block ×3, first 2 shown]
; %bb.2670:
	s_cmp_gt_i32 s6, 9
	s_cbranch_scc0 .LBB119_2675
; %bb.2671:
	global_load_b64 v[12:13], v[10:11], off
	s_mov_b32 s0, 0
	s_wait_loadcnt 0x0
	v_cvt_f32_f64_e32 v12, v[12:13]
	s_branch .LBB119_2676
.LBB119_2672:
	s_mov_b32 s0, -1
                                        ; implicit-def: $vgpr12
	s_branch .LBB119_2694
.LBB119_2673:
	s_mov_b32 s0, -1
                                        ; implicit-def: $vgpr12
	s_branch .LBB119_2682
.LBB119_2674:
	s_mov_b32 s0, -1
                                        ; implicit-def: $vgpr12
	s_branch .LBB119_2679
.LBB119_2675:
	s_mov_b32 s0, -1
                                        ; implicit-def: $vgpr12
.LBB119_2676:
	s_delay_alu instid0(SALU_CYCLE_1)
	s_and_not1_b32 vcc_lo, exec_lo, s0
	s_cbranch_vccnz .LBB119_2678
; %bb.2677:
	global_load_b32 v12, v[10:11], off
.LBB119_2678:
	s_mov_b32 s0, 0
.LBB119_2679:
	s_delay_alu instid0(SALU_CYCLE_1)
	s_and_not1_b32 vcc_lo, exec_lo, s0
	s_cbranch_vccnz .LBB119_2681
; %bb.2680:
	global_load_b32 v5, v[10:11], off
	s_wait_loadcnt 0x0
	s_wait_xcnt 0x1
	v_cvt_f32_f16_e32 v12, v5
.LBB119_2681:
	s_mov_b32 s0, 0
.LBB119_2682:
	s_delay_alu instid0(SALU_CYCLE_1)
	s_and_not1_b32 vcc_lo, exec_lo, s0
	s_cbranch_vccnz .LBB119_2693
; %bb.2683:
	s_cmp_lt_i32 s6, 6
	s_cbranch_scc1 .LBB119_2686
; %bb.2684:
	s_cmp_gt_i32 s6, 6
	s_cbranch_scc0 .LBB119_2687
; %bb.2685:
	s_wait_loadcnt 0x0
	global_load_b64 v[12:13], v[10:11], off
	s_mov_b32 s0, 0
	s_wait_loadcnt 0x0
	v_cvt_f32_f64_e32 v12, v[12:13]
	s_branch .LBB119_2688
.LBB119_2686:
	s_mov_b32 s0, -1
                                        ; implicit-def: $vgpr12
	s_branch .LBB119_2691
.LBB119_2687:
	s_mov_b32 s0, -1
                                        ; implicit-def: $vgpr12
.LBB119_2688:
	s_delay_alu instid0(SALU_CYCLE_1)
	s_and_not1_b32 vcc_lo, exec_lo, s0
	s_cbranch_vccnz .LBB119_2690
; %bb.2689:
	s_wait_loadcnt 0x0
	global_load_b32 v12, v[10:11], off
.LBB119_2690:
	s_mov_b32 s0, 0
.LBB119_2691:
	s_delay_alu instid0(SALU_CYCLE_1)
	s_and_not1_b32 vcc_lo, exec_lo, s0
	s_cbranch_vccnz .LBB119_2693
; %bb.2692:
	global_load_u16 v5, v[10:11], off
	s_wait_loadcnt 0x0
	s_wait_xcnt 0x1
	v_cvt_f32_f16_e32 v12, v5
.LBB119_2693:
	s_mov_b32 s0, 0
.LBB119_2694:
	s_delay_alu instid0(SALU_CYCLE_1)
	s_and_not1_b32 vcc_lo, exec_lo, s0
	s_cbranch_vccnz .LBB119_2714
; %bb.2695:
	s_cmp_lt_i32 s6, 2
	s_cbranch_scc1 .LBB119_2699
; %bb.2696:
	s_cmp_lt_i32 s6, 3
	s_cbranch_scc1 .LBB119_2700
; %bb.2697:
	s_cmp_gt_i32 s6, 3
	s_cbranch_scc0 .LBB119_2701
; %bb.2698:
	s_wait_loadcnt 0x0
	global_load_b64 v[12:13], v[10:11], off
	s_mov_b32 s0, 0
	s_wait_loadcnt 0x0
	v_xor_b32_e32 v5, v12, v13
	v_cls_i32_e32 v7, v13
	s_delay_alu instid0(VALU_DEP_2) | instskip(NEXT) | instid1(VALU_DEP_1)
	v_ashrrev_i32_e32 v5, 31, v5
	v_add_nc_u32_e32 v5, 32, v5
	s_delay_alu instid0(VALU_DEP_1) | instskip(NEXT) | instid1(VALU_DEP_1)
	v_add_min_u32_e64 v5, v7, -1, v5
	v_lshlrev_b64_e32 v[12:13], v5, v[12:13]
	v_sub_nc_u32_e32 v5, 32, v5
	s_delay_alu instid0(VALU_DEP_2) | instskip(NEXT) | instid1(VALU_DEP_1)
	v_min_u32_e32 v7, 1, v12
	v_or_b32_e32 v7, v13, v7
	s_delay_alu instid0(VALU_DEP_1) | instskip(NEXT) | instid1(VALU_DEP_1)
	v_cvt_f32_i32_e32 v7, v7
	v_ldexp_f32 v12, v7, v5
	s_branch .LBB119_2702
.LBB119_2699:
	s_mov_b32 s0, -1
                                        ; implicit-def: $vgpr12
	s_branch .LBB119_2708
.LBB119_2700:
	s_mov_b32 s0, -1
                                        ; implicit-def: $vgpr12
	s_branch .LBB119_2705
.LBB119_2701:
	s_mov_b32 s0, -1
                                        ; implicit-def: $vgpr12
.LBB119_2702:
	s_delay_alu instid0(SALU_CYCLE_1)
	s_and_not1_b32 vcc_lo, exec_lo, s0
	s_cbranch_vccnz .LBB119_2704
; %bb.2703:
	global_load_b32 v5, v[10:11], off
	s_wait_loadcnt 0x0
	s_wait_xcnt 0x1
	v_cvt_f32_i32_e32 v12, v5
.LBB119_2704:
	s_mov_b32 s0, 0
.LBB119_2705:
	s_delay_alu instid0(SALU_CYCLE_1)
	s_and_not1_b32 vcc_lo, exec_lo, s0
	s_cbranch_vccnz .LBB119_2707
; %bb.2706:
	global_load_i16 v5, v[10:11], off
	s_wait_loadcnt 0x0
	s_wait_xcnt 0x1
	v_cvt_f32_i32_e32 v12, v5
.LBB119_2707:
	s_mov_b32 s0, 0
.LBB119_2708:
	s_delay_alu instid0(SALU_CYCLE_1)
	s_and_not1_b32 vcc_lo, exec_lo, s0
	s_cbranch_vccnz .LBB119_2714
; %bb.2709:
	s_cmp_gt_i32 s6, 0
	s_mov_b32 s0, 0
	s_cbranch_scc0 .LBB119_2711
; %bb.2710:
	global_load_i8 v5, v[10:11], off
	s_wait_loadcnt 0x0
	s_wait_xcnt 0x1
	v_cvt_f32_i32_e32 v12, v5
	s_branch .LBB119_2712
.LBB119_2711:
	s_mov_b32 s0, -1
                                        ; implicit-def: $vgpr12
.LBB119_2712:
	s_delay_alu instid0(SALU_CYCLE_1)
	s_and_not1_b32 vcc_lo, exec_lo, s0
	s_cbranch_vccnz .LBB119_2714
; %bb.2713:
	global_load_u8 v5, v[10:11], off
	s_wait_loadcnt 0x0
	s_wait_xcnt 0x1
	v_cvt_f32_ubyte0_e32 v12, v5
.LBB119_2714:
	s_mov_b32 s11, -1
.LBB119_2715:
	s_delay_alu instid0(SALU_CYCLE_1)
	s_and_not1_b32 vcc_lo, exec_lo, s11
	s_cbranch_vccnz .LBB119_3280
; %bb.2716:
	v_mov_b32_e32 v9, 0
	s_cmp_lt_i32 s7, 11
	s_delay_alu instid0(VALU_DEP_1)
	v_add_nc_u64_e32 v[8:9], s[4:5], v[8:9]
	s_cbranch_scc1 .LBB119_2723
; %bb.2717:
	s_cmp_gt_i32 s7, 25
	s_mov_b32 s1, 0
	s_cbranch_scc0 .LBB119_2724
; %bb.2718:
	s_cmp_gt_i32 s7, 28
	s_cbranch_scc0 .LBB119_2725
; %bb.2719:
	s_cmp_gt_i32 s7, 43
	;; [unrolled: 3-line block ×3, first 2 shown]
	s_cbranch_scc0 .LBB119_2728
; %bb.2721:
	s_cmp_eq_u32 s7, 46
	s_mov_b32 s5, 0
	s_cbranch_scc0 .LBB119_2729
; %bb.2722:
	global_load_b32 v5, v[8:9], off
	s_mov_b32 s0, 0
	s_mov_b32 s4, -1
	s_wait_loadcnt 0x0
	s_wait_xcnt 0x1
	v_lshlrev_b32_e32 v10, 16, v5
	s_branch .LBB119_2731
.LBB119_2723:
	s_mov_b32 s0, -1
	s_mov_b32 s4, 0
                                        ; implicit-def: $vgpr10
	s_branch .LBB119_2797
.LBB119_2724:
	s_mov_b32 s5, -1
	s_mov_b32 s4, 0
	s_mov_b32 s0, 0
                                        ; implicit-def: $vgpr10
	s_branch .LBB119_2760
.LBB119_2725:
	s_mov_b32 s5, -1
	s_mov_b32 s4, 0
	s_mov_b32 s0, 0
                                        ; implicit-def: $vgpr10
	s_branch .LBB119_2741
.LBB119_2726:
	s_mov_b32 s5, -1
	s_mov_b32 s4, 0
	s_mov_b32 s0, 0
                                        ; implicit-def: $vgpr10
	s_branch .LBB119_2736
.LBB119_2727:
	s_or_b32 s10, s10, exec_lo
	s_trap 2
	s_cbranch_execz .LBB119_2664
	s_branch .LBB119_2665
.LBB119_2728:
	s_mov_b32 s5, -1
	s_mov_b32 s4, 0
	s_mov_b32 s0, 0
	s_branch .LBB119_2730
.LBB119_2729:
	s_mov_b32 s0, -1
	s_mov_b32 s4, 0
.LBB119_2730:
                                        ; implicit-def: $vgpr10
.LBB119_2731:
	s_and_b32 vcc_lo, exec_lo, s5
	s_cbranch_vccz .LBB119_2735
; %bb.2732:
	s_cmp_eq_u32 s7, 44
	s_cbranch_scc0 .LBB119_2734
; %bb.2733:
	global_load_u8 v5, v[8:9], off
	s_mov_b32 s0, 0
	s_mov_b32 s4, -1
	s_wait_loadcnt 0x0
	v_lshlrev_b32_e32 v7, 23, v5
	v_cmp_ne_u32_e32 vcc_lo, 0xff, v5
	s_delay_alu instid0(VALU_DEP_2) | instskip(SKIP_2) | instid1(VALU_DEP_2)
	v_cndmask_b32_e32 v7, 0x7f800001, v7, vcc_lo
	v_cmp_ne_u32_e32 vcc_lo, 0, v5
	s_wait_xcnt 0x1
	v_cndmask_b32_e32 v10, 0x400000, v7, vcc_lo
	s_branch .LBB119_2735
.LBB119_2734:
	s_mov_b32 s0, -1
                                        ; implicit-def: $vgpr10
.LBB119_2735:
	s_mov_b32 s5, 0
.LBB119_2736:
	s_delay_alu instid0(SALU_CYCLE_1)
	s_and_b32 vcc_lo, exec_lo, s5
	s_cbranch_vccz .LBB119_2740
; %bb.2737:
	s_cmp_eq_u32 s7, 29
	s_cbranch_scc0 .LBB119_2739
; %bb.2738:
	global_load_b64 v[10:11], v[8:9], off
	s_mov_b32 s0, 0
	s_mov_b32 s4, -1
	s_mov_b32 s5, 0
	s_wait_loadcnt 0x0
	v_clz_i32_u32_e32 v5, v11
	s_delay_alu instid0(VALU_DEP_1) | instskip(NEXT) | instid1(VALU_DEP_1)
	v_min_u32_e32 v5, 32, v5
	v_lshlrev_b64_e32 v[10:11], v5, v[10:11]
	v_sub_nc_u32_e32 v5, 32, v5
	s_delay_alu instid0(VALU_DEP_2) | instskip(NEXT) | instid1(VALU_DEP_1)
	v_min_u32_e32 v7, 1, v10
	v_or_b32_e32 v7, v11, v7
	s_delay_alu instid0(VALU_DEP_1) | instskip(NEXT) | instid1(VALU_DEP_1)
	v_cvt_f32_u32_e32 v7, v7
	v_ldexp_f32 v10, v7, v5
	s_branch .LBB119_2741
.LBB119_2739:
	s_mov_b32 s0, -1
                                        ; implicit-def: $vgpr10
.LBB119_2740:
	s_mov_b32 s5, 0
.LBB119_2741:
	s_delay_alu instid0(SALU_CYCLE_1)
	s_and_b32 vcc_lo, exec_lo, s5
	s_cbranch_vccz .LBB119_2759
; %bb.2742:
	s_cmp_lt_i32 s7, 27
	s_cbranch_scc1 .LBB119_2745
; %bb.2743:
	s_cmp_gt_i32 s7, 27
	s_cbranch_scc0 .LBB119_2746
; %bb.2744:
	global_load_b32 v5, v[8:9], off
	s_mov_b32 s4, 0
	s_wait_loadcnt 0x0
	s_wait_xcnt 0x1
	v_cvt_f32_u32_e32 v10, v5
	s_branch .LBB119_2747
.LBB119_2745:
	s_mov_b32 s4, -1
                                        ; implicit-def: $vgpr10
	s_branch .LBB119_2750
.LBB119_2746:
	s_mov_b32 s4, -1
                                        ; implicit-def: $vgpr10
.LBB119_2747:
	s_delay_alu instid0(SALU_CYCLE_1)
	s_and_not1_b32 vcc_lo, exec_lo, s4
	s_cbranch_vccnz .LBB119_2749
; %bb.2748:
	global_load_u16 v5, v[8:9], off
	s_wait_loadcnt 0x0
	s_wait_xcnt 0x1
	v_cvt_f32_u32_e32 v10, v5
.LBB119_2749:
	s_mov_b32 s4, 0
.LBB119_2750:
	s_delay_alu instid0(SALU_CYCLE_1)
	s_and_not1_b32 vcc_lo, exec_lo, s4
	s_cbranch_vccnz .LBB119_2758
; %bb.2751:
	global_load_u8 v5, v[8:9], off
	s_mov_b32 s4, 0
	s_mov_b32 s5, exec_lo
	s_wait_loadcnt 0x0
	v_cmpx_lt_i16_e32 0x7f, v5
	s_xor_b32 s5, exec_lo, s5
	s_cbranch_execz .LBB119_2772
; %bb.2752:
	s_mov_b32 s4, -1
	s_mov_b32 s6, exec_lo
	v_cmpx_eq_u16_e32 0x80, v5
; %bb.2753:
	s_xor_b32 s4, exec_lo, -1
; %bb.2754:
	s_or_b32 exec_lo, exec_lo, s6
	s_delay_alu instid0(SALU_CYCLE_1)
	s_and_b32 s4, s4, exec_lo
	s_or_saveexec_b32 s5, s5
	v_mov_b32_e32 v10, 0x7f800001
	s_xor_b32 exec_lo, exec_lo, s5
	s_cbranch_execnz .LBB119_2773
.LBB119_2755:
	s_or_b32 exec_lo, exec_lo, s5
	s_and_saveexec_b32 s5, s4
	s_cbranch_execz .LBB119_2757
.LBB119_2756:
	v_and_b32_e32 v7, 0xffff, v5
	s_delay_alu instid0(VALU_DEP_1) | instskip(SKIP_1) | instid1(VALU_DEP_2)
	v_dual_lshlrev_b32 v5, 24, v5 :: v_dual_bitop2_b32 v10, 7, v7 bitop3:0x40
	v_bfe_u32 v15, v7, 3, 4
	v_and_b32_e32 v5, 0x80000000, v5
	s_delay_alu instid0(VALU_DEP_3) | instskip(NEXT) | instid1(VALU_DEP_3)
	v_clz_i32_u32_e32 v11, v10
	v_cmp_eq_u32_e32 vcc_lo, 0, v15
	s_delay_alu instid0(VALU_DEP_2) | instskip(NEXT) | instid1(VALU_DEP_1)
	v_min_u32_e32 v11, 32, v11
	v_subrev_nc_u32_e32 v13, 28, v11
	v_sub_nc_u32_e32 v11, 29, v11
	s_delay_alu instid0(VALU_DEP_2) | instskip(NEXT) | instid1(VALU_DEP_2)
	v_lshlrev_b32_e32 v7, v13, v7
	v_cndmask_b32_e32 v11, v15, v11, vcc_lo
	s_delay_alu instid0(VALU_DEP_2) | instskip(NEXT) | instid1(VALU_DEP_1)
	v_and_b32_e32 v7, 7, v7
	v_cndmask_b32_e32 v7, v10, v7, vcc_lo
	s_delay_alu instid0(VALU_DEP_3) | instskip(NEXT) | instid1(VALU_DEP_2)
	v_lshl_add_u32 v10, v11, 23, 0x3b800000
	v_lshlrev_b32_e32 v7, 20, v7
	s_delay_alu instid0(VALU_DEP_1)
	v_or3_b32 v10, v5, v10, v7
.LBB119_2757:
	s_or_b32 exec_lo, exec_lo, s5
.LBB119_2758:
	s_mov_b32 s4, -1
.LBB119_2759:
	s_mov_b32 s5, 0
.LBB119_2760:
	s_delay_alu instid0(SALU_CYCLE_1)
	s_and_b32 vcc_lo, exec_lo, s5
	s_cbranch_vccz .LBB119_2793
; %bb.2761:
	s_cmp_gt_i32 s7, 22
	s_cbranch_scc0 .LBB119_2771
; %bb.2762:
	s_cmp_lt_i32 s7, 24
	s_cbranch_scc1 .LBB119_2774
; %bb.2763:
	s_cmp_gt_i32 s7, 24
	s_cbranch_scc0 .LBB119_2775
; %bb.2764:
	global_load_u8 v5, v[8:9], off
	s_mov_b32 s4, exec_lo
	s_wait_loadcnt 0x0
	v_cmpx_lt_i16_e32 0x7f, v5
	s_xor_b32 s4, exec_lo, s4
	s_cbranch_execz .LBB119_2787
; %bb.2765:
	s_mov_b32 s1, -1
	s_mov_b32 s5, exec_lo
	v_cmpx_eq_u16_e32 0x80, v5
; %bb.2766:
	s_xor_b32 s1, exec_lo, -1
; %bb.2767:
	s_or_b32 exec_lo, exec_lo, s5
	s_delay_alu instid0(SALU_CYCLE_1)
	s_and_b32 s1, s1, exec_lo
	s_or_saveexec_b32 s4, s4
	v_mov_b32_e32 v10, 0x7f800001
	s_xor_b32 exec_lo, exec_lo, s4
	s_cbranch_execnz .LBB119_2788
.LBB119_2768:
	s_or_b32 exec_lo, exec_lo, s4
	s_and_saveexec_b32 s4, s1
	s_cbranch_execz .LBB119_2770
.LBB119_2769:
	v_and_b32_e32 v7, 0xffff, v5
	s_delay_alu instid0(VALU_DEP_1) | instskip(SKIP_1) | instid1(VALU_DEP_2)
	v_dual_lshlrev_b32 v5, 24, v5 :: v_dual_bitop2_b32 v10, 3, v7 bitop3:0x40
	v_bfe_u32 v15, v7, 2, 5
	v_and_b32_e32 v5, 0x80000000, v5
	s_delay_alu instid0(VALU_DEP_3) | instskip(NEXT) | instid1(VALU_DEP_3)
	v_clz_i32_u32_e32 v11, v10
	v_cmp_eq_u32_e32 vcc_lo, 0, v15
	s_delay_alu instid0(VALU_DEP_2) | instskip(NEXT) | instid1(VALU_DEP_1)
	v_min_u32_e32 v11, 32, v11
	v_subrev_nc_u32_e32 v13, 29, v11
	v_sub_nc_u32_e32 v11, 30, v11
	s_delay_alu instid0(VALU_DEP_2) | instskip(NEXT) | instid1(VALU_DEP_2)
	v_lshlrev_b32_e32 v7, v13, v7
	v_cndmask_b32_e32 v11, v15, v11, vcc_lo
	s_delay_alu instid0(VALU_DEP_2) | instskip(NEXT) | instid1(VALU_DEP_1)
	v_and_b32_e32 v7, 3, v7
	v_cndmask_b32_e32 v7, v10, v7, vcc_lo
	s_delay_alu instid0(VALU_DEP_3) | instskip(NEXT) | instid1(VALU_DEP_2)
	v_lshl_add_u32 v10, v11, 23, 0x37800000
	v_lshlrev_b32_e32 v7, 21, v7
	s_delay_alu instid0(VALU_DEP_1)
	v_or3_b32 v10, v5, v10, v7
.LBB119_2770:
	s_or_b32 exec_lo, exec_lo, s4
	s_mov_b32 s1, 0
	s_branch .LBB119_2776
.LBB119_2771:
	s_mov_b32 s1, -1
                                        ; implicit-def: $vgpr10
	s_branch .LBB119_2782
.LBB119_2772:
	s_or_saveexec_b32 s5, s5
	v_mov_b32_e32 v10, 0x7f800001
	s_xor_b32 exec_lo, exec_lo, s5
	s_cbranch_execz .LBB119_2755
.LBB119_2773:
	v_cmp_ne_u16_e32 vcc_lo, 0, v5
	v_mov_b32_e32 v10, 0
	s_and_not1_b32 s4, s4, exec_lo
	s_and_b32 s6, vcc_lo, exec_lo
	s_delay_alu instid0(SALU_CYCLE_1)
	s_or_b32 s4, s4, s6
	s_or_b32 exec_lo, exec_lo, s5
	s_and_saveexec_b32 s5, s4
	s_cbranch_execnz .LBB119_2756
	s_branch .LBB119_2757
.LBB119_2774:
	s_mov_b32 s1, -1
                                        ; implicit-def: $vgpr10
	s_branch .LBB119_2779
.LBB119_2775:
	s_mov_b32 s1, -1
                                        ; implicit-def: $vgpr10
.LBB119_2776:
	s_delay_alu instid0(SALU_CYCLE_1)
	s_and_b32 vcc_lo, exec_lo, s1
	s_cbranch_vccz .LBB119_2778
; %bb.2777:
	global_load_u8 v5, v[8:9], off
	s_wait_loadcnt 0x0
	v_lshlrev_b32_e32 v5, 24, v5
	s_delay_alu instid0(VALU_DEP_1) | instskip(SKIP_1) | instid1(VALU_DEP_1)
	v_and_b32_e32 v7, 0x7f000000, v5
	s_wait_xcnt 0x1
	v_clz_i32_u32_e32 v10, v7
	v_add_nc_u32_e32 v13, 0x1000000, v7
	v_cmp_ne_u32_e32 vcc_lo, 0, v7
	s_delay_alu instid0(VALU_DEP_3) | instskip(NEXT) | instid1(VALU_DEP_1)
	v_min_u32_e32 v10, 32, v10
	v_sub_nc_u32_e64 v10, v10, 4 clamp
	s_delay_alu instid0(VALU_DEP_1) | instskip(NEXT) | instid1(VALU_DEP_1)
	v_dual_lshlrev_b32 v11, v10, v7 :: v_dual_lshlrev_b32 v10, 23, v10
	v_lshrrev_b32_e32 v11, 4, v11
	s_delay_alu instid0(VALU_DEP_1) | instskip(NEXT) | instid1(VALU_DEP_1)
	v_dual_sub_nc_u32 v10, v11, v10 :: v_dual_ashrrev_i32 v11, 8, v13
	v_add_nc_u32_e32 v10, 0x3c000000, v10
	s_delay_alu instid0(VALU_DEP_1) | instskip(NEXT) | instid1(VALU_DEP_1)
	v_and_or_b32 v10, 0x7f800000, v11, v10
	v_cndmask_b32_e32 v7, 0, v10, vcc_lo
	s_delay_alu instid0(VALU_DEP_1)
	v_and_or_b32 v10, 0x80000000, v5, v7
.LBB119_2778:
	s_mov_b32 s1, 0
.LBB119_2779:
	s_delay_alu instid0(SALU_CYCLE_1)
	s_and_not1_b32 vcc_lo, exec_lo, s1
	s_cbranch_vccnz .LBB119_2781
; %bb.2780:
	global_load_u8 v5, v[8:9], off
	s_wait_loadcnt 0x0
	v_lshlrev_b32_e32 v7, 25, v5
	v_lshlrev_b16 v5, 8, v5
	s_wait_xcnt 0x1
	s_delay_alu instid0(VALU_DEP_1) | instskip(SKIP_1) | instid1(VALU_DEP_2)
	v_and_or_b32 v11, 0x7f00, v5, 0.5
	v_bfe_i32 v5, v5, 0, 16
	v_add_f32_e32 v11, -0.5, v11
	v_lshrrev_b32_e32 v10, 4, v7
	v_cmp_gt_u32_e32 vcc_lo, 0x8000000, v7
	s_delay_alu instid0(VALU_DEP_2) | instskip(NEXT) | instid1(VALU_DEP_1)
	v_or_b32_e32 v10, 0x70000000, v10
	v_mul_f32_e32 v10, 0x7800000, v10
	s_delay_alu instid0(VALU_DEP_1) | instskip(NEXT) | instid1(VALU_DEP_1)
	v_cndmask_b32_e32 v7, v10, v11, vcc_lo
	v_and_or_b32 v10, 0x80000000, v5, v7
.LBB119_2781:
	s_mov_b32 s1, 0
	s_mov_b32 s4, -1
.LBB119_2782:
	s_and_not1_b32 vcc_lo, exec_lo, s1
	s_mov_b32 s1, 0
	s_cbranch_vccnz .LBB119_2793
; %bb.2783:
	s_cmp_gt_i32 s7, 14
	s_cbranch_scc0 .LBB119_2786
; %bb.2784:
	s_cmp_eq_u32 s7, 15
	s_cbranch_scc0 .LBB119_2789
; %bb.2785:
	global_load_u16 v5, v[8:9], off
	s_mov_b32 s0, 0
	s_mov_b32 s4, -1
	s_wait_loadcnt 0x0
	s_wait_xcnt 0x1
	v_lshlrev_b32_e32 v10, 16, v5
	s_branch .LBB119_2791
.LBB119_2786:
	s_mov_b32 s1, -1
	s_branch .LBB119_2790
.LBB119_2787:
	s_or_saveexec_b32 s4, s4
	v_mov_b32_e32 v10, 0x7f800001
	s_xor_b32 exec_lo, exec_lo, s4
	s_cbranch_execz .LBB119_2768
.LBB119_2788:
	v_cmp_ne_u16_e32 vcc_lo, 0, v5
	v_mov_b32_e32 v10, 0
	s_and_not1_b32 s1, s1, exec_lo
	s_and_b32 s5, vcc_lo, exec_lo
	s_delay_alu instid0(SALU_CYCLE_1)
	s_or_b32 s1, s1, s5
	s_or_b32 exec_lo, exec_lo, s4
	s_and_saveexec_b32 s4, s1
	s_cbranch_execnz .LBB119_2769
	s_branch .LBB119_2770
.LBB119_2789:
	s_mov_b32 s0, -1
.LBB119_2790:
                                        ; implicit-def: $vgpr10
.LBB119_2791:
	s_and_b32 vcc_lo, exec_lo, s1
	s_mov_b32 s1, 0
	s_cbranch_vccz .LBB119_2793
; %bb.2792:
	s_cmp_lg_u32 s7, 11
	s_mov_b32 s1, -1
	s_cselect_b32 s0, -1, 0
.LBB119_2793:
	s_delay_alu instid0(SALU_CYCLE_1)
	s_and_b32 vcc_lo, exec_lo, s0
	s_cbranch_vccnz .LBB119_3326
; %bb.2794:
	s_and_not1_b32 vcc_lo, exec_lo, s1
	s_cbranch_vccnz .LBB119_2796
.LBB119_2795:
	global_load_u8 v5, v[8:9], off
	s_mov_b32 s4, -1
	s_wait_loadcnt 0x0
	v_cmp_ne_u16_e32 vcc_lo, 0, v5
	s_wait_xcnt 0x1
	v_cndmask_b32_e64 v10, 0, 1.0, vcc_lo
.LBB119_2796:
	s_mov_b32 s0, 0
.LBB119_2797:
	s_delay_alu instid0(SALU_CYCLE_1)
	s_and_b32 vcc_lo, exec_lo, s0
	s_cbranch_vccz .LBB119_2846
; %bb.2798:
	s_cmp_lt_i32 s7, 5
	s_cbranch_scc1 .LBB119_2803
; %bb.2799:
	s_cmp_lt_i32 s7, 8
	s_cbranch_scc1 .LBB119_2804
	;; [unrolled: 3-line block ×3, first 2 shown]
; %bb.2801:
	s_cmp_gt_i32 s7, 9
	s_cbranch_scc0 .LBB119_2806
; %bb.2802:
	global_load_b64 v[10:11], v[8:9], off
	s_mov_b32 s0, 0
	s_wait_loadcnt 0x0
	v_cvt_f32_f64_e32 v10, v[10:11]
	s_branch .LBB119_2807
.LBB119_2803:
	s_mov_b32 s0, -1
                                        ; implicit-def: $vgpr10
	s_branch .LBB119_2825
.LBB119_2804:
	s_mov_b32 s0, -1
                                        ; implicit-def: $vgpr10
	s_branch .LBB119_2813
.LBB119_2805:
	s_mov_b32 s0, -1
                                        ; implicit-def: $vgpr10
	s_branch .LBB119_2810
.LBB119_2806:
	s_mov_b32 s0, -1
                                        ; implicit-def: $vgpr10
.LBB119_2807:
	s_delay_alu instid0(SALU_CYCLE_1)
	s_and_not1_b32 vcc_lo, exec_lo, s0
	s_cbranch_vccnz .LBB119_2809
; %bb.2808:
	global_load_b32 v10, v[8:9], off
.LBB119_2809:
	s_mov_b32 s0, 0
.LBB119_2810:
	s_delay_alu instid0(SALU_CYCLE_1)
	s_and_not1_b32 vcc_lo, exec_lo, s0
	s_cbranch_vccnz .LBB119_2812
; %bb.2811:
	global_load_b32 v5, v[8:9], off
	s_wait_loadcnt 0x0
	s_wait_xcnt 0x1
	v_cvt_f32_f16_e32 v10, v5
.LBB119_2812:
	s_mov_b32 s0, 0
.LBB119_2813:
	s_delay_alu instid0(SALU_CYCLE_1)
	s_and_not1_b32 vcc_lo, exec_lo, s0
	s_cbranch_vccnz .LBB119_2824
; %bb.2814:
	s_cmp_lt_i32 s7, 6
	s_cbranch_scc1 .LBB119_2817
; %bb.2815:
	s_cmp_gt_i32 s7, 6
	s_cbranch_scc0 .LBB119_2818
; %bb.2816:
	s_wait_loadcnt 0x0
	global_load_b64 v[10:11], v[8:9], off
	s_mov_b32 s0, 0
	s_wait_loadcnt 0x0
	v_cvt_f32_f64_e32 v10, v[10:11]
	s_branch .LBB119_2819
.LBB119_2817:
	s_mov_b32 s0, -1
                                        ; implicit-def: $vgpr10
	s_branch .LBB119_2822
.LBB119_2818:
	s_mov_b32 s0, -1
                                        ; implicit-def: $vgpr10
.LBB119_2819:
	s_delay_alu instid0(SALU_CYCLE_1)
	s_and_not1_b32 vcc_lo, exec_lo, s0
	s_cbranch_vccnz .LBB119_2821
; %bb.2820:
	s_wait_loadcnt 0x0
	global_load_b32 v10, v[8:9], off
.LBB119_2821:
	s_mov_b32 s0, 0
.LBB119_2822:
	s_delay_alu instid0(SALU_CYCLE_1)
	s_and_not1_b32 vcc_lo, exec_lo, s0
	s_cbranch_vccnz .LBB119_2824
; %bb.2823:
	global_load_u16 v5, v[8:9], off
	s_wait_loadcnt 0x0
	s_wait_xcnt 0x1
	v_cvt_f32_f16_e32 v10, v5
.LBB119_2824:
	s_mov_b32 s0, 0
.LBB119_2825:
	s_delay_alu instid0(SALU_CYCLE_1)
	s_and_not1_b32 vcc_lo, exec_lo, s0
	s_cbranch_vccnz .LBB119_2845
; %bb.2826:
	s_cmp_lt_i32 s7, 2
	s_cbranch_scc1 .LBB119_2830
; %bb.2827:
	s_cmp_lt_i32 s7, 3
	s_cbranch_scc1 .LBB119_2831
; %bb.2828:
	s_cmp_gt_i32 s7, 3
	s_cbranch_scc0 .LBB119_2832
; %bb.2829:
	s_wait_loadcnt 0x0
	global_load_b64 v[10:11], v[8:9], off
	s_mov_b32 s0, 0
	s_wait_loadcnt 0x0
	v_xor_b32_e32 v5, v10, v11
	v_cls_i32_e32 v7, v11
	s_delay_alu instid0(VALU_DEP_2) | instskip(NEXT) | instid1(VALU_DEP_1)
	v_ashrrev_i32_e32 v5, 31, v5
	v_add_nc_u32_e32 v5, 32, v5
	s_delay_alu instid0(VALU_DEP_1) | instskip(NEXT) | instid1(VALU_DEP_1)
	v_add_min_u32_e64 v5, v7, -1, v5
	v_lshlrev_b64_e32 v[10:11], v5, v[10:11]
	v_sub_nc_u32_e32 v5, 32, v5
	s_delay_alu instid0(VALU_DEP_2) | instskip(NEXT) | instid1(VALU_DEP_1)
	v_min_u32_e32 v7, 1, v10
	v_or_b32_e32 v7, v11, v7
	s_delay_alu instid0(VALU_DEP_1) | instskip(NEXT) | instid1(VALU_DEP_1)
	v_cvt_f32_i32_e32 v7, v7
	v_ldexp_f32 v10, v7, v5
	s_branch .LBB119_2833
.LBB119_2830:
	s_mov_b32 s0, -1
                                        ; implicit-def: $vgpr10
	s_branch .LBB119_2839
.LBB119_2831:
	s_mov_b32 s0, -1
                                        ; implicit-def: $vgpr10
	s_branch .LBB119_2836
.LBB119_2832:
	s_mov_b32 s0, -1
                                        ; implicit-def: $vgpr10
.LBB119_2833:
	s_delay_alu instid0(SALU_CYCLE_1)
	s_and_not1_b32 vcc_lo, exec_lo, s0
	s_cbranch_vccnz .LBB119_2835
; %bb.2834:
	global_load_b32 v5, v[8:9], off
	s_wait_loadcnt 0x0
	s_wait_xcnt 0x1
	v_cvt_f32_i32_e32 v10, v5
.LBB119_2835:
	s_mov_b32 s0, 0
.LBB119_2836:
	s_delay_alu instid0(SALU_CYCLE_1)
	s_and_not1_b32 vcc_lo, exec_lo, s0
	s_cbranch_vccnz .LBB119_2838
; %bb.2837:
	global_load_i16 v5, v[8:9], off
	s_wait_loadcnt 0x0
	s_wait_xcnt 0x1
	v_cvt_f32_i32_e32 v10, v5
.LBB119_2838:
	s_mov_b32 s0, 0
.LBB119_2839:
	s_delay_alu instid0(SALU_CYCLE_1)
	s_and_not1_b32 vcc_lo, exec_lo, s0
	s_cbranch_vccnz .LBB119_2845
; %bb.2840:
	s_cmp_gt_i32 s7, 0
	s_mov_b32 s0, 0
	s_cbranch_scc0 .LBB119_2842
; %bb.2841:
	global_load_i8 v5, v[8:9], off
	s_wait_loadcnt 0x0
	s_wait_xcnt 0x1
	v_cvt_f32_i32_e32 v10, v5
	s_branch .LBB119_2843
.LBB119_2842:
	s_mov_b32 s0, -1
                                        ; implicit-def: $vgpr10
.LBB119_2843:
	s_delay_alu instid0(SALU_CYCLE_1)
	s_and_not1_b32 vcc_lo, exec_lo, s0
	s_cbranch_vccnz .LBB119_2845
; %bb.2844:
	global_load_u8 v5, v[8:9], off
	s_wait_loadcnt 0x0
	s_wait_xcnt 0x1
	v_cvt_f32_ubyte0_e32 v10, v5
.LBB119_2845:
	s_mov_b32 s4, -1
.LBB119_2846:
	s_delay_alu instid0(SALU_CYCLE_1)
	s_and_not1_b32 vcc_lo, exec_lo, s4
	s_cbranch_vccnz .LBB119_3280
; %bb.2847:
	s_clause 0x1
	s_load_b64 s[6:7], s[2:3], 0x1e8
	s_load_b64 s[4:5], s[2:3], 0x1c8
	s_wait_kmcnt 0x0
	v_dual_mov_b32 v7, 0 :: v_dual_mul_f32 v1, s6, v1
	s_delay_alu instid0(VALU_DEP_1) | instskip(SKIP_1) | instid1(SALU_CYCLE_1)
	v_add_nc_u64_e32 v[6:7], s[4:5], v[6:7]
	s_and_b32 s1, s7, 0xff
	s_cmp_lt_i32 s1, 11
	s_wait_loadcnt 0x0
	v_mul_f32_e32 v8, v1, v3
	s_cbranch_scc1 .LBB119_2925
; %bb.2848:
	s_and_b32 s2, 0xffff, s1
	s_mov_b32 s11, -1
	s_mov_b32 s3, 0
	s_cmp_gt_i32 s2, 25
	s_mov_b32 s7, 0
	s_mov_b32 s0, 0
	s_cbranch_scc0 .LBB119_2881
; %bb.2849:
	s_cmp_gt_i32 s2, 28
	s_cbranch_scc0 .LBB119_2864
; %bb.2850:
	s_cmp_gt_i32 s2, 43
	;; [unrolled: 3-line block ×3, first 2 shown]
	s_cbranch_scc0 .LBB119_2854
; %bb.2852:
	s_mov_b32 s0, -1
	s_mov_b32 s11, 0
	s_cmp_eq_u32 s2, 46
	s_cbranch_scc0 .LBB119_2854
; %bb.2853:
	v_bfe_u32 v1, v8, 16, 1
	v_cmp_o_f32_e32 vcc_lo, v8, v8
	s_mov_b32 s0, 0
	s_mov_b32 s7, -1
	s_delay_alu instid0(VALU_DEP_2) | instskip(NEXT) | instid1(VALU_DEP_1)
	v_add3_u32 v1, v8, v1, 0x7fff
	v_lshrrev_b32_e32 v1, 16, v1
	s_delay_alu instid0(VALU_DEP_1)
	v_cndmask_b32_e32 v1, 0x7fc0, v1, vcc_lo
	global_store_b32 v[6:7], v1, off
.LBB119_2854:
	s_and_b32 vcc_lo, exec_lo, s11
	s_cbranch_vccz .LBB119_2859
; %bb.2855:
	s_cmp_eq_u32 s2, 44
	s_mov_b32 s0, -1
	s_cbranch_scc0 .LBB119_2859
; %bb.2856:
	v_bfe_u32 v3, v8, 23, 8
	s_wait_xcnt 0x0
	v_mov_b32_e32 v1, 0xff
	s_mov_b32 s7, exec_lo
	s_delay_alu instid0(VALU_DEP_2)
	v_cmpx_ne_u32_e32 0xff, v3
	s_cbranch_execz .LBB119_2858
; %bb.2857:
	v_and_b32_e32 v1, 0x400000, v8
	v_and_or_b32 v3, 0x3fffff, v8, v3
	s_delay_alu instid0(VALU_DEP_2) | instskip(NEXT) | instid1(VALU_DEP_2)
	v_cmp_ne_u32_e32 vcc_lo, 0, v1
	v_cmp_ne_u32_e64 s0, 0, v3
	v_lshrrev_b32_e32 v1, 23, v8
	s_and_b32 s0, vcc_lo, s0
	s_delay_alu instid0(SALU_CYCLE_1) | instskip(NEXT) | instid1(VALU_DEP_1)
	v_cndmask_b32_e64 v3, 0, 1, s0
	v_add_nc_u32_e32 v1, v1, v3
.LBB119_2858:
	s_or_b32 exec_lo, exec_lo, s7
	s_mov_b32 s0, 0
	s_mov_b32 s7, -1
	global_store_b8 v[6:7], v1, off
.LBB119_2859:
	s_mov_b32 s11, 0
.LBB119_2860:
	s_delay_alu instid0(SALU_CYCLE_1)
	s_and_b32 vcc_lo, exec_lo, s11
	s_cbranch_vccz .LBB119_2863
; %bb.2861:
	s_cmp_eq_u32 s2, 29
	s_mov_b32 s0, -1
	s_cbranch_scc0 .LBB119_2863
; %bb.2862:
	s_wait_xcnt 0x0
	v_trunc_f32_e32 v1, v8
	s_mov_b32 s0, 0
	s_mov_b32 s7, -1
	s_delay_alu instid0(VALU_DEP_1) | instskip(NEXT) | instid1(VALU_DEP_1)
	v_mul_f32_e32 v3, 0x2f800000, v1
	v_floor_f32_e32 v3, v3
	s_delay_alu instid0(VALU_DEP_1) | instskip(SKIP_1) | instid1(VALU_DEP_2)
	v_fmamk_f32 v1, v3, 0xcf800000, v1
	v_cvt_u32_f32_e32 v23, v3
	v_cvt_u32_f32_e32 v22, v1
	global_store_b64 v[6:7], v[22:23], off
.LBB119_2863:
	s_mov_b32 s11, 0
.LBB119_2864:
	s_delay_alu instid0(SALU_CYCLE_1)
	s_and_b32 vcc_lo, exec_lo, s11
	s_cbranch_vccz .LBB119_2880
; %bb.2865:
	s_cmp_lt_i32 s2, 27
	s_mov_b32 s7, -1
	s_cbranch_scc1 .LBB119_2871
; %bb.2866:
	s_wait_xcnt 0x0
	v_cvt_u32_f32_e32 v1, v8
	s_cmp_gt_i32 s2, 27
	s_cbranch_scc0 .LBB119_2868
; %bb.2867:
	s_mov_b32 s7, 0
	global_store_b32 v[6:7], v1, off
.LBB119_2868:
	s_and_not1_b32 vcc_lo, exec_lo, s7
	s_cbranch_vccnz .LBB119_2870
; %bb.2869:
	global_store_b16 v[6:7], v1, off
.LBB119_2870:
	s_mov_b32 s7, 0
.LBB119_2871:
	s_delay_alu instid0(SALU_CYCLE_1)
	s_and_not1_b32 vcc_lo, exec_lo, s7
	s_cbranch_vccnz .LBB119_2879
; %bb.2872:
	s_wait_xcnt 0x0
	v_and_b32_e32 v1, 0x7fffffff, v8
	v_mov_b32_e32 v3, 0x80
	s_mov_b32 s7, exec_lo
	s_delay_alu instid0(VALU_DEP_2)
	v_cmpx_gt_u32_e32 0x43800000, v1
	s_cbranch_execz .LBB119_2878
; %bb.2873:
	v_cmp_lt_u32_e32 vcc_lo, 0x3bffffff, v1
	s_mov_b32 s11, 0
                                        ; implicit-def: $vgpr1
	s_and_saveexec_b32 s12, vcc_lo
	s_delay_alu instid0(SALU_CYCLE_1)
	s_xor_b32 s12, exec_lo, s12
	s_cbranch_execz .LBB119_3327
; %bb.2874:
	v_bfe_u32 v1, v8, 20, 1
	s_mov_b32 s11, exec_lo
	s_delay_alu instid0(VALU_DEP_1) | instskip(NEXT) | instid1(VALU_DEP_1)
	v_add3_u32 v1, v8, v1, 0x487ffff
	v_lshrrev_b32_e32 v1, 20, v1
	s_and_not1_saveexec_b32 s12, s12
	s_cbranch_execnz .LBB119_3328
.LBB119_2875:
	s_or_b32 exec_lo, exec_lo, s12
	v_mov_b32_e32 v3, 0
	s_and_saveexec_b32 s12, s11
.LBB119_2876:
	v_lshrrev_b32_e32 v3, 24, v8
	s_delay_alu instid0(VALU_DEP_1)
	v_and_or_b32 v3, 0x80, v3, v1
.LBB119_2877:
	s_or_b32 exec_lo, exec_lo, s12
.LBB119_2878:
	s_delay_alu instid0(SALU_CYCLE_1)
	s_or_b32 exec_lo, exec_lo, s7
	global_store_b8 v[6:7], v3, off
.LBB119_2879:
	s_mov_b32 s7, -1
.LBB119_2880:
	s_mov_b32 s11, 0
.LBB119_2881:
	s_delay_alu instid0(SALU_CYCLE_1)
	s_and_b32 vcc_lo, exec_lo, s11
	s_cbranch_vccz .LBB119_2921
; %bb.2882:
	s_cmp_gt_i32 s2, 22
	s_mov_b32 s3, -1
	s_cbranch_scc0 .LBB119_2914
; %bb.2883:
	s_cmp_lt_i32 s2, 24
	s_cbranch_scc1 .LBB119_2903
; %bb.2884:
	s_cmp_gt_i32 s2, 24
	s_cbranch_scc0 .LBB119_2892
; %bb.2885:
	s_wait_xcnt 0x0
	v_and_b32_e32 v1, 0x7fffffff, v8
	v_mov_b32_e32 v3, 0x80
	s_mov_b32 s3, exec_lo
	s_delay_alu instid0(VALU_DEP_2)
	v_cmpx_gt_u32_e32 0x47800000, v1
	s_cbranch_execz .LBB119_2891
; %bb.2886:
	v_cmp_lt_u32_e32 vcc_lo, 0x37ffffff, v1
	s_mov_b32 s7, 0
                                        ; implicit-def: $vgpr1
	s_and_saveexec_b32 s11, vcc_lo
	s_delay_alu instid0(SALU_CYCLE_1)
	s_xor_b32 s11, exec_lo, s11
	s_cbranch_execz .LBB119_3330
; %bb.2887:
	v_bfe_u32 v1, v8, 21, 1
	s_mov_b32 s7, exec_lo
	s_delay_alu instid0(VALU_DEP_1) | instskip(NEXT) | instid1(VALU_DEP_1)
	v_add3_u32 v1, v8, v1, 0x88fffff
	v_lshrrev_b32_e32 v1, 21, v1
	s_and_not1_saveexec_b32 s11, s11
	s_cbranch_execnz .LBB119_3331
.LBB119_2888:
	s_or_b32 exec_lo, exec_lo, s11
	v_mov_b32_e32 v3, 0
	s_and_saveexec_b32 s11, s7
.LBB119_2889:
	v_lshrrev_b32_e32 v3, 24, v8
	s_delay_alu instid0(VALU_DEP_1)
	v_and_or_b32 v3, 0x80, v3, v1
.LBB119_2890:
	s_or_b32 exec_lo, exec_lo, s11
.LBB119_2891:
	s_delay_alu instid0(SALU_CYCLE_1)
	s_or_b32 exec_lo, exec_lo, s3
	s_mov_b32 s3, 0
	global_store_b8 v[6:7], v3, off
.LBB119_2892:
	s_and_b32 vcc_lo, exec_lo, s3
	s_cbranch_vccz .LBB119_2902
; %bb.2893:
	s_wait_xcnt 0x0
	v_and_b32_e32 v3, 0x7fffffff, v8
	s_mov_b32 s3, exec_lo
                                        ; implicit-def: $vgpr1
	s_delay_alu instid0(VALU_DEP_1)
	v_cmpx_gt_u32_e32 0x43f00000, v3
	s_xor_b32 s3, exec_lo, s3
	s_cbranch_execz .LBB119_2899
; %bb.2894:
	s_mov_b32 s7, exec_lo
                                        ; implicit-def: $vgpr1
	v_cmpx_lt_u32_e32 0x3c7fffff, v3
	s_xor_b32 s7, exec_lo, s7
; %bb.2895:
	v_bfe_u32 v1, v8, 20, 1
	s_delay_alu instid0(VALU_DEP_1) | instskip(NEXT) | instid1(VALU_DEP_1)
	v_add3_u32 v1, v8, v1, 0x407ffff
	v_and_b32_e32 v3, 0xff00000, v1
	v_lshrrev_b32_e32 v1, 20, v1
	s_delay_alu instid0(VALU_DEP_2) | instskip(NEXT) | instid1(VALU_DEP_2)
	v_cmp_ne_u32_e32 vcc_lo, 0x7f00000, v3
	v_cndmask_b32_e32 v1, 0x7e, v1, vcc_lo
; %bb.2896:
	s_and_not1_saveexec_b32 s7, s7
; %bb.2897:
	v_add_f32_e64 v1, 0x46800000, |v8|
; %bb.2898:
	s_or_b32 exec_lo, exec_lo, s7
                                        ; implicit-def: $vgpr3
.LBB119_2899:
	s_and_not1_saveexec_b32 s3, s3
; %bb.2900:
	v_mov_b32_e32 v1, 0x7f
	v_cmp_lt_u32_e32 vcc_lo, 0x7f800000, v3
	s_delay_alu instid0(VALU_DEP_2)
	v_cndmask_b32_e32 v1, 0x7e, v1, vcc_lo
; %bb.2901:
	s_or_b32 exec_lo, exec_lo, s3
	v_lshrrev_b32_e32 v3, 24, v8
	s_delay_alu instid0(VALU_DEP_1)
	v_and_or_b32 v1, 0x80, v3, v1
	global_store_b8 v[6:7], v1, off
.LBB119_2902:
	s_mov_b32 s3, 0
.LBB119_2903:
	s_delay_alu instid0(SALU_CYCLE_1)
	s_and_not1_b32 vcc_lo, exec_lo, s3
	s_cbranch_vccnz .LBB119_2913
; %bb.2904:
	s_wait_xcnt 0x0
	v_and_b32_e32 v3, 0x7fffffff, v8
	s_mov_b32 s3, exec_lo
                                        ; implicit-def: $vgpr1
	s_delay_alu instid0(VALU_DEP_1)
	v_cmpx_gt_u32_e32 0x47800000, v3
	s_xor_b32 s3, exec_lo, s3
	s_cbranch_execz .LBB119_2910
; %bb.2905:
	s_mov_b32 s7, exec_lo
                                        ; implicit-def: $vgpr1
	v_cmpx_lt_u32_e32 0x387fffff, v3
	s_xor_b32 s7, exec_lo, s7
; %bb.2906:
	v_bfe_u32 v1, v8, 21, 1
	s_delay_alu instid0(VALU_DEP_1) | instskip(NEXT) | instid1(VALU_DEP_1)
	v_add3_u32 v1, v8, v1, 0x80fffff
	v_lshrrev_b32_e32 v1, 21, v1
; %bb.2907:
	s_and_not1_saveexec_b32 s7, s7
; %bb.2908:
	v_add_f32_e64 v1, 0x43000000, |v8|
; %bb.2909:
	s_or_b32 exec_lo, exec_lo, s7
                                        ; implicit-def: $vgpr3
.LBB119_2910:
	s_and_not1_saveexec_b32 s3, s3
; %bb.2911:
	v_mov_b32_e32 v1, 0x7f
	v_cmp_lt_u32_e32 vcc_lo, 0x7f800000, v3
	s_delay_alu instid0(VALU_DEP_2)
	v_cndmask_b32_e32 v1, 0x7c, v1, vcc_lo
; %bb.2912:
	s_or_b32 exec_lo, exec_lo, s3
	v_lshrrev_b32_e32 v3, 24, v8
	s_delay_alu instid0(VALU_DEP_1)
	v_and_or_b32 v1, 0x80, v3, v1
	global_store_b8 v[6:7], v1, off
.LBB119_2913:
	s_mov_b32 s3, 0
	s_mov_b32 s7, -1
.LBB119_2914:
	s_and_not1_b32 vcc_lo, exec_lo, s3
	s_mov_b32 s3, 0
	s_cbranch_vccnz .LBB119_2921
; %bb.2915:
	s_cmp_gt_i32 s2, 14
	s_mov_b32 s3, -1
	s_cbranch_scc0 .LBB119_2919
; %bb.2916:
	s_cmp_eq_u32 s2, 15
	s_mov_b32 s0, -1
	s_cbranch_scc0 .LBB119_2918
; %bb.2917:
	s_wait_xcnt 0x0
	v_bfe_u32 v1, v8, 16, 1
	v_cmp_o_f32_e32 vcc_lo, v8, v8
	s_mov_b32 s0, 0
	s_mov_b32 s7, -1
	s_delay_alu instid0(VALU_DEP_2) | instskip(NEXT) | instid1(VALU_DEP_1)
	v_add3_u32 v1, v8, v1, 0x7fff
	v_lshrrev_b32_e32 v1, 16, v1
	s_delay_alu instid0(VALU_DEP_1)
	v_cndmask_b32_e32 v1, 0x7fc0, v1, vcc_lo
	global_store_b16 v[6:7], v1, off
.LBB119_2918:
	s_mov_b32 s3, 0
.LBB119_2919:
	s_delay_alu instid0(SALU_CYCLE_1)
	s_and_b32 vcc_lo, exec_lo, s3
	s_mov_b32 s3, 0
	s_cbranch_vccz .LBB119_2921
; %bb.2920:
	s_cmp_lg_u32 s2, 11
	s_mov_b32 s3, -1
	s_cselect_b32 s0, -1, 0
.LBB119_2921:
	s_delay_alu instid0(SALU_CYCLE_1)
	s_and_b32 vcc_lo, exec_lo, s0
	s_cbranch_vccnz .LBB119_3329
; %bb.2922:
	s_and_not1_b32 vcc_lo, exec_lo, s3
	s_cbranch_vccnz .LBB119_2924
.LBB119_2923:
	v_cmp_neq_f32_e32 vcc_lo, 0, v8
	s_mov_b32 s7, -1
	s_wait_xcnt 0x0
	v_cndmask_b32_e64 v1, 0, 1, vcc_lo
	global_store_b8 v[6:7], v1, off
.LBB119_2924:
	s_mov_b32 s0, 0
	s_branch .LBB119_2926
.LBB119_2925:
	s_mov_b32 s0, -1
	s_mov_b32 s7, 0
.LBB119_2926:
	s_and_b32 vcc_lo, exec_lo, s0
	s_cbranch_vccz .LBB119_2965
; %bb.2927:
	s_and_b32 s0, 0xffff, s1
	s_mov_b32 s2, -1
	s_cmp_lt_i32 s0, 5
	s_cbranch_scc1 .LBB119_2948
; %bb.2928:
	s_cmp_lt_i32 s0, 8
	s_cbranch_scc1 .LBB119_2938
; %bb.2929:
	s_cmp_lt_i32 s0, 9
	s_cbranch_scc1 .LBB119_2935
; %bb.2930:
	s_cmp_gt_i32 s0, 9
	s_cbranch_scc0 .LBB119_2932
; %bb.2931:
	s_wait_xcnt 0x0
	v_cvt_f64_f32_e32 v[22:23], v8
	v_mov_b32_e32 v24, 0
	s_mov_b32 s2, 0
	s_delay_alu instid0(VALU_DEP_1)
	v_mov_b32_e32 v25, v24
	global_store_b128 v[6:7], v[22:25], off
.LBB119_2932:
	s_and_not1_b32 vcc_lo, exec_lo, s2
	s_cbranch_vccnz .LBB119_2934
; %bb.2933:
	v_mov_b32_e32 v9, 0
	global_store_b64 v[6:7], v[8:9], off
.LBB119_2934:
	s_mov_b32 s2, 0
.LBB119_2935:
	s_delay_alu instid0(SALU_CYCLE_1)
	s_and_not1_b32 vcc_lo, exec_lo, s2
	s_cbranch_vccnz .LBB119_2937
; %bb.2936:
	s_wait_xcnt 0x0
	v_cvt_f16_f32_e32 v1, v8
	s_delay_alu instid0(VALU_DEP_1)
	v_and_b32_e32 v1, 0xffff, v1
	global_store_b32 v[6:7], v1, off
.LBB119_2937:
	s_mov_b32 s2, 0
.LBB119_2938:
	s_delay_alu instid0(SALU_CYCLE_1)
	s_and_not1_b32 vcc_lo, exec_lo, s2
	s_cbranch_vccnz .LBB119_2947
; %bb.2939:
	s_cmp_lt_i32 s0, 6
	s_mov_b32 s2, -1
	s_cbranch_scc1 .LBB119_2945
; %bb.2940:
	s_cmp_gt_i32 s0, 6
	s_cbranch_scc0 .LBB119_2942
; %bb.2941:
	s_wait_xcnt 0x0
	v_cvt_f64_f32_e32 v[22:23], v8
	s_mov_b32 s2, 0
	global_store_b64 v[6:7], v[22:23], off
.LBB119_2942:
	s_and_not1_b32 vcc_lo, exec_lo, s2
	s_cbranch_vccnz .LBB119_2944
; %bb.2943:
	global_store_b32 v[6:7], v8, off
.LBB119_2944:
	s_mov_b32 s2, 0
.LBB119_2945:
	s_delay_alu instid0(SALU_CYCLE_1)
	s_and_not1_b32 vcc_lo, exec_lo, s2
	s_cbranch_vccnz .LBB119_2947
; %bb.2946:
	s_wait_xcnt 0x0
	v_cvt_f16_f32_e32 v1, v8
	global_store_b16 v[6:7], v1, off
.LBB119_2947:
	s_mov_b32 s2, 0
.LBB119_2948:
	s_delay_alu instid0(SALU_CYCLE_1)
	s_and_not1_b32 vcc_lo, exec_lo, s2
	s_cbranch_vccnz .LBB119_2964
; %bb.2949:
	s_cmp_lt_i32 s0, 2
	s_mov_b32 s2, -1
	s_cbranch_scc1 .LBB119_2959
; %bb.2950:
	s_cmp_lt_i32 s0, 3
	s_cbranch_scc1 .LBB119_2956
; %bb.2951:
	s_cmp_gt_i32 s0, 3
	s_cbranch_scc0 .LBB119_2953
; %bb.2952:
	s_wait_xcnt 0x0
	v_trunc_f32_e32 v1, v8
	s_mov_b32 s2, 0
	s_delay_alu instid0(VALU_DEP_1) | instskip(SKIP_1) | instid1(VALU_DEP_2)
	v_mul_f32_e64 v3, 0x2f800000, |v1|
	v_ashrrev_i32_e32 v22, 31, v1
	v_floor_f32_e32 v3, v3
	s_delay_alu instid0(VALU_DEP_1) | instskip(SKIP_1) | instid1(VALU_DEP_4)
	v_fma_f32 v5, 0xcf800000, v3, |v1|
	v_cvt_u32_f32_e32 v1, v3
	v_mov_b32_e32 v23, v22
	s_delay_alu instid0(VALU_DEP_3) | instskip(NEXT) | instid1(VALU_DEP_3)
	v_cvt_u32_f32_e32 v3, v5
	v_xor_b32_e32 v25, v1, v22
	s_delay_alu instid0(VALU_DEP_2) | instskip(NEXT) | instid1(VALU_DEP_1)
	v_xor_b32_e32 v24, v3, v22
	v_sub_nc_u64_e32 v[22:23], v[24:25], v[22:23]
	global_store_b64 v[6:7], v[22:23], off
.LBB119_2953:
	s_and_not1_b32 vcc_lo, exec_lo, s2
	s_cbranch_vccnz .LBB119_2955
; %bb.2954:
	s_wait_xcnt 0x0
	v_cvt_i32_f32_e32 v1, v8
	global_store_b32 v[6:7], v1, off
.LBB119_2955:
	s_mov_b32 s2, 0
.LBB119_2956:
	s_delay_alu instid0(SALU_CYCLE_1)
	s_and_not1_b32 vcc_lo, exec_lo, s2
	s_cbranch_vccnz .LBB119_2958
; %bb.2957:
	s_wait_xcnt 0x0
	v_cvt_i32_f32_e32 v1, v8
	global_store_b16 v[6:7], v1, off
.LBB119_2958:
	s_mov_b32 s2, 0
.LBB119_2959:
	s_delay_alu instid0(SALU_CYCLE_1)
	s_and_not1_b32 vcc_lo, exec_lo, s2
	s_cbranch_vccnz .LBB119_2964
; %bb.2960:
	s_cmp_gt_i32 s0, 0
	s_mov_b32 s0, -1
	s_cbranch_scc0 .LBB119_2962
; %bb.2961:
	s_wait_xcnt 0x0
	v_cvt_i32_f32_e32 v1, v8
	s_mov_b32 s0, 0
	global_store_b8 v[6:7], v1, off
.LBB119_2962:
	s_and_not1_b32 vcc_lo, exec_lo, s0
	s_cbranch_vccnz .LBB119_2964
; %bb.2963:
	s_wait_xcnt 0x0
	v_trunc_f32_e32 v1, v8
	s_delay_alu instid0(VALU_DEP_1) | instskip(NEXT) | instid1(VALU_DEP_1)
	v_mul_f32_e64 v3, 0x2f800000, |v1|
	v_floor_f32_e32 v3, v3
	s_delay_alu instid0(VALU_DEP_1) | instskip(SKIP_1) | instid1(VALU_DEP_2)
	v_fma_f32 v3, 0xcf800000, v3, |v1|
	v_ashrrev_i32_e32 v1, 31, v1
	v_cvt_u32_f32_e32 v3, v3
	s_delay_alu instid0(VALU_DEP_1) | instskip(NEXT) | instid1(VALU_DEP_1)
	v_xor_b32_e32 v3, v3, v1
	v_sub_nc_u32_e32 v1, v3, v1
	global_store_b8 v[6:7], v1, off
.LBB119_2964:
	s_mov_b32 s7, -1
.LBB119_2965:
	s_delay_alu instid0(SALU_CYCLE_1)
	s_and_not1_b32 vcc_lo, exec_lo, s7
	s_cbranch_vccnz .LBB119_3280
; %bb.2966:
	s_wait_xcnt 0x0
	v_dual_mov_b32 v5, 0 :: v_dual_mul_f32 v1, s6, v20
	s_and_b32 s2, 0xffff, s1
	s_delay_alu instid0(SALU_CYCLE_1) | instskip(NEXT) | instid1(VALU_DEP_1)
	s_cmp_lt_i32 s2, 11
	v_add_nc_u64_e32 v[4:5], s[4:5], v[4:5]
	s_delay_alu instid0(VALU_DEP_2)
	v_mul_f32_e32 v6, v1, v18
	s_cbranch_scc1 .LBB119_3044
; %bb.2967:
	s_mov_b32 s11, -1
	s_mov_b32 s3, 0
	s_cmp_gt_i32 s2, 25
	s_mov_b32 s7, 0
	s_mov_b32 s0, 0
	s_cbranch_scc0 .LBB119_3000
; %bb.2968:
	s_cmp_gt_i32 s2, 28
	s_cbranch_scc0 .LBB119_2983
; %bb.2969:
	s_cmp_gt_i32 s2, 43
	;; [unrolled: 3-line block ×3, first 2 shown]
	s_cbranch_scc0 .LBB119_2973
; %bb.2971:
	s_mov_b32 s0, -1
	s_mov_b32 s11, 0
	s_cmp_eq_u32 s2, 46
	s_cbranch_scc0 .LBB119_2973
; %bb.2972:
	v_bfe_u32 v1, v6, 16, 1
	v_cmp_o_f32_e32 vcc_lo, v6, v6
	s_mov_b32 s0, 0
	s_mov_b32 s7, -1
	s_delay_alu instid0(VALU_DEP_2) | instskip(NEXT) | instid1(VALU_DEP_1)
	v_add3_u32 v1, v6, v1, 0x7fff
	v_lshrrev_b32_e32 v1, 16, v1
	s_delay_alu instid0(VALU_DEP_1)
	v_cndmask_b32_e32 v1, 0x7fc0, v1, vcc_lo
	global_store_b32 v[4:5], v1, off
.LBB119_2973:
	s_and_b32 vcc_lo, exec_lo, s11
	s_cbranch_vccz .LBB119_2978
; %bb.2974:
	s_cmp_eq_u32 s2, 44
	s_mov_b32 s0, -1
	s_cbranch_scc0 .LBB119_2978
; %bb.2975:
	v_bfe_u32 v3, v6, 23, 8
	s_wait_xcnt 0x0
	v_mov_b32_e32 v1, 0xff
	s_mov_b32 s7, exec_lo
	s_delay_alu instid0(VALU_DEP_2)
	v_cmpx_ne_u32_e32 0xff, v3
	s_cbranch_execz .LBB119_2977
; %bb.2976:
	v_and_b32_e32 v1, 0x400000, v6
	v_and_or_b32 v3, 0x3fffff, v6, v3
	s_delay_alu instid0(VALU_DEP_2) | instskip(NEXT) | instid1(VALU_DEP_2)
	v_cmp_ne_u32_e32 vcc_lo, 0, v1
	v_cmp_ne_u32_e64 s0, 0, v3
	v_lshrrev_b32_e32 v1, 23, v6
	s_and_b32 s0, vcc_lo, s0
	s_delay_alu instid0(SALU_CYCLE_1) | instskip(NEXT) | instid1(VALU_DEP_1)
	v_cndmask_b32_e64 v3, 0, 1, s0
	v_add_nc_u32_e32 v1, v1, v3
.LBB119_2977:
	s_or_b32 exec_lo, exec_lo, s7
	s_mov_b32 s0, 0
	s_mov_b32 s7, -1
	global_store_b8 v[4:5], v1, off
.LBB119_2978:
	s_mov_b32 s11, 0
.LBB119_2979:
	s_delay_alu instid0(SALU_CYCLE_1)
	s_and_b32 vcc_lo, exec_lo, s11
	s_cbranch_vccz .LBB119_2982
; %bb.2980:
	s_cmp_eq_u32 s2, 29
	s_mov_b32 s0, -1
	s_cbranch_scc0 .LBB119_2982
; %bb.2981:
	s_wait_xcnt 0x0
	v_trunc_f32_e32 v1, v6
	s_mov_b32 s0, 0
	s_mov_b32 s7, -1
	s_delay_alu instid0(VALU_DEP_1) | instskip(NEXT) | instid1(VALU_DEP_1)
	v_mul_f32_e32 v3, 0x2f800000, v1
	v_floor_f32_e32 v3, v3
	s_delay_alu instid0(VALU_DEP_1) | instskip(SKIP_1) | instid1(VALU_DEP_2)
	v_fmamk_f32 v1, v3, 0xcf800000, v1
	v_cvt_u32_f32_e32 v9, v3
	v_cvt_u32_f32_e32 v8, v1
	global_store_b64 v[4:5], v[8:9], off
.LBB119_2982:
	s_mov_b32 s11, 0
.LBB119_2983:
	s_delay_alu instid0(SALU_CYCLE_1)
	s_and_b32 vcc_lo, exec_lo, s11
	s_cbranch_vccz .LBB119_2999
; %bb.2984:
	s_cmp_lt_i32 s2, 27
	s_mov_b32 s7, -1
	s_cbranch_scc1 .LBB119_2990
; %bb.2985:
	s_cmp_gt_i32 s2, 27
	s_cbranch_scc0 .LBB119_2987
; %bb.2986:
	s_wait_xcnt 0x0
	v_cvt_u32_f32_e32 v1, v6
	s_mov_b32 s7, 0
	global_store_b32 v[4:5], v1, off
.LBB119_2987:
	s_and_not1_b32 vcc_lo, exec_lo, s7
	s_cbranch_vccnz .LBB119_2989
; %bb.2988:
	s_wait_xcnt 0x0
	v_cvt_u32_f32_e32 v1, v6
	global_store_b16 v[4:5], v1, off
.LBB119_2989:
	s_mov_b32 s7, 0
.LBB119_2990:
	s_delay_alu instid0(SALU_CYCLE_1)
	s_and_not1_b32 vcc_lo, exec_lo, s7
	s_cbranch_vccnz .LBB119_2998
; %bb.2991:
	s_wait_xcnt 0x0
	v_and_b32_e32 v1, 0x7fffffff, v6
	v_mov_b32_e32 v3, 0x80
	s_mov_b32 s7, exec_lo
	s_delay_alu instid0(VALU_DEP_2)
	v_cmpx_gt_u32_e32 0x43800000, v1
	s_cbranch_execz .LBB119_2997
; %bb.2992:
	v_cmp_lt_u32_e32 vcc_lo, 0x3bffffff, v1
	s_mov_b32 s11, 0
                                        ; implicit-def: $vgpr1
	s_and_saveexec_b32 s12, vcc_lo
	s_delay_alu instid0(SALU_CYCLE_1)
	s_xor_b32 s12, exec_lo, s12
	s_cbranch_execz .LBB119_3332
; %bb.2993:
	v_bfe_u32 v1, v6, 20, 1
	s_mov_b32 s11, exec_lo
	s_delay_alu instid0(VALU_DEP_1) | instskip(NEXT) | instid1(VALU_DEP_1)
	v_add3_u32 v1, v6, v1, 0x487ffff
	v_lshrrev_b32_e32 v1, 20, v1
	s_and_not1_saveexec_b32 s12, s12
	s_cbranch_execnz .LBB119_3333
.LBB119_2994:
	s_or_b32 exec_lo, exec_lo, s12
	v_mov_b32_e32 v3, 0
	s_and_saveexec_b32 s12, s11
.LBB119_2995:
	v_lshrrev_b32_e32 v3, 24, v6
	s_delay_alu instid0(VALU_DEP_1)
	v_and_or_b32 v3, 0x80, v3, v1
.LBB119_2996:
	s_or_b32 exec_lo, exec_lo, s12
.LBB119_2997:
	s_delay_alu instid0(SALU_CYCLE_1)
	s_or_b32 exec_lo, exec_lo, s7
	global_store_b8 v[4:5], v3, off
.LBB119_2998:
	s_mov_b32 s7, -1
.LBB119_2999:
	s_mov_b32 s11, 0
.LBB119_3000:
	s_delay_alu instid0(SALU_CYCLE_1)
	s_and_b32 vcc_lo, exec_lo, s11
	s_cbranch_vccz .LBB119_3040
; %bb.3001:
	s_cmp_gt_i32 s2, 22
	s_mov_b32 s3, -1
	s_cbranch_scc0 .LBB119_3033
; %bb.3002:
	s_cmp_lt_i32 s2, 24
	s_cbranch_scc1 .LBB119_3022
; %bb.3003:
	s_cmp_gt_i32 s2, 24
	s_cbranch_scc0 .LBB119_3011
; %bb.3004:
	s_wait_xcnt 0x0
	v_and_b32_e32 v1, 0x7fffffff, v6
	v_mov_b32_e32 v3, 0x80
	s_mov_b32 s3, exec_lo
	s_delay_alu instid0(VALU_DEP_2)
	v_cmpx_gt_u32_e32 0x47800000, v1
	s_cbranch_execz .LBB119_3010
; %bb.3005:
	v_cmp_lt_u32_e32 vcc_lo, 0x37ffffff, v1
	s_mov_b32 s7, 0
                                        ; implicit-def: $vgpr1
	s_and_saveexec_b32 s11, vcc_lo
	s_delay_alu instid0(SALU_CYCLE_1)
	s_xor_b32 s11, exec_lo, s11
	s_cbranch_execz .LBB119_3335
; %bb.3006:
	v_bfe_u32 v1, v6, 21, 1
	s_mov_b32 s7, exec_lo
	s_delay_alu instid0(VALU_DEP_1) | instskip(NEXT) | instid1(VALU_DEP_1)
	v_add3_u32 v1, v6, v1, 0x88fffff
	v_lshrrev_b32_e32 v1, 21, v1
	s_and_not1_saveexec_b32 s11, s11
	s_cbranch_execnz .LBB119_3336
.LBB119_3007:
	s_or_b32 exec_lo, exec_lo, s11
	v_mov_b32_e32 v3, 0
	s_and_saveexec_b32 s11, s7
.LBB119_3008:
	v_lshrrev_b32_e32 v3, 24, v6
	s_delay_alu instid0(VALU_DEP_1)
	v_and_or_b32 v3, 0x80, v3, v1
.LBB119_3009:
	s_or_b32 exec_lo, exec_lo, s11
.LBB119_3010:
	s_delay_alu instid0(SALU_CYCLE_1)
	s_or_b32 exec_lo, exec_lo, s3
	s_mov_b32 s3, 0
	global_store_b8 v[4:5], v3, off
.LBB119_3011:
	s_and_b32 vcc_lo, exec_lo, s3
	s_cbranch_vccz .LBB119_3021
; %bb.3012:
	s_wait_xcnt 0x0
	v_and_b32_e32 v3, 0x7fffffff, v6
	s_mov_b32 s3, exec_lo
                                        ; implicit-def: $vgpr1
	s_delay_alu instid0(VALU_DEP_1)
	v_cmpx_gt_u32_e32 0x43f00000, v3
	s_xor_b32 s3, exec_lo, s3
	s_cbranch_execz .LBB119_3018
; %bb.3013:
	s_mov_b32 s7, exec_lo
                                        ; implicit-def: $vgpr1
	v_cmpx_lt_u32_e32 0x3c7fffff, v3
	s_xor_b32 s7, exec_lo, s7
; %bb.3014:
	v_bfe_u32 v1, v6, 20, 1
	s_delay_alu instid0(VALU_DEP_1) | instskip(NEXT) | instid1(VALU_DEP_1)
	v_add3_u32 v1, v6, v1, 0x407ffff
	v_and_b32_e32 v3, 0xff00000, v1
	v_lshrrev_b32_e32 v1, 20, v1
	s_delay_alu instid0(VALU_DEP_2) | instskip(NEXT) | instid1(VALU_DEP_2)
	v_cmp_ne_u32_e32 vcc_lo, 0x7f00000, v3
	v_cndmask_b32_e32 v1, 0x7e, v1, vcc_lo
; %bb.3015:
	s_and_not1_saveexec_b32 s7, s7
; %bb.3016:
	v_add_f32_e64 v1, 0x46800000, |v6|
; %bb.3017:
	s_or_b32 exec_lo, exec_lo, s7
                                        ; implicit-def: $vgpr3
.LBB119_3018:
	s_and_not1_saveexec_b32 s3, s3
; %bb.3019:
	v_mov_b32_e32 v1, 0x7f
	v_cmp_lt_u32_e32 vcc_lo, 0x7f800000, v3
	s_delay_alu instid0(VALU_DEP_2)
	v_cndmask_b32_e32 v1, 0x7e, v1, vcc_lo
; %bb.3020:
	s_or_b32 exec_lo, exec_lo, s3
	v_lshrrev_b32_e32 v3, 24, v6
	s_delay_alu instid0(VALU_DEP_1)
	v_and_or_b32 v1, 0x80, v3, v1
	global_store_b8 v[4:5], v1, off
.LBB119_3021:
	s_mov_b32 s3, 0
.LBB119_3022:
	s_delay_alu instid0(SALU_CYCLE_1)
	s_and_not1_b32 vcc_lo, exec_lo, s3
	s_cbranch_vccnz .LBB119_3032
; %bb.3023:
	s_wait_xcnt 0x0
	v_and_b32_e32 v3, 0x7fffffff, v6
	s_mov_b32 s3, exec_lo
                                        ; implicit-def: $vgpr1
	s_delay_alu instid0(VALU_DEP_1)
	v_cmpx_gt_u32_e32 0x47800000, v3
	s_xor_b32 s3, exec_lo, s3
	s_cbranch_execz .LBB119_3029
; %bb.3024:
	s_mov_b32 s7, exec_lo
                                        ; implicit-def: $vgpr1
	v_cmpx_lt_u32_e32 0x387fffff, v3
	s_xor_b32 s7, exec_lo, s7
; %bb.3025:
	v_bfe_u32 v1, v6, 21, 1
	s_delay_alu instid0(VALU_DEP_1) | instskip(NEXT) | instid1(VALU_DEP_1)
	v_add3_u32 v1, v6, v1, 0x80fffff
	v_lshrrev_b32_e32 v1, 21, v1
; %bb.3026:
	s_and_not1_saveexec_b32 s7, s7
; %bb.3027:
	v_add_f32_e64 v1, 0x43000000, |v6|
; %bb.3028:
	s_or_b32 exec_lo, exec_lo, s7
                                        ; implicit-def: $vgpr3
.LBB119_3029:
	s_and_not1_saveexec_b32 s3, s3
; %bb.3030:
	v_mov_b32_e32 v1, 0x7f
	v_cmp_lt_u32_e32 vcc_lo, 0x7f800000, v3
	s_delay_alu instid0(VALU_DEP_2)
	v_cndmask_b32_e32 v1, 0x7c, v1, vcc_lo
; %bb.3031:
	s_or_b32 exec_lo, exec_lo, s3
	v_lshrrev_b32_e32 v3, 24, v6
	s_delay_alu instid0(VALU_DEP_1)
	v_and_or_b32 v1, 0x80, v3, v1
	global_store_b8 v[4:5], v1, off
.LBB119_3032:
	s_mov_b32 s3, 0
	s_mov_b32 s7, -1
.LBB119_3033:
	s_and_not1_b32 vcc_lo, exec_lo, s3
	s_mov_b32 s3, 0
	s_cbranch_vccnz .LBB119_3040
; %bb.3034:
	s_cmp_gt_i32 s2, 14
	s_mov_b32 s3, -1
	s_cbranch_scc0 .LBB119_3038
; %bb.3035:
	s_cmp_eq_u32 s2, 15
	s_mov_b32 s0, -1
	s_cbranch_scc0 .LBB119_3037
; %bb.3036:
	s_wait_xcnt 0x0
	v_bfe_u32 v1, v6, 16, 1
	v_cmp_o_f32_e32 vcc_lo, v6, v6
	s_mov_b32 s0, 0
	s_mov_b32 s7, -1
	s_delay_alu instid0(VALU_DEP_2) | instskip(NEXT) | instid1(VALU_DEP_1)
	v_add3_u32 v1, v6, v1, 0x7fff
	v_lshrrev_b32_e32 v1, 16, v1
	s_delay_alu instid0(VALU_DEP_1)
	v_cndmask_b32_e32 v1, 0x7fc0, v1, vcc_lo
	global_store_b16 v[4:5], v1, off
.LBB119_3037:
	s_mov_b32 s3, 0
.LBB119_3038:
	s_delay_alu instid0(SALU_CYCLE_1)
	s_and_b32 vcc_lo, exec_lo, s3
	s_mov_b32 s3, 0
	s_cbranch_vccz .LBB119_3040
; %bb.3039:
	s_cmp_lg_u32 s2, 11
	s_mov_b32 s3, -1
	s_cselect_b32 s0, -1, 0
.LBB119_3040:
	s_delay_alu instid0(SALU_CYCLE_1)
	s_and_b32 vcc_lo, exec_lo, s0
	s_cbranch_vccnz .LBB119_3334
; %bb.3041:
	s_and_not1_b32 vcc_lo, exec_lo, s3
	s_cbranch_vccnz .LBB119_3043
.LBB119_3042:
	v_cmp_neq_f32_e32 vcc_lo, 0, v6
	s_mov_b32 s7, -1
	s_wait_xcnt 0x0
	v_cndmask_b32_e64 v1, 0, 1, vcc_lo
	global_store_b8 v[4:5], v1, off
.LBB119_3043:
	s_mov_b32 s0, 0
	s_branch .LBB119_3045
.LBB119_3044:
	s_mov_b32 s0, -1
	s_mov_b32 s7, 0
.LBB119_3045:
	s_and_b32 vcc_lo, exec_lo, s0
	s_cbranch_vccz .LBB119_3084
; %bb.3046:
	s_cmp_lt_i32 s2, 5
	s_mov_b32 s0, -1
	s_cbranch_scc1 .LBB119_3067
; %bb.3047:
	s_cmp_lt_i32 s2, 8
	s_cbranch_scc1 .LBB119_3057
; %bb.3048:
	s_cmp_lt_i32 s2, 9
	s_cbranch_scc1 .LBB119_3054
; %bb.3049:
	s_cmp_gt_i32 s2, 9
	s_cbranch_scc0 .LBB119_3051
; %bb.3050:
	v_cvt_f64_f32_e32 v[18:19], v6
	v_mov_b32_e32 v20, 0
	s_mov_b32 s0, 0
	s_delay_alu instid0(VALU_DEP_1)
	v_mov_b32_e32 v21, v20
	global_store_b128 v[4:5], v[18:21], off
.LBB119_3051:
	s_and_not1_b32 vcc_lo, exec_lo, s0
	s_cbranch_vccnz .LBB119_3053
; %bb.3052:
	v_mov_b32_e32 v7, 0
	global_store_b64 v[4:5], v[6:7], off
.LBB119_3053:
	s_mov_b32 s0, 0
.LBB119_3054:
	s_delay_alu instid0(SALU_CYCLE_1)
	s_and_not1_b32 vcc_lo, exec_lo, s0
	s_cbranch_vccnz .LBB119_3056
; %bb.3055:
	s_wait_xcnt 0x0
	v_cvt_f16_f32_e32 v1, v6
	s_delay_alu instid0(VALU_DEP_1)
	v_and_b32_e32 v1, 0xffff, v1
	global_store_b32 v[4:5], v1, off
.LBB119_3056:
	s_mov_b32 s0, 0
.LBB119_3057:
	s_delay_alu instid0(SALU_CYCLE_1)
	s_and_not1_b32 vcc_lo, exec_lo, s0
	s_cbranch_vccnz .LBB119_3066
; %bb.3058:
	s_cmp_lt_i32 s2, 6
	s_mov_b32 s0, -1
	s_cbranch_scc1 .LBB119_3064
; %bb.3059:
	s_cmp_gt_i32 s2, 6
	s_cbranch_scc0 .LBB119_3061
; %bb.3060:
	s_wait_xcnt 0x0
	v_cvt_f64_f32_e32 v[8:9], v6
	s_mov_b32 s0, 0
	global_store_b64 v[4:5], v[8:9], off
.LBB119_3061:
	s_and_not1_b32 vcc_lo, exec_lo, s0
	s_cbranch_vccnz .LBB119_3063
; %bb.3062:
	global_store_b32 v[4:5], v6, off
.LBB119_3063:
	s_mov_b32 s0, 0
.LBB119_3064:
	s_delay_alu instid0(SALU_CYCLE_1)
	s_and_not1_b32 vcc_lo, exec_lo, s0
	s_cbranch_vccnz .LBB119_3066
; %bb.3065:
	s_wait_xcnt 0x0
	v_cvt_f16_f32_e32 v1, v6
	global_store_b16 v[4:5], v1, off
.LBB119_3066:
	s_mov_b32 s0, 0
.LBB119_3067:
	s_delay_alu instid0(SALU_CYCLE_1)
	s_and_not1_b32 vcc_lo, exec_lo, s0
	s_cbranch_vccnz .LBB119_3083
; %bb.3068:
	s_cmp_lt_i32 s2, 2
	s_mov_b32 s0, -1
	s_cbranch_scc1 .LBB119_3078
; %bb.3069:
	s_cmp_lt_i32 s2, 3
	s_cbranch_scc1 .LBB119_3075
; %bb.3070:
	s_cmp_gt_i32 s2, 3
	s_cbranch_scc0 .LBB119_3072
; %bb.3071:
	s_wait_xcnt 0x0
	v_trunc_f32_e32 v1, v6
	s_mov_b32 s0, 0
	s_delay_alu instid0(VALU_DEP_1) | instskip(SKIP_1) | instid1(VALU_DEP_2)
	v_mul_f32_e64 v3, 0x2f800000, |v1|
	v_ashrrev_i32_e32 v8, 31, v1
	v_floor_f32_e32 v3, v3
	s_delay_alu instid0(VALU_DEP_1) | instskip(SKIP_1) | instid1(VALU_DEP_4)
	v_fma_f32 v7, 0xcf800000, v3, |v1|
	v_cvt_u32_f32_e32 v1, v3
	v_mov_b32_e32 v9, v8
	s_delay_alu instid0(VALU_DEP_3) | instskip(NEXT) | instid1(VALU_DEP_3)
	v_cvt_u32_f32_e32 v3, v7
	v_xor_b32_e32 v19, v1, v8
	s_delay_alu instid0(VALU_DEP_2) | instskip(NEXT) | instid1(VALU_DEP_1)
	v_xor_b32_e32 v18, v3, v8
	v_sub_nc_u64_e32 v[8:9], v[18:19], v[8:9]
	global_store_b64 v[4:5], v[8:9], off
.LBB119_3072:
	s_and_not1_b32 vcc_lo, exec_lo, s0
	s_cbranch_vccnz .LBB119_3074
; %bb.3073:
	s_wait_xcnt 0x0
	v_cvt_i32_f32_e32 v1, v6
	global_store_b32 v[4:5], v1, off
.LBB119_3074:
	s_mov_b32 s0, 0
.LBB119_3075:
	s_delay_alu instid0(SALU_CYCLE_1)
	s_and_not1_b32 vcc_lo, exec_lo, s0
	s_cbranch_vccnz .LBB119_3077
; %bb.3076:
	s_wait_xcnt 0x0
	v_cvt_i32_f32_e32 v1, v6
	global_store_b16 v[4:5], v1, off
.LBB119_3077:
	s_mov_b32 s0, 0
.LBB119_3078:
	s_delay_alu instid0(SALU_CYCLE_1)
	s_and_not1_b32 vcc_lo, exec_lo, s0
	s_cbranch_vccnz .LBB119_3083
; %bb.3079:
	s_cmp_gt_i32 s2, 0
	s_mov_b32 s0, -1
	s_cbranch_scc0 .LBB119_3081
; %bb.3080:
	s_wait_xcnt 0x0
	v_cvt_i32_f32_e32 v1, v6
	s_mov_b32 s0, 0
	global_store_b8 v[4:5], v1, off
.LBB119_3081:
	s_and_not1_b32 vcc_lo, exec_lo, s0
	s_cbranch_vccnz .LBB119_3083
; %bb.3082:
	s_wait_xcnt 0x0
	v_trunc_f32_e32 v1, v6
	s_delay_alu instid0(VALU_DEP_1) | instskip(NEXT) | instid1(VALU_DEP_1)
	v_mul_f32_e64 v3, 0x2f800000, |v1|
	v_floor_f32_e32 v3, v3
	s_delay_alu instid0(VALU_DEP_1) | instskip(SKIP_1) | instid1(VALU_DEP_2)
	v_fma_f32 v3, 0xcf800000, v3, |v1|
	v_ashrrev_i32_e32 v1, 31, v1
	v_cvt_u32_f32_e32 v3, v3
	s_delay_alu instid0(VALU_DEP_1) | instskip(NEXT) | instid1(VALU_DEP_1)
	v_xor_b32_e32 v3, v3, v1
	v_sub_nc_u32_e32 v1, v3, v1
	global_store_b8 v[4:5], v1, off
.LBB119_3083:
	s_mov_b32 s7, -1
.LBB119_3084:
	s_delay_alu instid0(SALU_CYCLE_1)
	s_and_not1_b32 vcc_lo, exec_lo, s7
	s_cbranch_vccnz .LBB119_3280
; %bb.3085:
	s_wait_xcnt 0x0
	v_dual_mov_b32 v3, 0 :: v_dual_mul_f32 v1, s6, v16
	s_cmp_lt_i32 s2, 11
	s_delay_alu instid0(VALU_DEP_1) | instskip(NEXT) | instid1(VALU_DEP_2)
	v_add_nc_u64_e32 v[2:3], s[4:5], v[2:3]
	v_mul_f32_e32 v4, v1, v14
	s_cbranch_scc1 .LBB119_3163
; %bb.3086:
	s_mov_b32 s11, -1
	s_mov_b32 s3, 0
	s_cmp_gt_i32 s2, 25
	s_mov_b32 s7, 0
	s_mov_b32 s0, 0
	s_cbranch_scc0 .LBB119_3119
; %bb.3087:
	s_cmp_gt_i32 s2, 28
	s_cbranch_scc0 .LBB119_3102
; %bb.3088:
	s_cmp_gt_i32 s2, 43
	;; [unrolled: 3-line block ×3, first 2 shown]
	s_cbranch_scc0 .LBB119_3092
; %bb.3090:
	s_mov_b32 s0, -1
	s_mov_b32 s11, 0
	s_cmp_eq_u32 s2, 46
	s_cbranch_scc0 .LBB119_3092
; %bb.3091:
	v_bfe_u32 v1, v4, 16, 1
	v_cmp_o_f32_e32 vcc_lo, v4, v4
	s_mov_b32 s0, 0
	s_mov_b32 s7, -1
	s_delay_alu instid0(VALU_DEP_2) | instskip(NEXT) | instid1(VALU_DEP_1)
	v_add3_u32 v1, v4, v1, 0x7fff
	v_lshrrev_b32_e32 v1, 16, v1
	s_delay_alu instid0(VALU_DEP_1)
	v_cndmask_b32_e32 v1, 0x7fc0, v1, vcc_lo
	global_store_b32 v[2:3], v1, off
.LBB119_3092:
	s_and_b32 vcc_lo, exec_lo, s11
	s_cbranch_vccz .LBB119_3097
; %bb.3093:
	s_cmp_eq_u32 s2, 44
	s_mov_b32 s0, -1
	s_cbranch_scc0 .LBB119_3097
; %bb.3094:
	v_bfe_u32 v5, v4, 23, 8
	s_wait_xcnt 0x0
	v_mov_b32_e32 v1, 0xff
	s_mov_b32 s7, exec_lo
	s_delay_alu instid0(VALU_DEP_2)
	v_cmpx_ne_u32_e32 0xff, v5
	s_cbranch_execz .LBB119_3096
; %bb.3095:
	v_and_b32_e32 v1, 0x400000, v4
	v_and_or_b32 v5, 0x3fffff, v4, v5
	s_delay_alu instid0(VALU_DEP_2) | instskip(NEXT) | instid1(VALU_DEP_2)
	v_cmp_ne_u32_e32 vcc_lo, 0, v1
	v_cmp_ne_u32_e64 s0, 0, v5
	v_lshrrev_b32_e32 v1, 23, v4
	s_and_b32 s0, vcc_lo, s0
	s_delay_alu instid0(SALU_CYCLE_1) | instskip(NEXT) | instid1(VALU_DEP_1)
	v_cndmask_b32_e64 v5, 0, 1, s0
	v_add_nc_u32_e32 v1, v1, v5
.LBB119_3096:
	s_or_b32 exec_lo, exec_lo, s7
	s_mov_b32 s0, 0
	s_mov_b32 s7, -1
	global_store_b8 v[2:3], v1, off
.LBB119_3097:
	s_mov_b32 s11, 0
.LBB119_3098:
	s_delay_alu instid0(SALU_CYCLE_1)
	s_and_b32 vcc_lo, exec_lo, s11
	s_cbranch_vccz .LBB119_3101
; %bb.3099:
	s_cmp_eq_u32 s2, 29
	s_mov_b32 s0, -1
	s_cbranch_scc0 .LBB119_3101
; %bb.3100:
	s_wait_xcnt 0x0
	v_trunc_f32_e32 v1, v4
	s_mov_b32 s0, 0
	s_mov_b32 s7, -1
	s_delay_alu instid0(VALU_DEP_1) | instskip(NEXT) | instid1(VALU_DEP_1)
	v_mul_f32_e32 v5, 0x2f800000, v1
	v_floor_f32_e32 v5, v5
	s_delay_alu instid0(VALU_DEP_1) | instskip(SKIP_1) | instid1(VALU_DEP_2)
	v_fmamk_f32 v1, v5, 0xcf800000, v1
	v_cvt_u32_f32_e32 v7, v5
	v_cvt_u32_f32_e32 v6, v1
	global_store_b64 v[2:3], v[6:7], off
.LBB119_3101:
	s_mov_b32 s11, 0
.LBB119_3102:
	s_delay_alu instid0(SALU_CYCLE_1)
	s_and_b32 vcc_lo, exec_lo, s11
	s_cbranch_vccz .LBB119_3118
; %bb.3103:
	s_cmp_lt_i32 s2, 27
	s_mov_b32 s7, -1
	s_cbranch_scc1 .LBB119_3109
; %bb.3104:
	s_cmp_gt_i32 s2, 27
	s_cbranch_scc0 .LBB119_3106
; %bb.3105:
	s_wait_xcnt 0x0
	v_cvt_u32_f32_e32 v1, v4
	s_mov_b32 s7, 0
	global_store_b32 v[2:3], v1, off
.LBB119_3106:
	s_and_not1_b32 vcc_lo, exec_lo, s7
	s_cbranch_vccnz .LBB119_3108
; %bb.3107:
	s_wait_xcnt 0x0
	v_cvt_u32_f32_e32 v1, v4
	global_store_b16 v[2:3], v1, off
.LBB119_3108:
	s_mov_b32 s7, 0
.LBB119_3109:
	s_delay_alu instid0(SALU_CYCLE_1)
	s_and_not1_b32 vcc_lo, exec_lo, s7
	s_cbranch_vccnz .LBB119_3117
; %bb.3110:
	s_wait_xcnt 0x0
	v_and_b32_e32 v1, 0x7fffffff, v4
	v_mov_b32_e32 v5, 0x80
	s_mov_b32 s7, exec_lo
	s_delay_alu instid0(VALU_DEP_2)
	v_cmpx_gt_u32_e32 0x43800000, v1
	s_cbranch_execz .LBB119_3116
; %bb.3111:
	v_cmp_lt_u32_e32 vcc_lo, 0x3bffffff, v1
	s_mov_b32 s11, 0
                                        ; implicit-def: $vgpr1
	s_and_saveexec_b32 s12, vcc_lo
	s_delay_alu instid0(SALU_CYCLE_1)
	s_xor_b32 s12, exec_lo, s12
	s_cbranch_execz .LBB119_3337
; %bb.3112:
	v_bfe_u32 v1, v4, 20, 1
	s_mov_b32 s11, exec_lo
	s_delay_alu instid0(VALU_DEP_1) | instskip(NEXT) | instid1(VALU_DEP_1)
	v_add3_u32 v1, v4, v1, 0x487ffff
	v_lshrrev_b32_e32 v1, 20, v1
	s_and_not1_saveexec_b32 s12, s12
	s_cbranch_execnz .LBB119_3338
.LBB119_3113:
	s_or_b32 exec_lo, exec_lo, s12
	v_mov_b32_e32 v5, 0
	s_and_saveexec_b32 s12, s11
.LBB119_3114:
	v_lshrrev_b32_e32 v5, 24, v4
	s_delay_alu instid0(VALU_DEP_1)
	v_and_or_b32 v5, 0x80, v5, v1
.LBB119_3115:
	s_or_b32 exec_lo, exec_lo, s12
.LBB119_3116:
	s_delay_alu instid0(SALU_CYCLE_1)
	s_or_b32 exec_lo, exec_lo, s7
	global_store_b8 v[2:3], v5, off
.LBB119_3117:
	s_mov_b32 s7, -1
.LBB119_3118:
	s_mov_b32 s11, 0
.LBB119_3119:
	s_delay_alu instid0(SALU_CYCLE_1)
	s_and_b32 vcc_lo, exec_lo, s11
	s_cbranch_vccz .LBB119_3159
; %bb.3120:
	s_cmp_gt_i32 s2, 22
	s_mov_b32 s3, -1
	s_cbranch_scc0 .LBB119_3152
; %bb.3121:
	s_cmp_lt_i32 s2, 24
	s_cbranch_scc1 .LBB119_3141
; %bb.3122:
	s_cmp_gt_i32 s2, 24
	s_cbranch_scc0 .LBB119_3130
; %bb.3123:
	s_wait_xcnt 0x0
	v_and_b32_e32 v1, 0x7fffffff, v4
	v_mov_b32_e32 v5, 0x80
	s_mov_b32 s3, exec_lo
	s_delay_alu instid0(VALU_DEP_2)
	v_cmpx_gt_u32_e32 0x47800000, v1
	s_cbranch_execz .LBB119_3129
; %bb.3124:
	v_cmp_lt_u32_e32 vcc_lo, 0x37ffffff, v1
	s_mov_b32 s7, 0
                                        ; implicit-def: $vgpr1
	s_and_saveexec_b32 s11, vcc_lo
	s_delay_alu instid0(SALU_CYCLE_1)
	s_xor_b32 s11, exec_lo, s11
	s_cbranch_execz .LBB119_3340
; %bb.3125:
	v_bfe_u32 v1, v4, 21, 1
	s_mov_b32 s7, exec_lo
	s_delay_alu instid0(VALU_DEP_1) | instskip(NEXT) | instid1(VALU_DEP_1)
	v_add3_u32 v1, v4, v1, 0x88fffff
	v_lshrrev_b32_e32 v1, 21, v1
	s_and_not1_saveexec_b32 s11, s11
	s_cbranch_execnz .LBB119_3341
.LBB119_3126:
	s_or_b32 exec_lo, exec_lo, s11
	v_mov_b32_e32 v5, 0
	s_and_saveexec_b32 s11, s7
.LBB119_3127:
	v_lshrrev_b32_e32 v5, 24, v4
	s_delay_alu instid0(VALU_DEP_1)
	v_and_or_b32 v5, 0x80, v5, v1
.LBB119_3128:
	s_or_b32 exec_lo, exec_lo, s11
.LBB119_3129:
	s_delay_alu instid0(SALU_CYCLE_1)
	s_or_b32 exec_lo, exec_lo, s3
	s_mov_b32 s3, 0
	global_store_b8 v[2:3], v5, off
.LBB119_3130:
	s_and_b32 vcc_lo, exec_lo, s3
	s_cbranch_vccz .LBB119_3140
; %bb.3131:
	s_wait_xcnt 0x0
	v_and_b32_e32 v5, 0x7fffffff, v4
	s_mov_b32 s3, exec_lo
                                        ; implicit-def: $vgpr1
	s_delay_alu instid0(VALU_DEP_1)
	v_cmpx_gt_u32_e32 0x43f00000, v5
	s_xor_b32 s3, exec_lo, s3
	s_cbranch_execz .LBB119_3137
; %bb.3132:
	s_mov_b32 s7, exec_lo
                                        ; implicit-def: $vgpr1
	v_cmpx_lt_u32_e32 0x3c7fffff, v5
	s_xor_b32 s7, exec_lo, s7
; %bb.3133:
	v_bfe_u32 v1, v4, 20, 1
	s_delay_alu instid0(VALU_DEP_1) | instskip(NEXT) | instid1(VALU_DEP_1)
	v_add3_u32 v1, v4, v1, 0x407ffff
	v_and_b32_e32 v5, 0xff00000, v1
	v_lshrrev_b32_e32 v1, 20, v1
	s_delay_alu instid0(VALU_DEP_2) | instskip(NEXT) | instid1(VALU_DEP_2)
	v_cmp_ne_u32_e32 vcc_lo, 0x7f00000, v5
	v_cndmask_b32_e32 v1, 0x7e, v1, vcc_lo
; %bb.3134:
	s_and_not1_saveexec_b32 s7, s7
; %bb.3135:
	v_add_f32_e64 v1, 0x46800000, |v4|
; %bb.3136:
	s_or_b32 exec_lo, exec_lo, s7
                                        ; implicit-def: $vgpr5
.LBB119_3137:
	s_and_not1_saveexec_b32 s3, s3
; %bb.3138:
	v_mov_b32_e32 v1, 0x7f
	v_cmp_lt_u32_e32 vcc_lo, 0x7f800000, v5
	s_delay_alu instid0(VALU_DEP_2)
	v_cndmask_b32_e32 v1, 0x7e, v1, vcc_lo
; %bb.3139:
	s_or_b32 exec_lo, exec_lo, s3
	v_lshrrev_b32_e32 v5, 24, v4
	s_delay_alu instid0(VALU_DEP_1)
	v_and_or_b32 v1, 0x80, v5, v1
	global_store_b8 v[2:3], v1, off
.LBB119_3140:
	s_mov_b32 s3, 0
.LBB119_3141:
	s_delay_alu instid0(SALU_CYCLE_1)
	s_and_not1_b32 vcc_lo, exec_lo, s3
	s_cbranch_vccnz .LBB119_3151
; %bb.3142:
	s_wait_xcnt 0x0
	v_and_b32_e32 v5, 0x7fffffff, v4
	s_mov_b32 s3, exec_lo
                                        ; implicit-def: $vgpr1
	s_delay_alu instid0(VALU_DEP_1)
	v_cmpx_gt_u32_e32 0x47800000, v5
	s_xor_b32 s3, exec_lo, s3
	s_cbranch_execz .LBB119_3148
; %bb.3143:
	s_mov_b32 s7, exec_lo
                                        ; implicit-def: $vgpr1
	v_cmpx_lt_u32_e32 0x387fffff, v5
	s_xor_b32 s7, exec_lo, s7
; %bb.3144:
	v_bfe_u32 v1, v4, 21, 1
	s_delay_alu instid0(VALU_DEP_1) | instskip(NEXT) | instid1(VALU_DEP_1)
	v_add3_u32 v1, v4, v1, 0x80fffff
	v_lshrrev_b32_e32 v1, 21, v1
; %bb.3145:
	s_and_not1_saveexec_b32 s7, s7
; %bb.3146:
	v_add_f32_e64 v1, 0x43000000, |v4|
; %bb.3147:
	s_or_b32 exec_lo, exec_lo, s7
                                        ; implicit-def: $vgpr5
.LBB119_3148:
	s_and_not1_saveexec_b32 s3, s3
; %bb.3149:
	v_mov_b32_e32 v1, 0x7f
	v_cmp_lt_u32_e32 vcc_lo, 0x7f800000, v5
	s_delay_alu instid0(VALU_DEP_2)
	v_cndmask_b32_e32 v1, 0x7c, v1, vcc_lo
; %bb.3150:
	s_or_b32 exec_lo, exec_lo, s3
	v_lshrrev_b32_e32 v5, 24, v4
	s_delay_alu instid0(VALU_DEP_1)
	v_and_or_b32 v1, 0x80, v5, v1
	global_store_b8 v[2:3], v1, off
.LBB119_3151:
	s_mov_b32 s3, 0
	s_mov_b32 s7, -1
.LBB119_3152:
	s_and_not1_b32 vcc_lo, exec_lo, s3
	s_mov_b32 s3, 0
	s_cbranch_vccnz .LBB119_3159
; %bb.3153:
	s_cmp_gt_i32 s2, 14
	s_mov_b32 s3, -1
	s_cbranch_scc0 .LBB119_3157
; %bb.3154:
	s_cmp_eq_u32 s2, 15
	s_mov_b32 s0, -1
	s_cbranch_scc0 .LBB119_3156
; %bb.3155:
	s_wait_xcnt 0x0
	v_bfe_u32 v1, v4, 16, 1
	v_cmp_o_f32_e32 vcc_lo, v4, v4
	s_mov_b32 s0, 0
	s_mov_b32 s7, -1
	s_delay_alu instid0(VALU_DEP_2) | instskip(NEXT) | instid1(VALU_DEP_1)
	v_add3_u32 v1, v4, v1, 0x7fff
	v_lshrrev_b32_e32 v1, 16, v1
	s_delay_alu instid0(VALU_DEP_1)
	v_cndmask_b32_e32 v1, 0x7fc0, v1, vcc_lo
	global_store_b16 v[2:3], v1, off
.LBB119_3156:
	s_mov_b32 s3, 0
.LBB119_3157:
	s_delay_alu instid0(SALU_CYCLE_1)
	s_and_b32 vcc_lo, exec_lo, s3
	s_mov_b32 s3, 0
	s_cbranch_vccz .LBB119_3159
; %bb.3158:
	s_cmp_lg_u32 s2, 11
	s_mov_b32 s3, -1
	s_cselect_b32 s0, -1, 0
.LBB119_3159:
	s_delay_alu instid0(SALU_CYCLE_1)
	s_and_b32 vcc_lo, exec_lo, s0
	s_cbranch_vccnz .LBB119_3339
; %bb.3160:
	s_and_not1_b32 vcc_lo, exec_lo, s3
	s_cbranch_vccnz .LBB119_3162
.LBB119_3161:
	v_cmp_neq_f32_e32 vcc_lo, 0, v4
	s_mov_b32 s7, -1
	s_wait_xcnt 0x0
	v_cndmask_b32_e64 v1, 0, 1, vcc_lo
	global_store_b8 v[2:3], v1, off
.LBB119_3162:
	s_mov_b32 s0, 0
	s_branch .LBB119_3164
.LBB119_3163:
	s_mov_b32 s0, -1
	s_mov_b32 s7, 0
.LBB119_3164:
	s_and_b32 vcc_lo, exec_lo, s0
	s_cbranch_vccz .LBB119_3203
; %bb.3165:
	s_cmp_lt_i32 s2, 5
	s_mov_b32 s0, -1
	s_cbranch_scc1 .LBB119_3186
; %bb.3166:
	s_cmp_lt_i32 s2, 8
	s_cbranch_scc1 .LBB119_3176
; %bb.3167:
	s_cmp_lt_i32 s2, 9
	s_cbranch_scc1 .LBB119_3173
; %bb.3168:
	s_cmp_gt_i32 s2, 9
	s_cbranch_scc0 .LBB119_3170
; %bb.3169:
	s_wait_xcnt 0x0
	v_cvt_f64_f32_e32 v[6:7], v4
	v_mov_b32_e32 v8, 0
	s_mov_b32 s0, 0
	s_delay_alu instid0(VALU_DEP_1)
	v_mov_b32_e32 v9, v8
	global_store_b128 v[2:3], v[6:9], off
.LBB119_3170:
	s_and_not1_b32 vcc_lo, exec_lo, s0
	s_cbranch_vccnz .LBB119_3172
; %bb.3171:
	s_wait_xcnt 0x0
	v_mov_b32_e32 v5, 0
	global_store_b64 v[2:3], v[4:5], off
.LBB119_3172:
	s_mov_b32 s0, 0
.LBB119_3173:
	s_delay_alu instid0(SALU_CYCLE_1)
	s_and_not1_b32 vcc_lo, exec_lo, s0
	s_cbranch_vccnz .LBB119_3175
; %bb.3174:
	s_wait_xcnt 0x0
	v_cvt_f16_f32_e32 v1, v4
	s_delay_alu instid0(VALU_DEP_1)
	v_and_b32_e32 v1, 0xffff, v1
	global_store_b32 v[2:3], v1, off
.LBB119_3175:
	s_mov_b32 s0, 0
.LBB119_3176:
	s_delay_alu instid0(SALU_CYCLE_1)
	s_and_not1_b32 vcc_lo, exec_lo, s0
	s_cbranch_vccnz .LBB119_3185
; %bb.3177:
	s_cmp_lt_i32 s2, 6
	s_mov_b32 s0, -1
	s_cbranch_scc1 .LBB119_3183
; %bb.3178:
	s_cmp_gt_i32 s2, 6
	s_cbranch_scc0 .LBB119_3180
; %bb.3179:
	s_wait_xcnt 0x0
	v_cvt_f64_f32_e32 v[6:7], v4
	s_mov_b32 s0, 0
	global_store_b64 v[2:3], v[6:7], off
.LBB119_3180:
	s_and_not1_b32 vcc_lo, exec_lo, s0
	s_cbranch_vccnz .LBB119_3182
; %bb.3181:
	global_store_b32 v[2:3], v4, off
.LBB119_3182:
	s_mov_b32 s0, 0
.LBB119_3183:
	s_delay_alu instid0(SALU_CYCLE_1)
	s_and_not1_b32 vcc_lo, exec_lo, s0
	s_cbranch_vccnz .LBB119_3185
; %bb.3184:
	s_wait_xcnt 0x0
	v_cvt_f16_f32_e32 v1, v4
	global_store_b16 v[2:3], v1, off
.LBB119_3185:
	s_mov_b32 s0, 0
.LBB119_3186:
	s_delay_alu instid0(SALU_CYCLE_1)
	s_and_not1_b32 vcc_lo, exec_lo, s0
	s_cbranch_vccnz .LBB119_3202
; %bb.3187:
	s_cmp_lt_i32 s2, 2
	s_mov_b32 s0, -1
	s_cbranch_scc1 .LBB119_3197
; %bb.3188:
	s_cmp_lt_i32 s2, 3
	s_cbranch_scc1 .LBB119_3194
; %bb.3189:
	s_cmp_gt_i32 s2, 3
	s_cbranch_scc0 .LBB119_3191
; %bb.3190:
	s_wait_xcnt 0x0
	v_trunc_f32_e32 v1, v4
	s_mov_b32 s0, 0
	s_delay_alu instid0(VALU_DEP_1) | instskip(SKIP_1) | instid1(VALU_DEP_2)
	v_mul_f32_e64 v5, 0x2f800000, |v1|
	v_ashrrev_i32_e32 v6, 31, v1
	v_floor_f32_e32 v5, v5
	s_delay_alu instid0(VALU_DEP_1) | instskip(SKIP_1) | instid1(VALU_DEP_2)
	v_fma_f32 v7, 0xcf800000, v5, |v1|
	v_cvt_u32_f32_e32 v1, v5
	v_cvt_u32_f32_e32 v5, v7
	s_delay_alu instid0(VALU_DEP_2) | instskip(NEXT) | instid1(VALU_DEP_2)
	v_dual_mov_b32 v7, v6 :: v_dual_bitop2_b32 v9, v1, v6 bitop3:0x14
	v_xor_b32_e32 v8, v5, v6
	s_delay_alu instid0(VALU_DEP_1)
	v_sub_nc_u64_e32 v[6:7], v[8:9], v[6:7]
	global_store_b64 v[2:3], v[6:7], off
.LBB119_3191:
	s_and_not1_b32 vcc_lo, exec_lo, s0
	s_cbranch_vccnz .LBB119_3193
; %bb.3192:
	s_wait_xcnt 0x0
	v_cvt_i32_f32_e32 v1, v4
	global_store_b32 v[2:3], v1, off
.LBB119_3193:
	s_mov_b32 s0, 0
.LBB119_3194:
	s_delay_alu instid0(SALU_CYCLE_1)
	s_and_not1_b32 vcc_lo, exec_lo, s0
	s_cbranch_vccnz .LBB119_3196
; %bb.3195:
	s_wait_xcnt 0x0
	v_cvt_i32_f32_e32 v1, v4
	global_store_b16 v[2:3], v1, off
.LBB119_3196:
	s_mov_b32 s0, 0
.LBB119_3197:
	s_delay_alu instid0(SALU_CYCLE_1)
	s_and_not1_b32 vcc_lo, exec_lo, s0
	s_cbranch_vccnz .LBB119_3202
; %bb.3198:
	s_cmp_gt_i32 s2, 0
	s_mov_b32 s0, -1
	s_cbranch_scc0 .LBB119_3200
; %bb.3199:
	s_wait_xcnt 0x0
	v_cvt_i32_f32_e32 v1, v4
	s_mov_b32 s0, 0
	global_store_b8 v[2:3], v1, off
.LBB119_3200:
	s_and_not1_b32 vcc_lo, exec_lo, s0
	s_cbranch_vccnz .LBB119_3202
; %bb.3201:
	s_wait_xcnt 0x0
	v_trunc_f32_e32 v1, v4
	s_delay_alu instid0(VALU_DEP_1) | instskip(NEXT) | instid1(VALU_DEP_1)
	v_mul_f32_e64 v4, 0x2f800000, |v1|
	v_floor_f32_e32 v4, v4
	s_delay_alu instid0(VALU_DEP_1) | instskip(SKIP_1) | instid1(VALU_DEP_2)
	v_fma_f32 v4, 0xcf800000, v4, |v1|
	v_ashrrev_i32_e32 v1, 31, v1
	v_cvt_u32_f32_e32 v4, v4
	s_delay_alu instid0(VALU_DEP_1) | instskip(NEXT) | instid1(VALU_DEP_1)
	v_xor_b32_e32 v4, v4, v1
	v_sub_nc_u32_e32 v1, v4, v1
	global_store_b8 v[2:3], v1, off
.LBB119_3202:
	s_mov_b32 s7, -1
.LBB119_3203:
	s_delay_alu instid0(SALU_CYCLE_1)
	s_and_not1_b32 vcc_lo, exec_lo, s7
	s_cbranch_vccnz .LBB119_3280
; %bb.3204:
	s_wait_xcnt 0x0
	v_dual_mov_b32 v1, 0 :: v_dual_mul_f32 v4, s6, v12
	s_cmp_lt_i32 s2, 11
	s_delay_alu instid0(VALU_DEP_1) | instskip(NEXT) | instid1(VALU_DEP_2)
	v_add_nc_u64_e32 v[2:3], s[4:5], v[0:1]
	v_mul_f32_e32 v4, v4, v10
	s_cbranch_scc1 .LBB119_3325
; %bb.3205:
	s_mov_b32 s4, -1
	s_mov_b32 s3, 0
	s_cmp_gt_i32 s2, 25
	s_mov_b32 s0, 0
	s_cbranch_scc0 .LBB119_3238
; %bb.3206:
	s_cmp_gt_i32 s2, 28
	s_cbranch_scc0 .LBB119_3222
; %bb.3207:
	s_cmp_gt_i32 s2, 43
	;; [unrolled: 3-line block ×3, first 2 shown]
	s_cbranch_scc0 .LBB119_3212
; %bb.3209:
	s_cmp_eq_u32 s2, 46
	s_mov_b32 s0, -1
	s_cbranch_scc0 .LBB119_3211
; %bb.3210:
	v_bfe_u32 v0, v4, 16, 1
	v_cmp_o_f32_e32 vcc_lo, v4, v4
	s_mov_b32 s0, 0
	s_delay_alu instid0(VALU_DEP_2) | instskip(NEXT) | instid1(VALU_DEP_1)
	v_add3_u32 v0, v4, v0, 0x7fff
	v_lshrrev_b32_e32 v0, 16, v0
	s_delay_alu instid0(VALU_DEP_1)
	v_cndmask_b32_e32 v0, 0x7fc0, v0, vcc_lo
	global_store_b32 v[2:3], v0, off
.LBB119_3211:
	s_mov_b32 s4, 0
.LBB119_3212:
	s_delay_alu instid0(SALU_CYCLE_1)
	s_and_b32 vcc_lo, exec_lo, s4
	s_cbranch_vccz .LBB119_3217
; %bb.3213:
	s_cmp_eq_u32 s2, 44
	s_mov_b32 s0, -1
	s_cbranch_scc0 .LBB119_3217
; %bb.3214:
	v_bfe_u32 v1, v4, 23, 8
	s_wait_xcnt 0x0
	v_mov_b32_e32 v0, 0xff
	s_mov_b32 s4, exec_lo
	s_delay_alu instid0(VALU_DEP_2)
	v_cmpx_ne_u32_e32 0xff, v1
	s_cbranch_execz .LBB119_3216
; %bb.3215:
	v_and_b32_e32 v0, 0x400000, v4
	v_and_or_b32 v1, 0x3fffff, v4, v1
	s_delay_alu instid0(VALU_DEP_2) | instskip(NEXT) | instid1(VALU_DEP_2)
	v_cmp_ne_u32_e32 vcc_lo, 0, v0
	v_cmp_ne_u32_e64 s0, 0, v1
	v_lshrrev_b32_e32 v0, 23, v4
	s_and_b32 s0, vcc_lo, s0
	s_delay_alu instid0(SALU_CYCLE_1) | instskip(NEXT) | instid1(VALU_DEP_1)
	v_cndmask_b32_e64 v1, 0, 1, s0
	v_add_nc_u32_e32 v0, v0, v1
.LBB119_3216:
	s_or_b32 exec_lo, exec_lo, s4
	s_mov_b32 s0, 0
	global_store_b8 v[2:3], v0, off
.LBB119_3217:
	s_mov_b32 s4, 0
.LBB119_3218:
	s_delay_alu instid0(SALU_CYCLE_1)
	s_and_b32 vcc_lo, exec_lo, s4
	s_cbranch_vccz .LBB119_3221
; %bb.3219:
	s_cmp_eq_u32 s2, 29
	s_mov_b32 s0, -1
	s_cbranch_scc0 .LBB119_3221
; %bb.3220:
	s_wait_xcnt 0x0
	v_trunc_f32_e32 v0, v4
	s_mov_b32 s0, 0
	s_delay_alu instid0(VALU_DEP_1) | instskip(NEXT) | instid1(VALU_DEP_1)
	v_mul_f32_e32 v1, 0x2f800000, v0
	v_floor_f32_e32 v1, v1
	s_delay_alu instid0(VALU_DEP_1) | instskip(SKIP_1) | instid1(VALU_DEP_2)
	v_fmamk_f32 v0, v1, 0xcf800000, v0
	v_cvt_u32_f32_e32 v1, v1
	v_cvt_u32_f32_e32 v0, v0
	global_store_b64 v[2:3], v[0:1], off
.LBB119_3221:
	s_mov_b32 s4, 0
.LBB119_3222:
	s_delay_alu instid0(SALU_CYCLE_1)
	s_and_b32 vcc_lo, exec_lo, s4
	s_cbranch_vccz .LBB119_3237
; %bb.3223:
	s_cmp_lt_i32 s2, 27
	s_mov_b32 s4, -1
	s_cbranch_scc1 .LBB119_3229
; %bb.3224:
	s_wait_xcnt 0x0
	v_cvt_u32_f32_e32 v0, v4
	s_cmp_gt_i32 s2, 27
	s_cbranch_scc0 .LBB119_3226
; %bb.3225:
	s_mov_b32 s4, 0
	global_store_b32 v[2:3], v0, off
.LBB119_3226:
	s_and_not1_b32 vcc_lo, exec_lo, s4
	s_cbranch_vccnz .LBB119_3228
; %bb.3227:
	global_store_b16 v[2:3], v0, off
.LBB119_3228:
	s_mov_b32 s4, 0
.LBB119_3229:
	s_delay_alu instid0(SALU_CYCLE_1)
	s_and_not1_b32 vcc_lo, exec_lo, s4
	s_cbranch_vccnz .LBB119_3237
; %bb.3230:
	s_wait_xcnt 0x0
	v_and_b32_e32 v0, 0x7fffffff, v4
	v_mov_b32_e32 v1, 0x80
	s_mov_b32 s4, exec_lo
	s_delay_alu instid0(VALU_DEP_2)
	v_cmpx_gt_u32_e32 0x43800000, v0
	s_cbranch_execz .LBB119_3236
; %bb.3231:
	v_cmp_lt_u32_e32 vcc_lo, 0x3bffffff, v0
	s_mov_b32 s5, 0
                                        ; implicit-def: $vgpr0
	s_and_saveexec_b32 s6, vcc_lo
	s_delay_alu instid0(SALU_CYCLE_1)
	s_xor_b32 s6, exec_lo, s6
	s_cbranch_execz .LBB119_3342
; %bb.3232:
	v_bfe_u32 v0, v4, 20, 1
	s_mov_b32 s5, exec_lo
	s_delay_alu instid0(VALU_DEP_1) | instskip(NEXT) | instid1(VALU_DEP_1)
	v_add3_u32 v0, v4, v0, 0x487ffff
	v_lshrrev_b32_e32 v0, 20, v0
	s_and_not1_saveexec_b32 s6, s6
	s_cbranch_execnz .LBB119_3343
.LBB119_3233:
	s_or_b32 exec_lo, exec_lo, s6
	v_mov_b32_e32 v1, 0
	s_and_saveexec_b32 s6, s5
.LBB119_3234:
	v_lshrrev_b32_e32 v1, 24, v4
	s_delay_alu instid0(VALU_DEP_1)
	v_and_or_b32 v1, 0x80, v1, v0
.LBB119_3235:
	s_or_b32 exec_lo, exec_lo, s6
.LBB119_3236:
	s_delay_alu instid0(SALU_CYCLE_1)
	s_or_b32 exec_lo, exec_lo, s4
	global_store_b8 v[2:3], v1, off
.LBB119_3237:
	s_mov_b32 s4, 0
.LBB119_3238:
	s_delay_alu instid0(SALU_CYCLE_1)
	s_and_b32 vcc_lo, exec_lo, s4
	s_cbranch_vccz .LBB119_3278
; %bb.3239:
	s_cmp_gt_i32 s2, 22
	s_mov_b32 s3, -1
	s_cbranch_scc0 .LBB119_3271
; %bb.3240:
	s_cmp_lt_i32 s2, 24
	s_cbranch_scc1 .LBB119_3260
; %bb.3241:
	s_cmp_gt_i32 s2, 24
	s_cbranch_scc0 .LBB119_3249
; %bb.3242:
	s_wait_xcnt 0x0
	v_and_b32_e32 v0, 0x7fffffff, v4
	v_mov_b32_e32 v1, 0x80
	s_mov_b32 s3, exec_lo
	s_delay_alu instid0(VALU_DEP_2)
	v_cmpx_gt_u32_e32 0x47800000, v0
	s_cbranch_execz .LBB119_3248
; %bb.3243:
	v_cmp_lt_u32_e32 vcc_lo, 0x37ffffff, v0
	s_mov_b32 s4, 0
                                        ; implicit-def: $vgpr0
	s_and_saveexec_b32 s5, vcc_lo
	s_delay_alu instid0(SALU_CYCLE_1)
	s_xor_b32 s5, exec_lo, s5
	s_cbranch_execz .LBB119_3345
; %bb.3244:
	v_bfe_u32 v0, v4, 21, 1
	s_mov_b32 s4, exec_lo
	s_delay_alu instid0(VALU_DEP_1) | instskip(NEXT) | instid1(VALU_DEP_1)
	v_add3_u32 v0, v4, v0, 0x88fffff
	v_lshrrev_b32_e32 v0, 21, v0
	s_and_not1_saveexec_b32 s5, s5
	s_cbranch_execnz .LBB119_3346
.LBB119_3245:
	s_or_b32 exec_lo, exec_lo, s5
	v_mov_b32_e32 v1, 0
	s_and_saveexec_b32 s5, s4
.LBB119_3246:
	v_lshrrev_b32_e32 v1, 24, v4
	s_delay_alu instid0(VALU_DEP_1)
	v_and_or_b32 v1, 0x80, v1, v0
.LBB119_3247:
	s_or_b32 exec_lo, exec_lo, s5
.LBB119_3248:
	s_delay_alu instid0(SALU_CYCLE_1)
	s_or_b32 exec_lo, exec_lo, s3
	s_mov_b32 s3, 0
	global_store_b8 v[2:3], v1, off
.LBB119_3249:
	s_and_b32 vcc_lo, exec_lo, s3
	s_cbranch_vccz .LBB119_3259
; %bb.3250:
	s_wait_xcnt 0x0
	v_and_b32_e32 v1, 0x7fffffff, v4
	s_mov_b32 s3, exec_lo
                                        ; implicit-def: $vgpr0
	s_delay_alu instid0(VALU_DEP_1)
	v_cmpx_gt_u32_e32 0x43f00000, v1
	s_xor_b32 s3, exec_lo, s3
	s_cbranch_execz .LBB119_3256
; %bb.3251:
	s_mov_b32 s4, exec_lo
                                        ; implicit-def: $vgpr0
	v_cmpx_lt_u32_e32 0x3c7fffff, v1
	s_xor_b32 s4, exec_lo, s4
; %bb.3252:
	v_bfe_u32 v0, v4, 20, 1
	s_delay_alu instid0(VALU_DEP_1) | instskip(NEXT) | instid1(VALU_DEP_1)
	v_add3_u32 v0, v4, v0, 0x407ffff
	v_and_b32_e32 v1, 0xff00000, v0
	v_lshrrev_b32_e32 v0, 20, v0
	s_delay_alu instid0(VALU_DEP_2) | instskip(NEXT) | instid1(VALU_DEP_2)
	v_cmp_ne_u32_e32 vcc_lo, 0x7f00000, v1
	v_cndmask_b32_e32 v0, 0x7e, v0, vcc_lo
; %bb.3253:
	s_and_not1_saveexec_b32 s4, s4
; %bb.3254:
	v_add_f32_e64 v0, 0x46800000, |v4|
; %bb.3255:
	s_or_b32 exec_lo, exec_lo, s4
                                        ; implicit-def: $vgpr1
.LBB119_3256:
	s_and_not1_saveexec_b32 s3, s3
; %bb.3257:
	v_mov_b32_e32 v0, 0x7f
	v_cmp_lt_u32_e32 vcc_lo, 0x7f800000, v1
	s_delay_alu instid0(VALU_DEP_2)
	v_cndmask_b32_e32 v0, 0x7e, v0, vcc_lo
; %bb.3258:
	s_or_b32 exec_lo, exec_lo, s3
	v_lshrrev_b32_e32 v1, 24, v4
	s_delay_alu instid0(VALU_DEP_1)
	v_and_or_b32 v0, 0x80, v1, v0
	global_store_b8 v[2:3], v0, off
.LBB119_3259:
	s_mov_b32 s3, 0
.LBB119_3260:
	s_delay_alu instid0(SALU_CYCLE_1)
	s_and_not1_b32 vcc_lo, exec_lo, s3
	s_cbranch_vccnz .LBB119_3270
; %bb.3261:
	s_wait_xcnt 0x0
	v_and_b32_e32 v1, 0x7fffffff, v4
	s_mov_b32 s3, exec_lo
                                        ; implicit-def: $vgpr0
	s_delay_alu instid0(VALU_DEP_1)
	v_cmpx_gt_u32_e32 0x47800000, v1
	s_xor_b32 s3, exec_lo, s3
	s_cbranch_execz .LBB119_3267
; %bb.3262:
	s_mov_b32 s4, exec_lo
                                        ; implicit-def: $vgpr0
	v_cmpx_lt_u32_e32 0x387fffff, v1
	s_xor_b32 s4, exec_lo, s4
; %bb.3263:
	v_bfe_u32 v0, v4, 21, 1
	s_delay_alu instid0(VALU_DEP_1) | instskip(NEXT) | instid1(VALU_DEP_1)
	v_add3_u32 v0, v4, v0, 0x80fffff
	v_lshrrev_b32_e32 v0, 21, v0
; %bb.3264:
	s_and_not1_saveexec_b32 s4, s4
; %bb.3265:
	v_add_f32_e64 v0, 0x43000000, |v4|
; %bb.3266:
	s_or_b32 exec_lo, exec_lo, s4
                                        ; implicit-def: $vgpr1
.LBB119_3267:
	s_and_not1_saveexec_b32 s3, s3
; %bb.3268:
	v_mov_b32_e32 v0, 0x7f
	v_cmp_lt_u32_e32 vcc_lo, 0x7f800000, v1
	s_delay_alu instid0(VALU_DEP_2)
	v_cndmask_b32_e32 v0, 0x7c, v0, vcc_lo
; %bb.3269:
	s_or_b32 exec_lo, exec_lo, s3
	v_lshrrev_b32_e32 v1, 24, v4
	s_delay_alu instid0(VALU_DEP_1)
	v_and_or_b32 v0, 0x80, v1, v0
	global_store_b8 v[2:3], v0, off
.LBB119_3270:
	s_mov_b32 s3, 0
.LBB119_3271:
	s_delay_alu instid0(SALU_CYCLE_1)
	s_and_not1_b32 vcc_lo, exec_lo, s3
	s_mov_b32 s3, 0
	s_cbranch_vccnz .LBB119_3278
; %bb.3272:
	s_cmp_gt_i32 s2, 14
	s_mov_b32 s3, -1
	s_cbranch_scc0 .LBB119_3276
; %bb.3273:
	s_cmp_eq_u32 s2, 15
	s_mov_b32 s0, -1
	s_cbranch_scc0 .LBB119_3275
; %bb.3274:
	s_wait_xcnt 0x0
	v_bfe_u32 v0, v4, 16, 1
	v_cmp_o_f32_e32 vcc_lo, v4, v4
	s_mov_b32 s0, 0
	s_delay_alu instid0(VALU_DEP_2) | instskip(NEXT) | instid1(VALU_DEP_1)
	v_add3_u32 v0, v4, v0, 0x7fff
	v_lshrrev_b32_e32 v0, 16, v0
	s_delay_alu instid0(VALU_DEP_1)
	v_cndmask_b32_e32 v0, 0x7fc0, v0, vcc_lo
	global_store_b16 v[2:3], v0, off
.LBB119_3275:
	s_mov_b32 s3, 0
.LBB119_3276:
	s_delay_alu instid0(SALU_CYCLE_1)
	s_and_b32 vcc_lo, exec_lo, s3
	s_mov_b32 s3, 0
	s_cbranch_vccz .LBB119_3278
; %bb.3277:
	s_cmp_lg_u32 s2, 11
	s_mov_b32 s3, -1
	s_cselect_b32 s0, -1, 0
.LBB119_3278:
	s_delay_alu instid0(SALU_CYCLE_1)
	s_and_b32 vcc_lo, exec_lo, s0
	s_cbranch_vccnz .LBB119_3344
.LBB119_3279:
	s_mov_b32 s0, 0
	s_branch .LBB119_3281
.LBB119_3280:
	s_mov_b32 s0, 0
	s_wait_xcnt 0x0
	s_mov_b32 s3, 0
                                        ; implicit-def: $vgpr2_vgpr3
                                        ; implicit-def: $sgpr1
                                        ; implicit-def: $vgpr4
.LBB119_3281:
	s_and_not1_b32 s2, s8, exec_lo
	s_and_b32 s4, s10, exec_lo
	s_and_b32 s0, s0, exec_lo
	;; [unrolled: 1-line block ×3, first 2 shown]
	s_or_b32 s8, s2, s4
.LBB119_3282:
	s_wait_xcnt 0x0
	s_or_b32 exec_lo, exec_lo, s9
	s_and_saveexec_b32 s2, s8
	s_cbranch_execz .LBB119_3285
; %bb.3283:
	; divergent unreachable
	s_or_b32 exec_lo, exec_lo, s2
	s_and_saveexec_b32 s2, s31
	s_delay_alu instid0(SALU_CYCLE_1)
	s_xor_b32 s2, exec_lo, s2
	s_cbranch_execnz .LBB119_3286
.LBB119_3284:
	s_or_b32 exec_lo, exec_lo, s2
	s_and_saveexec_b32 s2, s0
	s_cbranch_execnz .LBB119_3287
	s_branch .LBB119_3324
.LBB119_3285:
	s_or_b32 exec_lo, exec_lo, s2
	s_and_saveexec_b32 s2, s31
	s_delay_alu instid0(SALU_CYCLE_1)
	s_xor_b32 s2, exec_lo, s2
	s_cbranch_execz .LBB119_3284
.LBB119_3286:
	v_cmp_neq_f32_e32 vcc_lo, 0, v4
	v_cndmask_b32_e64 v0, 0, 1, vcc_lo
	s_wait_loadcnt 0x0
	global_store_b8 v[2:3], v0, off
	s_wait_xcnt 0x0
	s_or_b32 exec_lo, exec_lo, s2
	s_and_saveexec_b32 s2, s0
	s_cbranch_execz .LBB119_3324
.LBB119_3287:
	s_sext_i32_i16 s2, s1
	s_mov_b32 s0, -1
	s_cmp_lt_i32 s2, 5
	s_cbranch_scc1 .LBB119_3308
; %bb.3288:
	s_cmp_lt_i32 s2, 8
	s_cbranch_scc1 .LBB119_3298
; %bb.3289:
	;; [unrolled: 3-line block ×3, first 2 shown]
	s_cmp_gt_i32 s2, 9
	s_cbranch_scc0 .LBB119_3292
; %bb.3291:
	s_wait_loadcnt 0x0
	v_cvt_f64_f32_e32 v[6:7], v4
	v_mov_b32_e32 v8, 0
	s_mov_b32 s0, 0
	s_delay_alu instid0(VALU_DEP_1)
	v_mov_b32_e32 v9, v8
	global_store_b128 v[2:3], v[6:9], off
.LBB119_3292:
	s_and_not1_b32 vcc_lo, exec_lo, s0
	s_cbranch_vccnz .LBB119_3294
; %bb.3293:
	s_wait_loadcnt 0x0
	v_mov_b32_e32 v5, 0
	global_store_b64 v[2:3], v[4:5], off
.LBB119_3294:
	s_mov_b32 s0, 0
.LBB119_3295:
	s_delay_alu instid0(SALU_CYCLE_1)
	s_and_not1_b32 vcc_lo, exec_lo, s0
	s_cbranch_vccnz .LBB119_3297
; %bb.3296:
	v_cvt_f16_f32_e32 v0, v4
	s_delay_alu instid0(VALU_DEP_1)
	v_and_b32_e32 v0, 0xffff, v0
	s_wait_loadcnt 0x0
	global_store_b32 v[2:3], v0, off
.LBB119_3297:
	s_mov_b32 s0, 0
.LBB119_3298:
	s_delay_alu instid0(SALU_CYCLE_1)
	s_and_not1_b32 vcc_lo, exec_lo, s0
	s_cbranch_vccnz .LBB119_3307
; %bb.3299:
	s_sext_i32_i16 s2, s1
	s_mov_b32 s0, -1
	s_cmp_lt_i32 s2, 6
	s_cbranch_scc1 .LBB119_3305
; %bb.3300:
	s_cmp_gt_i32 s2, 6
	s_cbranch_scc0 .LBB119_3302
; %bb.3301:
	s_wait_loadcnt 0x0
	v_cvt_f64_f32_e32 v[0:1], v4
	s_mov_b32 s0, 0
	global_store_b64 v[2:3], v[0:1], off
.LBB119_3302:
	s_and_not1_b32 vcc_lo, exec_lo, s0
	s_cbranch_vccnz .LBB119_3304
; %bb.3303:
	s_wait_loadcnt 0x0
	global_store_b32 v[2:3], v4, off
.LBB119_3304:
	s_mov_b32 s0, 0
.LBB119_3305:
	s_delay_alu instid0(SALU_CYCLE_1)
	s_and_not1_b32 vcc_lo, exec_lo, s0
	s_cbranch_vccnz .LBB119_3307
; %bb.3306:
	s_wait_xcnt 0x0
	v_cvt_f16_f32_e32 v0, v4
	s_wait_loadcnt 0x0
	global_store_b16 v[2:3], v0, off
.LBB119_3307:
	s_mov_b32 s0, 0
.LBB119_3308:
	s_delay_alu instid0(SALU_CYCLE_1)
	s_and_not1_b32 vcc_lo, exec_lo, s0
	s_cbranch_vccnz .LBB119_3324
; %bb.3309:
	s_sext_i32_i16 s2, s1
	s_mov_b32 s0, -1
	s_cmp_lt_i32 s2, 2
	s_cbranch_scc1 .LBB119_3319
; %bb.3310:
	s_cmp_lt_i32 s2, 3
	s_cbranch_scc1 .LBB119_3316
; %bb.3311:
	s_cmp_gt_i32 s2, 3
	s_cbranch_scc0 .LBB119_3313
; %bb.3312:
	s_wait_xcnt 0x0
	v_trunc_f32_e32 v0, v4
	s_mov_b32 s0, 0
	s_wait_loadcnt 0x0
	s_delay_alu instid0(VALU_DEP_1) | instskip(NEXT) | instid1(VALU_DEP_1)
	v_mul_f32_e64 v1, 0x2f800000, |v0|
	v_floor_f32_e32 v1, v1
	s_delay_alu instid0(VALU_DEP_1) | instskip(SKIP_2) | instid1(VALU_DEP_3)
	v_fma_f32 v5, 0xcf800000, v1, |v0|
	v_ashrrev_i32_e32 v0, 31, v0
	v_cvt_u32_f32_e32 v6, v1
	v_cvt_u32_f32_e32 v5, v5
	s_delay_alu instid0(VALU_DEP_2) | instskip(NEXT) | instid1(VALU_DEP_2)
	v_dual_mov_b32 v1, v0 :: v_dual_bitop2_b32 v7, v6, v0 bitop3:0x14
	v_xor_b32_e32 v6, v5, v0
	s_delay_alu instid0(VALU_DEP_1)
	v_sub_nc_u64_e32 v[0:1], v[6:7], v[0:1]
	global_store_b64 v[2:3], v[0:1], off
.LBB119_3313:
	s_and_not1_b32 vcc_lo, exec_lo, s0
	s_cbranch_vccnz .LBB119_3315
; %bb.3314:
	s_wait_xcnt 0x0
	v_cvt_i32_f32_e32 v0, v4
	s_wait_loadcnt 0x0
	global_store_b32 v[2:3], v0, off
.LBB119_3315:
	s_mov_b32 s0, 0
.LBB119_3316:
	s_delay_alu instid0(SALU_CYCLE_1)
	s_and_not1_b32 vcc_lo, exec_lo, s0
	s_cbranch_vccnz .LBB119_3318
; %bb.3317:
	s_wait_xcnt 0x0
	v_cvt_i32_f32_e32 v0, v4
	s_wait_loadcnt 0x0
	global_store_b16 v[2:3], v0, off
.LBB119_3318:
	s_mov_b32 s0, 0
.LBB119_3319:
	s_delay_alu instid0(SALU_CYCLE_1)
	s_and_not1_b32 vcc_lo, exec_lo, s0
	s_cbranch_vccnz .LBB119_3324
; %bb.3320:
	s_sext_i32_i16 s0, s1
	s_delay_alu instid0(SALU_CYCLE_1)
	s_cmp_gt_i32 s0, 0
	s_mov_b32 s0, -1
	s_cbranch_scc0 .LBB119_3322
; %bb.3321:
	s_wait_xcnt 0x0
	v_cvt_i32_f32_e32 v0, v4
	s_mov_b32 s0, 0
	s_wait_loadcnt 0x0
	global_store_b8 v[2:3], v0, off
.LBB119_3322:
	s_and_not1_b32 vcc_lo, exec_lo, s0
	s_cbranch_vccnz .LBB119_3324
; %bb.3323:
	s_wait_xcnt 0x0
	v_trunc_f32_e32 v0, v4
	s_wait_loadcnt 0x0
	s_delay_alu instid0(VALU_DEP_1) | instskip(NEXT) | instid1(VALU_DEP_1)
	v_mul_f32_e64 v1, 0x2f800000, |v0|
	v_floor_f32_e32 v1, v1
	s_delay_alu instid0(VALU_DEP_1) | instskip(SKIP_1) | instid1(VALU_DEP_2)
	v_fma_f32 v1, 0xcf800000, v1, |v0|
	v_ashrrev_i32_e32 v0, 31, v0
	v_cvt_u32_f32_e32 v1, v1
	s_delay_alu instid0(VALU_DEP_1) | instskip(NEXT) | instid1(VALU_DEP_1)
	v_xor_b32_e32 v1, v1, v0
	v_sub_nc_u32_e32 v0, v1, v0
	global_store_b8 v[2:3], v0, off
	s_endpgm
.LBB119_3324:
	s_endpgm
.LBB119_3325:
	s_mov_b32 s3, 0
	s_mov_b32 s0, -1
	s_branch .LBB119_3281
.LBB119_3326:
	s_or_b32 s10, s10, exec_lo
	s_trap 2
	s_cbranch_execz .LBB119_2795
	s_branch .LBB119_2796
.LBB119_3327:
	s_and_not1_saveexec_b32 s12, s12
	s_cbranch_execz .LBB119_2875
.LBB119_3328:
	v_add_f32_e64 v1, 0x46000000, |v8|
	s_and_not1_b32 s11, s11, exec_lo
	s_delay_alu instid0(VALU_DEP_1) | instskip(NEXT) | instid1(VALU_DEP_1)
	v_and_b32_e32 v1, 0xff, v1
	v_cmp_ne_u32_e32 vcc_lo, 0, v1
	s_and_b32 s13, vcc_lo, exec_lo
	s_delay_alu instid0(SALU_CYCLE_1)
	s_or_b32 s11, s11, s13
	s_or_b32 exec_lo, exec_lo, s12
	v_mov_b32_e32 v3, 0
	s_and_saveexec_b32 s12, s11
	s_cbranch_execnz .LBB119_2876
	s_branch .LBB119_2877
.LBB119_3329:
	s_or_b32 s10, s10, exec_lo
	s_trap 2
	s_cbranch_execz .LBB119_2923
	s_branch .LBB119_2924
.LBB119_3330:
	s_and_not1_saveexec_b32 s11, s11
	s_cbranch_execz .LBB119_2888
.LBB119_3331:
	v_add_f32_e64 v1, 0x42800000, |v8|
	s_and_not1_b32 s7, s7, exec_lo
	s_delay_alu instid0(VALU_DEP_1) | instskip(NEXT) | instid1(VALU_DEP_1)
	v_and_b32_e32 v1, 0xff, v1
	v_cmp_ne_u32_e32 vcc_lo, 0, v1
	s_and_b32 s12, vcc_lo, exec_lo
	s_delay_alu instid0(SALU_CYCLE_1)
	s_or_b32 s7, s7, s12
	s_or_b32 exec_lo, exec_lo, s11
	v_mov_b32_e32 v3, 0
	s_and_saveexec_b32 s11, s7
	s_cbranch_execnz .LBB119_2889
	s_branch .LBB119_2890
.LBB119_3332:
	s_and_not1_saveexec_b32 s12, s12
	s_cbranch_execz .LBB119_2994
.LBB119_3333:
	v_add_f32_e64 v1, 0x46000000, |v6|
	s_and_not1_b32 s11, s11, exec_lo
	s_delay_alu instid0(VALU_DEP_1) | instskip(NEXT) | instid1(VALU_DEP_1)
	v_and_b32_e32 v1, 0xff, v1
	v_cmp_ne_u32_e32 vcc_lo, 0, v1
	s_and_b32 s13, vcc_lo, exec_lo
	s_delay_alu instid0(SALU_CYCLE_1)
	s_or_b32 s11, s11, s13
	s_or_b32 exec_lo, exec_lo, s12
	v_mov_b32_e32 v3, 0
	s_and_saveexec_b32 s12, s11
	s_cbranch_execnz .LBB119_2995
	s_branch .LBB119_2996
.LBB119_3334:
	s_or_b32 s10, s10, exec_lo
	s_trap 2
	s_cbranch_execz .LBB119_3042
	s_branch .LBB119_3043
.LBB119_3335:
	s_and_not1_saveexec_b32 s11, s11
	s_cbranch_execz .LBB119_3007
.LBB119_3336:
	v_add_f32_e64 v1, 0x42800000, |v6|
	s_and_not1_b32 s7, s7, exec_lo
	s_delay_alu instid0(VALU_DEP_1) | instskip(NEXT) | instid1(VALU_DEP_1)
	v_and_b32_e32 v1, 0xff, v1
	v_cmp_ne_u32_e32 vcc_lo, 0, v1
	s_and_b32 s12, vcc_lo, exec_lo
	s_delay_alu instid0(SALU_CYCLE_1)
	s_or_b32 s7, s7, s12
	s_or_b32 exec_lo, exec_lo, s11
	v_mov_b32_e32 v3, 0
	s_and_saveexec_b32 s11, s7
	s_cbranch_execnz .LBB119_3008
	s_branch .LBB119_3009
.LBB119_3337:
	s_and_not1_saveexec_b32 s12, s12
	s_cbranch_execz .LBB119_3113
.LBB119_3338:
	v_add_f32_e64 v1, 0x46000000, |v4|
	s_and_not1_b32 s11, s11, exec_lo
	s_delay_alu instid0(VALU_DEP_1) | instskip(NEXT) | instid1(VALU_DEP_1)
	v_and_b32_e32 v1, 0xff, v1
	v_cmp_ne_u32_e32 vcc_lo, 0, v1
	s_and_b32 s13, vcc_lo, exec_lo
	s_delay_alu instid0(SALU_CYCLE_1)
	s_or_b32 s11, s11, s13
	s_or_b32 exec_lo, exec_lo, s12
	v_mov_b32_e32 v5, 0
	s_and_saveexec_b32 s12, s11
	s_cbranch_execnz .LBB119_3114
	s_branch .LBB119_3115
.LBB119_3339:
	s_or_b32 s10, s10, exec_lo
	s_trap 2
	s_cbranch_execz .LBB119_3161
	s_branch .LBB119_3162
.LBB119_3340:
	s_and_not1_saveexec_b32 s11, s11
	s_cbranch_execz .LBB119_3126
.LBB119_3341:
	v_add_f32_e64 v1, 0x42800000, |v4|
	s_and_not1_b32 s7, s7, exec_lo
	s_delay_alu instid0(VALU_DEP_1) | instskip(NEXT) | instid1(VALU_DEP_1)
	v_and_b32_e32 v1, 0xff, v1
	v_cmp_ne_u32_e32 vcc_lo, 0, v1
	s_and_b32 s12, vcc_lo, exec_lo
	s_delay_alu instid0(SALU_CYCLE_1)
	s_or_b32 s7, s7, s12
	s_or_b32 exec_lo, exec_lo, s11
	v_mov_b32_e32 v5, 0
	s_and_saveexec_b32 s11, s7
	s_cbranch_execnz .LBB119_3127
	s_branch .LBB119_3128
.LBB119_3342:
	s_and_not1_saveexec_b32 s6, s6
	s_cbranch_execz .LBB119_3233
.LBB119_3343:
	v_add_f32_e64 v0, 0x46000000, |v4|
	s_and_not1_b32 s5, s5, exec_lo
	s_delay_alu instid0(VALU_DEP_1) | instskip(NEXT) | instid1(VALU_DEP_1)
	v_and_b32_e32 v0, 0xff, v0
	v_cmp_ne_u32_e32 vcc_lo, 0, v0
	s_and_b32 s7, vcc_lo, exec_lo
	s_delay_alu instid0(SALU_CYCLE_1)
	s_or_b32 s5, s5, s7
	s_or_b32 exec_lo, exec_lo, s6
	v_mov_b32_e32 v1, 0
	s_and_saveexec_b32 s6, s5
	s_cbranch_execnz .LBB119_3234
	s_branch .LBB119_3235
.LBB119_3344:
	s_mov_b32 s3, 0
	s_or_b32 s10, s10, exec_lo
	s_trap 2
	s_branch .LBB119_3279
.LBB119_3345:
	s_and_not1_saveexec_b32 s5, s5
	s_cbranch_execz .LBB119_3245
.LBB119_3346:
	v_add_f32_e64 v0, 0x42800000, |v4|
	s_and_not1_b32 s4, s4, exec_lo
	s_delay_alu instid0(VALU_DEP_1) | instskip(NEXT) | instid1(VALU_DEP_1)
	v_and_b32_e32 v0, 0xff, v0
	v_cmp_ne_u32_e32 vcc_lo, 0, v0
	s_and_b32 s6, vcc_lo, exec_lo
	s_delay_alu instid0(SALU_CYCLE_1)
	s_or_b32 s4, s4, s6
	s_or_b32 exec_lo, exec_lo, s5
	v_mov_b32_e32 v1, 0
	s_and_saveexec_b32 s5, s4
	s_cbranch_execnz .LBB119_3246
	s_branch .LBB119_3247
	.section	.rodata,"a",@progbits
	.p2align	6, 0x0
	.amdhsa_kernel _ZN2at6native32elementwise_kernel_manual_unrollILi128ELi4EZNS0_15gpu_kernel_implIZZZNS0_12_GLOBAL__N_116addr_kernel_cudaERNS_14TensorIteratorERKN3c106ScalarES9_ENKUlvE_clEvENKUlvE5_clEvEUlfffE_EEvRNS_18TensorIteratorBaseERKT_EUlibE0_EEviT1_
		.amdhsa_group_segment_fixed_size 0
		.amdhsa_private_segment_fixed_size 0
		.amdhsa_kernarg_size 504
		.amdhsa_user_sgpr_count 2
		.amdhsa_user_sgpr_dispatch_ptr 0
		.amdhsa_user_sgpr_queue_ptr 0
		.amdhsa_user_sgpr_kernarg_segment_ptr 1
		.amdhsa_user_sgpr_dispatch_id 0
		.amdhsa_user_sgpr_kernarg_preload_length 0
		.amdhsa_user_sgpr_kernarg_preload_offset 0
		.amdhsa_user_sgpr_private_segment_size 0
		.amdhsa_wavefront_size32 1
		.amdhsa_uses_dynamic_stack 0
		.amdhsa_enable_private_segment 0
		.amdhsa_system_sgpr_workgroup_id_x 1
		.amdhsa_system_sgpr_workgroup_id_y 0
		.amdhsa_system_sgpr_workgroup_id_z 0
		.amdhsa_system_sgpr_workgroup_info 0
		.amdhsa_system_vgpr_workitem_id 0
		.amdhsa_next_free_vgpr 26
		.amdhsa_next_free_sgpr 63
		.amdhsa_named_barrier_count 0
		.amdhsa_reserve_vcc 1
		.amdhsa_float_round_mode_32 0
		.amdhsa_float_round_mode_16_64 0
		.amdhsa_float_denorm_mode_32 3
		.amdhsa_float_denorm_mode_16_64 3
		.amdhsa_fp16_overflow 0
		.amdhsa_memory_ordered 1
		.amdhsa_forward_progress 1
		.amdhsa_inst_pref_size 255
		.amdhsa_round_robin_scheduling 0
		.amdhsa_exception_fp_ieee_invalid_op 0
		.amdhsa_exception_fp_denorm_src 0
		.amdhsa_exception_fp_ieee_div_zero 0
		.amdhsa_exception_fp_ieee_overflow 0
		.amdhsa_exception_fp_ieee_underflow 0
		.amdhsa_exception_fp_ieee_inexact 0
		.amdhsa_exception_int_div_zero 0
	.end_amdhsa_kernel
	.section	.text._ZN2at6native32elementwise_kernel_manual_unrollILi128ELi4EZNS0_15gpu_kernel_implIZZZNS0_12_GLOBAL__N_116addr_kernel_cudaERNS_14TensorIteratorERKN3c106ScalarES9_ENKUlvE_clEvENKUlvE5_clEvEUlfffE_EEvRNS_18TensorIteratorBaseERKT_EUlibE0_EEviT1_,"axG",@progbits,_ZN2at6native32elementwise_kernel_manual_unrollILi128ELi4EZNS0_15gpu_kernel_implIZZZNS0_12_GLOBAL__N_116addr_kernel_cudaERNS_14TensorIteratorERKN3c106ScalarES9_ENKUlvE_clEvENKUlvE5_clEvEUlfffE_EEvRNS_18TensorIteratorBaseERKT_EUlibE0_EEviT1_,comdat
.Lfunc_end119:
	.size	_ZN2at6native32elementwise_kernel_manual_unrollILi128ELi4EZNS0_15gpu_kernel_implIZZZNS0_12_GLOBAL__N_116addr_kernel_cudaERNS_14TensorIteratorERKN3c106ScalarES9_ENKUlvE_clEvENKUlvE5_clEvEUlfffE_EEvRNS_18TensorIteratorBaseERKT_EUlibE0_EEviT1_, .Lfunc_end119-_ZN2at6native32elementwise_kernel_manual_unrollILi128ELi4EZNS0_15gpu_kernel_implIZZZNS0_12_GLOBAL__N_116addr_kernel_cudaERNS_14TensorIteratorERKN3c106ScalarES9_ENKUlvE_clEvENKUlvE5_clEvEUlfffE_EEvRNS_18TensorIteratorBaseERKT_EUlibE0_EEviT1_
                                        ; -- End function
	.set _ZN2at6native32elementwise_kernel_manual_unrollILi128ELi4EZNS0_15gpu_kernel_implIZZZNS0_12_GLOBAL__N_116addr_kernel_cudaERNS_14TensorIteratorERKN3c106ScalarES9_ENKUlvE_clEvENKUlvE5_clEvEUlfffE_EEvRNS_18TensorIteratorBaseERKT_EUlibE0_EEviT1_.num_vgpr, 26
	.set _ZN2at6native32elementwise_kernel_manual_unrollILi128ELi4EZNS0_15gpu_kernel_implIZZZNS0_12_GLOBAL__N_116addr_kernel_cudaERNS_14TensorIteratorERKN3c106ScalarES9_ENKUlvE_clEvENKUlvE5_clEvEUlfffE_EEvRNS_18TensorIteratorBaseERKT_EUlibE0_EEviT1_.num_agpr, 0
	.set _ZN2at6native32elementwise_kernel_manual_unrollILi128ELi4EZNS0_15gpu_kernel_implIZZZNS0_12_GLOBAL__N_116addr_kernel_cudaERNS_14TensorIteratorERKN3c106ScalarES9_ENKUlvE_clEvENKUlvE5_clEvEUlfffE_EEvRNS_18TensorIteratorBaseERKT_EUlibE0_EEviT1_.numbered_sgpr, 63
	.set _ZN2at6native32elementwise_kernel_manual_unrollILi128ELi4EZNS0_15gpu_kernel_implIZZZNS0_12_GLOBAL__N_116addr_kernel_cudaERNS_14TensorIteratorERKN3c106ScalarES9_ENKUlvE_clEvENKUlvE5_clEvEUlfffE_EEvRNS_18TensorIteratorBaseERKT_EUlibE0_EEviT1_.num_named_barrier, 0
	.set _ZN2at6native32elementwise_kernel_manual_unrollILi128ELi4EZNS0_15gpu_kernel_implIZZZNS0_12_GLOBAL__N_116addr_kernel_cudaERNS_14TensorIteratorERKN3c106ScalarES9_ENKUlvE_clEvENKUlvE5_clEvEUlfffE_EEvRNS_18TensorIteratorBaseERKT_EUlibE0_EEviT1_.private_seg_size, 0
	.set _ZN2at6native32elementwise_kernel_manual_unrollILi128ELi4EZNS0_15gpu_kernel_implIZZZNS0_12_GLOBAL__N_116addr_kernel_cudaERNS_14TensorIteratorERKN3c106ScalarES9_ENKUlvE_clEvENKUlvE5_clEvEUlfffE_EEvRNS_18TensorIteratorBaseERKT_EUlibE0_EEviT1_.uses_vcc, 1
	.set _ZN2at6native32elementwise_kernel_manual_unrollILi128ELi4EZNS0_15gpu_kernel_implIZZZNS0_12_GLOBAL__N_116addr_kernel_cudaERNS_14TensorIteratorERKN3c106ScalarES9_ENKUlvE_clEvENKUlvE5_clEvEUlfffE_EEvRNS_18TensorIteratorBaseERKT_EUlibE0_EEviT1_.uses_flat_scratch, 0
	.set _ZN2at6native32elementwise_kernel_manual_unrollILi128ELi4EZNS0_15gpu_kernel_implIZZZNS0_12_GLOBAL__N_116addr_kernel_cudaERNS_14TensorIteratorERKN3c106ScalarES9_ENKUlvE_clEvENKUlvE5_clEvEUlfffE_EEvRNS_18TensorIteratorBaseERKT_EUlibE0_EEviT1_.has_dyn_sized_stack, 0
	.set _ZN2at6native32elementwise_kernel_manual_unrollILi128ELi4EZNS0_15gpu_kernel_implIZZZNS0_12_GLOBAL__N_116addr_kernel_cudaERNS_14TensorIteratorERKN3c106ScalarES9_ENKUlvE_clEvENKUlvE5_clEvEUlfffE_EEvRNS_18TensorIteratorBaseERKT_EUlibE0_EEviT1_.has_recursion, 0
	.set _ZN2at6native32elementwise_kernel_manual_unrollILi128ELi4EZNS0_15gpu_kernel_implIZZZNS0_12_GLOBAL__N_116addr_kernel_cudaERNS_14TensorIteratorERKN3c106ScalarES9_ENKUlvE_clEvENKUlvE5_clEvEUlfffE_EEvRNS_18TensorIteratorBaseERKT_EUlibE0_EEviT1_.has_indirect_call, 0
	.section	.AMDGPU.csdata,"",@progbits
; Kernel info:
; codeLenInByte = 63332
; TotalNumSgprs: 65
; NumVgprs: 26
; ScratchSize: 0
; MemoryBound: 1
; FloatMode: 240
; IeeeMode: 1
; LDSByteSize: 0 bytes/workgroup (compile time only)
; SGPRBlocks: 0
; VGPRBlocks: 1
; NumSGPRsForWavesPerEU: 65
; NumVGPRsForWavesPerEU: 26
; NamedBarCnt: 0
; Occupancy: 16
; WaveLimiterHint : 1
; COMPUTE_PGM_RSRC2:SCRATCH_EN: 0
; COMPUTE_PGM_RSRC2:USER_SGPR: 2
; COMPUTE_PGM_RSRC2:TRAP_HANDLER: 0
; COMPUTE_PGM_RSRC2:TGID_X_EN: 1
; COMPUTE_PGM_RSRC2:TGID_Y_EN: 0
; COMPUTE_PGM_RSRC2:TGID_Z_EN: 0
; COMPUTE_PGM_RSRC2:TIDIG_COMP_CNT: 0
	.section	.text._ZN2at6native29vectorized_elementwise_kernelILi16EZZZNS0_12_GLOBAL__N_116addr_kernel_cudaERNS_14TensorIteratorERKN3c106ScalarES8_ENKUlvE_clEvENKUlvE5_clEvEUlfffE0_St5arrayIPcLm4EEEEviT0_T1_,"axG",@progbits,_ZN2at6native29vectorized_elementwise_kernelILi16EZZZNS0_12_GLOBAL__N_116addr_kernel_cudaERNS_14TensorIteratorERKN3c106ScalarES8_ENKUlvE_clEvENKUlvE5_clEvEUlfffE0_St5arrayIPcLm4EEEEviT0_T1_,comdat
	.globl	_ZN2at6native29vectorized_elementwise_kernelILi16EZZZNS0_12_GLOBAL__N_116addr_kernel_cudaERNS_14TensorIteratorERKN3c106ScalarES8_ENKUlvE_clEvENKUlvE5_clEvEUlfffE0_St5arrayIPcLm4EEEEviT0_T1_ ; -- Begin function _ZN2at6native29vectorized_elementwise_kernelILi16EZZZNS0_12_GLOBAL__N_116addr_kernel_cudaERNS_14TensorIteratorERKN3c106ScalarES8_ENKUlvE_clEvENKUlvE5_clEvEUlfffE0_St5arrayIPcLm4EEEEviT0_T1_
	.p2align	8
	.type	_ZN2at6native29vectorized_elementwise_kernelILi16EZZZNS0_12_GLOBAL__N_116addr_kernel_cudaERNS_14TensorIteratorERKN3c106ScalarES8_ENKUlvE_clEvENKUlvE5_clEvEUlfffE0_St5arrayIPcLm4EEEEviT0_T1_,@function
_ZN2at6native29vectorized_elementwise_kernelILi16EZZZNS0_12_GLOBAL__N_116addr_kernel_cudaERNS_14TensorIteratorERKN3c106ScalarES8_ENKUlvE_clEvENKUlvE5_clEvEUlfffE0_St5arrayIPcLm4EEEEviT0_T1_: ; @_ZN2at6native29vectorized_elementwise_kernelILi16EZZZNS0_12_GLOBAL__N_116addr_kernel_cudaERNS_14TensorIteratorERKN3c106ScalarES8_ENKUlvE_clEvENKUlvE5_clEvEUlfffE0_St5arrayIPcLm4EEEEviT0_T1_
; %bb.0:
	s_clause 0x1
	s_load_b96 s[16:18], s[0:1], 0x0
	s_load_b256 s[4:11], s[0:1], 0x10
	s_wait_xcnt 0x0
	s_bfe_u32 s0, ttmp6, 0x4000c
	s_and_b32 s1, ttmp6, 15
	s_add_co_i32 s0, s0, 1
	s_getreg_b32 s2, hwreg(HW_REG_IB_STS2, 6, 4)
	s_mul_i32 s0, ttmp9, s0
	s_delay_alu instid0(SALU_CYCLE_1) | instskip(SKIP_2) | instid1(SALU_CYCLE_1)
	s_add_co_i32 s1, s1, s0
	s_cmp_eq_u32 s2, 0
	s_cselect_b32 s0, ttmp9, s1
	s_lshl_b32 s2, s0, 10
	s_mov_b32 s0, -1
	s_wait_kmcnt 0x0
	s_sub_co_i32 s1, s16, s2
	s_mov_b32 s12, s17
	s_mov_b32 s13, s18
	s_cmp_gt_i32 s1, 0x3ff
	s_cbranch_scc0 .LBB120_2
; %bb.1:
	s_ashr_i32 s3, s2, 31
	v_mov_b64_e32 v[14:15], s[12:13]
	s_lshl_b64 s[14:15], s[2:3], 2
	s_mov_b32 s0, 0
	s_add_nc_u64 s[16:17], s[8:9], s[14:15]
	global_load_b128 v[2:5], v0, s[16:17] scale_offset
	s_wait_xcnt 0x0
	s_add_nc_u64 s[16:17], s[10:11], s[14:15]
	global_load_b128 v[6:9], v0, s[16:17] scale_offset
	s_wait_xcnt 0x0
	s_add_nc_u64 s[16:17], s[6:7], s[14:15]
	s_add_nc_u64 s[14:15], s[4:5], s[14:15]
	global_load_b128 v[10:13], v0, s[16:17] scale_offset
	s_wait_loadcnt 0x2
	v_pk_mul_f32 v[2:3], v[2:3], v[14:15] op_sel:[0,1]
	v_pk_mul_f32 v[4:5], v[4:5], v[14:15] op_sel:[0,1]
	s_wait_loadcnt 0x1
	s_delay_alu instid0(VALU_DEP_2) | instskip(NEXT) | instid1(VALU_DEP_2)
	v_pk_mul_f32 v[2:3], v[2:3], v[6:7]
	v_pk_mul_f32 v[4:5], v[4:5], v[8:9]
	s_wait_loadcnt 0x0
	s_delay_alu instid0(VALU_DEP_2) | instskip(NEXT) | instid1(VALU_DEP_2)
	v_pk_fma_f32 v[2:3], v[10:11], s[12:13], v[2:3] op_sel_hi:[1,0,1]
	v_pk_fma_f32 v[4:5], v[12:13], s[12:13], v[4:5] op_sel_hi:[1,0,1]
	global_store_b128 v0, v[2:5], s[14:15] scale_offset
.LBB120_2:
	s_and_not1_b32 vcc_lo, exec_lo, s0
	s_cbranch_vccnz .LBB120_15
; %bb.3:
	v_cmp_gt_i32_e32 vcc_lo, s1, v0
	s_wait_xcnt 0x0
	v_dual_mov_b32 v1, 0 :: v_dual_bitop2_b32 v4, s2, v0 bitop3:0x54
	v_or_b32_e32 v5, 0x100, v0
	v_dual_mov_b32 v7, 0 :: v_dual_mov_b32 v13, v0
	v_dual_mov_b32 v2, 0 :: v_dual_mov_b32 v3, 0
	s_and_saveexec_b32 s0, vcc_lo
	s_cbranch_execz .LBB120_5
; %bb.4:
	s_clause 0x2
	global_load_b32 v2, v4, s[6:7] scale_offset
	global_load_b32 v3, v4, s[8:9] scale_offset
	;; [unrolled: 1-line block ×3, first 2 shown]
	v_or_b32_e32 v13, 0x100, v0
.LBB120_5:
	s_wait_xcnt 0x0
	s_or_b32 exec_lo, exec_lo, s0
	v_dual_mov_b32 v8, 0 :: v_dual_mov_b32 v9, 0
	s_mov_b32 s3, exec_lo
	v_cmpx_gt_i32_e64 s1, v13
	s_cbranch_execz .LBB120_7
; %bb.6:
	v_add_nc_u32_e32 v6, s2, v13
	v_add_nc_u32_e32 v13, 0x100, v13
	s_clause 0x2
	global_load_b32 v1, v6, s[6:7] scale_offset
	global_load_b32 v8, v6, s[8:9] scale_offset
	;; [unrolled: 1-line block ×3, first 2 shown]
.LBB120_7:
	s_wait_xcnt 0x0
	s_or_b32 exec_lo, exec_lo, s3
	v_dual_mov_b32 v6, 0 :: v_dual_mov_b32 v10, 0
	v_dual_mov_b32 v11, 0 :: v_dual_mov_b32 v12, 0
	s_mov_b32 s3, exec_lo
	v_cmpx_gt_i32_e64 s1, v13
	s_cbranch_execz .LBB120_9
; %bb.8:
	v_add_nc_u32_e32 v14, s2, v13
	v_add_nc_u32_e32 v13, 0x100, v13
	s_clause 0x2
	global_load_b32 v10, v14, s[6:7] scale_offset
	global_load_b32 v11, v14, s[8:9] scale_offset
	;; [unrolled: 1-line block ×3, first 2 shown]
.LBB120_9:
	s_wait_xcnt 0x0
	s_or_b32 exec_lo, exec_lo, s3
	v_dual_mov_b32 v14, 0 :: v_dual_mov_b32 v15, 0
	s_mov_b32 s3, exec_lo
	v_cmpx_gt_i32_e64 s1, v13
	s_cbranch_execnz .LBB120_16
; %bb.10:
	s_or_b32 exec_lo, exec_lo, s3
	s_and_saveexec_b32 s0, vcc_lo
	s_cbranch_execnz .LBB120_17
.LBB120_11:
	s_or_b32 exec_lo, exec_lo, s0
	s_delay_alu instid0(SALU_CYCLE_1)
	s_mov_b32 s0, exec_lo
	v_cmpx_gt_i32_e64 s1, v0
	s_cbranch_execnz .LBB120_18
.LBB120_12:
	s_or_b32 exec_lo, exec_lo, s0
	s_delay_alu instid0(SALU_CYCLE_1)
	s_mov_b32 s0, exec_lo
	v_cmpx_gt_i32_e64 s1, v0
	s_cbranch_execnz .LBB120_19
.LBB120_13:
	s_or_b32 exec_lo, exec_lo, s0
	s_delay_alu instid0(SALU_CYCLE_1)
	s_mov_b32 s0, exec_lo
	v_cmpx_gt_i32_e64 s1, v0
	s_cbranch_execz .LBB120_15
.LBB120_14:
	s_wait_loadcnt 0x1
	v_dual_mul_f32 v1, s13, v14 :: v_dual_add_nc_u32 v0, s2, v0
	s_wait_loadcnt 0x0
	s_delay_alu instid0(VALU_DEP_1) | instskip(NEXT) | instid1(VALU_DEP_1)
	v_mul_f32_e32 v1, v1, v15
	v_fmac_f32_e32 v1, s12, v6
	global_store_b32 v0, v1, s[4:5] scale_offset
.LBB120_15:
	s_endpgm
.LBB120_16:
	v_add_nc_u32_e32 v13, s2, v13
	s_clause 0x2
	global_load_b32 v6, v13, s[6:7] scale_offset
	global_load_b32 v14, v13, s[8:9] scale_offset
	;; [unrolled: 1-line block ×3, first 2 shown]
	s_wait_xcnt 0x0
	s_or_b32 exec_lo, exec_lo, s3
	s_and_saveexec_b32 s0, vcc_lo
	s_cbranch_execz .LBB120_11
.LBB120_17:
	v_mov_b64_e32 v[16:17], s[12:13]
	v_mov_b32_e32 v0, v5
	s_wait_loadcnt 0x1
	s_delay_alu instid0(VALU_DEP_2) | instskip(SKIP_1) | instid1(VALU_DEP_1)
	v_pk_mul_f32 v[2:3], v[2:3], v[16:17]
	s_wait_loadcnt 0x0
	v_fmac_f32_e32 v2, v3, v7
	global_store_b32 v4, v2, s[4:5] scale_offset
	s_wait_xcnt 0x0
	s_or_b32 exec_lo, exec_lo, s0
	s_delay_alu instid0(SALU_CYCLE_1)
	s_mov_b32 s0, exec_lo
	v_cmpx_gt_i32_e64 s1, v0
	s_cbranch_execz .LBB120_12
.LBB120_18:
	s_wait_loadcnt 0x1
	v_mul_f32_e32 v2, s13, v8
	s_wait_loadcnt 0x0
	s_delay_alu instid0(VALU_DEP_1) | instskip(NEXT) | instid1(VALU_DEP_1)
	v_mul_f32_e32 v2, v2, v9
	v_dual_fmac_f32 v2, s12, v1 :: v_dual_add_nc_u32 v1, s2, v0
	v_add_nc_u32_e32 v0, 0x100, v0
	global_store_b32 v1, v2, s[4:5] scale_offset
	s_wait_xcnt 0x0
	s_or_b32 exec_lo, exec_lo, s0
	s_delay_alu instid0(SALU_CYCLE_1)
	s_mov_b32 s0, exec_lo
	v_cmpx_gt_i32_e64 s1, v0
	s_cbranch_execz .LBB120_13
.LBB120_19:
	s_wait_loadcnt 0x1
	v_dual_mul_f32 v1, s13, v11 :: v_dual_add_nc_u32 v2, s2, v0
	v_add_nc_u32_e32 v0, 0x100, v0
	s_wait_loadcnt 0x0
	s_delay_alu instid0(VALU_DEP_2) | instskip(NEXT) | instid1(VALU_DEP_1)
	v_mul_f32_e32 v1, v1, v12
	v_fmac_f32_e32 v1, s12, v10
	global_store_b32 v2, v1, s[4:5] scale_offset
	s_wait_xcnt 0x0
	s_or_b32 exec_lo, exec_lo, s0
	s_delay_alu instid0(SALU_CYCLE_1)
	s_mov_b32 s0, exec_lo
	v_cmpx_gt_i32_e64 s1, v0
	s_cbranch_execnz .LBB120_14
	s_branch .LBB120_15
	.section	.rodata,"a",@progbits
	.p2align	6, 0x0
	.amdhsa_kernel _ZN2at6native29vectorized_elementwise_kernelILi16EZZZNS0_12_GLOBAL__N_116addr_kernel_cudaERNS_14TensorIteratorERKN3c106ScalarES8_ENKUlvE_clEvENKUlvE5_clEvEUlfffE0_St5arrayIPcLm4EEEEviT0_T1_
		.amdhsa_group_segment_fixed_size 0
		.amdhsa_private_segment_fixed_size 0
		.amdhsa_kernarg_size 48
		.amdhsa_user_sgpr_count 2
		.amdhsa_user_sgpr_dispatch_ptr 0
		.amdhsa_user_sgpr_queue_ptr 0
		.amdhsa_user_sgpr_kernarg_segment_ptr 1
		.amdhsa_user_sgpr_dispatch_id 0
		.amdhsa_user_sgpr_kernarg_preload_length 0
		.amdhsa_user_sgpr_kernarg_preload_offset 0
		.amdhsa_user_sgpr_private_segment_size 0
		.amdhsa_wavefront_size32 1
		.amdhsa_uses_dynamic_stack 0
		.amdhsa_enable_private_segment 0
		.amdhsa_system_sgpr_workgroup_id_x 1
		.amdhsa_system_sgpr_workgroup_id_y 0
		.amdhsa_system_sgpr_workgroup_id_z 0
		.amdhsa_system_sgpr_workgroup_info 0
		.amdhsa_system_vgpr_workitem_id 0
		.amdhsa_next_free_vgpr 18
		.amdhsa_next_free_sgpr 19
		.amdhsa_named_barrier_count 0
		.amdhsa_reserve_vcc 1
		.amdhsa_float_round_mode_32 0
		.amdhsa_float_round_mode_16_64 0
		.amdhsa_float_denorm_mode_32 3
		.amdhsa_float_denorm_mode_16_64 3
		.amdhsa_fp16_overflow 0
		.amdhsa_memory_ordered 1
		.amdhsa_forward_progress 1
		.amdhsa_inst_pref_size 8
		.amdhsa_round_robin_scheduling 0
		.amdhsa_exception_fp_ieee_invalid_op 0
		.amdhsa_exception_fp_denorm_src 0
		.amdhsa_exception_fp_ieee_div_zero 0
		.amdhsa_exception_fp_ieee_overflow 0
		.amdhsa_exception_fp_ieee_underflow 0
		.amdhsa_exception_fp_ieee_inexact 0
		.amdhsa_exception_int_div_zero 0
	.end_amdhsa_kernel
	.section	.text._ZN2at6native29vectorized_elementwise_kernelILi16EZZZNS0_12_GLOBAL__N_116addr_kernel_cudaERNS_14TensorIteratorERKN3c106ScalarES8_ENKUlvE_clEvENKUlvE5_clEvEUlfffE0_St5arrayIPcLm4EEEEviT0_T1_,"axG",@progbits,_ZN2at6native29vectorized_elementwise_kernelILi16EZZZNS0_12_GLOBAL__N_116addr_kernel_cudaERNS_14TensorIteratorERKN3c106ScalarES8_ENKUlvE_clEvENKUlvE5_clEvEUlfffE0_St5arrayIPcLm4EEEEviT0_T1_,comdat
.Lfunc_end120:
	.size	_ZN2at6native29vectorized_elementwise_kernelILi16EZZZNS0_12_GLOBAL__N_116addr_kernel_cudaERNS_14TensorIteratorERKN3c106ScalarES8_ENKUlvE_clEvENKUlvE5_clEvEUlfffE0_St5arrayIPcLm4EEEEviT0_T1_, .Lfunc_end120-_ZN2at6native29vectorized_elementwise_kernelILi16EZZZNS0_12_GLOBAL__N_116addr_kernel_cudaERNS_14TensorIteratorERKN3c106ScalarES8_ENKUlvE_clEvENKUlvE5_clEvEUlfffE0_St5arrayIPcLm4EEEEviT0_T1_
                                        ; -- End function
	.set _ZN2at6native29vectorized_elementwise_kernelILi16EZZZNS0_12_GLOBAL__N_116addr_kernel_cudaERNS_14TensorIteratorERKN3c106ScalarES8_ENKUlvE_clEvENKUlvE5_clEvEUlfffE0_St5arrayIPcLm4EEEEviT0_T1_.num_vgpr, 18
	.set _ZN2at6native29vectorized_elementwise_kernelILi16EZZZNS0_12_GLOBAL__N_116addr_kernel_cudaERNS_14TensorIteratorERKN3c106ScalarES8_ENKUlvE_clEvENKUlvE5_clEvEUlfffE0_St5arrayIPcLm4EEEEviT0_T1_.num_agpr, 0
	.set _ZN2at6native29vectorized_elementwise_kernelILi16EZZZNS0_12_GLOBAL__N_116addr_kernel_cudaERNS_14TensorIteratorERKN3c106ScalarES8_ENKUlvE_clEvENKUlvE5_clEvEUlfffE0_St5arrayIPcLm4EEEEviT0_T1_.numbered_sgpr, 19
	.set _ZN2at6native29vectorized_elementwise_kernelILi16EZZZNS0_12_GLOBAL__N_116addr_kernel_cudaERNS_14TensorIteratorERKN3c106ScalarES8_ENKUlvE_clEvENKUlvE5_clEvEUlfffE0_St5arrayIPcLm4EEEEviT0_T1_.num_named_barrier, 0
	.set _ZN2at6native29vectorized_elementwise_kernelILi16EZZZNS0_12_GLOBAL__N_116addr_kernel_cudaERNS_14TensorIteratorERKN3c106ScalarES8_ENKUlvE_clEvENKUlvE5_clEvEUlfffE0_St5arrayIPcLm4EEEEviT0_T1_.private_seg_size, 0
	.set _ZN2at6native29vectorized_elementwise_kernelILi16EZZZNS0_12_GLOBAL__N_116addr_kernel_cudaERNS_14TensorIteratorERKN3c106ScalarES8_ENKUlvE_clEvENKUlvE5_clEvEUlfffE0_St5arrayIPcLm4EEEEviT0_T1_.uses_vcc, 1
	.set _ZN2at6native29vectorized_elementwise_kernelILi16EZZZNS0_12_GLOBAL__N_116addr_kernel_cudaERNS_14TensorIteratorERKN3c106ScalarES8_ENKUlvE_clEvENKUlvE5_clEvEUlfffE0_St5arrayIPcLm4EEEEviT0_T1_.uses_flat_scratch, 0
	.set _ZN2at6native29vectorized_elementwise_kernelILi16EZZZNS0_12_GLOBAL__N_116addr_kernel_cudaERNS_14TensorIteratorERKN3c106ScalarES8_ENKUlvE_clEvENKUlvE5_clEvEUlfffE0_St5arrayIPcLm4EEEEviT0_T1_.has_dyn_sized_stack, 0
	.set _ZN2at6native29vectorized_elementwise_kernelILi16EZZZNS0_12_GLOBAL__N_116addr_kernel_cudaERNS_14TensorIteratorERKN3c106ScalarES8_ENKUlvE_clEvENKUlvE5_clEvEUlfffE0_St5arrayIPcLm4EEEEviT0_T1_.has_recursion, 0
	.set _ZN2at6native29vectorized_elementwise_kernelILi16EZZZNS0_12_GLOBAL__N_116addr_kernel_cudaERNS_14TensorIteratorERKN3c106ScalarES8_ENKUlvE_clEvENKUlvE5_clEvEUlfffE0_St5arrayIPcLm4EEEEviT0_T1_.has_indirect_call, 0
	.section	.AMDGPU.csdata,"",@progbits
; Kernel info:
; codeLenInByte = 996
; TotalNumSgprs: 21
; NumVgprs: 18
; ScratchSize: 0
; MemoryBound: 0
; FloatMode: 240
; IeeeMode: 1
; LDSByteSize: 0 bytes/workgroup (compile time only)
; SGPRBlocks: 0
; VGPRBlocks: 1
; NumSGPRsForWavesPerEU: 21
; NumVGPRsForWavesPerEU: 18
; NamedBarCnt: 0
; Occupancy: 16
; WaveLimiterHint : 0
; COMPUTE_PGM_RSRC2:SCRATCH_EN: 0
; COMPUTE_PGM_RSRC2:USER_SGPR: 2
; COMPUTE_PGM_RSRC2:TRAP_HANDLER: 0
; COMPUTE_PGM_RSRC2:TGID_X_EN: 1
; COMPUTE_PGM_RSRC2:TGID_Y_EN: 0
; COMPUTE_PGM_RSRC2:TGID_Z_EN: 0
; COMPUTE_PGM_RSRC2:TIDIG_COMP_CNT: 0
	.section	.text._ZN2at6native29vectorized_elementwise_kernelILi8EZZZNS0_12_GLOBAL__N_116addr_kernel_cudaERNS_14TensorIteratorERKN3c106ScalarES8_ENKUlvE_clEvENKUlvE5_clEvEUlfffE0_St5arrayIPcLm4EEEEviT0_T1_,"axG",@progbits,_ZN2at6native29vectorized_elementwise_kernelILi8EZZZNS0_12_GLOBAL__N_116addr_kernel_cudaERNS_14TensorIteratorERKN3c106ScalarES8_ENKUlvE_clEvENKUlvE5_clEvEUlfffE0_St5arrayIPcLm4EEEEviT0_T1_,comdat
	.globl	_ZN2at6native29vectorized_elementwise_kernelILi8EZZZNS0_12_GLOBAL__N_116addr_kernel_cudaERNS_14TensorIteratorERKN3c106ScalarES8_ENKUlvE_clEvENKUlvE5_clEvEUlfffE0_St5arrayIPcLm4EEEEviT0_T1_ ; -- Begin function _ZN2at6native29vectorized_elementwise_kernelILi8EZZZNS0_12_GLOBAL__N_116addr_kernel_cudaERNS_14TensorIteratorERKN3c106ScalarES8_ENKUlvE_clEvENKUlvE5_clEvEUlfffE0_St5arrayIPcLm4EEEEviT0_T1_
	.p2align	8
	.type	_ZN2at6native29vectorized_elementwise_kernelILi8EZZZNS0_12_GLOBAL__N_116addr_kernel_cudaERNS_14TensorIteratorERKN3c106ScalarES8_ENKUlvE_clEvENKUlvE5_clEvEUlfffE0_St5arrayIPcLm4EEEEviT0_T1_,@function
_ZN2at6native29vectorized_elementwise_kernelILi8EZZZNS0_12_GLOBAL__N_116addr_kernel_cudaERNS_14TensorIteratorERKN3c106ScalarES8_ENKUlvE_clEvENKUlvE5_clEvEUlfffE0_St5arrayIPcLm4EEEEviT0_T1_: ; @_ZN2at6native29vectorized_elementwise_kernelILi8EZZZNS0_12_GLOBAL__N_116addr_kernel_cudaERNS_14TensorIteratorERKN3c106ScalarES8_ENKUlvE_clEvENKUlvE5_clEvEUlfffE0_St5arrayIPcLm4EEEEviT0_T1_
; %bb.0:
	s_clause 0x1
	s_load_b96 s[16:18], s[0:1], 0x0
	s_load_b256 s[4:11], s[0:1], 0x10
	s_wait_xcnt 0x0
	s_bfe_u32 s0, ttmp6, 0x4000c
	s_and_b32 s1, ttmp6, 15
	s_add_co_i32 s0, s0, 1
	s_getreg_b32 s2, hwreg(HW_REG_IB_STS2, 6, 4)
	s_mul_i32 s0, ttmp9, s0
	s_delay_alu instid0(SALU_CYCLE_1) | instskip(SKIP_2) | instid1(SALU_CYCLE_1)
	s_add_co_i32 s1, s1, s0
	s_cmp_eq_u32 s2, 0
	s_cselect_b32 s0, ttmp9, s1
	s_lshl_b32 s2, s0, 10
	s_mov_b32 s0, -1
	s_wait_kmcnt 0x0
	s_sub_co_i32 s1, s16, s2
	s_mov_b32 s12, s17
	s_mov_b32 s13, s18
	s_cmp_gt_i32 s1, 0x3ff
	s_cbranch_scc0 .LBB121_2
; %bb.1:
	s_ashr_i32 s3, s2, 31
	v_mov_b64_e32 v[14:15], s[12:13]
	s_lshl_b64 s[14:15], s[2:3], 2
	s_mov_b32 s0, 0
	s_add_nc_u64 s[16:17], s[8:9], s[14:15]
	global_load_b128 v[2:5], v0, s[16:17] scale_offset
	s_wait_xcnt 0x0
	s_add_nc_u64 s[16:17], s[10:11], s[14:15]
	global_load_b128 v[6:9], v0, s[16:17] scale_offset
	s_wait_xcnt 0x0
	s_add_nc_u64 s[16:17], s[6:7], s[14:15]
	s_add_nc_u64 s[14:15], s[4:5], s[14:15]
	global_load_b128 v[10:13], v0, s[16:17] scale_offset
	s_wait_loadcnt 0x2
	v_pk_mul_f32 v[2:3], v[2:3], v[14:15] op_sel:[0,1]
	v_pk_mul_f32 v[4:5], v[4:5], v[14:15] op_sel:[0,1]
	s_wait_loadcnt 0x1
	s_delay_alu instid0(VALU_DEP_2) | instskip(NEXT) | instid1(VALU_DEP_2)
	v_pk_mul_f32 v[2:3], v[2:3], v[6:7]
	v_pk_mul_f32 v[4:5], v[4:5], v[8:9]
	s_wait_loadcnt 0x0
	s_delay_alu instid0(VALU_DEP_2) | instskip(NEXT) | instid1(VALU_DEP_2)
	v_pk_fma_f32 v[2:3], v[10:11], s[12:13], v[2:3] op_sel_hi:[1,0,1]
	v_pk_fma_f32 v[4:5], v[12:13], s[12:13], v[4:5] op_sel_hi:[1,0,1]
	global_store_b128 v0, v[2:5], s[14:15] scale_offset
.LBB121_2:
	s_and_not1_b32 vcc_lo, exec_lo, s0
	s_cbranch_vccnz .LBB121_15
; %bb.3:
	v_cmp_gt_i32_e32 vcc_lo, s1, v0
	s_wait_xcnt 0x0
	v_dual_mov_b32 v1, 0 :: v_dual_bitop2_b32 v4, s2, v0 bitop3:0x54
	v_or_b32_e32 v5, 0x100, v0
	v_dual_mov_b32 v7, 0 :: v_dual_mov_b32 v13, v0
	v_dual_mov_b32 v2, 0 :: v_dual_mov_b32 v3, 0
	s_and_saveexec_b32 s0, vcc_lo
	s_cbranch_execz .LBB121_5
; %bb.4:
	s_clause 0x2
	global_load_b32 v2, v4, s[6:7] scale_offset
	global_load_b32 v3, v4, s[8:9] scale_offset
	;; [unrolled: 1-line block ×3, first 2 shown]
	v_or_b32_e32 v13, 0x100, v0
.LBB121_5:
	s_wait_xcnt 0x0
	s_or_b32 exec_lo, exec_lo, s0
	v_dual_mov_b32 v8, 0 :: v_dual_mov_b32 v9, 0
	s_mov_b32 s3, exec_lo
	v_cmpx_gt_i32_e64 s1, v13
	s_cbranch_execz .LBB121_7
; %bb.6:
	v_add_nc_u32_e32 v6, s2, v13
	v_add_nc_u32_e32 v13, 0x100, v13
	s_clause 0x2
	global_load_b32 v1, v6, s[6:7] scale_offset
	global_load_b32 v8, v6, s[8:9] scale_offset
	;; [unrolled: 1-line block ×3, first 2 shown]
.LBB121_7:
	s_wait_xcnt 0x0
	s_or_b32 exec_lo, exec_lo, s3
	v_dual_mov_b32 v6, 0 :: v_dual_mov_b32 v10, 0
	v_dual_mov_b32 v11, 0 :: v_dual_mov_b32 v12, 0
	s_mov_b32 s3, exec_lo
	v_cmpx_gt_i32_e64 s1, v13
	s_cbranch_execz .LBB121_9
; %bb.8:
	v_add_nc_u32_e32 v14, s2, v13
	v_add_nc_u32_e32 v13, 0x100, v13
	s_clause 0x2
	global_load_b32 v10, v14, s[6:7] scale_offset
	global_load_b32 v11, v14, s[8:9] scale_offset
	;; [unrolled: 1-line block ×3, first 2 shown]
.LBB121_9:
	s_wait_xcnt 0x0
	s_or_b32 exec_lo, exec_lo, s3
	v_dual_mov_b32 v14, 0 :: v_dual_mov_b32 v15, 0
	s_mov_b32 s3, exec_lo
	v_cmpx_gt_i32_e64 s1, v13
	s_cbranch_execnz .LBB121_16
; %bb.10:
	s_or_b32 exec_lo, exec_lo, s3
	s_and_saveexec_b32 s0, vcc_lo
	s_cbranch_execnz .LBB121_17
.LBB121_11:
	s_or_b32 exec_lo, exec_lo, s0
	s_delay_alu instid0(SALU_CYCLE_1)
	s_mov_b32 s0, exec_lo
	v_cmpx_gt_i32_e64 s1, v0
	s_cbranch_execnz .LBB121_18
.LBB121_12:
	s_or_b32 exec_lo, exec_lo, s0
	s_delay_alu instid0(SALU_CYCLE_1)
	s_mov_b32 s0, exec_lo
	v_cmpx_gt_i32_e64 s1, v0
	s_cbranch_execnz .LBB121_19
.LBB121_13:
	s_or_b32 exec_lo, exec_lo, s0
	s_delay_alu instid0(SALU_CYCLE_1)
	s_mov_b32 s0, exec_lo
	v_cmpx_gt_i32_e64 s1, v0
	s_cbranch_execz .LBB121_15
.LBB121_14:
	s_wait_loadcnt 0x1
	v_dual_mul_f32 v1, s13, v14 :: v_dual_add_nc_u32 v0, s2, v0
	s_wait_loadcnt 0x0
	s_delay_alu instid0(VALU_DEP_1) | instskip(NEXT) | instid1(VALU_DEP_1)
	v_mul_f32_e32 v1, v1, v15
	v_fmac_f32_e32 v1, s12, v6
	global_store_b32 v0, v1, s[4:5] scale_offset
.LBB121_15:
	s_endpgm
.LBB121_16:
	v_add_nc_u32_e32 v13, s2, v13
	s_clause 0x2
	global_load_b32 v6, v13, s[6:7] scale_offset
	global_load_b32 v14, v13, s[8:9] scale_offset
	;; [unrolled: 1-line block ×3, first 2 shown]
	s_wait_xcnt 0x0
	s_or_b32 exec_lo, exec_lo, s3
	s_and_saveexec_b32 s0, vcc_lo
	s_cbranch_execz .LBB121_11
.LBB121_17:
	v_mov_b64_e32 v[16:17], s[12:13]
	v_mov_b32_e32 v0, v5
	s_wait_loadcnt 0x1
	s_delay_alu instid0(VALU_DEP_2) | instskip(SKIP_1) | instid1(VALU_DEP_1)
	v_pk_mul_f32 v[2:3], v[2:3], v[16:17]
	s_wait_loadcnt 0x0
	v_fmac_f32_e32 v2, v3, v7
	global_store_b32 v4, v2, s[4:5] scale_offset
	s_wait_xcnt 0x0
	s_or_b32 exec_lo, exec_lo, s0
	s_delay_alu instid0(SALU_CYCLE_1)
	s_mov_b32 s0, exec_lo
	v_cmpx_gt_i32_e64 s1, v0
	s_cbranch_execz .LBB121_12
.LBB121_18:
	s_wait_loadcnt 0x1
	v_mul_f32_e32 v2, s13, v8
	s_wait_loadcnt 0x0
	s_delay_alu instid0(VALU_DEP_1) | instskip(NEXT) | instid1(VALU_DEP_1)
	v_mul_f32_e32 v2, v2, v9
	v_dual_fmac_f32 v2, s12, v1 :: v_dual_add_nc_u32 v1, s2, v0
	v_add_nc_u32_e32 v0, 0x100, v0
	global_store_b32 v1, v2, s[4:5] scale_offset
	s_wait_xcnt 0x0
	s_or_b32 exec_lo, exec_lo, s0
	s_delay_alu instid0(SALU_CYCLE_1)
	s_mov_b32 s0, exec_lo
	v_cmpx_gt_i32_e64 s1, v0
	s_cbranch_execz .LBB121_13
.LBB121_19:
	s_wait_loadcnt 0x1
	v_dual_mul_f32 v1, s13, v11 :: v_dual_add_nc_u32 v2, s2, v0
	v_add_nc_u32_e32 v0, 0x100, v0
	s_wait_loadcnt 0x0
	s_delay_alu instid0(VALU_DEP_2) | instskip(NEXT) | instid1(VALU_DEP_1)
	v_mul_f32_e32 v1, v1, v12
	v_fmac_f32_e32 v1, s12, v10
	global_store_b32 v2, v1, s[4:5] scale_offset
	s_wait_xcnt 0x0
	s_or_b32 exec_lo, exec_lo, s0
	s_delay_alu instid0(SALU_CYCLE_1)
	s_mov_b32 s0, exec_lo
	v_cmpx_gt_i32_e64 s1, v0
	s_cbranch_execnz .LBB121_14
	s_branch .LBB121_15
	.section	.rodata,"a",@progbits
	.p2align	6, 0x0
	.amdhsa_kernel _ZN2at6native29vectorized_elementwise_kernelILi8EZZZNS0_12_GLOBAL__N_116addr_kernel_cudaERNS_14TensorIteratorERKN3c106ScalarES8_ENKUlvE_clEvENKUlvE5_clEvEUlfffE0_St5arrayIPcLm4EEEEviT0_T1_
		.amdhsa_group_segment_fixed_size 0
		.amdhsa_private_segment_fixed_size 0
		.amdhsa_kernarg_size 48
		.amdhsa_user_sgpr_count 2
		.amdhsa_user_sgpr_dispatch_ptr 0
		.amdhsa_user_sgpr_queue_ptr 0
		.amdhsa_user_sgpr_kernarg_segment_ptr 1
		.amdhsa_user_sgpr_dispatch_id 0
		.amdhsa_user_sgpr_kernarg_preload_length 0
		.amdhsa_user_sgpr_kernarg_preload_offset 0
		.amdhsa_user_sgpr_private_segment_size 0
		.amdhsa_wavefront_size32 1
		.amdhsa_uses_dynamic_stack 0
		.amdhsa_enable_private_segment 0
		.amdhsa_system_sgpr_workgroup_id_x 1
		.amdhsa_system_sgpr_workgroup_id_y 0
		.amdhsa_system_sgpr_workgroup_id_z 0
		.amdhsa_system_sgpr_workgroup_info 0
		.amdhsa_system_vgpr_workitem_id 0
		.amdhsa_next_free_vgpr 18
		.amdhsa_next_free_sgpr 19
		.amdhsa_named_barrier_count 0
		.amdhsa_reserve_vcc 1
		.amdhsa_float_round_mode_32 0
		.amdhsa_float_round_mode_16_64 0
		.amdhsa_float_denorm_mode_32 3
		.amdhsa_float_denorm_mode_16_64 3
		.amdhsa_fp16_overflow 0
		.amdhsa_memory_ordered 1
		.amdhsa_forward_progress 1
		.amdhsa_inst_pref_size 8
		.amdhsa_round_robin_scheduling 0
		.amdhsa_exception_fp_ieee_invalid_op 0
		.amdhsa_exception_fp_denorm_src 0
		.amdhsa_exception_fp_ieee_div_zero 0
		.amdhsa_exception_fp_ieee_overflow 0
		.amdhsa_exception_fp_ieee_underflow 0
		.amdhsa_exception_fp_ieee_inexact 0
		.amdhsa_exception_int_div_zero 0
	.end_amdhsa_kernel
	.section	.text._ZN2at6native29vectorized_elementwise_kernelILi8EZZZNS0_12_GLOBAL__N_116addr_kernel_cudaERNS_14TensorIteratorERKN3c106ScalarES8_ENKUlvE_clEvENKUlvE5_clEvEUlfffE0_St5arrayIPcLm4EEEEviT0_T1_,"axG",@progbits,_ZN2at6native29vectorized_elementwise_kernelILi8EZZZNS0_12_GLOBAL__N_116addr_kernel_cudaERNS_14TensorIteratorERKN3c106ScalarES8_ENKUlvE_clEvENKUlvE5_clEvEUlfffE0_St5arrayIPcLm4EEEEviT0_T1_,comdat
.Lfunc_end121:
	.size	_ZN2at6native29vectorized_elementwise_kernelILi8EZZZNS0_12_GLOBAL__N_116addr_kernel_cudaERNS_14TensorIteratorERKN3c106ScalarES8_ENKUlvE_clEvENKUlvE5_clEvEUlfffE0_St5arrayIPcLm4EEEEviT0_T1_, .Lfunc_end121-_ZN2at6native29vectorized_elementwise_kernelILi8EZZZNS0_12_GLOBAL__N_116addr_kernel_cudaERNS_14TensorIteratorERKN3c106ScalarES8_ENKUlvE_clEvENKUlvE5_clEvEUlfffE0_St5arrayIPcLm4EEEEviT0_T1_
                                        ; -- End function
	.set _ZN2at6native29vectorized_elementwise_kernelILi8EZZZNS0_12_GLOBAL__N_116addr_kernel_cudaERNS_14TensorIteratorERKN3c106ScalarES8_ENKUlvE_clEvENKUlvE5_clEvEUlfffE0_St5arrayIPcLm4EEEEviT0_T1_.num_vgpr, 18
	.set _ZN2at6native29vectorized_elementwise_kernelILi8EZZZNS0_12_GLOBAL__N_116addr_kernel_cudaERNS_14TensorIteratorERKN3c106ScalarES8_ENKUlvE_clEvENKUlvE5_clEvEUlfffE0_St5arrayIPcLm4EEEEviT0_T1_.num_agpr, 0
	.set _ZN2at6native29vectorized_elementwise_kernelILi8EZZZNS0_12_GLOBAL__N_116addr_kernel_cudaERNS_14TensorIteratorERKN3c106ScalarES8_ENKUlvE_clEvENKUlvE5_clEvEUlfffE0_St5arrayIPcLm4EEEEviT0_T1_.numbered_sgpr, 19
	.set _ZN2at6native29vectorized_elementwise_kernelILi8EZZZNS0_12_GLOBAL__N_116addr_kernel_cudaERNS_14TensorIteratorERKN3c106ScalarES8_ENKUlvE_clEvENKUlvE5_clEvEUlfffE0_St5arrayIPcLm4EEEEviT0_T1_.num_named_barrier, 0
	.set _ZN2at6native29vectorized_elementwise_kernelILi8EZZZNS0_12_GLOBAL__N_116addr_kernel_cudaERNS_14TensorIteratorERKN3c106ScalarES8_ENKUlvE_clEvENKUlvE5_clEvEUlfffE0_St5arrayIPcLm4EEEEviT0_T1_.private_seg_size, 0
	.set _ZN2at6native29vectorized_elementwise_kernelILi8EZZZNS0_12_GLOBAL__N_116addr_kernel_cudaERNS_14TensorIteratorERKN3c106ScalarES8_ENKUlvE_clEvENKUlvE5_clEvEUlfffE0_St5arrayIPcLm4EEEEviT0_T1_.uses_vcc, 1
	.set _ZN2at6native29vectorized_elementwise_kernelILi8EZZZNS0_12_GLOBAL__N_116addr_kernel_cudaERNS_14TensorIteratorERKN3c106ScalarES8_ENKUlvE_clEvENKUlvE5_clEvEUlfffE0_St5arrayIPcLm4EEEEviT0_T1_.uses_flat_scratch, 0
	.set _ZN2at6native29vectorized_elementwise_kernelILi8EZZZNS0_12_GLOBAL__N_116addr_kernel_cudaERNS_14TensorIteratorERKN3c106ScalarES8_ENKUlvE_clEvENKUlvE5_clEvEUlfffE0_St5arrayIPcLm4EEEEviT0_T1_.has_dyn_sized_stack, 0
	.set _ZN2at6native29vectorized_elementwise_kernelILi8EZZZNS0_12_GLOBAL__N_116addr_kernel_cudaERNS_14TensorIteratorERKN3c106ScalarES8_ENKUlvE_clEvENKUlvE5_clEvEUlfffE0_St5arrayIPcLm4EEEEviT0_T1_.has_recursion, 0
	.set _ZN2at6native29vectorized_elementwise_kernelILi8EZZZNS0_12_GLOBAL__N_116addr_kernel_cudaERNS_14TensorIteratorERKN3c106ScalarES8_ENKUlvE_clEvENKUlvE5_clEvEUlfffE0_St5arrayIPcLm4EEEEviT0_T1_.has_indirect_call, 0
	.section	.AMDGPU.csdata,"",@progbits
; Kernel info:
; codeLenInByte = 996
; TotalNumSgprs: 21
; NumVgprs: 18
; ScratchSize: 0
; MemoryBound: 0
; FloatMode: 240
; IeeeMode: 1
; LDSByteSize: 0 bytes/workgroup (compile time only)
; SGPRBlocks: 0
; VGPRBlocks: 1
; NumSGPRsForWavesPerEU: 21
; NumVGPRsForWavesPerEU: 18
; NamedBarCnt: 0
; Occupancy: 16
; WaveLimiterHint : 0
; COMPUTE_PGM_RSRC2:SCRATCH_EN: 0
; COMPUTE_PGM_RSRC2:USER_SGPR: 2
; COMPUTE_PGM_RSRC2:TRAP_HANDLER: 0
; COMPUTE_PGM_RSRC2:TGID_X_EN: 1
; COMPUTE_PGM_RSRC2:TGID_Y_EN: 0
; COMPUTE_PGM_RSRC2:TGID_Z_EN: 0
; COMPUTE_PGM_RSRC2:TIDIG_COMP_CNT: 0
	.section	.text._ZN2at6native29vectorized_elementwise_kernelILi4EZZZNS0_12_GLOBAL__N_116addr_kernel_cudaERNS_14TensorIteratorERKN3c106ScalarES8_ENKUlvE_clEvENKUlvE5_clEvEUlfffE0_St5arrayIPcLm4EEEEviT0_T1_,"axG",@progbits,_ZN2at6native29vectorized_elementwise_kernelILi4EZZZNS0_12_GLOBAL__N_116addr_kernel_cudaERNS_14TensorIteratorERKN3c106ScalarES8_ENKUlvE_clEvENKUlvE5_clEvEUlfffE0_St5arrayIPcLm4EEEEviT0_T1_,comdat
	.globl	_ZN2at6native29vectorized_elementwise_kernelILi4EZZZNS0_12_GLOBAL__N_116addr_kernel_cudaERNS_14TensorIteratorERKN3c106ScalarES8_ENKUlvE_clEvENKUlvE5_clEvEUlfffE0_St5arrayIPcLm4EEEEviT0_T1_ ; -- Begin function _ZN2at6native29vectorized_elementwise_kernelILi4EZZZNS0_12_GLOBAL__N_116addr_kernel_cudaERNS_14TensorIteratorERKN3c106ScalarES8_ENKUlvE_clEvENKUlvE5_clEvEUlfffE0_St5arrayIPcLm4EEEEviT0_T1_
	.p2align	8
	.type	_ZN2at6native29vectorized_elementwise_kernelILi4EZZZNS0_12_GLOBAL__N_116addr_kernel_cudaERNS_14TensorIteratorERKN3c106ScalarES8_ENKUlvE_clEvENKUlvE5_clEvEUlfffE0_St5arrayIPcLm4EEEEviT0_T1_,@function
_ZN2at6native29vectorized_elementwise_kernelILi4EZZZNS0_12_GLOBAL__N_116addr_kernel_cudaERNS_14TensorIteratorERKN3c106ScalarES8_ENKUlvE_clEvENKUlvE5_clEvEUlfffE0_St5arrayIPcLm4EEEEviT0_T1_: ; @_ZN2at6native29vectorized_elementwise_kernelILi4EZZZNS0_12_GLOBAL__N_116addr_kernel_cudaERNS_14TensorIteratorERKN3c106ScalarES8_ENKUlvE_clEvENKUlvE5_clEvEUlfffE0_St5arrayIPcLm4EEEEviT0_T1_
; %bb.0:
	s_clause 0x1
	s_load_b96 s[16:18], s[0:1], 0x0
	s_load_b256 s[4:11], s[0:1], 0x10
	s_wait_xcnt 0x0
	s_bfe_u32 s0, ttmp6, 0x4000c
	s_and_b32 s1, ttmp6, 15
	s_add_co_i32 s0, s0, 1
	s_getreg_b32 s2, hwreg(HW_REG_IB_STS2, 6, 4)
	s_mul_i32 s0, ttmp9, s0
	s_delay_alu instid0(SALU_CYCLE_1) | instskip(SKIP_2) | instid1(SALU_CYCLE_1)
	s_add_co_i32 s1, s1, s0
	s_cmp_eq_u32 s2, 0
	s_cselect_b32 s0, ttmp9, s1
	s_lshl_b32 s2, s0, 10
	s_mov_b32 s0, -1
	s_wait_kmcnt 0x0
	s_sub_co_i32 s1, s16, s2
	s_mov_b32 s12, s17
	s_mov_b32 s13, s18
	s_cmp_gt_i32 s1, 0x3ff
	s_cbranch_scc0 .LBB122_2
; %bb.1:
	s_ashr_i32 s3, s2, 31
	v_mov_b64_e32 v[14:15], s[12:13]
	s_lshl_b64 s[14:15], s[2:3], 2
	s_mov_b32 s0, 0
	s_add_nc_u64 s[16:17], s[8:9], s[14:15]
	global_load_b128 v[2:5], v0, s[16:17] scale_offset
	s_wait_xcnt 0x0
	s_add_nc_u64 s[16:17], s[10:11], s[14:15]
	global_load_b128 v[6:9], v0, s[16:17] scale_offset
	s_wait_xcnt 0x0
	s_add_nc_u64 s[16:17], s[6:7], s[14:15]
	s_add_nc_u64 s[14:15], s[4:5], s[14:15]
	global_load_b128 v[10:13], v0, s[16:17] scale_offset
	s_wait_loadcnt 0x2
	v_pk_mul_f32 v[2:3], v[2:3], v[14:15] op_sel:[0,1]
	v_pk_mul_f32 v[4:5], v[4:5], v[14:15] op_sel:[0,1]
	s_wait_loadcnt 0x1
	s_delay_alu instid0(VALU_DEP_2) | instskip(NEXT) | instid1(VALU_DEP_2)
	v_pk_mul_f32 v[2:3], v[2:3], v[6:7]
	v_pk_mul_f32 v[4:5], v[4:5], v[8:9]
	s_wait_loadcnt 0x0
	s_delay_alu instid0(VALU_DEP_2) | instskip(NEXT) | instid1(VALU_DEP_2)
	v_pk_fma_f32 v[2:3], v[10:11], s[12:13], v[2:3] op_sel_hi:[1,0,1]
	v_pk_fma_f32 v[4:5], v[12:13], s[12:13], v[4:5] op_sel_hi:[1,0,1]
	global_store_b128 v0, v[2:5], s[14:15] scale_offset
.LBB122_2:
	s_and_not1_b32 vcc_lo, exec_lo, s0
	s_cbranch_vccnz .LBB122_15
; %bb.3:
	v_cmp_gt_i32_e32 vcc_lo, s1, v0
	s_wait_xcnt 0x0
	v_dual_mov_b32 v1, 0 :: v_dual_bitop2_b32 v4, s2, v0 bitop3:0x54
	v_or_b32_e32 v5, 0x100, v0
	v_dual_mov_b32 v7, 0 :: v_dual_mov_b32 v13, v0
	v_dual_mov_b32 v2, 0 :: v_dual_mov_b32 v3, 0
	s_and_saveexec_b32 s0, vcc_lo
	s_cbranch_execz .LBB122_5
; %bb.4:
	s_clause 0x2
	global_load_b32 v2, v4, s[6:7] scale_offset
	global_load_b32 v3, v4, s[8:9] scale_offset
	;; [unrolled: 1-line block ×3, first 2 shown]
	v_or_b32_e32 v13, 0x100, v0
.LBB122_5:
	s_wait_xcnt 0x0
	s_or_b32 exec_lo, exec_lo, s0
	v_dual_mov_b32 v8, 0 :: v_dual_mov_b32 v9, 0
	s_mov_b32 s3, exec_lo
	v_cmpx_gt_i32_e64 s1, v13
	s_cbranch_execz .LBB122_7
; %bb.6:
	v_add_nc_u32_e32 v6, s2, v13
	v_add_nc_u32_e32 v13, 0x100, v13
	s_clause 0x2
	global_load_b32 v1, v6, s[6:7] scale_offset
	global_load_b32 v8, v6, s[8:9] scale_offset
	;; [unrolled: 1-line block ×3, first 2 shown]
.LBB122_7:
	s_wait_xcnt 0x0
	s_or_b32 exec_lo, exec_lo, s3
	v_dual_mov_b32 v6, 0 :: v_dual_mov_b32 v10, 0
	v_dual_mov_b32 v11, 0 :: v_dual_mov_b32 v12, 0
	s_mov_b32 s3, exec_lo
	v_cmpx_gt_i32_e64 s1, v13
	s_cbranch_execz .LBB122_9
; %bb.8:
	v_add_nc_u32_e32 v14, s2, v13
	v_add_nc_u32_e32 v13, 0x100, v13
	s_clause 0x2
	global_load_b32 v10, v14, s[6:7] scale_offset
	global_load_b32 v11, v14, s[8:9] scale_offset
	;; [unrolled: 1-line block ×3, first 2 shown]
.LBB122_9:
	s_wait_xcnt 0x0
	s_or_b32 exec_lo, exec_lo, s3
	v_dual_mov_b32 v14, 0 :: v_dual_mov_b32 v15, 0
	s_mov_b32 s3, exec_lo
	v_cmpx_gt_i32_e64 s1, v13
	s_cbranch_execnz .LBB122_16
; %bb.10:
	s_or_b32 exec_lo, exec_lo, s3
	s_and_saveexec_b32 s0, vcc_lo
	s_cbranch_execnz .LBB122_17
.LBB122_11:
	s_or_b32 exec_lo, exec_lo, s0
	s_delay_alu instid0(SALU_CYCLE_1)
	s_mov_b32 s0, exec_lo
	v_cmpx_gt_i32_e64 s1, v0
	s_cbranch_execnz .LBB122_18
.LBB122_12:
	s_or_b32 exec_lo, exec_lo, s0
	s_delay_alu instid0(SALU_CYCLE_1)
	s_mov_b32 s0, exec_lo
	v_cmpx_gt_i32_e64 s1, v0
	s_cbranch_execnz .LBB122_19
.LBB122_13:
	s_or_b32 exec_lo, exec_lo, s0
	s_delay_alu instid0(SALU_CYCLE_1)
	s_mov_b32 s0, exec_lo
	v_cmpx_gt_i32_e64 s1, v0
	s_cbranch_execz .LBB122_15
.LBB122_14:
	s_wait_loadcnt 0x1
	v_dual_mul_f32 v1, s13, v14 :: v_dual_add_nc_u32 v0, s2, v0
	s_wait_loadcnt 0x0
	s_delay_alu instid0(VALU_DEP_1) | instskip(NEXT) | instid1(VALU_DEP_1)
	v_mul_f32_e32 v1, v1, v15
	v_fmac_f32_e32 v1, s12, v6
	global_store_b32 v0, v1, s[4:5] scale_offset
.LBB122_15:
	s_endpgm
.LBB122_16:
	v_add_nc_u32_e32 v13, s2, v13
	s_clause 0x2
	global_load_b32 v6, v13, s[6:7] scale_offset
	global_load_b32 v14, v13, s[8:9] scale_offset
	global_load_b32 v15, v13, s[10:11] scale_offset
	s_wait_xcnt 0x0
	s_or_b32 exec_lo, exec_lo, s3
	s_and_saveexec_b32 s0, vcc_lo
	s_cbranch_execz .LBB122_11
.LBB122_17:
	v_mov_b64_e32 v[16:17], s[12:13]
	v_mov_b32_e32 v0, v5
	s_wait_loadcnt 0x1
	s_delay_alu instid0(VALU_DEP_2) | instskip(SKIP_1) | instid1(VALU_DEP_1)
	v_pk_mul_f32 v[2:3], v[2:3], v[16:17]
	s_wait_loadcnt 0x0
	v_fmac_f32_e32 v2, v3, v7
	global_store_b32 v4, v2, s[4:5] scale_offset
	s_wait_xcnt 0x0
	s_or_b32 exec_lo, exec_lo, s0
	s_delay_alu instid0(SALU_CYCLE_1)
	s_mov_b32 s0, exec_lo
	v_cmpx_gt_i32_e64 s1, v0
	s_cbranch_execz .LBB122_12
.LBB122_18:
	s_wait_loadcnt 0x1
	v_mul_f32_e32 v2, s13, v8
	s_wait_loadcnt 0x0
	s_delay_alu instid0(VALU_DEP_1) | instskip(NEXT) | instid1(VALU_DEP_1)
	v_mul_f32_e32 v2, v2, v9
	v_dual_fmac_f32 v2, s12, v1 :: v_dual_add_nc_u32 v1, s2, v0
	v_add_nc_u32_e32 v0, 0x100, v0
	global_store_b32 v1, v2, s[4:5] scale_offset
	s_wait_xcnt 0x0
	s_or_b32 exec_lo, exec_lo, s0
	s_delay_alu instid0(SALU_CYCLE_1)
	s_mov_b32 s0, exec_lo
	v_cmpx_gt_i32_e64 s1, v0
	s_cbranch_execz .LBB122_13
.LBB122_19:
	s_wait_loadcnt 0x1
	v_dual_mul_f32 v1, s13, v11 :: v_dual_add_nc_u32 v2, s2, v0
	v_add_nc_u32_e32 v0, 0x100, v0
	s_wait_loadcnt 0x0
	s_delay_alu instid0(VALU_DEP_2) | instskip(NEXT) | instid1(VALU_DEP_1)
	v_mul_f32_e32 v1, v1, v12
	v_fmac_f32_e32 v1, s12, v10
	global_store_b32 v2, v1, s[4:5] scale_offset
	s_wait_xcnt 0x0
	s_or_b32 exec_lo, exec_lo, s0
	s_delay_alu instid0(SALU_CYCLE_1)
	s_mov_b32 s0, exec_lo
	v_cmpx_gt_i32_e64 s1, v0
	s_cbranch_execnz .LBB122_14
	s_branch .LBB122_15
	.section	.rodata,"a",@progbits
	.p2align	6, 0x0
	.amdhsa_kernel _ZN2at6native29vectorized_elementwise_kernelILi4EZZZNS0_12_GLOBAL__N_116addr_kernel_cudaERNS_14TensorIteratorERKN3c106ScalarES8_ENKUlvE_clEvENKUlvE5_clEvEUlfffE0_St5arrayIPcLm4EEEEviT0_T1_
		.amdhsa_group_segment_fixed_size 0
		.amdhsa_private_segment_fixed_size 0
		.amdhsa_kernarg_size 48
		.amdhsa_user_sgpr_count 2
		.amdhsa_user_sgpr_dispatch_ptr 0
		.amdhsa_user_sgpr_queue_ptr 0
		.amdhsa_user_sgpr_kernarg_segment_ptr 1
		.amdhsa_user_sgpr_dispatch_id 0
		.amdhsa_user_sgpr_kernarg_preload_length 0
		.amdhsa_user_sgpr_kernarg_preload_offset 0
		.amdhsa_user_sgpr_private_segment_size 0
		.amdhsa_wavefront_size32 1
		.amdhsa_uses_dynamic_stack 0
		.amdhsa_enable_private_segment 0
		.amdhsa_system_sgpr_workgroup_id_x 1
		.amdhsa_system_sgpr_workgroup_id_y 0
		.amdhsa_system_sgpr_workgroup_id_z 0
		.amdhsa_system_sgpr_workgroup_info 0
		.amdhsa_system_vgpr_workitem_id 0
		.amdhsa_next_free_vgpr 18
		.amdhsa_next_free_sgpr 19
		.amdhsa_named_barrier_count 0
		.amdhsa_reserve_vcc 1
		.amdhsa_float_round_mode_32 0
		.amdhsa_float_round_mode_16_64 0
		.amdhsa_float_denorm_mode_32 3
		.amdhsa_float_denorm_mode_16_64 3
		.amdhsa_fp16_overflow 0
		.amdhsa_memory_ordered 1
		.amdhsa_forward_progress 1
		.amdhsa_inst_pref_size 8
		.amdhsa_round_robin_scheduling 0
		.amdhsa_exception_fp_ieee_invalid_op 0
		.amdhsa_exception_fp_denorm_src 0
		.amdhsa_exception_fp_ieee_div_zero 0
		.amdhsa_exception_fp_ieee_overflow 0
		.amdhsa_exception_fp_ieee_underflow 0
		.amdhsa_exception_fp_ieee_inexact 0
		.amdhsa_exception_int_div_zero 0
	.end_amdhsa_kernel
	.section	.text._ZN2at6native29vectorized_elementwise_kernelILi4EZZZNS0_12_GLOBAL__N_116addr_kernel_cudaERNS_14TensorIteratorERKN3c106ScalarES8_ENKUlvE_clEvENKUlvE5_clEvEUlfffE0_St5arrayIPcLm4EEEEviT0_T1_,"axG",@progbits,_ZN2at6native29vectorized_elementwise_kernelILi4EZZZNS0_12_GLOBAL__N_116addr_kernel_cudaERNS_14TensorIteratorERKN3c106ScalarES8_ENKUlvE_clEvENKUlvE5_clEvEUlfffE0_St5arrayIPcLm4EEEEviT0_T1_,comdat
.Lfunc_end122:
	.size	_ZN2at6native29vectorized_elementwise_kernelILi4EZZZNS0_12_GLOBAL__N_116addr_kernel_cudaERNS_14TensorIteratorERKN3c106ScalarES8_ENKUlvE_clEvENKUlvE5_clEvEUlfffE0_St5arrayIPcLm4EEEEviT0_T1_, .Lfunc_end122-_ZN2at6native29vectorized_elementwise_kernelILi4EZZZNS0_12_GLOBAL__N_116addr_kernel_cudaERNS_14TensorIteratorERKN3c106ScalarES8_ENKUlvE_clEvENKUlvE5_clEvEUlfffE0_St5arrayIPcLm4EEEEviT0_T1_
                                        ; -- End function
	.set _ZN2at6native29vectorized_elementwise_kernelILi4EZZZNS0_12_GLOBAL__N_116addr_kernel_cudaERNS_14TensorIteratorERKN3c106ScalarES8_ENKUlvE_clEvENKUlvE5_clEvEUlfffE0_St5arrayIPcLm4EEEEviT0_T1_.num_vgpr, 18
	.set _ZN2at6native29vectorized_elementwise_kernelILi4EZZZNS0_12_GLOBAL__N_116addr_kernel_cudaERNS_14TensorIteratorERKN3c106ScalarES8_ENKUlvE_clEvENKUlvE5_clEvEUlfffE0_St5arrayIPcLm4EEEEviT0_T1_.num_agpr, 0
	.set _ZN2at6native29vectorized_elementwise_kernelILi4EZZZNS0_12_GLOBAL__N_116addr_kernel_cudaERNS_14TensorIteratorERKN3c106ScalarES8_ENKUlvE_clEvENKUlvE5_clEvEUlfffE0_St5arrayIPcLm4EEEEviT0_T1_.numbered_sgpr, 19
	.set _ZN2at6native29vectorized_elementwise_kernelILi4EZZZNS0_12_GLOBAL__N_116addr_kernel_cudaERNS_14TensorIteratorERKN3c106ScalarES8_ENKUlvE_clEvENKUlvE5_clEvEUlfffE0_St5arrayIPcLm4EEEEviT0_T1_.num_named_barrier, 0
	.set _ZN2at6native29vectorized_elementwise_kernelILi4EZZZNS0_12_GLOBAL__N_116addr_kernel_cudaERNS_14TensorIteratorERKN3c106ScalarES8_ENKUlvE_clEvENKUlvE5_clEvEUlfffE0_St5arrayIPcLm4EEEEviT0_T1_.private_seg_size, 0
	.set _ZN2at6native29vectorized_elementwise_kernelILi4EZZZNS0_12_GLOBAL__N_116addr_kernel_cudaERNS_14TensorIteratorERKN3c106ScalarES8_ENKUlvE_clEvENKUlvE5_clEvEUlfffE0_St5arrayIPcLm4EEEEviT0_T1_.uses_vcc, 1
	.set _ZN2at6native29vectorized_elementwise_kernelILi4EZZZNS0_12_GLOBAL__N_116addr_kernel_cudaERNS_14TensorIteratorERKN3c106ScalarES8_ENKUlvE_clEvENKUlvE5_clEvEUlfffE0_St5arrayIPcLm4EEEEviT0_T1_.uses_flat_scratch, 0
	.set _ZN2at6native29vectorized_elementwise_kernelILi4EZZZNS0_12_GLOBAL__N_116addr_kernel_cudaERNS_14TensorIteratorERKN3c106ScalarES8_ENKUlvE_clEvENKUlvE5_clEvEUlfffE0_St5arrayIPcLm4EEEEviT0_T1_.has_dyn_sized_stack, 0
	.set _ZN2at6native29vectorized_elementwise_kernelILi4EZZZNS0_12_GLOBAL__N_116addr_kernel_cudaERNS_14TensorIteratorERKN3c106ScalarES8_ENKUlvE_clEvENKUlvE5_clEvEUlfffE0_St5arrayIPcLm4EEEEviT0_T1_.has_recursion, 0
	.set _ZN2at6native29vectorized_elementwise_kernelILi4EZZZNS0_12_GLOBAL__N_116addr_kernel_cudaERNS_14TensorIteratorERKN3c106ScalarES8_ENKUlvE_clEvENKUlvE5_clEvEUlfffE0_St5arrayIPcLm4EEEEviT0_T1_.has_indirect_call, 0
	.section	.AMDGPU.csdata,"",@progbits
; Kernel info:
; codeLenInByte = 996
; TotalNumSgprs: 21
; NumVgprs: 18
; ScratchSize: 0
; MemoryBound: 0
; FloatMode: 240
; IeeeMode: 1
; LDSByteSize: 0 bytes/workgroup (compile time only)
; SGPRBlocks: 0
; VGPRBlocks: 1
; NumSGPRsForWavesPerEU: 21
; NumVGPRsForWavesPerEU: 18
; NamedBarCnt: 0
; Occupancy: 16
; WaveLimiterHint : 0
; COMPUTE_PGM_RSRC2:SCRATCH_EN: 0
; COMPUTE_PGM_RSRC2:USER_SGPR: 2
; COMPUTE_PGM_RSRC2:TRAP_HANDLER: 0
; COMPUTE_PGM_RSRC2:TGID_X_EN: 1
; COMPUTE_PGM_RSRC2:TGID_Y_EN: 0
; COMPUTE_PGM_RSRC2:TGID_Z_EN: 0
; COMPUTE_PGM_RSRC2:TIDIG_COMP_CNT: 0
	.section	.text._ZN2at6native29vectorized_elementwise_kernelILi2EZZZNS0_12_GLOBAL__N_116addr_kernel_cudaERNS_14TensorIteratorERKN3c106ScalarES8_ENKUlvE_clEvENKUlvE5_clEvEUlfffE0_St5arrayIPcLm4EEEEviT0_T1_,"axG",@progbits,_ZN2at6native29vectorized_elementwise_kernelILi2EZZZNS0_12_GLOBAL__N_116addr_kernel_cudaERNS_14TensorIteratorERKN3c106ScalarES8_ENKUlvE_clEvENKUlvE5_clEvEUlfffE0_St5arrayIPcLm4EEEEviT0_T1_,comdat
	.globl	_ZN2at6native29vectorized_elementwise_kernelILi2EZZZNS0_12_GLOBAL__N_116addr_kernel_cudaERNS_14TensorIteratorERKN3c106ScalarES8_ENKUlvE_clEvENKUlvE5_clEvEUlfffE0_St5arrayIPcLm4EEEEviT0_T1_ ; -- Begin function _ZN2at6native29vectorized_elementwise_kernelILi2EZZZNS0_12_GLOBAL__N_116addr_kernel_cudaERNS_14TensorIteratorERKN3c106ScalarES8_ENKUlvE_clEvENKUlvE5_clEvEUlfffE0_St5arrayIPcLm4EEEEviT0_T1_
	.p2align	8
	.type	_ZN2at6native29vectorized_elementwise_kernelILi2EZZZNS0_12_GLOBAL__N_116addr_kernel_cudaERNS_14TensorIteratorERKN3c106ScalarES8_ENKUlvE_clEvENKUlvE5_clEvEUlfffE0_St5arrayIPcLm4EEEEviT0_T1_,@function
_ZN2at6native29vectorized_elementwise_kernelILi2EZZZNS0_12_GLOBAL__N_116addr_kernel_cudaERNS_14TensorIteratorERKN3c106ScalarES8_ENKUlvE_clEvENKUlvE5_clEvEUlfffE0_St5arrayIPcLm4EEEEviT0_T1_: ; @_ZN2at6native29vectorized_elementwise_kernelILi2EZZZNS0_12_GLOBAL__N_116addr_kernel_cudaERNS_14TensorIteratorERKN3c106ScalarES8_ENKUlvE_clEvENKUlvE5_clEvEUlfffE0_St5arrayIPcLm4EEEEviT0_T1_
; %bb.0:
	s_clause 0x1
	s_load_b96 s[16:18], s[0:1], 0x0
	s_load_b256 s[4:11], s[0:1], 0x10
	s_wait_xcnt 0x0
	s_bfe_u32 s0, ttmp6, 0x4000c
	s_and_b32 s1, ttmp6, 15
	s_add_co_i32 s0, s0, 1
	s_getreg_b32 s2, hwreg(HW_REG_IB_STS2, 6, 4)
	s_mul_i32 s0, ttmp9, s0
	s_delay_alu instid0(SALU_CYCLE_1) | instskip(SKIP_2) | instid1(SALU_CYCLE_1)
	s_add_co_i32 s1, s1, s0
	s_cmp_eq_u32 s2, 0
	s_cselect_b32 s0, ttmp9, s1
	s_lshl_b32 s2, s0, 10
	s_mov_b32 s0, -1
	s_wait_kmcnt 0x0
	s_sub_co_i32 s1, s16, s2
	s_mov_b32 s12, s17
	s_mov_b32 s13, s18
	s_cmp_gt_i32 s1, 0x3ff
	s_cbranch_scc0 .LBB123_2
; %bb.1:
	s_ashr_i32 s3, s2, 31
	v_mov_b64_e32 v[14:15], s[12:13]
	s_lshl_b64 s[14:15], s[2:3], 2
	s_mov_b32 s0, 0
	s_add_nc_u64 s[16:17], s[8:9], s[14:15]
	s_clause 0x1
	global_load_b64 v[2:3], v0, s[16:17] scale_offset
	global_load_b64 v[4:5], v0, s[16:17] offset:2048 scale_offset
	s_wait_xcnt 0x0
	s_add_nc_u64 s[16:17], s[10:11], s[14:15]
	s_clause 0x1
	global_load_b64 v[6:7], v0, s[16:17] scale_offset
	global_load_b64 v[8:9], v0, s[16:17] offset:2048 scale_offset
	s_wait_xcnt 0x0
	s_add_nc_u64 s[16:17], s[6:7], s[14:15]
	s_clause 0x1
	global_load_b64 v[10:11], v0, s[16:17] scale_offset
	global_load_b64 v[12:13], v0, s[16:17] offset:2048 scale_offset
	s_add_nc_u64 s[14:15], s[4:5], s[14:15]
	s_wait_loadcnt 0x5
	v_pk_mul_f32 v[2:3], v[2:3], v[14:15] op_sel:[0,1]
	s_wait_loadcnt 0x4
	v_pk_mul_f32 v[4:5], v[4:5], v[14:15] op_sel:[0,1]
	s_wait_loadcnt 0x3
	s_delay_alu instid0(VALU_DEP_2) | instskip(SKIP_1) | instid1(VALU_DEP_2)
	v_pk_mul_f32 v[2:3], v[2:3], v[6:7]
	s_wait_loadcnt 0x2
	v_pk_mul_f32 v[4:5], v[4:5], v[8:9]
	s_wait_loadcnt 0x1
	s_delay_alu instid0(VALU_DEP_2) | instskip(SKIP_1) | instid1(VALU_DEP_2)
	v_pk_fma_f32 v[2:3], v[10:11], s[12:13], v[2:3] op_sel_hi:[1,0,1]
	s_wait_loadcnt 0x0
	v_pk_fma_f32 v[4:5], v[12:13], s[12:13], v[4:5] op_sel_hi:[1,0,1]
	s_clause 0x1
	global_store_b64 v0, v[2:3], s[14:15] scale_offset
	global_store_b64 v0, v[4:5], s[14:15] offset:2048 scale_offset
.LBB123_2:
	s_and_not1_b32 vcc_lo, exec_lo, s0
	s_cbranch_vccnz .LBB123_15
; %bb.3:
	v_cmp_gt_i32_e32 vcc_lo, s1, v0
	s_wait_xcnt 0x0
	v_dual_mov_b32 v1, 0 :: v_dual_bitop2_b32 v4, s2, v0 bitop3:0x54
	v_or_b32_e32 v5, 0x100, v0
	v_dual_mov_b32 v7, 0 :: v_dual_mov_b32 v13, v0
	v_dual_mov_b32 v2, 0 :: v_dual_mov_b32 v3, 0
	s_and_saveexec_b32 s0, vcc_lo
	s_cbranch_execz .LBB123_5
; %bb.4:
	s_clause 0x2
	global_load_b32 v2, v4, s[6:7] scale_offset
	global_load_b32 v3, v4, s[8:9] scale_offset
	;; [unrolled: 1-line block ×3, first 2 shown]
	v_or_b32_e32 v13, 0x100, v0
.LBB123_5:
	s_wait_xcnt 0x0
	s_or_b32 exec_lo, exec_lo, s0
	v_dual_mov_b32 v8, 0 :: v_dual_mov_b32 v9, 0
	s_mov_b32 s3, exec_lo
	v_cmpx_gt_i32_e64 s1, v13
	s_cbranch_execz .LBB123_7
; %bb.6:
	v_add_nc_u32_e32 v6, s2, v13
	v_add_nc_u32_e32 v13, 0x100, v13
	s_clause 0x2
	global_load_b32 v1, v6, s[6:7] scale_offset
	global_load_b32 v8, v6, s[8:9] scale_offset
	global_load_b32 v9, v6, s[10:11] scale_offset
.LBB123_7:
	s_wait_xcnt 0x0
	s_or_b32 exec_lo, exec_lo, s3
	v_dual_mov_b32 v6, 0 :: v_dual_mov_b32 v10, 0
	v_dual_mov_b32 v11, 0 :: v_dual_mov_b32 v12, 0
	s_mov_b32 s3, exec_lo
	v_cmpx_gt_i32_e64 s1, v13
	s_cbranch_execz .LBB123_9
; %bb.8:
	v_add_nc_u32_e32 v14, s2, v13
	v_add_nc_u32_e32 v13, 0x100, v13
	s_clause 0x2
	global_load_b32 v10, v14, s[6:7] scale_offset
	global_load_b32 v11, v14, s[8:9] scale_offset
	;; [unrolled: 1-line block ×3, first 2 shown]
.LBB123_9:
	s_wait_xcnt 0x0
	s_or_b32 exec_lo, exec_lo, s3
	v_dual_mov_b32 v14, 0 :: v_dual_mov_b32 v15, 0
	s_mov_b32 s3, exec_lo
	v_cmpx_gt_i32_e64 s1, v13
	s_cbranch_execnz .LBB123_16
; %bb.10:
	s_or_b32 exec_lo, exec_lo, s3
	s_and_saveexec_b32 s0, vcc_lo
	s_cbranch_execnz .LBB123_17
.LBB123_11:
	s_or_b32 exec_lo, exec_lo, s0
	s_delay_alu instid0(SALU_CYCLE_1)
	s_mov_b32 s0, exec_lo
	v_cmpx_gt_i32_e64 s1, v0
	s_cbranch_execnz .LBB123_18
.LBB123_12:
	s_or_b32 exec_lo, exec_lo, s0
	s_delay_alu instid0(SALU_CYCLE_1)
	s_mov_b32 s0, exec_lo
	v_cmpx_gt_i32_e64 s1, v0
	s_cbranch_execnz .LBB123_19
.LBB123_13:
	s_or_b32 exec_lo, exec_lo, s0
	s_delay_alu instid0(SALU_CYCLE_1)
	s_mov_b32 s0, exec_lo
	v_cmpx_gt_i32_e64 s1, v0
	s_cbranch_execz .LBB123_15
.LBB123_14:
	s_wait_loadcnt 0x1
	v_dual_mul_f32 v1, s13, v14 :: v_dual_add_nc_u32 v0, s2, v0
	s_wait_loadcnt 0x0
	s_delay_alu instid0(VALU_DEP_1) | instskip(NEXT) | instid1(VALU_DEP_1)
	v_mul_f32_e32 v1, v1, v15
	v_fmac_f32_e32 v1, s12, v6
	global_store_b32 v0, v1, s[4:5] scale_offset
.LBB123_15:
	s_endpgm
.LBB123_16:
	v_add_nc_u32_e32 v13, s2, v13
	s_clause 0x2
	global_load_b32 v6, v13, s[6:7] scale_offset
	global_load_b32 v14, v13, s[8:9] scale_offset
	;; [unrolled: 1-line block ×3, first 2 shown]
	s_wait_xcnt 0x0
	s_or_b32 exec_lo, exec_lo, s3
	s_and_saveexec_b32 s0, vcc_lo
	s_cbranch_execz .LBB123_11
.LBB123_17:
	v_mov_b64_e32 v[16:17], s[12:13]
	v_mov_b32_e32 v0, v5
	s_wait_loadcnt 0x1
	s_delay_alu instid0(VALU_DEP_2) | instskip(SKIP_1) | instid1(VALU_DEP_1)
	v_pk_mul_f32 v[2:3], v[2:3], v[16:17]
	s_wait_loadcnt 0x0
	v_fmac_f32_e32 v2, v3, v7
	global_store_b32 v4, v2, s[4:5] scale_offset
	s_wait_xcnt 0x0
	s_or_b32 exec_lo, exec_lo, s0
	s_delay_alu instid0(SALU_CYCLE_1)
	s_mov_b32 s0, exec_lo
	v_cmpx_gt_i32_e64 s1, v0
	s_cbranch_execz .LBB123_12
.LBB123_18:
	s_wait_loadcnt 0x1
	v_mul_f32_e32 v2, s13, v8
	s_wait_loadcnt 0x0
	s_delay_alu instid0(VALU_DEP_1) | instskip(NEXT) | instid1(VALU_DEP_1)
	v_mul_f32_e32 v2, v2, v9
	v_dual_fmac_f32 v2, s12, v1 :: v_dual_add_nc_u32 v1, s2, v0
	v_add_nc_u32_e32 v0, 0x100, v0
	global_store_b32 v1, v2, s[4:5] scale_offset
	s_wait_xcnt 0x0
	s_or_b32 exec_lo, exec_lo, s0
	s_delay_alu instid0(SALU_CYCLE_1)
	s_mov_b32 s0, exec_lo
	v_cmpx_gt_i32_e64 s1, v0
	s_cbranch_execz .LBB123_13
.LBB123_19:
	s_wait_loadcnt 0x1
	v_dual_mul_f32 v1, s13, v11 :: v_dual_add_nc_u32 v2, s2, v0
	v_add_nc_u32_e32 v0, 0x100, v0
	s_wait_loadcnt 0x0
	s_delay_alu instid0(VALU_DEP_2) | instskip(NEXT) | instid1(VALU_DEP_1)
	v_mul_f32_e32 v1, v1, v12
	v_fmac_f32_e32 v1, s12, v10
	global_store_b32 v2, v1, s[4:5] scale_offset
	s_wait_xcnt 0x0
	s_or_b32 exec_lo, exec_lo, s0
	s_delay_alu instid0(SALU_CYCLE_1)
	s_mov_b32 s0, exec_lo
	v_cmpx_gt_i32_e64 s1, v0
	s_cbranch_execnz .LBB123_14
	s_branch .LBB123_15
	.section	.rodata,"a",@progbits
	.p2align	6, 0x0
	.amdhsa_kernel _ZN2at6native29vectorized_elementwise_kernelILi2EZZZNS0_12_GLOBAL__N_116addr_kernel_cudaERNS_14TensorIteratorERKN3c106ScalarES8_ENKUlvE_clEvENKUlvE5_clEvEUlfffE0_St5arrayIPcLm4EEEEviT0_T1_
		.amdhsa_group_segment_fixed_size 0
		.amdhsa_private_segment_fixed_size 0
		.amdhsa_kernarg_size 48
		.amdhsa_user_sgpr_count 2
		.amdhsa_user_sgpr_dispatch_ptr 0
		.amdhsa_user_sgpr_queue_ptr 0
		.amdhsa_user_sgpr_kernarg_segment_ptr 1
		.amdhsa_user_sgpr_dispatch_id 0
		.amdhsa_user_sgpr_kernarg_preload_length 0
		.amdhsa_user_sgpr_kernarg_preload_offset 0
		.amdhsa_user_sgpr_private_segment_size 0
		.amdhsa_wavefront_size32 1
		.amdhsa_uses_dynamic_stack 0
		.amdhsa_enable_private_segment 0
		.amdhsa_system_sgpr_workgroup_id_x 1
		.amdhsa_system_sgpr_workgroup_id_y 0
		.amdhsa_system_sgpr_workgroup_id_z 0
		.amdhsa_system_sgpr_workgroup_info 0
		.amdhsa_system_vgpr_workitem_id 0
		.amdhsa_next_free_vgpr 18
		.amdhsa_next_free_sgpr 19
		.amdhsa_named_barrier_count 0
		.amdhsa_reserve_vcc 1
		.amdhsa_float_round_mode_32 0
		.amdhsa_float_round_mode_16_64 0
		.amdhsa_float_denorm_mode_32 3
		.amdhsa_float_denorm_mode_16_64 3
		.amdhsa_fp16_overflow 0
		.amdhsa_memory_ordered 1
		.amdhsa_forward_progress 1
		.amdhsa_inst_pref_size 9
		.amdhsa_round_robin_scheduling 0
		.amdhsa_exception_fp_ieee_invalid_op 0
		.amdhsa_exception_fp_denorm_src 0
		.amdhsa_exception_fp_ieee_div_zero 0
		.amdhsa_exception_fp_ieee_overflow 0
		.amdhsa_exception_fp_ieee_underflow 0
		.amdhsa_exception_fp_ieee_inexact 0
		.amdhsa_exception_int_div_zero 0
	.end_amdhsa_kernel
	.section	.text._ZN2at6native29vectorized_elementwise_kernelILi2EZZZNS0_12_GLOBAL__N_116addr_kernel_cudaERNS_14TensorIteratorERKN3c106ScalarES8_ENKUlvE_clEvENKUlvE5_clEvEUlfffE0_St5arrayIPcLm4EEEEviT0_T1_,"axG",@progbits,_ZN2at6native29vectorized_elementwise_kernelILi2EZZZNS0_12_GLOBAL__N_116addr_kernel_cudaERNS_14TensorIteratorERKN3c106ScalarES8_ENKUlvE_clEvENKUlvE5_clEvEUlfffE0_St5arrayIPcLm4EEEEviT0_T1_,comdat
.Lfunc_end123:
	.size	_ZN2at6native29vectorized_elementwise_kernelILi2EZZZNS0_12_GLOBAL__N_116addr_kernel_cudaERNS_14TensorIteratorERKN3c106ScalarES8_ENKUlvE_clEvENKUlvE5_clEvEUlfffE0_St5arrayIPcLm4EEEEviT0_T1_, .Lfunc_end123-_ZN2at6native29vectorized_elementwise_kernelILi2EZZZNS0_12_GLOBAL__N_116addr_kernel_cudaERNS_14TensorIteratorERKN3c106ScalarES8_ENKUlvE_clEvENKUlvE5_clEvEUlfffE0_St5arrayIPcLm4EEEEviT0_T1_
                                        ; -- End function
	.set _ZN2at6native29vectorized_elementwise_kernelILi2EZZZNS0_12_GLOBAL__N_116addr_kernel_cudaERNS_14TensorIteratorERKN3c106ScalarES8_ENKUlvE_clEvENKUlvE5_clEvEUlfffE0_St5arrayIPcLm4EEEEviT0_T1_.num_vgpr, 18
	.set _ZN2at6native29vectorized_elementwise_kernelILi2EZZZNS0_12_GLOBAL__N_116addr_kernel_cudaERNS_14TensorIteratorERKN3c106ScalarES8_ENKUlvE_clEvENKUlvE5_clEvEUlfffE0_St5arrayIPcLm4EEEEviT0_T1_.num_agpr, 0
	.set _ZN2at6native29vectorized_elementwise_kernelILi2EZZZNS0_12_GLOBAL__N_116addr_kernel_cudaERNS_14TensorIteratorERKN3c106ScalarES8_ENKUlvE_clEvENKUlvE5_clEvEUlfffE0_St5arrayIPcLm4EEEEviT0_T1_.numbered_sgpr, 19
	.set _ZN2at6native29vectorized_elementwise_kernelILi2EZZZNS0_12_GLOBAL__N_116addr_kernel_cudaERNS_14TensorIteratorERKN3c106ScalarES8_ENKUlvE_clEvENKUlvE5_clEvEUlfffE0_St5arrayIPcLm4EEEEviT0_T1_.num_named_barrier, 0
	.set _ZN2at6native29vectorized_elementwise_kernelILi2EZZZNS0_12_GLOBAL__N_116addr_kernel_cudaERNS_14TensorIteratorERKN3c106ScalarES8_ENKUlvE_clEvENKUlvE5_clEvEUlfffE0_St5arrayIPcLm4EEEEviT0_T1_.private_seg_size, 0
	.set _ZN2at6native29vectorized_elementwise_kernelILi2EZZZNS0_12_GLOBAL__N_116addr_kernel_cudaERNS_14TensorIteratorERKN3c106ScalarES8_ENKUlvE_clEvENKUlvE5_clEvEUlfffE0_St5arrayIPcLm4EEEEviT0_T1_.uses_vcc, 1
	.set _ZN2at6native29vectorized_elementwise_kernelILi2EZZZNS0_12_GLOBAL__N_116addr_kernel_cudaERNS_14TensorIteratorERKN3c106ScalarES8_ENKUlvE_clEvENKUlvE5_clEvEUlfffE0_St5arrayIPcLm4EEEEviT0_T1_.uses_flat_scratch, 0
	.set _ZN2at6native29vectorized_elementwise_kernelILi2EZZZNS0_12_GLOBAL__N_116addr_kernel_cudaERNS_14TensorIteratorERKN3c106ScalarES8_ENKUlvE_clEvENKUlvE5_clEvEUlfffE0_St5arrayIPcLm4EEEEviT0_T1_.has_dyn_sized_stack, 0
	.set _ZN2at6native29vectorized_elementwise_kernelILi2EZZZNS0_12_GLOBAL__N_116addr_kernel_cudaERNS_14TensorIteratorERKN3c106ScalarES8_ENKUlvE_clEvENKUlvE5_clEvEUlfffE0_St5arrayIPcLm4EEEEviT0_T1_.has_recursion, 0
	.set _ZN2at6native29vectorized_elementwise_kernelILi2EZZZNS0_12_GLOBAL__N_116addr_kernel_cudaERNS_14TensorIteratorERKN3c106ScalarES8_ENKUlvE_clEvENKUlvE5_clEvEUlfffE0_St5arrayIPcLm4EEEEviT0_T1_.has_indirect_call, 0
	.section	.AMDGPU.csdata,"",@progbits
; Kernel info:
; codeLenInByte = 1072
; TotalNumSgprs: 21
; NumVgprs: 18
; ScratchSize: 0
; MemoryBound: 0
; FloatMode: 240
; IeeeMode: 1
; LDSByteSize: 0 bytes/workgroup (compile time only)
; SGPRBlocks: 0
; VGPRBlocks: 1
; NumSGPRsForWavesPerEU: 21
; NumVGPRsForWavesPerEU: 18
; NamedBarCnt: 0
; Occupancy: 16
; WaveLimiterHint : 1
; COMPUTE_PGM_RSRC2:SCRATCH_EN: 0
; COMPUTE_PGM_RSRC2:USER_SGPR: 2
; COMPUTE_PGM_RSRC2:TRAP_HANDLER: 0
; COMPUTE_PGM_RSRC2:TGID_X_EN: 1
; COMPUTE_PGM_RSRC2:TGID_Y_EN: 0
; COMPUTE_PGM_RSRC2:TGID_Z_EN: 0
; COMPUTE_PGM_RSRC2:TIDIG_COMP_CNT: 0
	.section	.text._ZN2at6native27unrolled_elementwise_kernelIZZZNS0_12_GLOBAL__N_116addr_kernel_cudaERNS_14TensorIteratorERKN3c106ScalarES8_ENKUlvE_clEvENKUlvE5_clEvEUlfffE0_St5arrayIPcLm4EELi4E23TrivialOffsetCalculatorILi3EjESF_ILi1EjENS0_6memory15LoadWithoutCastENSI_16StoreWithoutCastEEEviT_T0_T2_T3_T4_T5_,"axG",@progbits,_ZN2at6native27unrolled_elementwise_kernelIZZZNS0_12_GLOBAL__N_116addr_kernel_cudaERNS_14TensorIteratorERKN3c106ScalarES8_ENKUlvE_clEvENKUlvE5_clEvEUlfffE0_St5arrayIPcLm4EELi4E23TrivialOffsetCalculatorILi3EjESF_ILi1EjENS0_6memory15LoadWithoutCastENSI_16StoreWithoutCastEEEviT_T0_T2_T3_T4_T5_,comdat
	.globl	_ZN2at6native27unrolled_elementwise_kernelIZZZNS0_12_GLOBAL__N_116addr_kernel_cudaERNS_14TensorIteratorERKN3c106ScalarES8_ENKUlvE_clEvENKUlvE5_clEvEUlfffE0_St5arrayIPcLm4EELi4E23TrivialOffsetCalculatorILi3EjESF_ILi1EjENS0_6memory15LoadWithoutCastENSI_16StoreWithoutCastEEEviT_T0_T2_T3_T4_T5_ ; -- Begin function _ZN2at6native27unrolled_elementwise_kernelIZZZNS0_12_GLOBAL__N_116addr_kernel_cudaERNS_14TensorIteratorERKN3c106ScalarES8_ENKUlvE_clEvENKUlvE5_clEvEUlfffE0_St5arrayIPcLm4EELi4E23TrivialOffsetCalculatorILi3EjESF_ILi1EjENS0_6memory15LoadWithoutCastENSI_16StoreWithoutCastEEEviT_T0_T2_T3_T4_T5_
	.p2align	8
	.type	_ZN2at6native27unrolled_elementwise_kernelIZZZNS0_12_GLOBAL__N_116addr_kernel_cudaERNS_14TensorIteratorERKN3c106ScalarES8_ENKUlvE_clEvENKUlvE5_clEvEUlfffE0_St5arrayIPcLm4EELi4E23TrivialOffsetCalculatorILi3EjESF_ILi1EjENS0_6memory15LoadWithoutCastENSI_16StoreWithoutCastEEEviT_T0_T2_T3_T4_T5_,@function
_ZN2at6native27unrolled_elementwise_kernelIZZZNS0_12_GLOBAL__N_116addr_kernel_cudaERNS_14TensorIteratorERKN3c106ScalarES8_ENKUlvE_clEvENKUlvE5_clEvEUlfffE0_St5arrayIPcLm4EELi4E23TrivialOffsetCalculatorILi3EjESF_ILi1EjENS0_6memory15LoadWithoutCastENSI_16StoreWithoutCastEEEviT_T0_T2_T3_T4_T5_: ; @_ZN2at6native27unrolled_elementwise_kernelIZZZNS0_12_GLOBAL__N_116addr_kernel_cudaERNS_14TensorIteratorERKN3c106ScalarES8_ENKUlvE_clEvENKUlvE5_clEvEUlfffE0_St5arrayIPcLm4EELi4E23TrivialOffsetCalculatorILi3EjESF_ILi1EjENS0_6memory15LoadWithoutCastENSI_16StoreWithoutCastEEEviT_T0_T2_T3_T4_T5_
; %bb.0:
	s_load_b96 s[12:14], s[0:1], 0x0
	s_bfe_u32 s3, ttmp6, 0x4000c
	s_load_b256 s[4:11], s[0:1], 0x10
	s_add_co_i32 s3, s3, 1
	s_and_b32 s2, ttmp6, 15
	s_wait_xcnt 0x0
	s_mul_i32 s0, ttmp9, s3
	s_getreg_b32 s15, hwreg(HW_REG_IB_STS2, 6, 4)
	s_add_co_i32 s2, s2, s0
	s_cmp_eq_u32 s15, 0
	v_dual_mov_b32 v1, 0 :: v_dual_mov_b32 v5, 0
	s_cselect_b32 s0, ttmp9, s2
	v_dual_mov_b32 v2, 0 :: v_dual_mov_b32 v15, v0
	s_lshl_b32 s2, s0, 10
	v_or_b32_e32 v4, 0x100, v0
	v_dual_mov_b32 v3, 0 :: v_dual_bitop2_b32 v7, s2, v0 bitop3:0x54
	s_wait_kmcnt 0x0
	s_sub_co_i32 s3, s12, s2
	s_delay_alu instid0(SALU_CYCLE_1)
	v_cmp_gt_i32_e32 vcc_lo, s3, v0
	s_and_saveexec_b32 s0, vcc_lo
	s_cbranch_execz .LBB124_2
; %bb.1:
	s_clause 0x2
	global_load_b32 v2, v7, s[6:7] scale_offset
	global_load_b32 v3, v7, s[8:9] scale_offset
	;; [unrolled: 1-line block ×3, first 2 shown]
	v_or_b32_e32 v15, 0x100, v0
.LBB124_2:
	s_wait_xcnt 0x0
	s_or_b32 exec_lo, exec_lo, s0
	v_dual_mov_b32 v8, 0 :: v_dual_mov_b32 v9, 0
	s_mov_b32 s1, exec_lo
	v_cmpx_gt_i32_e64 s3, v15
	s_cbranch_execz .LBB124_4
; %bb.3:
	v_add_nc_u32_e32 v6, s2, v15
	v_add_nc_u32_e32 v15, 0x100, v15
	s_clause 0x2
	global_load_b32 v1, v6, s[6:7] scale_offset
	global_load_b32 v8, v6, s[8:9] scale_offset
	global_load_b32 v9, v6, s[10:11] scale_offset
.LBB124_4:
	s_wait_xcnt 0x0
	s_or_b32 exec_lo, exec_lo, s1
	v_dual_mov_b32 v6, 0 :: v_dual_mov_b32 v10, 0
	v_dual_mov_b32 v11, 0 :: v_dual_mov_b32 v12, 0
	s_mov_b32 s1, exec_lo
	v_cmpx_gt_i32_e64 s3, v15
	s_cbranch_execz .LBB124_6
; %bb.5:
	v_add_nc_u32_e32 v13, s2, v15
	v_add_nc_u32_e32 v15, 0x100, v15
	s_clause 0x2
	global_load_b32 v10, v13, s[6:7] scale_offset
	global_load_b32 v11, v13, s[8:9] scale_offset
	;; [unrolled: 1-line block ×3, first 2 shown]
.LBB124_6:
	s_wait_xcnt 0x0
	s_or_b32 exec_lo, exec_lo, s1
	v_dual_mov_b32 v13, 0 :: v_dual_mov_b32 v14, 0
	s_mov_b32 s1, exec_lo
	v_cmpx_gt_i32_e64 s3, v15
	s_cbranch_execnz .LBB124_12
; %bb.7:
	s_or_b32 exec_lo, exec_lo, s1
	s_and_saveexec_b32 s6, vcc_lo
	s_cbranch_execnz .LBB124_13
.LBB124_8:
	s_or_b32 exec_lo, exec_lo, s6
	s_delay_alu instid0(SALU_CYCLE_1)
	s_mov_b32 s0, exec_lo
	v_cmpx_gt_i32_e64 s3, v0
	s_cbranch_execnz .LBB124_14
.LBB124_9:
	s_or_b32 exec_lo, exec_lo, s0
	s_delay_alu instid0(SALU_CYCLE_1)
	s_mov_b32 s0, exec_lo
	v_cmpx_gt_i32_e64 s3, v0
	s_cbranch_execnz .LBB124_15
.LBB124_10:
	s_or_b32 exec_lo, exec_lo, s0
	s_delay_alu instid0(SALU_CYCLE_1)
	s_mov_b32 s0, exec_lo
	v_cmpx_gt_i32_e64 s3, v0
	s_cbranch_execnz .LBB124_16
.LBB124_11:
	s_endpgm
.LBB124_12:
	v_add_nc_u32_e32 v15, s2, v15
	s_clause 0x2
	global_load_b32 v6, v15, s[6:7] scale_offset
	global_load_b32 v13, v15, s[8:9] scale_offset
	;; [unrolled: 1-line block ×3, first 2 shown]
	s_wait_xcnt 0x0
	s_or_b32 exec_lo, exec_lo, s1
	s_and_saveexec_b32 s6, vcc_lo
	s_cbranch_execz .LBB124_8
.LBB124_13:
	s_mov_b32 s0, s13
	s_mov_b32 s1, s14
	v_mov_b32_e32 v0, v4
	v_mov_b64_e32 v[16:17], s[0:1]
	s_wait_loadcnt 0x1
	s_delay_alu instid0(VALU_DEP_1) | instskip(SKIP_1) | instid1(VALU_DEP_1)
	v_pk_mul_f32 v[2:3], v[16:17], v[2:3]
	s_wait_loadcnt 0x0
	v_fmac_f32_e32 v2, v3, v5
	global_store_b32 v7, v2, s[4:5] scale_offset
	s_wait_xcnt 0x0
	s_or_b32 exec_lo, exec_lo, s6
	s_delay_alu instid0(SALU_CYCLE_1)
	s_mov_b32 s0, exec_lo
	v_cmpx_gt_i32_e64 s3, v0
	s_cbranch_execz .LBB124_9
.LBB124_14:
	s_wait_loadcnt 0x1
	v_add_nc_u32_e32 v3, 0x100, v0
	v_mul_f32_e32 v2, s14, v8
	s_wait_loadcnt 0x0
	s_delay_alu instid0(VALU_DEP_1) | instskip(NEXT) | instid1(VALU_DEP_1)
	v_mul_f32_e32 v2, v2, v9
	v_dual_fmac_f32 v2, s13, v1 :: v_dual_add_nc_u32 v1, s2, v0
	v_mov_b32_e32 v0, v3
	global_store_b32 v1, v2, s[4:5] scale_offset
	s_wait_xcnt 0x0
	s_or_b32 exec_lo, exec_lo, s0
	s_delay_alu instid0(SALU_CYCLE_1)
	s_mov_b32 s0, exec_lo
	v_cmpx_gt_i32_e64 s3, v0
	s_cbranch_execz .LBB124_10
.LBB124_15:
	s_wait_loadcnt 0x1
	v_dual_mul_f32 v1, s14, v11 :: v_dual_add_nc_u32 v2, 0x100, v0
	v_add_nc_u32_e32 v3, s2, v0
	s_wait_loadcnt 0x0
	s_delay_alu instid0(VALU_DEP_2) | instskip(NEXT) | instid1(VALU_DEP_1)
	v_dual_mul_f32 v1, v1, v12 :: v_dual_mov_b32 v0, v2
	v_fmac_f32_e32 v1, s13, v10
	global_store_b32 v3, v1, s[4:5] scale_offset
	s_wait_xcnt 0x0
	s_or_b32 exec_lo, exec_lo, s0
	s_delay_alu instid0(SALU_CYCLE_1)
	s_mov_b32 s0, exec_lo
	v_cmpx_gt_i32_e64 s3, v0
	s_cbranch_execz .LBB124_11
.LBB124_16:
	s_wait_loadcnt 0x1
	v_dual_mul_f32 v1, s14, v13 :: v_dual_add_nc_u32 v0, s2, v0
	s_wait_loadcnt 0x0
	s_delay_alu instid0(VALU_DEP_1) | instskip(NEXT) | instid1(VALU_DEP_1)
	v_mul_f32_e32 v1, v1, v14
	v_fmac_f32_e32 v1, s13, v6
	global_store_b32 v0, v1, s[4:5] scale_offset
	s_endpgm
	.section	.rodata,"a",@progbits
	.p2align	6, 0x0
	.amdhsa_kernel _ZN2at6native27unrolled_elementwise_kernelIZZZNS0_12_GLOBAL__N_116addr_kernel_cudaERNS_14TensorIteratorERKN3c106ScalarES8_ENKUlvE_clEvENKUlvE5_clEvEUlfffE0_St5arrayIPcLm4EELi4E23TrivialOffsetCalculatorILi3EjESF_ILi1EjENS0_6memory15LoadWithoutCastENSI_16StoreWithoutCastEEEviT_T0_T2_T3_T4_T5_
		.amdhsa_group_segment_fixed_size 0
		.amdhsa_private_segment_fixed_size 0
		.amdhsa_kernarg_size 52
		.amdhsa_user_sgpr_count 2
		.amdhsa_user_sgpr_dispatch_ptr 0
		.amdhsa_user_sgpr_queue_ptr 0
		.amdhsa_user_sgpr_kernarg_segment_ptr 1
		.amdhsa_user_sgpr_dispatch_id 0
		.amdhsa_user_sgpr_kernarg_preload_length 0
		.amdhsa_user_sgpr_kernarg_preload_offset 0
		.amdhsa_user_sgpr_private_segment_size 0
		.amdhsa_wavefront_size32 1
		.amdhsa_uses_dynamic_stack 0
		.amdhsa_enable_private_segment 0
		.amdhsa_system_sgpr_workgroup_id_x 1
		.amdhsa_system_sgpr_workgroup_id_y 0
		.amdhsa_system_sgpr_workgroup_id_z 0
		.amdhsa_system_sgpr_workgroup_info 0
		.amdhsa_system_vgpr_workitem_id 0
		.amdhsa_next_free_vgpr 18
		.amdhsa_next_free_sgpr 16
		.amdhsa_named_barrier_count 0
		.amdhsa_reserve_vcc 1
		.amdhsa_float_round_mode_32 0
		.amdhsa_float_round_mode_16_64 0
		.amdhsa_float_denorm_mode_32 3
		.amdhsa_float_denorm_mode_16_64 3
		.amdhsa_fp16_overflow 0
		.amdhsa_memory_ordered 1
		.amdhsa_forward_progress 1
		.amdhsa_inst_pref_size 7
		.amdhsa_round_robin_scheduling 0
		.amdhsa_exception_fp_ieee_invalid_op 0
		.amdhsa_exception_fp_denorm_src 0
		.amdhsa_exception_fp_ieee_div_zero 0
		.amdhsa_exception_fp_ieee_overflow 0
		.amdhsa_exception_fp_ieee_underflow 0
		.amdhsa_exception_fp_ieee_inexact 0
		.amdhsa_exception_int_div_zero 0
	.end_amdhsa_kernel
	.section	.text._ZN2at6native27unrolled_elementwise_kernelIZZZNS0_12_GLOBAL__N_116addr_kernel_cudaERNS_14TensorIteratorERKN3c106ScalarES8_ENKUlvE_clEvENKUlvE5_clEvEUlfffE0_St5arrayIPcLm4EELi4E23TrivialOffsetCalculatorILi3EjESF_ILi1EjENS0_6memory15LoadWithoutCastENSI_16StoreWithoutCastEEEviT_T0_T2_T3_T4_T5_,"axG",@progbits,_ZN2at6native27unrolled_elementwise_kernelIZZZNS0_12_GLOBAL__N_116addr_kernel_cudaERNS_14TensorIteratorERKN3c106ScalarES8_ENKUlvE_clEvENKUlvE5_clEvEUlfffE0_St5arrayIPcLm4EELi4E23TrivialOffsetCalculatorILi3EjESF_ILi1EjENS0_6memory15LoadWithoutCastENSI_16StoreWithoutCastEEEviT_T0_T2_T3_T4_T5_,comdat
.Lfunc_end124:
	.size	_ZN2at6native27unrolled_elementwise_kernelIZZZNS0_12_GLOBAL__N_116addr_kernel_cudaERNS_14TensorIteratorERKN3c106ScalarES8_ENKUlvE_clEvENKUlvE5_clEvEUlfffE0_St5arrayIPcLm4EELi4E23TrivialOffsetCalculatorILi3EjESF_ILi1EjENS0_6memory15LoadWithoutCastENSI_16StoreWithoutCastEEEviT_T0_T2_T3_T4_T5_, .Lfunc_end124-_ZN2at6native27unrolled_elementwise_kernelIZZZNS0_12_GLOBAL__N_116addr_kernel_cudaERNS_14TensorIteratorERKN3c106ScalarES8_ENKUlvE_clEvENKUlvE5_clEvEUlfffE0_St5arrayIPcLm4EELi4E23TrivialOffsetCalculatorILi3EjESF_ILi1EjENS0_6memory15LoadWithoutCastENSI_16StoreWithoutCastEEEviT_T0_T2_T3_T4_T5_
                                        ; -- End function
	.set _ZN2at6native27unrolled_elementwise_kernelIZZZNS0_12_GLOBAL__N_116addr_kernel_cudaERNS_14TensorIteratorERKN3c106ScalarES8_ENKUlvE_clEvENKUlvE5_clEvEUlfffE0_St5arrayIPcLm4EELi4E23TrivialOffsetCalculatorILi3EjESF_ILi1EjENS0_6memory15LoadWithoutCastENSI_16StoreWithoutCastEEEviT_T0_T2_T3_T4_T5_.num_vgpr, 18
	.set _ZN2at6native27unrolled_elementwise_kernelIZZZNS0_12_GLOBAL__N_116addr_kernel_cudaERNS_14TensorIteratorERKN3c106ScalarES8_ENKUlvE_clEvENKUlvE5_clEvEUlfffE0_St5arrayIPcLm4EELi4E23TrivialOffsetCalculatorILi3EjESF_ILi1EjENS0_6memory15LoadWithoutCastENSI_16StoreWithoutCastEEEviT_T0_T2_T3_T4_T5_.num_agpr, 0
	.set _ZN2at6native27unrolled_elementwise_kernelIZZZNS0_12_GLOBAL__N_116addr_kernel_cudaERNS_14TensorIteratorERKN3c106ScalarES8_ENKUlvE_clEvENKUlvE5_clEvEUlfffE0_St5arrayIPcLm4EELi4E23TrivialOffsetCalculatorILi3EjESF_ILi1EjENS0_6memory15LoadWithoutCastENSI_16StoreWithoutCastEEEviT_T0_T2_T3_T4_T5_.numbered_sgpr, 16
	.set _ZN2at6native27unrolled_elementwise_kernelIZZZNS0_12_GLOBAL__N_116addr_kernel_cudaERNS_14TensorIteratorERKN3c106ScalarES8_ENKUlvE_clEvENKUlvE5_clEvEUlfffE0_St5arrayIPcLm4EELi4E23TrivialOffsetCalculatorILi3EjESF_ILi1EjENS0_6memory15LoadWithoutCastENSI_16StoreWithoutCastEEEviT_T0_T2_T3_T4_T5_.num_named_barrier, 0
	.set _ZN2at6native27unrolled_elementwise_kernelIZZZNS0_12_GLOBAL__N_116addr_kernel_cudaERNS_14TensorIteratorERKN3c106ScalarES8_ENKUlvE_clEvENKUlvE5_clEvEUlfffE0_St5arrayIPcLm4EELi4E23TrivialOffsetCalculatorILi3EjESF_ILi1EjENS0_6memory15LoadWithoutCastENSI_16StoreWithoutCastEEEviT_T0_T2_T3_T4_T5_.private_seg_size, 0
	.set _ZN2at6native27unrolled_elementwise_kernelIZZZNS0_12_GLOBAL__N_116addr_kernel_cudaERNS_14TensorIteratorERKN3c106ScalarES8_ENKUlvE_clEvENKUlvE5_clEvEUlfffE0_St5arrayIPcLm4EELi4E23TrivialOffsetCalculatorILi3EjESF_ILi1EjENS0_6memory15LoadWithoutCastENSI_16StoreWithoutCastEEEviT_T0_T2_T3_T4_T5_.uses_vcc, 1
	.set _ZN2at6native27unrolled_elementwise_kernelIZZZNS0_12_GLOBAL__N_116addr_kernel_cudaERNS_14TensorIteratorERKN3c106ScalarES8_ENKUlvE_clEvENKUlvE5_clEvEUlfffE0_St5arrayIPcLm4EELi4E23TrivialOffsetCalculatorILi3EjESF_ILi1EjENS0_6memory15LoadWithoutCastENSI_16StoreWithoutCastEEEviT_T0_T2_T3_T4_T5_.uses_flat_scratch, 0
	.set _ZN2at6native27unrolled_elementwise_kernelIZZZNS0_12_GLOBAL__N_116addr_kernel_cudaERNS_14TensorIteratorERKN3c106ScalarES8_ENKUlvE_clEvENKUlvE5_clEvEUlfffE0_St5arrayIPcLm4EELi4E23TrivialOffsetCalculatorILi3EjESF_ILi1EjENS0_6memory15LoadWithoutCastENSI_16StoreWithoutCastEEEviT_T0_T2_T3_T4_T5_.has_dyn_sized_stack, 0
	.set _ZN2at6native27unrolled_elementwise_kernelIZZZNS0_12_GLOBAL__N_116addr_kernel_cudaERNS_14TensorIteratorERKN3c106ScalarES8_ENKUlvE_clEvENKUlvE5_clEvEUlfffE0_St5arrayIPcLm4EELi4E23TrivialOffsetCalculatorILi3EjESF_ILi1EjENS0_6memory15LoadWithoutCastENSI_16StoreWithoutCastEEEviT_T0_T2_T3_T4_T5_.has_recursion, 0
	.set _ZN2at6native27unrolled_elementwise_kernelIZZZNS0_12_GLOBAL__N_116addr_kernel_cudaERNS_14TensorIteratorERKN3c106ScalarES8_ENKUlvE_clEvENKUlvE5_clEvEUlfffE0_St5arrayIPcLm4EELi4E23TrivialOffsetCalculatorILi3EjESF_ILi1EjENS0_6memory15LoadWithoutCastENSI_16StoreWithoutCastEEEviT_T0_T2_T3_T4_T5_.has_indirect_call, 0
	.section	.AMDGPU.csdata,"",@progbits
; Kernel info:
; codeLenInByte = 816
; TotalNumSgprs: 18
; NumVgprs: 18
; ScratchSize: 0
; MemoryBound: 0
; FloatMode: 240
; IeeeMode: 1
; LDSByteSize: 0 bytes/workgroup (compile time only)
; SGPRBlocks: 0
; VGPRBlocks: 1
; NumSGPRsForWavesPerEU: 18
; NumVGPRsForWavesPerEU: 18
; NamedBarCnt: 0
; Occupancy: 16
; WaveLimiterHint : 0
; COMPUTE_PGM_RSRC2:SCRATCH_EN: 0
; COMPUTE_PGM_RSRC2:USER_SGPR: 2
; COMPUTE_PGM_RSRC2:TRAP_HANDLER: 0
; COMPUTE_PGM_RSRC2:TGID_X_EN: 1
; COMPUTE_PGM_RSRC2:TGID_Y_EN: 0
; COMPUTE_PGM_RSRC2:TGID_Z_EN: 0
; COMPUTE_PGM_RSRC2:TIDIG_COMP_CNT: 0
	.section	.text._ZN2at6native32elementwise_kernel_manual_unrollILi128ELi4EZNS0_22gpu_kernel_impl_nocastIZZZNS0_12_GLOBAL__N_116addr_kernel_cudaERNS_14TensorIteratorERKN3c106ScalarES9_ENKUlvE_clEvENKUlvE5_clEvEUlfffE0_EEvRNS_18TensorIteratorBaseERKT_EUlibE_EEviT1_,"axG",@progbits,_ZN2at6native32elementwise_kernel_manual_unrollILi128ELi4EZNS0_22gpu_kernel_impl_nocastIZZZNS0_12_GLOBAL__N_116addr_kernel_cudaERNS_14TensorIteratorERKN3c106ScalarES9_ENKUlvE_clEvENKUlvE5_clEvEUlfffE0_EEvRNS_18TensorIteratorBaseERKT_EUlibE_EEviT1_,comdat
	.globl	_ZN2at6native32elementwise_kernel_manual_unrollILi128ELi4EZNS0_22gpu_kernel_impl_nocastIZZZNS0_12_GLOBAL__N_116addr_kernel_cudaERNS_14TensorIteratorERKN3c106ScalarES9_ENKUlvE_clEvENKUlvE5_clEvEUlfffE0_EEvRNS_18TensorIteratorBaseERKT_EUlibE_EEviT1_ ; -- Begin function _ZN2at6native32elementwise_kernel_manual_unrollILi128ELi4EZNS0_22gpu_kernel_impl_nocastIZZZNS0_12_GLOBAL__N_116addr_kernel_cudaERNS_14TensorIteratorERKN3c106ScalarES9_ENKUlvE_clEvENKUlvE5_clEvEUlfffE0_EEvRNS_18TensorIteratorBaseERKT_EUlibE_EEviT1_
	.p2align	8
	.type	_ZN2at6native32elementwise_kernel_manual_unrollILi128ELi4EZNS0_22gpu_kernel_impl_nocastIZZZNS0_12_GLOBAL__N_116addr_kernel_cudaERNS_14TensorIteratorERKN3c106ScalarES9_ENKUlvE_clEvENKUlvE5_clEvEUlfffE0_EEvRNS_18TensorIteratorBaseERKT_EUlibE_EEviT1_,@function
_ZN2at6native32elementwise_kernel_manual_unrollILi128ELi4EZNS0_22gpu_kernel_impl_nocastIZZZNS0_12_GLOBAL__N_116addr_kernel_cudaERNS_14TensorIteratorERKN3c106ScalarES9_ENKUlvE_clEvENKUlvE5_clEvEUlfffE0_EEvRNS_18TensorIteratorBaseERKT_EUlibE_EEviT1_: ; @_ZN2at6native32elementwise_kernel_manual_unrollILi128ELi4EZNS0_22gpu_kernel_impl_nocastIZZZNS0_12_GLOBAL__N_116addr_kernel_cudaERNS_14TensorIteratorERKN3c106ScalarES9_ENKUlvE_clEvENKUlvE5_clEvEUlfffE0_EEvRNS_18TensorIteratorBaseERKT_EUlibE_EEviT1_
; %bb.0:
	s_clause 0x1
	s_load_b32 s33, s[0:1], 0x8
	s_load_b32 s41, s[0:1], 0x0
	s_bfe_u32 s2, ttmp6, 0x4000c
	s_and_b32 s3, ttmp6, 15
	s_add_co_i32 s2, s2, 1
	s_getreg_b32 s4, hwreg(HW_REG_IB_STS2, 6, 4)
	s_mul_i32 s2, ttmp9, s2
	s_add_nc_u64 s[20:21], s[0:1], 8
	s_add_co_i32 s3, s3, s2
	s_cmp_eq_u32 s4, 0
	s_mov_b32 s27, 0
	s_cselect_b32 s2, ttmp9, s3
	s_wait_xcnt 0x0
	s_mov_b32 s0, exec_lo
	v_lshl_or_b32 v0, s2, 9, v0
	s_delay_alu instid0(VALU_DEP_1) | instskip(SKIP_2) | instid1(SALU_CYCLE_1)
	v_or_b32_e32 v5, 0x180, v0
	s_wait_kmcnt 0x0
	s_add_co_i32 s36, s33, -1
	s_cmp_gt_u32 s36, 1
	s_cselect_b32 s37, -1, 0
	v_cmpx_le_i32_e64 s41, v5
	s_xor_b32 s38, exec_lo, s0
	s_cbranch_execz .LBB125_54
; %bb.1:
	s_clause 0x4
	s_load_b128 s[16:19], s[20:21], 0x4
	s_load_b64 s[24:25], s[20:21], 0x14
	s_load_b256 s[8:15], s[20:21], 0xc4
	s_load_b256 s[0:7], s[20:21], 0x1c8
	s_load_b64 s[22:23], s[20:21], 0x1e8
	s_cmp_lg_u32 s33, 0
	s_mov_b32 s29, s27
	s_cselect_b32 s42, -1, 0
	s_min_u32 s40, s36, 15
	s_cmp_gt_u32 s33, 1
	s_cselect_b32 s39, -1, 0
	s_wait_kmcnt 0x0
	s_mov_b32 s26, s17
	s_mov_b32 s28, s24
	s_mov_b32 s17, exec_lo
	v_cmpx_gt_i32_e64 s41, v0
	s_cbranch_execnz .LBB125_5
; %bb.2:
	s_or_b32 exec_lo, exec_lo, s17
	s_delay_alu instid0(SALU_CYCLE_1)
	s_mov_b32 s17, exec_lo
	v_cmpx_gt_i32_e64 s41, v0
	s_cbranch_execnz .LBB125_17
.LBB125_3:
	s_or_b32 exec_lo, exec_lo, s17
	s_delay_alu instid0(SALU_CYCLE_1)
	s_mov_b32 s17, exec_lo
	v_cmpx_gt_i32_e64 s41, v0
	s_cbranch_execnz .LBB125_29
.LBB125_4:
	s_or_b32 exec_lo, exec_lo, s17
	s_delay_alu instid0(SALU_CYCLE_1)
	s_mov_b32 s17, exec_lo
	v_cmpx_gt_i32_e64 s41, v0
	s_cbranch_execnz .LBB125_41
	s_branch .LBB125_53
.LBB125_5:
	s_and_not1_b32 vcc_lo, exec_lo, s37
	s_cbranch_vccnz .LBB125_11
; %bb.6:
	s_and_not1_b32 vcc_lo, exec_lo, s42
	s_cbranch_vccnz .LBB125_12
; %bb.7:
	v_dual_mov_b32 v6, 0 :: v_dual_mov_b32 v1, v0
	v_dual_mov_b32 v7, 0 :: v_dual_mov_b32 v4, 0
	v_mov_b32_e32 v5, 0
	s_add_co_i32 s24, s40, 1
	s_mov_b64 s[30:31], 0xffffffffffffffe0
	s_and_b32 s24, s24, 30
	s_add_nc_u64 s[30:31], s[20:21], s[30:31]
	s_mov_b64 s[34:35], s[20:21]
.LBB125_8:                              ; =>This Inner Loop Header: Depth=1
	s_clause 0x1
	s_load_b128 s[52:55], s[34:35], 0x4
	s_load_b64 s[56:57], s[34:35], 0x14
	s_load_b256 s[44:51], s[30:31], 0xe4
	s_add_co_i32 s24, s24, -2
	s_wait_xcnt 0x0
	s_add_nc_u64 s[34:35], s[34:35], 24
	s_cmp_lg_u32 s24, 0
	s_add_nc_u64 s[30:31], s[30:31], 32
	s_wait_kmcnt 0x0
	v_mul_hi_u32 v2, s53, v1
	s_delay_alu instid0(VALU_DEP_1) | instskip(NEXT) | instid1(VALU_DEP_1)
	v_add_nc_u32_e32 v2, v1, v2
	v_lshrrev_b32_e32 v2, s54, v2
	s_delay_alu instid0(VALU_DEP_1) | instskip(SKIP_1) | instid1(VALU_DEP_1)
	v_mul_hi_u32 v3, s56, v2
	v_mul_lo_u32 v8, v2, s52
	v_dual_add_nc_u32 v3, v2, v3 :: v_dual_sub_nc_u32 v8, v1, v8
	s_delay_alu instid0(VALU_DEP_1) | instskip(NEXT) | instid1(VALU_DEP_2)
	v_lshrrev_b32_e32 v1, s57, v3
	v_mad_u32 v5, v8, s45, v5
	v_mad_u32 v4, v8, s44, v4
	;; [unrolled: 1-line block ×4, first 2 shown]
	v_mul_lo_u32 v3, v1, s55
	s_delay_alu instid0(VALU_DEP_1) | instskip(NEXT) | instid1(VALU_DEP_1)
	v_sub_nc_u32_e32 v2, v2, v3
	v_mad_u32 v5, v2, s49, v5
	v_mad_u32 v4, v2, s48, v4
	;; [unrolled: 1-line block ×4, first 2 shown]
	s_cbranch_scc1 .LBB125_8
; %bb.9:
	s_bitcmp1_b32 s40, 0
	s_cselect_b32 s24, -1, 0
	s_delay_alu instid0(SALU_CYCLE_1)
	s_and_b32 vcc_lo, exec_lo, s24
	s_cbranch_vccnz .LBB125_13
; %bb.10:
	s_load_b96 s[48:50], s[34:35], 0x4
	s_load_b128 s[44:47], s[30:31], 0xe4
	s_wait_kmcnt 0x0
	v_mul_hi_u32 v2, s49, v1
	s_delay_alu instid0(VALU_DEP_1) | instskip(NEXT) | instid1(VALU_DEP_1)
	v_add_nc_u32_e32 v2, v1, v2
	v_lshrrev_b32_e32 v2, s50, v2
	s_delay_alu instid0(VALU_DEP_1) | instskip(NEXT) | instid1(VALU_DEP_1)
	v_mul_lo_u32 v2, v2, s48
	v_sub_nc_u32_e32 v1, v1, v2
	s_delay_alu instid0(VALU_DEP_1)
	v_mad_u32 v4, v1, s44, v4
	v_mad_u32 v5, v1, s45, v5
	v_mad_u32 v6, v1, s46, v6
	v_mad_u32 v7, v1, s47, v7
	s_cbranch_execz .LBB125_14
	s_branch .LBB125_16
.LBB125_11:
                                        ; implicit-def: $vgpr5
                                        ; implicit-def: $vgpr4
                                        ; implicit-def: $vgpr7
                                        ; implicit-def: $vgpr6
	s_branch .LBB125_14
.LBB125_12:
	v_dual_mov_b32 v5, 0 :: v_dual_mov_b32 v4, 0
	v_dual_mov_b32 v7, 0 :: v_dual_mov_b32 v6, 0
.LBB125_13:
	s_cbranch_execnz .LBB125_16
.LBB125_14:
	v_mov_b32_e32 v1, 0
	s_and_not1_b32 vcc_lo, exec_lo, s39
	s_delay_alu instid0(VALU_DEP_1) | instskip(NEXT) | instid1(VALU_DEP_1)
	v_mul_u64_e32 v[2:3], s[26:27], v[0:1]
	v_add_nc_u32_e32 v2, v0, v3
	s_delay_alu instid0(VALU_DEP_1) | instskip(NEXT) | instid1(VALU_DEP_1)
	v_lshrrev_b32_e32 v2, s18, v2
	v_mul_lo_u32 v3, v2, s16
	s_delay_alu instid0(VALU_DEP_1) | instskip(NEXT) | instid1(VALU_DEP_1)
	v_sub_nc_u32_e32 v3, v0, v3
	v_mul_lo_u32 v5, v3, s9
	v_mul_lo_u32 v4, v3, s8
	;; [unrolled: 1-line block ×4, first 2 shown]
	s_cbranch_vccnz .LBB125_16
; %bb.15:
	v_mov_b32_e32 v3, v1
	s_delay_alu instid0(VALU_DEP_1) | instskip(NEXT) | instid1(VALU_DEP_1)
	v_mul_u64_e32 v[8:9], s[28:29], v[2:3]
	v_add_nc_u32_e32 v1, v2, v9
	s_delay_alu instid0(VALU_DEP_1) | instskip(NEXT) | instid1(VALU_DEP_1)
	v_lshrrev_b32_e32 v1, s25, v1
	v_mul_lo_u32 v1, v1, s19
	s_delay_alu instid0(VALU_DEP_1) | instskip(NEXT) | instid1(VALU_DEP_1)
	v_sub_nc_u32_e32 v1, v2, v1
	v_mad_u32 v4, v1, s12, v4
	v_mad_u32 v5, v1, s13, v5
	;; [unrolled: 1-line block ×4, first 2 shown]
.LBB125_16:
	global_load_b32 v2, v5, s[2:3]
	global_load_b32 v3, v6, s[4:5]
	;; [unrolled: 1-line block ×3, first 2 shown]
	s_wait_xcnt 0x0
	v_mov_b64_e32 v[6:7], s[22:23]
	v_add_nc_u32_e32 v0, 0x80, v0
	s_wait_loadcnt 0x1
	s_delay_alu instid0(VALU_DEP_2) | instskip(SKIP_1) | instid1(VALU_DEP_1)
	v_pk_mul_f32 v[2:3], v[6:7], v[2:3]
	s_wait_loadcnt 0x0
	v_fmac_f32_e32 v2, v3, v1
	global_store_b32 v4, v2, s[0:1]
	s_wait_xcnt 0x0
	s_or_b32 exec_lo, exec_lo, s17
	s_delay_alu instid0(SALU_CYCLE_1)
	s_mov_b32 s17, exec_lo
	v_cmpx_gt_i32_e64 s41, v0
	s_cbranch_execz .LBB125_3
.LBB125_17:
	s_and_not1_b32 vcc_lo, exec_lo, s37
	s_cbranch_vccnz .LBB125_23
; %bb.18:
	s_and_not1_b32 vcc_lo, exec_lo, s42
	s_cbranch_vccnz .LBB125_24
; %bb.19:
	v_dual_mov_b32 v6, 0 :: v_dual_mov_b32 v1, v0
	v_dual_mov_b32 v7, 0 :: v_dual_mov_b32 v4, 0
	v_mov_b32_e32 v5, 0
	s_add_co_i32 s24, s40, 1
	s_mov_b64 s[30:31], 0xffffffffffffffe0
	s_and_b32 s24, s24, 30
	s_add_nc_u64 s[30:31], s[20:21], s[30:31]
	s_mov_b64 s[34:35], s[20:21]
.LBB125_20:                             ; =>This Inner Loop Header: Depth=1
	s_clause 0x1
	s_load_b128 s[52:55], s[34:35], 0x4
	s_load_b64 s[56:57], s[34:35], 0x14
	s_load_b256 s[44:51], s[30:31], 0xe4
	s_add_co_i32 s24, s24, -2
	s_wait_xcnt 0x0
	s_add_nc_u64 s[34:35], s[34:35], 24
	s_cmp_eq_u32 s24, 0
	s_add_nc_u64 s[30:31], s[30:31], 32
	s_wait_kmcnt 0x0
	v_mul_hi_u32 v2, s53, v1
	s_delay_alu instid0(VALU_DEP_1) | instskip(NEXT) | instid1(VALU_DEP_1)
	v_add_nc_u32_e32 v2, v1, v2
	v_lshrrev_b32_e32 v2, s54, v2
	s_delay_alu instid0(VALU_DEP_1) | instskip(SKIP_1) | instid1(VALU_DEP_1)
	v_mul_hi_u32 v3, s56, v2
	v_mul_lo_u32 v8, v2, s52
	v_dual_add_nc_u32 v3, v2, v3 :: v_dual_sub_nc_u32 v8, v1, v8
	s_delay_alu instid0(VALU_DEP_1) | instskip(NEXT) | instid1(VALU_DEP_2)
	v_lshrrev_b32_e32 v1, s57, v3
	v_mad_u32 v5, v8, s45, v5
	v_mad_u32 v4, v8, s44, v4
	;; [unrolled: 1-line block ×4, first 2 shown]
	v_mul_lo_u32 v3, v1, s55
	s_delay_alu instid0(VALU_DEP_1) | instskip(NEXT) | instid1(VALU_DEP_1)
	v_sub_nc_u32_e32 v2, v2, v3
	v_mad_u32 v5, v2, s49, v5
	v_mad_u32 v4, v2, s48, v4
	;; [unrolled: 1-line block ×4, first 2 shown]
	s_cbranch_scc0 .LBB125_20
; %bb.21:
	s_bitcmp1_b32 s40, 0
	s_cselect_b32 s24, -1, 0
	s_delay_alu instid0(SALU_CYCLE_1)
	s_and_b32 vcc_lo, exec_lo, s24
	s_cbranch_vccnz .LBB125_25
; %bb.22:
	s_load_b96 s[48:50], s[34:35], 0x4
	s_load_b128 s[44:47], s[30:31], 0xe4
	s_wait_kmcnt 0x0
	v_mul_hi_u32 v2, s49, v1
	s_delay_alu instid0(VALU_DEP_1) | instskip(NEXT) | instid1(VALU_DEP_1)
	v_add_nc_u32_e32 v2, v1, v2
	v_lshrrev_b32_e32 v2, s50, v2
	s_delay_alu instid0(VALU_DEP_1) | instskip(NEXT) | instid1(VALU_DEP_1)
	v_mul_lo_u32 v2, v2, s48
	v_sub_nc_u32_e32 v1, v1, v2
	s_delay_alu instid0(VALU_DEP_1)
	v_mad_u32 v4, v1, s44, v4
	v_mad_u32 v5, v1, s45, v5
	;; [unrolled: 1-line block ×4, first 2 shown]
	s_branch .LBB125_25
.LBB125_23:
                                        ; implicit-def: $vgpr5
                                        ; implicit-def: $vgpr4
                                        ; implicit-def: $vgpr7
                                        ; implicit-def: $vgpr6
	s_branch .LBB125_26
.LBB125_24:
	v_dual_mov_b32 v5, 0 :: v_dual_mov_b32 v4, 0
	v_dual_mov_b32 v7, 0 :: v_dual_mov_b32 v6, 0
.LBB125_25:
	s_cbranch_execnz .LBB125_28
.LBB125_26:
	v_mov_b32_e32 v1, 0
	s_and_not1_b32 vcc_lo, exec_lo, s39
	s_delay_alu instid0(VALU_DEP_1) | instskip(NEXT) | instid1(VALU_DEP_1)
	v_mul_u64_e32 v[2:3], s[26:27], v[0:1]
	v_add_nc_u32_e32 v2, v0, v3
	s_delay_alu instid0(VALU_DEP_1) | instskip(NEXT) | instid1(VALU_DEP_1)
	v_lshrrev_b32_e32 v2, s18, v2
	v_mul_lo_u32 v3, v2, s16
	s_delay_alu instid0(VALU_DEP_1) | instskip(NEXT) | instid1(VALU_DEP_1)
	v_sub_nc_u32_e32 v3, v0, v3
	v_mul_lo_u32 v5, v3, s9
	v_mul_lo_u32 v4, v3, s8
	;; [unrolled: 1-line block ×4, first 2 shown]
	s_cbranch_vccnz .LBB125_28
; %bb.27:
	v_mov_b32_e32 v3, v1
	s_delay_alu instid0(VALU_DEP_1) | instskip(NEXT) | instid1(VALU_DEP_1)
	v_mul_u64_e32 v[8:9], s[28:29], v[2:3]
	v_add_nc_u32_e32 v1, v2, v9
	s_delay_alu instid0(VALU_DEP_1) | instskip(NEXT) | instid1(VALU_DEP_1)
	v_lshrrev_b32_e32 v1, s25, v1
	v_mul_lo_u32 v1, v1, s19
	s_delay_alu instid0(VALU_DEP_1) | instskip(NEXT) | instid1(VALU_DEP_1)
	v_sub_nc_u32_e32 v1, v2, v1
	v_mad_u32 v4, v1, s12, v4
	v_mad_u32 v5, v1, s13, v5
	;; [unrolled: 1-line block ×4, first 2 shown]
.LBB125_28:
	global_load_b32 v2, v5, s[2:3]
	global_load_b32 v3, v6, s[4:5]
	;; [unrolled: 1-line block ×3, first 2 shown]
	s_wait_xcnt 0x0
	v_mov_b64_e32 v[6:7], s[22:23]
	v_add_nc_u32_e32 v0, 0x80, v0
	s_wait_loadcnt 0x1
	s_delay_alu instid0(VALU_DEP_2) | instskip(SKIP_1) | instid1(VALU_DEP_1)
	v_pk_mul_f32 v[2:3], v[6:7], v[2:3]
	s_wait_loadcnt 0x0
	v_fmac_f32_e32 v2, v3, v1
	global_store_b32 v4, v2, s[0:1]
	s_wait_xcnt 0x0
	s_or_b32 exec_lo, exec_lo, s17
	s_delay_alu instid0(SALU_CYCLE_1)
	s_mov_b32 s17, exec_lo
	v_cmpx_gt_i32_e64 s41, v0
	s_cbranch_execz .LBB125_4
.LBB125_29:
	s_and_not1_b32 vcc_lo, exec_lo, s37
	s_cbranch_vccnz .LBB125_35
; %bb.30:
	s_and_not1_b32 vcc_lo, exec_lo, s42
	s_cbranch_vccnz .LBB125_36
; %bb.31:
	v_dual_mov_b32 v5, 0 :: v_dual_mov_b32 v1, v0
	v_dual_mov_b32 v7, 0 :: v_dual_mov_b32 v4, 0
	v_mov_b32_e32 v6, 0
	s_add_co_i32 s24, s40, 1
	s_mov_b64 s[30:31], 0xffffffffffffffe0
	s_and_b32 s24, s24, 30
	s_add_nc_u64 s[30:31], s[20:21], s[30:31]
	s_mov_b64 s[34:35], s[20:21]
.LBB125_32:                             ; =>This Inner Loop Header: Depth=1
	s_clause 0x1
	s_load_b128 s[52:55], s[34:35], 0x4
	s_load_b64 s[56:57], s[34:35], 0x14
	s_load_b256 s[44:51], s[30:31], 0xe4
	s_add_co_i32 s24, s24, -2
	s_wait_xcnt 0x0
	s_add_nc_u64 s[34:35], s[34:35], 24
	s_cmp_eq_u32 s24, 0
	s_add_nc_u64 s[30:31], s[30:31], 32
	s_wait_kmcnt 0x0
	v_mul_hi_u32 v2, s53, v1
	s_delay_alu instid0(VALU_DEP_1) | instskip(NEXT) | instid1(VALU_DEP_1)
	v_add_nc_u32_e32 v2, v1, v2
	v_lshrrev_b32_e32 v2, s54, v2
	s_delay_alu instid0(VALU_DEP_1) | instskip(SKIP_1) | instid1(VALU_DEP_1)
	v_mul_hi_u32 v3, s56, v2
	v_mul_lo_u32 v8, v2, s52
	v_dual_add_nc_u32 v3, v2, v3 :: v_dual_sub_nc_u32 v8, v1, v8
	s_delay_alu instid0(VALU_DEP_1) | instskip(NEXT) | instid1(VALU_DEP_2)
	v_lshrrev_b32_e32 v1, s57, v3
	v_mad_u32 v6, v8, s45, v6
	v_mad_u32 v4, v8, s44, v4
	;; [unrolled: 1-line block ×4, first 2 shown]
	v_mul_lo_u32 v3, v1, s55
	s_delay_alu instid0(VALU_DEP_1) | instskip(NEXT) | instid1(VALU_DEP_1)
	v_sub_nc_u32_e32 v2, v2, v3
	v_mad_u32 v6, v2, s49, v6
	v_mad_u32 v4, v2, s48, v4
	;; [unrolled: 1-line block ×4, first 2 shown]
	s_cbranch_scc0 .LBB125_32
; %bb.33:
	s_bitcmp1_b32 s40, 0
	s_cselect_b32 s24, -1, 0
	s_delay_alu instid0(SALU_CYCLE_1)
	s_and_b32 vcc_lo, exec_lo, s24
	s_cbranch_vccnz .LBB125_37
; %bb.34:
	s_load_b96 s[48:50], s[34:35], 0x4
	s_load_b128 s[44:47], s[30:31], 0xe4
	s_wait_kmcnt 0x0
	v_mul_hi_u32 v2, s49, v1
	s_delay_alu instid0(VALU_DEP_1) | instskip(NEXT) | instid1(VALU_DEP_1)
	v_add_nc_u32_e32 v2, v1, v2
	v_lshrrev_b32_e32 v2, s50, v2
	s_delay_alu instid0(VALU_DEP_1) | instskip(NEXT) | instid1(VALU_DEP_1)
	v_mul_lo_u32 v2, v2, s48
	v_sub_nc_u32_e32 v1, v1, v2
	s_delay_alu instid0(VALU_DEP_1)
	v_mad_u32 v4, v1, s44, v4
	v_mad_u32 v6, v1, s45, v6
	;; [unrolled: 1-line block ×4, first 2 shown]
	s_branch .LBB125_37
.LBB125_35:
                                        ; implicit-def: $vgpr6
                                        ; implicit-def: $vgpr4
                                        ; implicit-def: $vgpr7
                                        ; implicit-def: $vgpr5
	s_branch .LBB125_38
.LBB125_36:
	v_dual_mov_b32 v6, 0 :: v_dual_mov_b32 v4, 0
	v_dual_mov_b32 v7, 0 :: v_dual_mov_b32 v5, 0
.LBB125_37:
	s_cbranch_execnz .LBB125_40
.LBB125_38:
	v_mov_b32_e32 v1, 0
	s_and_not1_b32 vcc_lo, exec_lo, s39
	s_delay_alu instid0(VALU_DEP_1) | instskip(NEXT) | instid1(VALU_DEP_1)
	v_mul_u64_e32 v[2:3], s[26:27], v[0:1]
	v_add_nc_u32_e32 v2, v0, v3
	s_delay_alu instid0(VALU_DEP_1) | instskip(NEXT) | instid1(VALU_DEP_1)
	v_lshrrev_b32_e32 v2, s18, v2
	v_mul_lo_u32 v3, v2, s16
	s_delay_alu instid0(VALU_DEP_1) | instskip(NEXT) | instid1(VALU_DEP_1)
	v_sub_nc_u32_e32 v3, v0, v3
	v_mul_lo_u32 v6, v3, s9
	v_mul_lo_u32 v4, v3, s8
	;; [unrolled: 1-line block ×4, first 2 shown]
	s_cbranch_vccnz .LBB125_40
; %bb.39:
	v_mov_b32_e32 v3, v1
	s_delay_alu instid0(VALU_DEP_1) | instskip(NEXT) | instid1(VALU_DEP_1)
	v_mul_u64_e32 v[8:9], s[28:29], v[2:3]
	v_add_nc_u32_e32 v1, v2, v9
	s_delay_alu instid0(VALU_DEP_1) | instskip(NEXT) | instid1(VALU_DEP_1)
	v_lshrrev_b32_e32 v1, s25, v1
	v_mul_lo_u32 v1, v1, s19
	s_delay_alu instid0(VALU_DEP_1) | instskip(NEXT) | instid1(VALU_DEP_1)
	v_sub_nc_u32_e32 v1, v2, v1
	v_mad_u32 v4, v1, s12, v4
	v_mad_u32 v6, v1, s13, v6
	;; [unrolled: 1-line block ×4, first 2 shown]
.LBB125_40:
	global_load_b32 v2, v6, s[2:3]
	global_load_b32 v3, v5, s[4:5]
	;; [unrolled: 1-line block ×3, first 2 shown]
	s_wait_xcnt 0x0
	v_mov_b64_e32 v[6:7], s[22:23]
	v_add_nc_u32_e32 v0, 0x80, v0
	s_wait_loadcnt 0x1
	s_delay_alu instid0(VALU_DEP_2) | instskip(SKIP_1) | instid1(VALU_DEP_1)
	v_pk_mul_f32 v[2:3], v[6:7], v[2:3]
	s_wait_loadcnt 0x0
	v_fmac_f32_e32 v2, v3, v1
	global_store_b32 v4, v2, s[0:1]
	s_wait_xcnt 0x0
	s_or_b32 exec_lo, exec_lo, s17
	s_delay_alu instid0(SALU_CYCLE_1)
	s_mov_b32 s17, exec_lo
	v_cmpx_gt_i32_e64 s41, v0
	s_cbranch_execz .LBB125_53
.LBB125_41:
	s_and_not1_b32 vcc_lo, exec_lo, s37
	s_cbranch_vccnz .LBB125_47
; %bb.42:
	s_and_not1_b32 vcc_lo, exec_lo, s42
	s_cbranch_vccnz .LBB125_48
; %bb.43:
	v_dual_mov_b32 v6, 0 :: v_dual_mov_b32 v1, v0
	v_dual_mov_b32 v7, 0 :: v_dual_mov_b32 v4, 0
	v_mov_b32_e32 v5, 0
	s_add_co_i32 s24, s40, 1
	s_mov_b64 s[30:31], 0xffffffffffffffe0
	s_and_b32 s24, s24, 30
	s_add_nc_u64 s[30:31], s[20:21], s[30:31]
	s_mov_b64 s[34:35], s[20:21]
.LBB125_44:                             ; =>This Inner Loop Header: Depth=1
	s_clause 0x1
	s_load_b128 s[52:55], s[34:35], 0x4
	s_load_b64 s[42:43], s[34:35], 0x14
	s_load_b256 s[44:51], s[30:31], 0xe4
	s_add_co_i32 s24, s24, -2
	s_wait_xcnt 0x0
	s_add_nc_u64 s[34:35], s[34:35], 24
	s_cmp_eq_u32 s24, 0
	s_add_nc_u64 s[30:31], s[30:31], 32
	s_wait_kmcnt 0x0
	v_mul_hi_u32 v2, s53, v1
	s_delay_alu instid0(VALU_DEP_1) | instskip(NEXT) | instid1(VALU_DEP_1)
	v_add_nc_u32_e32 v2, v1, v2
	v_lshrrev_b32_e32 v2, s54, v2
	s_delay_alu instid0(VALU_DEP_1) | instskip(SKIP_1) | instid1(VALU_DEP_1)
	v_mul_hi_u32 v3, s42, v2
	v_mul_lo_u32 v8, v2, s52
	v_dual_add_nc_u32 v3, v2, v3 :: v_dual_sub_nc_u32 v8, v1, v8
	s_delay_alu instid0(VALU_DEP_1) | instskip(NEXT) | instid1(VALU_DEP_2)
	v_lshrrev_b32_e32 v1, s43, v3
	v_mad_u32 v5, v8, s45, v5
	v_mad_u32 v4, v8, s44, v4
	;; [unrolled: 1-line block ×4, first 2 shown]
	v_mul_lo_u32 v3, v1, s55
	s_delay_alu instid0(VALU_DEP_1) | instskip(NEXT) | instid1(VALU_DEP_1)
	v_sub_nc_u32_e32 v2, v2, v3
	v_mad_u32 v5, v2, s49, v5
	v_mad_u32 v4, v2, s48, v4
	;; [unrolled: 1-line block ×4, first 2 shown]
	s_cbranch_scc0 .LBB125_44
; %bb.45:
	s_bitcmp1_b32 s40, 0
	s_cselect_b32 s24, -1, 0
	s_delay_alu instid0(SALU_CYCLE_1)
	s_and_b32 vcc_lo, exec_lo, s24
	s_cbranch_vccnz .LBB125_49
; %bb.46:
	s_load_b96 s[44:46], s[34:35], 0x4
	s_load_b128 s[40:43], s[30:31], 0xe4
	s_wait_kmcnt 0x0
	v_mul_hi_u32 v2, s45, v1
	s_delay_alu instid0(VALU_DEP_1) | instskip(NEXT) | instid1(VALU_DEP_1)
	v_add_nc_u32_e32 v2, v1, v2
	v_lshrrev_b32_e32 v2, s46, v2
	s_delay_alu instid0(VALU_DEP_1) | instskip(NEXT) | instid1(VALU_DEP_1)
	v_mul_lo_u32 v2, v2, s44
	v_sub_nc_u32_e32 v1, v1, v2
	s_delay_alu instid0(VALU_DEP_1)
	v_mad_u32 v4, v1, s40, v4
	v_mad_u32 v5, v1, s41, v5
	;; [unrolled: 1-line block ×4, first 2 shown]
	s_branch .LBB125_49
.LBB125_47:
                                        ; implicit-def: $vgpr5
                                        ; implicit-def: $vgpr4
                                        ; implicit-def: $vgpr7
                                        ; implicit-def: $vgpr6
	s_branch .LBB125_50
.LBB125_48:
	v_dual_mov_b32 v5, 0 :: v_dual_mov_b32 v4, 0
	v_dual_mov_b32 v7, 0 :: v_dual_mov_b32 v6, 0
.LBB125_49:
	s_cbranch_execnz .LBB125_52
.LBB125_50:
	v_mov_b32_e32 v1, 0
	s_and_not1_b32 vcc_lo, exec_lo, s39
	s_delay_alu instid0(VALU_DEP_1) | instskip(NEXT) | instid1(VALU_DEP_1)
	v_mul_u64_e32 v[2:3], s[26:27], v[0:1]
	v_add_nc_u32_e32 v2, v0, v3
	s_delay_alu instid0(VALU_DEP_1) | instskip(NEXT) | instid1(VALU_DEP_1)
	v_lshrrev_b32_e32 v2, s18, v2
	v_mul_lo_u32 v3, v2, s16
	s_delay_alu instid0(VALU_DEP_1) | instskip(NEXT) | instid1(VALU_DEP_1)
	v_sub_nc_u32_e32 v0, v0, v3
	v_mul_lo_u32 v5, v0, s9
	v_mul_lo_u32 v4, v0, s8
	;; [unrolled: 1-line block ×4, first 2 shown]
	s_cbranch_vccnz .LBB125_52
; %bb.51:
	v_mov_b32_e32 v3, v1
	s_delay_alu instid0(VALU_DEP_1) | instskip(NEXT) | instid1(VALU_DEP_1)
	v_mul_u64_e32 v[0:1], s[28:29], v[2:3]
	v_add_nc_u32_e32 v0, v2, v1
	s_delay_alu instid0(VALU_DEP_1) | instskip(NEXT) | instid1(VALU_DEP_1)
	v_lshrrev_b32_e32 v0, s25, v0
	v_mul_lo_u32 v0, v0, s19
	s_delay_alu instid0(VALU_DEP_1) | instskip(NEXT) | instid1(VALU_DEP_1)
	v_sub_nc_u32_e32 v0, v2, v0
	v_mad_u32 v4, v0, s12, v4
	v_mad_u32 v5, v0, s13, v5
	;; [unrolled: 1-line block ×4, first 2 shown]
.LBB125_52:
	global_load_b32 v0, v5, s[2:3]
	global_load_b32 v1, v6, s[4:5]
	;; [unrolled: 1-line block ×3, first 2 shown]
	v_mov_b64_e32 v[2:3], s[22:23]
	s_wait_loadcnt 0x1
	s_delay_alu instid0(VALU_DEP_1) | instskip(SKIP_1) | instid1(VALU_DEP_1)
	v_pk_mul_f32 v[0:1], v[2:3], v[0:1]
	s_wait_loadcnt 0x0
	v_fmac_f32_e32 v0, v1, v8
	global_store_b32 v4, v0, s[0:1]
.LBB125_53:
	s_wait_xcnt 0x0
	s_or_b32 exec_lo, exec_lo, s17
                                        ; implicit-def: $vgpr5
                                        ; implicit-def: $vgpr0
.LBB125_54:
	s_and_not1_saveexec_b32 s0, s38
	s_cbranch_execz .LBB125_61
; %bb.55:
	v_cndmask_b32_e64 v8, 0, 1, s37
	s_and_not1_b32 vcc_lo, exec_lo, s37
	s_cbranch_vccnz .LBB125_62
; %bb.56:
	s_cmp_lg_u32 s33, 0
	s_mov_b32 s4, 0
	s_cbranch_scc0 .LBB125_66
; %bb.57:
	s_min_u32 s5, s36, 15
	v_dual_mov_b32 v4, 0 :: v_dual_mov_b32 v6, v0
	v_dual_mov_b32 v3, 0 :: v_dual_mov_b32 v1, 0
	v_mov_b32_e32 v2, 0
	s_add_co_i32 s2, s5, 1
	s_mov_b64 s[0:1], 0xffffffffffffffe0
	s_and_b32 s6, s2, 30
	s_add_nc_u64 s[0:1], s[20:21], s[0:1]
	s_mov_b64 s[2:3], s[20:21]
.LBB125_58:                             ; =>This Inner Loop Header: Depth=1
	s_clause 0x1
	s_load_b128 s[16:19], s[2:3], 0x4
	s_load_b64 s[22:23], s[2:3], 0x14
	s_load_b256 s[8:15], s[0:1], 0xe4
	s_add_co_i32 s6, s6, -2
	s_wait_xcnt 0x0
	s_add_nc_u64 s[2:3], s[2:3], 24
	s_cmp_lg_u32 s6, 0
	s_add_nc_u64 s[0:1], s[0:1], 32
	s_wait_kmcnt 0x0
	v_mul_hi_u32 v7, s17, v6
	s_delay_alu instid0(VALU_DEP_1) | instskip(NEXT) | instid1(VALU_DEP_1)
	v_add_nc_u32_e32 v7, v6, v7
	v_lshrrev_b32_e32 v7, s18, v7
	s_delay_alu instid0(VALU_DEP_1) | instskip(SKIP_1) | instid1(VALU_DEP_1)
	v_mul_hi_u32 v9, s22, v7
	v_mul_lo_u32 v10, v7, s16
	v_dual_add_nc_u32 v9, v7, v9 :: v_dual_sub_nc_u32 v10, v6, v10
	s_delay_alu instid0(VALU_DEP_1) | instskip(NEXT) | instid1(VALU_DEP_2)
	v_lshrrev_b32_e32 v6, s23, v9
	v_mad_u32 v2, v10, s9, v2
	v_mad_u32 v1, v10, s8, v1
	;; [unrolled: 1-line block ×4, first 2 shown]
	v_mul_lo_u32 v9, v6, s19
	s_delay_alu instid0(VALU_DEP_1) | instskip(NEXT) | instid1(VALU_DEP_1)
	v_sub_nc_u32_e32 v7, v7, v9
	v_mad_u32 v2, v7, s13, v2
	v_mad_u32 v1, v7, s12, v1
	;; [unrolled: 1-line block ×4, first 2 shown]
	s_cbranch_scc1 .LBB125_58
; %bb.59:
	s_bitcmp1_b32 s5, 0
	s_cselect_b32 s5, -1, 0
	s_delay_alu instid0(SALU_CYCLE_1)
	s_and_b32 vcc_lo, exec_lo, s5
	s_cbranch_vccnz .LBB125_63
; %bb.60:
	s_load_b96 s[12:14], s[2:3], 0x4
	s_load_b128 s[8:11], s[0:1], 0xe4
	s_wait_kmcnt 0x0
	v_mul_hi_u32 v7, s13, v6
	s_delay_alu instid0(VALU_DEP_1) | instskip(NEXT) | instid1(VALU_DEP_1)
	v_add_nc_u32_e32 v7, v6, v7
	v_lshrrev_b32_e32 v7, s14, v7
	s_delay_alu instid0(VALU_DEP_1) | instskip(NEXT) | instid1(VALU_DEP_1)
	v_mul_lo_u32 v7, v7, s12
	v_sub_nc_u32_e32 v6, v6, v7
	s_delay_alu instid0(VALU_DEP_1)
	v_mad_u32 v1, v6, s8, v1
	v_mad_u32 v2, v6, s9, v2
	;; [unrolled: 1-line block ×4, first 2 shown]
	s_and_not1_b32 vcc_lo, exec_lo, s4
	s_cbranch_vccz .LBB125_64
	s_branch .LBB125_67
.LBB125_61:
	s_endpgm
.LBB125_62:
	s_mov_b32 s4, -1
                                        ; implicit-def: $vgpr2
                                        ; implicit-def: $vgpr1
                                        ; implicit-def: $vgpr3
                                        ; implicit-def: $vgpr4
.LBB125_63:
	s_delay_alu instid0(SALU_CYCLE_1)
	s_and_not1_b32 vcc_lo, exec_lo, s4
	s_cbranch_vccnz .LBB125_67
.LBB125_64:
	s_clause 0x1
	s_load_b96 s[4:6], s[20:21], 0x4
	s_load_b128 s[0:3], s[20:21], 0xc4
	s_cmp_lt_u32 s33, 2
	s_wait_kmcnt 0x0
	v_mul_hi_u32 v1, s5, v0
	s_delay_alu instid0(VALU_DEP_1) | instskip(NEXT) | instid1(VALU_DEP_1)
	v_add_nc_u32_e32 v1, v0, v1
	v_lshrrev_b32_e32 v6, s6, v1
	s_delay_alu instid0(VALU_DEP_1) | instskip(NEXT) | instid1(VALU_DEP_1)
	v_mul_lo_u32 v1, v6, s4
	v_sub_nc_u32_e32 v4, v0, v1
	s_delay_alu instid0(VALU_DEP_1)
	v_mul_lo_u32 v2, v4, s1
	v_mul_lo_u32 v1, v4, s0
	;; [unrolled: 1-line block ×4, first 2 shown]
	s_cbranch_scc1 .LBB125_67
; %bb.65:
	s_clause 0x1
	s_load_b96 s[4:6], s[20:21], 0x10
	s_load_b128 s[0:3], s[20:21], 0xd4
	s_wait_kmcnt 0x0
	v_mul_hi_u32 v7, s5, v6
	s_delay_alu instid0(VALU_DEP_1) | instskip(NEXT) | instid1(VALU_DEP_1)
	v_add_nc_u32_e32 v7, v6, v7
	v_lshrrev_b32_e32 v7, s6, v7
	s_delay_alu instid0(VALU_DEP_1) | instskip(NEXT) | instid1(VALU_DEP_1)
	v_mul_lo_u32 v7, v7, s4
	v_sub_nc_u32_e32 v6, v6, v7
	s_delay_alu instid0(VALU_DEP_1)
	v_mad_u32 v1, v6, s0, v1
	v_mad_u32 v2, v6, s1, v2
	;; [unrolled: 1-line block ×4, first 2 shown]
	s_branch .LBB125_67
.LBB125_66:
	v_dual_mov_b32 v2, 0 :: v_dual_mov_b32 v1, 0
	v_dual_mov_b32 v3, 0 :: v_dual_mov_b32 v4, 0
	s_and_not1_b32 vcc_lo, exec_lo, s4
	s_cbranch_vccz .LBB125_64
.LBB125_67:
	v_cmp_ne_u32_e32 vcc_lo, 1, v8
	v_add_nc_u32_e32 v11, 0x80, v0
	s_cbranch_vccnz .LBB125_73
; %bb.68:
	s_cmp_lg_u32 s33, 0
	s_mov_b32 s4, 0
	s_cbranch_scc0 .LBB125_77
; %bb.69:
	s_min_u32 s5, s36, 15
	v_dual_mov_b32 v10, 0 :: v_dual_mov_b32 v12, v11
	v_dual_mov_b32 v9, 0 :: v_dual_mov_b32 v6, 0
	v_mov_b32_e32 v7, 0
	s_add_co_i32 s2, s5, 1
	s_mov_b64 s[0:1], 0xffffffffffffffe0
	s_and_b32 s6, s2, 30
	s_add_nc_u64 s[0:1], s[20:21], s[0:1]
	s_mov_b64 s[2:3], s[20:21]
.LBB125_70:                             ; =>This Inner Loop Header: Depth=1
	s_clause 0x1
	s_load_b128 s[16:19], s[2:3], 0x4
	s_load_b64 s[22:23], s[2:3], 0x14
	s_load_b256 s[8:15], s[0:1], 0xe4
	s_add_co_i32 s6, s6, -2
	s_wait_xcnt 0x0
	s_add_nc_u64 s[2:3], s[2:3], 24
	s_cmp_lg_u32 s6, 0
	s_add_nc_u64 s[0:1], s[0:1], 32
	s_wait_kmcnt 0x0
	v_mul_hi_u32 v13, s17, v12
	s_delay_alu instid0(VALU_DEP_1) | instskip(NEXT) | instid1(VALU_DEP_1)
	v_add_nc_u32_e32 v13, v12, v13
	v_lshrrev_b32_e32 v13, s18, v13
	s_delay_alu instid0(VALU_DEP_1) | instskip(SKIP_1) | instid1(VALU_DEP_1)
	v_mul_hi_u32 v14, s22, v13
	v_mul_lo_u32 v15, v13, s16
	v_dual_add_nc_u32 v14, v13, v14 :: v_dual_sub_nc_u32 v15, v12, v15
	s_delay_alu instid0(VALU_DEP_1) | instskip(NEXT) | instid1(VALU_DEP_2)
	v_lshrrev_b32_e32 v12, s23, v14
	v_mad_u32 v7, v15, s9, v7
	v_mad_u32 v6, v15, s8, v6
	;; [unrolled: 1-line block ×4, first 2 shown]
	v_mul_lo_u32 v14, v12, s19
	s_delay_alu instid0(VALU_DEP_1) | instskip(NEXT) | instid1(VALU_DEP_1)
	v_sub_nc_u32_e32 v13, v13, v14
	v_mad_u32 v7, v13, s13, v7
	v_mad_u32 v6, v13, s12, v6
	;; [unrolled: 1-line block ×4, first 2 shown]
	s_cbranch_scc1 .LBB125_70
; %bb.71:
	s_bitcmp1_b32 s5, 0
	s_cselect_b32 s5, -1, 0
	s_delay_alu instid0(SALU_CYCLE_1)
	s_and_b32 vcc_lo, exec_lo, s5
	s_cbranch_vccnz .LBB125_74
; %bb.72:
	s_load_b96 s[12:14], s[2:3], 0x4
	s_load_b128 s[8:11], s[0:1], 0xe4
	s_wait_kmcnt 0x0
	v_mul_hi_u32 v13, s13, v12
	s_delay_alu instid0(VALU_DEP_1) | instskip(NEXT) | instid1(VALU_DEP_1)
	v_add_nc_u32_e32 v13, v12, v13
	v_lshrrev_b32_e32 v13, s14, v13
	s_delay_alu instid0(VALU_DEP_1) | instskip(NEXT) | instid1(VALU_DEP_1)
	v_mul_lo_u32 v13, v13, s12
	v_sub_nc_u32_e32 v12, v12, v13
	s_delay_alu instid0(VALU_DEP_1)
	v_mad_u32 v6, v12, s8, v6
	v_mad_u32 v7, v12, s9, v7
	;; [unrolled: 1-line block ×4, first 2 shown]
	s_and_not1_b32 vcc_lo, exec_lo, s4
	s_cbranch_vccz .LBB125_75
	s_branch .LBB125_78
.LBB125_73:
	s_mov_b32 s4, -1
                                        ; implicit-def: $vgpr7
                                        ; implicit-def: $vgpr6
                                        ; implicit-def: $vgpr9
                                        ; implicit-def: $vgpr10
.LBB125_74:
	s_delay_alu instid0(SALU_CYCLE_1)
	s_and_not1_b32 vcc_lo, exec_lo, s4
	s_cbranch_vccnz .LBB125_78
.LBB125_75:
	s_clause 0x1
	s_load_b96 s[4:6], s[20:21], 0x4
	s_load_b128 s[0:3], s[20:21], 0xc4
	s_cmp_lt_u32 s33, 2
	s_wait_kmcnt 0x0
	v_mul_hi_u32 v6, s5, v11
	s_delay_alu instid0(VALU_DEP_1) | instskip(NEXT) | instid1(VALU_DEP_1)
	v_add_nc_u32_e32 v6, v11, v6
	v_lshrrev_b32_e32 v12, s6, v6
	s_delay_alu instid0(VALU_DEP_1) | instskip(NEXT) | instid1(VALU_DEP_1)
	v_mul_lo_u32 v6, v12, s4
	v_sub_nc_u32_e32 v10, v11, v6
	s_delay_alu instid0(VALU_DEP_1)
	v_mul_lo_u32 v7, v10, s1
	v_mul_lo_u32 v6, v10, s0
	;; [unrolled: 1-line block ×4, first 2 shown]
	s_cbranch_scc1 .LBB125_78
; %bb.76:
	s_clause 0x1
	s_load_b96 s[4:6], s[20:21], 0x10
	s_load_b128 s[0:3], s[20:21], 0xd4
	s_wait_kmcnt 0x0
	v_mul_hi_u32 v11, s5, v12
	s_delay_alu instid0(VALU_DEP_1) | instskip(NEXT) | instid1(VALU_DEP_1)
	v_add_nc_u32_e32 v11, v12, v11
	v_lshrrev_b32_e32 v11, s6, v11
	s_delay_alu instid0(VALU_DEP_1) | instskip(NEXT) | instid1(VALU_DEP_1)
	v_mul_lo_u32 v11, v11, s4
	v_sub_nc_u32_e32 v11, v12, v11
	s_delay_alu instid0(VALU_DEP_1)
	v_mad_u32 v6, v11, s0, v6
	v_mad_u32 v7, v11, s1, v7
	;; [unrolled: 1-line block ×4, first 2 shown]
	s_branch .LBB125_78
.LBB125_77:
	v_dual_mov_b32 v7, 0 :: v_dual_mov_b32 v6, 0
	v_dual_mov_b32 v9, 0 :: v_dual_mov_b32 v10, 0
	s_and_not1_b32 vcc_lo, exec_lo, s4
	s_cbranch_vccz .LBB125_75
.LBB125_78:
	v_cmp_ne_u32_e32 vcc_lo, 1, v8
	v_add_nc_u32_e32 v14, 0x100, v0
	s_cbranch_vccnz .LBB125_84
; %bb.79:
	s_cmp_lg_u32 s33, 0
	s_mov_b32 s4, 0
	s_cbranch_scc0 .LBB125_88
; %bb.80:
	s_min_u32 s5, s36, 15
	v_dual_mov_b32 v11, 0 :: v_dual_mov_b32 v15, v14
	v_dual_mov_b32 v13, 0 :: v_dual_mov_b32 v0, 0
	v_mov_b32_e32 v12, 0
	s_add_co_i32 s2, s5, 1
	s_mov_b64 s[0:1], 0xffffffffffffffe0
	s_and_b32 s6, s2, 30
	s_add_nc_u64 s[0:1], s[20:21], s[0:1]
	s_mov_b64 s[2:3], s[20:21]
.LBB125_81:                             ; =>This Inner Loop Header: Depth=1
	s_clause 0x1
	s_load_b128 s[16:19], s[2:3], 0x4
	s_load_b64 s[22:23], s[2:3], 0x14
	s_load_b256 s[8:15], s[0:1], 0xe4
	s_add_co_i32 s6, s6, -2
	s_wait_xcnt 0x0
	s_add_nc_u64 s[2:3], s[2:3], 24
	s_cmp_lg_u32 s6, 0
	s_add_nc_u64 s[0:1], s[0:1], 32
	s_wait_kmcnt 0x0
	v_mul_hi_u32 v16, s17, v15
	s_delay_alu instid0(VALU_DEP_1) | instskip(NEXT) | instid1(VALU_DEP_1)
	v_add_nc_u32_e32 v16, v15, v16
	v_lshrrev_b32_e32 v16, s18, v16
	s_delay_alu instid0(VALU_DEP_1) | instskip(SKIP_1) | instid1(VALU_DEP_1)
	v_mul_hi_u32 v17, s22, v16
	v_mul_lo_u32 v18, v16, s16
	v_dual_add_nc_u32 v17, v16, v17 :: v_dual_sub_nc_u32 v18, v15, v18
	s_delay_alu instid0(VALU_DEP_1) | instskip(NEXT) | instid1(VALU_DEP_2)
	v_lshrrev_b32_e32 v15, s23, v17
	v_mad_u32 v12, v18, s9, v12
	v_mad_u32 v0, v18, s8, v0
	;; [unrolled: 1-line block ×4, first 2 shown]
	v_mul_lo_u32 v17, v15, s19
	s_delay_alu instid0(VALU_DEP_1) | instskip(NEXT) | instid1(VALU_DEP_1)
	v_sub_nc_u32_e32 v16, v16, v17
	v_mad_u32 v12, v16, s13, v12
	v_mad_u32 v0, v16, s12, v0
	;; [unrolled: 1-line block ×4, first 2 shown]
	s_cbranch_scc1 .LBB125_81
; %bb.82:
	s_bitcmp1_b32 s5, 0
	s_cselect_b32 s5, -1, 0
	s_delay_alu instid0(SALU_CYCLE_1)
	s_and_b32 vcc_lo, exec_lo, s5
	s_cbranch_vccnz .LBB125_85
; %bb.83:
	s_load_b96 s[12:14], s[2:3], 0x4
	s_load_b128 s[8:11], s[0:1], 0xe4
	s_wait_kmcnt 0x0
	v_mul_hi_u32 v16, s13, v15
	s_delay_alu instid0(VALU_DEP_1) | instskip(NEXT) | instid1(VALU_DEP_1)
	v_add_nc_u32_e32 v16, v15, v16
	v_lshrrev_b32_e32 v16, s14, v16
	s_delay_alu instid0(VALU_DEP_1) | instskip(NEXT) | instid1(VALU_DEP_1)
	v_mul_lo_u32 v16, v16, s12
	v_sub_nc_u32_e32 v15, v15, v16
	s_delay_alu instid0(VALU_DEP_1)
	v_mad_u32 v0, v15, s8, v0
	v_mad_u32 v12, v15, s9, v12
	;; [unrolled: 1-line block ×4, first 2 shown]
	s_and_not1_b32 vcc_lo, exec_lo, s4
	s_cbranch_vccz .LBB125_86
	s_branch .LBB125_89
.LBB125_84:
	s_mov_b32 s4, -1
                                        ; implicit-def: $vgpr12
                                        ; implicit-def: $vgpr0
                                        ; implicit-def: $vgpr13
                                        ; implicit-def: $vgpr11
.LBB125_85:
	s_delay_alu instid0(SALU_CYCLE_1)
	s_and_not1_b32 vcc_lo, exec_lo, s4
	s_cbranch_vccnz .LBB125_89
.LBB125_86:
	s_clause 0x1
	s_load_b96 s[4:6], s[20:21], 0x4
	s_load_b128 s[0:3], s[20:21], 0xc4
	s_cmp_lt_u32 s33, 2
	s_wait_kmcnt 0x0
	v_mul_hi_u32 v0, s5, v14
	s_delay_alu instid0(VALU_DEP_1) | instskip(NEXT) | instid1(VALU_DEP_1)
	v_add_nc_u32_e32 v0, v14, v0
	v_lshrrev_b32_e32 v15, s6, v0
	s_delay_alu instid0(VALU_DEP_1) | instskip(NEXT) | instid1(VALU_DEP_1)
	v_mul_lo_u32 v0, v15, s4
	v_sub_nc_u32_e32 v11, v14, v0
	s_delay_alu instid0(VALU_DEP_1)
	v_mul_lo_u32 v12, v11, s1
	v_mul_lo_u32 v0, v11, s0
	;; [unrolled: 1-line block ×4, first 2 shown]
	s_cbranch_scc1 .LBB125_89
; %bb.87:
	s_clause 0x1
	s_load_b96 s[4:6], s[20:21], 0x10
	s_load_b128 s[0:3], s[20:21], 0xd4
	s_wait_kmcnt 0x0
	v_mul_hi_u32 v14, s5, v15
	s_delay_alu instid0(VALU_DEP_1) | instskip(NEXT) | instid1(VALU_DEP_1)
	v_add_nc_u32_e32 v14, v15, v14
	v_lshrrev_b32_e32 v14, s6, v14
	s_delay_alu instid0(VALU_DEP_1) | instskip(NEXT) | instid1(VALU_DEP_1)
	v_mul_lo_u32 v14, v14, s4
	v_sub_nc_u32_e32 v14, v15, v14
	s_delay_alu instid0(VALU_DEP_1)
	v_mad_u32 v0, v14, s0, v0
	v_mad_u32 v12, v14, s1, v12
	;; [unrolled: 1-line block ×4, first 2 shown]
	s_branch .LBB125_89
.LBB125_88:
	v_dual_mov_b32 v12, 0 :: v_dual_mov_b32 v0, 0
	v_dual_mov_b32 v13, 0 :: v_dual_mov_b32 v11, 0
	s_and_not1_b32 vcc_lo, exec_lo, s4
	s_cbranch_vccz .LBB125_86
.LBB125_89:
	v_cmp_ne_u32_e32 vcc_lo, 1, v8
	s_cbranch_vccnz .LBB125_95
; %bb.90:
	s_cmp_lg_u32 s33, 0
	s_mov_b32 s4, 0
	s_cbranch_scc0 .LBB125_99
; %bb.91:
	s_min_u32 s5, s36, 15
	v_dual_mov_b32 v14, 0 :: v_dual_mov_b32 v17, v5
	v_dual_mov_b32 v16, 0 :: v_dual_mov_b32 v8, 0
	v_mov_b32_e32 v15, 0
	s_add_co_i32 s2, s5, 1
	s_mov_b64 s[0:1], 0xffffffffffffffe0
	s_and_b32 s6, s2, 30
	s_add_nc_u64 s[0:1], s[20:21], s[0:1]
	s_mov_b64 s[2:3], s[20:21]
.LBB125_92:                             ; =>This Inner Loop Header: Depth=1
	s_clause 0x1
	s_load_b128 s[16:19], s[2:3], 0x4
	s_load_b64 s[22:23], s[2:3], 0x14
	s_load_b256 s[8:15], s[0:1], 0xe4
	s_add_co_i32 s6, s6, -2
	s_wait_xcnt 0x0
	s_add_nc_u64 s[2:3], s[2:3], 24
	s_cmp_lg_u32 s6, 0
	s_add_nc_u64 s[0:1], s[0:1], 32
	s_wait_kmcnt 0x0
	v_mul_hi_u32 v18, s17, v17
	s_delay_alu instid0(VALU_DEP_1) | instskip(NEXT) | instid1(VALU_DEP_1)
	v_add_nc_u32_e32 v18, v17, v18
	v_lshrrev_b32_e32 v18, s18, v18
	s_delay_alu instid0(VALU_DEP_1) | instskip(SKIP_1) | instid1(VALU_DEP_1)
	v_mul_hi_u32 v19, s22, v18
	v_mul_lo_u32 v20, v18, s16
	v_dual_add_nc_u32 v19, v18, v19 :: v_dual_sub_nc_u32 v20, v17, v20
	s_delay_alu instid0(VALU_DEP_1) | instskip(NEXT) | instid1(VALU_DEP_2)
	v_lshrrev_b32_e32 v17, s23, v19
	v_mad_u32 v15, v20, s9, v15
	v_mad_u32 v8, v20, s8, v8
	;; [unrolled: 1-line block ×4, first 2 shown]
	v_mul_lo_u32 v19, v17, s19
	s_delay_alu instid0(VALU_DEP_1) | instskip(NEXT) | instid1(VALU_DEP_1)
	v_sub_nc_u32_e32 v18, v18, v19
	v_mad_u32 v15, v18, s13, v15
	v_mad_u32 v8, v18, s12, v8
	;; [unrolled: 1-line block ×4, first 2 shown]
	s_cbranch_scc1 .LBB125_92
; %bb.93:
	s_bitcmp1_b32 s5, 0
	s_cselect_b32 s5, -1, 0
	s_delay_alu instid0(SALU_CYCLE_1)
	s_and_b32 vcc_lo, exec_lo, s5
	s_cbranch_vccnz .LBB125_96
; %bb.94:
	s_load_b96 s[12:14], s[2:3], 0x4
	s_load_b128 s[8:11], s[0:1], 0xe4
	s_wait_kmcnt 0x0
	v_mul_hi_u32 v18, s13, v17
	s_delay_alu instid0(VALU_DEP_1) | instskip(NEXT) | instid1(VALU_DEP_1)
	v_add_nc_u32_e32 v18, v17, v18
	v_lshrrev_b32_e32 v18, s14, v18
	s_delay_alu instid0(VALU_DEP_1) | instskip(NEXT) | instid1(VALU_DEP_1)
	v_mul_lo_u32 v18, v18, s12
	v_sub_nc_u32_e32 v17, v17, v18
	s_delay_alu instid0(VALU_DEP_1)
	v_mad_u32 v8, v17, s8, v8
	v_mad_u32 v15, v17, s9, v15
	v_mad_u32 v14, v17, s10, v14
	v_mad_u32 v16, v17, s11, v16
	s_and_not1_b32 vcc_lo, exec_lo, s4
	s_cbranch_vccz .LBB125_97
	s_branch .LBB125_100
.LBB125_95:
	s_mov_b32 s4, -1
                                        ; implicit-def: $vgpr15
                                        ; implicit-def: $vgpr8
                                        ; implicit-def: $vgpr16
                                        ; implicit-def: $vgpr14
.LBB125_96:
	s_delay_alu instid0(SALU_CYCLE_1)
	s_and_not1_b32 vcc_lo, exec_lo, s4
	s_cbranch_vccnz .LBB125_100
.LBB125_97:
	s_clause 0x1
	s_load_b96 s[4:6], s[20:21], 0x4
	s_load_b128 s[0:3], s[20:21], 0xc4
	s_cmp_lt_u32 s33, 2
	s_wait_kmcnt 0x0
	v_mul_hi_u32 v8, s5, v5
	s_delay_alu instid0(VALU_DEP_1) | instskip(NEXT) | instid1(VALU_DEP_1)
	v_add_nc_u32_e32 v8, v5, v8
	v_lshrrev_b32_e32 v17, s6, v8
	s_delay_alu instid0(VALU_DEP_1) | instskip(NEXT) | instid1(VALU_DEP_1)
	v_mul_lo_u32 v8, v17, s4
	v_sub_nc_u32_e32 v5, v5, v8
	s_delay_alu instid0(VALU_DEP_1)
	v_mul_lo_u32 v15, v5, s1
	v_mul_lo_u32 v8, v5, s0
	;; [unrolled: 1-line block ×4, first 2 shown]
	s_cbranch_scc1 .LBB125_100
; %bb.98:
	s_clause 0x1
	s_load_b96 s[4:6], s[20:21], 0x10
	s_load_b128 s[0:3], s[20:21], 0xd4
	s_wait_kmcnt 0x0
	v_mul_hi_u32 v5, s5, v17
	s_delay_alu instid0(VALU_DEP_1) | instskip(NEXT) | instid1(VALU_DEP_1)
	v_add_nc_u32_e32 v5, v17, v5
	v_lshrrev_b32_e32 v5, s6, v5
	s_delay_alu instid0(VALU_DEP_1) | instskip(NEXT) | instid1(VALU_DEP_1)
	v_mul_lo_u32 v5, v5, s4
	v_sub_nc_u32_e32 v5, v17, v5
	s_delay_alu instid0(VALU_DEP_1)
	v_mad_u32 v8, v5, s0, v8
	v_mad_u32 v15, v5, s1, v15
	;; [unrolled: 1-line block ×4, first 2 shown]
	s_branch .LBB125_100
.LBB125_99:
	v_dual_mov_b32 v15, 0 :: v_dual_mov_b32 v8, 0
	v_dual_mov_b32 v16, 0 :: v_dual_mov_b32 v14, 0
	s_and_not1_b32 vcc_lo, exec_lo, s4
	s_cbranch_vccz .LBB125_97
.LBB125_100:
	s_load_b256 s[0:7], s[20:21], 0x1c8
	s_wait_kmcnt 0x0
	s_clause 0x3
	global_load_b32 v5, v4, s[4:5]
	global_load_b32 v17, v10, s[4:5]
	global_load_b32 v18, v11, s[4:5]
	global_load_b32 v19, v14, s[4:5]
	s_clause 0x3
	global_load_b32 v20, v3, s[6:7]
	global_load_b32 v21, v9, s[6:7]
	global_load_b32 v22, v13, s[6:7]
	global_load_b32 v23, v16, s[6:7]
	;; [unrolled: 5-line block ×3, first 2 shown]
	s_wait_xcnt 0x0
	s_load_b64 s[2:3], s[20:21], 0x1e8
	s_wait_loadcnt 0xb
	s_wait_kmcnt 0x0
	v_mul_f32_e32 v2, s3, v5
	s_wait_loadcnt 0x9
	v_dual_mul_f32 v3, s3, v17 :: v_dual_mul_f32 v4, s3, v18
	s_wait_loadcnt 0x7
	s_delay_alu instid0(VALU_DEP_2) | instskip(SKIP_1) | instid1(VALU_DEP_2)
	v_dual_mul_f32 v5, s3, v19 :: v_dual_mul_f32 v2, v2, v20
	s_wait_loadcnt 0x5
	v_dual_mul_f32 v3, v3, v21 :: v_dual_mul_f32 v4, v4, v22
	s_wait_loadcnt 0x3
	s_delay_alu instid0(VALU_DEP_2) | instskip(SKIP_1) | instid1(VALU_DEP_2)
	v_dual_mul_f32 v5, v5, v23 :: v_dual_fmac_f32 v2, s2, v24
	s_wait_loadcnt 0x1
	v_dual_fmac_f32 v3, s2, v25 :: v_dual_fmac_f32 v4, s2, v26
	s_wait_loadcnt 0x0
	s_delay_alu instid0(VALU_DEP_2)
	v_fmac_f32_e32 v5, s2, v27
	s_clause 0x3
	global_store_b32 v1, v2, s[0:1]
	global_store_b32 v6, v3, s[0:1]
	global_store_b32 v0, v4, s[0:1]
	global_store_b32 v8, v5, s[0:1]
	s_endpgm
	.section	.rodata,"a",@progbits
	.p2align	6, 0x0
	.amdhsa_kernel _ZN2at6native32elementwise_kernel_manual_unrollILi128ELi4EZNS0_22gpu_kernel_impl_nocastIZZZNS0_12_GLOBAL__N_116addr_kernel_cudaERNS_14TensorIteratorERKN3c106ScalarES9_ENKUlvE_clEvENKUlvE5_clEvEUlfffE0_EEvRNS_18TensorIteratorBaseERKT_EUlibE_EEviT1_
		.amdhsa_group_segment_fixed_size 0
		.amdhsa_private_segment_fixed_size 0
		.amdhsa_kernarg_size 504
		.amdhsa_user_sgpr_count 2
		.amdhsa_user_sgpr_dispatch_ptr 0
		.amdhsa_user_sgpr_queue_ptr 0
		.amdhsa_user_sgpr_kernarg_segment_ptr 1
		.amdhsa_user_sgpr_dispatch_id 0
		.amdhsa_user_sgpr_kernarg_preload_length 0
		.amdhsa_user_sgpr_kernarg_preload_offset 0
		.amdhsa_user_sgpr_private_segment_size 0
		.amdhsa_wavefront_size32 1
		.amdhsa_uses_dynamic_stack 0
		.amdhsa_enable_private_segment 0
		.amdhsa_system_sgpr_workgroup_id_x 1
		.amdhsa_system_sgpr_workgroup_id_y 0
		.amdhsa_system_sgpr_workgroup_id_z 0
		.amdhsa_system_sgpr_workgroup_info 0
		.amdhsa_system_vgpr_workitem_id 0
		.amdhsa_next_free_vgpr 28
		.amdhsa_next_free_sgpr 58
		.amdhsa_named_barrier_count 0
		.amdhsa_reserve_vcc 1
		.amdhsa_float_round_mode_32 0
		.amdhsa_float_round_mode_16_64 0
		.amdhsa_float_denorm_mode_32 3
		.amdhsa_float_denorm_mode_16_64 3
		.amdhsa_fp16_overflow 0
		.amdhsa_memory_ordered 1
		.amdhsa_forward_progress 1
		.amdhsa_inst_pref_size 46
		.amdhsa_round_robin_scheduling 0
		.amdhsa_exception_fp_ieee_invalid_op 0
		.amdhsa_exception_fp_denorm_src 0
		.amdhsa_exception_fp_ieee_div_zero 0
		.amdhsa_exception_fp_ieee_overflow 0
		.amdhsa_exception_fp_ieee_underflow 0
		.amdhsa_exception_fp_ieee_inexact 0
		.amdhsa_exception_int_div_zero 0
	.end_amdhsa_kernel
	.section	.text._ZN2at6native32elementwise_kernel_manual_unrollILi128ELi4EZNS0_22gpu_kernel_impl_nocastIZZZNS0_12_GLOBAL__N_116addr_kernel_cudaERNS_14TensorIteratorERKN3c106ScalarES9_ENKUlvE_clEvENKUlvE5_clEvEUlfffE0_EEvRNS_18TensorIteratorBaseERKT_EUlibE_EEviT1_,"axG",@progbits,_ZN2at6native32elementwise_kernel_manual_unrollILi128ELi4EZNS0_22gpu_kernel_impl_nocastIZZZNS0_12_GLOBAL__N_116addr_kernel_cudaERNS_14TensorIteratorERKN3c106ScalarES9_ENKUlvE_clEvENKUlvE5_clEvEUlfffE0_EEvRNS_18TensorIteratorBaseERKT_EUlibE_EEviT1_,comdat
.Lfunc_end125:
	.size	_ZN2at6native32elementwise_kernel_manual_unrollILi128ELi4EZNS0_22gpu_kernel_impl_nocastIZZZNS0_12_GLOBAL__N_116addr_kernel_cudaERNS_14TensorIteratorERKN3c106ScalarES9_ENKUlvE_clEvENKUlvE5_clEvEUlfffE0_EEvRNS_18TensorIteratorBaseERKT_EUlibE_EEviT1_, .Lfunc_end125-_ZN2at6native32elementwise_kernel_manual_unrollILi128ELi4EZNS0_22gpu_kernel_impl_nocastIZZZNS0_12_GLOBAL__N_116addr_kernel_cudaERNS_14TensorIteratorERKN3c106ScalarES9_ENKUlvE_clEvENKUlvE5_clEvEUlfffE0_EEvRNS_18TensorIteratorBaseERKT_EUlibE_EEviT1_
                                        ; -- End function
	.set _ZN2at6native32elementwise_kernel_manual_unrollILi128ELi4EZNS0_22gpu_kernel_impl_nocastIZZZNS0_12_GLOBAL__N_116addr_kernel_cudaERNS_14TensorIteratorERKN3c106ScalarES9_ENKUlvE_clEvENKUlvE5_clEvEUlfffE0_EEvRNS_18TensorIteratorBaseERKT_EUlibE_EEviT1_.num_vgpr, 28
	.set _ZN2at6native32elementwise_kernel_manual_unrollILi128ELi4EZNS0_22gpu_kernel_impl_nocastIZZZNS0_12_GLOBAL__N_116addr_kernel_cudaERNS_14TensorIteratorERKN3c106ScalarES9_ENKUlvE_clEvENKUlvE5_clEvEUlfffE0_EEvRNS_18TensorIteratorBaseERKT_EUlibE_EEviT1_.num_agpr, 0
	.set _ZN2at6native32elementwise_kernel_manual_unrollILi128ELi4EZNS0_22gpu_kernel_impl_nocastIZZZNS0_12_GLOBAL__N_116addr_kernel_cudaERNS_14TensorIteratorERKN3c106ScalarES9_ENKUlvE_clEvENKUlvE5_clEvEUlfffE0_EEvRNS_18TensorIteratorBaseERKT_EUlibE_EEviT1_.numbered_sgpr, 58
	.set _ZN2at6native32elementwise_kernel_manual_unrollILi128ELi4EZNS0_22gpu_kernel_impl_nocastIZZZNS0_12_GLOBAL__N_116addr_kernel_cudaERNS_14TensorIteratorERKN3c106ScalarES9_ENKUlvE_clEvENKUlvE5_clEvEUlfffE0_EEvRNS_18TensorIteratorBaseERKT_EUlibE_EEviT1_.num_named_barrier, 0
	.set _ZN2at6native32elementwise_kernel_manual_unrollILi128ELi4EZNS0_22gpu_kernel_impl_nocastIZZZNS0_12_GLOBAL__N_116addr_kernel_cudaERNS_14TensorIteratorERKN3c106ScalarES9_ENKUlvE_clEvENKUlvE5_clEvEUlfffE0_EEvRNS_18TensorIteratorBaseERKT_EUlibE_EEviT1_.private_seg_size, 0
	.set _ZN2at6native32elementwise_kernel_manual_unrollILi128ELi4EZNS0_22gpu_kernel_impl_nocastIZZZNS0_12_GLOBAL__N_116addr_kernel_cudaERNS_14TensorIteratorERKN3c106ScalarES9_ENKUlvE_clEvENKUlvE5_clEvEUlfffE0_EEvRNS_18TensorIteratorBaseERKT_EUlibE_EEviT1_.uses_vcc, 1
	.set _ZN2at6native32elementwise_kernel_manual_unrollILi128ELi4EZNS0_22gpu_kernel_impl_nocastIZZZNS0_12_GLOBAL__N_116addr_kernel_cudaERNS_14TensorIteratorERKN3c106ScalarES9_ENKUlvE_clEvENKUlvE5_clEvEUlfffE0_EEvRNS_18TensorIteratorBaseERKT_EUlibE_EEviT1_.uses_flat_scratch, 0
	.set _ZN2at6native32elementwise_kernel_manual_unrollILi128ELi4EZNS0_22gpu_kernel_impl_nocastIZZZNS0_12_GLOBAL__N_116addr_kernel_cudaERNS_14TensorIteratorERKN3c106ScalarES9_ENKUlvE_clEvENKUlvE5_clEvEUlfffE0_EEvRNS_18TensorIteratorBaseERKT_EUlibE_EEviT1_.has_dyn_sized_stack, 0
	.set _ZN2at6native32elementwise_kernel_manual_unrollILi128ELi4EZNS0_22gpu_kernel_impl_nocastIZZZNS0_12_GLOBAL__N_116addr_kernel_cudaERNS_14TensorIteratorERKN3c106ScalarES9_ENKUlvE_clEvENKUlvE5_clEvEUlfffE0_EEvRNS_18TensorIteratorBaseERKT_EUlibE_EEviT1_.has_recursion, 0
	.set _ZN2at6native32elementwise_kernel_manual_unrollILi128ELi4EZNS0_22gpu_kernel_impl_nocastIZZZNS0_12_GLOBAL__N_116addr_kernel_cudaERNS_14TensorIteratorERKN3c106ScalarES9_ENKUlvE_clEvENKUlvE5_clEvEUlfffE0_EEvRNS_18TensorIteratorBaseERKT_EUlibE_EEviT1_.has_indirect_call, 0
	.section	.AMDGPU.csdata,"",@progbits
; Kernel info:
; codeLenInByte = 5860
; TotalNumSgprs: 60
; NumVgprs: 28
; ScratchSize: 0
; MemoryBound: 0
; FloatMode: 240
; IeeeMode: 1
; LDSByteSize: 0 bytes/workgroup (compile time only)
; SGPRBlocks: 0
; VGPRBlocks: 1
; NumSGPRsForWavesPerEU: 60
; NumVGPRsForWavesPerEU: 28
; NamedBarCnt: 0
; Occupancy: 16
; WaveLimiterHint : 1
; COMPUTE_PGM_RSRC2:SCRATCH_EN: 0
; COMPUTE_PGM_RSRC2:USER_SGPR: 2
; COMPUTE_PGM_RSRC2:TRAP_HANDLER: 0
; COMPUTE_PGM_RSRC2:TGID_X_EN: 1
; COMPUTE_PGM_RSRC2:TGID_Y_EN: 0
; COMPUTE_PGM_RSRC2:TGID_Z_EN: 0
; COMPUTE_PGM_RSRC2:TIDIG_COMP_CNT: 0
	.section	.text._ZN2at6native32elementwise_kernel_manual_unrollILi128ELi4EZNS0_15gpu_kernel_implIZZZNS0_12_GLOBAL__N_116addr_kernel_cudaERNS_14TensorIteratorERKN3c106ScalarES9_ENKUlvE_clEvENKUlvE5_clEvEUlfffE0_EEvRNS_18TensorIteratorBaseERKT_EUlibE_EEviT1_,"axG",@progbits,_ZN2at6native32elementwise_kernel_manual_unrollILi128ELi4EZNS0_15gpu_kernel_implIZZZNS0_12_GLOBAL__N_116addr_kernel_cudaERNS_14TensorIteratorERKN3c106ScalarES9_ENKUlvE_clEvENKUlvE5_clEvEUlfffE0_EEvRNS_18TensorIteratorBaseERKT_EUlibE_EEviT1_,comdat
	.globl	_ZN2at6native32elementwise_kernel_manual_unrollILi128ELi4EZNS0_15gpu_kernel_implIZZZNS0_12_GLOBAL__N_116addr_kernel_cudaERNS_14TensorIteratorERKN3c106ScalarES9_ENKUlvE_clEvENKUlvE5_clEvEUlfffE0_EEvRNS_18TensorIteratorBaseERKT_EUlibE_EEviT1_ ; -- Begin function _ZN2at6native32elementwise_kernel_manual_unrollILi128ELi4EZNS0_15gpu_kernel_implIZZZNS0_12_GLOBAL__N_116addr_kernel_cudaERNS_14TensorIteratorERKN3c106ScalarES9_ENKUlvE_clEvENKUlvE5_clEvEUlfffE0_EEvRNS_18TensorIteratorBaseERKT_EUlibE_EEviT1_
	.p2align	8
	.type	_ZN2at6native32elementwise_kernel_manual_unrollILi128ELi4EZNS0_15gpu_kernel_implIZZZNS0_12_GLOBAL__N_116addr_kernel_cudaERNS_14TensorIteratorERKN3c106ScalarES9_ENKUlvE_clEvENKUlvE5_clEvEUlfffE0_EEvRNS_18TensorIteratorBaseERKT_EUlibE_EEviT1_,@function
_ZN2at6native32elementwise_kernel_manual_unrollILi128ELi4EZNS0_15gpu_kernel_implIZZZNS0_12_GLOBAL__N_116addr_kernel_cudaERNS_14TensorIteratorERKN3c106ScalarES9_ENKUlvE_clEvENKUlvE5_clEvEUlfffE0_EEvRNS_18TensorIteratorBaseERKT_EUlibE_EEviT1_: ; @_ZN2at6native32elementwise_kernel_manual_unrollILi128ELi4EZNS0_15gpu_kernel_implIZZZNS0_12_GLOBAL__N_116addr_kernel_cudaERNS_14TensorIteratorERKN3c106ScalarES9_ENKUlvE_clEvENKUlvE5_clEvEUlfffE0_EEvRNS_18TensorIteratorBaseERKT_EUlibE_EEviT1_
; %bb.0:
	s_clause 0x1
	s_load_b96 s[16:18], s[0:1], 0x38
	s_load_b128 s[12:15], s[0:1], 0x28
	s_bfe_u32 s2, ttmp6, 0x4000c
	s_clause 0x1
	s_load_b32 s22, s[0:1], 0x0
	s_load_b256 s[4:11], s[0:1], 0x8
	s_add_co_i32 s2, s2, 1
	s_and_b32 s3, ttmp6, 15
	s_wait_xcnt 0x0
	s_mul_i32 s0, ttmp9, s2
	s_getreg_b32 s20, hwreg(HW_REG_IB_STS2, 6, 4)
	s_add_co_i32 s3, s3, s0
	s_mov_b32 s21, 0
	s_wait_kmcnt 0x0
	s_lshr_b32 s2, s18, 16
	s_lshr_b32 s19, s18, 8
	;; [unrolled: 1-line block ×3, first 2 shown]
	s_cmp_eq_u32 s20, 0
	s_cselect_b32 s0, ttmp9, s3
	s_mov_b32 s3, 0
	v_lshl_or_b32 v8, s0, 9, v0
	s_mov_b32 s0, exec_lo
	s_delay_alu instid0(VALU_DEP_1) | instskip(NEXT) | instid1(VALU_DEP_1)
	v_or_b32_e32 v0, 0x180, v8
	v_cmpx_le_i32_e64 s22, v0
	s_xor_b32 s20, exec_lo, s0
	s_cbranch_execz .LBB126_2063
; %bb.1:
	s_mov_b32 s30, -1
	s_mov_b32 s27, 0
	s_mov_b32 s25, 0
	;; [unrolled: 1-line block ×4, first 2 shown]
	s_mov_b32 s26, exec_lo
	v_cmpx_gt_i32_e64 s22, v8
	s_cbranch_execz .LBB126_512
; %bb.2:
	v_mul_lo_u32 v0, v8, s13
	s_and_b32 s0, s19, 0xff
	s_delay_alu instid0(SALU_CYCLE_1) | instskip(NEXT) | instid1(VALU_DEP_1)
	s_cmp_lt_i32 s0, 11
	v_ashrrev_i32_e32 v1, 31, v0
	s_delay_alu instid0(VALU_DEP_1)
	v_add_nc_u64_e32 v[0:1], s[6:7], v[0:1]
	s_cbranch_scc1 .LBB126_9
; %bb.3:
	s_and_b32 s21, 0xffff, s0
	s_delay_alu instid0(SALU_CYCLE_1)
	s_cmp_gt_i32 s21, 25
	s_cbranch_scc0 .LBB126_18
; %bb.4:
	s_cmp_gt_i32 s21, 28
	s_cbranch_scc0 .LBB126_28
; %bb.5:
	;; [unrolled: 3-line block ×4, first 2 shown]
	s_cmp_eq_u32 s21, 46
	s_cbranch_scc0 .LBB126_37
; %bb.8:
	global_load_b32 v2, v[0:1], off
	s_mov_b32 s23, -1
	s_wait_loadcnt 0x0
	v_lshlrev_b32_e32 v3, 16, v2
	s_branch .LBB126_39
.LBB126_9:
                                        ; implicit-def: $vgpr3
	s_cbranch_execnz .LBB126_105
.LBB126_10:
	s_and_not1_b32 vcc_lo, exec_lo, s23
	s_cbranch_vccnz .LBB126_152
.LBB126_11:
	s_wait_xcnt 0x0
	v_mul_lo_u32 v0, v8, s14
	s_and_b32 s0, s2, 0xff
	s_delay_alu instid0(SALU_CYCLE_1) | instskip(NEXT) | instid1(VALU_DEP_1)
	s_cmp_lt_i32 s0, 11
	v_ashrrev_i32_e32 v1, 31, v0
	s_delay_alu instid0(VALU_DEP_1)
	v_add_nc_u64_e32 v[0:1], s[8:9], v[0:1]
	s_cbranch_scc1 .LBB126_19
; %bb.12:
	s_and_b32 s21, 0xffff, s0
	s_delay_alu instid0(SALU_CYCLE_1)
	s_cmp_gt_i32 s21, 25
	s_cbranch_scc0 .LBB126_29
; %bb.13:
	s_cmp_gt_i32 s21, 28
	s_cbranch_scc0 .LBB126_32
; %bb.14:
	;; [unrolled: 3-line block ×4, first 2 shown]
	s_cmp_eq_u32 s21, 46
	s_mov_b32 s28, 0
	s_cbranch_scc0 .LBB126_153
; %bb.17:
	global_load_b32 v2, v[0:1], off
	s_mov_b32 s23, -1
	s_mov_b32 s24, 0
	s_wait_loadcnt 0x0
	v_lshlrev_b32_e32 v2, 16, v2
	s_branch .LBB126_155
.LBB126_18:
                                        ; implicit-def: $vgpr3
	s_cbranch_execnz .LBB126_70
	s_branch .LBB126_104
.LBB126_19:
	s_mov_b32 s24, 0
	s_mov_b32 s23, 0
                                        ; implicit-def: $vgpr2
	s_cbranch_execnz .LBB126_221
.LBB126_20:
	s_and_not1_b32 vcc_lo, exec_lo, s23
	s_cbranch_vccnz .LBB126_269
.LBB126_21:
	s_wait_xcnt 0x0
	v_mul_lo_u32 v0, v8, s15
	s_and_b32 s0, 0xffff, s1
	s_delay_alu instid0(SALU_CYCLE_1) | instskip(NEXT) | instid1(VALU_DEP_1)
	s_cmp_lt_i32 s0, 11
	v_ashrrev_i32_e32 v1, 31, v0
	s_delay_alu instid0(VALU_DEP_1)
	v_add_nc_u64_e32 v[0:1], s[10:11], v[0:1]
	s_cbranch_scc1 .LBB126_30
; %bb.22:
	s_cmp_gt_i32 s0, 25
	s_cbranch_scc0 .LBB126_33
; %bb.23:
	s_cmp_gt_i32 s0, 28
	s_cbranch_scc0 .LBB126_36
	;; [unrolled: 3-line block ×4, first 2 shown]
; %bb.26:
	s_cmp_eq_u32 s0, 46
	s_mov_b32 s28, 0
	s_cbranch_scc0 .LBB126_270
; %bb.27:
	global_load_b32 v4, v[0:1], off
	s_mov_b32 s21, -1
	s_mov_b32 s23, 0
	s_wait_loadcnt 0x0
	v_lshlrev_b32_e32 v4, 16, v4
	s_branch .LBB126_272
.LBB126_28:
	s_mov_b32 s24, -1
                                        ; implicit-def: $vgpr3
	s_branch .LBB126_51
.LBB126_29:
	s_mov_b32 s28, -1
	s_mov_b32 s24, 0
	s_mov_b32 s23, 0
                                        ; implicit-def: $vgpr2
	s_branch .LBB126_185
.LBB126_30:
	s_mov_b32 s28, -1
	s_mov_b32 s23, 0
	s_mov_b32 s21, 0
                                        ; implicit-def: $vgpr4
	s_branch .LBB126_337
.LBB126_31:
	s_mov_b32 s24, -1
                                        ; implicit-def: $vgpr3
	s_branch .LBB126_46
.LBB126_32:
	s_mov_b32 s28, -1
	s_mov_b32 s24, 0
	s_mov_b32 s23, 0
                                        ; implicit-def: $vgpr2
	s_branch .LBB126_166
.LBB126_33:
	s_mov_b32 s28, -1
	s_mov_b32 s23, 0
	s_mov_b32 s21, 0
                                        ; implicit-def: $vgpr4
	s_branch .LBB126_301
.LBB126_34:
	s_mov_b32 s24, -1
	s_branch .LBB126_38
.LBB126_35:
	s_mov_b32 s28, -1
	s_mov_b32 s24, 0
	s_mov_b32 s23, 0
                                        ; implicit-def: $vgpr2
	s_branch .LBB126_161
.LBB126_36:
	s_mov_b32 s28, -1
	s_mov_b32 s23, 0
	s_mov_b32 s21, 0
                                        ; implicit-def: $vgpr4
	s_branch .LBB126_282
.LBB126_37:
	s_mov_b32 s25, -1
.LBB126_38:
                                        ; implicit-def: $vgpr3
.LBB126_39:
	s_and_b32 vcc_lo, exec_lo, s24
	s_cbranch_vccz .LBB126_45
; %bb.40:
	s_cmp_eq_u32 s21, 44
	s_cbranch_scc0 .LBB126_44
; %bb.41:
	global_load_u8 v2, v[0:1], off
	s_mov_b32 s25, 0
	s_mov_b32 s23, -1
	s_wait_loadcnt 0x0
	v_lshlrev_b32_e32 v3, 23, v2
	v_cmp_ne_u32_e32 vcc_lo, 0xff, v2
	s_delay_alu instid0(VALU_DEP_2) | instskip(SKIP_1) | instid1(VALU_DEP_2)
	v_cndmask_b32_e32 v3, 0x7f800001, v3, vcc_lo
	v_cmp_ne_u32_e32 vcc_lo, 0, v2
	v_cndmask_b32_e32 v3, 0x400000, v3, vcc_lo
	s_branch .LBB126_45
.LBB126_42:
	s_mov_b32 s28, -1
	s_mov_b32 s24, 0
	s_branch .LBB126_154
.LBB126_43:
	s_mov_b32 s28, -1
	s_mov_b32 s23, 0
	s_mov_b32 s21, 0
                                        ; implicit-def: $vgpr4
	s_branch .LBB126_277
.LBB126_44:
	s_mov_b32 s25, -1
                                        ; implicit-def: $vgpr3
.LBB126_45:
	s_mov_b32 s24, 0
.LBB126_46:
	s_delay_alu instid0(SALU_CYCLE_1)
	s_and_b32 vcc_lo, exec_lo, s24
	s_cbranch_vccz .LBB126_50
; %bb.47:
	s_cmp_eq_u32 s21, 29
	s_cbranch_scc0 .LBB126_49
; %bb.48:
	global_load_b64 v[2:3], v[0:1], off
	s_mov_b32 s23, -1
	s_mov_b32 s25, 0
	s_mov_b32 s24, 0
	s_wait_loadcnt 0x0
	v_clz_i32_u32_e32 v4, v3
	s_delay_alu instid0(VALU_DEP_1) | instskip(NEXT) | instid1(VALU_DEP_1)
	v_min_u32_e32 v4, 32, v4
	v_lshlrev_b64_e32 v[2:3], v4, v[2:3]
	s_delay_alu instid0(VALU_DEP_1) | instskip(NEXT) | instid1(VALU_DEP_1)
	v_min_u32_e32 v2, 1, v2
	v_dual_sub_nc_u32 v3, 32, v4 :: v_dual_bitop2_b32 v2, v3, v2 bitop3:0x54
	s_delay_alu instid0(VALU_DEP_1) | instskip(NEXT) | instid1(VALU_DEP_1)
	v_cvt_f32_u32_e32 v2, v2
	v_ldexp_f32 v3, v2, v3
	s_branch .LBB126_51
.LBB126_49:
	s_mov_b32 s25, -1
                                        ; implicit-def: $vgpr3
.LBB126_50:
	s_mov_b32 s24, 0
.LBB126_51:
	s_delay_alu instid0(SALU_CYCLE_1)
	s_and_b32 vcc_lo, exec_lo, s24
	s_cbranch_vccz .LBB126_69
; %bb.52:
	s_cmp_lt_i32 s21, 27
	s_cbranch_scc1 .LBB126_55
; %bb.53:
	s_cmp_gt_i32 s21, 27
	s_cbranch_scc0 .LBB126_56
; %bb.54:
	global_load_b32 v2, v[0:1], off
	s_mov_b32 s23, 0
	s_wait_loadcnt 0x0
	v_cvt_f32_u32_e32 v3, v2
	s_branch .LBB126_57
.LBB126_55:
	s_mov_b32 s23, -1
                                        ; implicit-def: $vgpr3
	s_branch .LBB126_60
.LBB126_56:
	s_mov_b32 s23, -1
                                        ; implicit-def: $vgpr3
.LBB126_57:
	s_delay_alu instid0(SALU_CYCLE_1)
	s_and_not1_b32 vcc_lo, exec_lo, s23
	s_cbranch_vccnz .LBB126_59
; %bb.58:
	global_load_u16 v2, v[0:1], off
	s_wait_loadcnt 0x0
	v_cvt_f32_u32_e32 v3, v2
.LBB126_59:
	s_mov_b32 s23, 0
.LBB126_60:
	s_delay_alu instid0(SALU_CYCLE_1)
	s_and_not1_b32 vcc_lo, exec_lo, s23
	s_cbranch_vccnz .LBB126_68
; %bb.61:
	global_load_u8 v2, v[0:1], off
	s_mov_b32 s23, 0
	s_mov_b32 s24, exec_lo
	s_wait_loadcnt 0x0
	v_cmpx_lt_i16_e32 0x7f, v2
	s_xor_b32 s24, exec_lo, s24
	s_cbranch_execz .LBB126_81
; %bb.62:
	s_mov_b32 s23, -1
	s_mov_b32 s28, exec_lo
	v_cmpx_eq_u16_e32 0x80, v2
; %bb.63:
	s_xor_b32 s23, exec_lo, -1
; %bb.64:
	s_or_b32 exec_lo, exec_lo, s28
	s_delay_alu instid0(SALU_CYCLE_1)
	s_and_b32 s23, s23, exec_lo
	s_or_saveexec_b32 s24, s24
	v_mov_b32_e32 v3, 0x7f800001
	s_xor_b32 exec_lo, exec_lo, s24
	s_cbranch_execnz .LBB126_82
.LBB126_65:
	s_or_b32 exec_lo, exec_lo, s24
	s_and_saveexec_b32 s24, s23
	s_cbranch_execz .LBB126_67
.LBB126_66:
	v_and_b32_e32 v3, 0xffff, v2
	s_delay_alu instid0(VALU_DEP_1) | instskip(SKIP_1) | instid1(VALU_DEP_2)
	v_and_b32_e32 v4, 7, v3
	v_bfe_u32 v7, v3, 3, 4
	v_clz_i32_u32_e32 v5, v4
	s_delay_alu instid0(VALU_DEP_2) | instskip(NEXT) | instid1(VALU_DEP_2)
	v_cmp_eq_u32_e32 vcc_lo, 0, v7
	v_min_u32_e32 v5, 32, v5
	s_delay_alu instid0(VALU_DEP_1) | instskip(NEXT) | instid1(VALU_DEP_1)
	v_subrev_nc_u32_e32 v6, 28, v5
	v_dual_lshlrev_b32 v3, v6, v3 :: v_dual_sub_nc_u32 v5, 29, v5
	s_delay_alu instid0(VALU_DEP_1) | instskip(NEXT) | instid1(VALU_DEP_1)
	v_dual_lshlrev_b32 v2, 24, v2 :: v_dual_bitop2_b32 v3, 7, v3 bitop3:0x40
	v_dual_cndmask_b32 v5, v7, v5, vcc_lo :: v_dual_cndmask_b32 v3, v4, v3, vcc_lo
	s_delay_alu instid0(VALU_DEP_2) | instskip(NEXT) | instid1(VALU_DEP_2)
	v_and_b32_e32 v2, 0x80000000, v2
	v_lshl_add_u32 v4, v5, 23, 0x3b800000
	s_delay_alu instid0(VALU_DEP_3) | instskip(NEXT) | instid1(VALU_DEP_1)
	v_lshlrev_b32_e32 v3, 20, v3
	v_or3_b32 v3, v2, v4, v3
.LBB126_67:
	s_or_b32 exec_lo, exec_lo, s24
.LBB126_68:
	s_mov_b32 s23, -1
.LBB126_69:
	s_branch .LBB126_104
.LBB126_70:
	s_cmp_gt_i32 s21, 22
	s_cbranch_scc0 .LBB126_80
; %bb.71:
	s_cmp_lt_i32 s21, 24
	s_cbranch_scc1 .LBB126_83
; %bb.72:
	s_cmp_gt_i32 s21, 24
	s_cbranch_scc0 .LBB126_84
; %bb.73:
	global_load_u8 v2, v[0:1], off
	s_mov_b32 s23, 0
	s_mov_b32 s24, exec_lo
	s_wait_loadcnt 0x0
	v_cmpx_lt_i16_e32 0x7f, v2
	s_xor_b32 s24, exec_lo, s24
	s_cbranch_execz .LBB126_96
; %bb.74:
	s_mov_b32 s23, -1
	s_mov_b32 s28, exec_lo
	v_cmpx_eq_u16_e32 0x80, v2
; %bb.75:
	s_xor_b32 s23, exec_lo, -1
; %bb.76:
	s_or_b32 exec_lo, exec_lo, s28
	s_delay_alu instid0(SALU_CYCLE_1)
	s_and_b32 s23, s23, exec_lo
	s_or_saveexec_b32 s24, s24
	v_mov_b32_e32 v3, 0x7f800001
	s_xor_b32 exec_lo, exec_lo, s24
	s_cbranch_execnz .LBB126_97
.LBB126_77:
	s_or_b32 exec_lo, exec_lo, s24
	s_and_saveexec_b32 s24, s23
	s_cbranch_execz .LBB126_79
.LBB126_78:
	v_and_b32_e32 v3, 0xffff, v2
	s_delay_alu instid0(VALU_DEP_1) | instskip(SKIP_1) | instid1(VALU_DEP_2)
	v_and_b32_e32 v4, 3, v3
	v_bfe_u32 v7, v3, 2, 5
	v_clz_i32_u32_e32 v5, v4
	s_delay_alu instid0(VALU_DEP_2) | instskip(NEXT) | instid1(VALU_DEP_2)
	v_cmp_eq_u32_e32 vcc_lo, 0, v7
	v_min_u32_e32 v5, 32, v5
	s_delay_alu instid0(VALU_DEP_1) | instskip(NEXT) | instid1(VALU_DEP_1)
	v_subrev_nc_u32_e32 v6, 29, v5
	v_dual_lshlrev_b32 v3, v6, v3 :: v_dual_sub_nc_u32 v5, 30, v5
	s_delay_alu instid0(VALU_DEP_1) | instskip(NEXT) | instid1(VALU_DEP_1)
	v_dual_lshlrev_b32 v2, 24, v2 :: v_dual_bitop2_b32 v3, 3, v3 bitop3:0x40
	v_dual_cndmask_b32 v5, v7, v5, vcc_lo :: v_dual_cndmask_b32 v3, v4, v3, vcc_lo
	s_delay_alu instid0(VALU_DEP_2) | instskip(NEXT) | instid1(VALU_DEP_2)
	v_and_b32_e32 v2, 0x80000000, v2
	v_lshl_add_u32 v4, v5, 23, 0x37800000
	s_delay_alu instid0(VALU_DEP_3) | instskip(NEXT) | instid1(VALU_DEP_1)
	v_lshlrev_b32_e32 v3, 21, v3
	v_or3_b32 v3, v2, v4, v3
.LBB126_79:
	s_or_b32 exec_lo, exec_lo, s24
	s_mov_b32 s23, 0
	s_branch .LBB126_85
.LBB126_80:
	s_mov_b32 s24, -1
                                        ; implicit-def: $vgpr3
	s_branch .LBB126_91
.LBB126_81:
	s_or_saveexec_b32 s24, s24
	v_mov_b32_e32 v3, 0x7f800001
	s_xor_b32 exec_lo, exec_lo, s24
	s_cbranch_execz .LBB126_65
.LBB126_82:
	v_cmp_ne_u16_e32 vcc_lo, 0, v2
	v_mov_b32_e32 v3, 0
	s_and_not1_b32 s23, s23, exec_lo
	s_and_b32 s28, vcc_lo, exec_lo
	s_delay_alu instid0(SALU_CYCLE_1)
	s_or_b32 s23, s23, s28
	s_or_b32 exec_lo, exec_lo, s24
	s_and_saveexec_b32 s24, s23
	s_cbranch_execnz .LBB126_66
	s_branch .LBB126_67
.LBB126_83:
	s_mov_b32 s23, -1
                                        ; implicit-def: $vgpr3
	s_branch .LBB126_88
.LBB126_84:
	s_mov_b32 s23, -1
                                        ; implicit-def: $vgpr3
.LBB126_85:
	s_delay_alu instid0(SALU_CYCLE_1)
	s_and_b32 vcc_lo, exec_lo, s23
	s_cbranch_vccz .LBB126_87
; %bb.86:
	global_load_u8 v2, v[0:1], off
	s_wait_loadcnt 0x0
	v_lshlrev_b32_e32 v2, 24, v2
	s_delay_alu instid0(VALU_DEP_1) | instskip(NEXT) | instid1(VALU_DEP_1)
	v_and_b32_e32 v3, 0x7f000000, v2
	v_clz_i32_u32_e32 v4, v3
	v_cmp_ne_u32_e32 vcc_lo, 0, v3
	v_add_nc_u32_e32 v6, 0x1000000, v3
	s_delay_alu instid0(VALU_DEP_3) | instskip(NEXT) | instid1(VALU_DEP_1)
	v_min_u32_e32 v4, 32, v4
	v_sub_nc_u32_e64 v4, v4, 4 clamp
	s_delay_alu instid0(VALU_DEP_1) | instskip(NEXT) | instid1(VALU_DEP_1)
	v_dual_lshlrev_b32 v5, v4, v3 :: v_dual_lshlrev_b32 v4, 23, v4
	v_lshrrev_b32_e32 v5, 4, v5
	s_delay_alu instid0(VALU_DEP_1) | instskip(NEXT) | instid1(VALU_DEP_1)
	v_dual_sub_nc_u32 v4, v5, v4 :: v_dual_ashrrev_i32 v5, 8, v6
	v_add_nc_u32_e32 v4, 0x3c000000, v4
	s_delay_alu instid0(VALU_DEP_1) | instskip(NEXT) | instid1(VALU_DEP_1)
	v_and_or_b32 v4, 0x7f800000, v5, v4
	v_cndmask_b32_e32 v3, 0, v4, vcc_lo
	s_delay_alu instid0(VALU_DEP_1)
	v_and_or_b32 v3, 0x80000000, v2, v3
.LBB126_87:
	s_mov_b32 s23, 0
.LBB126_88:
	s_delay_alu instid0(SALU_CYCLE_1)
	s_and_not1_b32 vcc_lo, exec_lo, s23
	s_cbranch_vccnz .LBB126_90
; %bb.89:
	global_load_u8 v2, v[0:1], off
	s_wait_loadcnt 0x0
	v_lshlrev_b32_e32 v3, 25, v2
	v_lshlrev_b16 v2, 8, v2
	s_delay_alu instid0(VALU_DEP_1) | instskip(SKIP_1) | instid1(VALU_DEP_2)
	v_and_or_b32 v5, 0x7f00, v2, 0.5
	v_bfe_i32 v2, v2, 0, 16
	v_dual_add_f32 v5, -0.5, v5 :: v_dual_lshrrev_b32 v4, 4, v3
	v_cmp_gt_u32_e32 vcc_lo, 0x8000000, v3
	s_delay_alu instid0(VALU_DEP_2) | instskip(NEXT) | instid1(VALU_DEP_1)
	v_or_b32_e32 v4, 0x70000000, v4
	v_mul_f32_e32 v4, 0x7800000, v4
	s_delay_alu instid0(VALU_DEP_1) | instskip(NEXT) | instid1(VALU_DEP_1)
	v_cndmask_b32_e32 v3, v4, v5, vcc_lo
	v_and_or_b32 v3, 0x80000000, v2, v3
.LBB126_90:
	s_mov_b32 s24, 0
	s_mov_b32 s23, -1
.LBB126_91:
	s_and_not1_b32 vcc_lo, exec_lo, s24
	s_cbranch_vccnz .LBB126_104
; %bb.92:
	s_cmp_gt_i32 s21, 14
	s_cbranch_scc0 .LBB126_95
; %bb.93:
	s_cmp_eq_u32 s21, 15
	s_cbranch_scc0 .LBB126_98
; %bb.94:
	global_load_u16 v2, v[0:1], off
	s_mov_b32 s23, -1
	s_mov_b32 s25, 0
	s_wait_loadcnt 0x0
	v_lshlrev_b32_e32 v3, 16, v2
	s_branch .LBB126_99
.LBB126_95:
	s_mov_b32 s24, -1
                                        ; implicit-def: $vgpr3
	s_branch .LBB126_100
.LBB126_96:
	s_or_saveexec_b32 s24, s24
	v_mov_b32_e32 v3, 0x7f800001
	s_xor_b32 exec_lo, exec_lo, s24
	s_cbranch_execz .LBB126_77
.LBB126_97:
	v_cmp_ne_u16_e32 vcc_lo, 0, v2
	v_mov_b32_e32 v3, 0
	s_and_not1_b32 s23, s23, exec_lo
	s_and_b32 s28, vcc_lo, exec_lo
	s_delay_alu instid0(SALU_CYCLE_1)
	s_or_b32 s23, s23, s28
	s_or_b32 exec_lo, exec_lo, s24
	s_and_saveexec_b32 s24, s23
	s_cbranch_execnz .LBB126_78
	s_branch .LBB126_79
.LBB126_98:
	s_mov_b32 s25, -1
                                        ; implicit-def: $vgpr3
.LBB126_99:
	s_mov_b32 s24, 0
.LBB126_100:
	s_delay_alu instid0(SALU_CYCLE_1)
	s_and_b32 vcc_lo, exec_lo, s24
	s_cbranch_vccz .LBB126_104
; %bb.101:
	s_cmp_eq_u32 s21, 11
	s_cbranch_scc0 .LBB126_103
; %bb.102:
	global_load_u8 v2, v[0:1], off
	s_mov_b32 s25, 0
	s_mov_b32 s23, -1
	s_wait_loadcnt 0x0
	v_cmp_ne_u16_e32 vcc_lo, 0, v2
	v_cndmask_b32_e64 v3, 0, 1.0, vcc_lo
	s_branch .LBB126_104
.LBB126_103:
	s_mov_b32 s25, -1
                                        ; implicit-def: $vgpr3
.LBB126_104:
	s_branch .LBB126_10
.LBB126_105:
	s_and_b32 s0, 0xffff, s0
	s_delay_alu instid0(SALU_CYCLE_1)
	s_cmp_lt_i32 s0, 5
	s_cbranch_scc1 .LBB126_110
; %bb.106:
	s_cmp_lt_i32 s0, 8
	s_cbranch_scc1 .LBB126_111
; %bb.107:
	;; [unrolled: 3-line block ×3, first 2 shown]
	s_cmp_gt_i32 s0, 9
	s_cbranch_scc0 .LBB126_113
; %bb.109:
	global_load_b64 v[2:3], v[0:1], off
	s_mov_b32 s21, 0
	s_wait_loadcnt 0x0
	v_cvt_f32_f64_e32 v3, v[2:3]
	s_branch .LBB126_114
.LBB126_110:
                                        ; implicit-def: $vgpr3
	s_branch .LBB126_132
.LBB126_111:
	s_mov_b32 s21, -1
                                        ; implicit-def: $vgpr3
	s_branch .LBB126_120
.LBB126_112:
	s_mov_b32 s21, -1
                                        ; implicit-def: $vgpr3
	s_branch .LBB126_117
.LBB126_113:
	s_mov_b32 s21, -1
                                        ; implicit-def: $vgpr3
.LBB126_114:
	s_delay_alu instid0(SALU_CYCLE_1)
	s_and_not1_b32 vcc_lo, exec_lo, s21
	s_cbranch_vccnz .LBB126_116
; %bb.115:
	global_load_b32 v3, v[0:1], off
.LBB126_116:
	s_mov_b32 s21, 0
.LBB126_117:
	s_delay_alu instid0(SALU_CYCLE_1)
	s_and_not1_b32 vcc_lo, exec_lo, s21
	s_cbranch_vccnz .LBB126_119
; %bb.118:
	global_load_b32 v2, v[0:1], off
	s_wait_loadcnt 0x0
	v_cvt_f32_f16_e32 v3, v2
.LBB126_119:
	s_mov_b32 s21, 0
.LBB126_120:
	s_delay_alu instid0(SALU_CYCLE_1)
	s_and_not1_b32 vcc_lo, exec_lo, s21
	s_cbranch_vccnz .LBB126_131
; %bb.121:
	s_cmp_lt_i32 s0, 6
	s_cbranch_scc1 .LBB126_124
; %bb.122:
	s_cmp_gt_i32 s0, 6
	s_cbranch_scc0 .LBB126_125
; %bb.123:
	s_wait_loadcnt 0x0
	global_load_b64 v[2:3], v[0:1], off
	s_mov_b32 s21, 0
	s_wait_loadcnt 0x0
	v_cvt_f32_f64_e32 v3, v[2:3]
	s_branch .LBB126_126
.LBB126_124:
	s_mov_b32 s21, -1
                                        ; implicit-def: $vgpr3
	s_branch .LBB126_129
.LBB126_125:
	s_mov_b32 s21, -1
                                        ; implicit-def: $vgpr3
.LBB126_126:
	s_delay_alu instid0(SALU_CYCLE_1)
	s_and_not1_b32 vcc_lo, exec_lo, s21
	s_cbranch_vccnz .LBB126_128
; %bb.127:
	s_wait_loadcnt 0x0
	global_load_b32 v3, v[0:1], off
.LBB126_128:
	s_mov_b32 s21, 0
.LBB126_129:
	s_delay_alu instid0(SALU_CYCLE_1)
	s_and_not1_b32 vcc_lo, exec_lo, s21
	s_cbranch_vccnz .LBB126_131
; %bb.130:
	global_load_u16 v2, v[0:1], off
	s_wait_loadcnt 0x0
	v_cvt_f32_f16_e32 v3, v2
.LBB126_131:
	s_cbranch_execnz .LBB126_151
.LBB126_132:
	s_cmp_lt_i32 s0, 2
	s_cbranch_scc1 .LBB126_136
; %bb.133:
	s_cmp_lt_i32 s0, 3
	s_cbranch_scc1 .LBB126_137
; %bb.134:
	s_cmp_gt_i32 s0, 3
	s_cbranch_scc0 .LBB126_138
; %bb.135:
	s_wait_loadcnt 0x0
	global_load_b64 v[2:3], v[0:1], off
	s_mov_b32 s21, 0
	s_wait_loadcnt 0x0
	v_xor_b32_e32 v4, v2, v3
	v_cls_i32_e32 v5, v3
	s_delay_alu instid0(VALU_DEP_2) | instskip(NEXT) | instid1(VALU_DEP_1)
	v_ashrrev_i32_e32 v4, 31, v4
	v_add_nc_u32_e32 v4, 32, v4
	s_delay_alu instid0(VALU_DEP_1) | instskip(NEXT) | instid1(VALU_DEP_1)
	v_add_min_u32_e64 v4, v5, -1, v4
	v_lshlrev_b64_e32 v[2:3], v4, v[2:3]
	s_delay_alu instid0(VALU_DEP_1) | instskip(NEXT) | instid1(VALU_DEP_1)
	v_min_u32_e32 v2, 1, v2
	v_dual_sub_nc_u32 v3, 32, v4 :: v_dual_bitop2_b32 v2, v3, v2 bitop3:0x54
	s_delay_alu instid0(VALU_DEP_1) | instskip(NEXT) | instid1(VALU_DEP_1)
	v_cvt_f32_i32_e32 v2, v2
	v_ldexp_f32 v3, v2, v3
	s_branch .LBB126_139
.LBB126_136:
	s_mov_b32 s21, -1
                                        ; implicit-def: $vgpr3
	s_branch .LBB126_145
.LBB126_137:
	s_mov_b32 s21, -1
                                        ; implicit-def: $vgpr3
	s_branch .LBB126_142
.LBB126_138:
	s_mov_b32 s21, -1
                                        ; implicit-def: $vgpr3
.LBB126_139:
	s_delay_alu instid0(SALU_CYCLE_1)
	s_and_not1_b32 vcc_lo, exec_lo, s21
	s_cbranch_vccnz .LBB126_141
; %bb.140:
	global_load_b32 v2, v[0:1], off
	s_wait_loadcnt 0x0
	v_cvt_f32_i32_e32 v3, v2
.LBB126_141:
	s_mov_b32 s21, 0
.LBB126_142:
	s_delay_alu instid0(SALU_CYCLE_1)
	s_and_not1_b32 vcc_lo, exec_lo, s21
	s_cbranch_vccnz .LBB126_144
; %bb.143:
	global_load_i16 v2, v[0:1], off
	s_wait_loadcnt 0x0
	v_cvt_f32_i32_e32 v3, v2
.LBB126_144:
	s_mov_b32 s21, 0
.LBB126_145:
	s_delay_alu instid0(SALU_CYCLE_1)
	s_and_not1_b32 vcc_lo, exec_lo, s21
	s_cbranch_vccnz .LBB126_151
; %bb.146:
	s_cmp_gt_i32 s0, 0
	s_mov_b32 s0, 0
	s_cbranch_scc0 .LBB126_148
; %bb.147:
	global_load_i8 v2, v[0:1], off
	s_wait_loadcnt 0x0
	v_cvt_f32_i32_e32 v3, v2
	s_branch .LBB126_149
.LBB126_148:
	s_mov_b32 s0, -1
                                        ; implicit-def: $vgpr3
.LBB126_149:
	s_delay_alu instid0(SALU_CYCLE_1)
	s_and_not1_b32 vcc_lo, exec_lo, s0
	s_cbranch_vccnz .LBB126_151
; %bb.150:
	global_load_u8 v0, v[0:1], off
	s_wait_loadcnt 0x0
	v_cvt_f32_ubyte0_e32 v3, v0
.LBB126_151:
	s_branch .LBB126_11
.LBB126_152:
	s_mov_b32 s0, 0
	s_mov_b32 s23, 0
	;; [unrolled: 1-line block ×3, first 2 shown]
	s_branch .LBB126_510
.LBB126_153:
	s_mov_b32 s24, -1
.LBB126_154:
	s_mov_b32 s23, 0
                                        ; implicit-def: $vgpr2
.LBB126_155:
	s_and_b32 vcc_lo, exec_lo, s28
	s_cbranch_vccz .LBB126_160
; %bb.156:
	s_cmp_eq_u32 s21, 44
	s_cbranch_scc0 .LBB126_159
; %bb.157:
	global_load_u8 v2, v[0:1], off
	s_mov_b32 s24, 0
	s_mov_b32 s23, -1
	s_wait_loadcnt 0x0
	v_lshlrev_b32_e32 v4, 23, v2
	v_cmp_ne_u32_e32 vcc_lo, 0xff, v2
	s_delay_alu instid0(VALU_DEP_2) | instskip(SKIP_1) | instid1(VALU_DEP_2)
	v_cndmask_b32_e32 v4, 0x7f800001, v4, vcc_lo
	v_cmp_ne_u32_e32 vcc_lo, 0, v2
	v_cndmask_b32_e32 v2, 0x400000, v4, vcc_lo
	s_branch .LBB126_160
.LBB126_158:
	s_mov_b32 s28, -1
	s_mov_b32 s23, 0
	s_branch .LBB126_271
.LBB126_159:
	s_mov_b32 s24, -1
                                        ; implicit-def: $vgpr2
.LBB126_160:
	s_mov_b32 s28, 0
.LBB126_161:
	s_delay_alu instid0(SALU_CYCLE_1)
	s_and_b32 vcc_lo, exec_lo, s28
	s_cbranch_vccz .LBB126_165
; %bb.162:
	s_cmp_eq_u32 s21, 29
	s_cbranch_scc0 .LBB126_164
; %bb.163:
	global_load_b64 v[4:5], v[0:1], off
	s_mov_b32 s23, -1
	s_mov_b32 s24, 0
	s_mov_b32 s28, 0
	s_wait_loadcnt 0x0
	v_clz_i32_u32_e32 v2, v5
	s_delay_alu instid0(VALU_DEP_1) | instskip(NEXT) | instid1(VALU_DEP_1)
	v_min_u32_e32 v2, 32, v2
	v_lshlrev_b64_e32 v[4:5], v2, v[4:5]
	v_sub_nc_u32_e32 v2, 32, v2
	s_delay_alu instid0(VALU_DEP_2) | instskip(NEXT) | instid1(VALU_DEP_1)
	v_min_u32_e32 v4, 1, v4
	v_or_b32_e32 v4, v5, v4
	s_delay_alu instid0(VALU_DEP_1) | instskip(NEXT) | instid1(VALU_DEP_1)
	v_cvt_f32_u32_e32 v4, v4
	v_ldexp_f32 v2, v4, v2
	s_branch .LBB126_166
.LBB126_164:
	s_mov_b32 s24, -1
                                        ; implicit-def: $vgpr2
.LBB126_165:
	s_mov_b32 s28, 0
.LBB126_166:
	s_delay_alu instid0(SALU_CYCLE_1)
	s_and_b32 vcc_lo, exec_lo, s28
	s_cbranch_vccz .LBB126_184
; %bb.167:
	s_cmp_lt_i32 s21, 27
	s_cbranch_scc1 .LBB126_170
; %bb.168:
	s_cmp_gt_i32 s21, 27
	s_cbranch_scc0 .LBB126_171
; %bb.169:
	global_load_b32 v2, v[0:1], off
	s_mov_b32 s23, 0
	s_wait_loadcnt 0x0
	v_cvt_f32_u32_e32 v2, v2
	s_branch .LBB126_172
.LBB126_170:
	s_mov_b32 s23, -1
                                        ; implicit-def: $vgpr2
	s_branch .LBB126_175
.LBB126_171:
	s_mov_b32 s23, -1
                                        ; implicit-def: $vgpr2
.LBB126_172:
	s_delay_alu instid0(SALU_CYCLE_1)
	s_and_not1_b32 vcc_lo, exec_lo, s23
	s_cbranch_vccnz .LBB126_174
; %bb.173:
	global_load_u16 v2, v[0:1], off
	s_wait_loadcnt 0x0
	v_cvt_f32_u32_e32 v2, v2
.LBB126_174:
	s_mov_b32 s23, 0
.LBB126_175:
	s_delay_alu instid0(SALU_CYCLE_1)
	s_and_not1_b32 vcc_lo, exec_lo, s23
	s_cbranch_vccnz .LBB126_183
; %bb.176:
	global_load_u8 v4, v[0:1], off
	s_mov_b32 s23, 0
	s_mov_b32 s28, exec_lo
	s_wait_loadcnt 0x0
	v_cmpx_lt_i16_e32 0x7f, v4
	s_xor_b32 s28, exec_lo, s28
	s_cbranch_execz .LBB126_197
; %bb.177:
	s_mov_b32 s23, -1
	s_mov_b32 s29, exec_lo
	v_cmpx_eq_u16_e32 0x80, v4
; %bb.178:
	s_xor_b32 s23, exec_lo, -1
; %bb.179:
	s_or_b32 exec_lo, exec_lo, s29
	s_delay_alu instid0(SALU_CYCLE_1)
	s_and_b32 s23, s23, exec_lo
	s_or_saveexec_b32 s28, s28
	v_mov_b32_e32 v2, 0x7f800001
	s_xor_b32 exec_lo, exec_lo, s28
	s_cbranch_execnz .LBB126_198
.LBB126_180:
	s_or_b32 exec_lo, exec_lo, s28
	s_and_saveexec_b32 s28, s23
	s_cbranch_execz .LBB126_182
.LBB126_181:
	v_and_b32_e32 v2, 0xffff, v4
	s_delay_alu instid0(VALU_DEP_1) | instskip(SKIP_1) | instid1(VALU_DEP_2)
	v_dual_lshlrev_b32 v4, 24, v4 :: v_dual_bitop2_b32 v5, 7, v2 bitop3:0x40
	v_bfe_u32 v9, v2, 3, 4
	v_and_b32_e32 v4, 0x80000000, v4
	s_delay_alu instid0(VALU_DEP_3) | instskip(NEXT) | instid1(VALU_DEP_3)
	v_clz_i32_u32_e32 v6, v5
	v_cmp_eq_u32_e32 vcc_lo, 0, v9
	s_delay_alu instid0(VALU_DEP_2) | instskip(NEXT) | instid1(VALU_DEP_1)
	v_min_u32_e32 v6, 32, v6
	v_subrev_nc_u32_e32 v7, 28, v6
	v_sub_nc_u32_e32 v6, 29, v6
	s_delay_alu instid0(VALU_DEP_2) | instskip(NEXT) | instid1(VALU_DEP_2)
	v_lshlrev_b32_e32 v2, v7, v2
	v_cndmask_b32_e32 v6, v9, v6, vcc_lo
	s_delay_alu instid0(VALU_DEP_2) | instskip(NEXT) | instid1(VALU_DEP_1)
	v_and_b32_e32 v2, 7, v2
	v_cndmask_b32_e32 v2, v5, v2, vcc_lo
	s_delay_alu instid0(VALU_DEP_3) | instskip(NEXT) | instid1(VALU_DEP_2)
	v_lshl_add_u32 v5, v6, 23, 0x3b800000
	v_lshlrev_b32_e32 v2, 20, v2
	s_delay_alu instid0(VALU_DEP_1)
	v_or3_b32 v2, v4, v5, v2
.LBB126_182:
	s_or_b32 exec_lo, exec_lo, s28
.LBB126_183:
	s_mov_b32 s23, -1
.LBB126_184:
	s_mov_b32 s28, 0
.LBB126_185:
	s_delay_alu instid0(SALU_CYCLE_1)
	s_and_b32 vcc_lo, exec_lo, s28
	s_cbranch_vccz .LBB126_220
; %bb.186:
	s_cmp_gt_i32 s21, 22
	s_cbranch_scc0 .LBB126_196
; %bb.187:
	s_cmp_lt_i32 s21, 24
	s_cbranch_scc1 .LBB126_199
; %bb.188:
	s_cmp_gt_i32 s21, 24
	s_cbranch_scc0 .LBB126_200
; %bb.189:
	global_load_u8 v4, v[0:1], off
	s_mov_b32 s23, 0
	s_mov_b32 s28, exec_lo
	s_wait_loadcnt 0x0
	v_cmpx_lt_i16_e32 0x7f, v4
	s_xor_b32 s28, exec_lo, s28
	s_cbranch_execz .LBB126_212
; %bb.190:
	s_mov_b32 s23, -1
	s_mov_b32 s29, exec_lo
	v_cmpx_eq_u16_e32 0x80, v4
; %bb.191:
	s_xor_b32 s23, exec_lo, -1
; %bb.192:
	s_or_b32 exec_lo, exec_lo, s29
	s_delay_alu instid0(SALU_CYCLE_1)
	s_and_b32 s23, s23, exec_lo
	s_or_saveexec_b32 s28, s28
	v_mov_b32_e32 v2, 0x7f800001
	s_xor_b32 exec_lo, exec_lo, s28
	s_cbranch_execnz .LBB126_213
.LBB126_193:
	s_or_b32 exec_lo, exec_lo, s28
	s_and_saveexec_b32 s28, s23
	s_cbranch_execz .LBB126_195
.LBB126_194:
	v_and_b32_e32 v2, 0xffff, v4
	s_delay_alu instid0(VALU_DEP_1) | instskip(SKIP_1) | instid1(VALU_DEP_2)
	v_dual_lshlrev_b32 v4, 24, v4 :: v_dual_bitop2_b32 v5, 3, v2 bitop3:0x40
	v_bfe_u32 v9, v2, 2, 5
	v_and_b32_e32 v4, 0x80000000, v4
	s_delay_alu instid0(VALU_DEP_3) | instskip(NEXT) | instid1(VALU_DEP_3)
	v_clz_i32_u32_e32 v6, v5
	v_cmp_eq_u32_e32 vcc_lo, 0, v9
	s_delay_alu instid0(VALU_DEP_2) | instskip(NEXT) | instid1(VALU_DEP_1)
	v_min_u32_e32 v6, 32, v6
	v_subrev_nc_u32_e32 v7, 29, v6
	v_sub_nc_u32_e32 v6, 30, v6
	s_delay_alu instid0(VALU_DEP_2) | instskip(NEXT) | instid1(VALU_DEP_2)
	v_lshlrev_b32_e32 v2, v7, v2
	v_cndmask_b32_e32 v6, v9, v6, vcc_lo
	s_delay_alu instid0(VALU_DEP_2) | instskip(NEXT) | instid1(VALU_DEP_1)
	v_and_b32_e32 v2, 3, v2
	v_cndmask_b32_e32 v2, v5, v2, vcc_lo
	s_delay_alu instid0(VALU_DEP_3) | instskip(NEXT) | instid1(VALU_DEP_2)
	v_lshl_add_u32 v5, v6, 23, 0x37800000
	v_lshlrev_b32_e32 v2, 21, v2
	s_delay_alu instid0(VALU_DEP_1)
	v_or3_b32 v2, v4, v5, v2
.LBB126_195:
	s_or_b32 exec_lo, exec_lo, s28
	s_mov_b32 s23, 0
	s_branch .LBB126_201
.LBB126_196:
	s_mov_b32 s28, -1
                                        ; implicit-def: $vgpr2
	s_branch .LBB126_207
.LBB126_197:
	s_or_saveexec_b32 s28, s28
	v_mov_b32_e32 v2, 0x7f800001
	s_xor_b32 exec_lo, exec_lo, s28
	s_cbranch_execz .LBB126_180
.LBB126_198:
	v_cmp_ne_u16_e32 vcc_lo, 0, v4
	v_mov_b32_e32 v2, 0
	s_and_not1_b32 s23, s23, exec_lo
	s_and_b32 s29, vcc_lo, exec_lo
	s_delay_alu instid0(SALU_CYCLE_1)
	s_or_b32 s23, s23, s29
	s_or_b32 exec_lo, exec_lo, s28
	s_and_saveexec_b32 s28, s23
	s_cbranch_execnz .LBB126_181
	s_branch .LBB126_182
.LBB126_199:
	s_mov_b32 s23, -1
                                        ; implicit-def: $vgpr2
	s_branch .LBB126_204
.LBB126_200:
	s_mov_b32 s23, -1
                                        ; implicit-def: $vgpr2
.LBB126_201:
	s_delay_alu instid0(SALU_CYCLE_1)
	s_and_b32 vcc_lo, exec_lo, s23
	s_cbranch_vccz .LBB126_203
; %bb.202:
	global_load_u8 v2, v[0:1], off
	s_wait_loadcnt 0x0
	v_lshlrev_b32_e32 v2, 24, v2
	s_delay_alu instid0(VALU_DEP_1) | instskip(NEXT) | instid1(VALU_DEP_1)
	v_and_b32_e32 v4, 0x7f000000, v2
	v_clz_i32_u32_e32 v5, v4
	v_cmp_ne_u32_e32 vcc_lo, 0, v4
	v_add_nc_u32_e32 v7, 0x1000000, v4
	s_delay_alu instid0(VALU_DEP_3) | instskip(NEXT) | instid1(VALU_DEP_1)
	v_min_u32_e32 v5, 32, v5
	v_sub_nc_u32_e64 v5, v5, 4 clamp
	s_delay_alu instid0(VALU_DEP_1) | instskip(NEXT) | instid1(VALU_DEP_1)
	v_dual_lshlrev_b32 v6, v5, v4 :: v_dual_lshlrev_b32 v5, 23, v5
	v_lshrrev_b32_e32 v6, 4, v6
	s_delay_alu instid0(VALU_DEP_1) | instskip(NEXT) | instid1(VALU_DEP_1)
	v_dual_sub_nc_u32 v5, v6, v5 :: v_dual_ashrrev_i32 v6, 8, v7
	v_add_nc_u32_e32 v5, 0x3c000000, v5
	s_delay_alu instid0(VALU_DEP_1) | instskip(NEXT) | instid1(VALU_DEP_1)
	v_and_or_b32 v5, 0x7f800000, v6, v5
	v_cndmask_b32_e32 v4, 0, v5, vcc_lo
	s_delay_alu instid0(VALU_DEP_1)
	v_and_or_b32 v2, 0x80000000, v2, v4
.LBB126_203:
	s_mov_b32 s23, 0
.LBB126_204:
	s_delay_alu instid0(SALU_CYCLE_1)
	s_and_not1_b32 vcc_lo, exec_lo, s23
	s_cbranch_vccnz .LBB126_206
; %bb.205:
	global_load_u8 v2, v[0:1], off
	s_wait_loadcnt 0x0
	v_lshlrev_b32_e32 v4, 25, v2
	v_lshlrev_b16 v2, 8, v2
	s_delay_alu instid0(VALU_DEP_1) | instskip(NEXT) | instid1(VALU_DEP_3)
	v_and_or_b32 v6, 0x7f00, v2, 0.5
	v_lshrrev_b32_e32 v5, 4, v4
	v_bfe_i32 v2, v2, 0, 16
	s_delay_alu instid0(VALU_DEP_3) | instskip(NEXT) | instid1(VALU_DEP_3)
	v_add_f32_e32 v6, -0.5, v6
	v_or_b32_e32 v5, 0x70000000, v5
	s_delay_alu instid0(VALU_DEP_1) | instskip(SKIP_1) | instid1(VALU_DEP_2)
	v_mul_f32_e32 v5, 0x7800000, v5
	v_cmp_gt_u32_e32 vcc_lo, 0x8000000, v4
	v_cndmask_b32_e32 v4, v5, v6, vcc_lo
	s_delay_alu instid0(VALU_DEP_1)
	v_and_or_b32 v2, 0x80000000, v2, v4
.LBB126_206:
	s_mov_b32 s28, 0
	s_mov_b32 s23, -1
.LBB126_207:
	s_and_not1_b32 vcc_lo, exec_lo, s28
	s_cbranch_vccnz .LBB126_220
; %bb.208:
	s_cmp_gt_i32 s21, 14
	s_cbranch_scc0 .LBB126_211
; %bb.209:
	s_cmp_eq_u32 s21, 15
	s_cbranch_scc0 .LBB126_214
; %bb.210:
	global_load_u16 v2, v[0:1], off
	s_mov_b32 s23, -1
	s_mov_b32 s24, 0
	s_wait_loadcnt 0x0
	v_lshlrev_b32_e32 v2, 16, v2
	s_branch .LBB126_215
.LBB126_211:
	s_mov_b32 s28, -1
                                        ; implicit-def: $vgpr2
	s_branch .LBB126_216
.LBB126_212:
	s_or_saveexec_b32 s28, s28
	v_mov_b32_e32 v2, 0x7f800001
	s_xor_b32 exec_lo, exec_lo, s28
	s_cbranch_execz .LBB126_193
.LBB126_213:
	v_cmp_ne_u16_e32 vcc_lo, 0, v4
	v_mov_b32_e32 v2, 0
	s_and_not1_b32 s23, s23, exec_lo
	s_and_b32 s29, vcc_lo, exec_lo
	s_delay_alu instid0(SALU_CYCLE_1)
	s_or_b32 s23, s23, s29
	s_or_b32 exec_lo, exec_lo, s28
	s_and_saveexec_b32 s28, s23
	s_cbranch_execnz .LBB126_194
	s_branch .LBB126_195
.LBB126_214:
	s_mov_b32 s24, -1
                                        ; implicit-def: $vgpr2
.LBB126_215:
	s_mov_b32 s28, 0
.LBB126_216:
	s_delay_alu instid0(SALU_CYCLE_1)
	s_and_b32 vcc_lo, exec_lo, s28
	s_cbranch_vccz .LBB126_220
; %bb.217:
	s_cmp_eq_u32 s21, 11
	s_cbranch_scc0 .LBB126_219
; %bb.218:
	global_load_u8 v2, v[0:1], off
	s_mov_b32 s24, 0
	s_mov_b32 s23, -1
	s_wait_loadcnt 0x0
	v_cmp_ne_u16_e32 vcc_lo, 0, v2
	v_cndmask_b32_e64 v2, 0, 1.0, vcc_lo
	s_branch .LBB126_220
.LBB126_219:
	s_mov_b32 s24, -1
                                        ; implicit-def: $vgpr2
.LBB126_220:
	s_branch .LBB126_20
.LBB126_221:
	s_and_b32 s0, 0xffff, s0
	s_delay_alu instid0(SALU_CYCLE_1)
	s_cmp_lt_i32 s0, 5
	s_cbranch_scc1 .LBB126_226
; %bb.222:
	s_cmp_lt_i32 s0, 8
	s_cbranch_scc1 .LBB126_227
; %bb.223:
	;; [unrolled: 3-line block ×3, first 2 shown]
	s_cmp_gt_i32 s0, 9
	s_cbranch_scc0 .LBB126_229
; %bb.225:
	global_load_b64 v[4:5], v[0:1], off
	s_mov_b32 s21, 0
	s_wait_loadcnt 0x0
	v_cvt_f32_f64_e32 v2, v[4:5]
	s_branch .LBB126_230
.LBB126_226:
	s_mov_b32 s21, -1
                                        ; implicit-def: $vgpr2
	s_branch .LBB126_248
.LBB126_227:
	s_mov_b32 s21, -1
                                        ; implicit-def: $vgpr2
	s_branch .LBB126_236
.LBB126_228:
	s_mov_b32 s21, -1
                                        ; implicit-def: $vgpr2
	s_branch .LBB126_233
.LBB126_229:
	s_mov_b32 s21, -1
                                        ; implicit-def: $vgpr2
.LBB126_230:
	s_delay_alu instid0(SALU_CYCLE_1)
	s_and_not1_b32 vcc_lo, exec_lo, s21
	s_cbranch_vccnz .LBB126_232
; %bb.231:
	global_load_b32 v2, v[0:1], off
.LBB126_232:
	s_mov_b32 s21, 0
.LBB126_233:
	s_delay_alu instid0(SALU_CYCLE_1)
	s_and_not1_b32 vcc_lo, exec_lo, s21
	s_cbranch_vccnz .LBB126_235
; %bb.234:
	s_wait_loadcnt 0x0
	global_load_b32 v2, v[0:1], off
	s_wait_loadcnt 0x0
	v_cvt_f32_f16_e32 v2, v2
.LBB126_235:
	s_mov_b32 s21, 0
.LBB126_236:
	s_delay_alu instid0(SALU_CYCLE_1)
	s_and_not1_b32 vcc_lo, exec_lo, s21
	s_cbranch_vccnz .LBB126_247
; %bb.237:
	s_cmp_lt_i32 s0, 6
	s_cbranch_scc1 .LBB126_240
; %bb.238:
	s_cmp_gt_i32 s0, 6
	s_cbranch_scc0 .LBB126_241
; %bb.239:
	global_load_b64 v[4:5], v[0:1], off
	s_mov_b32 s21, 0
	s_wait_loadcnt 0x0
	v_cvt_f32_f64_e32 v2, v[4:5]
	s_branch .LBB126_242
.LBB126_240:
	s_mov_b32 s21, -1
                                        ; implicit-def: $vgpr2
	s_branch .LBB126_245
.LBB126_241:
	s_mov_b32 s21, -1
                                        ; implicit-def: $vgpr2
.LBB126_242:
	s_delay_alu instid0(SALU_CYCLE_1)
	s_and_not1_b32 vcc_lo, exec_lo, s21
	s_cbranch_vccnz .LBB126_244
; %bb.243:
	s_wait_loadcnt 0x0
	global_load_b32 v2, v[0:1], off
.LBB126_244:
	s_mov_b32 s21, 0
.LBB126_245:
	s_delay_alu instid0(SALU_CYCLE_1)
	s_and_not1_b32 vcc_lo, exec_lo, s21
	s_cbranch_vccnz .LBB126_247
; %bb.246:
	s_wait_loadcnt 0x0
	global_load_u16 v2, v[0:1], off
	s_wait_loadcnt 0x0
	v_cvt_f32_f16_e32 v2, v2
.LBB126_247:
	s_mov_b32 s21, 0
.LBB126_248:
	s_delay_alu instid0(SALU_CYCLE_1)
	s_and_not1_b32 vcc_lo, exec_lo, s21
	s_cbranch_vccnz .LBB126_268
; %bb.249:
	s_cmp_lt_i32 s0, 2
	s_cbranch_scc1 .LBB126_253
; %bb.250:
	s_cmp_lt_i32 s0, 3
	s_cbranch_scc1 .LBB126_254
; %bb.251:
	s_cmp_gt_i32 s0, 3
	s_cbranch_scc0 .LBB126_255
; %bb.252:
	global_load_b64 v[4:5], v[0:1], off
	s_mov_b32 s21, 0
	s_wait_loadcnt 0x0
	v_xor_b32_e32 v2, v4, v5
	v_cls_i32_e32 v6, v5
	s_delay_alu instid0(VALU_DEP_2) | instskip(NEXT) | instid1(VALU_DEP_1)
	v_ashrrev_i32_e32 v2, 31, v2
	v_add_nc_u32_e32 v2, 32, v2
	s_delay_alu instid0(VALU_DEP_1) | instskip(NEXT) | instid1(VALU_DEP_1)
	v_add_min_u32_e64 v2, v6, -1, v2
	v_lshlrev_b64_e32 v[4:5], v2, v[4:5]
	v_sub_nc_u32_e32 v2, 32, v2
	s_delay_alu instid0(VALU_DEP_2) | instskip(NEXT) | instid1(VALU_DEP_1)
	v_min_u32_e32 v4, 1, v4
	v_or_b32_e32 v4, v5, v4
	s_delay_alu instid0(VALU_DEP_1) | instskip(NEXT) | instid1(VALU_DEP_1)
	v_cvt_f32_i32_e32 v4, v4
	v_ldexp_f32 v2, v4, v2
	s_branch .LBB126_256
.LBB126_253:
	s_mov_b32 s21, -1
                                        ; implicit-def: $vgpr2
	s_branch .LBB126_262
.LBB126_254:
	s_mov_b32 s21, -1
                                        ; implicit-def: $vgpr2
	s_branch .LBB126_259
.LBB126_255:
	s_mov_b32 s21, -1
                                        ; implicit-def: $vgpr2
.LBB126_256:
	s_delay_alu instid0(SALU_CYCLE_1)
	s_and_not1_b32 vcc_lo, exec_lo, s21
	s_cbranch_vccnz .LBB126_258
; %bb.257:
	s_wait_loadcnt 0x0
	global_load_b32 v2, v[0:1], off
	s_wait_loadcnt 0x0
	v_cvt_f32_i32_e32 v2, v2
.LBB126_258:
	s_mov_b32 s21, 0
.LBB126_259:
	s_delay_alu instid0(SALU_CYCLE_1)
	s_and_not1_b32 vcc_lo, exec_lo, s21
	s_cbranch_vccnz .LBB126_261
; %bb.260:
	s_wait_loadcnt 0x0
	global_load_i16 v2, v[0:1], off
	s_wait_loadcnt 0x0
	v_cvt_f32_i32_e32 v2, v2
.LBB126_261:
	s_mov_b32 s21, 0
.LBB126_262:
	s_delay_alu instid0(SALU_CYCLE_1)
	s_and_not1_b32 vcc_lo, exec_lo, s21
	s_cbranch_vccnz .LBB126_268
; %bb.263:
	s_cmp_gt_i32 s0, 0
	s_mov_b32 s0, 0
	s_cbranch_scc0 .LBB126_265
; %bb.264:
	s_wait_loadcnt 0x0
	global_load_i8 v2, v[0:1], off
	s_wait_loadcnt 0x0
	v_cvt_f32_i32_e32 v2, v2
	s_branch .LBB126_266
.LBB126_265:
	s_mov_b32 s0, -1
                                        ; implicit-def: $vgpr2
.LBB126_266:
	s_delay_alu instid0(SALU_CYCLE_1)
	s_and_not1_b32 vcc_lo, exec_lo, s0
	s_cbranch_vccnz .LBB126_268
; %bb.267:
	global_load_u8 v0, v[0:1], off
	s_wait_loadcnt 0x0
	v_cvt_f32_ubyte0_e32 v2, v0
.LBB126_268:
	s_branch .LBB126_21
.LBB126_269:
	s_mov_b32 s0, 0
	s_mov_b32 s23, 0
	s_branch .LBB126_510
.LBB126_270:
	s_mov_b32 s23, -1
.LBB126_271:
	s_mov_b32 s21, 0
                                        ; implicit-def: $vgpr4
.LBB126_272:
	s_and_b32 vcc_lo, exec_lo, s28
	s_cbranch_vccz .LBB126_276
; %bb.273:
	s_cmp_eq_u32 s0, 44
	s_cbranch_scc0 .LBB126_275
; %bb.274:
	global_load_u8 v4, v[0:1], off
	s_mov_b32 s23, 0
	s_mov_b32 s21, -1
	s_wait_loadcnt 0x0
	v_lshlrev_b32_e32 v5, 23, v4
	v_cmp_ne_u32_e32 vcc_lo, 0xff, v4
	s_delay_alu instid0(VALU_DEP_2) | instskip(SKIP_1) | instid1(VALU_DEP_2)
	v_cndmask_b32_e32 v5, 0x7f800001, v5, vcc_lo
	v_cmp_ne_u32_e32 vcc_lo, 0, v4
	v_cndmask_b32_e32 v4, 0x400000, v5, vcc_lo
	s_branch .LBB126_276
.LBB126_275:
	s_mov_b32 s23, -1
                                        ; implicit-def: $vgpr4
.LBB126_276:
	s_mov_b32 s28, 0
.LBB126_277:
	s_delay_alu instid0(SALU_CYCLE_1)
	s_and_b32 vcc_lo, exec_lo, s28
	s_cbranch_vccz .LBB126_281
; %bb.278:
	s_cmp_eq_u32 s0, 29
	s_cbranch_scc0 .LBB126_280
; %bb.279:
	global_load_b64 v[4:5], v[0:1], off
	s_mov_b32 s21, -1
	s_mov_b32 s23, 0
	s_mov_b32 s28, 0
	s_wait_loadcnt 0x0
	v_clz_i32_u32_e32 v6, v5
	s_delay_alu instid0(VALU_DEP_1) | instskip(NEXT) | instid1(VALU_DEP_1)
	v_min_u32_e32 v6, 32, v6
	v_lshlrev_b64_e32 v[4:5], v6, v[4:5]
	s_delay_alu instid0(VALU_DEP_1) | instskip(NEXT) | instid1(VALU_DEP_1)
	v_min_u32_e32 v4, 1, v4
	v_dual_sub_nc_u32 v5, 32, v6 :: v_dual_bitop2_b32 v4, v5, v4 bitop3:0x54
	s_delay_alu instid0(VALU_DEP_1) | instskip(NEXT) | instid1(VALU_DEP_1)
	v_cvt_f32_u32_e32 v4, v4
	v_ldexp_f32 v4, v4, v5
	s_branch .LBB126_282
.LBB126_280:
	s_mov_b32 s23, -1
                                        ; implicit-def: $vgpr4
.LBB126_281:
	s_mov_b32 s28, 0
.LBB126_282:
	s_delay_alu instid0(SALU_CYCLE_1)
	s_and_b32 vcc_lo, exec_lo, s28
	s_cbranch_vccz .LBB126_300
; %bb.283:
	s_cmp_lt_i32 s0, 27
	s_cbranch_scc1 .LBB126_286
; %bb.284:
	s_cmp_gt_i32 s0, 27
	s_cbranch_scc0 .LBB126_287
; %bb.285:
	global_load_b32 v4, v[0:1], off
	s_mov_b32 s21, 0
	s_wait_loadcnt 0x0
	v_cvt_f32_u32_e32 v4, v4
	s_branch .LBB126_288
.LBB126_286:
	s_mov_b32 s21, -1
                                        ; implicit-def: $vgpr4
	s_branch .LBB126_291
.LBB126_287:
	s_mov_b32 s21, -1
                                        ; implicit-def: $vgpr4
.LBB126_288:
	s_delay_alu instid0(SALU_CYCLE_1)
	s_and_not1_b32 vcc_lo, exec_lo, s21
	s_cbranch_vccnz .LBB126_290
; %bb.289:
	global_load_u16 v4, v[0:1], off
	s_wait_loadcnt 0x0
	v_cvt_f32_u32_e32 v4, v4
.LBB126_290:
	s_mov_b32 s21, 0
.LBB126_291:
	s_delay_alu instid0(SALU_CYCLE_1)
	s_and_not1_b32 vcc_lo, exec_lo, s21
	s_cbranch_vccnz .LBB126_299
; %bb.292:
	global_load_u8 v5, v[0:1], off
	s_mov_b32 s21, 0
	s_mov_b32 s28, exec_lo
	s_wait_loadcnt 0x0
	v_cmpx_lt_i16_e32 0x7f, v5
	s_xor_b32 s28, exec_lo, s28
	s_cbranch_execz .LBB126_313
; %bb.293:
	s_mov_b32 s21, -1
	s_mov_b32 s29, exec_lo
	v_cmpx_eq_u16_e32 0x80, v5
; %bb.294:
	s_xor_b32 s21, exec_lo, -1
; %bb.295:
	s_or_b32 exec_lo, exec_lo, s29
	s_delay_alu instid0(SALU_CYCLE_1)
	s_and_b32 s21, s21, exec_lo
	s_or_saveexec_b32 s28, s28
	v_mov_b32_e32 v4, 0x7f800001
	s_xor_b32 exec_lo, exec_lo, s28
	s_cbranch_execnz .LBB126_314
.LBB126_296:
	s_or_b32 exec_lo, exec_lo, s28
	s_and_saveexec_b32 s28, s21
	s_cbranch_execz .LBB126_298
.LBB126_297:
	v_and_b32_e32 v4, 0xffff, v5
	s_delay_alu instid0(VALU_DEP_1) | instskip(SKIP_1) | instid1(VALU_DEP_2)
	v_and_b32_e32 v6, 7, v4
	v_bfe_u32 v10, v4, 3, 4
	v_clz_i32_u32_e32 v7, v6
	s_delay_alu instid0(VALU_DEP_2) | instskip(NEXT) | instid1(VALU_DEP_2)
	v_cmp_eq_u32_e32 vcc_lo, 0, v10
	v_min_u32_e32 v7, 32, v7
	s_delay_alu instid0(VALU_DEP_1) | instskip(NEXT) | instid1(VALU_DEP_1)
	v_subrev_nc_u32_e32 v9, 28, v7
	v_dual_lshlrev_b32 v4, v9, v4 :: v_dual_sub_nc_u32 v7, 29, v7
	s_delay_alu instid0(VALU_DEP_1) | instskip(NEXT) | instid1(VALU_DEP_2)
	v_dual_lshlrev_b32 v5, 24, v5 :: v_dual_bitop2_b32 v4, 7, v4 bitop3:0x40
	v_cndmask_b32_e32 v7, v10, v7, vcc_lo
	s_delay_alu instid0(VALU_DEP_2) | instskip(NEXT) | instid1(VALU_DEP_3)
	v_cndmask_b32_e32 v4, v6, v4, vcc_lo
	v_and_b32_e32 v5, 0x80000000, v5
	s_delay_alu instid0(VALU_DEP_3) | instskip(NEXT) | instid1(VALU_DEP_3)
	v_lshl_add_u32 v6, v7, 23, 0x3b800000
	v_lshlrev_b32_e32 v4, 20, v4
	s_delay_alu instid0(VALU_DEP_1)
	v_or3_b32 v4, v5, v6, v4
.LBB126_298:
	s_or_b32 exec_lo, exec_lo, s28
.LBB126_299:
	s_mov_b32 s21, -1
.LBB126_300:
	s_mov_b32 s28, 0
.LBB126_301:
	s_delay_alu instid0(SALU_CYCLE_1)
	s_and_b32 vcc_lo, exec_lo, s28
	s_cbranch_vccz .LBB126_336
; %bb.302:
	s_cmp_gt_i32 s0, 22
	s_cbranch_scc0 .LBB126_312
; %bb.303:
	s_cmp_lt_i32 s0, 24
	s_cbranch_scc1 .LBB126_315
; %bb.304:
	s_cmp_gt_i32 s0, 24
	s_cbranch_scc0 .LBB126_316
; %bb.305:
	global_load_u8 v5, v[0:1], off
	s_mov_b32 s21, 0
	s_mov_b32 s28, exec_lo
	s_wait_loadcnt 0x0
	v_cmpx_lt_i16_e32 0x7f, v5
	s_xor_b32 s28, exec_lo, s28
	s_cbranch_execz .LBB126_328
; %bb.306:
	s_mov_b32 s21, -1
	s_mov_b32 s29, exec_lo
	v_cmpx_eq_u16_e32 0x80, v5
; %bb.307:
	s_xor_b32 s21, exec_lo, -1
; %bb.308:
	s_or_b32 exec_lo, exec_lo, s29
	s_delay_alu instid0(SALU_CYCLE_1)
	s_and_b32 s21, s21, exec_lo
	s_or_saveexec_b32 s28, s28
	v_mov_b32_e32 v4, 0x7f800001
	s_xor_b32 exec_lo, exec_lo, s28
	s_cbranch_execnz .LBB126_329
.LBB126_309:
	s_or_b32 exec_lo, exec_lo, s28
	s_and_saveexec_b32 s28, s21
	s_cbranch_execz .LBB126_311
.LBB126_310:
	v_and_b32_e32 v4, 0xffff, v5
	s_delay_alu instid0(VALU_DEP_1) | instskip(SKIP_1) | instid1(VALU_DEP_2)
	v_and_b32_e32 v6, 3, v4
	v_bfe_u32 v10, v4, 2, 5
	v_clz_i32_u32_e32 v7, v6
	s_delay_alu instid0(VALU_DEP_2) | instskip(NEXT) | instid1(VALU_DEP_2)
	v_cmp_eq_u32_e32 vcc_lo, 0, v10
	v_min_u32_e32 v7, 32, v7
	s_delay_alu instid0(VALU_DEP_1) | instskip(NEXT) | instid1(VALU_DEP_1)
	v_subrev_nc_u32_e32 v9, 29, v7
	v_dual_lshlrev_b32 v4, v9, v4 :: v_dual_sub_nc_u32 v7, 30, v7
	s_delay_alu instid0(VALU_DEP_1) | instskip(NEXT) | instid1(VALU_DEP_2)
	v_dual_lshlrev_b32 v5, 24, v5 :: v_dual_bitop2_b32 v4, 3, v4 bitop3:0x40
	v_cndmask_b32_e32 v7, v10, v7, vcc_lo
	s_delay_alu instid0(VALU_DEP_2) | instskip(NEXT) | instid1(VALU_DEP_3)
	v_cndmask_b32_e32 v4, v6, v4, vcc_lo
	v_and_b32_e32 v5, 0x80000000, v5
	s_delay_alu instid0(VALU_DEP_3) | instskip(NEXT) | instid1(VALU_DEP_3)
	v_lshl_add_u32 v6, v7, 23, 0x37800000
	v_lshlrev_b32_e32 v4, 21, v4
	s_delay_alu instid0(VALU_DEP_1)
	v_or3_b32 v4, v5, v6, v4
.LBB126_311:
	s_or_b32 exec_lo, exec_lo, s28
	s_mov_b32 s21, 0
	s_branch .LBB126_317
.LBB126_312:
	s_mov_b32 s28, -1
                                        ; implicit-def: $vgpr4
	s_branch .LBB126_323
.LBB126_313:
	s_or_saveexec_b32 s28, s28
	v_mov_b32_e32 v4, 0x7f800001
	s_xor_b32 exec_lo, exec_lo, s28
	s_cbranch_execz .LBB126_296
.LBB126_314:
	v_cmp_ne_u16_e32 vcc_lo, 0, v5
	v_mov_b32_e32 v4, 0
	s_and_not1_b32 s21, s21, exec_lo
	s_and_b32 s29, vcc_lo, exec_lo
	s_delay_alu instid0(SALU_CYCLE_1)
	s_or_b32 s21, s21, s29
	s_or_b32 exec_lo, exec_lo, s28
	s_and_saveexec_b32 s28, s21
	s_cbranch_execnz .LBB126_297
	s_branch .LBB126_298
.LBB126_315:
	s_mov_b32 s21, -1
                                        ; implicit-def: $vgpr4
	s_branch .LBB126_320
.LBB126_316:
	s_mov_b32 s21, -1
                                        ; implicit-def: $vgpr4
.LBB126_317:
	s_delay_alu instid0(SALU_CYCLE_1)
	s_and_b32 vcc_lo, exec_lo, s21
	s_cbranch_vccz .LBB126_319
; %bb.318:
	global_load_u8 v4, v[0:1], off
	s_wait_loadcnt 0x0
	v_lshlrev_b32_e32 v4, 24, v4
	s_delay_alu instid0(VALU_DEP_1) | instskip(NEXT) | instid1(VALU_DEP_1)
	v_and_b32_e32 v5, 0x7f000000, v4
	v_clz_i32_u32_e32 v6, v5
	v_add_nc_u32_e32 v9, 0x1000000, v5
	v_cmp_ne_u32_e32 vcc_lo, 0, v5
	s_delay_alu instid0(VALU_DEP_3) | instskip(NEXT) | instid1(VALU_DEP_1)
	v_min_u32_e32 v6, 32, v6
	v_sub_nc_u32_e64 v6, v6, 4 clamp
	s_delay_alu instid0(VALU_DEP_1) | instskip(NEXT) | instid1(VALU_DEP_1)
	v_dual_lshlrev_b32 v7, v6, v5 :: v_dual_lshlrev_b32 v6, 23, v6
	v_lshrrev_b32_e32 v7, 4, v7
	s_delay_alu instid0(VALU_DEP_1) | instskip(NEXT) | instid1(VALU_DEP_1)
	v_dual_sub_nc_u32 v6, v7, v6 :: v_dual_ashrrev_i32 v7, 8, v9
	v_add_nc_u32_e32 v6, 0x3c000000, v6
	s_delay_alu instid0(VALU_DEP_1) | instskip(NEXT) | instid1(VALU_DEP_1)
	v_and_or_b32 v6, 0x7f800000, v7, v6
	v_cndmask_b32_e32 v5, 0, v6, vcc_lo
	s_delay_alu instid0(VALU_DEP_1)
	v_and_or_b32 v4, 0x80000000, v4, v5
.LBB126_319:
	s_mov_b32 s21, 0
.LBB126_320:
	s_delay_alu instid0(SALU_CYCLE_1)
	s_and_not1_b32 vcc_lo, exec_lo, s21
	s_cbranch_vccnz .LBB126_322
; %bb.321:
	global_load_u8 v4, v[0:1], off
	s_wait_loadcnt 0x0
	v_lshlrev_b32_e32 v5, 25, v4
	v_lshlrev_b16 v4, 8, v4
	s_delay_alu instid0(VALU_DEP_1) | instskip(SKIP_1) | instid1(VALU_DEP_2)
	v_and_or_b32 v7, 0x7f00, v4, 0.5
	v_bfe_i32 v4, v4, 0, 16
	v_dual_add_f32 v7, -0.5, v7 :: v_dual_lshrrev_b32 v6, 4, v5
	v_cmp_gt_u32_e32 vcc_lo, 0x8000000, v5
	s_delay_alu instid0(VALU_DEP_2) | instskip(NEXT) | instid1(VALU_DEP_1)
	v_or_b32_e32 v6, 0x70000000, v6
	v_mul_f32_e32 v6, 0x7800000, v6
	s_delay_alu instid0(VALU_DEP_1) | instskip(NEXT) | instid1(VALU_DEP_1)
	v_cndmask_b32_e32 v5, v6, v7, vcc_lo
	v_and_or_b32 v4, 0x80000000, v4, v5
.LBB126_322:
	s_mov_b32 s28, 0
	s_mov_b32 s21, -1
.LBB126_323:
	s_and_not1_b32 vcc_lo, exec_lo, s28
	s_cbranch_vccnz .LBB126_336
; %bb.324:
	s_cmp_gt_i32 s0, 14
	s_cbranch_scc0 .LBB126_327
; %bb.325:
	s_cmp_eq_u32 s0, 15
	s_cbranch_scc0 .LBB126_330
; %bb.326:
	global_load_u16 v4, v[0:1], off
	s_mov_b32 s21, -1
	s_mov_b32 s23, 0
	s_wait_loadcnt 0x0
	v_lshlrev_b32_e32 v4, 16, v4
	s_branch .LBB126_331
.LBB126_327:
	s_mov_b32 s28, -1
                                        ; implicit-def: $vgpr4
	s_branch .LBB126_332
.LBB126_328:
	s_or_saveexec_b32 s28, s28
	v_mov_b32_e32 v4, 0x7f800001
	s_xor_b32 exec_lo, exec_lo, s28
	s_cbranch_execz .LBB126_309
.LBB126_329:
	v_cmp_ne_u16_e32 vcc_lo, 0, v5
	v_mov_b32_e32 v4, 0
	s_and_not1_b32 s21, s21, exec_lo
	s_and_b32 s29, vcc_lo, exec_lo
	s_delay_alu instid0(SALU_CYCLE_1)
	s_or_b32 s21, s21, s29
	s_or_b32 exec_lo, exec_lo, s28
	s_and_saveexec_b32 s28, s21
	s_cbranch_execnz .LBB126_310
	s_branch .LBB126_311
.LBB126_330:
	s_mov_b32 s23, -1
                                        ; implicit-def: $vgpr4
.LBB126_331:
	s_mov_b32 s28, 0
.LBB126_332:
	s_delay_alu instid0(SALU_CYCLE_1)
	s_and_b32 vcc_lo, exec_lo, s28
	s_cbranch_vccz .LBB126_336
; %bb.333:
	s_cmp_eq_u32 s0, 11
	s_cbranch_scc0 .LBB126_335
; %bb.334:
	global_load_u8 v4, v[0:1], off
	s_mov_b32 s23, 0
	s_mov_b32 s21, -1
	s_wait_loadcnt 0x0
	v_cmp_ne_u16_e32 vcc_lo, 0, v4
	v_cndmask_b32_e64 v4, 0, 1.0, vcc_lo
	s_branch .LBB126_336
.LBB126_335:
	s_mov_b32 s23, -1
                                        ; implicit-def: $vgpr4
.LBB126_336:
	s_mov_b32 s28, 0
.LBB126_337:
	s_delay_alu instid0(SALU_CYCLE_1)
	s_and_b32 vcc_lo, exec_lo, s28
	s_cbranch_vccz .LBB126_386
; %bb.338:
	s_cmp_lt_i32 s0, 5
	s_cbranch_scc1 .LBB126_343
; %bb.339:
	s_cmp_lt_i32 s0, 8
	s_cbranch_scc1 .LBB126_344
	;; [unrolled: 3-line block ×3, first 2 shown]
; %bb.341:
	s_cmp_gt_i32 s0, 9
	s_cbranch_scc0 .LBB126_346
; %bb.342:
	global_load_b64 v[4:5], v[0:1], off
	s_mov_b32 s21, 0
	s_wait_loadcnt 0x0
	v_cvt_f32_f64_e32 v4, v[4:5]
	s_branch .LBB126_347
.LBB126_343:
	s_mov_b32 s21, -1
                                        ; implicit-def: $vgpr4
	s_branch .LBB126_365
.LBB126_344:
	s_mov_b32 s21, -1
                                        ; implicit-def: $vgpr4
	s_branch .LBB126_353
.LBB126_345:
	s_mov_b32 s21, -1
                                        ; implicit-def: $vgpr4
	s_branch .LBB126_350
.LBB126_346:
	s_mov_b32 s21, -1
                                        ; implicit-def: $vgpr4
.LBB126_347:
	s_delay_alu instid0(SALU_CYCLE_1)
	s_and_not1_b32 vcc_lo, exec_lo, s21
	s_cbranch_vccnz .LBB126_349
; %bb.348:
	global_load_b32 v4, v[0:1], off
.LBB126_349:
	s_mov_b32 s21, 0
.LBB126_350:
	s_delay_alu instid0(SALU_CYCLE_1)
	s_and_not1_b32 vcc_lo, exec_lo, s21
	s_cbranch_vccnz .LBB126_352
; %bb.351:
	s_wait_loadcnt 0x0
	global_load_b32 v4, v[0:1], off
	s_wait_loadcnt 0x0
	v_cvt_f32_f16_e32 v4, v4
.LBB126_352:
	s_mov_b32 s21, 0
.LBB126_353:
	s_delay_alu instid0(SALU_CYCLE_1)
	s_and_not1_b32 vcc_lo, exec_lo, s21
	s_cbranch_vccnz .LBB126_364
; %bb.354:
	s_cmp_lt_i32 s0, 6
	s_cbranch_scc1 .LBB126_357
; %bb.355:
	s_cmp_gt_i32 s0, 6
	s_cbranch_scc0 .LBB126_358
; %bb.356:
	s_wait_loadcnt 0x0
	global_load_b64 v[4:5], v[0:1], off
	s_mov_b32 s21, 0
	s_wait_loadcnt 0x0
	v_cvt_f32_f64_e32 v4, v[4:5]
	s_branch .LBB126_359
.LBB126_357:
	s_mov_b32 s21, -1
                                        ; implicit-def: $vgpr4
	s_branch .LBB126_362
.LBB126_358:
	s_mov_b32 s21, -1
                                        ; implicit-def: $vgpr4
.LBB126_359:
	s_delay_alu instid0(SALU_CYCLE_1)
	s_and_not1_b32 vcc_lo, exec_lo, s21
	s_cbranch_vccnz .LBB126_361
; %bb.360:
	s_wait_loadcnt 0x0
	global_load_b32 v4, v[0:1], off
.LBB126_361:
	s_mov_b32 s21, 0
.LBB126_362:
	s_delay_alu instid0(SALU_CYCLE_1)
	s_and_not1_b32 vcc_lo, exec_lo, s21
	s_cbranch_vccnz .LBB126_364
; %bb.363:
	s_wait_loadcnt 0x0
	global_load_u16 v4, v[0:1], off
	s_wait_loadcnt 0x0
	v_cvt_f32_f16_e32 v4, v4
.LBB126_364:
	s_mov_b32 s21, 0
.LBB126_365:
	s_delay_alu instid0(SALU_CYCLE_1)
	s_and_not1_b32 vcc_lo, exec_lo, s21
	s_cbranch_vccnz .LBB126_385
; %bb.366:
	s_cmp_lt_i32 s0, 2
	s_cbranch_scc1 .LBB126_370
; %bb.367:
	s_cmp_lt_i32 s0, 3
	s_cbranch_scc1 .LBB126_371
; %bb.368:
	s_cmp_gt_i32 s0, 3
	s_cbranch_scc0 .LBB126_372
; %bb.369:
	s_wait_loadcnt 0x0
	global_load_b64 v[4:5], v[0:1], off
	s_mov_b32 s21, 0
	s_wait_loadcnt 0x0
	v_xor_b32_e32 v6, v4, v5
	v_cls_i32_e32 v7, v5
	s_delay_alu instid0(VALU_DEP_2) | instskip(NEXT) | instid1(VALU_DEP_1)
	v_ashrrev_i32_e32 v6, 31, v6
	v_add_nc_u32_e32 v6, 32, v6
	s_delay_alu instid0(VALU_DEP_1) | instskip(NEXT) | instid1(VALU_DEP_1)
	v_add_min_u32_e64 v6, v7, -1, v6
	v_lshlrev_b64_e32 v[4:5], v6, v[4:5]
	s_delay_alu instid0(VALU_DEP_1) | instskip(NEXT) | instid1(VALU_DEP_1)
	v_min_u32_e32 v4, 1, v4
	v_dual_sub_nc_u32 v5, 32, v6 :: v_dual_bitop2_b32 v4, v5, v4 bitop3:0x54
	s_delay_alu instid0(VALU_DEP_1) | instskip(NEXT) | instid1(VALU_DEP_1)
	v_cvt_f32_i32_e32 v4, v4
	v_ldexp_f32 v4, v4, v5
	s_branch .LBB126_373
.LBB126_370:
	s_mov_b32 s21, -1
                                        ; implicit-def: $vgpr4
	s_branch .LBB126_379
.LBB126_371:
	s_mov_b32 s21, -1
                                        ; implicit-def: $vgpr4
	s_branch .LBB126_376
.LBB126_372:
	s_mov_b32 s21, -1
                                        ; implicit-def: $vgpr4
.LBB126_373:
	s_delay_alu instid0(SALU_CYCLE_1)
	s_and_not1_b32 vcc_lo, exec_lo, s21
	s_cbranch_vccnz .LBB126_375
; %bb.374:
	s_wait_loadcnt 0x0
	global_load_b32 v4, v[0:1], off
	s_wait_loadcnt 0x0
	v_cvt_f32_i32_e32 v4, v4
.LBB126_375:
	s_mov_b32 s21, 0
.LBB126_376:
	s_delay_alu instid0(SALU_CYCLE_1)
	s_and_not1_b32 vcc_lo, exec_lo, s21
	s_cbranch_vccnz .LBB126_378
; %bb.377:
	s_wait_loadcnt 0x0
	global_load_i16 v4, v[0:1], off
	s_wait_loadcnt 0x0
	v_cvt_f32_i32_e32 v4, v4
.LBB126_378:
	s_mov_b32 s21, 0
.LBB126_379:
	s_delay_alu instid0(SALU_CYCLE_1)
	s_and_not1_b32 vcc_lo, exec_lo, s21
	s_cbranch_vccnz .LBB126_385
; %bb.380:
	s_cmp_gt_i32 s0, 0
	s_mov_b32 s0, 0
	s_cbranch_scc0 .LBB126_382
; %bb.381:
	s_wait_loadcnt 0x0
	global_load_i8 v4, v[0:1], off
	s_wait_loadcnt 0x0
	v_cvt_f32_i32_e32 v4, v4
	s_branch .LBB126_383
.LBB126_382:
	s_mov_b32 s0, -1
                                        ; implicit-def: $vgpr4
.LBB126_383:
	s_delay_alu instid0(SALU_CYCLE_1)
	s_and_not1_b32 vcc_lo, exec_lo, s0
	s_cbranch_vccnz .LBB126_385
; %bb.384:
	global_load_u8 v0, v[0:1], off
	s_wait_loadcnt 0x0
	v_cvt_f32_ubyte0_e32 v4, v0
.LBB126_385:
	s_mov_b32 s21, -1
.LBB126_386:
	s_delay_alu instid0(SALU_CYCLE_1)
	s_and_not1_b32 vcc_lo, exec_lo, s21
	s_cbranch_vccnz .LBB126_394
; %bb.387:
	s_wait_xcnt 0x0
	v_mul_lo_u32 v0, v8, s12
	s_wait_loadcnt 0x0
	v_mul_f32_e32 v2, s17, v2
	s_and_b32 s21, s18, 0xff
	s_delay_alu instid0(SALU_CYCLE_1) | instskip(NEXT) | instid1(VALU_DEP_2)
	s_cmp_lt_i32 s21, 11
	v_ashrrev_i32_e32 v1, 31, v0
	s_delay_alu instid0(VALU_DEP_2) | instskip(NEXT) | instid1(VALU_DEP_2)
	v_mul_f32_e32 v2, v2, v4
	v_add_nc_u64_e32 v[0:1], s[4:5], v[0:1]
	s_delay_alu instid0(VALU_DEP_2)
	v_fmac_f32_e32 v2, s16, v3
	s_cbranch_scc1 .LBB126_395
; %bb.388:
	s_and_b32 s28, 0xffff, s21
	s_delay_alu instid0(SALU_CYCLE_1)
	s_cmp_gt_i32 s28, 25
	s_cbranch_scc0 .LBB126_396
; %bb.389:
	s_cmp_gt_i32 s28, 28
	s_cbranch_scc0 .LBB126_397
; %bb.390:
	;; [unrolled: 3-line block ×4, first 2 shown]
	s_mov_b32 s30, 0
	s_mov_b32 s0, -1
	s_cmp_eq_u32 s28, 46
	s_mov_b32 s29, 0
	s_cbranch_scc0 .LBB126_400
; %bb.393:
	v_bfe_u32 v3, v2, 16, 1
	v_cmp_o_f32_e32 vcc_lo, v2, v2
	s_mov_b32 s29, -1
	s_mov_b32 s0, 0
	s_delay_alu instid0(VALU_DEP_2) | instskip(NEXT) | instid1(VALU_DEP_1)
	v_add3_u32 v3, v2, v3, 0x7fff
	v_lshrrev_b32_e32 v3, 16, v3
	s_delay_alu instid0(VALU_DEP_1)
	v_cndmask_b32_e32 v3, 0x7fc0, v3, vcc_lo
	global_store_b32 v[0:1], v3, off
	s_branch .LBB126_400
.LBB126_394:
	s_mov_b32 s0, 0
	s_branch .LBB126_510
.LBB126_395:
	s_mov_b32 s28, -1
	s_mov_b32 s0, 0
	s_mov_b32 s29, 0
	s_branch .LBB126_469
.LBB126_396:
	s_mov_b32 s0, 0
	s_mov_b32 s29, 0
	s_branch .LBB126_427
.LBB126_397:
	s_mov_b32 s0, 0
	s_mov_b32 s29, 0
	s_branch .LBB126_410
.LBB126_398:
	s_mov_b32 s0, 0
	s_mov_b32 s29, 0
	s_branch .LBB126_406
.LBB126_399:
	s_mov_b32 s0, 0
	s_mov_b32 s29, 0
.LBB126_400:
	s_and_b32 vcc_lo, exec_lo, s30
	s_cbranch_vccz .LBB126_405
; %bb.401:
	s_cmp_eq_u32 s28, 44
	s_mov_b32 s0, -1
	s_cbranch_scc0 .LBB126_405
; %bb.402:
	v_bfe_u32 v4, v2, 23, 8
	s_wait_xcnt 0x0
	v_mov_b32_e32 v3, 0xff
	s_mov_b32 s29, exec_lo
	s_delay_alu instid0(VALU_DEP_2)
	v_cmpx_ne_u32_e32 0xff, v4
	s_cbranch_execz .LBB126_404
; %bb.403:
	v_and_b32_e32 v3, 0x400000, v2
	v_and_or_b32 v4, 0x3fffff, v2, v4
	s_delay_alu instid0(VALU_DEP_2) | instskip(NEXT) | instid1(VALU_DEP_2)
	v_cmp_ne_u32_e32 vcc_lo, 0, v3
	v_cmp_ne_u32_e64 s0, 0, v4
	v_lshrrev_b32_e32 v3, 23, v2
	s_and_b32 s0, vcc_lo, s0
	s_delay_alu instid0(SALU_CYCLE_1) | instskip(NEXT) | instid1(VALU_DEP_1)
	v_cndmask_b32_e64 v4, 0, 1, s0
	v_add_nc_u32_e32 v3, v3, v4
.LBB126_404:
	s_or_b32 exec_lo, exec_lo, s29
	s_mov_b32 s29, -1
	s_mov_b32 s0, 0
	global_store_b8 v[0:1], v3, off
.LBB126_405:
	s_mov_b32 s30, 0
.LBB126_406:
	s_delay_alu instid0(SALU_CYCLE_1)
	s_and_b32 vcc_lo, exec_lo, s30
	s_cbranch_vccz .LBB126_409
; %bb.407:
	s_cmp_eq_u32 s28, 29
	s_mov_b32 s0, -1
	s_cbranch_scc0 .LBB126_409
; %bb.408:
	s_wait_xcnt 0x0
	v_trunc_f32_e32 v3, v2
	s_mov_b32 s29, -1
	s_mov_b32 s0, 0
	s_mov_b32 s30, 0
	s_delay_alu instid0(VALU_DEP_1) | instskip(NEXT) | instid1(VALU_DEP_1)
	v_mul_f32_e32 v4, 0x2f800000, v3
	v_floor_f32_e32 v4, v4
	s_delay_alu instid0(VALU_DEP_1) | instskip(SKIP_1) | instid1(VALU_DEP_2)
	v_fmamk_f32 v3, v4, 0xcf800000, v3
	v_cvt_u32_f32_e32 v5, v4
	v_cvt_u32_f32_e32 v4, v3
	global_store_b64 v[0:1], v[4:5], off
	s_branch .LBB126_410
.LBB126_409:
	s_mov_b32 s30, 0
.LBB126_410:
	s_delay_alu instid0(SALU_CYCLE_1)
	s_and_b32 vcc_lo, exec_lo, s30
	s_cbranch_vccz .LBB126_426
; %bb.411:
	s_cmp_lt_i32 s28, 27
	s_mov_b32 s29, -1
	s_cbranch_scc1 .LBB126_417
; %bb.412:
	s_wait_xcnt 0x0
	v_cvt_u32_f32_e32 v3, v2
	s_cmp_gt_i32 s28, 27
	s_cbranch_scc0 .LBB126_414
; %bb.413:
	s_mov_b32 s29, 0
	global_store_b32 v[0:1], v3, off
.LBB126_414:
	s_and_not1_b32 vcc_lo, exec_lo, s29
	s_cbranch_vccnz .LBB126_416
; %bb.415:
	global_store_b16 v[0:1], v3, off
.LBB126_416:
	s_mov_b32 s29, 0
.LBB126_417:
	s_delay_alu instid0(SALU_CYCLE_1)
	s_and_not1_b32 vcc_lo, exec_lo, s29
	s_cbranch_vccnz .LBB126_425
; %bb.418:
	s_wait_xcnt 0x0
	v_and_b32_e32 v3, 0x7fffffff, v2
	v_mov_b32_e32 v4, 0x80
	s_mov_b32 s29, exec_lo
	s_delay_alu instid0(VALU_DEP_2)
	v_cmpx_gt_u32_e32 0x43800000, v3
	s_cbranch_execz .LBB126_424
; %bb.419:
	v_cmp_lt_u32_e32 vcc_lo, 0x3bffffff, v3
	s_mov_b32 s30, 0
                                        ; implicit-def: $vgpr3
	s_and_saveexec_b32 s31, vcc_lo
	s_delay_alu instid0(SALU_CYCLE_1)
	s_xor_b32 s31, exec_lo, s31
	s_cbranch_execz .LBB126_658
; %bb.420:
	v_bfe_u32 v3, v2, 20, 1
	s_mov_b32 s30, exec_lo
	s_delay_alu instid0(VALU_DEP_1) | instskip(NEXT) | instid1(VALU_DEP_1)
	v_add3_u32 v3, v2, v3, 0x487ffff
	v_lshrrev_b32_e32 v3, 20, v3
	s_and_not1_saveexec_b32 s31, s31
	s_cbranch_execnz .LBB126_659
.LBB126_421:
	s_or_b32 exec_lo, exec_lo, s31
	v_mov_b32_e32 v4, 0
	s_and_saveexec_b32 s31, s30
.LBB126_422:
	v_lshrrev_b32_e32 v4, 24, v2
	s_delay_alu instid0(VALU_DEP_1)
	v_and_or_b32 v4, 0x80, v4, v3
.LBB126_423:
	s_or_b32 exec_lo, exec_lo, s31
.LBB126_424:
	s_delay_alu instid0(SALU_CYCLE_1)
	s_or_b32 exec_lo, exec_lo, s29
	global_store_b8 v[0:1], v4, off
.LBB126_425:
	s_mov_b32 s29, -1
.LBB126_426:
	s_mov_b32 s30, 0
.LBB126_427:
	s_delay_alu instid0(SALU_CYCLE_1)
	s_and_b32 vcc_lo, exec_lo, s30
	s_cbranch_vccz .LBB126_468
; %bb.428:
	s_cmp_gt_i32 s28, 22
	s_mov_b32 s30, -1
	s_cbranch_scc0 .LBB126_460
; %bb.429:
	s_cmp_lt_i32 s28, 24
	s_mov_b32 s29, -1
	s_cbranch_scc1 .LBB126_449
; %bb.430:
	s_cmp_gt_i32 s28, 24
	s_cbranch_scc0 .LBB126_438
; %bb.431:
	s_wait_xcnt 0x0
	v_and_b32_e32 v3, 0x7fffffff, v2
	v_mov_b32_e32 v4, 0x80
	s_mov_b32 s29, exec_lo
	s_delay_alu instid0(VALU_DEP_2)
	v_cmpx_gt_u32_e32 0x47800000, v3
	s_cbranch_execz .LBB126_437
; %bb.432:
	v_cmp_lt_u32_e32 vcc_lo, 0x37ffffff, v3
	s_mov_b32 s30, 0
                                        ; implicit-def: $vgpr3
	s_and_saveexec_b32 s31, vcc_lo
	s_delay_alu instid0(SALU_CYCLE_1)
	s_xor_b32 s31, exec_lo, s31
	s_cbranch_execz .LBB126_790
; %bb.433:
	v_bfe_u32 v3, v2, 21, 1
	s_mov_b32 s30, exec_lo
	s_delay_alu instid0(VALU_DEP_1) | instskip(NEXT) | instid1(VALU_DEP_1)
	v_add3_u32 v3, v2, v3, 0x88fffff
	v_lshrrev_b32_e32 v3, 21, v3
	s_and_not1_saveexec_b32 s31, s31
	s_cbranch_execnz .LBB126_791
.LBB126_434:
	s_or_b32 exec_lo, exec_lo, s31
	v_mov_b32_e32 v4, 0
	s_and_saveexec_b32 s31, s30
.LBB126_435:
	v_lshrrev_b32_e32 v4, 24, v2
	s_delay_alu instid0(VALU_DEP_1)
	v_and_or_b32 v4, 0x80, v4, v3
.LBB126_436:
	s_or_b32 exec_lo, exec_lo, s31
.LBB126_437:
	s_delay_alu instid0(SALU_CYCLE_1)
	s_or_b32 exec_lo, exec_lo, s29
	s_mov_b32 s29, 0
	global_store_b8 v[0:1], v4, off
.LBB126_438:
	s_and_b32 vcc_lo, exec_lo, s29
	s_cbranch_vccz .LBB126_448
; %bb.439:
	s_wait_xcnt 0x0
	v_and_b32_e32 v4, 0x7fffffff, v2
	s_mov_b32 s29, exec_lo
                                        ; implicit-def: $vgpr3
	s_delay_alu instid0(VALU_DEP_1)
	v_cmpx_gt_u32_e32 0x43f00000, v4
	s_xor_b32 s29, exec_lo, s29
	s_cbranch_execz .LBB126_445
; %bb.440:
	s_mov_b32 s30, exec_lo
                                        ; implicit-def: $vgpr3
	v_cmpx_lt_u32_e32 0x3c7fffff, v4
	s_xor_b32 s30, exec_lo, s30
; %bb.441:
	v_bfe_u32 v3, v2, 20, 1
	s_delay_alu instid0(VALU_DEP_1) | instskip(NEXT) | instid1(VALU_DEP_1)
	v_add3_u32 v3, v2, v3, 0x407ffff
	v_and_b32_e32 v4, 0xff00000, v3
	v_lshrrev_b32_e32 v3, 20, v3
	s_delay_alu instid0(VALU_DEP_2) | instskip(NEXT) | instid1(VALU_DEP_2)
	v_cmp_ne_u32_e32 vcc_lo, 0x7f00000, v4
	v_cndmask_b32_e32 v3, 0x7e, v3, vcc_lo
; %bb.442:
	s_and_not1_saveexec_b32 s30, s30
; %bb.443:
	v_add_f32_e64 v3, 0x46800000, |v2|
; %bb.444:
	s_or_b32 exec_lo, exec_lo, s30
                                        ; implicit-def: $vgpr4
.LBB126_445:
	s_and_not1_saveexec_b32 s29, s29
; %bb.446:
	v_mov_b32_e32 v3, 0x7f
	v_cmp_lt_u32_e32 vcc_lo, 0x7f800000, v4
	s_delay_alu instid0(VALU_DEP_2)
	v_cndmask_b32_e32 v3, 0x7e, v3, vcc_lo
; %bb.447:
	s_or_b32 exec_lo, exec_lo, s29
	v_lshrrev_b32_e32 v4, 24, v2
	s_delay_alu instid0(VALU_DEP_1)
	v_and_or_b32 v3, 0x80, v4, v3
	global_store_b8 v[0:1], v3, off
.LBB126_448:
	s_mov_b32 s29, 0
.LBB126_449:
	s_delay_alu instid0(SALU_CYCLE_1)
	s_and_not1_b32 vcc_lo, exec_lo, s29
	s_cbranch_vccnz .LBB126_459
; %bb.450:
	s_wait_xcnt 0x0
	v_and_b32_e32 v4, 0x7fffffff, v2
	s_mov_b32 s29, exec_lo
                                        ; implicit-def: $vgpr3
	s_delay_alu instid0(VALU_DEP_1)
	v_cmpx_gt_u32_e32 0x47800000, v4
	s_xor_b32 s29, exec_lo, s29
	s_cbranch_execz .LBB126_456
; %bb.451:
	s_mov_b32 s30, exec_lo
                                        ; implicit-def: $vgpr3
	v_cmpx_lt_u32_e32 0x387fffff, v4
	s_xor_b32 s30, exec_lo, s30
; %bb.452:
	v_bfe_u32 v3, v2, 21, 1
	s_delay_alu instid0(VALU_DEP_1) | instskip(NEXT) | instid1(VALU_DEP_1)
	v_add3_u32 v3, v2, v3, 0x80fffff
	v_lshrrev_b32_e32 v3, 21, v3
; %bb.453:
	s_and_not1_saveexec_b32 s30, s30
; %bb.454:
	v_add_f32_e64 v3, 0x43000000, |v2|
; %bb.455:
	s_or_b32 exec_lo, exec_lo, s30
                                        ; implicit-def: $vgpr4
.LBB126_456:
	s_and_not1_saveexec_b32 s29, s29
; %bb.457:
	v_mov_b32_e32 v3, 0x7f
	v_cmp_lt_u32_e32 vcc_lo, 0x7f800000, v4
	s_delay_alu instid0(VALU_DEP_2)
	v_cndmask_b32_e32 v3, 0x7c, v3, vcc_lo
; %bb.458:
	s_or_b32 exec_lo, exec_lo, s29
	v_lshrrev_b32_e32 v4, 24, v2
	s_delay_alu instid0(VALU_DEP_1)
	v_and_or_b32 v3, 0x80, v4, v3
	global_store_b8 v[0:1], v3, off
.LBB126_459:
	s_mov_b32 s30, 0
	s_mov_b32 s29, -1
.LBB126_460:
	s_and_not1_b32 vcc_lo, exec_lo, s30
	s_cbranch_vccnz .LBB126_468
; %bb.461:
	s_cmp_gt_i32 s28, 14
	s_mov_b32 s30, -1
	s_cbranch_scc0 .LBB126_465
; %bb.462:
	s_cmp_eq_u32 s28, 15
	s_mov_b32 s0, -1
	s_cbranch_scc0 .LBB126_464
; %bb.463:
	s_wait_xcnt 0x0
	v_bfe_u32 v3, v2, 16, 1
	v_cmp_o_f32_e32 vcc_lo, v2, v2
	s_mov_b32 s29, -1
	s_mov_b32 s0, 0
	s_delay_alu instid0(VALU_DEP_2) | instskip(NEXT) | instid1(VALU_DEP_1)
	v_add3_u32 v3, v2, v3, 0x7fff
	v_lshrrev_b32_e32 v3, 16, v3
	s_delay_alu instid0(VALU_DEP_1)
	v_cndmask_b32_e32 v3, 0x7fc0, v3, vcc_lo
	global_store_b16 v[0:1], v3, off
.LBB126_464:
	s_mov_b32 s30, 0
.LBB126_465:
	s_delay_alu instid0(SALU_CYCLE_1)
	s_and_b32 vcc_lo, exec_lo, s30
	s_cbranch_vccz .LBB126_468
; %bb.466:
	s_cmp_eq_u32 s28, 11
	s_mov_b32 s0, -1
	s_cbranch_scc0 .LBB126_468
; %bb.467:
	v_cmp_neq_f32_e32 vcc_lo, 0, v2
	s_mov_b32 s0, 0
	s_mov_b32 s29, -1
	s_wait_xcnt 0x0
	v_cndmask_b32_e64 v3, 0, 1, vcc_lo
	global_store_b8 v[0:1], v3, off
.LBB126_468:
	s_mov_b32 s28, 0
.LBB126_469:
	s_delay_alu instid0(SALU_CYCLE_1)
	s_and_b32 vcc_lo, exec_lo, s28
	s_cbranch_vccz .LBB126_508
; %bb.470:
	s_and_b32 s21, 0xffff, s21
	s_mov_b32 s28, -1
	s_cmp_lt_i32 s21, 5
	s_cbranch_scc1 .LBB126_491
; %bb.471:
	s_cmp_lt_i32 s21, 8
	s_cbranch_scc1 .LBB126_481
; %bb.472:
	;; [unrolled: 3-line block ×3, first 2 shown]
	s_cmp_gt_i32 s21, 9
	s_cbranch_scc0 .LBB126_475
; %bb.474:
	s_wait_xcnt 0x0
	v_cvt_f64_f32_e32 v[4:5], v2
	v_mov_b32_e32 v6, 0
	s_mov_b32 s28, 0
	s_delay_alu instid0(VALU_DEP_1)
	v_mov_b32_e32 v7, v6
	global_store_b128 v[0:1], v[4:7], off
.LBB126_475:
	s_and_not1_b32 vcc_lo, exec_lo, s28
	s_cbranch_vccnz .LBB126_477
; %bb.476:
	s_wait_xcnt 0x0
	v_mov_b32_e32 v3, 0
	global_store_b64 v[0:1], v[2:3], off
.LBB126_477:
	s_mov_b32 s28, 0
.LBB126_478:
	s_delay_alu instid0(SALU_CYCLE_1)
	s_and_not1_b32 vcc_lo, exec_lo, s28
	s_cbranch_vccnz .LBB126_480
; %bb.479:
	s_wait_xcnt 0x0
	v_cvt_f16_f32_e32 v3, v2
	s_delay_alu instid0(VALU_DEP_1)
	v_and_b32_e32 v3, 0xffff, v3
	global_store_b32 v[0:1], v3, off
.LBB126_480:
	s_mov_b32 s28, 0
.LBB126_481:
	s_delay_alu instid0(SALU_CYCLE_1)
	s_and_not1_b32 vcc_lo, exec_lo, s28
	s_cbranch_vccnz .LBB126_490
; %bb.482:
	s_cmp_lt_i32 s21, 6
	s_mov_b32 s28, -1
	s_cbranch_scc1 .LBB126_488
; %bb.483:
	s_cmp_gt_i32 s21, 6
	s_cbranch_scc0 .LBB126_485
; %bb.484:
	s_wait_xcnt 0x0
	v_cvt_f64_f32_e32 v[4:5], v2
	s_mov_b32 s28, 0
	global_store_b64 v[0:1], v[4:5], off
.LBB126_485:
	s_and_not1_b32 vcc_lo, exec_lo, s28
	s_cbranch_vccnz .LBB126_487
; %bb.486:
	global_store_b32 v[0:1], v2, off
.LBB126_487:
	s_mov_b32 s28, 0
.LBB126_488:
	s_delay_alu instid0(SALU_CYCLE_1)
	s_and_not1_b32 vcc_lo, exec_lo, s28
	s_cbranch_vccnz .LBB126_490
; %bb.489:
	s_wait_xcnt 0x0
	v_cvt_f16_f32_e32 v3, v2
	global_store_b16 v[0:1], v3, off
.LBB126_490:
	s_mov_b32 s28, 0
.LBB126_491:
	s_delay_alu instid0(SALU_CYCLE_1)
	s_and_not1_b32 vcc_lo, exec_lo, s28
	s_cbranch_vccnz .LBB126_507
; %bb.492:
	s_cmp_lt_i32 s21, 2
	s_mov_b32 s28, -1
	s_cbranch_scc1 .LBB126_502
; %bb.493:
	s_cmp_lt_i32 s21, 3
	s_cbranch_scc1 .LBB126_499
; %bb.494:
	s_cmp_gt_i32 s21, 3
	s_cbranch_scc0 .LBB126_496
; %bb.495:
	s_wait_xcnt 0x0
	v_trunc_f32_e32 v3, v2
	s_mov_b32 s28, 0
	s_delay_alu instid0(VALU_DEP_1) | instskip(NEXT) | instid1(VALU_DEP_1)
	v_mul_f32_e64 v4, 0x2f800000, |v3|
	v_floor_f32_e32 v5, v4
	v_ashrrev_i32_e32 v4, 31, v3
	s_delay_alu instid0(VALU_DEP_2) | instskip(SKIP_1) | instid1(VALU_DEP_3)
	v_fma_f32 v6, 0xcf800000, v5, |v3|
	v_cvt_u32_f32_e32 v3, v5
	v_mov_b32_e32 v5, v4
	s_delay_alu instid0(VALU_DEP_3) | instskip(NEXT) | instid1(VALU_DEP_3)
	v_cvt_u32_f32_e32 v6, v6
	v_xor_b32_e32 v7, v3, v4
	s_delay_alu instid0(VALU_DEP_2) | instskip(NEXT) | instid1(VALU_DEP_1)
	v_xor_b32_e32 v6, v6, v4
	v_sub_nc_u64_e32 v[4:5], v[6:7], v[4:5]
	global_store_b64 v[0:1], v[4:5], off
.LBB126_496:
	s_and_not1_b32 vcc_lo, exec_lo, s28
	s_cbranch_vccnz .LBB126_498
; %bb.497:
	s_wait_xcnt 0x0
	v_cvt_i32_f32_e32 v3, v2
	global_store_b32 v[0:1], v3, off
.LBB126_498:
	s_mov_b32 s28, 0
.LBB126_499:
	s_delay_alu instid0(SALU_CYCLE_1)
	s_and_not1_b32 vcc_lo, exec_lo, s28
	s_cbranch_vccnz .LBB126_501
; %bb.500:
	s_wait_xcnt 0x0
	v_cvt_i32_f32_e32 v3, v2
	global_store_b16 v[0:1], v3, off
.LBB126_501:
	s_mov_b32 s28, 0
.LBB126_502:
	s_delay_alu instid0(SALU_CYCLE_1)
	s_and_not1_b32 vcc_lo, exec_lo, s28
	s_cbranch_vccnz .LBB126_507
; %bb.503:
	s_cmp_gt_i32 s21, 0
	s_mov_b32 s21, -1
	s_cbranch_scc0 .LBB126_505
; %bb.504:
	s_wait_xcnt 0x0
	v_cvt_i32_f32_e32 v3, v2
	s_mov_b32 s21, 0
	global_store_b8 v[0:1], v3, off
.LBB126_505:
	s_and_not1_b32 vcc_lo, exec_lo, s21
	s_cbranch_vccnz .LBB126_507
; %bb.506:
	s_wait_xcnt 0x0
	v_trunc_f32_e32 v2, v2
	s_delay_alu instid0(VALU_DEP_1) | instskip(NEXT) | instid1(VALU_DEP_1)
	v_mul_f32_e64 v3, 0x2f800000, |v2|
	v_floor_f32_e32 v3, v3
	s_delay_alu instid0(VALU_DEP_1) | instskip(SKIP_1) | instid1(VALU_DEP_2)
	v_fma_f32 v3, 0xcf800000, v3, |v2|
	v_ashrrev_i32_e32 v2, 31, v2
	v_cvt_u32_f32_e32 v3, v3
	s_delay_alu instid0(VALU_DEP_1) | instskip(NEXT) | instid1(VALU_DEP_1)
	v_xor_b32_e32 v3, v3, v2
	v_sub_nc_u32_e32 v2, v3, v2
	global_store_b8 v[0:1], v2, off
.LBB126_507:
	s_mov_b32 s29, -1
.LBB126_508:
	s_delay_alu instid0(SALU_CYCLE_1)
	s_and_not1_b32 vcc_lo, exec_lo, s29
	s_cbranch_vccnz .LBB126_510
; %bb.509:
	v_add_nc_u32_e32 v8, 0x80, v8
	s_mov_b32 s28, -1
	s_branch .LBB126_511
.LBB126_510:
	s_mov_b32 s28, 0
                                        ; implicit-def: $vgpr8
.LBB126_511:
	s_and_b32 s21, s0, exec_lo
	s_and_b32 s23, s23, exec_lo
	;; [unrolled: 1-line block ×4, first 2 shown]
	s_or_not1_b32 s30, s28, exec_lo
.LBB126_512:
	s_wait_xcnt 0x0
	s_or_b32 exec_lo, exec_lo, s26
	s_mov_b32 s29, 0
	s_mov_b32 s28, 0
                                        ; implicit-def: $sgpr0
                                        ; implicit-def: $vgpr0_vgpr1
                                        ; implicit-def: $vgpr3
	s_and_saveexec_b32 s26, s30
	s_cbranch_execz .LBB126_521
; %bb.513:
	s_mov_b32 s34, -1
	s_mov_b32 s27, s25
	s_mov_b32 s30, s24
	;; [unrolled: 1-line block ×4, first 2 shown]
	s_mov_b32 s31, exec_lo
	v_cmpx_gt_i32_e64 s22, v8
	s_cbranch_execz .LBB126_1035
; %bb.514:
	v_mul_lo_u32 v0, v8, s13
	s_and_b32 s0, s19, 0xff
	s_delay_alu instid0(SALU_CYCLE_1) | instskip(NEXT) | instid1(VALU_DEP_1)
	s_cmp_lt_i32 s0, 11
	v_ashrrev_i32_e32 v1, 31, v0
	s_delay_alu instid0(VALU_DEP_1)
	v_add_nc_u64_e32 v[0:1], s[6:7], v[0:1]
	s_cbranch_scc1 .LBB126_524
; %bb.515:
	s_and_b32 s28, 0xffff, s0
	s_delay_alu instid0(SALU_CYCLE_1)
	s_cmp_gt_i32 s28, 25
	s_cbranch_scc0 .LBB126_533
; %bb.516:
	s_cmp_gt_i32 s28, 28
	s_cbranch_scc0 .LBB126_535
; %bb.517:
	;; [unrolled: 3-line block ×4, first 2 shown]
	s_cmp_eq_u32 s28, 46
	s_mov_b32 s30, 0
	s_cbranch_scc0 .LBB126_541
; %bb.520:
	s_wait_loadcnt 0x0
	global_load_b32 v2, v[0:1], off
	s_mov_b32 s29, -1
	s_mov_b32 s27, 0
	s_wait_loadcnt 0x0
	v_lshlrev_b32_e32 v3, 16, v2
	s_branch .LBB126_543
.LBB126_521:
	s_or_b32 exec_lo, exec_lo, s26
	s_mov_b32 s22, 0
	s_and_saveexec_b32 s26, s25
	s_cbranch_execnz .LBB126_1639
.LBB126_522:
	s_or_b32 exec_lo, exec_lo, s26
	s_and_saveexec_b32 s25, s27
	s_delay_alu instid0(SALU_CYCLE_1)
	s_xor_b32 s25, exec_lo, s25
	s_cbranch_execz .LBB126_1640
.LBB126_523:
	s_wait_loadcnt 0x0
	global_load_u8 v2, v[0:1], off
	s_or_b32 s28, s28, exec_lo
	s_wait_loadcnt 0x0
	v_cmp_ne_u16_e32 vcc_lo, 0, v2
	v_cndmask_b32_e64 v3, 0, 1.0, vcc_lo
	s_wait_xcnt 0x0
	s_or_b32 exec_lo, exec_lo, s25
	s_and_saveexec_b32 s25, s29
	s_cbranch_execz .LBB126_1686
	s_branch .LBB126_1641
.LBB126_524:
	s_mov_b32 s29, 0
	s_mov_b32 s27, s25
                                        ; implicit-def: $vgpr3
	s_cbranch_execnz .LBB126_609
.LBB126_525:
	s_and_not1_b32 vcc_lo, exec_lo, s29
	s_cbranch_vccnz .LBB126_657
.LBB126_526:
	s_wait_xcnt 0x0
	v_mul_lo_u32 v0, v8, s14
	s_and_b32 s0, s2, 0xff
	s_delay_alu instid0(SALU_CYCLE_1) | instskip(NEXT) | instid1(VALU_DEP_1)
	s_cmp_lt_i32 s0, 11
	v_ashrrev_i32_e32 v1, 31, v0
	s_delay_alu instid0(VALU_DEP_1)
	v_add_nc_u64_e32 v[0:1], s[8:9], v[0:1]
	s_cbranch_scc1 .LBB126_534
; %bb.527:
	s_and_b32 s28, 0xffff, s0
	s_delay_alu instid0(SALU_CYCLE_1)
	s_cmp_gt_i32 s28, 25
	s_cbranch_scc0 .LBB126_536
; %bb.528:
	s_cmp_gt_i32 s28, 28
	s_cbranch_scc0 .LBB126_538
; %bb.529:
	;; [unrolled: 3-line block ×4, first 2 shown]
	s_cmp_eq_u32 s28, 46
	s_mov_b32 s33, 0
	s_cbranch_scc0 .LBB126_660
; %bb.532:
	s_wait_loadcnt 0x0
	global_load_b32 v2, v[0:1], off
	s_mov_b32 s29, -1
	s_mov_b32 s30, 0
	s_wait_loadcnt 0x0
	v_lshlrev_b32_e32 v2, 16, v2
	s_branch .LBB126_662
.LBB126_533:
	s_mov_b32 s30, -1
	s_mov_b32 s29, 0
	s_mov_b32 s27, s25
                                        ; implicit-def: $vgpr3
	s_branch .LBB126_573
.LBB126_534:
	s_mov_b32 s28, -1
	s_mov_b32 s29, 0
	s_mov_b32 s30, s24
                                        ; implicit-def: $vgpr2
	s_branch .LBB126_727
.LBB126_535:
	s_mov_b32 s30, -1
	s_mov_b32 s29, 0
	s_mov_b32 s27, s25
                                        ; implicit-def: $vgpr3
	s_branch .LBB126_554
.LBB126_536:
	s_mov_b32 s33, -1
	s_mov_b32 s29, 0
	s_mov_b32 s30, s24
                                        ; implicit-def: $vgpr2
	s_branch .LBB126_691
.LBB126_537:
	s_mov_b32 s30, -1
	s_mov_b32 s29, 0
	s_mov_b32 s27, s25
                                        ; implicit-def: $vgpr3
	s_branch .LBB126_549
.LBB126_538:
	s_mov_b32 s33, -1
	s_mov_b32 s29, 0
	s_mov_b32 s30, s24
                                        ; implicit-def: $vgpr2
	s_branch .LBB126_672
.LBB126_539:
	s_mov_b32 s30, -1
	s_mov_b32 s29, 0
	s_mov_b32 s27, s25
	s_branch .LBB126_542
.LBB126_540:
	s_mov_b32 s33, -1
	s_mov_b32 s29, 0
	s_mov_b32 s30, s24
                                        ; implicit-def: $vgpr2
	s_branch .LBB126_667
.LBB126_541:
	s_mov_b32 s27, -1
	s_mov_b32 s29, 0
.LBB126_542:
                                        ; implicit-def: $vgpr3
.LBB126_543:
	s_and_b32 vcc_lo, exec_lo, s30
	s_cbranch_vccz .LBB126_548
; %bb.544:
	s_cmp_eq_u32 s28, 44
	s_cbranch_scc0 .LBB126_547
; %bb.545:
	s_wait_loadcnt 0x0
	global_load_u8 v2, v[0:1], off
	s_mov_b32 s27, 0
	s_mov_b32 s29, -1
	s_wait_loadcnt 0x0
	v_lshlrev_b32_e32 v3, 23, v2
	v_cmp_ne_u32_e32 vcc_lo, 0xff, v2
	s_delay_alu instid0(VALU_DEP_2) | instskip(SKIP_1) | instid1(VALU_DEP_2)
	v_cndmask_b32_e32 v3, 0x7f800001, v3, vcc_lo
	v_cmp_ne_u32_e32 vcc_lo, 0, v2
	v_cndmask_b32_e32 v3, 0x400000, v3, vcc_lo
	s_branch .LBB126_548
.LBB126_546:
	s_mov_b32 s33, -1
	s_mov_b32 s29, 0
	s_mov_b32 s30, s24
	s_branch .LBB126_661
.LBB126_547:
	s_mov_b32 s27, -1
                                        ; implicit-def: $vgpr3
.LBB126_548:
	s_mov_b32 s30, 0
.LBB126_549:
	s_delay_alu instid0(SALU_CYCLE_1)
	s_and_b32 vcc_lo, exec_lo, s30
	s_cbranch_vccz .LBB126_553
; %bb.550:
	s_cmp_eq_u32 s28, 29
	s_cbranch_scc0 .LBB126_552
; %bb.551:
	s_wait_loadcnt 0x0
	global_load_b64 v[2:3], v[0:1], off
	s_mov_b32 s29, -1
	s_mov_b32 s27, 0
	s_mov_b32 s30, 0
	s_wait_loadcnt 0x0
	v_clz_i32_u32_e32 v4, v3
	s_delay_alu instid0(VALU_DEP_1) | instskip(NEXT) | instid1(VALU_DEP_1)
	v_min_u32_e32 v4, 32, v4
	v_lshlrev_b64_e32 v[2:3], v4, v[2:3]
	s_delay_alu instid0(VALU_DEP_1) | instskip(NEXT) | instid1(VALU_DEP_1)
	v_min_u32_e32 v2, 1, v2
	v_dual_sub_nc_u32 v3, 32, v4 :: v_dual_bitop2_b32 v2, v3, v2 bitop3:0x54
	s_delay_alu instid0(VALU_DEP_1) | instskip(NEXT) | instid1(VALU_DEP_1)
	v_cvt_f32_u32_e32 v2, v2
	v_ldexp_f32 v3, v2, v3
	s_branch .LBB126_554
.LBB126_552:
	s_mov_b32 s27, -1
                                        ; implicit-def: $vgpr3
.LBB126_553:
	s_mov_b32 s30, 0
.LBB126_554:
	s_delay_alu instid0(SALU_CYCLE_1)
	s_and_b32 vcc_lo, exec_lo, s30
	s_cbranch_vccz .LBB126_572
; %bb.555:
	s_cmp_lt_i32 s28, 27
	s_cbranch_scc1 .LBB126_558
; %bb.556:
	s_cmp_gt_i32 s28, 27
	s_cbranch_scc0 .LBB126_559
; %bb.557:
	s_wait_loadcnt 0x0
	global_load_b32 v2, v[0:1], off
	s_mov_b32 s29, 0
	s_wait_loadcnt 0x0
	v_cvt_f32_u32_e32 v3, v2
	s_branch .LBB126_560
.LBB126_558:
	s_mov_b32 s29, -1
                                        ; implicit-def: $vgpr3
	s_branch .LBB126_563
.LBB126_559:
	s_mov_b32 s29, -1
                                        ; implicit-def: $vgpr3
.LBB126_560:
	s_delay_alu instid0(SALU_CYCLE_1)
	s_and_not1_b32 vcc_lo, exec_lo, s29
	s_cbranch_vccnz .LBB126_562
; %bb.561:
	s_wait_loadcnt 0x0
	global_load_u16 v2, v[0:1], off
	s_wait_loadcnt 0x0
	v_cvt_f32_u32_e32 v3, v2
.LBB126_562:
	s_mov_b32 s29, 0
.LBB126_563:
	s_delay_alu instid0(SALU_CYCLE_1)
	s_and_not1_b32 vcc_lo, exec_lo, s29
	s_cbranch_vccnz .LBB126_571
; %bb.564:
	s_wait_loadcnt 0x0
	global_load_u8 v2, v[0:1], off
	s_mov_b32 s29, 0
	s_mov_b32 s30, exec_lo
	s_wait_loadcnt 0x0
	v_cmpx_lt_i16_e32 0x7f, v2
	s_xor_b32 s30, exec_lo, s30
	s_cbranch_execz .LBB126_585
; %bb.565:
	s_mov_b32 s29, -1
	s_mov_b32 s33, exec_lo
	v_cmpx_eq_u16_e32 0x80, v2
; %bb.566:
	s_xor_b32 s29, exec_lo, -1
; %bb.567:
	s_or_b32 exec_lo, exec_lo, s33
	s_delay_alu instid0(SALU_CYCLE_1)
	s_and_b32 s29, s29, exec_lo
	s_or_saveexec_b32 s30, s30
	v_mov_b32_e32 v3, 0x7f800001
	s_xor_b32 exec_lo, exec_lo, s30
	s_cbranch_execnz .LBB126_586
.LBB126_568:
	s_or_b32 exec_lo, exec_lo, s30
	s_and_saveexec_b32 s30, s29
	s_cbranch_execz .LBB126_570
.LBB126_569:
	v_and_b32_e32 v3, 0xffff, v2
	s_delay_alu instid0(VALU_DEP_1) | instskip(SKIP_1) | instid1(VALU_DEP_2)
	v_and_b32_e32 v4, 7, v3
	v_bfe_u32 v7, v3, 3, 4
	v_clz_i32_u32_e32 v5, v4
	s_delay_alu instid0(VALU_DEP_2) | instskip(NEXT) | instid1(VALU_DEP_2)
	v_cmp_eq_u32_e32 vcc_lo, 0, v7
	v_min_u32_e32 v5, 32, v5
	s_delay_alu instid0(VALU_DEP_1) | instskip(NEXT) | instid1(VALU_DEP_1)
	v_subrev_nc_u32_e32 v6, 28, v5
	v_dual_lshlrev_b32 v3, v6, v3 :: v_dual_sub_nc_u32 v5, 29, v5
	s_delay_alu instid0(VALU_DEP_1) | instskip(NEXT) | instid1(VALU_DEP_1)
	v_dual_lshlrev_b32 v2, 24, v2 :: v_dual_bitop2_b32 v3, 7, v3 bitop3:0x40
	v_dual_cndmask_b32 v5, v7, v5, vcc_lo :: v_dual_cndmask_b32 v3, v4, v3, vcc_lo
	s_delay_alu instid0(VALU_DEP_2) | instskip(NEXT) | instid1(VALU_DEP_2)
	v_and_b32_e32 v2, 0x80000000, v2
	v_lshl_add_u32 v4, v5, 23, 0x3b800000
	s_delay_alu instid0(VALU_DEP_3) | instskip(NEXT) | instid1(VALU_DEP_1)
	v_lshlrev_b32_e32 v3, 20, v3
	v_or3_b32 v3, v2, v4, v3
.LBB126_570:
	s_or_b32 exec_lo, exec_lo, s30
.LBB126_571:
	s_mov_b32 s29, -1
.LBB126_572:
	s_mov_b32 s30, 0
.LBB126_573:
	s_delay_alu instid0(SALU_CYCLE_1)
	s_and_b32 vcc_lo, exec_lo, s30
	s_cbranch_vccz .LBB126_608
; %bb.574:
	s_cmp_gt_i32 s28, 22
	s_cbranch_scc0 .LBB126_584
; %bb.575:
	s_cmp_lt_i32 s28, 24
	s_cbranch_scc1 .LBB126_587
; %bb.576:
	s_cmp_gt_i32 s28, 24
	s_cbranch_scc0 .LBB126_588
; %bb.577:
	s_wait_loadcnt 0x0
	global_load_u8 v2, v[0:1], off
	s_mov_b32 s29, 0
	s_mov_b32 s30, exec_lo
	s_wait_loadcnt 0x0
	v_cmpx_lt_i16_e32 0x7f, v2
	s_xor_b32 s30, exec_lo, s30
	s_cbranch_execz .LBB126_600
; %bb.578:
	s_mov_b32 s29, -1
	s_mov_b32 s33, exec_lo
	v_cmpx_eq_u16_e32 0x80, v2
; %bb.579:
	s_xor_b32 s29, exec_lo, -1
; %bb.580:
	s_or_b32 exec_lo, exec_lo, s33
	s_delay_alu instid0(SALU_CYCLE_1)
	s_and_b32 s29, s29, exec_lo
	s_or_saveexec_b32 s30, s30
	v_mov_b32_e32 v3, 0x7f800001
	s_xor_b32 exec_lo, exec_lo, s30
	s_cbranch_execnz .LBB126_601
.LBB126_581:
	s_or_b32 exec_lo, exec_lo, s30
	s_and_saveexec_b32 s30, s29
	s_cbranch_execz .LBB126_583
.LBB126_582:
	v_and_b32_e32 v3, 0xffff, v2
	s_delay_alu instid0(VALU_DEP_1) | instskip(SKIP_1) | instid1(VALU_DEP_2)
	v_and_b32_e32 v4, 3, v3
	v_bfe_u32 v7, v3, 2, 5
	v_clz_i32_u32_e32 v5, v4
	s_delay_alu instid0(VALU_DEP_2) | instskip(NEXT) | instid1(VALU_DEP_2)
	v_cmp_eq_u32_e32 vcc_lo, 0, v7
	v_min_u32_e32 v5, 32, v5
	s_delay_alu instid0(VALU_DEP_1) | instskip(NEXT) | instid1(VALU_DEP_1)
	v_subrev_nc_u32_e32 v6, 29, v5
	v_dual_lshlrev_b32 v3, v6, v3 :: v_dual_sub_nc_u32 v5, 30, v5
	s_delay_alu instid0(VALU_DEP_1) | instskip(NEXT) | instid1(VALU_DEP_1)
	v_dual_lshlrev_b32 v2, 24, v2 :: v_dual_bitop2_b32 v3, 3, v3 bitop3:0x40
	v_dual_cndmask_b32 v5, v7, v5, vcc_lo :: v_dual_cndmask_b32 v3, v4, v3, vcc_lo
	s_delay_alu instid0(VALU_DEP_2) | instskip(NEXT) | instid1(VALU_DEP_2)
	v_and_b32_e32 v2, 0x80000000, v2
	v_lshl_add_u32 v4, v5, 23, 0x37800000
	s_delay_alu instid0(VALU_DEP_3) | instskip(NEXT) | instid1(VALU_DEP_1)
	v_lshlrev_b32_e32 v3, 21, v3
	v_or3_b32 v3, v2, v4, v3
.LBB126_583:
	s_or_b32 exec_lo, exec_lo, s30
	s_mov_b32 s29, 0
	s_branch .LBB126_589
.LBB126_584:
	s_mov_b32 s30, -1
                                        ; implicit-def: $vgpr3
	s_branch .LBB126_595
.LBB126_585:
	s_or_saveexec_b32 s30, s30
	v_mov_b32_e32 v3, 0x7f800001
	s_xor_b32 exec_lo, exec_lo, s30
	s_cbranch_execz .LBB126_568
.LBB126_586:
	v_cmp_ne_u16_e32 vcc_lo, 0, v2
	v_mov_b32_e32 v3, 0
	s_and_not1_b32 s29, s29, exec_lo
	s_and_b32 s33, vcc_lo, exec_lo
	s_delay_alu instid0(SALU_CYCLE_1)
	s_or_b32 s29, s29, s33
	s_or_b32 exec_lo, exec_lo, s30
	s_and_saveexec_b32 s30, s29
	s_cbranch_execnz .LBB126_569
	s_branch .LBB126_570
.LBB126_587:
	s_mov_b32 s29, -1
                                        ; implicit-def: $vgpr3
	s_branch .LBB126_592
.LBB126_588:
	s_mov_b32 s29, -1
                                        ; implicit-def: $vgpr3
.LBB126_589:
	s_delay_alu instid0(SALU_CYCLE_1)
	s_and_b32 vcc_lo, exec_lo, s29
	s_cbranch_vccz .LBB126_591
; %bb.590:
	s_wait_loadcnt 0x0
	global_load_u8 v2, v[0:1], off
	s_wait_loadcnt 0x0
	v_lshlrev_b32_e32 v2, 24, v2
	s_delay_alu instid0(VALU_DEP_1) | instskip(NEXT) | instid1(VALU_DEP_1)
	v_and_b32_e32 v3, 0x7f000000, v2
	v_clz_i32_u32_e32 v4, v3
	v_cmp_ne_u32_e32 vcc_lo, 0, v3
	v_add_nc_u32_e32 v6, 0x1000000, v3
	s_delay_alu instid0(VALU_DEP_3) | instskip(NEXT) | instid1(VALU_DEP_1)
	v_min_u32_e32 v4, 32, v4
	v_sub_nc_u32_e64 v4, v4, 4 clamp
	s_delay_alu instid0(VALU_DEP_1) | instskip(NEXT) | instid1(VALU_DEP_1)
	v_dual_lshlrev_b32 v5, v4, v3 :: v_dual_lshlrev_b32 v4, 23, v4
	v_lshrrev_b32_e32 v5, 4, v5
	s_delay_alu instid0(VALU_DEP_1) | instskip(NEXT) | instid1(VALU_DEP_1)
	v_dual_sub_nc_u32 v4, v5, v4 :: v_dual_ashrrev_i32 v5, 8, v6
	v_add_nc_u32_e32 v4, 0x3c000000, v4
	s_delay_alu instid0(VALU_DEP_1) | instskip(NEXT) | instid1(VALU_DEP_1)
	v_and_or_b32 v4, 0x7f800000, v5, v4
	v_cndmask_b32_e32 v3, 0, v4, vcc_lo
	s_delay_alu instid0(VALU_DEP_1)
	v_and_or_b32 v3, 0x80000000, v2, v3
.LBB126_591:
	s_mov_b32 s29, 0
.LBB126_592:
	s_delay_alu instid0(SALU_CYCLE_1)
	s_and_not1_b32 vcc_lo, exec_lo, s29
	s_cbranch_vccnz .LBB126_594
; %bb.593:
	s_wait_loadcnt 0x0
	global_load_u8 v2, v[0:1], off
	s_wait_loadcnt 0x0
	v_lshlrev_b32_e32 v3, 25, v2
	v_lshlrev_b16 v2, 8, v2
	s_delay_alu instid0(VALU_DEP_1) | instskip(SKIP_1) | instid1(VALU_DEP_2)
	v_and_or_b32 v5, 0x7f00, v2, 0.5
	v_bfe_i32 v2, v2, 0, 16
	v_dual_add_f32 v5, -0.5, v5 :: v_dual_lshrrev_b32 v4, 4, v3
	v_cmp_gt_u32_e32 vcc_lo, 0x8000000, v3
	s_delay_alu instid0(VALU_DEP_2) | instskip(NEXT) | instid1(VALU_DEP_1)
	v_or_b32_e32 v4, 0x70000000, v4
	v_mul_f32_e32 v4, 0x7800000, v4
	s_delay_alu instid0(VALU_DEP_1) | instskip(NEXT) | instid1(VALU_DEP_1)
	v_cndmask_b32_e32 v3, v4, v5, vcc_lo
	v_and_or_b32 v3, 0x80000000, v2, v3
.LBB126_594:
	s_mov_b32 s30, 0
	s_mov_b32 s29, -1
.LBB126_595:
	s_and_not1_b32 vcc_lo, exec_lo, s30
	s_cbranch_vccnz .LBB126_608
; %bb.596:
	s_cmp_gt_i32 s28, 14
	s_cbranch_scc0 .LBB126_599
; %bb.597:
	s_cmp_eq_u32 s28, 15
	s_cbranch_scc0 .LBB126_602
; %bb.598:
	s_wait_loadcnt 0x0
	global_load_u16 v2, v[0:1], off
	s_mov_b32 s29, -1
	s_mov_b32 s27, 0
	s_wait_loadcnt 0x0
	v_lshlrev_b32_e32 v3, 16, v2
	s_branch .LBB126_603
.LBB126_599:
	s_mov_b32 s30, -1
                                        ; implicit-def: $vgpr3
	s_branch .LBB126_604
.LBB126_600:
	s_or_saveexec_b32 s30, s30
	v_mov_b32_e32 v3, 0x7f800001
	s_xor_b32 exec_lo, exec_lo, s30
	s_cbranch_execz .LBB126_581
.LBB126_601:
	v_cmp_ne_u16_e32 vcc_lo, 0, v2
	v_mov_b32_e32 v3, 0
	s_and_not1_b32 s29, s29, exec_lo
	s_and_b32 s33, vcc_lo, exec_lo
	s_delay_alu instid0(SALU_CYCLE_1)
	s_or_b32 s29, s29, s33
	s_or_b32 exec_lo, exec_lo, s30
	s_and_saveexec_b32 s30, s29
	s_cbranch_execnz .LBB126_582
	s_branch .LBB126_583
.LBB126_602:
	s_mov_b32 s27, -1
                                        ; implicit-def: $vgpr3
.LBB126_603:
	s_mov_b32 s30, 0
.LBB126_604:
	s_delay_alu instid0(SALU_CYCLE_1)
	s_and_b32 vcc_lo, exec_lo, s30
	s_cbranch_vccz .LBB126_608
; %bb.605:
	s_cmp_eq_u32 s28, 11
	s_cbranch_scc0 .LBB126_607
; %bb.606:
	s_wait_loadcnt 0x0
	global_load_u8 v2, v[0:1], off
	s_mov_b32 s27, 0
	s_mov_b32 s29, -1
	s_wait_loadcnt 0x0
	v_cmp_ne_u16_e32 vcc_lo, 0, v2
	v_cndmask_b32_e64 v3, 0, 1.0, vcc_lo
	s_branch .LBB126_608
.LBB126_607:
	s_mov_b32 s27, -1
                                        ; implicit-def: $vgpr3
.LBB126_608:
	s_branch .LBB126_525
.LBB126_609:
	s_and_b32 s0, 0xffff, s0
	s_delay_alu instid0(SALU_CYCLE_1)
	s_cmp_lt_i32 s0, 5
	s_cbranch_scc1 .LBB126_614
; %bb.610:
	s_cmp_lt_i32 s0, 8
	s_cbranch_scc1 .LBB126_615
; %bb.611:
	;; [unrolled: 3-line block ×3, first 2 shown]
	s_cmp_gt_i32 s0, 9
	s_cbranch_scc0 .LBB126_617
; %bb.613:
	s_wait_loadcnt 0x0
	global_load_b64 v[2:3], v[0:1], off
	s_mov_b32 s28, 0
	s_wait_loadcnt 0x0
	v_cvt_f32_f64_e32 v3, v[2:3]
	s_branch .LBB126_618
.LBB126_614:
	s_mov_b32 s28, -1
                                        ; implicit-def: $vgpr3
	s_branch .LBB126_636
.LBB126_615:
	s_mov_b32 s28, -1
                                        ; implicit-def: $vgpr3
	s_branch .LBB126_624
.LBB126_616:
	s_mov_b32 s28, -1
                                        ; implicit-def: $vgpr3
	s_branch .LBB126_621
.LBB126_617:
	s_mov_b32 s28, -1
                                        ; implicit-def: $vgpr3
.LBB126_618:
	s_delay_alu instid0(SALU_CYCLE_1)
	s_and_not1_b32 vcc_lo, exec_lo, s28
	s_cbranch_vccnz .LBB126_620
; %bb.619:
	s_wait_loadcnt 0x0
	global_load_b32 v3, v[0:1], off
.LBB126_620:
	s_mov_b32 s28, 0
.LBB126_621:
	s_delay_alu instid0(SALU_CYCLE_1)
	s_and_not1_b32 vcc_lo, exec_lo, s28
	s_cbranch_vccnz .LBB126_623
; %bb.622:
	s_wait_loadcnt 0x0
	global_load_b32 v2, v[0:1], off
	s_wait_loadcnt 0x0
	v_cvt_f32_f16_e32 v3, v2
.LBB126_623:
	s_mov_b32 s28, 0
.LBB126_624:
	s_delay_alu instid0(SALU_CYCLE_1)
	s_and_not1_b32 vcc_lo, exec_lo, s28
	s_cbranch_vccnz .LBB126_635
; %bb.625:
	s_cmp_lt_i32 s0, 6
	s_cbranch_scc1 .LBB126_628
; %bb.626:
	s_cmp_gt_i32 s0, 6
	s_cbranch_scc0 .LBB126_629
; %bb.627:
	s_wait_loadcnt 0x0
	global_load_b64 v[2:3], v[0:1], off
	s_mov_b32 s28, 0
	s_wait_loadcnt 0x0
	v_cvt_f32_f64_e32 v3, v[2:3]
	s_branch .LBB126_630
.LBB126_628:
	s_mov_b32 s28, -1
                                        ; implicit-def: $vgpr3
	s_branch .LBB126_633
.LBB126_629:
	s_mov_b32 s28, -1
                                        ; implicit-def: $vgpr3
.LBB126_630:
	s_delay_alu instid0(SALU_CYCLE_1)
	s_and_not1_b32 vcc_lo, exec_lo, s28
	s_cbranch_vccnz .LBB126_632
; %bb.631:
	s_wait_loadcnt 0x0
	global_load_b32 v3, v[0:1], off
.LBB126_632:
	s_mov_b32 s28, 0
.LBB126_633:
	s_delay_alu instid0(SALU_CYCLE_1)
	s_and_not1_b32 vcc_lo, exec_lo, s28
	s_cbranch_vccnz .LBB126_635
; %bb.634:
	s_wait_loadcnt 0x0
	global_load_u16 v2, v[0:1], off
	s_wait_loadcnt 0x0
	v_cvt_f32_f16_e32 v3, v2
.LBB126_635:
	s_mov_b32 s28, 0
.LBB126_636:
	s_delay_alu instid0(SALU_CYCLE_1)
	s_and_not1_b32 vcc_lo, exec_lo, s28
	s_cbranch_vccnz .LBB126_656
; %bb.637:
	s_cmp_lt_i32 s0, 2
	s_cbranch_scc1 .LBB126_641
; %bb.638:
	s_cmp_lt_i32 s0, 3
	s_cbranch_scc1 .LBB126_642
; %bb.639:
	s_cmp_gt_i32 s0, 3
	s_cbranch_scc0 .LBB126_643
; %bb.640:
	s_wait_loadcnt 0x0
	global_load_b64 v[2:3], v[0:1], off
	s_mov_b32 s28, 0
	s_wait_loadcnt 0x0
	v_xor_b32_e32 v4, v2, v3
	v_cls_i32_e32 v5, v3
	s_delay_alu instid0(VALU_DEP_2) | instskip(NEXT) | instid1(VALU_DEP_1)
	v_ashrrev_i32_e32 v4, 31, v4
	v_add_nc_u32_e32 v4, 32, v4
	s_delay_alu instid0(VALU_DEP_1) | instskip(NEXT) | instid1(VALU_DEP_1)
	v_add_min_u32_e64 v4, v5, -1, v4
	v_lshlrev_b64_e32 v[2:3], v4, v[2:3]
	s_delay_alu instid0(VALU_DEP_1) | instskip(NEXT) | instid1(VALU_DEP_1)
	v_min_u32_e32 v2, 1, v2
	v_dual_sub_nc_u32 v3, 32, v4 :: v_dual_bitop2_b32 v2, v3, v2 bitop3:0x54
	s_delay_alu instid0(VALU_DEP_1) | instskip(NEXT) | instid1(VALU_DEP_1)
	v_cvt_f32_i32_e32 v2, v2
	v_ldexp_f32 v3, v2, v3
	s_branch .LBB126_644
.LBB126_641:
	s_mov_b32 s28, -1
                                        ; implicit-def: $vgpr3
	s_branch .LBB126_650
.LBB126_642:
	s_mov_b32 s28, -1
                                        ; implicit-def: $vgpr3
	s_branch .LBB126_647
.LBB126_643:
	s_mov_b32 s28, -1
                                        ; implicit-def: $vgpr3
.LBB126_644:
	s_delay_alu instid0(SALU_CYCLE_1)
	s_and_not1_b32 vcc_lo, exec_lo, s28
	s_cbranch_vccnz .LBB126_646
; %bb.645:
	s_wait_loadcnt 0x0
	global_load_b32 v2, v[0:1], off
	s_wait_loadcnt 0x0
	v_cvt_f32_i32_e32 v3, v2
.LBB126_646:
	s_mov_b32 s28, 0
.LBB126_647:
	s_delay_alu instid0(SALU_CYCLE_1)
	s_and_not1_b32 vcc_lo, exec_lo, s28
	s_cbranch_vccnz .LBB126_649
; %bb.648:
	s_wait_loadcnt 0x0
	global_load_i16 v2, v[0:1], off
	s_wait_loadcnt 0x0
	v_cvt_f32_i32_e32 v3, v2
.LBB126_649:
	s_mov_b32 s28, 0
.LBB126_650:
	s_delay_alu instid0(SALU_CYCLE_1)
	s_and_not1_b32 vcc_lo, exec_lo, s28
	s_cbranch_vccnz .LBB126_656
; %bb.651:
	s_cmp_gt_i32 s0, 0
	s_mov_b32 s0, 0
	s_cbranch_scc0 .LBB126_653
; %bb.652:
	s_wait_loadcnt 0x0
	global_load_i8 v2, v[0:1], off
	s_wait_loadcnt 0x0
	v_cvt_f32_i32_e32 v3, v2
	s_branch .LBB126_654
.LBB126_653:
	s_mov_b32 s0, -1
                                        ; implicit-def: $vgpr3
.LBB126_654:
	s_delay_alu instid0(SALU_CYCLE_1)
	s_and_not1_b32 vcc_lo, exec_lo, s0
	s_cbranch_vccnz .LBB126_656
; %bb.655:
	global_load_u8 v0, v[0:1], off
	s_wait_loadcnt 0x0
	v_cvt_f32_ubyte0_e32 v3, v0
.LBB126_656:
	s_branch .LBB126_526
.LBB126_657:
	s_mov_b32 s33, 0
	s_mov_b32 s0, s21
	;; [unrolled: 1-line block ×4, first 2 shown]
	s_branch .LBB126_1033
.LBB126_658:
	s_and_not1_saveexec_b32 s31, s31
	s_cbranch_execz .LBB126_421
.LBB126_659:
	v_add_f32_e64 v3, 0x46000000, |v2|
	s_and_not1_b32 s30, s30, exec_lo
	s_delay_alu instid0(VALU_DEP_1) | instskip(NEXT) | instid1(VALU_DEP_1)
	v_and_b32_e32 v3, 0xff, v3
	v_cmp_ne_u32_e32 vcc_lo, 0, v3
	s_and_b32 s33, vcc_lo, exec_lo
	s_delay_alu instid0(SALU_CYCLE_1)
	s_or_b32 s30, s30, s33
	s_or_b32 exec_lo, exec_lo, s31
	v_mov_b32_e32 v4, 0
	s_and_saveexec_b32 s31, s30
	s_cbranch_execnz .LBB126_422
	s_branch .LBB126_423
.LBB126_660:
	s_mov_b32 s30, -1
	s_mov_b32 s29, 0
.LBB126_661:
                                        ; implicit-def: $vgpr2
.LBB126_662:
	s_and_b32 vcc_lo, exec_lo, s33
	s_cbranch_vccz .LBB126_666
; %bb.663:
	s_cmp_eq_u32 s28, 44
	s_cbranch_scc0 .LBB126_665
; %bb.664:
	s_wait_loadcnt 0x0
	global_load_u8 v2, v[0:1], off
	s_mov_b32 s30, 0
	s_mov_b32 s29, -1
	s_wait_loadcnt 0x0
	v_lshlrev_b32_e32 v4, 23, v2
	v_cmp_ne_u32_e32 vcc_lo, 0xff, v2
	s_delay_alu instid0(VALU_DEP_2) | instskip(SKIP_1) | instid1(VALU_DEP_2)
	v_cndmask_b32_e32 v4, 0x7f800001, v4, vcc_lo
	v_cmp_ne_u32_e32 vcc_lo, 0, v2
	v_cndmask_b32_e32 v2, 0x400000, v4, vcc_lo
	s_branch .LBB126_666
.LBB126_665:
	s_mov_b32 s30, -1
                                        ; implicit-def: $vgpr2
.LBB126_666:
	s_mov_b32 s33, 0
.LBB126_667:
	s_delay_alu instid0(SALU_CYCLE_1)
	s_and_b32 vcc_lo, exec_lo, s33
	s_cbranch_vccz .LBB126_671
; %bb.668:
	s_cmp_eq_u32 s28, 29
	s_cbranch_scc0 .LBB126_670
; %bb.669:
	s_wait_loadcnt 0x0
	global_load_b64 v[4:5], v[0:1], off
	s_mov_b32 s29, -1
	s_mov_b32 s30, 0
	s_mov_b32 s33, 0
	s_wait_loadcnt 0x0
	v_clz_i32_u32_e32 v2, v5
	s_delay_alu instid0(VALU_DEP_1) | instskip(NEXT) | instid1(VALU_DEP_1)
	v_min_u32_e32 v2, 32, v2
	v_lshlrev_b64_e32 v[4:5], v2, v[4:5]
	v_sub_nc_u32_e32 v2, 32, v2
	s_delay_alu instid0(VALU_DEP_2) | instskip(NEXT) | instid1(VALU_DEP_1)
	v_min_u32_e32 v4, 1, v4
	v_or_b32_e32 v4, v5, v4
	s_delay_alu instid0(VALU_DEP_1) | instskip(NEXT) | instid1(VALU_DEP_1)
	v_cvt_f32_u32_e32 v4, v4
	v_ldexp_f32 v2, v4, v2
	s_branch .LBB126_672
.LBB126_670:
	s_mov_b32 s30, -1
                                        ; implicit-def: $vgpr2
.LBB126_671:
	s_mov_b32 s33, 0
.LBB126_672:
	s_delay_alu instid0(SALU_CYCLE_1)
	s_and_b32 vcc_lo, exec_lo, s33
	s_cbranch_vccz .LBB126_690
; %bb.673:
	s_cmp_lt_i32 s28, 27
	s_cbranch_scc1 .LBB126_676
; %bb.674:
	s_cmp_gt_i32 s28, 27
	s_cbranch_scc0 .LBB126_677
; %bb.675:
	s_wait_loadcnt 0x0
	global_load_b32 v2, v[0:1], off
	s_mov_b32 s29, 0
	s_wait_loadcnt 0x0
	v_cvt_f32_u32_e32 v2, v2
	s_branch .LBB126_678
.LBB126_676:
	s_mov_b32 s29, -1
                                        ; implicit-def: $vgpr2
	s_branch .LBB126_681
.LBB126_677:
	s_mov_b32 s29, -1
                                        ; implicit-def: $vgpr2
.LBB126_678:
	s_delay_alu instid0(SALU_CYCLE_1)
	s_and_not1_b32 vcc_lo, exec_lo, s29
	s_cbranch_vccnz .LBB126_680
; %bb.679:
	s_wait_loadcnt 0x0
	global_load_u16 v2, v[0:1], off
	s_wait_loadcnt 0x0
	v_cvt_f32_u32_e32 v2, v2
.LBB126_680:
	s_mov_b32 s29, 0
.LBB126_681:
	s_delay_alu instid0(SALU_CYCLE_1)
	s_and_not1_b32 vcc_lo, exec_lo, s29
	s_cbranch_vccnz .LBB126_689
; %bb.682:
	s_wait_loadcnt 0x0
	global_load_u8 v4, v[0:1], off
	s_mov_b32 s29, 0
	s_mov_b32 s33, exec_lo
	s_wait_loadcnt 0x0
	v_cmpx_lt_i16_e32 0x7f, v4
	s_xor_b32 s33, exec_lo, s33
	s_cbranch_execz .LBB126_703
; %bb.683:
	s_mov_b32 s29, -1
	s_mov_b32 s34, exec_lo
	v_cmpx_eq_u16_e32 0x80, v4
; %bb.684:
	s_xor_b32 s29, exec_lo, -1
; %bb.685:
	s_or_b32 exec_lo, exec_lo, s34
	s_delay_alu instid0(SALU_CYCLE_1)
	s_and_b32 s29, s29, exec_lo
	s_or_saveexec_b32 s33, s33
	v_mov_b32_e32 v2, 0x7f800001
	s_xor_b32 exec_lo, exec_lo, s33
	s_cbranch_execnz .LBB126_704
.LBB126_686:
	s_or_b32 exec_lo, exec_lo, s33
	s_and_saveexec_b32 s33, s29
	s_cbranch_execz .LBB126_688
.LBB126_687:
	v_and_b32_e32 v2, 0xffff, v4
	s_delay_alu instid0(VALU_DEP_1) | instskip(SKIP_1) | instid1(VALU_DEP_2)
	v_dual_lshlrev_b32 v4, 24, v4 :: v_dual_bitop2_b32 v5, 7, v2 bitop3:0x40
	v_bfe_u32 v9, v2, 3, 4
	v_and_b32_e32 v4, 0x80000000, v4
	s_delay_alu instid0(VALU_DEP_3) | instskip(NEXT) | instid1(VALU_DEP_3)
	v_clz_i32_u32_e32 v6, v5
	v_cmp_eq_u32_e32 vcc_lo, 0, v9
	s_delay_alu instid0(VALU_DEP_2) | instskip(NEXT) | instid1(VALU_DEP_1)
	v_min_u32_e32 v6, 32, v6
	v_subrev_nc_u32_e32 v7, 28, v6
	v_sub_nc_u32_e32 v6, 29, v6
	s_delay_alu instid0(VALU_DEP_2) | instskip(NEXT) | instid1(VALU_DEP_2)
	v_lshlrev_b32_e32 v2, v7, v2
	v_cndmask_b32_e32 v6, v9, v6, vcc_lo
	s_delay_alu instid0(VALU_DEP_2) | instskip(NEXT) | instid1(VALU_DEP_1)
	v_and_b32_e32 v2, 7, v2
	v_cndmask_b32_e32 v2, v5, v2, vcc_lo
	s_delay_alu instid0(VALU_DEP_3) | instskip(NEXT) | instid1(VALU_DEP_2)
	v_lshl_add_u32 v5, v6, 23, 0x3b800000
	v_lshlrev_b32_e32 v2, 20, v2
	s_delay_alu instid0(VALU_DEP_1)
	v_or3_b32 v2, v4, v5, v2
.LBB126_688:
	s_or_b32 exec_lo, exec_lo, s33
.LBB126_689:
	s_mov_b32 s29, -1
.LBB126_690:
	s_mov_b32 s33, 0
.LBB126_691:
	s_delay_alu instid0(SALU_CYCLE_1)
	s_and_b32 vcc_lo, exec_lo, s33
	s_cbranch_vccz .LBB126_726
; %bb.692:
	s_cmp_gt_i32 s28, 22
	s_cbranch_scc0 .LBB126_702
; %bb.693:
	s_cmp_lt_i32 s28, 24
	s_cbranch_scc1 .LBB126_705
; %bb.694:
	s_cmp_gt_i32 s28, 24
	s_cbranch_scc0 .LBB126_706
; %bb.695:
	s_wait_loadcnt 0x0
	global_load_u8 v4, v[0:1], off
	s_mov_b32 s29, 0
	s_mov_b32 s33, exec_lo
	s_wait_loadcnt 0x0
	v_cmpx_lt_i16_e32 0x7f, v4
	s_xor_b32 s33, exec_lo, s33
	s_cbranch_execz .LBB126_718
; %bb.696:
	s_mov_b32 s29, -1
	s_mov_b32 s34, exec_lo
	v_cmpx_eq_u16_e32 0x80, v4
; %bb.697:
	s_xor_b32 s29, exec_lo, -1
; %bb.698:
	s_or_b32 exec_lo, exec_lo, s34
	s_delay_alu instid0(SALU_CYCLE_1)
	s_and_b32 s29, s29, exec_lo
	s_or_saveexec_b32 s33, s33
	v_mov_b32_e32 v2, 0x7f800001
	s_xor_b32 exec_lo, exec_lo, s33
	s_cbranch_execnz .LBB126_719
.LBB126_699:
	s_or_b32 exec_lo, exec_lo, s33
	s_and_saveexec_b32 s33, s29
	s_cbranch_execz .LBB126_701
.LBB126_700:
	v_and_b32_e32 v2, 0xffff, v4
	s_delay_alu instid0(VALU_DEP_1) | instskip(SKIP_1) | instid1(VALU_DEP_2)
	v_dual_lshlrev_b32 v4, 24, v4 :: v_dual_bitop2_b32 v5, 3, v2 bitop3:0x40
	v_bfe_u32 v9, v2, 2, 5
	v_and_b32_e32 v4, 0x80000000, v4
	s_delay_alu instid0(VALU_DEP_3) | instskip(NEXT) | instid1(VALU_DEP_3)
	v_clz_i32_u32_e32 v6, v5
	v_cmp_eq_u32_e32 vcc_lo, 0, v9
	s_delay_alu instid0(VALU_DEP_2) | instskip(NEXT) | instid1(VALU_DEP_1)
	v_min_u32_e32 v6, 32, v6
	v_subrev_nc_u32_e32 v7, 29, v6
	v_sub_nc_u32_e32 v6, 30, v6
	s_delay_alu instid0(VALU_DEP_2) | instskip(NEXT) | instid1(VALU_DEP_2)
	v_lshlrev_b32_e32 v2, v7, v2
	v_cndmask_b32_e32 v6, v9, v6, vcc_lo
	s_delay_alu instid0(VALU_DEP_2) | instskip(NEXT) | instid1(VALU_DEP_1)
	v_and_b32_e32 v2, 3, v2
	v_cndmask_b32_e32 v2, v5, v2, vcc_lo
	s_delay_alu instid0(VALU_DEP_3) | instskip(NEXT) | instid1(VALU_DEP_2)
	v_lshl_add_u32 v5, v6, 23, 0x37800000
	v_lshlrev_b32_e32 v2, 21, v2
	s_delay_alu instid0(VALU_DEP_1)
	v_or3_b32 v2, v4, v5, v2
.LBB126_701:
	s_or_b32 exec_lo, exec_lo, s33
	s_mov_b32 s29, 0
	s_branch .LBB126_707
.LBB126_702:
	s_mov_b32 s33, -1
                                        ; implicit-def: $vgpr2
	s_branch .LBB126_713
.LBB126_703:
	s_or_saveexec_b32 s33, s33
	v_mov_b32_e32 v2, 0x7f800001
	s_xor_b32 exec_lo, exec_lo, s33
	s_cbranch_execz .LBB126_686
.LBB126_704:
	v_cmp_ne_u16_e32 vcc_lo, 0, v4
	v_mov_b32_e32 v2, 0
	s_and_not1_b32 s29, s29, exec_lo
	s_and_b32 s34, vcc_lo, exec_lo
	s_delay_alu instid0(SALU_CYCLE_1)
	s_or_b32 s29, s29, s34
	s_or_b32 exec_lo, exec_lo, s33
	s_and_saveexec_b32 s33, s29
	s_cbranch_execnz .LBB126_687
	s_branch .LBB126_688
.LBB126_705:
	s_mov_b32 s29, -1
                                        ; implicit-def: $vgpr2
	s_branch .LBB126_710
.LBB126_706:
	s_mov_b32 s29, -1
                                        ; implicit-def: $vgpr2
.LBB126_707:
	s_delay_alu instid0(SALU_CYCLE_1)
	s_and_b32 vcc_lo, exec_lo, s29
	s_cbranch_vccz .LBB126_709
; %bb.708:
	s_wait_loadcnt 0x0
	global_load_u8 v2, v[0:1], off
	s_wait_loadcnt 0x0
	v_lshlrev_b32_e32 v2, 24, v2
	s_delay_alu instid0(VALU_DEP_1) | instskip(NEXT) | instid1(VALU_DEP_1)
	v_and_b32_e32 v4, 0x7f000000, v2
	v_clz_i32_u32_e32 v5, v4
	v_cmp_ne_u32_e32 vcc_lo, 0, v4
	v_add_nc_u32_e32 v7, 0x1000000, v4
	s_delay_alu instid0(VALU_DEP_3) | instskip(NEXT) | instid1(VALU_DEP_1)
	v_min_u32_e32 v5, 32, v5
	v_sub_nc_u32_e64 v5, v5, 4 clamp
	s_delay_alu instid0(VALU_DEP_1) | instskip(NEXT) | instid1(VALU_DEP_1)
	v_dual_lshlrev_b32 v6, v5, v4 :: v_dual_lshlrev_b32 v5, 23, v5
	v_lshrrev_b32_e32 v6, 4, v6
	s_delay_alu instid0(VALU_DEP_1) | instskip(NEXT) | instid1(VALU_DEP_1)
	v_dual_sub_nc_u32 v5, v6, v5 :: v_dual_ashrrev_i32 v6, 8, v7
	v_add_nc_u32_e32 v5, 0x3c000000, v5
	s_delay_alu instid0(VALU_DEP_1) | instskip(NEXT) | instid1(VALU_DEP_1)
	v_and_or_b32 v5, 0x7f800000, v6, v5
	v_cndmask_b32_e32 v4, 0, v5, vcc_lo
	s_delay_alu instid0(VALU_DEP_1)
	v_and_or_b32 v2, 0x80000000, v2, v4
.LBB126_709:
	s_mov_b32 s29, 0
.LBB126_710:
	s_delay_alu instid0(SALU_CYCLE_1)
	s_and_not1_b32 vcc_lo, exec_lo, s29
	s_cbranch_vccnz .LBB126_712
; %bb.711:
	s_wait_loadcnt 0x0
	global_load_u8 v2, v[0:1], off
	s_wait_loadcnt 0x0
	v_lshlrev_b32_e32 v4, 25, v2
	v_lshlrev_b16 v2, 8, v2
	s_delay_alu instid0(VALU_DEP_1) | instskip(NEXT) | instid1(VALU_DEP_3)
	v_and_or_b32 v6, 0x7f00, v2, 0.5
	v_lshrrev_b32_e32 v5, 4, v4
	v_bfe_i32 v2, v2, 0, 16
	s_delay_alu instid0(VALU_DEP_3) | instskip(NEXT) | instid1(VALU_DEP_3)
	v_add_f32_e32 v6, -0.5, v6
	v_or_b32_e32 v5, 0x70000000, v5
	s_delay_alu instid0(VALU_DEP_1) | instskip(SKIP_1) | instid1(VALU_DEP_2)
	v_mul_f32_e32 v5, 0x7800000, v5
	v_cmp_gt_u32_e32 vcc_lo, 0x8000000, v4
	v_cndmask_b32_e32 v4, v5, v6, vcc_lo
	s_delay_alu instid0(VALU_DEP_1)
	v_and_or_b32 v2, 0x80000000, v2, v4
.LBB126_712:
	s_mov_b32 s33, 0
	s_mov_b32 s29, -1
.LBB126_713:
	s_and_not1_b32 vcc_lo, exec_lo, s33
	s_cbranch_vccnz .LBB126_726
; %bb.714:
	s_cmp_gt_i32 s28, 14
	s_cbranch_scc0 .LBB126_717
; %bb.715:
	s_cmp_eq_u32 s28, 15
	s_cbranch_scc0 .LBB126_720
; %bb.716:
	s_wait_loadcnt 0x0
	global_load_u16 v2, v[0:1], off
	s_mov_b32 s29, -1
	s_mov_b32 s30, 0
	s_wait_loadcnt 0x0
	v_lshlrev_b32_e32 v2, 16, v2
	s_branch .LBB126_721
.LBB126_717:
	s_mov_b32 s33, -1
                                        ; implicit-def: $vgpr2
	s_branch .LBB126_722
.LBB126_718:
	s_or_saveexec_b32 s33, s33
	v_mov_b32_e32 v2, 0x7f800001
	s_xor_b32 exec_lo, exec_lo, s33
	s_cbranch_execz .LBB126_699
.LBB126_719:
	v_cmp_ne_u16_e32 vcc_lo, 0, v4
	v_mov_b32_e32 v2, 0
	s_and_not1_b32 s29, s29, exec_lo
	s_and_b32 s34, vcc_lo, exec_lo
	s_delay_alu instid0(SALU_CYCLE_1)
	s_or_b32 s29, s29, s34
	s_or_b32 exec_lo, exec_lo, s33
	s_and_saveexec_b32 s33, s29
	s_cbranch_execnz .LBB126_700
	s_branch .LBB126_701
.LBB126_720:
	s_mov_b32 s30, -1
                                        ; implicit-def: $vgpr2
.LBB126_721:
	s_mov_b32 s33, 0
.LBB126_722:
	s_delay_alu instid0(SALU_CYCLE_1)
	s_and_b32 vcc_lo, exec_lo, s33
	s_cbranch_vccz .LBB126_726
; %bb.723:
	s_cmp_eq_u32 s28, 11
	s_cbranch_scc0 .LBB126_725
; %bb.724:
	s_wait_loadcnt 0x0
	global_load_u8 v2, v[0:1], off
	s_mov_b32 s30, 0
	s_mov_b32 s29, -1
	s_wait_loadcnt 0x0
	v_cmp_ne_u16_e32 vcc_lo, 0, v2
	v_cndmask_b32_e64 v2, 0, 1.0, vcc_lo
	s_branch .LBB126_726
.LBB126_725:
	s_mov_b32 s30, -1
                                        ; implicit-def: $vgpr2
.LBB126_726:
	s_mov_b32 s28, 0
.LBB126_727:
	s_delay_alu instid0(SALU_CYCLE_1)
	s_and_b32 vcc_lo, exec_lo, s28
	s_cbranch_vccz .LBB126_776
; %bb.728:
	s_and_b32 s0, 0xffff, s0
	s_delay_alu instid0(SALU_CYCLE_1)
	s_cmp_lt_i32 s0, 5
	s_cbranch_scc1 .LBB126_733
; %bb.729:
	s_cmp_lt_i32 s0, 8
	s_cbranch_scc1 .LBB126_734
; %bb.730:
	;; [unrolled: 3-line block ×3, first 2 shown]
	s_cmp_gt_i32 s0, 9
	s_cbranch_scc0 .LBB126_736
; %bb.732:
	s_wait_loadcnt 0x0
	global_load_b64 v[4:5], v[0:1], off
	s_mov_b32 s28, 0
	s_wait_loadcnt 0x0
	v_cvt_f32_f64_e32 v2, v[4:5]
	s_branch .LBB126_737
.LBB126_733:
	s_mov_b32 s28, -1
                                        ; implicit-def: $vgpr2
	s_branch .LBB126_755
.LBB126_734:
	s_mov_b32 s28, -1
                                        ; implicit-def: $vgpr2
	s_branch .LBB126_743
.LBB126_735:
	s_mov_b32 s28, -1
                                        ; implicit-def: $vgpr2
	s_branch .LBB126_740
.LBB126_736:
	s_mov_b32 s28, -1
                                        ; implicit-def: $vgpr2
.LBB126_737:
	s_delay_alu instid0(SALU_CYCLE_1)
	s_and_not1_b32 vcc_lo, exec_lo, s28
	s_cbranch_vccnz .LBB126_739
; %bb.738:
	s_wait_loadcnt 0x0
	global_load_b32 v2, v[0:1], off
.LBB126_739:
	s_mov_b32 s28, 0
.LBB126_740:
	s_delay_alu instid0(SALU_CYCLE_1)
	s_and_not1_b32 vcc_lo, exec_lo, s28
	s_cbranch_vccnz .LBB126_742
; %bb.741:
	s_wait_loadcnt 0x0
	global_load_b32 v2, v[0:1], off
	s_wait_loadcnt 0x0
	v_cvt_f32_f16_e32 v2, v2
.LBB126_742:
	s_mov_b32 s28, 0
.LBB126_743:
	s_delay_alu instid0(SALU_CYCLE_1)
	s_and_not1_b32 vcc_lo, exec_lo, s28
	s_cbranch_vccnz .LBB126_754
; %bb.744:
	s_cmp_lt_i32 s0, 6
	s_cbranch_scc1 .LBB126_747
; %bb.745:
	s_cmp_gt_i32 s0, 6
	s_cbranch_scc0 .LBB126_748
; %bb.746:
	s_wait_loadcnt 0x0
	global_load_b64 v[4:5], v[0:1], off
	s_mov_b32 s28, 0
	s_wait_loadcnt 0x0
	v_cvt_f32_f64_e32 v2, v[4:5]
	s_branch .LBB126_749
.LBB126_747:
	s_mov_b32 s28, -1
                                        ; implicit-def: $vgpr2
	s_branch .LBB126_752
.LBB126_748:
	s_mov_b32 s28, -1
                                        ; implicit-def: $vgpr2
.LBB126_749:
	s_delay_alu instid0(SALU_CYCLE_1)
	s_and_not1_b32 vcc_lo, exec_lo, s28
	s_cbranch_vccnz .LBB126_751
; %bb.750:
	s_wait_loadcnt 0x0
	global_load_b32 v2, v[0:1], off
.LBB126_751:
	s_mov_b32 s28, 0
.LBB126_752:
	s_delay_alu instid0(SALU_CYCLE_1)
	s_and_not1_b32 vcc_lo, exec_lo, s28
	s_cbranch_vccnz .LBB126_754
; %bb.753:
	s_wait_loadcnt 0x0
	global_load_u16 v2, v[0:1], off
	s_wait_loadcnt 0x0
	v_cvt_f32_f16_e32 v2, v2
.LBB126_754:
	s_mov_b32 s28, 0
.LBB126_755:
	s_delay_alu instid0(SALU_CYCLE_1)
	s_and_not1_b32 vcc_lo, exec_lo, s28
	s_cbranch_vccnz .LBB126_775
; %bb.756:
	s_cmp_lt_i32 s0, 2
	s_cbranch_scc1 .LBB126_760
; %bb.757:
	s_cmp_lt_i32 s0, 3
	s_cbranch_scc1 .LBB126_761
; %bb.758:
	s_cmp_gt_i32 s0, 3
	s_cbranch_scc0 .LBB126_762
; %bb.759:
	s_wait_loadcnt 0x0
	global_load_b64 v[4:5], v[0:1], off
	s_mov_b32 s28, 0
	s_wait_loadcnt 0x0
	v_xor_b32_e32 v2, v4, v5
	v_cls_i32_e32 v6, v5
	s_delay_alu instid0(VALU_DEP_2) | instskip(NEXT) | instid1(VALU_DEP_1)
	v_ashrrev_i32_e32 v2, 31, v2
	v_add_nc_u32_e32 v2, 32, v2
	s_delay_alu instid0(VALU_DEP_1) | instskip(NEXT) | instid1(VALU_DEP_1)
	v_add_min_u32_e64 v2, v6, -1, v2
	v_lshlrev_b64_e32 v[4:5], v2, v[4:5]
	v_sub_nc_u32_e32 v2, 32, v2
	s_delay_alu instid0(VALU_DEP_2) | instskip(NEXT) | instid1(VALU_DEP_1)
	v_min_u32_e32 v4, 1, v4
	v_or_b32_e32 v4, v5, v4
	s_delay_alu instid0(VALU_DEP_1) | instskip(NEXT) | instid1(VALU_DEP_1)
	v_cvt_f32_i32_e32 v4, v4
	v_ldexp_f32 v2, v4, v2
	s_branch .LBB126_763
.LBB126_760:
	s_mov_b32 s28, -1
                                        ; implicit-def: $vgpr2
	s_branch .LBB126_769
.LBB126_761:
	s_mov_b32 s28, -1
                                        ; implicit-def: $vgpr2
	s_branch .LBB126_766
.LBB126_762:
	s_mov_b32 s28, -1
                                        ; implicit-def: $vgpr2
.LBB126_763:
	s_delay_alu instid0(SALU_CYCLE_1)
	s_and_not1_b32 vcc_lo, exec_lo, s28
	s_cbranch_vccnz .LBB126_765
; %bb.764:
	s_wait_loadcnt 0x0
	global_load_b32 v2, v[0:1], off
	s_wait_loadcnt 0x0
	v_cvt_f32_i32_e32 v2, v2
.LBB126_765:
	s_mov_b32 s28, 0
.LBB126_766:
	s_delay_alu instid0(SALU_CYCLE_1)
	s_and_not1_b32 vcc_lo, exec_lo, s28
	s_cbranch_vccnz .LBB126_768
; %bb.767:
	s_wait_loadcnt 0x0
	global_load_i16 v2, v[0:1], off
	s_wait_loadcnt 0x0
	v_cvt_f32_i32_e32 v2, v2
.LBB126_768:
	s_mov_b32 s28, 0
.LBB126_769:
	s_delay_alu instid0(SALU_CYCLE_1)
	s_and_not1_b32 vcc_lo, exec_lo, s28
	s_cbranch_vccnz .LBB126_775
; %bb.770:
	s_cmp_gt_i32 s0, 0
	s_mov_b32 s0, 0
	s_cbranch_scc0 .LBB126_772
; %bb.771:
	s_wait_loadcnt 0x0
	global_load_i8 v2, v[0:1], off
	s_wait_loadcnt 0x0
	v_cvt_f32_i32_e32 v2, v2
	s_branch .LBB126_773
.LBB126_772:
	s_mov_b32 s0, -1
                                        ; implicit-def: $vgpr2
.LBB126_773:
	s_delay_alu instid0(SALU_CYCLE_1)
	s_and_not1_b32 vcc_lo, exec_lo, s0
	s_cbranch_vccnz .LBB126_775
; %bb.774:
	global_load_u8 v0, v[0:1], off
	s_wait_loadcnt 0x0
	v_cvt_f32_ubyte0_e32 v2, v0
.LBB126_775:
	s_mov_b32 s29, -1
.LBB126_776:
	s_delay_alu instid0(SALU_CYCLE_1)
	s_and_not1_b32 vcc_lo, exec_lo, s29
	s_cbranch_vccnz .LBB126_784
; %bb.777:
	s_wait_xcnt 0x0
	v_mul_lo_u32 v0, v8, s15
	s_and_b32 s0, 0xffff, s1
	s_delay_alu instid0(SALU_CYCLE_1) | instskip(NEXT) | instid1(VALU_DEP_1)
	s_cmp_lt_i32 s0, 11
	v_ashrrev_i32_e32 v1, 31, v0
	s_delay_alu instid0(VALU_DEP_1)
	v_add_nc_u64_e32 v[0:1], s[10:11], v[0:1]
	s_cbranch_scc1 .LBB126_785
; %bb.778:
	s_cmp_gt_i32 s0, 25
	s_cbranch_scc0 .LBB126_786
; %bb.779:
	s_cmp_gt_i32 s0, 28
	s_cbranch_scc0 .LBB126_787
	;; [unrolled: 3-line block ×4, first 2 shown]
; %bb.782:
	s_cmp_eq_u32 s0, 46
	s_mov_b32 s33, 0
	s_cbranch_scc0 .LBB126_792
; %bb.783:
	s_wait_loadcnt 0x0
	global_load_b32 v4, v[0:1], off
	s_mov_b32 s29, -1
	s_mov_b32 s28, 0
	s_wait_loadcnt 0x0
	v_lshlrev_b32_e32 v4, 16, v4
	s_branch .LBB126_794
.LBB126_784:
	s_mov_b32 s33, 0
	s_mov_b32 s0, s21
	;; [unrolled: 1-line block ×3, first 2 shown]
	s_branch .LBB126_1033
.LBB126_785:
	s_mov_b32 s33, -1
	s_mov_b32 s29, 0
	s_mov_b32 s28, s23
                                        ; implicit-def: $vgpr4
	s_branch .LBB126_859
.LBB126_786:
	s_mov_b32 s33, -1
	s_mov_b32 s29, 0
	s_mov_b32 s28, s23
                                        ; implicit-def: $vgpr4
	s_branch .LBB126_823
.LBB126_787:
	s_mov_b32 s33, -1
	s_mov_b32 s29, 0
	s_mov_b32 s28, s23
                                        ; implicit-def: $vgpr4
	s_branch .LBB126_804
.LBB126_788:
	s_mov_b32 s33, -1
	s_mov_b32 s29, 0
	s_mov_b32 s28, s23
                                        ; implicit-def: $vgpr4
	s_branch .LBB126_799
.LBB126_789:
	s_mov_b32 s33, -1
	s_mov_b32 s29, 0
	s_mov_b32 s28, s23
	s_branch .LBB126_793
.LBB126_790:
	s_and_not1_saveexec_b32 s31, s31
	s_cbranch_execz .LBB126_434
.LBB126_791:
	v_add_f32_e64 v3, 0x42800000, |v2|
	s_and_not1_b32 s30, s30, exec_lo
	s_delay_alu instid0(VALU_DEP_1) | instskip(NEXT) | instid1(VALU_DEP_1)
	v_and_b32_e32 v3, 0xff, v3
	v_cmp_ne_u32_e32 vcc_lo, 0, v3
	s_and_b32 s33, vcc_lo, exec_lo
	s_delay_alu instid0(SALU_CYCLE_1)
	s_or_b32 s30, s30, s33
	s_or_b32 exec_lo, exec_lo, s31
	v_mov_b32_e32 v4, 0
	s_and_saveexec_b32 s31, s30
	s_cbranch_execnz .LBB126_435
	s_branch .LBB126_436
.LBB126_792:
	s_mov_b32 s28, -1
	s_mov_b32 s29, 0
.LBB126_793:
                                        ; implicit-def: $vgpr4
.LBB126_794:
	s_and_b32 vcc_lo, exec_lo, s33
	s_cbranch_vccz .LBB126_798
; %bb.795:
	s_cmp_eq_u32 s0, 44
	s_cbranch_scc0 .LBB126_797
; %bb.796:
	s_wait_loadcnt 0x0
	global_load_u8 v4, v[0:1], off
	s_mov_b32 s28, 0
	s_mov_b32 s29, -1
	s_wait_loadcnt 0x0
	v_lshlrev_b32_e32 v5, 23, v4
	v_cmp_ne_u32_e32 vcc_lo, 0xff, v4
	s_delay_alu instid0(VALU_DEP_2) | instskip(SKIP_1) | instid1(VALU_DEP_2)
	v_cndmask_b32_e32 v5, 0x7f800001, v5, vcc_lo
	v_cmp_ne_u32_e32 vcc_lo, 0, v4
	v_cndmask_b32_e32 v4, 0x400000, v5, vcc_lo
	s_branch .LBB126_798
.LBB126_797:
	s_mov_b32 s28, -1
                                        ; implicit-def: $vgpr4
.LBB126_798:
	s_mov_b32 s33, 0
.LBB126_799:
	s_delay_alu instid0(SALU_CYCLE_1)
	s_and_b32 vcc_lo, exec_lo, s33
	s_cbranch_vccz .LBB126_803
; %bb.800:
	s_cmp_eq_u32 s0, 29
	s_cbranch_scc0 .LBB126_802
; %bb.801:
	s_wait_loadcnt 0x0
	global_load_b64 v[4:5], v[0:1], off
	s_mov_b32 s29, -1
	s_mov_b32 s28, 0
	s_mov_b32 s33, 0
	s_wait_loadcnt 0x0
	v_clz_i32_u32_e32 v6, v5
	s_delay_alu instid0(VALU_DEP_1) | instskip(NEXT) | instid1(VALU_DEP_1)
	v_min_u32_e32 v6, 32, v6
	v_lshlrev_b64_e32 v[4:5], v6, v[4:5]
	s_delay_alu instid0(VALU_DEP_1) | instskip(NEXT) | instid1(VALU_DEP_1)
	v_min_u32_e32 v4, 1, v4
	v_dual_sub_nc_u32 v5, 32, v6 :: v_dual_bitop2_b32 v4, v5, v4 bitop3:0x54
	s_delay_alu instid0(VALU_DEP_1) | instskip(NEXT) | instid1(VALU_DEP_1)
	v_cvt_f32_u32_e32 v4, v4
	v_ldexp_f32 v4, v4, v5
	s_branch .LBB126_804
.LBB126_802:
	s_mov_b32 s28, -1
                                        ; implicit-def: $vgpr4
.LBB126_803:
	s_mov_b32 s33, 0
.LBB126_804:
	s_delay_alu instid0(SALU_CYCLE_1)
	s_and_b32 vcc_lo, exec_lo, s33
	s_cbranch_vccz .LBB126_822
; %bb.805:
	s_cmp_lt_i32 s0, 27
	s_cbranch_scc1 .LBB126_808
; %bb.806:
	s_cmp_gt_i32 s0, 27
	s_cbranch_scc0 .LBB126_809
; %bb.807:
	s_wait_loadcnt 0x0
	global_load_b32 v4, v[0:1], off
	s_mov_b32 s29, 0
	s_wait_loadcnt 0x0
	v_cvt_f32_u32_e32 v4, v4
	s_branch .LBB126_810
.LBB126_808:
	s_mov_b32 s29, -1
                                        ; implicit-def: $vgpr4
	s_branch .LBB126_813
.LBB126_809:
	s_mov_b32 s29, -1
                                        ; implicit-def: $vgpr4
.LBB126_810:
	s_delay_alu instid0(SALU_CYCLE_1)
	s_and_not1_b32 vcc_lo, exec_lo, s29
	s_cbranch_vccnz .LBB126_812
; %bb.811:
	s_wait_loadcnt 0x0
	global_load_u16 v4, v[0:1], off
	s_wait_loadcnt 0x0
	v_cvt_f32_u32_e32 v4, v4
.LBB126_812:
	s_mov_b32 s29, 0
.LBB126_813:
	s_delay_alu instid0(SALU_CYCLE_1)
	s_and_not1_b32 vcc_lo, exec_lo, s29
	s_cbranch_vccnz .LBB126_821
; %bb.814:
	global_load_u8 v5, v[0:1], off
	s_mov_b32 s29, 0
	s_mov_b32 s33, exec_lo
	s_wait_loadcnt 0x0
	v_cmpx_lt_i16_e32 0x7f, v5
	s_xor_b32 s33, exec_lo, s33
	s_cbranch_execz .LBB126_835
; %bb.815:
	s_mov_b32 s29, -1
	s_mov_b32 s34, exec_lo
	v_cmpx_eq_u16_e32 0x80, v5
; %bb.816:
	s_xor_b32 s29, exec_lo, -1
; %bb.817:
	s_or_b32 exec_lo, exec_lo, s34
	s_delay_alu instid0(SALU_CYCLE_1)
	s_and_b32 s29, s29, exec_lo
	s_or_saveexec_b32 s33, s33
	v_mov_b32_e32 v4, 0x7f800001
	s_xor_b32 exec_lo, exec_lo, s33
	s_cbranch_execnz .LBB126_836
.LBB126_818:
	s_or_b32 exec_lo, exec_lo, s33
	s_and_saveexec_b32 s33, s29
	s_cbranch_execz .LBB126_820
.LBB126_819:
	v_and_b32_e32 v4, 0xffff, v5
	s_delay_alu instid0(VALU_DEP_1) | instskip(SKIP_1) | instid1(VALU_DEP_2)
	v_and_b32_e32 v6, 7, v4
	v_bfe_u32 v10, v4, 3, 4
	v_clz_i32_u32_e32 v7, v6
	s_delay_alu instid0(VALU_DEP_2) | instskip(NEXT) | instid1(VALU_DEP_2)
	v_cmp_eq_u32_e32 vcc_lo, 0, v10
	v_min_u32_e32 v7, 32, v7
	s_delay_alu instid0(VALU_DEP_1) | instskip(NEXT) | instid1(VALU_DEP_1)
	v_subrev_nc_u32_e32 v9, 28, v7
	v_dual_lshlrev_b32 v4, v9, v4 :: v_dual_sub_nc_u32 v7, 29, v7
	s_delay_alu instid0(VALU_DEP_1) | instskip(NEXT) | instid1(VALU_DEP_2)
	v_dual_lshlrev_b32 v5, 24, v5 :: v_dual_bitop2_b32 v4, 7, v4 bitop3:0x40
	v_cndmask_b32_e32 v7, v10, v7, vcc_lo
	s_delay_alu instid0(VALU_DEP_2) | instskip(NEXT) | instid1(VALU_DEP_3)
	v_cndmask_b32_e32 v4, v6, v4, vcc_lo
	v_and_b32_e32 v5, 0x80000000, v5
	s_delay_alu instid0(VALU_DEP_3) | instskip(NEXT) | instid1(VALU_DEP_3)
	v_lshl_add_u32 v6, v7, 23, 0x3b800000
	v_lshlrev_b32_e32 v4, 20, v4
	s_delay_alu instid0(VALU_DEP_1)
	v_or3_b32 v4, v5, v6, v4
.LBB126_820:
	s_or_b32 exec_lo, exec_lo, s33
.LBB126_821:
	s_mov_b32 s29, -1
.LBB126_822:
	s_mov_b32 s33, 0
.LBB126_823:
	s_delay_alu instid0(SALU_CYCLE_1)
	s_and_b32 vcc_lo, exec_lo, s33
	s_cbranch_vccz .LBB126_858
; %bb.824:
	s_cmp_gt_i32 s0, 22
	s_cbranch_scc0 .LBB126_834
; %bb.825:
	s_cmp_lt_i32 s0, 24
	s_cbranch_scc1 .LBB126_837
; %bb.826:
	s_cmp_gt_i32 s0, 24
	s_cbranch_scc0 .LBB126_838
; %bb.827:
	global_load_u8 v5, v[0:1], off
	s_mov_b32 s29, 0
	s_mov_b32 s33, exec_lo
	s_wait_loadcnt 0x0
	v_cmpx_lt_i16_e32 0x7f, v5
	s_xor_b32 s33, exec_lo, s33
	s_cbranch_execz .LBB126_850
; %bb.828:
	s_mov_b32 s29, -1
	s_mov_b32 s34, exec_lo
	v_cmpx_eq_u16_e32 0x80, v5
; %bb.829:
	s_xor_b32 s29, exec_lo, -1
; %bb.830:
	s_or_b32 exec_lo, exec_lo, s34
	s_delay_alu instid0(SALU_CYCLE_1)
	s_and_b32 s29, s29, exec_lo
	s_or_saveexec_b32 s33, s33
	v_mov_b32_e32 v4, 0x7f800001
	s_xor_b32 exec_lo, exec_lo, s33
	s_cbranch_execnz .LBB126_851
.LBB126_831:
	s_or_b32 exec_lo, exec_lo, s33
	s_and_saveexec_b32 s33, s29
	s_cbranch_execz .LBB126_833
.LBB126_832:
	v_and_b32_e32 v4, 0xffff, v5
	s_delay_alu instid0(VALU_DEP_1) | instskip(SKIP_1) | instid1(VALU_DEP_2)
	v_and_b32_e32 v6, 3, v4
	v_bfe_u32 v10, v4, 2, 5
	v_clz_i32_u32_e32 v7, v6
	s_delay_alu instid0(VALU_DEP_2) | instskip(NEXT) | instid1(VALU_DEP_2)
	v_cmp_eq_u32_e32 vcc_lo, 0, v10
	v_min_u32_e32 v7, 32, v7
	s_delay_alu instid0(VALU_DEP_1) | instskip(NEXT) | instid1(VALU_DEP_1)
	v_subrev_nc_u32_e32 v9, 29, v7
	v_dual_lshlrev_b32 v4, v9, v4 :: v_dual_sub_nc_u32 v7, 30, v7
	s_delay_alu instid0(VALU_DEP_1) | instskip(NEXT) | instid1(VALU_DEP_2)
	v_dual_lshlrev_b32 v5, 24, v5 :: v_dual_bitop2_b32 v4, 3, v4 bitop3:0x40
	v_cndmask_b32_e32 v7, v10, v7, vcc_lo
	s_delay_alu instid0(VALU_DEP_2) | instskip(NEXT) | instid1(VALU_DEP_3)
	v_cndmask_b32_e32 v4, v6, v4, vcc_lo
	v_and_b32_e32 v5, 0x80000000, v5
	s_delay_alu instid0(VALU_DEP_3) | instskip(NEXT) | instid1(VALU_DEP_3)
	v_lshl_add_u32 v6, v7, 23, 0x37800000
	v_lshlrev_b32_e32 v4, 21, v4
	s_delay_alu instid0(VALU_DEP_1)
	v_or3_b32 v4, v5, v6, v4
.LBB126_833:
	s_or_b32 exec_lo, exec_lo, s33
	s_mov_b32 s29, 0
	s_branch .LBB126_839
.LBB126_834:
	s_mov_b32 s33, -1
                                        ; implicit-def: $vgpr4
	s_branch .LBB126_845
.LBB126_835:
	s_or_saveexec_b32 s33, s33
	v_mov_b32_e32 v4, 0x7f800001
	s_xor_b32 exec_lo, exec_lo, s33
	s_cbranch_execz .LBB126_818
.LBB126_836:
	v_cmp_ne_u16_e32 vcc_lo, 0, v5
	v_mov_b32_e32 v4, 0
	s_and_not1_b32 s29, s29, exec_lo
	s_and_b32 s34, vcc_lo, exec_lo
	s_delay_alu instid0(SALU_CYCLE_1)
	s_or_b32 s29, s29, s34
	s_or_b32 exec_lo, exec_lo, s33
	s_and_saveexec_b32 s33, s29
	s_cbranch_execnz .LBB126_819
	s_branch .LBB126_820
.LBB126_837:
	s_mov_b32 s29, -1
                                        ; implicit-def: $vgpr4
	s_branch .LBB126_842
.LBB126_838:
	s_mov_b32 s29, -1
                                        ; implicit-def: $vgpr4
.LBB126_839:
	s_delay_alu instid0(SALU_CYCLE_1)
	s_and_b32 vcc_lo, exec_lo, s29
	s_cbranch_vccz .LBB126_841
; %bb.840:
	s_wait_loadcnt 0x0
	global_load_u8 v4, v[0:1], off
	s_wait_loadcnt 0x0
	v_lshlrev_b32_e32 v4, 24, v4
	s_delay_alu instid0(VALU_DEP_1) | instskip(NEXT) | instid1(VALU_DEP_1)
	v_and_b32_e32 v5, 0x7f000000, v4
	v_clz_i32_u32_e32 v6, v5
	v_add_nc_u32_e32 v9, 0x1000000, v5
	v_cmp_ne_u32_e32 vcc_lo, 0, v5
	s_delay_alu instid0(VALU_DEP_3) | instskip(NEXT) | instid1(VALU_DEP_1)
	v_min_u32_e32 v6, 32, v6
	v_sub_nc_u32_e64 v6, v6, 4 clamp
	s_delay_alu instid0(VALU_DEP_1) | instskip(NEXT) | instid1(VALU_DEP_1)
	v_dual_lshlrev_b32 v7, v6, v5 :: v_dual_lshlrev_b32 v6, 23, v6
	v_lshrrev_b32_e32 v7, 4, v7
	s_delay_alu instid0(VALU_DEP_1) | instskip(NEXT) | instid1(VALU_DEP_1)
	v_dual_sub_nc_u32 v6, v7, v6 :: v_dual_ashrrev_i32 v7, 8, v9
	v_add_nc_u32_e32 v6, 0x3c000000, v6
	s_delay_alu instid0(VALU_DEP_1) | instskip(NEXT) | instid1(VALU_DEP_1)
	v_and_or_b32 v6, 0x7f800000, v7, v6
	v_cndmask_b32_e32 v5, 0, v6, vcc_lo
	s_delay_alu instid0(VALU_DEP_1)
	v_and_or_b32 v4, 0x80000000, v4, v5
.LBB126_841:
	s_mov_b32 s29, 0
.LBB126_842:
	s_delay_alu instid0(SALU_CYCLE_1)
	s_and_not1_b32 vcc_lo, exec_lo, s29
	s_cbranch_vccnz .LBB126_844
; %bb.843:
	s_wait_loadcnt 0x0
	global_load_u8 v4, v[0:1], off
	s_wait_loadcnt 0x0
	v_lshlrev_b32_e32 v5, 25, v4
	v_lshlrev_b16 v4, 8, v4
	s_delay_alu instid0(VALU_DEP_1) | instskip(SKIP_1) | instid1(VALU_DEP_2)
	v_and_or_b32 v7, 0x7f00, v4, 0.5
	v_bfe_i32 v4, v4, 0, 16
	v_dual_add_f32 v7, -0.5, v7 :: v_dual_lshrrev_b32 v6, 4, v5
	v_cmp_gt_u32_e32 vcc_lo, 0x8000000, v5
	s_delay_alu instid0(VALU_DEP_2) | instskip(NEXT) | instid1(VALU_DEP_1)
	v_or_b32_e32 v6, 0x70000000, v6
	v_mul_f32_e32 v6, 0x7800000, v6
	s_delay_alu instid0(VALU_DEP_1) | instskip(NEXT) | instid1(VALU_DEP_1)
	v_cndmask_b32_e32 v5, v6, v7, vcc_lo
	v_and_or_b32 v4, 0x80000000, v4, v5
.LBB126_844:
	s_mov_b32 s33, 0
	s_mov_b32 s29, -1
.LBB126_845:
	s_and_not1_b32 vcc_lo, exec_lo, s33
	s_cbranch_vccnz .LBB126_858
; %bb.846:
	s_cmp_gt_i32 s0, 14
	s_cbranch_scc0 .LBB126_849
; %bb.847:
	s_cmp_eq_u32 s0, 15
	s_cbranch_scc0 .LBB126_852
; %bb.848:
	s_wait_loadcnt 0x0
	global_load_u16 v4, v[0:1], off
	s_mov_b32 s29, -1
	s_mov_b32 s28, 0
	s_wait_loadcnt 0x0
	v_lshlrev_b32_e32 v4, 16, v4
	s_branch .LBB126_853
.LBB126_849:
	s_mov_b32 s33, -1
                                        ; implicit-def: $vgpr4
	s_branch .LBB126_854
.LBB126_850:
	s_or_saveexec_b32 s33, s33
	v_mov_b32_e32 v4, 0x7f800001
	s_xor_b32 exec_lo, exec_lo, s33
	s_cbranch_execz .LBB126_831
.LBB126_851:
	v_cmp_ne_u16_e32 vcc_lo, 0, v5
	v_mov_b32_e32 v4, 0
	s_and_not1_b32 s29, s29, exec_lo
	s_and_b32 s34, vcc_lo, exec_lo
	s_delay_alu instid0(SALU_CYCLE_1)
	s_or_b32 s29, s29, s34
	s_or_b32 exec_lo, exec_lo, s33
	s_and_saveexec_b32 s33, s29
	s_cbranch_execnz .LBB126_832
	s_branch .LBB126_833
.LBB126_852:
	s_mov_b32 s28, -1
                                        ; implicit-def: $vgpr4
.LBB126_853:
	s_mov_b32 s33, 0
.LBB126_854:
	s_delay_alu instid0(SALU_CYCLE_1)
	s_and_b32 vcc_lo, exec_lo, s33
	s_cbranch_vccz .LBB126_858
; %bb.855:
	s_cmp_eq_u32 s0, 11
	s_cbranch_scc0 .LBB126_857
; %bb.856:
	s_wait_loadcnt 0x0
	global_load_u8 v4, v[0:1], off
	s_mov_b32 s28, 0
	s_mov_b32 s29, -1
	s_wait_loadcnt 0x0
	v_cmp_ne_u16_e32 vcc_lo, 0, v4
	v_cndmask_b32_e64 v4, 0, 1.0, vcc_lo
	s_branch .LBB126_858
.LBB126_857:
	s_mov_b32 s28, -1
                                        ; implicit-def: $vgpr4
.LBB126_858:
	s_mov_b32 s33, 0
.LBB126_859:
	s_delay_alu instid0(SALU_CYCLE_1)
	s_and_b32 vcc_lo, exec_lo, s33
	s_cbranch_vccz .LBB126_908
; %bb.860:
	s_cmp_lt_i32 s0, 5
	s_cbranch_scc1 .LBB126_865
; %bb.861:
	s_cmp_lt_i32 s0, 8
	s_cbranch_scc1 .LBB126_866
	;; [unrolled: 3-line block ×3, first 2 shown]
; %bb.863:
	s_cmp_gt_i32 s0, 9
	s_cbranch_scc0 .LBB126_868
; %bb.864:
	s_wait_loadcnt 0x0
	global_load_b64 v[4:5], v[0:1], off
	s_mov_b32 s29, 0
	s_wait_loadcnt 0x0
	v_cvt_f32_f64_e32 v4, v[4:5]
	s_branch .LBB126_869
.LBB126_865:
	s_mov_b32 s29, -1
                                        ; implicit-def: $vgpr4
	s_branch .LBB126_887
.LBB126_866:
	s_mov_b32 s29, -1
                                        ; implicit-def: $vgpr4
	s_branch .LBB126_875
.LBB126_867:
	s_mov_b32 s29, -1
                                        ; implicit-def: $vgpr4
	s_branch .LBB126_872
.LBB126_868:
	s_mov_b32 s29, -1
                                        ; implicit-def: $vgpr4
.LBB126_869:
	s_delay_alu instid0(SALU_CYCLE_1)
	s_and_not1_b32 vcc_lo, exec_lo, s29
	s_cbranch_vccnz .LBB126_871
; %bb.870:
	s_wait_loadcnt 0x0
	global_load_b32 v4, v[0:1], off
.LBB126_871:
	s_mov_b32 s29, 0
.LBB126_872:
	s_delay_alu instid0(SALU_CYCLE_1)
	s_and_not1_b32 vcc_lo, exec_lo, s29
	s_cbranch_vccnz .LBB126_874
; %bb.873:
	s_wait_loadcnt 0x0
	global_load_b32 v4, v[0:1], off
	s_wait_loadcnt 0x0
	v_cvt_f32_f16_e32 v4, v4
.LBB126_874:
	s_mov_b32 s29, 0
.LBB126_875:
	s_delay_alu instid0(SALU_CYCLE_1)
	s_and_not1_b32 vcc_lo, exec_lo, s29
	s_cbranch_vccnz .LBB126_886
; %bb.876:
	s_cmp_lt_i32 s0, 6
	s_cbranch_scc1 .LBB126_879
; %bb.877:
	s_cmp_gt_i32 s0, 6
	s_cbranch_scc0 .LBB126_880
; %bb.878:
	s_wait_loadcnt 0x0
	global_load_b64 v[4:5], v[0:1], off
	s_mov_b32 s29, 0
	s_wait_loadcnt 0x0
	v_cvt_f32_f64_e32 v4, v[4:5]
	s_branch .LBB126_881
.LBB126_879:
	s_mov_b32 s29, -1
                                        ; implicit-def: $vgpr4
	s_branch .LBB126_884
.LBB126_880:
	s_mov_b32 s29, -1
                                        ; implicit-def: $vgpr4
.LBB126_881:
	s_delay_alu instid0(SALU_CYCLE_1)
	s_and_not1_b32 vcc_lo, exec_lo, s29
	s_cbranch_vccnz .LBB126_883
; %bb.882:
	s_wait_loadcnt 0x0
	global_load_b32 v4, v[0:1], off
.LBB126_883:
	s_mov_b32 s29, 0
.LBB126_884:
	s_delay_alu instid0(SALU_CYCLE_1)
	s_and_not1_b32 vcc_lo, exec_lo, s29
	s_cbranch_vccnz .LBB126_886
; %bb.885:
	s_wait_loadcnt 0x0
	global_load_u16 v4, v[0:1], off
	s_wait_loadcnt 0x0
	v_cvt_f32_f16_e32 v4, v4
.LBB126_886:
	s_mov_b32 s29, 0
.LBB126_887:
	s_delay_alu instid0(SALU_CYCLE_1)
	s_and_not1_b32 vcc_lo, exec_lo, s29
	s_cbranch_vccnz .LBB126_907
; %bb.888:
	s_cmp_lt_i32 s0, 2
	s_cbranch_scc1 .LBB126_892
; %bb.889:
	s_cmp_lt_i32 s0, 3
	s_cbranch_scc1 .LBB126_893
; %bb.890:
	s_cmp_gt_i32 s0, 3
	s_cbranch_scc0 .LBB126_894
; %bb.891:
	s_wait_loadcnt 0x0
	global_load_b64 v[4:5], v[0:1], off
	s_mov_b32 s29, 0
	s_wait_loadcnt 0x0
	v_xor_b32_e32 v6, v4, v5
	v_cls_i32_e32 v7, v5
	s_delay_alu instid0(VALU_DEP_2) | instskip(NEXT) | instid1(VALU_DEP_1)
	v_ashrrev_i32_e32 v6, 31, v6
	v_add_nc_u32_e32 v6, 32, v6
	s_delay_alu instid0(VALU_DEP_1) | instskip(NEXT) | instid1(VALU_DEP_1)
	v_add_min_u32_e64 v6, v7, -1, v6
	v_lshlrev_b64_e32 v[4:5], v6, v[4:5]
	s_delay_alu instid0(VALU_DEP_1) | instskip(NEXT) | instid1(VALU_DEP_1)
	v_min_u32_e32 v4, 1, v4
	v_dual_sub_nc_u32 v5, 32, v6 :: v_dual_bitop2_b32 v4, v5, v4 bitop3:0x54
	s_delay_alu instid0(VALU_DEP_1) | instskip(NEXT) | instid1(VALU_DEP_1)
	v_cvt_f32_i32_e32 v4, v4
	v_ldexp_f32 v4, v4, v5
	s_branch .LBB126_895
.LBB126_892:
	s_mov_b32 s29, -1
                                        ; implicit-def: $vgpr4
	s_branch .LBB126_901
.LBB126_893:
	s_mov_b32 s29, -1
                                        ; implicit-def: $vgpr4
	s_branch .LBB126_898
.LBB126_894:
	s_mov_b32 s29, -1
                                        ; implicit-def: $vgpr4
.LBB126_895:
	s_delay_alu instid0(SALU_CYCLE_1)
	s_and_not1_b32 vcc_lo, exec_lo, s29
	s_cbranch_vccnz .LBB126_897
; %bb.896:
	s_wait_loadcnt 0x0
	global_load_b32 v4, v[0:1], off
	s_wait_loadcnt 0x0
	v_cvt_f32_i32_e32 v4, v4
.LBB126_897:
	s_mov_b32 s29, 0
.LBB126_898:
	s_delay_alu instid0(SALU_CYCLE_1)
	s_and_not1_b32 vcc_lo, exec_lo, s29
	s_cbranch_vccnz .LBB126_900
; %bb.899:
	s_wait_loadcnt 0x0
	global_load_i16 v4, v[0:1], off
	s_wait_loadcnt 0x0
	v_cvt_f32_i32_e32 v4, v4
.LBB126_900:
	s_mov_b32 s29, 0
.LBB126_901:
	s_delay_alu instid0(SALU_CYCLE_1)
	s_and_not1_b32 vcc_lo, exec_lo, s29
	s_cbranch_vccnz .LBB126_907
; %bb.902:
	s_cmp_gt_i32 s0, 0
	s_mov_b32 s0, 0
	s_cbranch_scc0 .LBB126_904
; %bb.903:
	s_wait_loadcnt 0x0
	global_load_i8 v4, v[0:1], off
	s_wait_loadcnt 0x0
	v_cvt_f32_i32_e32 v4, v4
	s_branch .LBB126_905
.LBB126_904:
	s_mov_b32 s0, -1
                                        ; implicit-def: $vgpr4
.LBB126_905:
	s_delay_alu instid0(SALU_CYCLE_1)
	s_and_not1_b32 vcc_lo, exec_lo, s0
	s_cbranch_vccnz .LBB126_907
; %bb.906:
	global_load_u8 v0, v[0:1], off
	s_wait_loadcnt 0x0
	v_cvt_f32_ubyte0_e32 v4, v0
.LBB126_907:
	s_mov_b32 s29, -1
.LBB126_908:
	s_delay_alu instid0(SALU_CYCLE_1)
	s_and_not1_b32 vcc_lo, exec_lo, s29
	s_cbranch_vccnz .LBB126_916
; %bb.909:
	s_wait_xcnt 0x0
	v_mul_lo_u32 v0, v8, s12
	s_wait_loadcnt 0x0
	v_mul_f32_e32 v2, s17, v2
	s_and_b32 s29, s18, 0xff
	s_delay_alu instid0(SALU_CYCLE_1) | instskip(NEXT) | instid1(VALU_DEP_2)
	s_cmp_lt_i32 s29, 11
	v_ashrrev_i32_e32 v1, 31, v0
	s_delay_alu instid0(VALU_DEP_2) | instskip(NEXT) | instid1(VALU_DEP_2)
	v_mul_f32_e32 v2, v2, v4
	v_add_nc_u64_e32 v[0:1], s[4:5], v[0:1]
	s_delay_alu instid0(VALU_DEP_2)
	v_fmac_f32_e32 v2, s16, v3
	s_cbranch_scc1 .LBB126_917
; %bb.910:
	s_and_b32 s33, 0xffff, s29
	s_delay_alu instid0(SALU_CYCLE_1)
	s_cmp_gt_i32 s33, 25
	s_cbranch_scc0 .LBB126_918
; %bb.911:
	s_cmp_gt_i32 s33, 28
	s_cbranch_scc0 .LBB126_919
; %bb.912:
	;; [unrolled: 3-line block ×4, first 2 shown]
	s_mov_b32 s35, 0
	s_mov_b32 s0, -1
	s_cmp_eq_u32 s33, 46
	s_mov_b32 s34, 0
	s_cbranch_scc0 .LBB126_922
; %bb.915:
	v_bfe_u32 v3, v2, 16, 1
	v_cmp_o_f32_e32 vcc_lo, v2, v2
	s_mov_b32 s34, -1
	s_mov_b32 s0, 0
	s_delay_alu instid0(VALU_DEP_2) | instskip(NEXT) | instid1(VALU_DEP_1)
	v_add3_u32 v3, v2, v3, 0x7fff
	v_lshrrev_b32_e32 v3, 16, v3
	s_delay_alu instid0(VALU_DEP_1)
	v_cndmask_b32_e32 v3, 0x7fc0, v3, vcc_lo
	global_store_b32 v[0:1], v3, off
	s_branch .LBB126_922
.LBB126_916:
	s_mov_b32 s33, 0
	s_mov_b32 s0, s21
	s_branch .LBB126_1033
.LBB126_917:
	s_mov_b32 s33, -1
	s_mov_b32 s34, 0
	s_mov_b32 s0, s21
	s_branch .LBB126_991
.LBB126_918:
	s_mov_b32 s35, -1
	s_mov_b32 s34, 0
	s_mov_b32 s0, s21
	s_branch .LBB126_949
.LBB126_919:
	s_mov_b32 s35, -1
	s_mov_b32 s34, 0
	s_mov_b32 s0, s21
	s_branch .LBB126_932
.LBB126_920:
	s_mov_b32 s35, -1
	s_mov_b32 s34, 0
	s_mov_b32 s0, s21
	s_branch .LBB126_928
.LBB126_921:
	s_mov_b32 s35, -1
	s_mov_b32 s34, 0
	s_mov_b32 s0, s21
.LBB126_922:
	s_and_b32 vcc_lo, exec_lo, s35
	s_cbranch_vccz .LBB126_927
; %bb.923:
	s_cmp_eq_u32 s33, 44
	s_mov_b32 s0, -1
	s_cbranch_scc0 .LBB126_927
; %bb.924:
	v_bfe_u32 v4, v2, 23, 8
	s_wait_xcnt 0x0
	v_mov_b32_e32 v3, 0xff
	s_mov_b32 s34, exec_lo
	s_delay_alu instid0(VALU_DEP_2)
	v_cmpx_ne_u32_e32 0xff, v4
	s_cbranch_execz .LBB126_926
; %bb.925:
	v_and_b32_e32 v3, 0x400000, v2
	v_and_or_b32 v4, 0x3fffff, v2, v4
	s_delay_alu instid0(VALU_DEP_2) | instskip(NEXT) | instid1(VALU_DEP_2)
	v_cmp_ne_u32_e32 vcc_lo, 0, v3
	v_cmp_ne_u32_e64 s0, 0, v4
	v_lshrrev_b32_e32 v3, 23, v2
	s_and_b32 s0, vcc_lo, s0
	s_delay_alu instid0(SALU_CYCLE_1) | instskip(NEXT) | instid1(VALU_DEP_1)
	v_cndmask_b32_e64 v4, 0, 1, s0
	v_add_nc_u32_e32 v3, v3, v4
.LBB126_926:
	s_or_b32 exec_lo, exec_lo, s34
	s_mov_b32 s34, -1
	s_mov_b32 s0, 0
	global_store_b8 v[0:1], v3, off
.LBB126_927:
	s_mov_b32 s35, 0
.LBB126_928:
	s_delay_alu instid0(SALU_CYCLE_1)
	s_and_b32 vcc_lo, exec_lo, s35
	s_cbranch_vccz .LBB126_931
; %bb.929:
	s_cmp_eq_u32 s33, 29
	s_mov_b32 s0, -1
	s_cbranch_scc0 .LBB126_931
; %bb.930:
	s_wait_xcnt 0x0
	v_trunc_f32_e32 v3, v2
	s_mov_b32 s34, -1
	s_mov_b32 s0, 0
	s_mov_b32 s35, 0
	s_delay_alu instid0(VALU_DEP_1) | instskip(NEXT) | instid1(VALU_DEP_1)
	v_mul_f32_e32 v4, 0x2f800000, v3
	v_floor_f32_e32 v4, v4
	s_delay_alu instid0(VALU_DEP_1) | instskip(SKIP_1) | instid1(VALU_DEP_2)
	v_fmamk_f32 v3, v4, 0xcf800000, v3
	v_cvt_u32_f32_e32 v5, v4
	v_cvt_u32_f32_e32 v4, v3
	global_store_b64 v[0:1], v[4:5], off
	s_branch .LBB126_932
.LBB126_931:
	s_mov_b32 s35, 0
.LBB126_932:
	s_delay_alu instid0(SALU_CYCLE_1)
	s_and_b32 vcc_lo, exec_lo, s35
	s_cbranch_vccz .LBB126_948
; %bb.933:
	s_cmp_lt_i32 s33, 27
	s_mov_b32 s34, -1
	s_cbranch_scc1 .LBB126_939
; %bb.934:
	s_wait_xcnt 0x0
	v_cvt_u32_f32_e32 v3, v2
	s_cmp_gt_i32 s33, 27
	s_cbranch_scc0 .LBB126_936
; %bb.935:
	s_mov_b32 s34, 0
	global_store_b32 v[0:1], v3, off
.LBB126_936:
	s_and_not1_b32 vcc_lo, exec_lo, s34
	s_cbranch_vccnz .LBB126_938
; %bb.937:
	global_store_b16 v[0:1], v3, off
.LBB126_938:
	s_mov_b32 s34, 0
.LBB126_939:
	s_delay_alu instid0(SALU_CYCLE_1)
	s_and_not1_b32 vcc_lo, exec_lo, s34
	s_cbranch_vccnz .LBB126_947
; %bb.940:
	s_wait_xcnt 0x0
	v_and_b32_e32 v3, 0x7fffffff, v2
	v_mov_b32_e32 v4, 0x80
	s_mov_b32 s34, exec_lo
	s_delay_alu instid0(VALU_DEP_2)
	v_cmpx_gt_u32_e32 0x43800000, v3
	s_cbranch_execz .LBB126_946
; %bb.941:
	v_cmp_lt_u32_e32 vcc_lo, 0x3bffffff, v3
	s_mov_b32 s35, 0
                                        ; implicit-def: $vgpr3
	s_and_saveexec_b32 s36, vcc_lo
	s_delay_alu instid0(SALU_CYCLE_1)
	s_xor_b32 s36, exec_lo, s36
	s_cbranch_execz .LBB126_1179
; %bb.942:
	v_bfe_u32 v3, v2, 20, 1
	s_mov_b32 s35, exec_lo
	s_delay_alu instid0(VALU_DEP_1) | instskip(NEXT) | instid1(VALU_DEP_1)
	v_add3_u32 v3, v2, v3, 0x487ffff
	v_lshrrev_b32_e32 v3, 20, v3
	s_and_not1_saveexec_b32 s36, s36
	s_cbranch_execnz .LBB126_1180
.LBB126_943:
	s_or_b32 exec_lo, exec_lo, s36
	v_mov_b32_e32 v4, 0
	s_and_saveexec_b32 s36, s35
.LBB126_944:
	v_lshrrev_b32_e32 v4, 24, v2
	s_delay_alu instid0(VALU_DEP_1)
	v_and_or_b32 v4, 0x80, v4, v3
.LBB126_945:
	s_or_b32 exec_lo, exec_lo, s36
.LBB126_946:
	s_delay_alu instid0(SALU_CYCLE_1)
	s_or_b32 exec_lo, exec_lo, s34
	global_store_b8 v[0:1], v4, off
.LBB126_947:
	s_mov_b32 s34, -1
.LBB126_948:
	s_mov_b32 s35, 0
.LBB126_949:
	s_delay_alu instid0(SALU_CYCLE_1)
	s_and_b32 vcc_lo, exec_lo, s35
	s_cbranch_vccz .LBB126_990
; %bb.950:
	s_cmp_gt_i32 s33, 22
	s_mov_b32 s35, -1
	s_cbranch_scc0 .LBB126_982
; %bb.951:
	s_cmp_lt_i32 s33, 24
	s_mov_b32 s34, -1
	s_cbranch_scc1 .LBB126_971
; %bb.952:
	s_cmp_gt_i32 s33, 24
	s_cbranch_scc0 .LBB126_960
; %bb.953:
	s_wait_xcnt 0x0
	v_and_b32_e32 v3, 0x7fffffff, v2
	v_mov_b32_e32 v4, 0x80
	s_mov_b32 s34, exec_lo
	s_delay_alu instid0(VALU_DEP_2)
	v_cmpx_gt_u32_e32 0x47800000, v3
	s_cbranch_execz .LBB126_959
; %bb.954:
	v_cmp_lt_u32_e32 vcc_lo, 0x37ffffff, v3
	s_mov_b32 s35, 0
                                        ; implicit-def: $vgpr3
	s_and_saveexec_b32 s36, vcc_lo
	s_delay_alu instid0(SALU_CYCLE_1)
	s_xor_b32 s36, exec_lo, s36
	s_cbranch_execz .LBB126_1311
; %bb.955:
	v_bfe_u32 v3, v2, 21, 1
	s_mov_b32 s35, exec_lo
	s_delay_alu instid0(VALU_DEP_1) | instskip(NEXT) | instid1(VALU_DEP_1)
	v_add3_u32 v3, v2, v3, 0x88fffff
	v_lshrrev_b32_e32 v3, 21, v3
	s_and_not1_saveexec_b32 s36, s36
	s_cbranch_execnz .LBB126_1312
.LBB126_956:
	s_or_b32 exec_lo, exec_lo, s36
	v_mov_b32_e32 v4, 0
	s_and_saveexec_b32 s36, s35
.LBB126_957:
	v_lshrrev_b32_e32 v4, 24, v2
	s_delay_alu instid0(VALU_DEP_1)
	v_and_or_b32 v4, 0x80, v4, v3
.LBB126_958:
	s_or_b32 exec_lo, exec_lo, s36
.LBB126_959:
	s_delay_alu instid0(SALU_CYCLE_1)
	s_or_b32 exec_lo, exec_lo, s34
	s_mov_b32 s34, 0
	global_store_b8 v[0:1], v4, off
.LBB126_960:
	s_and_b32 vcc_lo, exec_lo, s34
	s_cbranch_vccz .LBB126_970
; %bb.961:
	s_wait_xcnt 0x0
	v_and_b32_e32 v4, 0x7fffffff, v2
	s_mov_b32 s34, exec_lo
                                        ; implicit-def: $vgpr3
	s_delay_alu instid0(VALU_DEP_1)
	v_cmpx_gt_u32_e32 0x43f00000, v4
	s_xor_b32 s34, exec_lo, s34
	s_cbranch_execz .LBB126_967
; %bb.962:
	s_mov_b32 s35, exec_lo
                                        ; implicit-def: $vgpr3
	v_cmpx_lt_u32_e32 0x3c7fffff, v4
	s_xor_b32 s35, exec_lo, s35
; %bb.963:
	v_bfe_u32 v3, v2, 20, 1
	s_delay_alu instid0(VALU_DEP_1) | instskip(NEXT) | instid1(VALU_DEP_1)
	v_add3_u32 v3, v2, v3, 0x407ffff
	v_and_b32_e32 v4, 0xff00000, v3
	v_lshrrev_b32_e32 v3, 20, v3
	s_delay_alu instid0(VALU_DEP_2) | instskip(NEXT) | instid1(VALU_DEP_2)
	v_cmp_ne_u32_e32 vcc_lo, 0x7f00000, v4
	v_cndmask_b32_e32 v3, 0x7e, v3, vcc_lo
; %bb.964:
	s_and_not1_saveexec_b32 s35, s35
; %bb.965:
	v_add_f32_e64 v3, 0x46800000, |v2|
; %bb.966:
	s_or_b32 exec_lo, exec_lo, s35
                                        ; implicit-def: $vgpr4
.LBB126_967:
	s_and_not1_saveexec_b32 s34, s34
; %bb.968:
	v_mov_b32_e32 v3, 0x7f
	v_cmp_lt_u32_e32 vcc_lo, 0x7f800000, v4
	s_delay_alu instid0(VALU_DEP_2)
	v_cndmask_b32_e32 v3, 0x7e, v3, vcc_lo
; %bb.969:
	s_or_b32 exec_lo, exec_lo, s34
	v_lshrrev_b32_e32 v4, 24, v2
	s_delay_alu instid0(VALU_DEP_1)
	v_and_or_b32 v3, 0x80, v4, v3
	global_store_b8 v[0:1], v3, off
.LBB126_970:
	s_mov_b32 s34, 0
.LBB126_971:
	s_delay_alu instid0(SALU_CYCLE_1)
	s_and_not1_b32 vcc_lo, exec_lo, s34
	s_cbranch_vccnz .LBB126_981
; %bb.972:
	s_wait_xcnt 0x0
	v_and_b32_e32 v4, 0x7fffffff, v2
	s_mov_b32 s34, exec_lo
                                        ; implicit-def: $vgpr3
	s_delay_alu instid0(VALU_DEP_1)
	v_cmpx_gt_u32_e32 0x47800000, v4
	s_xor_b32 s34, exec_lo, s34
	s_cbranch_execz .LBB126_978
; %bb.973:
	s_mov_b32 s35, exec_lo
                                        ; implicit-def: $vgpr3
	v_cmpx_lt_u32_e32 0x387fffff, v4
	s_xor_b32 s35, exec_lo, s35
; %bb.974:
	v_bfe_u32 v3, v2, 21, 1
	s_delay_alu instid0(VALU_DEP_1) | instskip(NEXT) | instid1(VALU_DEP_1)
	v_add3_u32 v3, v2, v3, 0x80fffff
	v_lshrrev_b32_e32 v3, 21, v3
; %bb.975:
	s_and_not1_saveexec_b32 s35, s35
; %bb.976:
	v_add_f32_e64 v3, 0x43000000, |v2|
; %bb.977:
	s_or_b32 exec_lo, exec_lo, s35
                                        ; implicit-def: $vgpr4
.LBB126_978:
	s_and_not1_saveexec_b32 s34, s34
; %bb.979:
	v_mov_b32_e32 v3, 0x7f
	v_cmp_lt_u32_e32 vcc_lo, 0x7f800000, v4
	s_delay_alu instid0(VALU_DEP_2)
	v_cndmask_b32_e32 v3, 0x7c, v3, vcc_lo
; %bb.980:
	s_or_b32 exec_lo, exec_lo, s34
	v_lshrrev_b32_e32 v4, 24, v2
	s_delay_alu instid0(VALU_DEP_1)
	v_and_or_b32 v3, 0x80, v4, v3
	global_store_b8 v[0:1], v3, off
.LBB126_981:
	s_mov_b32 s35, 0
	s_mov_b32 s34, -1
.LBB126_982:
	s_and_not1_b32 vcc_lo, exec_lo, s35
	s_cbranch_vccnz .LBB126_990
; %bb.983:
	s_cmp_gt_i32 s33, 14
	s_mov_b32 s35, -1
	s_cbranch_scc0 .LBB126_987
; %bb.984:
	s_cmp_eq_u32 s33, 15
	s_mov_b32 s0, -1
	s_cbranch_scc0 .LBB126_986
; %bb.985:
	s_wait_xcnt 0x0
	v_bfe_u32 v3, v2, 16, 1
	v_cmp_o_f32_e32 vcc_lo, v2, v2
	s_mov_b32 s34, -1
	s_mov_b32 s0, 0
	s_delay_alu instid0(VALU_DEP_2) | instskip(NEXT) | instid1(VALU_DEP_1)
	v_add3_u32 v3, v2, v3, 0x7fff
	v_lshrrev_b32_e32 v3, 16, v3
	s_delay_alu instid0(VALU_DEP_1)
	v_cndmask_b32_e32 v3, 0x7fc0, v3, vcc_lo
	global_store_b16 v[0:1], v3, off
.LBB126_986:
	s_mov_b32 s35, 0
.LBB126_987:
	s_delay_alu instid0(SALU_CYCLE_1)
	s_and_b32 vcc_lo, exec_lo, s35
	s_cbranch_vccz .LBB126_990
; %bb.988:
	s_cmp_eq_u32 s33, 11
	s_mov_b32 s0, -1
	s_cbranch_scc0 .LBB126_990
; %bb.989:
	v_cmp_neq_f32_e32 vcc_lo, 0, v2
	s_mov_b32 s0, 0
	s_mov_b32 s34, -1
	s_wait_xcnt 0x0
	v_cndmask_b32_e64 v3, 0, 1, vcc_lo
	global_store_b8 v[0:1], v3, off
.LBB126_990:
	s_mov_b32 s33, 0
.LBB126_991:
	s_delay_alu instid0(SALU_CYCLE_1)
	s_and_b32 vcc_lo, exec_lo, s33
	s_cbranch_vccz .LBB126_1030
; %bb.992:
	s_and_b32 s29, 0xffff, s29
	s_mov_b32 s33, -1
	s_cmp_lt_i32 s29, 5
	s_cbranch_scc1 .LBB126_1013
; %bb.993:
	s_cmp_lt_i32 s29, 8
	s_cbranch_scc1 .LBB126_1003
; %bb.994:
	;; [unrolled: 3-line block ×3, first 2 shown]
	s_cmp_gt_i32 s29, 9
	s_cbranch_scc0 .LBB126_997
; %bb.996:
	s_wait_xcnt 0x0
	v_cvt_f64_f32_e32 v[4:5], v2
	v_mov_b32_e32 v6, 0
	s_mov_b32 s33, 0
	s_delay_alu instid0(VALU_DEP_1)
	v_mov_b32_e32 v7, v6
	global_store_b128 v[0:1], v[4:7], off
.LBB126_997:
	s_and_not1_b32 vcc_lo, exec_lo, s33
	s_cbranch_vccnz .LBB126_999
; %bb.998:
	s_wait_xcnt 0x0
	v_mov_b32_e32 v3, 0
	global_store_b64 v[0:1], v[2:3], off
.LBB126_999:
	s_mov_b32 s33, 0
.LBB126_1000:
	s_delay_alu instid0(SALU_CYCLE_1)
	s_and_not1_b32 vcc_lo, exec_lo, s33
	s_cbranch_vccnz .LBB126_1002
; %bb.1001:
	s_wait_xcnt 0x0
	v_cvt_f16_f32_e32 v3, v2
	s_delay_alu instid0(VALU_DEP_1)
	v_and_b32_e32 v3, 0xffff, v3
	global_store_b32 v[0:1], v3, off
.LBB126_1002:
	s_mov_b32 s33, 0
.LBB126_1003:
	s_delay_alu instid0(SALU_CYCLE_1)
	s_and_not1_b32 vcc_lo, exec_lo, s33
	s_cbranch_vccnz .LBB126_1012
; %bb.1004:
	s_cmp_lt_i32 s29, 6
	s_mov_b32 s33, -1
	s_cbranch_scc1 .LBB126_1010
; %bb.1005:
	s_cmp_gt_i32 s29, 6
	s_cbranch_scc0 .LBB126_1007
; %bb.1006:
	s_wait_xcnt 0x0
	v_cvt_f64_f32_e32 v[4:5], v2
	s_mov_b32 s33, 0
	global_store_b64 v[0:1], v[4:5], off
.LBB126_1007:
	s_and_not1_b32 vcc_lo, exec_lo, s33
	s_cbranch_vccnz .LBB126_1009
; %bb.1008:
	global_store_b32 v[0:1], v2, off
.LBB126_1009:
	s_mov_b32 s33, 0
.LBB126_1010:
	s_delay_alu instid0(SALU_CYCLE_1)
	s_and_not1_b32 vcc_lo, exec_lo, s33
	s_cbranch_vccnz .LBB126_1012
; %bb.1011:
	s_wait_xcnt 0x0
	v_cvt_f16_f32_e32 v3, v2
	global_store_b16 v[0:1], v3, off
.LBB126_1012:
	s_mov_b32 s33, 0
.LBB126_1013:
	s_delay_alu instid0(SALU_CYCLE_1)
	s_and_not1_b32 vcc_lo, exec_lo, s33
	s_cbranch_vccnz .LBB126_1029
; %bb.1014:
	s_cmp_lt_i32 s29, 2
	s_mov_b32 s33, -1
	s_cbranch_scc1 .LBB126_1024
; %bb.1015:
	s_cmp_lt_i32 s29, 3
	s_cbranch_scc1 .LBB126_1021
; %bb.1016:
	s_cmp_gt_i32 s29, 3
	s_cbranch_scc0 .LBB126_1018
; %bb.1017:
	s_wait_xcnt 0x0
	v_trunc_f32_e32 v3, v2
	s_mov_b32 s33, 0
	s_delay_alu instid0(VALU_DEP_1) | instskip(NEXT) | instid1(VALU_DEP_1)
	v_mul_f32_e64 v4, 0x2f800000, |v3|
	v_floor_f32_e32 v5, v4
	v_ashrrev_i32_e32 v4, 31, v3
	s_delay_alu instid0(VALU_DEP_2) | instskip(SKIP_1) | instid1(VALU_DEP_3)
	v_fma_f32 v6, 0xcf800000, v5, |v3|
	v_cvt_u32_f32_e32 v3, v5
	v_mov_b32_e32 v5, v4
	s_delay_alu instid0(VALU_DEP_3) | instskip(NEXT) | instid1(VALU_DEP_3)
	v_cvt_u32_f32_e32 v6, v6
	v_xor_b32_e32 v7, v3, v4
	s_delay_alu instid0(VALU_DEP_2) | instskip(NEXT) | instid1(VALU_DEP_1)
	v_xor_b32_e32 v6, v6, v4
	v_sub_nc_u64_e32 v[4:5], v[6:7], v[4:5]
	global_store_b64 v[0:1], v[4:5], off
.LBB126_1018:
	s_and_not1_b32 vcc_lo, exec_lo, s33
	s_cbranch_vccnz .LBB126_1020
; %bb.1019:
	s_wait_xcnt 0x0
	v_cvt_i32_f32_e32 v3, v2
	global_store_b32 v[0:1], v3, off
.LBB126_1020:
	s_mov_b32 s33, 0
.LBB126_1021:
	s_delay_alu instid0(SALU_CYCLE_1)
	s_and_not1_b32 vcc_lo, exec_lo, s33
	s_cbranch_vccnz .LBB126_1023
; %bb.1022:
	s_wait_xcnt 0x0
	v_cvt_i32_f32_e32 v3, v2
	global_store_b16 v[0:1], v3, off
.LBB126_1023:
	s_mov_b32 s33, 0
.LBB126_1024:
	s_delay_alu instid0(SALU_CYCLE_1)
	s_and_not1_b32 vcc_lo, exec_lo, s33
	s_cbranch_vccnz .LBB126_1029
; %bb.1025:
	s_cmp_gt_i32 s29, 0
	s_mov_b32 s29, -1
	s_cbranch_scc0 .LBB126_1027
; %bb.1026:
	s_wait_xcnt 0x0
	v_cvt_i32_f32_e32 v3, v2
	s_mov_b32 s29, 0
	global_store_b8 v[0:1], v3, off
.LBB126_1027:
	s_and_not1_b32 vcc_lo, exec_lo, s29
	s_cbranch_vccnz .LBB126_1029
; %bb.1028:
	s_wait_xcnt 0x0
	v_trunc_f32_e32 v2, v2
	s_delay_alu instid0(VALU_DEP_1) | instskip(NEXT) | instid1(VALU_DEP_1)
	v_mul_f32_e64 v3, 0x2f800000, |v2|
	v_floor_f32_e32 v3, v3
	s_delay_alu instid0(VALU_DEP_1) | instskip(SKIP_1) | instid1(VALU_DEP_2)
	v_fma_f32 v3, 0xcf800000, v3, |v2|
	v_ashrrev_i32_e32 v2, 31, v2
	v_cvt_u32_f32_e32 v3, v3
	s_delay_alu instid0(VALU_DEP_1) | instskip(NEXT) | instid1(VALU_DEP_1)
	v_xor_b32_e32 v3, v3, v2
	v_sub_nc_u32_e32 v2, v3, v2
	global_store_b8 v[0:1], v2, off
.LBB126_1029:
	s_mov_b32 s34, -1
.LBB126_1030:
	s_delay_alu instid0(SALU_CYCLE_1)
	s_and_not1_b32 vcc_lo, exec_lo, s34
	s_cbranch_vccnz .LBB126_1032
; %bb.1031:
	v_add_nc_u32_e32 v8, 0x80, v8
	s_mov_b32 s33, -1
	s_branch .LBB126_1034
.LBB126_1032:
	s_mov_b32 s33, 0
.LBB126_1033:
                                        ; implicit-def: $vgpr8
.LBB126_1034:
	s_and_not1_b32 s29, s21, exec_lo
	s_and_b32 s0, s0, exec_lo
	s_and_not1_b32 s34, s23, exec_lo
	s_and_b32 s35, s28, exec_lo
	s_or_b32 s28, s29, s0
	s_or_b32 s29, s34, s35
	s_and_not1_b32 s0, s24, exec_lo
	s_and_b32 s30, s30, exec_lo
	s_and_not1_b32 s34, s25, exec_lo
	s_and_b32 s27, s27, exec_lo
	s_or_b32 s30, s0, s30
	s_or_b32 s27, s34, s27
	s_or_not1_b32 s34, s33, exec_lo
.LBB126_1035:
	s_wait_xcnt 0x0
	s_or_b32 exec_lo, exec_lo, s31
	s_mov_b32 s33, 0
	s_mov_b32 s35, 0
	;; [unrolled: 1-line block ×3, first 2 shown]
                                        ; implicit-def: $sgpr0
                                        ; implicit-def: $vgpr0_vgpr1
                                        ; implicit-def: $vgpr3
	s_and_saveexec_b32 s31, s34
	s_cbranch_execz .LBB126_1638
; %bb.1036:
	s_mov_b32 s41, -1
	s_mov_b32 s34, s27
	s_mov_b32 s35, s30
	s_mov_b32 s36, s29
	s_mov_b32 s37, s28
	s_mov_b32 s33, exec_lo
	v_cmpx_gt_i32_e64 s22, v8
	s_cbranch_execz .LBB126_1556
; %bb.1037:
	v_mul_lo_u32 v0, v8, s13
	s_and_b32 s0, s19, 0xff
	s_delay_alu instid0(SALU_CYCLE_1) | instskip(NEXT) | instid1(VALU_DEP_1)
	s_cmp_lt_i32 s0, 11
	v_ashrrev_i32_e32 v1, 31, v0
	s_delay_alu instid0(VALU_DEP_1)
	v_add_nc_u64_e32 v[0:1], s[6:7], v[0:1]
	s_cbranch_scc1 .LBB126_1044
; %bb.1038:
	s_and_b32 s35, 0xffff, s0
	s_delay_alu instid0(SALU_CYCLE_1)
	s_cmp_gt_i32 s35, 25
	s_cbranch_scc0 .LBB126_1045
; %bb.1039:
	s_cmp_gt_i32 s35, 28
	s_cbranch_scc0 .LBB126_1046
; %bb.1040:
	;; [unrolled: 3-line block ×4, first 2 shown]
	s_cmp_eq_u32 s35, 46
	s_mov_b32 s37, 0
	s_cbranch_scc0 .LBB126_1049
; %bb.1043:
	s_wait_loadcnt 0x0
	global_load_b32 v2, v[0:1], off
	s_mov_b32 s36, -1
	s_mov_b32 s34, 0
	s_wait_loadcnt 0x0
	v_lshlrev_b32_e32 v3, 16, v2
	s_branch .LBB126_1051
.LBB126_1044:
	s_mov_b32 s35, -1
	s_mov_b32 s36, 0
	s_mov_b32 s34, s27
                                        ; implicit-def: $vgpr3
	s_branch .LBB126_1116
.LBB126_1045:
	s_mov_b32 s37, -1
	s_mov_b32 s36, 0
	s_mov_b32 s34, s27
                                        ; implicit-def: $vgpr3
	s_branch .LBB126_1080
.LBB126_1046:
	s_mov_b32 s37, -1
	s_mov_b32 s36, 0
	s_mov_b32 s34, s27
                                        ; implicit-def: $vgpr3
	s_branch .LBB126_1061
.LBB126_1047:
	s_mov_b32 s37, -1
	s_mov_b32 s36, 0
	s_mov_b32 s34, s27
                                        ; implicit-def: $vgpr3
	s_branch .LBB126_1056
.LBB126_1048:
	s_mov_b32 s37, -1
	s_mov_b32 s36, 0
	s_mov_b32 s34, s27
	s_branch .LBB126_1050
.LBB126_1049:
	s_mov_b32 s34, -1
	s_mov_b32 s36, 0
.LBB126_1050:
                                        ; implicit-def: $vgpr3
.LBB126_1051:
	s_and_b32 vcc_lo, exec_lo, s37
	s_cbranch_vccz .LBB126_1055
; %bb.1052:
	s_cmp_eq_u32 s35, 44
	s_cbranch_scc0 .LBB126_1054
; %bb.1053:
	s_wait_loadcnt 0x0
	global_load_u8 v2, v[0:1], off
	s_mov_b32 s34, 0
	s_mov_b32 s36, -1
	s_wait_loadcnt 0x0
	v_lshlrev_b32_e32 v3, 23, v2
	v_cmp_ne_u32_e32 vcc_lo, 0xff, v2
	s_delay_alu instid0(VALU_DEP_2) | instskip(SKIP_1) | instid1(VALU_DEP_2)
	v_cndmask_b32_e32 v3, 0x7f800001, v3, vcc_lo
	v_cmp_ne_u32_e32 vcc_lo, 0, v2
	v_cndmask_b32_e32 v3, 0x400000, v3, vcc_lo
	s_branch .LBB126_1055
.LBB126_1054:
	s_mov_b32 s34, -1
                                        ; implicit-def: $vgpr3
.LBB126_1055:
	s_mov_b32 s37, 0
.LBB126_1056:
	s_delay_alu instid0(SALU_CYCLE_1)
	s_and_b32 vcc_lo, exec_lo, s37
	s_cbranch_vccz .LBB126_1060
; %bb.1057:
	s_cmp_eq_u32 s35, 29
	s_cbranch_scc0 .LBB126_1059
; %bb.1058:
	s_wait_loadcnt 0x0
	global_load_b64 v[2:3], v[0:1], off
	s_mov_b32 s36, -1
	s_mov_b32 s34, 0
	s_mov_b32 s37, 0
	s_wait_loadcnt 0x0
	v_clz_i32_u32_e32 v4, v3
	s_delay_alu instid0(VALU_DEP_1) | instskip(NEXT) | instid1(VALU_DEP_1)
	v_min_u32_e32 v4, 32, v4
	v_lshlrev_b64_e32 v[2:3], v4, v[2:3]
	s_delay_alu instid0(VALU_DEP_1) | instskip(NEXT) | instid1(VALU_DEP_1)
	v_min_u32_e32 v2, 1, v2
	v_dual_sub_nc_u32 v3, 32, v4 :: v_dual_bitop2_b32 v2, v3, v2 bitop3:0x54
	s_delay_alu instid0(VALU_DEP_1) | instskip(NEXT) | instid1(VALU_DEP_1)
	v_cvt_f32_u32_e32 v2, v2
	v_ldexp_f32 v3, v2, v3
	s_branch .LBB126_1061
.LBB126_1059:
	s_mov_b32 s34, -1
                                        ; implicit-def: $vgpr3
.LBB126_1060:
	s_mov_b32 s37, 0
.LBB126_1061:
	s_delay_alu instid0(SALU_CYCLE_1)
	s_and_b32 vcc_lo, exec_lo, s37
	s_cbranch_vccz .LBB126_1079
; %bb.1062:
	s_cmp_lt_i32 s35, 27
	s_cbranch_scc1 .LBB126_1065
; %bb.1063:
	s_cmp_gt_i32 s35, 27
	s_cbranch_scc0 .LBB126_1066
; %bb.1064:
	s_wait_loadcnt 0x0
	global_load_b32 v2, v[0:1], off
	s_mov_b32 s36, 0
	s_wait_loadcnt 0x0
	v_cvt_f32_u32_e32 v3, v2
	s_branch .LBB126_1067
.LBB126_1065:
	s_mov_b32 s36, -1
                                        ; implicit-def: $vgpr3
	s_branch .LBB126_1070
.LBB126_1066:
	s_mov_b32 s36, -1
                                        ; implicit-def: $vgpr3
.LBB126_1067:
	s_delay_alu instid0(SALU_CYCLE_1)
	s_and_not1_b32 vcc_lo, exec_lo, s36
	s_cbranch_vccnz .LBB126_1069
; %bb.1068:
	s_wait_loadcnt 0x0
	global_load_u16 v2, v[0:1], off
	s_wait_loadcnt 0x0
	v_cvt_f32_u32_e32 v3, v2
.LBB126_1069:
	s_mov_b32 s36, 0
.LBB126_1070:
	s_delay_alu instid0(SALU_CYCLE_1)
	s_and_not1_b32 vcc_lo, exec_lo, s36
	s_cbranch_vccnz .LBB126_1078
; %bb.1071:
	s_wait_loadcnt 0x0
	global_load_u8 v2, v[0:1], off
	s_mov_b32 s36, 0
	s_mov_b32 s37, exec_lo
	s_wait_loadcnt 0x0
	v_cmpx_lt_i16_e32 0x7f, v2
	s_xor_b32 s37, exec_lo, s37
	s_cbranch_execz .LBB126_1092
; %bb.1072:
	s_mov_b32 s36, -1
	s_mov_b32 s38, exec_lo
	v_cmpx_eq_u16_e32 0x80, v2
; %bb.1073:
	s_xor_b32 s36, exec_lo, -1
; %bb.1074:
	s_or_b32 exec_lo, exec_lo, s38
	s_delay_alu instid0(SALU_CYCLE_1)
	s_and_b32 s36, s36, exec_lo
	s_or_saveexec_b32 s37, s37
	v_mov_b32_e32 v3, 0x7f800001
	s_xor_b32 exec_lo, exec_lo, s37
	s_cbranch_execnz .LBB126_1093
.LBB126_1075:
	s_or_b32 exec_lo, exec_lo, s37
	s_and_saveexec_b32 s37, s36
	s_cbranch_execz .LBB126_1077
.LBB126_1076:
	v_and_b32_e32 v3, 0xffff, v2
	s_delay_alu instid0(VALU_DEP_1) | instskip(SKIP_1) | instid1(VALU_DEP_2)
	v_and_b32_e32 v4, 7, v3
	v_bfe_u32 v7, v3, 3, 4
	v_clz_i32_u32_e32 v5, v4
	s_delay_alu instid0(VALU_DEP_2) | instskip(NEXT) | instid1(VALU_DEP_2)
	v_cmp_eq_u32_e32 vcc_lo, 0, v7
	v_min_u32_e32 v5, 32, v5
	s_delay_alu instid0(VALU_DEP_1) | instskip(NEXT) | instid1(VALU_DEP_1)
	v_subrev_nc_u32_e32 v6, 28, v5
	v_dual_lshlrev_b32 v3, v6, v3 :: v_dual_sub_nc_u32 v5, 29, v5
	s_delay_alu instid0(VALU_DEP_1) | instskip(NEXT) | instid1(VALU_DEP_1)
	v_dual_lshlrev_b32 v2, 24, v2 :: v_dual_bitop2_b32 v3, 7, v3 bitop3:0x40
	v_dual_cndmask_b32 v5, v7, v5, vcc_lo :: v_dual_cndmask_b32 v3, v4, v3, vcc_lo
	s_delay_alu instid0(VALU_DEP_2) | instskip(NEXT) | instid1(VALU_DEP_2)
	v_and_b32_e32 v2, 0x80000000, v2
	v_lshl_add_u32 v4, v5, 23, 0x3b800000
	s_delay_alu instid0(VALU_DEP_3) | instskip(NEXT) | instid1(VALU_DEP_1)
	v_lshlrev_b32_e32 v3, 20, v3
	v_or3_b32 v3, v2, v4, v3
.LBB126_1077:
	s_or_b32 exec_lo, exec_lo, s37
.LBB126_1078:
	s_mov_b32 s36, -1
.LBB126_1079:
	s_mov_b32 s37, 0
.LBB126_1080:
	s_delay_alu instid0(SALU_CYCLE_1)
	s_and_b32 vcc_lo, exec_lo, s37
	s_cbranch_vccz .LBB126_1115
; %bb.1081:
	s_cmp_gt_i32 s35, 22
	s_cbranch_scc0 .LBB126_1091
; %bb.1082:
	s_cmp_lt_i32 s35, 24
	s_cbranch_scc1 .LBB126_1094
; %bb.1083:
	s_cmp_gt_i32 s35, 24
	s_cbranch_scc0 .LBB126_1095
; %bb.1084:
	s_wait_loadcnt 0x0
	global_load_u8 v2, v[0:1], off
	s_mov_b32 s36, 0
	s_mov_b32 s37, exec_lo
	s_wait_loadcnt 0x0
	v_cmpx_lt_i16_e32 0x7f, v2
	s_xor_b32 s37, exec_lo, s37
	s_cbranch_execz .LBB126_1107
; %bb.1085:
	s_mov_b32 s36, -1
	s_mov_b32 s38, exec_lo
	v_cmpx_eq_u16_e32 0x80, v2
; %bb.1086:
	s_xor_b32 s36, exec_lo, -1
; %bb.1087:
	s_or_b32 exec_lo, exec_lo, s38
	s_delay_alu instid0(SALU_CYCLE_1)
	s_and_b32 s36, s36, exec_lo
	s_or_saveexec_b32 s37, s37
	v_mov_b32_e32 v3, 0x7f800001
	s_xor_b32 exec_lo, exec_lo, s37
	s_cbranch_execnz .LBB126_1108
.LBB126_1088:
	s_or_b32 exec_lo, exec_lo, s37
	s_and_saveexec_b32 s37, s36
	s_cbranch_execz .LBB126_1090
.LBB126_1089:
	v_and_b32_e32 v3, 0xffff, v2
	s_delay_alu instid0(VALU_DEP_1) | instskip(SKIP_1) | instid1(VALU_DEP_2)
	v_and_b32_e32 v4, 3, v3
	v_bfe_u32 v7, v3, 2, 5
	v_clz_i32_u32_e32 v5, v4
	s_delay_alu instid0(VALU_DEP_2) | instskip(NEXT) | instid1(VALU_DEP_2)
	v_cmp_eq_u32_e32 vcc_lo, 0, v7
	v_min_u32_e32 v5, 32, v5
	s_delay_alu instid0(VALU_DEP_1) | instskip(NEXT) | instid1(VALU_DEP_1)
	v_subrev_nc_u32_e32 v6, 29, v5
	v_dual_lshlrev_b32 v3, v6, v3 :: v_dual_sub_nc_u32 v5, 30, v5
	s_delay_alu instid0(VALU_DEP_1) | instskip(NEXT) | instid1(VALU_DEP_1)
	v_dual_lshlrev_b32 v2, 24, v2 :: v_dual_bitop2_b32 v3, 3, v3 bitop3:0x40
	v_dual_cndmask_b32 v5, v7, v5, vcc_lo :: v_dual_cndmask_b32 v3, v4, v3, vcc_lo
	s_delay_alu instid0(VALU_DEP_2) | instskip(NEXT) | instid1(VALU_DEP_2)
	v_and_b32_e32 v2, 0x80000000, v2
	v_lshl_add_u32 v4, v5, 23, 0x37800000
	s_delay_alu instid0(VALU_DEP_3) | instskip(NEXT) | instid1(VALU_DEP_1)
	v_lshlrev_b32_e32 v3, 21, v3
	v_or3_b32 v3, v2, v4, v3
.LBB126_1090:
	s_or_b32 exec_lo, exec_lo, s37
	s_mov_b32 s36, 0
	s_branch .LBB126_1096
.LBB126_1091:
	s_mov_b32 s37, -1
                                        ; implicit-def: $vgpr3
	s_branch .LBB126_1102
.LBB126_1092:
	s_or_saveexec_b32 s37, s37
	v_mov_b32_e32 v3, 0x7f800001
	s_xor_b32 exec_lo, exec_lo, s37
	s_cbranch_execz .LBB126_1075
.LBB126_1093:
	v_cmp_ne_u16_e32 vcc_lo, 0, v2
	v_mov_b32_e32 v3, 0
	s_and_not1_b32 s36, s36, exec_lo
	s_and_b32 s38, vcc_lo, exec_lo
	s_delay_alu instid0(SALU_CYCLE_1)
	s_or_b32 s36, s36, s38
	s_or_b32 exec_lo, exec_lo, s37
	s_and_saveexec_b32 s37, s36
	s_cbranch_execnz .LBB126_1076
	s_branch .LBB126_1077
.LBB126_1094:
	s_mov_b32 s36, -1
                                        ; implicit-def: $vgpr3
	s_branch .LBB126_1099
.LBB126_1095:
	s_mov_b32 s36, -1
                                        ; implicit-def: $vgpr3
.LBB126_1096:
	s_delay_alu instid0(SALU_CYCLE_1)
	s_and_b32 vcc_lo, exec_lo, s36
	s_cbranch_vccz .LBB126_1098
; %bb.1097:
	s_wait_loadcnt 0x0
	global_load_u8 v2, v[0:1], off
	s_wait_loadcnt 0x0
	v_lshlrev_b32_e32 v2, 24, v2
	s_delay_alu instid0(VALU_DEP_1) | instskip(NEXT) | instid1(VALU_DEP_1)
	v_and_b32_e32 v3, 0x7f000000, v2
	v_clz_i32_u32_e32 v4, v3
	v_cmp_ne_u32_e32 vcc_lo, 0, v3
	v_add_nc_u32_e32 v6, 0x1000000, v3
	s_delay_alu instid0(VALU_DEP_3) | instskip(NEXT) | instid1(VALU_DEP_1)
	v_min_u32_e32 v4, 32, v4
	v_sub_nc_u32_e64 v4, v4, 4 clamp
	s_delay_alu instid0(VALU_DEP_1) | instskip(NEXT) | instid1(VALU_DEP_1)
	v_dual_lshlrev_b32 v5, v4, v3 :: v_dual_lshlrev_b32 v4, 23, v4
	v_lshrrev_b32_e32 v5, 4, v5
	s_delay_alu instid0(VALU_DEP_1) | instskip(NEXT) | instid1(VALU_DEP_1)
	v_dual_sub_nc_u32 v4, v5, v4 :: v_dual_ashrrev_i32 v5, 8, v6
	v_add_nc_u32_e32 v4, 0x3c000000, v4
	s_delay_alu instid0(VALU_DEP_1) | instskip(NEXT) | instid1(VALU_DEP_1)
	v_and_or_b32 v4, 0x7f800000, v5, v4
	v_cndmask_b32_e32 v3, 0, v4, vcc_lo
	s_delay_alu instid0(VALU_DEP_1)
	v_and_or_b32 v3, 0x80000000, v2, v3
.LBB126_1098:
	s_mov_b32 s36, 0
.LBB126_1099:
	s_delay_alu instid0(SALU_CYCLE_1)
	s_and_not1_b32 vcc_lo, exec_lo, s36
	s_cbranch_vccnz .LBB126_1101
; %bb.1100:
	s_wait_loadcnt 0x0
	global_load_u8 v2, v[0:1], off
	s_wait_loadcnt 0x0
	v_lshlrev_b32_e32 v3, 25, v2
	v_lshlrev_b16 v2, 8, v2
	s_delay_alu instid0(VALU_DEP_1) | instskip(SKIP_1) | instid1(VALU_DEP_2)
	v_and_or_b32 v5, 0x7f00, v2, 0.5
	v_bfe_i32 v2, v2, 0, 16
	v_dual_add_f32 v5, -0.5, v5 :: v_dual_lshrrev_b32 v4, 4, v3
	v_cmp_gt_u32_e32 vcc_lo, 0x8000000, v3
	s_delay_alu instid0(VALU_DEP_2) | instskip(NEXT) | instid1(VALU_DEP_1)
	v_or_b32_e32 v4, 0x70000000, v4
	v_mul_f32_e32 v4, 0x7800000, v4
	s_delay_alu instid0(VALU_DEP_1) | instskip(NEXT) | instid1(VALU_DEP_1)
	v_cndmask_b32_e32 v3, v4, v5, vcc_lo
	v_and_or_b32 v3, 0x80000000, v2, v3
.LBB126_1101:
	s_mov_b32 s37, 0
	s_mov_b32 s36, -1
.LBB126_1102:
	s_and_not1_b32 vcc_lo, exec_lo, s37
	s_cbranch_vccnz .LBB126_1115
; %bb.1103:
	s_cmp_gt_i32 s35, 14
	s_cbranch_scc0 .LBB126_1106
; %bb.1104:
	s_cmp_eq_u32 s35, 15
	s_cbranch_scc0 .LBB126_1109
; %bb.1105:
	s_wait_loadcnt 0x0
	global_load_u16 v2, v[0:1], off
	s_mov_b32 s36, -1
	s_mov_b32 s34, 0
	s_wait_loadcnt 0x0
	v_lshlrev_b32_e32 v3, 16, v2
	s_branch .LBB126_1110
.LBB126_1106:
	s_mov_b32 s37, -1
                                        ; implicit-def: $vgpr3
	s_branch .LBB126_1111
.LBB126_1107:
	s_or_saveexec_b32 s37, s37
	v_mov_b32_e32 v3, 0x7f800001
	s_xor_b32 exec_lo, exec_lo, s37
	s_cbranch_execz .LBB126_1088
.LBB126_1108:
	v_cmp_ne_u16_e32 vcc_lo, 0, v2
	v_mov_b32_e32 v3, 0
	s_and_not1_b32 s36, s36, exec_lo
	s_and_b32 s38, vcc_lo, exec_lo
	s_delay_alu instid0(SALU_CYCLE_1)
	s_or_b32 s36, s36, s38
	s_or_b32 exec_lo, exec_lo, s37
	s_and_saveexec_b32 s37, s36
	s_cbranch_execnz .LBB126_1089
	s_branch .LBB126_1090
.LBB126_1109:
	s_mov_b32 s34, -1
                                        ; implicit-def: $vgpr3
.LBB126_1110:
	s_mov_b32 s37, 0
.LBB126_1111:
	s_delay_alu instid0(SALU_CYCLE_1)
	s_and_b32 vcc_lo, exec_lo, s37
	s_cbranch_vccz .LBB126_1115
; %bb.1112:
	s_cmp_eq_u32 s35, 11
	s_cbranch_scc0 .LBB126_1114
; %bb.1113:
	s_wait_loadcnt 0x0
	global_load_u8 v2, v[0:1], off
	s_mov_b32 s34, 0
	s_mov_b32 s36, -1
	s_wait_loadcnt 0x0
	v_cmp_ne_u16_e32 vcc_lo, 0, v2
	v_cndmask_b32_e64 v3, 0, 1.0, vcc_lo
	s_branch .LBB126_1115
.LBB126_1114:
	s_mov_b32 s34, -1
                                        ; implicit-def: $vgpr3
.LBB126_1115:
	s_mov_b32 s35, 0
.LBB126_1116:
	s_delay_alu instid0(SALU_CYCLE_1)
	s_and_b32 vcc_lo, exec_lo, s35
	s_cbranch_vccz .LBB126_1165
; %bb.1117:
	s_and_b32 s0, 0xffff, s0
	s_delay_alu instid0(SALU_CYCLE_1)
	s_cmp_lt_i32 s0, 5
	s_cbranch_scc1 .LBB126_1122
; %bb.1118:
	s_cmp_lt_i32 s0, 8
	s_cbranch_scc1 .LBB126_1123
; %bb.1119:
	;; [unrolled: 3-line block ×3, first 2 shown]
	s_cmp_gt_i32 s0, 9
	s_cbranch_scc0 .LBB126_1125
; %bb.1121:
	s_wait_loadcnt 0x0
	global_load_b64 v[2:3], v[0:1], off
	s_mov_b32 s35, 0
	s_wait_loadcnt 0x0
	v_cvt_f32_f64_e32 v3, v[2:3]
	s_branch .LBB126_1126
.LBB126_1122:
	s_mov_b32 s35, -1
                                        ; implicit-def: $vgpr3
	s_branch .LBB126_1144
.LBB126_1123:
	s_mov_b32 s35, -1
                                        ; implicit-def: $vgpr3
	s_branch .LBB126_1132
.LBB126_1124:
	s_mov_b32 s35, -1
                                        ; implicit-def: $vgpr3
	s_branch .LBB126_1129
.LBB126_1125:
	s_mov_b32 s35, -1
                                        ; implicit-def: $vgpr3
.LBB126_1126:
	s_delay_alu instid0(SALU_CYCLE_1)
	s_and_not1_b32 vcc_lo, exec_lo, s35
	s_cbranch_vccnz .LBB126_1128
; %bb.1127:
	s_wait_loadcnt 0x0
	global_load_b32 v3, v[0:1], off
.LBB126_1128:
	s_mov_b32 s35, 0
.LBB126_1129:
	s_delay_alu instid0(SALU_CYCLE_1)
	s_and_not1_b32 vcc_lo, exec_lo, s35
	s_cbranch_vccnz .LBB126_1131
; %bb.1130:
	s_wait_loadcnt 0x0
	global_load_b32 v2, v[0:1], off
	s_wait_loadcnt 0x0
	v_cvt_f32_f16_e32 v3, v2
.LBB126_1131:
	s_mov_b32 s35, 0
.LBB126_1132:
	s_delay_alu instid0(SALU_CYCLE_1)
	s_and_not1_b32 vcc_lo, exec_lo, s35
	s_cbranch_vccnz .LBB126_1143
; %bb.1133:
	s_cmp_lt_i32 s0, 6
	s_cbranch_scc1 .LBB126_1136
; %bb.1134:
	s_cmp_gt_i32 s0, 6
	s_cbranch_scc0 .LBB126_1137
; %bb.1135:
	s_wait_loadcnt 0x0
	global_load_b64 v[2:3], v[0:1], off
	s_mov_b32 s35, 0
	s_wait_loadcnt 0x0
	v_cvt_f32_f64_e32 v3, v[2:3]
	s_branch .LBB126_1138
.LBB126_1136:
	s_mov_b32 s35, -1
                                        ; implicit-def: $vgpr3
	s_branch .LBB126_1141
.LBB126_1137:
	s_mov_b32 s35, -1
                                        ; implicit-def: $vgpr3
.LBB126_1138:
	s_delay_alu instid0(SALU_CYCLE_1)
	s_and_not1_b32 vcc_lo, exec_lo, s35
	s_cbranch_vccnz .LBB126_1140
; %bb.1139:
	s_wait_loadcnt 0x0
	global_load_b32 v3, v[0:1], off
.LBB126_1140:
	s_mov_b32 s35, 0
.LBB126_1141:
	s_delay_alu instid0(SALU_CYCLE_1)
	s_and_not1_b32 vcc_lo, exec_lo, s35
	s_cbranch_vccnz .LBB126_1143
; %bb.1142:
	s_wait_loadcnt 0x0
	global_load_u16 v2, v[0:1], off
	s_wait_loadcnt 0x0
	v_cvt_f32_f16_e32 v3, v2
.LBB126_1143:
	s_mov_b32 s35, 0
.LBB126_1144:
	s_delay_alu instid0(SALU_CYCLE_1)
	s_and_not1_b32 vcc_lo, exec_lo, s35
	s_cbranch_vccnz .LBB126_1164
; %bb.1145:
	s_cmp_lt_i32 s0, 2
	s_cbranch_scc1 .LBB126_1149
; %bb.1146:
	s_cmp_lt_i32 s0, 3
	s_cbranch_scc1 .LBB126_1150
; %bb.1147:
	s_cmp_gt_i32 s0, 3
	s_cbranch_scc0 .LBB126_1151
; %bb.1148:
	s_wait_loadcnt 0x0
	global_load_b64 v[2:3], v[0:1], off
	s_mov_b32 s35, 0
	s_wait_loadcnt 0x0
	v_xor_b32_e32 v4, v2, v3
	v_cls_i32_e32 v5, v3
	s_delay_alu instid0(VALU_DEP_2) | instskip(NEXT) | instid1(VALU_DEP_1)
	v_ashrrev_i32_e32 v4, 31, v4
	v_add_nc_u32_e32 v4, 32, v4
	s_delay_alu instid0(VALU_DEP_1) | instskip(NEXT) | instid1(VALU_DEP_1)
	v_add_min_u32_e64 v4, v5, -1, v4
	v_lshlrev_b64_e32 v[2:3], v4, v[2:3]
	s_delay_alu instid0(VALU_DEP_1) | instskip(NEXT) | instid1(VALU_DEP_1)
	v_min_u32_e32 v2, 1, v2
	v_dual_sub_nc_u32 v3, 32, v4 :: v_dual_bitop2_b32 v2, v3, v2 bitop3:0x54
	s_delay_alu instid0(VALU_DEP_1) | instskip(NEXT) | instid1(VALU_DEP_1)
	v_cvt_f32_i32_e32 v2, v2
	v_ldexp_f32 v3, v2, v3
	s_branch .LBB126_1152
.LBB126_1149:
	s_mov_b32 s35, -1
                                        ; implicit-def: $vgpr3
	s_branch .LBB126_1158
.LBB126_1150:
	s_mov_b32 s35, -1
                                        ; implicit-def: $vgpr3
	s_branch .LBB126_1155
.LBB126_1151:
	s_mov_b32 s35, -1
                                        ; implicit-def: $vgpr3
.LBB126_1152:
	s_delay_alu instid0(SALU_CYCLE_1)
	s_and_not1_b32 vcc_lo, exec_lo, s35
	s_cbranch_vccnz .LBB126_1154
; %bb.1153:
	s_wait_loadcnt 0x0
	global_load_b32 v2, v[0:1], off
	s_wait_loadcnt 0x0
	v_cvt_f32_i32_e32 v3, v2
.LBB126_1154:
	s_mov_b32 s35, 0
.LBB126_1155:
	s_delay_alu instid0(SALU_CYCLE_1)
	s_and_not1_b32 vcc_lo, exec_lo, s35
	s_cbranch_vccnz .LBB126_1157
; %bb.1156:
	s_wait_loadcnt 0x0
	global_load_i16 v2, v[0:1], off
	s_wait_loadcnt 0x0
	v_cvt_f32_i32_e32 v3, v2
.LBB126_1157:
	s_mov_b32 s35, 0
.LBB126_1158:
	s_delay_alu instid0(SALU_CYCLE_1)
	s_and_not1_b32 vcc_lo, exec_lo, s35
	s_cbranch_vccnz .LBB126_1164
; %bb.1159:
	s_cmp_gt_i32 s0, 0
	s_mov_b32 s0, 0
	s_cbranch_scc0 .LBB126_1161
; %bb.1160:
	s_wait_loadcnt 0x0
	global_load_i8 v2, v[0:1], off
	s_wait_loadcnt 0x0
	v_cvt_f32_i32_e32 v3, v2
	s_branch .LBB126_1162
.LBB126_1161:
	s_mov_b32 s0, -1
                                        ; implicit-def: $vgpr3
.LBB126_1162:
	s_delay_alu instid0(SALU_CYCLE_1)
	s_and_not1_b32 vcc_lo, exec_lo, s0
	s_cbranch_vccnz .LBB126_1164
; %bb.1163:
	global_load_u8 v0, v[0:1], off
	s_wait_loadcnt 0x0
	v_cvt_f32_ubyte0_e32 v3, v0
.LBB126_1164:
	s_mov_b32 s36, -1
.LBB126_1165:
	s_delay_alu instid0(SALU_CYCLE_1)
	s_and_not1_b32 vcc_lo, exec_lo, s36
	s_cbranch_vccnz .LBB126_1173
; %bb.1166:
	s_wait_xcnt 0x0
	v_mul_lo_u32 v0, v8, s14
	s_and_b32 s0, s2, 0xff
	s_delay_alu instid0(SALU_CYCLE_1) | instskip(NEXT) | instid1(VALU_DEP_1)
	s_cmp_lt_i32 s0, 11
	v_ashrrev_i32_e32 v1, 31, v0
	s_delay_alu instid0(VALU_DEP_1)
	v_add_nc_u64_e32 v[0:1], s[8:9], v[0:1]
	s_cbranch_scc1 .LBB126_1174
; %bb.1167:
	s_and_b32 s36, 0xffff, s0
	s_delay_alu instid0(SALU_CYCLE_1)
	s_cmp_gt_i32 s36, 25
	s_cbranch_scc0 .LBB126_1175
; %bb.1168:
	s_cmp_gt_i32 s36, 28
	s_cbranch_scc0 .LBB126_1176
; %bb.1169:
	;; [unrolled: 3-line block ×4, first 2 shown]
	s_cmp_eq_u32 s36, 46
	s_mov_b32 s38, 0
	s_cbranch_scc0 .LBB126_1181
; %bb.1172:
	s_wait_loadcnt 0x0
	global_load_b32 v2, v[0:1], off
	s_mov_b32 s37, -1
	s_mov_b32 s35, 0
	s_wait_loadcnt 0x0
	v_lshlrev_b32_e32 v2, 16, v2
	s_branch .LBB126_1183
.LBB126_1173:
	s_mov_b32 s38, 0
	s_mov_b32 s0, s28
	s_mov_b32 s36, s29
	s_mov_b32 s35, s30
	s_branch .LBB126_1554
.LBB126_1174:
	s_mov_b32 s36, -1
	s_mov_b32 s37, 0
	s_mov_b32 s35, s30
                                        ; implicit-def: $vgpr2
	s_branch .LBB126_1248
.LBB126_1175:
	s_mov_b32 s38, -1
	s_mov_b32 s37, 0
	s_mov_b32 s35, s30
                                        ; implicit-def: $vgpr2
	s_branch .LBB126_1212
.LBB126_1176:
	s_mov_b32 s38, -1
	s_mov_b32 s37, 0
	s_mov_b32 s35, s30
                                        ; implicit-def: $vgpr2
	s_branch .LBB126_1193
.LBB126_1177:
	s_mov_b32 s38, -1
	s_mov_b32 s37, 0
	s_mov_b32 s35, s30
                                        ; implicit-def: $vgpr2
	s_branch .LBB126_1188
.LBB126_1178:
	s_mov_b32 s38, -1
	s_mov_b32 s37, 0
	s_mov_b32 s35, s30
	s_branch .LBB126_1182
.LBB126_1179:
	s_and_not1_saveexec_b32 s36, s36
	s_cbranch_execz .LBB126_943
.LBB126_1180:
	v_add_f32_e64 v3, 0x46000000, |v2|
	s_and_not1_b32 s35, s35, exec_lo
	s_delay_alu instid0(VALU_DEP_1) | instskip(NEXT) | instid1(VALU_DEP_1)
	v_and_b32_e32 v3, 0xff, v3
	v_cmp_ne_u32_e32 vcc_lo, 0, v3
	s_and_b32 s37, vcc_lo, exec_lo
	s_delay_alu instid0(SALU_CYCLE_1)
	s_or_b32 s35, s35, s37
	s_or_b32 exec_lo, exec_lo, s36
	v_mov_b32_e32 v4, 0
	s_and_saveexec_b32 s36, s35
	s_cbranch_execnz .LBB126_944
	s_branch .LBB126_945
.LBB126_1181:
	s_mov_b32 s35, -1
	s_mov_b32 s37, 0
.LBB126_1182:
                                        ; implicit-def: $vgpr2
.LBB126_1183:
	s_and_b32 vcc_lo, exec_lo, s38
	s_cbranch_vccz .LBB126_1187
; %bb.1184:
	s_cmp_eq_u32 s36, 44
	s_cbranch_scc0 .LBB126_1186
; %bb.1185:
	s_wait_loadcnt 0x0
	global_load_u8 v2, v[0:1], off
	s_mov_b32 s35, 0
	s_mov_b32 s37, -1
	s_wait_loadcnt 0x0
	v_lshlrev_b32_e32 v4, 23, v2
	v_cmp_ne_u32_e32 vcc_lo, 0xff, v2
	s_delay_alu instid0(VALU_DEP_2) | instskip(SKIP_1) | instid1(VALU_DEP_2)
	v_cndmask_b32_e32 v4, 0x7f800001, v4, vcc_lo
	v_cmp_ne_u32_e32 vcc_lo, 0, v2
	v_cndmask_b32_e32 v2, 0x400000, v4, vcc_lo
	s_branch .LBB126_1187
.LBB126_1186:
	s_mov_b32 s35, -1
                                        ; implicit-def: $vgpr2
.LBB126_1187:
	s_mov_b32 s38, 0
.LBB126_1188:
	s_delay_alu instid0(SALU_CYCLE_1)
	s_and_b32 vcc_lo, exec_lo, s38
	s_cbranch_vccz .LBB126_1192
; %bb.1189:
	s_cmp_eq_u32 s36, 29
	s_cbranch_scc0 .LBB126_1191
; %bb.1190:
	s_wait_loadcnt 0x0
	global_load_b64 v[4:5], v[0:1], off
	s_mov_b32 s37, -1
	s_mov_b32 s35, 0
	s_mov_b32 s38, 0
	s_wait_loadcnt 0x0
	v_clz_i32_u32_e32 v2, v5
	s_delay_alu instid0(VALU_DEP_1) | instskip(NEXT) | instid1(VALU_DEP_1)
	v_min_u32_e32 v2, 32, v2
	v_lshlrev_b64_e32 v[4:5], v2, v[4:5]
	v_sub_nc_u32_e32 v2, 32, v2
	s_delay_alu instid0(VALU_DEP_2) | instskip(NEXT) | instid1(VALU_DEP_1)
	v_min_u32_e32 v4, 1, v4
	v_or_b32_e32 v4, v5, v4
	s_delay_alu instid0(VALU_DEP_1) | instskip(NEXT) | instid1(VALU_DEP_1)
	v_cvt_f32_u32_e32 v4, v4
	v_ldexp_f32 v2, v4, v2
	s_branch .LBB126_1193
.LBB126_1191:
	s_mov_b32 s35, -1
                                        ; implicit-def: $vgpr2
.LBB126_1192:
	s_mov_b32 s38, 0
.LBB126_1193:
	s_delay_alu instid0(SALU_CYCLE_1)
	s_and_b32 vcc_lo, exec_lo, s38
	s_cbranch_vccz .LBB126_1211
; %bb.1194:
	s_cmp_lt_i32 s36, 27
	s_cbranch_scc1 .LBB126_1197
; %bb.1195:
	s_cmp_gt_i32 s36, 27
	s_cbranch_scc0 .LBB126_1198
; %bb.1196:
	s_wait_loadcnt 0x0
	global_load_b32 v2, v[0:1], off
	s_mov_b32 s37, 0
	s_wait_loadcnt 0x0
	v_cvt_f32_u32_e32 v2, v2
	s_branch .LBB126_1199
.LBB126_1197:
	s_mov_b32 s37, -1
                                        ; implicit-def: $vgpr2
	s_branch .LBB126_1202
.LBB126_1198:
	s_mov_b32 s37, -1
                                        ; implicit-def: $vgpr2
.LBB126_1199:
	s_delay_alu instid0(SALU_CYCLE_1)
	s_and_not1_b32 vcc_lo, exec_lo, s37
	s_cbranch_vccnz .LBB126_1201
; %bb.1200:
	s_wait_loadcnt 0x0
	global_load_u16 v2, v[0:1], off
	s_wait_loadcnt 0x0
	v_cvt_f32_u32_e32 v2, v2
.LBB126_1201:
	s_mov_b32 s37, 0
.LBB126_1202:
	s_delay_alu instid0(SALU_CYCLE_1)
	s_and_not1_b32 vcc_lo, exec_lo, s37
	s_cbranch_vccnz .LBB126_1210
; %bb.1203:
	s_wait_loadcnt 0x0
	global_load_u8 v4, v[0:1], off
	s_mov_b32 s37, 0
	s_mov_b32 s38, exec_lo
	s_wait_loadcnt 0x0
	v_cmpx_lt_i16_e32 0x7f, v4
	s_xor_b32 s38, exec_lo, s38
	s_cbranch_execz .LBB126_1224
; %bb.1204:
	s_mov_b32 s37, -1
	s_mov_b32 s39, exec_lo
	v_cmpx_eq_u16_e32 0x80, v4
; %bb.1205:
	s_xor_b32 s37, exec_lo, -1
; %bb.1206:
	s_or_b32 exec_lo, exec_lo, s39
	s_delay_alu instid0(SALU_CYCLE_1)
	s_and_b32 s37, s37, exec_lo
	s_or_saveexec_b32 s38, s38
	v_mov_b32_e32 v2, 0x7f800001
	s_xor_b32 exec_lo, exec_lo, s38
	s_cbranch_execnz .LBB126_1225
.LBB126_1207:
	s_or_b32 exec_lo, exec_lo, s38
	s_and_saveexec_b32 s38, s37
	s_cbranch_execz .LBB126_1209
.LBB126_1208:
	v_and_b32_e32 v2, 0xffff, v4
	s_delay_alu instid0(VALU_DEP_1) | instskip(SKIP_1) | instid1(VALU_DEP_2)
	v_dual_lshlrev_b32 v4, 24, v4 :: v_dual_bitop2_b32 v5, 7, v2 bitop3:0x40
	v_bfe_u32 v9, v2, 3, 4
	v_and_b32_e32 v4, 0x80000000, v4
	s_delay_alu instid0(VALU_DEP_3) | instskip(NEXT) | instid1(VALU_DEP_3)
	v_clz_i32_u32_e32 v6, v5
	v_cmp_eq_u32_e32 vcc_lo, 0, v9
	s_delay_alu instid0(VALU_DEP_2) | instskip(NEXT) | instid1(VALU_DEP_1)
	v_min_u32_e32 v6, 32, v6
	v_subrev_nc_u32_e32 v7, 28, v6
	v_sub_nc_u32_e32 v6, 29, v6
	s_delay_alu instid0(VALU_DEP_2) | instskip(NEXT) | instid1(VALU_DEP_2)
	v_lshlrev_b32_e32 v2, v7, v2
	v_cndmask_b32_e32 v6, v9, v6, vcc_lo
	s_delay_alu instid0(VALU_DEP_2) | instskip(NEXT) | instid1(VALU_DEP_1)
	v_and_b32_e32 v2, 7, v2
	v_cndmask_b32_e32 v2, v5, v2, vcc_lo
	s_delay_alu instid0(VALU_DEP_3) | instskip(NEXT) | instid1(VALU_DEP_2)
	v_lshl_add_u32 v5, v6, 23, 0x3b800000
	v_lshlrev_b32_e32 v2, 20, v2
	s_delay_alu instid0(VALU_DEP_1)
	v_or3_b32 v2, v4, v5, v2
.LBB126_1209:
	s_or_b32 exec_lo, exec_lo, s38
.LBB126_1210:
	s_mov_b32 s37, -1
.LBB126_1211:
	s_mov_b32 s38, 0
.LBB126_1212:
	s_delay_alu instid0(SALU_CYCLE_1)
	s_and_b32 vcc_lo, exec_lo, s38
	s_cbranch_vccz .LBB126_1247
; %bb.1213:
	s_cmp_gt_i32 s36, 22
	s_cbranch_scc0 .LBB126_1223
; %bb.1214:
	s_cmp_lt_i32 s36, 24
	s_cbranch_scc1 .LBB126_1226
; %bb.1215:
	s_cmp_gt_i32 s36, 24
	s_cbranch_scc0 .LBB126_1227
; %bb.1216:
	s_wait_loadcnt 0x0
	global_load_u8 v4, v[0:1], off
	s_mov_b32 s37, 0
	s_mov_b32 s38, exec_lo
	s_wait_loadcnt 0x0
	v_cmpx_lt_i16_e32 0x7f, v4
	s_xor_b32 s38, exec_lo, s38
	s_cbranch_execz .LBB126_1239
; %bb.1217:
	s_mov_b32 s37, -1
	s_mov_b32 s39, exec_lo
	v_cmpx_eq_u16_e32 0x80, v4
; %bb.1218:
	s_xor_b32 s37, exec_lo, -1
; %bb.1219:
	s_or_b32 exec_lo, exec_lo, s39
	s_delay_alu instid0(SALU_CYCLE_1)
	s_and_b32 s37, s37, exec_lo
	s_or_saveexec_b32 s38, s38
	v_mov_b32_e32 v2, 0x7f800001
	s_xor_b32 exec_lo, exec_lo, s38
	s_cbranch_execnz .LBB126_1240
.LBB126_1220:
	s_or_b32 exec_lo, exec_lo, s38
	s_and_saveexec_b32 s38, s37
	s_cbranch_execz .LBB126_1222
.LBB126_1221:
	v_and_b32_e32 v2, 0xffff, v4
	s_delay_alu instid0(VALU_DEP_1) | instskip(SKIP_1) | instid1(VALU_DEP_2)
	v_dual_lshlrev_b32 v4, 24, v4 :: v_dual_bitop2_b32 v5, 3, v2 bitop3:0x40
	v_bfe_u32 v9, v2, 2, 5
	v_and_b32_e32 v4, 0x80000000, v4
	s_delay_alu instid0(VALU_DEP_3) | instskip(NEXT) | instid1(VALU_DEP_3)
	v_clz_i32_u32_e32 v6, v5
	v_cmp_eq_u32_e32 vcc_lo, 0, v9
	s_delay_alu instid0(VALU_DEP_2) | instskip(NEXT) | instid1(VALU_DEP_1)
	v_min_u32_e32 v6, 32, v6
	v_subrev_nc_u32_e32 v7, 29, v6
	v_sub_nc_u32_e32 v6, 30, v6
	s_delay_alu instid0(VALU_DEP_2) | instskip(NEXT) | instid1(VALU_DEP_2)
	v_lshlrev_b32_e32 v2, v7, v2
	v_cndmask_b32_e32 v6, v9, v6, vcc_lo
	s_delay_alu instid0(VALU_DEP_2) | instskip(NEXT) | instid1(VALU_DEP_1)
	v_and_b32_e32 v2, 3, v2
	v_cndmask_b32_e32 v2, v5, v2, vcc_lo
	s_delay_alu instid0(VALU_DEP_3) | instskip(NEXT) | instid1(VALU_DEP_2)
	v_lshl_add_u32 v5, v6, 23, 0x37800000
	v_lshlrev_b32_e32 v2, 21, v2
	s_delay_alu instid0(VALU_DEP_1)
	v_or3_b32 v2, v4, v5, v2
.LBB126_1222:
	s_or_b32 exec_lo, exec_lo, s38
	s_mov_b32 s37, 0
	s_branch .LBB126_1228
.LBB126_1223:
	s_mov_b32 s38, -1
                                        ; implicit-def: $vgpr2
	s_branch .LBB126_1234
.LBB126_1224:
	s_or_saveexec_b32 s38, s38
	v_mov_b32_e32 v2, 0x7f800001
	s_xor_b32 exec_lo, exec_lo, s38
	s_cbranch_execz .LBB126_1207
.LBB126_1225:
	v_cmp_ne_u16_e32 vcc_lo, 0, v4
	v_mov_b32_e32 v2, 0
	s_and_not1_b32 s37, s37, exec_lo
	s_and_b32 s39, vcc_lo, exec_lo
	s_delay_alu instid0(SALU_CYCLE_1)
	s_or_b32 s37, s37, s39
	s_or_b32 exec_lo, exec_lo, s38
	s_and_saveexec_b32 s38, s37
	s_cbranch_execnz .LBB126_1208
	s_branch .LBB126_1209
.LBB126_1226:
	s_mov_b32 s37, -1
                                        ; implicit-def: $vgpr2
	s_branch .LBB126_1231
.LBB126_1227:
	s_mov_b32 s37, -1
                                        ; implicit-def: $vgpr2
.LBB126_1228:
	s_delay_alu instid0(SALU_CYCLE_1)
	s_and_b32 vcc_lo, exec_lo, s37
	s_cbranch_vccz .LBB126_1230
; %bb.1229:
	s_wait_loadcnt 0x0
	global_load_u8 v2, v[0:1], off
	s_wait_loadcnt 0x0
	v_lshlrev_b32_e32 v2, 24, v2
	s_delay_alu instid0(VALU_DEP_1) | instskip(NEXT) | instid1(VALU_DEP_1)
	v_and_b32_e32 v4, 0x7f000000, v2
	v_clz_i32_u32_e32 v5, v4
	v_cmp_ne_u32_e32 vcc_lo, 0, v4
	v_add_nc_u32_e32 v7, 0x1000000, v4
	s_delay_alu instid0(VALU_DEP_3) | instskip(NEXT) | instid1(VALU_DEP_1)
	v_min_u32_e32 v5, 32, v5
	v_sub_nc_u32_e64 v5, v5, 4 clamp
	s_delay_alu instid0(VALU_DEP_1) | instskip(NEXT) | instid1(VALU_DEP_1)
	v_dual_lshlrev_b32 v6, v5, v4 :: v_dual_lshlrev_b32 v5, 23, v5
	v_lshrrev_b32_e32 v6, 4, v6
	s_delay_alu instid0(VALU_DEP_1) | instskip(NEXT) | instid1(VALU_DEP_1)
	v_dual_sub_nc_u32 v5, v6, v5 :: v_dual_ashrrev_i32 v6, 8, v7
	v_add_nc_u32_e32 v5, 0x3c000000, v5
	s_delay_alu instid0(VALU_DEP_1) | instskip(NEXT) | instid1(VALU_DEP_1)
	v_and_or_b32 v5, 0x7f800000, v6, v5
	v_cndmask_b32_e32 v4, 0, v5, vcc_lo
	s_delay_alu instid0(VALU_DEP_1)
	v_and_or_b32 v2, 0x80000000, v2, v4
.LBB126_1230:
	s_mov_b32 s37, 0
.LBB126_1231:
	s_delay_alu instid0(SALU_CYCLE_1)
	s_and_not1_b32 vcc_lo, exec_lo, s37
	s_cbranch_vccnz .LBB126_1233
; %bb.1232:
	s_wait_loadcnt 0x0
	global_load_u8 v2, v[0:1], off
	s_wait_loadcnt 0x0
	v_lshlrev_b32_e32 v4, 25, v2
	v_lshlrev_b16 v2, 8, v2
	s_delay_alu instid0(VALU_DEP_1) | instskip(NEXT) | instid1(VALU_DEP_3)
	v_and_or_b32 v6, 0x7f00, v2, 0.5
	v_lshrrev_b32_e32 v5, 4, v4
	v_bfe_i32 v2, v2, 0, 16
	s_delay_alu instid0(VALU_DEP_3) | instskip(NEXT) | instid1(VALU_DEP_3)
	v_add_f32_e32 v6, -0.5, v6
	v_or_b32_e32 v5, 0x70000000, v5
	s_delay_alu instid0(VALU_DEP_1) | instskip(SKIP_1) | instid1(VALU_DEP_2)
	v_mul_f32_e32 v5, 0x7800000, v5
	v_cmp_gt_u32_e32 vcc_lo, 0x8000000, v4
	v_cndmask_b32_e32 v4, v5, v6, vcc_lo
	s_delay_alu instid0(VALU_DEP_1)
	v_and_or_b32 v2, 0x80000000, v2, v4
.LBB126_1233:
	s_mov_b32 s38, 0
	s_mov_b32 s37, -1
.LBB126_1234:
	s_and_not1_b32 vcc_lo, exec_lo, s38
	s_cbranch_vccnz .LBB126_1247
; %bb.1235:
	s_cmp_gt_i32 s36, 14
	s_cbranch_scc0 .LBB126_1238
; %bb.1236:
	s_cmp_eq_u32 s36, 15
	s_cbranch_scc0 .LBB126_1241
; %bb.1237:
	s_wait_loadcnt 0x0
	global_load_u16 v2, v[0:1], off
	s_mov_b32 s37, -1
	s_mov_b32 s35, 0
	s_wait_loadcnt 0x0
	v_lshlrev_b32_e32 v2, 16, v2
	s_branch .LBB126_1242
.LBB126_1238:
	s_mov_b32 s38, -1
                                        ; implicit-def: $vgpr2
	s_branch .LBB126_1243
.LBB126_1239:
	s_or_saveexec_b32 s38, s38
	v_mov_b32_e32 v2, 0x7f800001
	s_xor_b32 exec_lo, exec_lo, s38
	s_cbranch_execz .LBB126_1220
.LBB126_1240:
	v_cmp_ne_u16_e32 vcc_lo, 0, v4
	v_mov_b32_e32 v2, 0
	s_and_not1_b32 s37, s37, exec_lo
	s_and_b32 s39, vcc_lo, exec_lo
	s_delay_alu instid0(SALU_CYCLE_1)
	s_or_b32 s37, s37, s39
	s_or_b32 exec_lo, exec_lo, s38
	s_and_saveexec_b32 s38, s37
	s_cbranch_execnz .LBB126_1221
	s_branch .LBB126_1222
.LBB126_1241:
	s_mov_b32 s35, -1
                                        ; implicit-def: $vgpr2
.LBB126_1242:
	s_mov_b32 s38, 0
.LBB126_1243:
	s_delay_alu instid0(SALU_CYCLE_1)
	s_and_b32 vcc_lo, exec_lo, s38
	s_cbranch_vccz .LBB126_1247
; %bb.1244:
	s_cmp_eq_u32 s36, 11
	s_cbranch_scc0 .LBB126_1246
; %bb.1245:
	s_wait_loadcnt 0x0
	global_load_u8 v2, v[0:1], off
	s_mov_b32 s35, 0
	s_mov_b32 s37, -1
	s_wait_loadcnt 0x0
	v_cmp_ne_u16_e32 vcc_lo, 0, v2
	v_cndmask_b32_e64 v2, 0, 1.0, vcc_lo
	s_branch .LBB126_1247
.LBB126_1246:
	s_mov_b32 s35, -1
                                        ; implicit-def: $vgpr2
.LBB126_1247:
	s_mov_b32 s36, 0
.LBB126_1248:
	s_delay_alu instid0(SALU_CYCLE_1)
	s_and_b32 vcc_lo, exec_lo, s36
	s_cbranch_vccz .LBB126_1297
; %bb.1249:
	s_and_b32 s0, 0xffff, s0
	s_delay_alu instid0(SALU_CYCLE_1)
	s_cmp_lt_i32 s0, 5
	s_cbranch_scc1 .LBB126_1254
; %bb.1250:
	s_cmp_lt_i32 s0, 8
	s_cbranch_scc1 .LBB126_1255
; %bb.1251:
	;; [unrolled: 3-line block ×3, first 2 shown]
	s_cmp_gt_i32 s0, 9
	s_cbranch_scc0 .LBB126_1257
; %bb.1253:
	s_wait_loadcnt 0x0
	global_load_b64 v[4:5], v[0:1], off
	s_mov_b32 s36, 0
	s_wait_loadcnt 0x0
	v_cvt_f32_f64_e32 v2, v[4:5]
	s_branch .LBB126_1258
.LBB126_1254:
	s_mov_b32 s36, -1
                                        ; implicit-def: $vgpr2
	s_branch .LBB126_1276
.LBB126_1255:
	s_mov_b32 s36, -1
                                        ; implicit-def: $vgpr2
	s_branch .LBB126_1264
.LBB126_1256:
	s_mov_b32 s36, -1
                                        ; implicit-def: $vgpr2
	s_branch .LBB126_1261
.LBB126_1257:
	s_mov_b32 s36, -1
                                        ; implicit-def: $vgpr2
.LBB126_1258:
	s_delay_alu instid0(SALU_CYCLE_1)
	s_and_not1_b32 vcc_lo, exec_lo, s36
	s_cbranch_vccnz .LBB126_1260
; %bb.1259:
	s_wait_loadcnt 0x0
	global_load_b32 v2, v[0:1], off
.LBB126_1260:
	s_mov_b32 s36, 0
.LBB126_1261:
	s_delay_alu instid0(SALU_CYCLE_1)
	s_and_not1_b32 vcc_lo, exec_lo, s36
	s_cbranch_vccnz .LBB126_1263
; %bb.1262:
	s_wait_loadcnt 0x0
	global_load_b32 v2, v[0:1], off
	s_wait_loadcnt 0x0
	v_cvt_f32_f16_e32 v2, v2
.LBB126_1263:
	s_mov_b32 s36, 0
.LBB126_1264:
	s_delay_alu instid0(SALU_CYCLE_1)
	s_and_not1_b32 vcc_lo, exec_lo, s36
	s_cbranch_vccnz .LBB126_1275
; %bb.1265:
	s_cmp_lt_i32 s0, 6
	s_cbranch_scc1 .LBB126_1268
; %bb.1266:
	s_cmp_gt_i32 s0, 6
	s_cbranch_scc0 .LBB126_1269
; %bb.1267:
	s_wait_loadcnt 0x0
	global_load_b64 v[4:5], v[0:1], off
	s_mov_b32 s36, 0
	s_wait_loadcnt 0x0
	v_cvt_f32_f64_e32 v2, v[4:5]
	s_branch .LBB126_1270
.LBB126_1268:
	s_mov_b32 s36, -1
                                        ; implicit-def: $vgpr2
	s_branch .LBB126_1273
.LBB126_1269:
	s_mov_b32 s36, -1
                                        ; implicit-def: $vgpr2
.LBB126_1270:
	s_delay_alu instid0(SALU_CYCLE_1)
	s_and_not1_b32 vcc_lo, exec_lo, s36
	s_cbranch_vccnz .LBB126_1272
; %bb.1271:
	s_wait_loadcnt 0x0
	global_load_b32 v2, v[0:1], off
.LBB126_1272:
	s_mov_b32 s36, 0
.LBB126_1273:
	s_delay_alu instid0(SALU_CYCLE_1)
	s_and_not1_b32 vcc_lo, exec_lo, s36
	s_cbranch_vccnz .LBB126_1275
; %bb.1274:
	s_wait_loadcnt 0x0
	global_load_u16 v2, v[0:1], off
	s_wait_loadcnt 0x0
	v_cvt_f32_f16_e32 v2, v2
.LBB126_1275:
	s_mov_b32 s36, 0
.LBB126_1276:
	s_delay_alu instid0(SALU_CYCLE_1)
	s_and_not1_b32 vcc_lo, exec_lo, s36
	s_cbranch_vccnz .LBB126_1296
; %bb.1277:
	s_cmp_lt_i32 s0, 2
	s_cbranch_scc1 .LBB126_1281
; %bb.1278:
	s_cmp_lt_i32 s0, 3
	s_cbranch_scc1 .LBB126_1282
; %bb.1279:
	s_cmp_gt_i32 s0, 3
	s_cbranch_scc0 .LBB126_1283
; %bb.1280:
	s_wait_loadcnt 0x0
	global_load_b64 v[4:5], v[0:1], off
	s_mov_b32 s36, 0
	s_wait_loadcnt 0x0
	v_xor_b32_e32 v2, v4, v5
	v_cls_i32_e32 v6, v5
	s_delay_alu instid0(VALU_DEP_2) | instskip(NEXT) | instid1(VALU_DEP_1)
	v_ashrrev_i32_e32 v2, 31, v2
	v_add_nc_u32_e32 v2, 32, v2
	s_delay_alu instid0(VALU_DEP_1) | instskip(NEXT) | instid1(VALU_DEP_1)
	v_add_min_u32_e64 v2, v6, -1, v2
	v_lshlrev_b64_e32 v[4:5], v2, v[4:5]
	v_sub_nc_u32_e32 v2, 32, v2
	s_delay_alu instid0(VALU_DEP_2) | instskip(NEXT) | instid1(VALU_DEP_1)
	v_min_u32_e32 v4, 1, v4
	v_or_b32_e32 v4, v5, v4
	s_delay_alu instid0(VALU_DEP_1) | instskip(NEXT) | instid1(VALU_DEP_1)
	v_cvt_f32_i32_e32 v4, v4
	v_ldexp_f32 v2, v4, v2
	s_branch .LBB126_1284
.LBB126_1281:
	s_mov_b32 s36, -1
                                        ; implicit-def: $vgpr2
	s_branch .LBB126_1290
.LBB126_1282:
	s_mov_b32 s36, -1
                                        ; implicit-def: $vgpr2
	s_branch .LBB126_1287
.LBB126_1283:
	s_mov_b32 s36, -1
                                        ; implicit-def: $vgpr2
.LBB126_1284:
	s_delay_alu instid0(SALU_CYCLE_1)
	s_and_not1_b32 vcc_lo, exec_lo, s36
	s_cbranch_vccnz .LBB126_1286
; %bb.1285:
	s_wait_loadcnt 0x0
	global_load_b32 v2, v[0:1], off
	s_wait_loadcnt 0x0
	v_cvt_f32_i32_e32 v2, v2
.LBB126_1286:
	s_mov_b32 s36, 0
.LBB126_1287:
	s_delay_alu instid0(SALU_CYCLE_1)
	s_and_not1_b32 vcc_lo, exec_lo, s36
	s_cbranch_vccnz .LBB126_1289
; %bb.1288:
	s_wait_loadcnt 0x0
	global_load_i16 v2, v[0:1], off
	s_wait_loadcnt 0x0
	v_cvt_f32_i32_e32 v2, v2
.LBB126_1289:
	s_mov_b32 s36, 0
.LBB126_1290:
	s_delay_alu instid0(SALU_CYCLE_1)
	s_and_not1_b32 vcc_lo, exec_lo, s36
	s_cbranch_vccnz .LBB126_1296
; %bb.1291:
	s_cmp_gt_i32 s0, 0
	s_mov_b32 s0, 0
	s_cbranch_scc0 .LBB126_1293
; %bb.1292:
	s_wait_loadcnt 0x0
	global_load_i8 v2, v[0:1], off
	s_wait_loadcnt 0x0
	v_cvt_f32_i32_e32 v2, v2
	s_branch .LBB126_1294
.LBB126_1293:
	s_mov_b32 s0, -1
                                        ; implicit-def: $vgpr2
.LBB126_1294:
	s_delay_alu instid0(SALU_CYCLE_1)
	s_and_not1_b32 vcc_lo, exec_lo, s0
	s_cbranch_vccnz .LBB126_1296
; %bb.1295:
	global_load_u8 v0, v[0:1], off
	s_wait_loadcnt 0x0
	v_cvt_f32_ubyte0_e32 v2, v0
.LBB126_1296:
	s_mov_b32 s37, -1
.LBB126_1297:
	s_delay_alu instid0(SALU_CYCLE_1)
	s_and_not1_b32 vcc_lo, exec_lo, s37
	s_cbranch_vccnz .LBB126_1305
; %bb.1298:
	s_wait_xcnt 0x0
	v_mul_lo_u32 v0, v8, s15
	s_and_b32 s0, 0xffff, s1
	s_delay_alu instid0(SALU_CYCLE_1) | instskip(NEXT) | instid1(VALU_DEP_1)
	s_cmp_lt_i32 s0, 11
	v_ashrrev_i32_e32 v1, 31, v0
	s_delay_alu instid0(VALU_DEP_1)
	v_add_nc_u64_e32 v[0:1], s[10:11], v[0:1]
	s_cbranch_scc1 .LBB126_1306
; %bb.1299:
	s_cmp_gt_i32 s0, 25
	s_cbranch_scc0 .LBB126_1307
; %bb.1300:
	s_cmp_gt_i32 s0, 28
	s_cbranch_scc0 .LBB126_1308
; %bb.1301:
	s_cmp_gt_i32 s0, 43
	s_cbranch_scc0 .LBB126_1309
; %bb.1302:
	s_cmp_gt_i32 s0, 45
	s_cbranch_scc0 .LBB126_1310
; %bb.1303:
	s_cmp_eq_u32 s0, 46
	s_mov_b32 s38, 0
	s_cbranch_scc0 .LBB126_1313
; %bb.1304:
	s_wait_loadcnt 0x0
	global_load_b32 v4, v[0:1], off
	s_mov_b32 s37, -1
	s_mov_b32 s36, 0
	s_wait_loadcnt 0x0
	v_lshlrev_b32_e32 v4, 16, v4
	s_branch .LBB126_1315
.LBB126_1305:
	s_mov_b32 s38, 0
	s_mov_b32 s0, s28
	;; [unrolled: 1-line block ×3, first 2 shown]
	s_branch .LBB126_1554
.LBB126_1306:
	s_mov_b32 s38, -1
	s_mov_b32 s37, 0
	s_mov_b32 s36, s29
                                        ; implicit-def: $vgpr4
	s_branch .LBB126_1380
.LBB126_1307:
	s_mov_b32 s38, -1
	s_mov_b32 s37, 0
	s_mov_b32 s36, s29
                                        ; implicit-def: $vgpr4
	s_branch .LBB126_1344
.LBB126_1308:
	s_mov_b32 s38, -1
	s_mov_b32 s37, 0
	s_mov_b32 s36, s29
                                        ; implicit-def: $vgpr4
	s_branch .LBB126_1325
.LBB126_1309:
	s_mov_b32 s38, -1
	s_mov_b32 s37, 0
	s_mov_b32 s36, s29
                                        ; implicit-def: $vgpr4
	s_branch .LBB126_1320
.LBB126_1310:
	s_mov_b32 s38, -1
	s_mov_b32 s37, 0
	s_mov_b32 s36, s29
	s_branch .LBB126_1314
.LBB126_1311:
	s_and_not1_saveexec_b32 s36, s36
	s_cbranch_execz .LBB126_956
.LBB126_1312:
	v_add_f32_e64 v3, 0x42800000, |v2|
	s_and_not1_b32 s35, s35, exec_lo
	s_delay_alu instid0(VALU_DEP_1) | instskip(NEXT) | instid1(VALU_DEP_1)
	v_and_b32_e32 v3, 0xff, v3
	v_cmp_ne_u32_e32 vcc_lo, 0, v3
	s_and_b32 s37, vcc_lo, exec_lo
	s_delay_alu instid0(SALU_CYCLE_1)
	s_or_b32 s35, s35, s37
	s_or_b32 exec_lo, exec_lo, s36
	v_mov_b32_e32 v4, 0
	s_and_saveexec_b32 s36, s35
	s_cbranch_execnz .LBB126_957
	s_branch .LBB126_958
.LBB126_1313:
	s_mov_b32 s36, -1
	s_mov_b32 s37, 0
.LBB126_1314:
                                        ; implicit-def: $vgpr4
.LBB126_1315:
	s_and_b32 vcc_lo, exec_lo, s38
	s_cbranch_vccz .LBB126_1319
; %bb.1316:
	s_cmp_eq_u32 s0, 44
	s_cbranch_scc0 .LBB126_1318
; %bb.1317:
	s_wait_loadcnt 0x0
	global_load_u8 v4, v[0:1], off
	s_mov_b32 s36, 0
	s_mov_b32 s37, -1
	s_wait_loadcnt 0x0
	v_lshlrev_b32_e32 v5, 23, v4
	v_cmp_ne_u32_e32 vcc_lo, 0xff, v4
	s_delay_alu instid0(VALU_DEP_2) | instskip(SKIP_1) | instid1(VALU_DEP_2)
	v_cndmask_b32_e32 v5, 0x7f800001, v5, vcc_lo
	v_cmp_ne_u32_e32 vcc_lo, 0, v4
	v_cndmask_b32_e32 v4, 0x400000, v5, vcc_lo
	s_branch .LBB126_1319
.LBB126_1318:
	s_mov_b32 s36, -1
                                        ; implicit-def: $vgpr4
.LBB126_1319:
	s_mov_b32 s38, 0
.LBB126_1320:
	s_delay_alu instid0(SALU_CYCLE_1)
	s_and_b32 vcc_lo, exec_lo, s38
	s_cbranch_vccz .LBB126_1324
; %bb.1321:
	s_cmp_eq_u32 s0, 29
	s_cbranch_scc0 .LBB126_1323
; %bb.1322:
	s_wait_loadcnt 0x0
	global_load_b64 v[4:5], v[0:1], off
	s_mov_b32 s37, -1
	s_mov_b32 s36, 0
	s_mov_b32 s38, 0
	s_wait_loadcnt 0x0
	v_clz_i32_u32_e32 v6, v5
	s_delay_alu instid0(VALU_DEP_1) | instskip(NEXT) | instid1(VALU_DEP_1)
	v_min_u32_e32 v6, 32, v6
	v_lshlrev_b64_e32 v[4:5], v6, v[4:5]
	s_delay_alu instid0(VALU_DEP_1) | instskip(NEXT) | instid1(VALU_DEP_1)
	v_min_u32_e32 v4, 1, v4
	v_dual_sub_nc_u32 v5, 32, v6 :: v_dual_bitop2_b32 v4, v5, v4 bitop3:0x54
	s_delay_alu instid0(VALU_DEP_1) | instskip(NEXT) | instid1(VALU_DEP_1)
	v_cvt_f32_u32_e32 v4, v4
	v_ldexp_f32 v4, v4, v5
	s_branch .LBB126_1325
.LBB126_1323:
	s_mov_b32 s36, -1
                                        ; implicit-def: $vgpr4
.LBB126_1324:
	s_mov_b32 s38, 0
.LBB126_1325:
	s_delay_alu instid0(SALU_CYCLE_1)
	s_and_b32 vcc_lo, exec_lo, s38
	s_cbranch_vccz .LBB126_1343
; %bb.1326:
	s_cmp_lt_i32 s0, 27
	s_cbranch_scc1 .LBB126_1329
; %bb.1327:
	s_cmp_gt_i32 s0, 27
	s_cbranch_scc0 .LBB126_1330
; %bb.1328:
	s_wait_loadcnt 0x0
	global_load_b32 v4, v[0:1], off
	s_mov_b32 s37, 0
	s_wait_loadcnt 0x0
	v_cvt_f32_u32_e32 v4, v4
	s_branch .LBB126_1331
.LBB126_1329:
	s_mov_b32 s37, -1
                                        ; implicit-def: $vgpr4
	s_branch .LBB126_1334
.LBB126_1330:
	s_mov_b32 s37, -1
                                        ; implicit-def: $vgpr4
.LBB126_1331:
	s_delay_alu instid0(SALU_CYCLE_1)
	s_and_not1_b32 vcc_lo, exec_lo, s37
	s_cbranch_vccnz .LBB126_1333
; %bb.1332:
	s_wait_loadcnt 0x0
	global_load_u16 v4, v[0:1], off
	s_wait_loadcnt 0x0
	v_cvt_f32_u32_e32 v4, v4
.LBB126_1333:
	s_mov_b32 s37, 0
.LBB126_1334:
	s_delay_alu instid0(SALU_CYCLE_1)
	s_and_not1_b32 vcc_lo, exec_lo, s37
	s_cbranch_vccnz .LBB126_1342
; %bb.1335:
	global_load_u8 v5, v[0:1], off
	s_mov_b32 s37, 0
	s_mov_b32 s38, exec_lo
	s_wait_loadcnt 0x0
	v_cmpx_lt_i16_e32 0x7f, v5
	s_xor_b32 s38, exec_lo, s38
	s_cbranch_execz .LBB126_1356
; %bb.1336:
	s_mov_b32 s37, -1
	s_mov_b32 s39, exec_lo
	v_cmpx_eq_u16_e32 0x80, v5
; %bb.1337:
	s_xor_b32 s37, exec_lo, -1
; %bb.1338:
	s_or_b32 exec_lo, exec_lo, s39
	s_delay_alu instid0(SALU_CYCLE_1)
	s_and_b32 s37, s37, exec_lo
	s_or_saveexec_b32 s38, s38
	v_mov_b32_e32 v4, 0x7f800001
	s_xor_b32 exec_lo, exec_lo, s38
	s_cbranch_execnz .LBB126_1357
.LBB126_1339:
	s_or_b32 exec_lo, exec_lo, s38
	s_and_saveexec_b32 s38, s37
	s_cbranch_execz .LBB126_1341
.LBB126_1340:
	v_and_b32_e32 v4, 0xffff, v5
	s_delay_alu instid0(VALU_DEP_1) | instskip(SKIP_1) | instid1(VALU_DEP_2)
	v_and_b32_e32 v6, 7, v4
	v_bfe_u32 v10, v4, 3, 4
	v_clz_i32_u32_e32 v7, v6
	s_delay_alu instid0(VALU_DEP_2) | instskip(NEXT) | instid1(VALU_DEP_2)
	v_cmp_eq_u32_e32 vcc_lo, 0, v10
	v_min_u32_e32 v7, 32, v7
	s_delay_alu instid0(VALU_DEP_1) | instskip(NEXT) | instid1(VALU_DEP_1)
	v_subrev_nc_u32_e32 v9, 28, v7
	v_dual_lshlrev_b32 v4, v9, v4 :: v_dual_sub_nc_u32 v7, 29, v7
	s_delay_alu instid0(VALU_DEP_1) | instskip(NEXT) | instid1(VALU_DEP_2)
	v_dual_lshlrev_b32 v5, 24, v5 :: v_dual_bitop2_b32 v4, 7, v4 bitop3:0x40
	v_cndmask_b32_e32 v7, v10, v7, vcc_lo
	s_delay_alu instid0(VALU_DEP_2) | instskip(NEXT) | instid1(VALU_DEP_3)
	v_cndmask_b32_e32 v4, v6, v4, vcc_lo
	v_and_b32_e32 v5, 0x80000000, v5
	s_delay_alu instid0(VALU_DEP_3) | instskip(NEXT) | instid1(VALU_DEP_3)
	v_lshl_add_u32 v6, v7, 23, 0x3b800000
	v_lshlrev_b32_e32 v4, 20, v4
	s_delay_alu instid0(VALU_DEP_1)
	v_or3_b32 v4, v5, v6, v4
.LBB126_1341:
	s_or_b32 exec_lo, exec_lo, s38
.LBB126_1342:
	s_mov_b32 s37, -1
.LBB126_1343:
	s_mov_b32 s38, 0
.LBB126_1344:
	s_delay_alu instid0(SALU_CYCLE_1)
	s_and_b32 vcc_lo, exec_lo, s38
	s_cbranch_vccz .LBB126_1379
; %bb.1345:
	s_cmp_gt_i32 s0, 22
	s_cbranch_scc0 .LBB126_1355
; %bb.1346:
	s_cmp_lt_i32 s0, 24
	s_cbranch_scc1 .LBB126_1358
; %bb.1347:
	s_cmp_gt_i32 s0, 24
	s_cbranch_scc0 .LBB126_1359
; %bb.1348:
	global_load_u8 v5, v[0:1], off
	s_mov_b32 s37, 0
	s_mov_b32 s38, exec_lo
	s_wait_loadcnt 0x0
	v_cmpx_lt_i16_e32 0x7f, v5
	s_xor_b32 s38, exec_lo, s38
	s_cbranch_execz .LBB126_1371
; %bb.1349:
	s_mov_b32 s37, -1
	s_mov_b32 s39, exec_lo
	v_cmpx_eq_u16_e32 0x80, v5
; %bb.1350:
	s_xor_b32 s37, exec_lo, -1
; %bb.1351:
	s_or_b32 exec_lo, exec_lo, s39
	s_delay_alu instid0(SALU_CYCLE_1)
	s_and_b32 s37, s37, exec_lo
	s_or_saveexec_b32 s38, s38
	v_mov_b32_e32 v4, 0x7f800001
	s_xor_b32 exec_lo, exec_lo, s38
	s_cbranch_execnz .LBB126_1372
.LBB126_1352:
	s_or_b32 exec_lo, exec_lo, s38
	s_and_saveexec_b32 s38, s37
	s_cbranch_execz .LBB126_1354
.LBB126_1353:
	v_and_b32_e32 v4, 0xffff, v5
	s_delay_alu instid0(VALU_DEP_1) | instskip(SKIP_1) | instid1(VALU_DEP_2)
	v_and_b32_e32 v6, 3, v4
	v_bfe_u32 v10, v4, 2, 5
	v_clz_i32_u32_e32 v7, v6
	s_delay_alu instid0(VALU_DEP_2) | instskip(NEXT) | instid1(VALU_DEP_2)
	v_cmp_eq_u32_e32 vcc_lo, 0, v10
	v_min_u32_e32 v7, 32, v7
	s_delay_alu instid0(VALU_DEP_1) | instskip(NEXT) | instid1(VALU_DEP_1)
	v_subrev_nc_u32_e32 v9, 29, v7
	v_dual_lshlrev_b32 v4, v9, v4 :: v_dual_sub_nc_u32 v7, 30, v7
	s_delay_alu instid0(VALU_DEP_1) | instskip(NEXT) | instid1(VALU_DEP_2)
	v_dual_lshlrev_b32 v5, 24, v5 :: v_dual_bitop2_b32 v4, 3, v4 bitop3:0x40
	v_cndmask_b32_e32 v7, v10, v7, vcc_lo
	s_delay_alu instid0(VALU_DEP_2) | instskip(NEXT) | instid1(VALU_DEP_3)
	v_cndmask_b32_e32 v4, v6, v4, vcc_lo
	v_and_b32_e32 v5, 0x80000000, v5
	s_delay_alu instid0(VALU_DEP_3) | instskip(NEXT) | instid1(VALU_DEP_3)
	v_lshl_add_u32 v6, v7, 23, 0x37800000
	v_lshlrev_b32_e32 v4, 21, v4
	s_delay_alu instid0(VALU_DEP_1)
	v_or3_b32 v4, v5, v6, v4
.LBB126_1354:
	s_or_b32 exec_lo, exec_lo, s38
	s_mov_b32 s37, 0
	s_branch .LBB126_1360
.LBB126_1355:
	s_mov_b32 s38, -1
                                        ; implicit-def: $vgpr4
	s_branch .LBB126_1366
.LBB126_1356:
	s_or_saveexec_b32 s38, s38
	v_mov_b32_e32 v4, 0x7f800001
	s_xor_b32 exec_lo, exec_lo, s38
	s_cbranch_execz .LBB126_1339
.LBB126_1357:
	v_cmp_ne_u16_e32 vcc_lo, 0, v5
	v_mov_b32_e32 v4, 0
	s_and_not1_b32 s37, s37, exec_lo
	s_and_b32 s39, vcc_lo, exec_lo
	s_delay_alu instid0(SALU_CYCLE_1)
	s_or_b32 s37, s37, s39
	s_or_b32 exec_lo, exec_lo, s38
	s_and_saveexec_b32 s38, s37
	s_cbranch_execnz .LBB126_1340
	s_branch .LBB126_1341
.LBB126_1358:
	s_mov_b32 s37, -1
                                        ; implicit-def: $vgpr4
	s_branch .LBB126_1363
.LBB126_1359:
	s_mov_b32 s37, -1
                                        ; implicit-def: $vgpr4
.LBB126_1360:
	s_delay_alu instid0(SALU_CYCLE_1)
	s_and_b32 vcc_lo, exec_lo, s37
	s_cbranch_vccz .LBB126_1362
; %bb.1361:
	s_wait_loadcnt 0x0
	global_load_u8 v4, v[0:1], off
	s_wait_loadcnt 0x0
	v_lshlrev_b32_e32 v4, 24, v4
	s_delay_alu instid0(VALU_DEP_1) | instskip(NEXT) | instid1(VALU_DEP_1)
	v_and_b32_e32 v5, 0x7f000000, v4
	v_clz_i32_u32_e32 v6, v5
	v_add_nc_u32_e32 v9, 0x1000000, v5
	v_cmp_ne_u32_e32 vcc_lo, 0, v5
	s_delay_alu instid0(VALU_DEP_3) | instskip(NEXT) | instid1(VALU_DEP_1)
	v_min_u32_e32 v6, 32, v6
	v_sub_nc_u32_e64 v6, v6, 4 clamp
	s_delay_alu instid0(VALU_DEP_1) | instskip(NEXT) | instid1(VALU_DEP_1)
	v_dual_lshlrev_b32 v7, v6, v5 :: v_dual_lshlrev_b32 v6, 23, v6
	v_lshrrev_b32_e32 v7, 4, v7
	s_delay_alu instid0(VALU_DEP_1) | instskip(NEXT) | instid1(VALU_DEP_1)
	v_dual_sub_nc_u32 v6, v7, v6 :: v_dual_ashrrev_i32 v7, 8, v9
	v_add_nc_u32_e32 v6, 0x3c000000, v6
	s_delay_alu instid0(VALU_DEP_1) | instskip(NEXT) | instid1(VALU_DEP_1)
	v_and_or_b32 v6, 0x7f800000, v7, v6
	v_cndmask_b32_e32 v5, 0, v6, vcc_lo
	s_delay_alu instid0(VALU_DEP_1)
	v_and_or_b32 v4, 0x80000000, v4, v5
.LBB126_1362:
	s_mov_b32 s37, 0
.LBB126_1363:
	s_delay_alu instid0(SALU_CYCLE_1)
	s_and_not1_b32 vcc_lo, exec_lo, s37
	s_cbranch_vccnz .LBB126_1365
; %bb.1364:
	s_wait_loadcnt 0x0
	global_load_u8 v4, v[0:1], off
	s_wait_loadcnt 0x0
	v_lshlrev_b32_e32 v5, 25, v4
	v_lshlrev_b16 v4, 8, v4
	s_delay_alu instid0(VALU_DEP_1) | instskip(SKIP_1) | instid1(VALU_DEP_2)
	v_and_or_b32 v7, 0x7f00, v4, 0.5
	v_bfe_i32 v4, v4, 0, 16
	v_dual_add_f32 v7, -0.5, v7 :: v_dual_lshrrev_b32 v6, 4, v5
	v_cmp_gt_u32_e32 vcc_lo, 0x8000000, v5
	s_delay_alu instid0(VALU_DEP_2) | instskip(NEXT) | instid1(VALU_DEP_1)
	v_or_b32_e32 v6, 0x70000000, v6
	v_mul_f32_e32 v6, 0x7800000, v6
	s_delay_alu instid0(VALU_DEP_1) | instskip(NEXT) | instid1(VALU_DEP_1)
	v_cndmask_b32_e32 v5, v6, v7, vcc_lo
	v_and_or_b32 v4, 0x80000000, v4, v5
.LBB126_1365:
	s_mov_b32 s38, 0
	s_mov_b32 s37, -1
.LBB126_1366:
	s_and_not1_b32 vcc_lo, exec_lo, s38
	s_cbranch_vccnz .LBB126_1379
; %bb.1367:
	s_cmp_gt_i32 s0, 14
	s_cbranch_scc0 .LBB126_1370
; %bb.1368:
	s_cmp_eq_u32 s0, 15
	s_cbranch_scc0 .LBB126_1373
; %bb.1369:
	s_wait_loadcnt 0x0
	global_load_u16 v4, v[0:1], off
	s_mov_b32 s37, -1
	s_mov_b32 s36, 0
	s_wait_loadcnt 0x0
	v_lshlrev_b32_e32 v4, 16, v4
	s_branch .LBB126_1374
.LBB126_1370:
	s_mov_b32 s38, -1
                                        ; implicit-def: $vgpr4
	s_branch .LBB126_1375
.LBB126_1371:
	s_or_saveexec_b32 s38, s38
	v_mov_b32_e32 v4, 0x7f800001
	s_xor_b32 exec_lo, exec_lo, s38
	s_cbranch_execz .LBB126_1352
.LBB126_1372:
	v_cmp_ne_u16_e32 vcc_lo, 0, v5
	v_mov_b32_e32 v4, 0
	s_and_not1_b32 s37, s37, exec_lo
	s_and_b32 s39, vcc_lo, exec_lo
	s_delay_alu instid0(SALU_CYCLE_1)
	s_or_b32 s37, s37, s39
	s_or_b32 exec_lo, exec_lo, s38
	s_and_saveexec_b32 s38, s37
	s_cbranch_execnz .LBB126_1353
	s_branch .LBB126_1354
.LBB126_1373:
	s_mov_b32 s36, -1
                                        ; implicit-def: $vgpr4
.LBB126_1374:
	s_mov_b32 s38, 0
.LBB126_1375:
	s_delay_alu instid0(SALU_CYCLE_1)
	s_and_b32 vcc_lo, exec_lo, s38
	s_cbranch_vccz .LBB126_1379
; %bb.1376:
	s_cmp_eq_u32 s0, 11
	s_cbranch_scc0 .LBB126_1378
; %bb.1377:
	s_wait_loadcnt 0x0
	global_load_u8 v4, v[0:1], off
	s_mov_b32 s36, 0
	s_mov_b32 s37, -1
	s_wait_loadcnt 0x0
	v_cmp_ne_u16_e32 vcc_lo, 0, v4
	v_cndmask_b32_e64 v4, 0, 1.0, vcc_lo
	s_branch .LBB126_1379
.LBB126_1378:
	s_mov_b32 s36, -1
                                        ; implicit-def: $vgpr4
.LBB126_1379:
	s_mov_b32 s38, 0
.LBB126_1380:
	s_delay_alu instid0(SALU_CYCLE_1)
	s_and_b32 vcc_lo, exec_lo, s38
	s_cbranch_vccz .LBB126_1429
; %bb.1381:
	s_cmp_lt_i32 s0, 5
	s_cbranch_scc1 .LBB126_1386
; %bb.1382:
	s_cmp_lt_i32 s0, 8
	s_cbranch_scc1 .LBB126_1387
	;; [unrolled: 3-line block ×3, first 2 shown]
; %bb.1384:
	s_cmp_gt_i32 s0, 9
	s_cbranch_scc0 .LBB126_1389
; %bb.1385:
	s_wait_loadcnt 0x0
	global_load_b64 v[4:5], v[0:1], off
	s_mov_b32 s37, 0
	s_wait_loadcnt 0x0
	v_cvt_f32_f64_e32 v4, v[4:5]
	s_branch .LBB126_1390
.LBB126_1386:
	s_mov_b32 s37, -1
                                        ; implicit-def: $vgpr4
	s_branch .LBB126_1408
.LBB126_1387:
	s_mov_b32 s37, -1
                                        ; implicit-def: $vgpr4
	s_branch .LBB126_1396
.LBB126_1388:
	s_mov_b32 s37, -1
                                        ; implicit-def: $vgpr4
	s_branch .LBB126_1393
.LBB126_1389:
	s_mov_b32 s37, -1
                                        ; implicit-def: $vgpr4
.LBB126_1390:
	s_delay_alu instid0(SALU_CYCLE_1)
	s_and_not1_b32 vcc_lo, exec_lo, s37
	s_cbranch_vccnz .LBB126_1392
; %bb.1391:
	s_wait_loadcnt 0x0
	global_load_b32 v4, v[0:1], off
.LBB126_1392:
	s_mov_b32 s37, 0
.LBB126_1393:
	s_delay_alu instid0(SALU_CYCLE_1)
	s_and_not1_b32 vcc_lo, exec_lo, s37
	s_cbranch_vccnz .LBB126_1395
; %bb.1394:
	s_wait_loadcnt 0x0
	global_load_b32 v4, v[0:1], off
	s_wait_loadcnt 0x0
	v_cvt_f32_f16_e32 v4, v4
.LBB126_1395:
	s_mov_b32 s37, 0
.LBB126_1396:
	s_delay_alu instid0(SALU_CYCLE_1)
	s_and_not1_b32 vcc_lo, exec_lo, s37
	s_cbranch_vccnz .LBB126_1407
; %bb.1397:
	s_cmp_lt_i32 s0, 6
	s_cbranch_scc1 .LBB126_1400
; %bb.1398:
	s_cmp_gt_i32 s0, 6
	s_cbranch_scc0 .LBB126_1401
; %bb.1399:
	s_wait_loadcnt 0x0
	global_load_b64 v[4:5], v[0:1], off
	s_mov_b32 s37, 0
	s_wait_loadcnt 0x0
	v_cvt_f32_f64_e32 v4, v[4:5]
	s_branch .LBB126_1402
.LBB126_1400:
	s_mov_b32 s37, -1
                                        ; implicit-def: $vgpr4
	s_branch .LBB126_1405
.LBB126_1401:
	s_mov_b32 s37, -1
                                        ; implicit-def: $vgpr4
.LBB126_1402:
	s_delay_alu instid0(SALU_CYCLE_1)
	s_and_not1_b32 vcc_lo, exec_lo, s37
	s_cbranch_vccnz .LBB126_1404
; %bb.1403:
	s_wait_loadcnt 0x0
	global_load_b32 v4, v[0:1], off
.LBB126_1404:
	s_mov_b32 s37, 0
.LBB126_1405:
	s_delay_alu instid0(SALU_CYCLE_1)
	s_and_not1_b32 vcc_lo, exec_lo, s37
	s_cbranch_vccnz .LBB126_1407
; %bb.1406:
	s_wait_loadcnt 0x0
	global_load_u16 v4, v[0:1], off
	s_wait_loadcnt 0x0
	v_cvt_f32_f16_e32 v4, v4
.LBB126_1407:
	s_mov_b32 s37, 0
.LBB126_1408:
	s_delay_alu instid0(SALU_CYCLE_1)
	s_and_not1_b32 vcc_lo, exec_lo, s37
	s_cbranch_vccnz .LBB126_1428
; %bb.1409:
	s_cmp_lt_i32 s0, 2
	s_cbranch_scc1 .LBB126_1413
; %bb.1410:
	s_cmp_lt_i32 s0, 3
	s_cbranch_scc1 .LBB126_1414
; %bb.1411:
	s_cmp_gt_i32 s0, 3
	s_cbranch_scc0 .LBB126_1415
; %bb.1412:
	s_wait_loadcnt 0x0
	global_load_b64 v[4:5], v[0:1], off
	s_mov_b32 s37, 0
	s_wait_loadcnt 0x0
	v_xor_b32_e32 v6, v4, v5
	v_cls_i32_e32 v7, v5
	s_delay_alu instid0(VALU_DEP_2) | instskip(NEXT) | instid1(VALU_DEP_1)
	v_ashrrev_i32_e32 v6, 31, v6
	v_add_nc_u32_e32 v6, 32, v6
	s_delay_alu instid0(VALU_DEP_1) | instskip(NEXT) | instid1(VALU_DEP_1)
	v_add_min_u32_e64 v6, v7, -1, v6
	v_lshlrev_b64_e32 v[4:5], v6, v[4:5]
	s_delay_alu instid0(VALU_DEP_1) | instskip(NEXT) | instid1(VALU_DEP_1)
	v_min_u32_e32 v4, 1, v4
	v_dual_sub_nc_u32 v5, 32, v6 :: v_dual_bitop2_b32 v4, v5, v4 bitop3:0x54
	s_delay_alu instid0(VALU_DEP_1) | instskip(NEXT) | instid1(VALU_DEP_1)
	v_cvt_f32_i32_e32 v4, v4
	v_ldexp_f32 v4, v4, v5
	s_branch .LBB126_1416
.LBB126_1413:
	s_mov_b32 s37, -1
                                        ; implicit-def: $vgpr4
	s_branch .LBB126_1422
.LBB126_1414:
	s_mov_b32 s37, -1
                                        ; implicit-def: $vgpr4
	s_branch .LBB126_1419
.LBB126_1415:
	s_mov_b32 s37, -1
                                        ; implicit-def: $vgpr4
.LBB126_1416:
	s_delay_alu instid0(SALU_CYCLE_1)
	s_and_not1_b32 vcc_lo, exec_lo, s37
	s_cbranch_vccnz .LBB126_1418
; %bb.1417:
	s_wait_loadcnt 0x0
	global_load_b32 v4, v[0:1], off
	s_wait_loadcnt 0x0
	v_cvt_f32_i32_e32 v4, v4
.LBB126_1418:
	s_mov_b32 s37, 0
.LBB126_1419:
	s_delay_alu instid0(SALU_CYCLE_1)
	s_and_not1_b32 vcc_lo, exec_lo, s37
	s_cbranch_vccnz .LBB126_1421
; %bb.1420:
	s_wait_loadcnt 0x0
	global_load_i16 v4, v[0:1], off
	s_wait_loadcnt 0x0
	v_cvt_f32_i32_e32 v4, v4
.LBB126_1421:
	s_mov_b32 s37, 0
.LBB126_1422:
	s_delay_alu instid0(SALU_CYCLE_1)
	s_and_not1_b32 vcc_lo, exec_lo, s37
	s_cbranch_vccnz .LBB126_1428
; %bb.1423:
	s_cmp_gt_i32 s0, 0
	s_mov_b32 s0, 0
	s_cbranch_scc0 .LBB126_1425
; %bb.1424:
	s_wait_loadcnt 0x0
	global_load_i8 v4, v[0:1], off
	s_wait_loadcnt 0x0
	v_cvt_f32_i32_e32 v4, v4
	s_branch .LBB126_1426
.LBB126_1425:
	s_mov_b32 s0, -1
                                        ; implicit-def: $vgpr4
.LBB126_1426:
	s_delay_alu instid0(SALU_CYCLE_1)
	s_and_not1_b32 vcc_lo, exec_lo, s0
	s_cbranch_vccnz .LBB126_1428
; %bb.1427:
	global_load_u8 v0, v[0:1], off
	s_wait_loadcnt 0x0
	v_cvt_f32_ubyte0_e32 v4, v0
.LBB126_1428:
	s_mov_b32 s37, -1
.LBB126_1429:
	s_delay_alu instid0(SALU_CYCLE_1)
	s_and_not1_b32 vcc_lo, exec_lo, s37
	s_cbranch_vccnz .LBB126_1437
; %bb.1430:
	s_wait_xcnt 0x0
	v_mul_lo_u32 v0, v8, s12
	s_wait_loadcnt 0x0
	v_mul_f32_e32 v2, s17, v2
	s_and_b32 s37, s18, 0xff
	s_delay_alu instid0(SALU_CYCLE_1) | instskip(NEXT) | instid1(VALU_DEP_2)
	s_cmp_lt_i32 s37, 11
	v_ashrrev_i32_e32 v1, 31, v0
	s_delay_alu instid0(VALU_DEP_2) | instskip(NEXT) | instid1(VALU_DEP_2)
	v_mul_f32_e32 v2, v2, v4
	v_add_nc_u64_e32 v[0:1], s[4:5], v[0:1]
	s_delay_alu instid0(VALU_DEP_2)
	v_fmac_f32_e32 v2, s16, v3
	s_cbranch_scc1 .LBB126_1438
; %bb.1431:
	s_and_b32 s38, 0xffff, s37
	s_delay_alu instid0(SALU_CYCLE_1)
	s_cmp_gt_i32 s38, 25
	s_cbranch_scc0 .LBB126_1439
; %bb.1432:
	s_cmp_gt_i32 s38, 28
	s_cbranch_scc0 .LBB126_1440
; %bb.1433:
	;; [unrolled: 3-line block ×4, first 2 shown]
	s_mov_b32 s40, 0
	s_mov_b32 s0, -1
	s_cmp_eq_u32 s38, 46
	s_mov_b32 s39, 0
	s_cbranch_scc0 .LBB126_1443
; %bb.1436:
	v_bfe_u32 v3, v2, 16, 1
	v_cmp_o_f32_e32 vcc_lo, v2, v2
	s_mov_b32 s39, -1
	s_mov_b32 s0, 0
	s_delay_alu instid0(VALU_DEP_2) | instskip(NEXT) | instid1(VALU_DEP_1)
	v_add3_u32 v3, v2, v3, 0x7fff
	v_lshrrev_b32_e32 v3, 16, v3
	s_delay_alu instid0(VALU_DEP_1)
	v_cndmask_b32_e32 v3, 0x7fc0, v3, vcc_lo
	global_store_b32 v[0:1], v3, off
	s_branch .LBB126_1443
.LBB126_1437:
	s_mov_b32 s38, 0
	s_mov_b32 s0, s28
	s_branch .LBB126_1554
.LBB126_1438:
	s_mov_b32 s38, -1
	s_mov_b32 s39, 0
	s_mov_b32 s0, s28
	s_branch .LBB126_1512
.LBB126_1439:
	s_mov_b32 s40, -1
	s_mov_b32 s39, 0
	s_mov_b32 s0, s28
	s_branch .LBB126_1470
.LBB126_1440:
	s_mov_b32 s40, -1
	s_mov_b32 s39, 0
	s_mov_b32 s0, s28
	s_branch .LBB126_1453
.LBB126_1441:
	s_mov_b32 s40, -1
	s_mov_b32 s39, 0
	s_mov_b32 s0, s28
	s_branch .LBB126_1449
.LBB126_1442:
	s_mov_b32 s40, -1
	s_mov_b32 s39, 0
	s_mov_b32 s0, s28
.LBB126_1443:
	s_and_b32 vcc_lo, exec_lo, s40
	s_cbranch_vccz .LBB126_1448
; %bb.1444:
	s_cmp_eq_u32 s38, 44
	s_mov_b32 s0, -1
	s_cbranch_scc0 .LBB126_1448
; %bb.1445:
	v_bfe_u32 v4, v2, 23, 8
	s_wait_xcnt 0x0
	v_mov_b32_e32 v3, 0xff
	s_mov_b32 s39, exec_lo
	s_delay_alu instid0(VALU_DEP_2)
	v_cmpx_ne_u32_e32 0xff, v4
	s_cbranch_execz .LBB126_1447
; %bb.1446:
	v_and_b32_e32 v3, 0x400000, v2
	v_and_or_b32 v4, 0x3fffff, v2, v4
	s_delay_alu instid0(VALU_DEP_2) | instskip(NEXT) | instid1(VALU_DEP_2)
	v_cmp_ne_u32_e32 vcc_lo, 0, v3
	v_cmp_ne_u32_e64 s0, 0, v4
	v_lshrrev_b32_e32 v3, 23, v2
	s_and_b32 s0, vcc_lo, s0
	s_delay_alu instid0(SALU_CYCLE_1) | instskip(NEXT) | instid1(VALU_DEP_1)
	v_cndmask_b32_e64 v4, 0, 1, s0
	v_add_nc_u32_e32 v3, v3, v4
.LBB126_1447:
	s_or_b32 exec_lo, exec_lo, s39
	s_mov_b32 s39, -1
	s_mov_b32 s0, 0
	global_store_b8 v[0:1], v3, off
.LBB126_1448:
	s_mov_b32 s40, 0
.LBB126_1449:
	s_delay_alu instid0(SALU_CYCLE_1)
	s_and_b32 vcc_lo, exec_lo, s40
	s_cbranch_vccz .LBB126_1452
; %bb.1450:
	s_cmp_eq_u32 s38, 29
	s_mov_b32 s0, -1
	s_cbranch_scc0 .LBB126_1452
; %bb.1451:
	s_wait_xcnt 0x0
	v_trunc_f32_e32 v3, v2
	s_mov_b32 s39, -1
	s_mov_b32 s0, 0
	s_mov_b32 s40, 0
	s_delay_alu instid0(VALU_DEP_1) | instskip(NEXT) | instid1(VALU_DEP_1)
	v_mul_f32_e32 v4, 0x2f800000, v3
	v_floor_f32_e32 v4, v4
	s_delay_alu instid0(VALU_DEP_1) | instskip(SKIP_1) | instid1(VALU_DEP_2)
	v_fmamk_f32 v3, v4, 0xcf800000, v3
	v_cvt_u32_f32_e32 v5, v4
	v_cvt_u32_f32_e32 v4, v3
	global_store_b64 v[0:1], v[4:5], off
	s_branch .LBB126_1453
.LBB126_1452:
	s_mov_b32 s40, 0
.LBB126_1453:
	s_delay_alu instid0(SALU_CYCLE_1)
	s_and_b32 vcc_lo, exec_lo, s40
	s_cbranch_vccz .LBB126_1469
; %bb.1454:
	s_cmp_lt_i32 s38, 27
	s_mov_b32 s39, -1
	s_cbranch_scc1 .LBB126_1460
; %bb.1455:
	s_wait_xcnt 0x0
	v_cvt_u32_f32_e32 v3, v2
	s_cmp_gt_i32 s38, 27
	s_cbranch_scc0 .LBB126_1457
; %bb.1456:
	s_mov_b32 s39, 0
	global_store_b32 v[0:1], v3, off
.LBB126_1457:
	s_and_not1_b32 vcc_lo, exec_lo, s39
	s_cbranch_vccnz .LBB126_1459
; %bb.1458:
	global_store_b16 v[0:1], v3, off
.LBB126_1459:
	s_mov_b32 s39, 0
.LBB126_1460:
	s_delay_alu instid0(SALU_CYCLE_1)
	s_and_not1_b32 vcc_lo, exec_lo, s39
	s_cbranch_vccnz .LBB126_1468
; %bb.1461:
	s_wait_xcnt 0x0
	v_and_b32_e32 v3, 0x7fffffff, v2
	v_mov_b32_e32 v4, 0x80
	s_mov_b32 s39, exec_lo
	s_delay_alu instid0(VALU_DEP_2)
	v_cmpx_gt_u32_e32 0x43800000, v3
	s_cbranch_execz .LBB126_1467
; %bb.1462:
	v_cmp_lt_u32_e32 vcc_lo, 0x3bffffff, v3
	s_mov_b32 s40, 0
                                        ; implicit-def: $vgpr3
	s_and_saveexec_b32 s41, vcc_lo
	s_delay_alu instid0(SALU_CYCLE_1)
	s_xor_b32 s41, exec_lo, s41
	s_cbranch_execz .LBB126_2724
; %bb.1463:
	v_bfe_u32 v3, v2, 20, 1
	s_mov_b32 s40, exec_lo
	s_delay_alu instid0(VALU_DEP_1) | instskip(NEXT) | instid1(VALU_DEP_1)
	v_add3_u32 v3, v2, v3, 0x487ffff
	v_lshrrev_b32_e32 v3, 20, v3
	s_and_not1_saveexec_b32 s41, s41
	s_cbranch_execnz .LBB126_2725
.LBB126_1464:
	s_or_b32 exec_lo, exec_lo, s41
	v_mov_b32_e32 v4, 0
	s_and_saveexec_b32 s41, s40
.LBB126_1465:
	v_lshrrev_b32_e32 v4, 24, v2
	s_delay_alu instid0(VALU_DEP_1)
	v_and_or_b32 v4, 0x80, v4, v3
.LBB126_1466:
	s_or_b32 exec_lo, exec_lo, s41
.LBB126_1467:
	s_delay_alu instid0(SALU_CYCLE_1)
	s_or_b32 exec_lo, exec_lo, s39
	global_store_b8 v[0:1], v4, off
.LBB126_1468:
	s_mov_b32 s39, -1
.LBB126_1469:
	s_mov_b32 s40, 0
.LBB126_1470:
	s_delay_alu instid0(SALU_CYCLE_1)
	s_and_b32 vcc_lo, exec_lo, s40
	s_cbranch_vccz .LBB126_1511
; %bb.1471:
	s_cmp_gt_i32 s38, 22
	s_mov_b32 s40, -1
	s_cbranch_scc0 .LBB126_1503
; %bb.1472:
	s_cmp_lt_i32 s38, 24
	s_mov_b32 s39, -1
	s_cbranch_scc1 .LBB126_1492
; %bb.1473:
	s_cmp_gt_i32 s38, 24
	s_cbranch_scc0 .LBB126_1481
; %bb.1474:
	s_wait_xcnt 0x0
	v_and_b32_e32 v3, 0x7fffffff, v2
	v_mov_b32_e32 v4, 0x80
	s_mov_b32 s39, exec_lo
	s_delay_alu instid0(VALU_DEP_2)
	v_cmpx_gt_u32_e32 0x47800000, v3
	s_cbranch_execz .LBB126_1480
; %bb.1475:
	v_cmp_lt_u32_e32 vcc_lo, 0x37ffffff, v3
	s_mov_b32 s40, 0
                                        ; implicit-def: $vgpr3
	s_and_saveexec_b32 s41, vcc_lo
	s_delay_alu instid0(SALU_CYCLE_1)
	s_xor_b32 s41, exec_lo, s41
	s_cbranch_execz .LBB126_2857
; %bb.1476:
	v_bfe_u32 v3, v2, 21, 1
	s_mov_b32 s40, exec_lo
	s_delay_alu instid0(VALU_DEP_1) | instskip(NEXT) | instid1(VALU_DEP_1)
	v_add3_u32 v3, v2, v3, 0x88fffff
	v_lshrrev_b32_e32 v3, 21, v3
	s_and_not1_saveexec_b32 s41, s41
	s_cbranch_execnz .LBB126_2858
.LBB126_1477:
	s_or_b32 exec_lo, exec_lo, s41
	v_mov_b32_e32 v4, 0
	s_and_saveexec_b32 s41, s40
.LBB126_1478:
	v_lshrrev_b32_e32 v4, 24, v2
	s_delay_alu instid0(VALU_DEP_1)
	v_and_or_b32 v4, 0x80, v4, v3
.LBB126_1479:
	s_or_b32 exec_lo, exec_lo, s41
.LBB126_1480:
	s_delay_alu instid0(SALU_CYCLE_1)
	s_or_b32 exec_lo, exec_lo, s39
	s_mov_b32 s39, 0
	global_store_b8 v[0:1], v4, off
.LBB126_1481:
	s_and_b32 vcc_lo, exec_lo, s39
	s_cbranch_vccz .LBB126_1491
; %bb.1482:
	s_wait_xcnt 0x0
	v_and_b32_e32 v4, 0x7fffffff, v2
	s_mov_b32 s39, exec_lo
                                        ; implicit-def: $vgpr3
	s_delay_alu instid0(VALU_DEP_1)
	v_cmpx_gt_u32_e32 0x43f00000, v4
	s_xor_b32 s39, exec_lo, s39
	s_cbranch_execz .LBB126_1488
; %bb.1483:
	s_mov_b32 s40, exec_lo
                                        ; implicit-def: $vgpr3
	v_cmpx_lt_u32_e32 0x3c7fffff, v4
	s_xor_b32 s40, exec_lo, s40
; %bb.1484:
	v_bfe_u32 v3, v2, 20, 1
	s_delay_alu instid0(VALU_DEP_1) | instskip(NEXT) | instid1(VALU_DEP_1)
	v_add3_u32 v3, v2, v3, 0x407ffff
	v_and_b32_e32 v4, 0xff00000, v3
	v_lshrrev_b32_e32 v3, 20, v3
	s_delay_alu instid0(VALU_DEP_2) | instskip(NEXT) | instid1(VALU_DEP_2)
	v_cmp_ne_u32_e32 vcc_lo, 0x7f00000, v4
	v_cndmask_b32_e32 v3, 0x7e, v3, vcc_lo
; %bb.1485:
	s_and_not1_saveexec_b32 s40, s40
; %bb.1486:
	v_add_f32_e64 v3, 0x46800000, |v2|
; %bb.1487:
	s_or_b32 exec_lo, exec_lo, s40
                                        ; implicit-def: $vgpr4
.LBB126_1488:
	s_and_not1_saveexec_b32 s39, s39
; %bb.1489:
	v_mov_b32_e32 v3, 0x7f
	v_cmp_lt_u32_e32 vcc_lo, 0x7f800000, v4
	s_delay_alu instid0(VALU_DEP_2)
	v_cndmask_b32_e32 v3, 0x7e, v3, vcc_lo
; %bb.1490:
	s_or_b32 exec_lo, exec_lo, s39
	v_lshrrev_b32_e32 v4, 24, v2
	s_delay_alu instid0(VALU_DEP_1)
	v_and_or_b32 v3, 0x80, v4, v3
	global_store_b8 v[0:1], v3, off
.LBB126_1491:
	s_mov_b32 s39, 0
.LBB126_1492:
	s_delay_alu instid0(SALU_CYCLE_1)
	s_and_not1_b32 vcc_lo, exec_lo, s39
	s_cbranch_vccnz .LBB126_1502
; %bb.1493:
	s_wait_xcnt 0x0
	v_and_b32_e32 v4, 0x7fffffff, v2
	s_mov_b32 s39, exec_lo
                                        ; implicit-def: $vgpr3
	s_delay_alu instid0(VALU_DEP_1)
	v_cmpx_gt_u32_e32 0x47800000, v4
	s_xor_b32 s39, exec_lo, s39
	s_cbranch_execz .LBB126_1499
; %bb.1494:
	s_mov_b32 s40, exec_lo
                                        ; implicit-def: $vgpr3
	v_cmpx_lt_u32_e32 0x387fffff, v4
	s_xor_b32 s40, exec_lo, s40
; %bb.1495:
	v_bfe_u32 v3, v2, 21, 1
	s_delay_alu instid0(VALU_DEP_1) | instskip(NEXT) | instid1(VALU_DEP_1)
	v_add3_u32 v3, v2, v3, 0x80fffff
	v_lshrrev_b32_e32 v3, 21, v3
; %bb.1496:
	s_and_not1_saveexec_b32 s40, s40
; %bb.1497:
	v_add_f32_e64 v3, 0x43000000, |v2|
; %bb.1498:
	s_or_b32 exec_lo, exec_lo, s40
                                        ; implicit-def: $vgpr4
.LBB126_1499:
	s_and_not1_saveexec_b32 s39, s39
; %bb.1500:
	v_mov_b32_e32 v3, 0x7f
	v_cmp_lt_u32_e32 vcc_lo, 0x7f800000, v4
	s_delay_alu instid0(VALU_DEP_2)
	v_cndmask_b32_e32 v3, 0x7c, v3, vcc_lo
; %bb.1501:
	s_or_b32 exec_lo, exec_lo, s39
	v_lshrrev_b32_e32 v4, 24, v2
	s_delay_alu instid0(VALU_DEP_1)
	v_and_or_b32 v3, 0x80, v4, v3
	global_store_b8 v[0:1], v3, off
.LBB126_1502:
	s_mov_b32 s40, 0
	s_mov_b32 s39, -1
.LBB126_1503:
	s_and_not1_b32 vcc_lo, exec_lo, s40
	s_cbranch_vccnz .LBB126_1511
; %bb.1504:
	s_cmp_gt_i32 s38, 14
	s_mov_b32 s40, -1
	s_cbranch_scc0 .LBB126_1508
; %bb.1505:
	s_cmp_eq_u32 s38, 15
	s_mov_b32 s0, -1
	s_cbranch_scc0 .LBB126_1507
; %bb.1506:
	s_wait_xcnt 0x0
	v_bfe_u32 v3, v2, 16, 1
	v_cmp_o_f32_e32 vcc_lo, v2, v2
	s_mov_b32 s39, -1
	s_mov_b32 s0, 0
	s_delay_alu instid0(VALU_DEP_2) | instskip(NEXT) | instid1(VALU_DEP_1)
	v_add3_u32 v3, v2, v3, 0x7fff
	v_lshrrev_b32_e32 v3, 16, v3
	s_delay_alu instid0(VALU_DEP_1)
	v_cndmask_b32_e32 v3, 0x7fc0, v3, vcc_lo
	global_store_b16 v[0:1], v3, off
.LBB126_1507:
	s_mov_b32 s40, 0
.LBB126_1508:
	s_delay_alu instid0(SALU_CYCLE_1)
	s_and_b32 vcc_lo, exec_lo, s40
	s_cbranch_vccz .LBB126_1511
; %bb.1509:
	s_cmp_eq_u32 s38, 11
	s_mov_b32 s0, -1
	s_cbranch_scc0 .LBB126_1511
; %bb.1510:
	v_cmp_neq_f32_e32 vcc_lo, 0, v2
	s_mov_b32 s0, 0
	s_mov_b32 s39, -1
	s_wait_xcnt 0x0
	v_cndmask_b32_e64 v3, 0, 1, vcc_lo
	global_store_b8 v[0:1], v3, off
.LBB126_1511:
	s_mov_b32 s38, 0
.LBB126_1512:
	s_delay_alu instid0(SALU_CYCLE_1)
	s_and_b32 vcc_lo, exec_lo, s38
	s_cbranch_vccz .LBB126_1551
; %bb.1513:
	s_and_b32 s37, 0xffff, s37
	s_mov_b32 s38, -1
	s_cmp_lt_i32 s37, 5
	s_cbranch_scc1 .LBB126_1534
; %bb.1514:
	s_cmp_lt_i32 s37, 8
	s_cbranch_scc1 .LBB126_1524
; %bb.1515:
	;; [unrolled: 3-line block ×3, first 2 shown]
	s_cmp_gt_i32 s37, 9
	s_cbranch_scc0 .LBB126_1518
; %bb.1517:
	s_wait_xcnt 0x0
	v_cvt_f64_f32_e32 v[4:5], v2
	v_mov_b32_e32 v6, 0
	s_mov_b32 s38, 0
	s_delay_alu instid0(VALU_DEP_1)
	v_mov_b32_e32 v7, v6
	global_store_b128 v[0:1], v[4:7], off
.LBB126_1518:
	s_and_not1_b32 vcc_lo, exec_lo, s38
	s_cbranch_vccnz .LBB126_1520
; %bb.1519:
	s_wait_xcnt 0x0
	v_mov_b32_e32 v3, 0
	global_store_b64 v[0:1], v[2:3], off
.LBB126_1520:
	s_mov_b32 s38, 0
.LBB126_1521:
	s_delay_alu instid0(SALU_CYCLE_1)
	s_and_not1_b32 vcc_lo, exec_lo, s38
	s_cbranch_vccnz .LBB126_1523
; %bb.1522:
	s_wait_xcnt 0x0
	v_cvt_f16_f32_e32 v3, v2
	s_delay_alu instid0(VALU_DEP_1)
	v_and_b32_e32 v3, 0xffff, v3
	global_store_b32 v[0:1], v3, off
.LBB126_1523:
	s_mov_b32 s38, 0
.LBB126_1524:
	s_delay_alu instid0(SALU_CYCLE_1)
	s_and_not1_b32 vcc_lo, exec_lo, s38
	s_cbranch_vccnz .LBB126_1533
; %bb.1525:
	s_cmp_lt_i32 s37, 6
	s_mov_b32 s38, -1
	s_cbranch_scc1 .LBB126_1531
; %bb.1526:
	s_cmp_gt_i32 s37, 6
	s_cbranch_scc0 .LBB126_1528
; %bb.1527:
	s_wait_xcnt 0x0
	v_cvt_f64_f32_e32 v[4:5], v2
	s_mov_b32 s38, 0
	global_store_b64 v[0:1], v[4:5], off
.LBB126_1528:
	s_and_not1_b32 vcc_lo, exec_lo, s38
	s_cbranch_vccnz .LBB126_1530
; %bb.1529:
	global_store_b32 v[0:1], v2, off
.LBB126_1530:
	s_mov_b32 s38, 0
.LBB126_1531:
	s_delay_alu instid0(SALU_CYCLE_1)
	s_and_not1_b32 vcc_lo, exec_lo, s38
	s_cbranch_vccnz .LBB126_1533
; %bb.1532:
	s_wait_xcnt 0x0
	v_cvt_f16_f32_e32 v3, v2
	global_store_b16 v[0:1], v3, off
.LBB126_1533:
	s_mov_b32 s38, 0
.LBB126_1534:
	s_delay_alu instid0(SALU_CYCLE_1)
	s_and_not1_b32 vcc_lo, exec_lo, s38
	s_cbranch_vccnz .LBB126_1550
; %bb.1535:
	s_cmp_lt_i32 s37, 2
	s_mov_b32 s38, -1
	s_cbranch_scc1 .LBB126_1545
; %bb.1536:
	s_cmp_lt_i32 s37, 3
	s_cbranch_scc1 .LBB126_1542
; %bb.1537:
	s_cmp_gt_i32 s37, 3
	s_cbranch_scc0 .LBB126_1539
; %bb.1538:
	s_wait_xcnt 0x0
	v_trunc_f32_e32 v3, v2
	s_mov_b32 s38, 0
	s_delay_alu instid0(VALU_DEP_1) | instskip(NEXT) | instid1(VALU_DEP_1)
	v_mul_f32_e64 v4, 0x2f800000, |v3|
	v_floor_f32_e32 v5, v4
	v_ashrrev_i32_e32 v4, 31, v3
	s_delay_alu instid0(VALU_DEP_2) | instskip(SKIP_1) | instid1(VALU_DEP_3)
	v_fma_f32 v6, 0xcf800000, v5, |v3|
	v_cvt_u32_f32_e32 v3, v5
	v_mov_b32_e32 v5, v4
	s_delay_alu instid0(VALU_DEP_3) | instskip(NEXT) | instid1(VALU_DEP_3)
	v_cvt_u32_f32_e32 v6, v6
	v_xor_b32_e32 v7, v3, v4
	s_delay_alu instid0(VALU_DEP_2) | instskip(NEXT) | instid1(VALU_DEP_1)
	v_xor_b32_e32 v6, v6, v4
	v_sub_nc_u64_e32 v[4:5], v[6:7], v[4:5]
	global_store_b64 v[0:1], v[4:5], off
.LBB126_1539:
	s_and_not1_b32 vcc_lo, exec_lo, s38
	s_cbranch_vccnz .LBB126_1541
; %bb.1540:
	s_wait_xcnt 0x0
	v_cvt_i32_f32_e32 v3, v2
	global_store_b32 v[0:1], v3, off
.LBB126_1541:
	s_mov_b32 s38, 0
.LBB126_1542:
	s_delay_alu instid0(SALU_CYCLE_1)
	s_and_not1_b32 vcc_lo, exec_lo, s38
	s_cbranch_vccnz .LBB126_1544
; %bb.1543:
	s_wait_xcnt 0x0
	v_cvt_i32_f32_e32 v3, v2
	global_store_b16 v[0:1], v3, off
.LBB126_1544:
	s_mov_b32 s38, 0
.LBB126_1545:
	s_delay_alu instid0(SALU_CYCLE_1)
	s_and_not1_b32 vcc_lo, exec_lo, s38
	s_cbranch_vccnz .LBB126_1550
; %bb.1546:
	s_cmp_gt_i32 s37, 0
	s_mov_b32 s37, -1
	s_cbranch_scc0 .LBB126_1548
; %bb.1547:
	s_wait_xcnt 0x0
	v_cvt_i32_f32_e32 v3, v2
	s_mov_b32 s37, 0
	global_store_b8 v[0:1], v3, off
.LBB126_1548:
	s_and_not1_b32 vcc_lo, exec_lo, s37
	s_cbranch_vccnz .LBB126_1550
; %bb.1549:
	s_wait_xcnt 0x0
	v_trunc_f32_e32 v2, v2
	s_delay_alu instid0(VALU_DEP_1) | instskip(NEXT) | instid1(VALU_DEP_1)
	v_mul_f32_e64 v3, 0x2f800000, |v2|
	v_floor_f32_e32 v3, v3
	s_delay_alu instid0(VALU_DEP_1) | instskip(SKIP_1) | instid1(VALU_DEP_2)
	v_fma_f32 v3, 0xcf800000, v3, |v2|
	v_ashrrev_i32_e32 v2, 31, v2
	v_cvt_u32_f32_e32 v3, v3
	s_delay_alu instid0(VALU_DEP_1) | instskip(NEXT) | instid1(VALU_DEP_1)
	v_xor_b32_e32 v3, v3, v2
	v_sub_nc_u32_e32 v2, v3, v2
	global_store_b8 v[0:1], v2, off
.LBB126_1550:
	s_mov_b32 s39, -1
.LBB126_1551:
	s_delay_alu instid0(SALU_CYCLE_1)
	s_and_not1_b32 vcc_lo, exec_lo, s39
	s_cbranch_vccnz .LBB126_1553
; %bb.1552:
	v_add_nc_u32_e32 v8, 0x80, v8
	s_mov_b32 s38, -1
	s_branch .LBB126_1555
.LBB126_1553:
	s_mov_b32 s38, 0
.LBB126_1554:
                                        ; implicit-def: $vgpr8
.LBB126_1555:
	s_and_not1_b32 s37, s28, exec_lo
	s_and_b32 s0, s0, exec_lo
	s_and_not1_b32 s39, s29, exec_lo
	s_and_b32 s36, s36, exec_lo
	s_or_b32 s37, s37, s0
	s_or_b32 s36, s39, s36
	s_and_not1_b32 s0, s30, exec_lo
	s_and_b32 s35, s35, exec_lo
	s_and_not1_b32 s39, s27, exec_lo
	s_and_b32 s34, s34, exec_lo
	s_or_b32 s35, s0, s35
	s_or_b32 s34, s39, s34
	s_or_not1_b32 s41, s38, exec_lo
.LBB126_1556:
	s_wait_xcnt 0x0
	s_or_b32 exec_lo, exec_lo, s33
	s_mov_b32 s38, 0
	s_mov_b32 s39, 0
	;; [unrolled: 1-line block ×3, first 2 shown]
                                        ; implicit-def: $sgpr0
                                        ; implicit-def: $vgpr0_vgpr1
                                        ; implicit-def: $vgpr3
	s_and_saveexec_b32 s33, s41
	s_cbranch_execz .LBB126_1637
; %bb.1557:
	v_cmp_gt_i32_e32 vcc_lo, s22, v8
	s_mov_b32 s42, s34
	s_mov_b32 s41, 0
	;; [unrolled: 1-line block ×3, first 2 shown]
                                        ; implicit-def: $sgpr0
                                        ; implicit-def: $vgpr0_vgpr1
                                        ; implicit-def: $vgpr3
	s_and_saveexec_b32 s22, vcc_lo
	s_cbranch_execz .LBB126_1636
; %bb.1558:
	v_mul_lo_u32 v0, v8, s13
	s_and_b32 s0, s19, 0xff
	s_delay_alu instid0(SALU_CYCLE_1) | instskip(NEXT) | instid1(VALU_DEP_1)
	s_cmp_lt_i32 s0, 11
	v_ashrrev_i32_e32 v1, 31, v0
	s_delay_alu instid0(VALU_DEP_1)
	v_add_nc_u64_e32 v[0:1], s[6:7], v[0:1]
	s_cbranch_scc1 .LBB126_1565
; %bb.1559:
	s_and_b32 s38, 0xffff, s0
	s_delay_alu instid0(SALU_CYCLE_1)
	s_cmp_gt_i32 s38, 25
	s_cbranch_scc0 .LBB126_1566
; %bb.1560:
	s_cmp_gt_i32 s38, 28
	s_cbranch_scc0 .LBB126_1567
; %bb.1561:
	;; [unrolled: 3-line block ×4, first 2 shown]
	s_cmp_eq_u32 s38, 46
	s_mov_b32 s42, 0
	s_cbranch_scc0 .LBB126_1570
; %bb.1564:
	s_wait_loadcnt 0x0
	global_load_b32 v2, v[0:1], off
	s_mov_b32 s41, -1
	s_wait_loadcnt 0x0
	v_lshlrev_b32_e32 v3, 16, v2
	s_branch .LBB126_1572
.LBB126_1565:
	s_mov_b32 s38, -1
	s_mov_b32 s39, s34
                                        ; implicit-def: $vgpr3
	s_branch .LBB126_1635
.LBB126_1566:
	s_mov_b32 s42, -1
	s_mov_b32 s39, s34
                                        ; implicit-def: $vgpr3
	s_branch .LBB126_1601
.LBB126_1567:
	s_mov_b32 s42, -1
	s_mov_b32 s39, s34
                                        ; implicit-def: $vgpr3
	s_branch .LBB126_1582
.LBB126_1568:
	s_mov_b32 s42, -1
	s_mov_b32 s39, s34
                                        ; implicit-def: $vgpr3
	s_branch .LBB126_1577
.LBB126_1569:
	s_mov_b32 s42, -1
	s_mov_b32 s39, s34
	s_branch .LBB126_1571
.LBB126_1570:
	s_mov_b32 s39, -1
.LBB126_1571:
                                        ; implicit-def: $vgpr3
.LBB126_1572:
	s_and_b32 vcc_lo, exec_lo, s42
	s_cbranch_vccz .LBB126_1576
; %bb.1573:
	s_cmp_eq_u32 s38, 44
	s_cbranch_scc0 .LBB126_1575
; %bb.1574:
	s_wait_loadcnt 0x0
	global_load_u8 v2, v[0:1], off
	s_mov_b32 s39, 0
	s_mov_b32 s41, -1
	s_wait_loadcnt 0x0
	v_lshlrev_b32_e32 v3, 23, v2
	v_cmp_ne_u32_e32 vcc_lo, 0xff, v2
	s_delay_alu instid0(VALU_DEP_2) | instskip(SKIP_1) | instid1(VALU_DEP_2)
	v_cndmask_b32_e32 v3, 0x7f800001, v3, vcc_lo
	v_cmp_ne_u32_e32 vcc_lo, 0, v2
	v_cndmask_b32_e32 v3, 0x400000, v3, vcc_lo
	s_branch .LBB126_1576
.LBB126_1575:
	s_mov_b32 s39, -1
                                        ; implicit-def: $vgpr3
.LBB126_1576:
	s_mov_b32 s42, 0
.LBB126_1577:
	s_delay_alu instid0(SALU_CYCLE_1)
	s_and_b32 vcc_lo, exec_lo, s42
	s_cbranch_vccz .LBB126_1581
; %bb.1578:
	s_cmp_eq_u32 s38, 29
	s_cbranch_scc0 .LBB126_1580
; %bb.1579:
	s_wait_loadcnt 0x0
	global_load_b64 v[2:3], v[0:1], off
	s_mov_b32 s39, 0
	s_mov_b32 s41, -1
	s_mov_b32 s42, 0
	s_wait_loadcnt 0x0
	v_clz_i32_u32_e32 v4, v3
	s_delay_alu instid0(VALU_DEP_1) | instskip(NEXT) | instid1(VALU_DEP_1)
	v_min_u32_e32 v4, 32, v4
	v_lshlrev_b64_e32 v[2:3], v4, v[2:3]
	s_delay_alu instid0(VALU_DEP_1) | instskip(NEXT) | instid1(VALU_DEP_1)
	v_min_u32_e32 v2, 1, v2
	v_dual_sub_nc_u32 v3, 32, v4 :: v_dual_bitop2_b32 v2, v3, v2 bitop3:0x54
	s_delay_alu instid0(VALU_DEP_1) | instskip(NEXT) | instid1(VALU_DEP_1)
	v_cvt_f32_u32_e32 v2, v2
	v_ldexp_f32 v3, v2, v3
	s_branch .LBB126_1582
.LBB126_1580:
	s_mov_b32 s39, -1
                                        ; implicit-def: $vgpr3
.LBB126_1581:
	s_mov_b32 s42, 0
.LBB126_1582:
	s_delay_alu instid0(SALU_CYCLE_1)
	s_and_b32 vcc_lo, exec_lo, s42
	s_cbranch_vccz .LBB126_1600
; %bb.1583:
	s_cmp_lt_i32 s38, 27
	s_cbranch_scc1 .LBB126_1586
; %bb.1584:
	s_cmp_gt_i32 s38, 27
	s_cbranch_scc0 .LBB126_1587
; %bb.1585:
	s_wait_loadcnt 0x0
	global_load_b32 v2, v[0:1], off
	s_mov_b32 s41, 0
	s_wait_loadcnt 0x0
	v_cvt_f32_u32_e32 v3, v2
	s_branch .LBB126_1588
.LBB126_1586:
	s_mov_b32 s41, -1
                                        ; implicit-def: $vgpr3
	s_branch .LBB126_1591
.LBB126_1587:
	s_mov_b32 s41, -1
                                        ; implicit-def: $vgpr3
.LBB126_1588:
	s_delay_alu instid0(SALU_CYCLE_1)
	s_and_not1_b32 vcc_lo, exec_lo, s41
	s_cbranch_vccnz .LBB126_1590
; %bb.1589:
	s_wait_loadcnt 0x0
	global_load_u16 v2, v[0:1], off
	s_wait_loadcnt 0x0
	v_cvt_f32_u32_e32 v3, v2
.LBB126_1590:
	s_mov_b32 s41, 0
.LBB126_1591:
	s_delay_alu instid0(SALU_CYCLE_1)
	s_and_not1_b32 vcc_lo, exec_lo, s41
	s_cbranch_vccnz .LBB126_1599
; %bb.1592:
	s_wait_loadcnt 0x0
	global_load_u8 v2, v[0:1], off
	s_mov_b32 s41, 0
	s_mov_b32 s42, exec_lo
	s_wait_loadcnt 0x0
	v_cmpx_lt_i16_e32 0x7f, v2
	s_xor_b32 s42, exec_lo, s42
	s_cbranch_execz .LBB126_1613
; %bb.1593:
	s_mov_b32 s41, -1
	s_mov_b32 s43, exec_lo
	v_cmpx_eq_u16_e32 0x80, v2
; %bb.1594:
	s_xor_b32 s41, exec_lo, -1
; %bb.1595:
	s_or_b32 exec_lo, exec_lo, s43
	s_delay_alu instid0(SALU_CYCLE_1)
	s_and_b32 s41, s41, exec_lo
	s_or_saveexec_b32 s42, s42
	v_mov_b32_e32 v3, 0x7f800001
	s_xor_b32 exec_lo, exec_lo, s42
	s_cbranch_execnz .LBB126_1614
.LBB126_1596:
	s_or_b32 exec_lo, exec_lo, s42
	s_and_saveexec_b32 s42, s41
	s_cbranch_execz .LBB126_1598
.LBB126_1597:
	v_and_b32_e32 v3, 0xffff, v2
	s_delay_alu instid0(VALU_DEP_1) | instskip(SKIP_1) | instid1(VALU_DEP_2)
	v_and_b32_e32 v4, 7, v3
	v_bfe_u32 v7, v3, 3, 4
	v_clz_i32_u32_e32 v5, v4
	s_delay_alu instid0(VALU_DEP_2) | instskip(NEXT) | instid1(VALU_DEP_2)
	v_cmp_eq_u32_e32 vcc_lo, 0, v7
	v_min_u32_e32 v5, 32, v5
	s_delay_alu instid0(VALU_DEP_1) | instskip(NEXT) | instid1(VALU_DEP_1)
	v_subrev_nc_u32_e32 v6, 28, v5
	v_dual_lshlrev_b32 v3, v6, v3 :: v_dual_sub_nc_u32 v5, 29, v5
	s_delay_alu instid0(VALU_DEP_1) | instskip(NEXT) | instid1(VALU_DEP_1)
	v_dual_lshlrev_b32 v2, 24, v2 :: v_dual_bitop2_b32 v3, 7, v3 bitop3:0x40
	v_dual_cndmask_b32 v5, v7, v5, vcc_lo :: v_dual_cndmask_b32 v3, v4, v3, vcc_lo
	s_delay_alu instid0(VALU_DEP_2) | instskip(NEXT) | instid1(VALU_DEP_2)
	v_and_b32_e32 v2, 0x80000000, v2
	v_lshl_add_u32 v4, v5, 23, 0x3b800000
	s_delay_alu instid0(VALU_DEP_3) | instskip(NEXT) | instid1(VALU_DEP_1)
	v_lshlrev_b32_e32 v3, 20, v3
	v_or3_b32 v3, v2, v4, v3
.LBB126_1598:
	s_or_b32 exec_lo, exec_lo, s42
.LBB126_1599:
	s_mov_b32 s41, -1
.LBB126_1600:
	s_mov_b32 s42, 0
.LBB126_1601:
	s_delay_alu instid0(SALU_CYCLE_1)
	s_and_b32 vcc_lo, exec_lo, s42
	s_cbranch_vccz .LBB126_1634
; %bb.1602:
	s_cmp_gt_i32 s38, 22
	s_cbranch_scc0 .LBB126_1612
; %bb.1603:
	s_cmp_lt_i32 s38, 24
	s_cbranch_scc1 .LBB126_1615
; %bb.1604:
	s_cmp_gt_i32 s38, 24
	s_cbranch_scc0 .LBB126_1616
; %bb.1605:
	s_wait_loadcnt 0x0
	global_load_u8 v2, v[0:1], off
	s_mov_b32 s41, exec_lo
	s_wait_loadcnt 0x0
	v_cmpx_lt_i16_e32 0x7f, v2
	s_xor_b32 s41, exec_lo, s41
	s_cbranch_execz .LBB126_1628
; %bb.1606:
	s_mov_b32 s40, -1
	s_mov_b32 s42, exec_lo
	v_cmpx_eq_u16_e32 0x80, v2
; %bb.1607:
	s_xor_b32 s40, exec_lo, -1
; %bb.1608:
	s_or_b32 exec_lo, exec_lo, s42
	s_delay_alu instid0(SALU_CYCLE_1)
	s_and_b32 s40, s40, exec_lo
	s_or_saveexec_b32 s41, s41
	v_mov_b32_e32 v3, 0x7f800001
	s_xor_b32 exec_lo, exec_lo, s41
	s_cbranch_execnz .LBB126_1629
.LBB126_1609:
	s_or_b32 exec_lo, exec_lo, s41
	s_and_saveexec_b32 s41, s40
	s_cbranch_execz .LBB126_1611
.LBB126_1610:
	v_and_b32_e32 v3, 0xffff, v2
	s_delay_alu instid0(VALU_DEP_1) | instskip(SKIP_1) | instid1(VALU_DEP_2)
	v_and_b32_e32 v4, 3, v3
	v_bfe_u32 v7, v3, 2, 5
	v_clz_i32_u32_e32 v5, v4
	s_delay_alu instid0(VALU_DEP_2) | instskip(NEXT) | instid1(VALU_DEP_2)
	v_cmp_eq_u32_e32 vcc_lo, 0, v7
	v_min_u32_e32 v5, 32, v5
	s_delay_alu instid0(VALU_DEP_1) | instskip(NEXT) | instid1(VALU_DEP_1)
	v_subrev_nc_u32_e32 v6, 29, v5
	v_dual_lshlrev_b32 v3, v6, v3 :: v_dual_sub_nc_u32 v5, 30, v5
	s_delay_alu instid0(VALU_DEP_1) | instskip(NEXT) | instid1(VALU_DEP_1)
	v_dual_lshlrev_b32 v2, 24, v2 :: v_dual_bitop2_b32 v3, 3, v3 bitop3:0x40
	v_dual_cndmask_b32 v5, v7, v5, vcc_lo :: v_dual_cndmask_b32 v3, v4, v3, vcc_lo
	s_delay_alu instid0(VALU_DEP_2) | instskip(NEXT) | instid1(VALU_DEP_2)
	v_and_b32_e32 v2, 0x80000000, v2
	v_lshl_add_u32 v4, v5, 23, 0x37800000
	s_delay_alu instid0(VALU_DEP_3) | instskip(NEXT) | instid1(VALU_DEP_1)
	v_lshlrev_b32_e32 v3, 21, v3
	v_or3_b32 v3, v2, v4, v3
.LBB126_1611:
	s_or_b32 exec_lo, exec_lo, s41
	s_mov_b32 s40, 0
	s_branch .LBB126_1617
.LBB126_1612:
	s_mov_b32 s40, -1
                                        ; implicit-def: $vgpr3
	s_branch .LBB126_1623
.LBB126_1613:
	s_or_saveexec_b32 s42, s42
	v_mov_b32_e32 v3, 0x7f800001
	s_xor_b32 exec_lo, exec_lo, s42
	s_cbranch_execz .LBB126_1596
.LBB126_1614:
	v_cmp_ne_u16_e32 vcc_lo, 0, v2
	v_mov_b32_e32 v3, 0
	s_and_not1_b32 s41, s41, exec_lo
	s_and_b32 s43, vcc_lo, exec_lo
	s_delay_alu instid0(SALU_CYCLE_1)
	s_or_b32 s41, s41, s43
	s_or_b32 exec_lo, exec_lo, s42
	s_and_saveexec_b32 s42, s41
	s_cbranch_execnz .LBB126_1597
	s_branch .LBB126_1598
.LBB126_1615:
	s_mov_b32 s40, -1
                                        ; implicit-def: $vgpr3
	s_branch .LBB126_1620
.LBB126_1616:
	s_mov_b32 s40, -1
                                        ; implicit-def: $vgpr3
.LBB126_1617:
	s_delay_alu instid0(SALU_CYCLE_1)
	s_and_b32 vcc_lo, exec_lo, s40
	s_cbranch_vccz .LBB126_1619
; %bb.1618:
	s_wait_loadcnt 0x0
	global_load_u8 v2, v[0:1], off
	s_wait_loadcnt 0x0
	v_lshlrev_b32_e32 v2, 24, v2
	s_delay_alu instid0(VALU_DEP_1) | instskip(NEXT) | instid1(VALU_DEP_1)
	v_and_b32_e32 v3, 0x7f000000, v2
	v_clz_i32_u32_e32 v4, v3
	v_cmp_ne_u32_e32 vcc_lo, 0, v3
	v_add_nc_u32_e32 v6, 0x1000000, v3
	s_delay_alu instid0(VALU_DEP_3) | instskip(NEXT) | instid1(VALU_DEP_1)
	v_min_u32_e32 v4, 32, v4
	v_sub_nc_u32_e64 v4, v4, 4 clamp
	s_delay_alu instid0(VALU_DEP_1) | instskip(NEXT) | instid1(VALU_DEP_1)
	v_dual_lshlrev_b32 v5, v4, v3 :: v_dual_lshlrev_b32 v4, 23, v4
	v_lshrrev_b32_e32 v5, 4, v5
	s_delay_alu instid0(VALU_DEP_1) | instskip(NEXT) | instid1(VALU_DEP_1)
	v_dual_sub_nc_u32 v4, v5, v4 :: v_dual_ashrrev_i32 v5, 8, v6
	v_add_nc_u32_e32 v4, 0x3c000000, v4
	s_delay_alu instid0(VALU_DEP_1) | instskip(NEXT) | instid1(VALU_DEP_1)
	v_and_or_b32 v4, 0x7f800000, v5, v4
	v_cndmask_b32_e32 v3, 0, v4, vcc_lo
	s_delay_alu instid0(VALU_DEP_1)
	v_and_or_b32 v3, 0x80000000, v2, v3
.LBB126_1619:
	s_mov_b32 s40, 0
.LBB126_1620:
	s_delay_alu instid0(SALU_CYCLE_1)
	s_and_not1_b32 vcc_lo, exec_lo, s40
	s_cbranch_vccnz .LBB126_1622
; %bb.1621:
	s_wait_loadcnt 0x0
	global_load_u8 v2, v[0:1], off
	s_wait_loadcnt 0x0
	v_lshlrev_b32_e32 v3, 25, v2
	v_lshlrev_b16 v2, 8, v2
	s_delay_alu instid0(VALU_DEP_1) | instskip(SKIP_1) | instid1(VALU_DEP_2)
	v_and_or_b32 v5, 0x7f00, v2, 0.5
	v_bfe_i32 v2, v2, 0, 16
	v_dual_add_f32 v5, -0.5, v5 :: v_dual_lshrrev_b32 v4, 4, v3
	v_cmp_gt_u32_e32 vcc_lo, 0x8000000, v3
	s_delay_alu instid0(VALU_DEP_2) | instskip(NEXT) | instid1(VALU_DEP_1)
	v_or_b32_e32 v4, 0x70000000, v4
	v_mul_f32_e32 v4, 0x7800000, v4
	s_delay_alu instid0(VALU_DEP_1) | instskip(NEXT) | instid1(VALU_DEP_1)
	v_cndmask_b32_e32 v3, v4, v5, vcc_lo
	v_and_or_b32 v3, 0x80000000, v2, v3
.LBB126_1622:
	s_mov_b32 s40, 0
	s_mov_b32 s41, -1
.LBB126_1623:
	s_and_not1_b32 vcc_lo, exec_lo, s40
	s_mov_b32 s40, 0
	s_cbranch_vccnz .LBB126_1634
; %bb.1624:
	s_cmp_gt_i32 s38, 14
	s_cbranch_scc0 .LBB126_1627
; %bb.1625:
	s_cmp_eq_u32 s38, 15
	s_cbranch_scc0 .LBB126_1630
; %bb.1626:
	s_wait_loadcnt 0x0
	global_load_u16 v2, v[0:1], off
	s_mov_b32 s39, 0
	s_mov_b32 s41, -1
	s_wait_loadcnt 0x0
	v_lshlrev_b32_e32 v3, 16, v2
	s_branch .LBB126_1632
.LBB126_1627:
	s_mov_b32 s40, -1
	s_branch .LBB126_1631
.LBB126_1628:
	s_or_saveexec_b32 s41, s41
	v_mov_b32_e32 v3, 0x7f800001
	s_xor_b32 exec_lo, exec_lo, s41
	s_cbranch_execz .LBB126_1609
.LBB126_1629:
	v_cmp_ne_u16_e32 vcc_lo, 0, v2
	v_mov_b32_e32 v3, 0
	s_and_not1_b32 s40, s40, exec_lo
	s_and_b32 s42, vcc_lo, exec_lo
	s_delay_alu instid0(SALU_CYCLE_1)
	s_or_b32 s40, s40, s42
	s_or_b32 exec_lo, exec_lo, s41
	s_and_saveexec_b32 s41, s40
	s_cbranch_execnz .LBB126_1610
	s_branch .LBB126_1611
.LBB126_1630:
	s_mov_b32 s39, -1
.LBB126_1631:
                                        ; implicit-def: $vgpr3
.LBB126_1632:
	s_and_b32 vcc_lo, exec_lo, s40
	s_mov_b32 s40, 0
	s_cbranch_vccz .LBB126_1634
; %bb.1633:
	s_cmp_lg_u32 s38, 11
	s_mov_b32 s40, -1
	s_cselect_b32 s38, -1, 0
	s_and_not1_b32 s39, s39, exec_lo
	s_and_b32 s38, s38, exec_lo
	s_delay_alu instid0(SALU_CYCLE_1)
	s_or_b32 s39, s39, s38
.LBB126_1634:
	s_mov_b32 s38, 0
.LBB126_1635:
	s_and_not1_b32 s42, s34, exec_lo
	s_and_b32 s39, s39, exec_lo
	s_and_b32 s43, s41, exec_lo
	;; [unrolled: 1-line block ×4, first 2 shown]
	s_or_b32 s42, s42, s39
.LBB126_1636:
	s_wait_xcnt 0x0
	s_or_b32 exec_lo, exec_lo, s22
	s_delay_alu instid0(SALU_CYCLE_1)
	s_and_not1_b32 s22, s34, exec_lo
	s_and_b32 s34, s42, exec_lo
	s_and_b32 s40, s43, exec_lo
	;; [unrolled: 1-line block ×4, first 2 shown]
	s_or_b32 s34, s22, s34
.LBB126_1637:
	s_or_b32 exec_lo, exec_lo, s33
	s_delay_alu instid0(SALU_CYCLE_1)
	s_and_not1_b32 s22, s28, exec_lo
	s_and_b32 s28, s37, exec_lo
	s_and_not1_b32 s30, s30, exec_lo
	s_or_b32 s28, s22, s28
	s_and_not1_b32 s22, s29, exec_lo
	s_and_b32 s29, s36, exec_lo
	s_and_b32 s33, s35, exec_lo
	s_or_b32 s29, s22, s29
	s_and_not1_b32 s22, s27, exec_lo
	s_and_b32 s27, s34, exec_lo
	s_or_b32 s30, s30, s33
	s_and_b32 s36, s40, exec_lo
	s_and_b32 s35, s39, exec_lo
	;; [unrolled: 1-line block ×3, first 2 shown]
	s_or_b32 s27, s22, s27
.LBB126_1638:
	s_or_b32 exec_lo, exec_lo, s31
	s_delay_alu instid0(SALU_CYCLE_1)
	s_and_not1_b32 s21, s21, exec_lo
	s_and_b32 s22, s28, exec_lo
	s_and_not1_b32 s24, s24, exec_lo
	s_or_b32 s21, s21, s22
	s_and_not1_b32 s22, s23, exec_lo
	s_and_b32 s23, s29, exec_lo
	s_and_b32 s28, s30, exec_lo
	s_or_b32 s23, s22, s23
	s_and_not1_b32 s22, s25, exec_lo
	s_and_b32 s25, s27, exec_lo
	s_or_b32 s24, s24, s28
	s_and_b32 s28, s36, exec_lo
	s_and_b32 s29, s35, exec_lo
	;; [unrolled: 1-line block ×3, first 2 shown]
	s_or_b32 s25, s22, s25
	s_or_b32 exec_lo, exec_lo, s26
	s_mov_b32 s22, 0
	s_and_saveexec_b32 s26, s25
	s_cbranch_execz .LBB126_522
.LBB126_1639:
	s_mov_b32 s22, exec_lo
	s_and_not1_b32 s27, s27, exec_lo
	s_trap 2
	s_or_b32 exec_lo, exec_lo, s26
	s_and_saveexec_b32 s25, s27
	s_delay_alu instid0(SALU_CYCLE_1)
	s_xor_b32 s25, exec_lo, s25
	s_cbranch_execnz .LBB126_523
.LBB126_1640:
	s_or_b32 exec_lo, exec_lo, s25
	s_and_saveexec_b32 s25, s29
	s_cbranch_execz .LBB126_1686
.LBB126_1641:
	s_sext_i32_i16 s26, s0
	s_delay_alu instid0(SALU_CYCLE_1)
	s_cmp_lt_i32 s26, 5
	s_cbranch_scc1 .LBB126_1646
; %bb.1642:
	s_cmp_lt_i32 s26, 8
	s_cbranch_scc1 .LBB126_1647
; %bb.1643:
	;; [unrolled: 3-line block ×3, first 2 shown]
	s_cmp_gt_i32 s26, 9
	s_cbranch_scc0 .LBB126_1649
; %bb.1645:
	s_wait_loadcnt 0x0
	global_load_b64 v[2:3], v[0:1], off
	s_mov_b32 s26, 0
	s_wait_loadcnt 0x0
	v_cvt_f32_f64_e32 v3, v[2:3]
	s_branch .LBB126_1650
.LBB126_1646:
                                        ; implicit-def: $vgpr3
	s_branch .LBB126_1667
.LBB126_1647:
                                        ; implicit-def: $vgpr3
	s_branch .LBB126_1656
.LBB126_1648:
	s_mov_b32 s26, -1
                                        ; implicit-def: $vgpr3
	s_branch .LBB126_1653
.LBB126_1649:
	s_mov_b32 s26, -1
                                        ; implicit-def: $vgpr3
.LBB126_1650:
	s_delay_alu instid0(SALU_CYCLE_1)
	s_and_not1_b32 vcc_lo, exec_lo, s26
	s_cbranch_vccnz .LBB126_1652
; %bb.1651:
	s_wait_loadcnt 0x0
	global_load_b32 v3, v[0:1], off
.LBB126_1652:
	s_mov_b32 s26, 0
.LBB126_1653:
	s_delay_alu instid0(SALU_CYCLE_1)
	s_and_not1_b32 vcc_lo, exec_lo, s26
	s_cbranch_vccnz .LBB126_1655
; %bb.1654:
	s_wait_loadcnt 0x0
	global_load_b32 v2, v[0:1], off
	s_wait_loadcnt 0x0
	v_cvt_f32_f16_e32 v3, v2
.LBB126_1655:
	s_cbranch_execnz .LBB126_1666
.LBB126_1656:
	s_sext_i32_i16 s26, s0
	s_delay_alu instid0(SALU_CYCLE_1)
	s_cmp_lt_i32 s26, 6
	s_cbranch_scc1 .LBB126_1659
; %bb.1657:
	s_cmp_gt_i32 s26, 6
	s_cbranch_scc0 .LBB126_1660
; %bb.1658:
	s_wait_loadcnt 0x0
	global_load_b64 v[2:3], v[0:1], off
	s_mov_b32 s26, 0
	s_wait_loadcnt 0x0
	v_cvt_f32_f64_e32 v3, v[2:3]
	s_branch .LBB126_1661
.LBB126_1659:
	s_mov_b32 s26, -1
                                        ; implicit-def: $vgpr3
	s_branch .LBB126_1664
.LBB126_1660:
	s_mov_b32 s26, -1
                                        ; implicit-def: $vgpr3
.LBB126_1661:
	s_delay_alu instid0(SALU_CYCLE_1)
	s_and_not1_b32 vcc_lo, exec_lo, s26
	s_cbranch_vccnz .LBB126_1663
; %bb.1662:
	s_wait_loadcnt 0x0
	global_load_b32 v3, v[0:1], off
.LBB126_1663:
	s_mov_b32 s26, 0
.LBB126_1664:
	s_delay_alu instid0(SALU_CYCLE_1)
	s_and_not1_b32 vcc_lo, exec_lo, s26
	s_cbranch_vccnz .LBB126_1666
; %bb.1665:
	s_wait_loadcnt 0x0
	global_load_u16 v2, v[0:1], off
	s_wait_loadcnt 0x0
	v_cvt_f32_f16_e32 v3, v2
.LBB126_1666:
	s_cbranch_execnz .LBB126_1685
.LBB126_1667:
	s_sext_i32_i16 s26, s0
	s_delay_alu instid0(SALU_CYCLE_1)
	s_cmp_lt_i32 s26, 2
	s_cbranch_scc1 .LBB126_1671
; %bb.1668:
	s_cmp_lt_i32 s26, 3
	s_cbranch_scc1 .LBB126_1672
; %bb.1669:
	s_cmp_gt_i32 s26, 3
	s_cbranch_scc0 .LBB126_1673
; %bb.1670:
	s_wait_loadcnt 0x0
	global_load_b64 v[2:3], v[0:1], off
	s_mov_b32 s26, 0
	s_wait_loadcnt 0x0
	v_xor_b32_e32 v4, v2, v3
	v_cls_i32_e32 v5, v3
	s_delay_alu instid0(VALU_DEP_2) | instskip(NEXT) | instid1(VALU_DEP_1)
	v_ashrrev_i32_e32 v4, 31, v4
	v_add_nc_u32_e32 v4, 32, v4
	s_delay_alu instid0(VALU_DEP_1) | instskip(NEXT) | instid1(VALU_DEP_1)
	v_add_min_u32_e64 v4, v5, -1, v4
	v_lshlrev_b64_e32 v[2:3], v4, v[2:3]
	s_delay_alu instid0(VALU_DEP_1) | instskip(NEXT) | instid1(VALU_DEP_1)
	v_min_u32_e32 v2, 1, v2
	v_dual_sub_nc_u32 v3, 32, v4 :: v_dual_bitop2_b32 v2, v3, v2 bitop3:0x54
	s_delay_alu instid0(VALU_DEP_1) | instskip(NEXT) | instid1(VALU_DEP_1)
	v_cvt_f32_i32_e32 v2, v2
	v_ldexp_f32 v3, v2, v3
	s_branch .LBB126_1674
.LBB126_1671:
                                        ; implicit-def: $vgpr3
	s_branch .LBB126_1680
.LBB126_1672:
	s_mov_b32 s26, -1
                                        ; implicit-def: $vgpr3
	s_branch .LBB126_1677
.LBB126_1673:
	s_mov_b32 s26, -1
                                        ; implicit-def: $vgpr3
.LBB126_1674:
	s_delay_alu instid0(SALU_CYCLE_1)
	s_and_not1_b32 vcc_lo, exec_lo, s26
	s_cbranch_vccnz .LBB126_1676
; %bb.1675:
	s_wait_loadcnt 0x0
	global_load_b32 v2, v[0:1], off
	s_wait_loadcnt 0x0
	v_cvt_f32_i32_e32 v3, v2
.LBB126_1676:
	s_mov_b32 s26, 0
.LBB126_1677:
	s_delay_alu instid0(SALU_CYCLE_1)
	s_and_not1_b32 vcc_lo, exec_lo, s26
	s_cbranch_vccnz .LBB126_1679
; %bb.1678:
	s_wait_loadcnt 0x0
	global_load_i16 v2, v[0:1], off
	s_wait_loadcnt 0x0
	v_cvt_f32_i32_e32 v3, v2
.LBB126_1679:
	s_cbranch_execnz .LBB126_1685
.LBB126_1680:
	s_sext_i32_i16 s0, s0
	s_delay_alu instid0(SALU_CYCLE_1)
	s_cmp_gt_i32 s0, 0
	s_mov_b32 s0, 0
	s_cbranch_scc0 .LBB126_1682
; %bb.1681:
	s_wait_loadcnt 0x0
	global_load_i8 v2, v[0:1], off
	s_wait_loadcnt 0x0
	v_cvt_f32_i32_e32 v3, v2
	s_branch .LBB126_1683
.LBB126_1682:
	s_mov_b32 s0, -1
                                        ; implicit-def: $vgpr3
.LBB126_1683:
	s_delay_alu instid0(SALU_CYCLE_1)
	s_and_not1_b32 vcc_lo, exec_lo, s0
	s_cbranch_vccnz .LBB126_1685
; %bb.1684:
	global_load_u8 v0, v[0:1], off
	s_wait_loadcnt 0x0
	v_cvt_f32_ubyte0_e32 v3, v0
.LBB126_1685:
	s_or_b32 s28, s28, exec_lo
.LBB126_1686:
	s_wait_xcnt 0x0
	s_or_b32 exec_lo, exec_lo, s25
	s_mov_b32 s27, 0
	s_mov_b32 s29, 0
	;; [unrolled: 1-line block ×3, first 2 shown]
                                        ; implicit-def: $sgpr0
                                        ; implicit-def: $vgpr0_vgpr1
                                        ; implicit-def: $vgpr4
	s_and_saveexec_b32 s25, s28
	s_cbranch_execz .LBB126_1694
; %bb.1687:
	v_mul_lo_u32 v0, v8, s14
	s_and_b32 s0, s2, 0xff
	s_delay_alu instid0(SALU_CYCLE_1) | instskip(NEXT) | instid1(VALU_DEP_1)
	s_cmp_lt_i32 s0, 11
	v_ashrrev_i32_e32 v1, 31, v0
	s_delay_alu instid0(VALU_DEP_1)
	v_add_nc_u64_e32 v[0:1], s[8:9], v[0:1]
	s_cbranch_scc1 .LBB126_1697
; %bb.1688:
	s_and_b32 s26, 0xffff, s0
	s_mov_b32 s28, 0
	s_cmp_gt_i32 s26, 25
	s_cbranch_scc0 .LBB126_1698
; %bb.1689:
	s_cmp_gt_i32 s26, 28
	s_cbranch_scc0 .LBB126_1699
; %bb.1690:
	;; [unrolled: 3-line block ×4, first 2 shown]
	s_cmp_eq_u32 s26, 46
	s_mov_b32 s30, 0
	s_cbranch_scc0 .LBB126_1702
; %bb.1693:
	s_wait_loadcnt 0x0
	global_load_b32 v2, v[0:1], off
	s_mov_b32 s29, -1
	s_wait_loadcnt 0x0
	v_lshlrev_b32_e32 v4, 16, v2
	s_branch .LBB126_1704
.LBB126_1694:
	s_or_b32 exec_lo, exec_lo, s25
	s_and_saveexec_b32 s25, s24
	s_cbranch_execnz .LBB126_1767
.LBB126_1695:
	s_or_b32 exec_lo, exec_lo, s25
	s_and_saveexec_b32 s24, s27
	s_delay_alu instid0(SALU_CYCLE_1)
	s_xor_b32 s24, exec_lo, s24
	s_cbranch_execz .LBB126_1768
.LBB126_1696:
	s_wait_loadcnt 0x0
	global_load_u8 v2, v[0:1], off
	s_or_b32 s26, s26, exec_lo
	s_wait_loadcnt 0x0
	v_cmp_ne_u16_e32 vcc_lo, 0, v2
	v_cndmask_b32_e64 v4, 0, 1.0, vcc_lo
	s_wait_xcnt 0x0
	s_or_b32 exec_lo, exec_lo, s24
	s_and_saveexec_b32 s24, s29
	s_cbranch_execz .LBB126_1814
	s_branch .LBB126_1769
.LBB126_1697:
	s_mov_b32 s30, -1
	s_mov_b32 s28, 0
	s_mov_b32 s27, s24
                                        ; implicit-def: $vgpr4
	s_branch .LBB126_1766
.LBB126_1698:
	s_mov_b32 s27, s24
                                        ; implicit-def: $vgpr4
	s_cbranch_execnz .LBB126_1733
	s_branch .LBB126_1765
.LBB126_1699:
	s_mov_b32 s30, -1
	s_mov_b32 s27, s24
                                        ; implicit-def: $vgpr4
	s_branch .LBB126_1714
.LBB126_1700:
	s_mov_b32 s30, -1
	s_mov_b32 s27, s24
                                        ; implicit-def: $vgpr4
	s_branch .LBB126_1709
.LBB126_1701:
	s_mov_b32 s30, -1
	s_mov_b32 s27, s24
	s_branch .LBB126_1703
.LBB126_1702:
	s_mov_b32 s27, -1
.LBB126_1703:
                                        ; implicit-def: $vgpr4
.LBB126_1704:
	s_and_b32 vcc_lo, exec_lo, s30
	s_cbranch_vccz .LBB126_1708
; %bb.1705:
	s_cmp_eq_u32 s26, 44
	s_cbranch_scc0 .LBB126_1707
; %bb.1706:
	s_wait_loadcnt 0x0
	global_load_u8 v2, v[0:1], off
	s_mov_b32 s27, 0
	s_mov_b32 s29, -1
	s_wait_loadcnt 0x0
	v_lshlrev_b32_e32 v4, 23, v2
	v_cmp_ne_u32_e32 vcc_lo, 0xff, v2
	s_delay_alu instid0(VALU_DEP_2) | instskip(SKIP_1) | instid1(VALU_DEP_2)
	v_cndmask_b32_e32 v4, 0x7f800001, v4, vcc_lo
	v_cmp_ne_u32_e32 vcc_lo, 0, v2
	v_cndmask_b32_e32 v4, 0x400000, v4, vcc_lo
	s_branch .LBB126_1708
.LBB126_1707:
	s_mov_b32 s27, -1
                                        ; implicit-def: $vgpr4
.LBB126_1708:
	s_mov_b32 s30, 0
.LBB126_1709:
	s_delay_alu instid0(SALU_CYCLE_1)
	s_and_b32 vcc_lo, exec_lo, s30
	s_cbranch_vccz .LBB126_1713
; %bb.1710:
	s_cmp_eq_u32 s26, 29
	s_cbranch_scc0 .LBB126_1712
; %bb.1711:
	s_wait_loadcnt 0x0
	global_load_b64 v[4:5], v[0:1], off
	s_mov_b32 s27, 0
	s_mov_b32 s29, -1
	s_mov_b32 s30, 0
	s_wait_loadcnt 0x0
	v_clz_i32_u32_e32 v2, v5
	s_delay_alu instid0(VALU_DEP_1) | instskip(NEXT) | instid1(VALU_DEP_1)
	v_min_u32_e32 v2, 32, v2
	v_lshlrev_b64_e32 v[4:5], v2, v[4:5]
	v_sub_nc_u32_e32 v2, 32, v2
	s_delay_alu instid0(VALU_DEP_2) | instskip(NEXT) | instid1(VALU_DEP_1)
	v_min_u32_e32 v4, 1, v4
	v_or_b32_e32 v4, v5, v4
	s_delay_alu instid0(VALU_DEP_1) | instskip(NEXT) | instid1(VALU_DEP_1)
	v_cvt_f32_u32_e32 v4, v4
	v_ldexp_f32 v4, v4, v2
	s_branch .LBB126_1714
.LBB126_1712:
	s_mov_b32 s27, -1
                                        ; implicit-def: $vgpr4
.LBB126_1713:
	s_mov_b32 s30, 0
.LBB126_1714:
	s_delay_alu instid0(SALU_CYCLE_1)
	s_and_b32 vcc_lo, exec_lo, s30
	s_cbranch_vccz .LBB126_1732
; %bb.1715:
	s_cmp_lt_i32 s26, 27
	s_cbranch_scc1 .LBB126_1718
; %bb.1716:
	s_cmp_gt_i32 s26, 27
	s_cbranch_scc0 .LBB126_1719
; %bb.1717:
	s_wait_loadcnt 0x0
	global_load_b32 v2, v[0:1], off
	s_mov_b32 s29, 0
	s_wait_loadcnt 0x0
	v_cvt_f32_u32_e32 v4, v2
	s_branch .LBB126_1720
.LBB126_1718:
	s_mov_b32 s29, -1
                                        ; implicit-def: $vgpr4
	s_branch .LBB126_1723
.LBB126_1719:
	s_mov_b32 s29, -1
                                        ; implicit-def: $vgpr4
.LBB126_1720:
	s_delay_alu instid0(SALU_CYCLE_1)
	s_and_not1_b32 vcc_lo, exec_lo, s29
	s_cbranch_vccnz .LBB126_1722
; %bb.1721:
	s_wait_loadcnt 0x0
	global_load_u16 v2, v[0:1], off
	s_wait_loadcnt 0x0
	v_cvt_f32_u32_e32 v4, v2
.LBB126_1722:
	s_mov_b32 s29, 0
.LBB126_1723:
	s_delay_alu instid0(SALU_CYCLE_1)
	s_and_not1_b32 vcc_lo, exec_lo, s29
	s_cbranch_vccnz .LBB126_1731
; %bb.1724:
	s_wait_loadcnt 0x0
	global_load_u8 v2, v[0:1], off
	s_mov_b32 s29, 0
	s_mov_b32 s30, exec_lo
	s_wait_loadcnt 0x0
	v_cmpx_lt_i16_e32 0x7f, v2
	s_xor_b32 s30, exec_lo, s30
	s_cbranch_execz .LBB126_1744
; %bb.1725:
	s_mov_b32 s29, -1
	s_mov_b32 s31, exec_lo
	v_cmpx_eq_u16_e32 0x80, v2
; %bb.1726:
	s_xor_b32 s29, exec_lo, -1
; %bb.1727:
	s_or_b32 exec_lo, exec_lo, s31
	s_delay_alu instid0(SALU_CYCLE_1)
	s_and_b32 s29, s29, exec_lo
	s_or_saveexec_b32 s30, s30
	v_mov_b32_e32 v4, 0x7f800001
	s_xor_b32 exec_lo, exec_lo, s30
	s_cbranch_execnz .LBB126_1745
.LBB126_1728:
	s_or_b32 exec_lo, exec_lo, s30
	s_and_saveexec_b32 s30, s29
	s_cbranch_execz .LBB126_1730
.LBB126_1729:
	v_and_b32_e32 v4, 0xffff, v2
	s_delay_alu instid0(VALU_DEP_1) | instskip(SKIP_1) | instid1(VALU_DEP_2)
	v_and_b32_e32 v5, 7, v4
	v_bfe_u32 v9, v4, 3, 4
	v_clz_i32_u32_e32 v6, v5
	s_delay_alu instid0(VALU_DEP_2) | instskip(NEXT) | instid1(VALU_DEP_2)
	v_cmp_eq_u32_e32 vcc_lo, 0, v9
	v_min_u32_e32 v6, 32, v6
	s_delay_alu instid0(VALU_DEP_1) | instskip(NEXT) | instid1(VALU_DEP_1)
	v_subrev_nc_u32_e32 v7, 28, v6
	v_dual_lshlrev_b32 v4, v7, v4 :: v_dual_sub_nc_u32 v6, 29, v6
	s_delay_alu instid0(VALU_DEP_1) | instskip(NEXT) | instid1(VALU_DEP_1)
	v_dual_lshlrev_b32 v2, 24, v2 :: v_dual_bitop2_b32 v4, 7, v4 bitop3:0x40
	v_cndmask_b32_e32 v4, v5, v4, vcc_lo
	s_delay_alu instid0(VALU_DEP_3) | instskip(NEXT) | instid1(VALU_DEP_3)
	v_cndmask_b32_e32 v6, v9, v6, vcc_lo
	v_and_b32_e32 v2, 0x80000000, v2
	s_delay_alu instid0(VALU_DEP_3) | instskip(NEXT) | instid1(VALU_DEP_3)
	v_lshlrev_b32_e32 v4, 20, v4
	v_lshl_add_u32 v5, v6, 23, 0x3b800000
	s_delay_alu instid0(VALU_DEP_1)
	v_or3_b32 v4, v2, v5, v4
.LBB126_1730:
	s_or_b32 exec_lo, exec_lo, s30
.LBB126_1731:
	s_mov_b32 s29, -1
.LBB126_1732:
	s_branch .LBB126_1765
.LBB126_1733:
	s_cmp_gt_i32 s26, 22
	s_cbranch_scc0 .LBB126_1743
; %bb.1734:
	s_cmp_lt_i32 s26, 24
	s_cbranch_scc1 .LBB126_1746
; %bb.1735:
	s_cmp_gt_i32 s26, 24
	s_cbranch_scc0 .LBB126_1747
; %bb.1736:
	s_wait_loadcnt 0x0
	global_load_u8 v2, v[0:1], off
	s_mov_b32 s29, exec_lo
	s_wait_loadcnt 0x0
	v_cmpx_lt_i16_e32 0x7f, v2
	s_xor_b32 s29, exec_lo, s29
	s_cbranch_execz .LBB126_1759
; %bb.1737:
	s_mov_b32 s28, -1
	s_mov_b32 s30, exec_lo
	v_cmpx_eq_u16_e32 0x80, v2
; %bb.1738:
	s_xor_b32 s28, exec_lo, -1
; %bb.1739:
	s_or_b32 exec_lo, exec_lo, s30
	s_delay_alu instid0(SALU_CYCLE_1)
	s_and_b32 s28, s28, exec_lo
	s_or_saveexec_b32 s29, s29
	v_mov_b32_e32 v4, 0x7f800001
	s_xor_b32 exec_lo, exec_lo, s29
	s_cbranch_execnz .LBB126_1760
.LBB126_1740:
	s_or_b32 exec_lo, exec_lo, s29
	s_and_saveexec_b32 s29, s28
	s_cbranch_execz .LBB126_1742
.LBB126_1741:
	v_and_b32_e32 v4, 0xffff, v2
	s_delay_alu instid0(VALU_DEP_1) | instskip(SKIP_1) | instid1(VALU_DEP_2)
	v_and_b32_e32 v5, 3, v4
	v_bfe_u32 v9, v4, 2, 5
	v_clz_i32_u32_e32 v6, v5
	s_delay_alu instid0(VALU_DEP_2) | instskip(NEXT) | instid1(VALU_DEP_2)
	v_cmp_eq_u32_e32 vcc_lo, 0, v9
	v_min_u32_e32 v6, 32, v6
	s_delay_alu instid0(VALU_DEP_1) | instskip(NEXT) | instid1(VALU_DEP_1)
	v_subrev_nc_u32_e32 v7, 29, v6
	v_dual_lshlrev_b32 v4, v7, v4 :: v_dual_sub_nc_u32 v6, 30, v6
	s_delay_alu instid0(VALU_DEP_1) | instskip(NEXT) | instid1(VALU_DEP_1)
	v_dual_lshlrev_b32 v2, 24, v2 :: v_dual_bitop2_b32 v4, 3, v4 bitop3:0x40
	v_cndmask_b32_e32 v4, v5, v4, vcc_lo
	s_delay_alu instid0(VALU_DEP_3) | instskip(NEXT) | instid1(VALU_DEP_3)
	v_cndmask_b32_e32 v6, v9, v6, vcc_lo
	v_and_b32_e32 v2, 0x80000000, v2
	s_delay_alu instid0(VALU_DEP_3) | instskip(NEXT) | instid1(VALU_DEP_3)
	v_lshlrev_b32_e32 v4, 21, v4
	v_lshl_add_u32 v5, v6, 23, 0x37800000
	s_delay_alu instid0(VALU_DEP_1)
	v_or3_b32 v4, v2, v5, v4
.LBB126_1742:
	s_or_b32 exec_lo, exec_lo, s29
	s_mov_b32 s28, 0
	s_branch .LBB126_1748
.LBB126_1743:
	s_mov_b32 s28, -1
                                        ; implicit-def: $vgpr4
	s_branch .LBB126_1754
.LBB126_1744:
	s_or_saveexec_b32 s30, s30
	v_mov_b32_e32 v4, 0x7f800001
	s_xor_b32 exec_lo, exec_lo, s30
	s_cbranch_execz .LBB126_1728
.LBB126_1745:
	v_cmp_ne_u16_e32 vcc_lo, 0, v2
	v_mov_b32_e32 v4, 0
	s_and_not1_b32 s29, s29, exec_lo
	s_and_b32 s31, vcc_lo, exec_lo
	s_delay_alu instid0(SALU_CYCLE_1)
	s_or_b32 s29, s29, s31
	s_or_b32 exec_lo, exec_lo, s30
	s_and_saveexec_b32 s30, s29
	s_cbranch_execnz .LBB126_1729
	s_branch .LBB126_1730
.LBB126_1746:
	s_mov_b32 s28, -1
                                        ; implicit-def: $vgpr4
	s_branch .LBB126_1751
.LBB126_1747:
	s_mov_b32 s28, -1
                                        ; implicit-def: $vgpr4
.LBB126_1748:
	s_delay_alu instid0(SALU_CYCLE_1)
	s_and_b32 vcc_lo, exec_lo, s28
	s_cbranch_vccz .LBB126_1750
; %bb.1749:
	s_wait_loadcnt 0x0
	global_load_u8 v2, v[0:1], off
	s_wait_loadcnt 0x0
	v_lshlrev_b32_e32 v2, 24, v2
	s_delay_alu instid0(VALU_DEP_1) | instskip(NEXT) | instid1(VALU_DEP_1)
	v_and_b32_e32 v4, 0x7f000000, v2
	v_clz_i32_u32_e32 v5, v4
	v_cmp_ne_u32_e32 vcc_lo, 0, v4
	v_add_nc_u32_e32 v7, 0x1000000, v4
	s_delay_alu instid0(VALU_DEP_3) | instskip(NEXT) | instid1(VALU_DEP_1)
	v_min_u32_e32 v5, 32, v5
	v_sub_nc_u32_e64 v5, v5, 4 clamp
	s_delay_alu instid0(VALU_DEP_1) | instskip(NEXT) | instid1(VALU_DEP_1)
	v_dual_lshlrev_b32 v6, v5, v4 :: v_dual_lshlrev_b32 v5, 23, v5
	v_lshrrev_b32_e32 v6, 4, v6
	s_delay_alu instid0(VALU_DEP_1) | instskip(NEXT) | instid1(VALU_DEP_1)
	v_dual_sub_nc_u32 v5, v6, v5 :: v_dual_ashrrev_i32 v6, 8, v7
	v_add_nc_u32_e32 v5, 0x3c000000, v5
	s_delay_alu instid0(VALU_DEP_1) | instskip(NEXT) | instid1(VALU_DEP_1)
	v_and_or_b32 v5, 0x7f800000, v6, v5
	v_cndmask_b32_e32 v4, 0, v5, vcc_lo
	s_delay_alu instid0(VALU_DEP_1)
	v_and_or_b32 v4, 0x80000000, v2, v4
.LBB126_1750:
	s_mov_b32 s28, 0
.LBB126_1751:
	s_delay_alu instid0(SALU_CYCLE_1)
	s_and_not1_b32 vcc_lo, exec_lo, s28
	s_cbranch_vccnz .LBB126_1753
; %bb.1752:
	s_wait_loadcnt 0x0
	global_load_u8 v2, v[0:1], off
	s_wait_loadcnt 0x0
	v_lshlrev_b32_e32 v4, 25, v2
	v_lshlrev_b16 v2, 8, v2
	s_delay_alu instid0(VALU_DEP_1) | instskip(NEXT) | instid1(VALU_DEP_3)
	v_and_or_b32 v6, 0x7f00, v2, 0.5
	v_lshrrev_b32_e32 v5, 4, v4
	v_bfe_i32 v2, v2, 0, 16
	s_delay_alu instid0(VALU_DEP_3) | instskip(NEXT) | instid1(VALU_DEP_3)
	v_add_f32_e32 v6, -0.5, v6
	v_or_b32_e32 v5, 0x70000000, v5
	s_delay_alu instid0(VALU_DEP_1) | instskip(SKIP_1) | instid1(VALU_DEP_2)
	v_mul_f32_e32 v5, 0x7800000, v5
	v_cmp_gt_u32_e32 vcc_lo, 0x8000000, v4
	v_cndmask_b32_e32 v4, v5, v6, vcc_lo
	s_delay_alu instid0(VALU_DEP_1)
	v_and_or_b32 v4, 0x80000000, v2, v4
.LBB126_1753:
	s_mov_b32 s28, 0
	s_mov_b32 s29, -1
.LBB126_1754:
	s_and_not1_b32 vcc_lo, exec_lo, s28
	s_mov_b32 s28, 0
	s_cbranch_vccnz .LBB126_1765
; %bb.1755:
	s_cmp_gt_i32 s26, 14
	s_cbranch_scc0 .LBB126_1758
; %bb.1756:
	s_cmp_eq_u32 s26, 15
	s_cbranch_scc0 .LBB126_1761
; %bb.1757:
	s_wait_loadcnt 0x0
	global_load_u16 v2, v[0:1], off
	s_mov_b32 s27, 0
	s_mov_b32 s29, -1
	s_wait_loadcnt 0x0
	v_lshlrev_b32_e32 v4, 16, v2
	s_branch .LBB126_1763
.LBB126_1758:
	s_mov_b32 s28, -1
	s_branch .LBB126_1762
.LBB126_1759:
	s_or_saveexec_b32 s29, s29
	v_mov_b32_e32 v4, 0x7f800001
	s_xor_b32 exec_lo, exec_lo, s29
	s_cbranch_execz .LBB126_1740
.LBB126_1760:
	v_cmp_ne_u16_e32 vcc_lo, 0, v2
	v_mov_b32_e32 v4, 0
	s_and_not1_b32 s28, s28, exec_lo
	s_and_b32 s30, vcc_lo, exec_lo
	s_delay_alu instid0(SALU_CYCLE_1)
	s_or_b32 s28, s28, s30
	s_or_b32 exec_lo, exec_lo, s29
	s_and_saveexec_b32 s29, s28
	s_cbranch_execnz .LBB126_1741
	s_branch .LBB126_1742
.LBB126_1761:
	s_mov_b32 s27, -1
.LBB126_1762:
                                        ; implicit-def: $vgpr4
.LBB126_1763:
	s_and_b32 vcc_lo, exec_lo, s28
	s_mov_b32 s28, 0
	s_cbranch_vccz .LBB126_1765
; %bb.1764:
	s_cmp_lg_u32 s26, 11
	s_mov_b32 s28, -1
	s_cselect_b32 s26, -1, 0
	s_and_not1_b32 s27, s27, exec_lo
	s_and_b32 s26, s26, exec_lo
	s_delay_alu instid0(SALU_CYCLE_1)
	s_or_b32 s27, s27, s26
.LBB126_1765:
	s_mov_b32 s30, 0
.LBB126_1766:
	s_and_b32 s26, s29, exec_lo
	s_and_b32 s29, s30, exec_lo
	s_and_not1_b32 s24, s24, exec_lo
	s_and_b32 s30, s27, exec_lo
	s_and_b32 s27, s28, exec_lo
	s_or_b32 s24, s24, s30
	s_wait_xcnt 0x0
	s_or_b32 exec_lo, exec_lo, s25
	s_and_saveexec_b32 s25, s24
	s_cbranch_execz .LBB126_1695
.LBB126_1767:
	s_or_b32 s22, s22, exec_lo
	s_and_not1_b32 s27, s27, exec_lo
	s_trap 2
	s_or_b32 exec_lo, exec_lo, s25
	s_and_saveexec_b32 s24, s27
	s_delay_alu instid0(SALU_CYCLE_1)
	s_xor_b32 s24, exec_lo, s24
	s_cbranch_execnz .LBB126_1696
.LBB126_1768:
	s_or_b32 exec_lo, exec_lo, s24
	s_and_saveexec_b32 s24, s29
	s_cbranch_execz .LBB126_1814
.LBB126_1769:
	s_sext_i32_i16 s25, s0
	s_delay_alu instid0(SALU_CYCLE_1)
	s_cmp_lt_i32 s25, 5
	s_cbranch_scc1 .LBB126_1774
; %bb.1770:
	s_cmp_lt_i32 s25, 8
	s_cbranch_scc1 .LBB126_1775
; %bb.1771:
	;; [unrolled: 3-line block ×3, first 2 shown]
	s_cmp_gt_i32 s25, 9
	s_cbranch_scc0 .LBB126_1777
; %bb.1773:
	s_wait_loadcnt 0x0
	global_load_b64 v[4:5], v[0:1], off
	s_mov_b32 s25, 0
	s_wait_loadcnt 0x0
	v_cvt_f32_f64_e32 v4, v[4:5]
	s_branch .LBB126_1778
.LBB126_1774:
                                        ; implicit-def: $vgpr4
	s_branch .LBB126_1795
.LBB126_1775:
                                        ; implicit-def: $vgpr4
	s_branch .LBB126_1784
.LBB126_1776:
	s_mov_b32 s25, -1
                                        ; implicit-def: $vgpr4
	s_branch .LBB126_1781
.LBB126_1777:
	s_mov_b32 s25, -1
                                        ; implicit-def: $vgpr4
.LBB126_1778:
	s_delay_alu instid0(SALU_CYCLE_1)
	s_and_not1_b32 vcc_lo, exec_lo, s25
	s_cbranch_vccnz .LBB126_1780
; %bb.1779:
	s_wait_loadcnt 0x0
	global_load_b32 v4, v[0:1], off
.LBB126_1780:
	s_mov_b32 s25, 0
.LBB126_1781:
	s_delay_alu instid0(SALU_CYCLE_1)
	s_and_not1_b32 vcc_lo, exec_lo, s25
	s_cbranch_vccnz .LBB126_1783
; %bb.1782:
	s_wait_loadcnt 0x0
	global_load_b32 v2, v[0:1], off
	s_wait_loadcnt 0x0
	v_cvt_f32_f16_e32 v4, v2
.LBB126_1783:
	s_cbranch_execnz .LBB126_1794
.LBB126_1784:
	s_sext_i32_i16 s25, s0
	s_delay_alu instid0(SALU_CYCLE_1)
	s_cmp_lt_i32 s25, 6
	s_cbranch_scc1 .LBB126_1787
; %bb.1785:
	s_cmp_gt_i32 s25, 6
	s_cbranch_scc0 .LBB126_1788
; %bb.1786:
	s_wait_loadcnt 0x0
	global_load_b64 v[4:5], v[0:1], off
	s_mov_b32 s25, 0
	s_wait_loadcnt 0x0
	v_cvt_f32_f64_e32 v4, v[4:5]
	s_branch .LBB126_1789
.LBB126_1787:
	s_mov_b32 s25, -1
                                        ; implicit-def: $vgpr4
	s_branch .LBB126_1792
.LBB126_1788:
	s_mov_b32 s25, -1
                                        ; implicit-def: $vgpr4
.LBB126_1789:
	s_delay_alu instid0(SALU_CYCLE_1)
	s_and_not1_b32 vcc_lo, exec_lo, s25
	s_cbranch_vccnz .LBB126_1791
; %bb.1790:
	s_wait_loadcnt 0x0
	global_load_b32 v4, v[0:1], off
.LBB126_1791:
	s_mov_b32 s25, 0
.LBB126_1792:
	s_delay_alu instid0(SALU_CYCLE_1)
	s_and_not1_b32 vcc_lo, exec_lo, s25
	s_cbranch_vccnz .LBB126_1794
; %bb.1793:
	s_wait_loadcnt 0x0
	global_load_u16 v2, v[0:1], off
	s_wait_loadcnt 0x0
	v_cvt_f32_f16_e32 v4, v2
.LBB126_1794:
	s_cbranch_execnz .LBB126_1813
.LBB126_1795:
	s_sext_i32_i16 s25, s0
	s_delay_alu instid0(SALU_CYCLE_1)
	s_cmp_lt_i32 s25, 2
	s_cbranch_scc1 .LBB126_1799
; %bb.1796:
	s_cmp_lt_i32 s25, 3
	s_cbranch_scc1 .LBB126_1800
; %bb.1797:
	s_cmp_gt_i32 s25, 3
	s_cbranch_scc0 .LBB126_1801
; %bb.1798:
	s_wait_loadcnt 0x0
	global_load_b64 v[4:5], v[0:1], off
	s_mov_b32 s25, 0
	s_wait_loadcnt 0x0
	v_xor_b32_e32 v2, v4, v5
	v_cls_i32_e32 v6, v5
	s_delay_alu instid0(VALU_DEP_2) | instskip(NEXT) | instid1(VALU_DEP_1)
	v_ashrrev_i32_e32 v2, 31, v2
	v_add_nc_u32_e32 v2, 32, v2
	s_delay_alu instid0(VALU_DEP_1) | instskip(NEXT) | instid1(VALU_DEP_1)
	v_add_min_u32_e64 v2, v6, -1, v2
	v_lshlrev_b64_e32 v[4:5], v2, v[4:5]
	v_sub_nc_u32_e32 v2, 32, v2
	s_delay_alu instid0(VALU_DEP_2) | instskip(NEXT) | instid1(VALU_DEP_1)
	v_min_u32_e32 v4, 1, v4
	v_or_b32_e32 v4, v5, v4
	s_delay_alu instid0(VALU_DEP_1) | instskip(NEXT) | instid1(VALU_DEP_1)
	v_cvt_f32_i32_e32 v4, v4
	v_ldexp_f32 v4, v4, v2
	s_branch .LBB126_1802
.LBB126_1799:
                                        ; implicit-def: $vgpr4
	s_branch .LBB126_1808
.LBB126_1800:
	s_mov_b32 s25, -1
                                        ; implicit-def: $vgpr4
	s_branch .LBB126_1805
.LBB126_1801:
	s_mov_b32 s25, -1
                                        ; implicit-def: $vgpr4
.LBB126_1802:
	s_delay_alu instid0(SALU_CYCLE_1)
	s_and_not1_b32 vcc_lo, exec_lo, s25
	s_cbranch_vccnz .LBB126_1804
; %bb.1803:
	s_wait_loadcnt 0x0
	global_load_b32 v2, v[0:1], off
	s_wait_loadcnt 0x0
	v_cvt_f32_i32_e32 v4, v2
.LBB126_1804:
	s_mov_b32 s25, 0
.LBB126_1805:
	s_delay_alu instid0(SALU_CYCLE_1)
	s_and_not1_b32 vcc_lo, exec_lo, s25
	s_cbranch_vccnz .LBB126_1807
; %bb.1806:
	s_wait_loadcnt 0x0
	global_load_i16 v2, v[0:1], off
	s_wait_loadcnt 0x0
	v_cvt_f32_i32_e32 v4, v2
.LBB126_1807:
	s_cbranch_execnz .LBB126_1813
.LBB126_1808:
	s_sext_i32_i16 s0, s0
	s_delay_alu instid0(SALU_CYCLE_1)
	s_cmp_gt_i32 s0, 0
	s_mov_b32 s0, 0
	s_cbranch_scc0 .LBB126_1810
; %bb.1809:
	s_wait_loadcnt 0x0
	global_load_i8 v2, v[0:1], off
	s_wait_loadcnt 0x0
	v_cvt_f32_i32_e32 v4, v2
	s_branch .LBB126_1811
.LBB126_1810:
	s_mov_b32 s0, -1
                                        ; implicit-def: $vgpr4
.LBB126_1811:
	s_delay_alu instid0(SALU_CYCLE_1)
	s_and_not1_b32 vcc_lo, exec_lo, s0
	s_cbranch_vccnz .LBB126_1813
; %bb.1812:
	global_load_u8 v0, v[0:1], off
	s_wait_loadcnt 0x0
	v_cvt_f32_ubyte0_e32 v4, v0
.LBB126_1813:
	s_or_b32 s26, s26, exec_lo
.LBB126_1814:
	s_wait_xcnt 0x0
	s_or_b32 exec_lo, exec_lo, s24
	s_mov_b32 s25, 0
	s_mov_b32 s24, 0
	;; [unrolled: 1-line block ×3, first 2 shown]
                                        ; implicit-def: $vgpr0_vgpr1
                                        ; implicit-def: $vgpr5
	s_and_saveexec_b32 s0, s26
	s_cbranch_execz .LBB126_1822
; %bb.1815:
	v_mul_lo_u32 v0, v8, s15
	s_and_b32 s24, 0xffff, s1
	s_delay_alu instid0(SALU_CYCLE_1) | instskip(NEXT) | instid1(VALU_DEP_1)
	s_cmp_lt_i32 s24, 11
	v_ashrrev_i32_e32 v1, 31, v0
	s_delay_alu instid0(VALU_DEP_1)
	v_add_nc_u64_e32 v[0:1], s[10:11], v[0:1]
	s_cbranch_scc1 .LBB126_1825
; %bb.1816:
	s_cmp_gt_i32 s24, 25
	s_mov_b32 s26, 0
	s_cbranch_scc0 .LBB126_1826
; %bb.1817:
	s_cmp_gt_i32 s24, 28
	s_cbranch_scc0 .LBB126_1827
; %bb.1818:
	s_cmp_gt_i32 s24, 43
	;; [unrolled: 3-line block ×3, first 2 shown]
	s_cbranch_scc0 .LBB126_1829
; %bb.1820:
	s_cmp_eq_u32 s24, 46
	s_mov_b32 s28, 0
	s_cbranch_scc0 .LBB126_1830
; %bb.1821:
	s_wait_loadcnt 0x0
	global_load_b32 v2, v[0:1], off
	s_mov_b32 s27, -1
	s_wait_loadcnt 0x0
	v_lshlrev_b32_e32 v5, 16, v2
	s_branch .LBB126_1832
.LBB126_1822:
	s_or_b32 exec_lo, exec_lo, s0
	s_and_saveexec_b32 s0, s23
	s_cbranch_execnz .LBB126_1895
.LBB126_1823:
	s_or_b32 exec_lo, exec_lo, s0
	s_and_saveexec_b32 s0, s25
	s_delay_alu instid0(SALU_CYCLE_1)
	s_xor_b32 s0, exec_lo, s0
	s_cbranch_execz .LBB126_1896
.LBB126_1824:
	s_wait_loadcnt 0x0
	global_load_u8 v2, v[0:1], off
	s_or_b32 s27, s27, exec_lo
	s_wait_loadcnt 0x0
	v_cmp_ne_u16_e32 vcc_lo, 0, v2
	v_cndmask_b32_e64 v5, 0, 1.0, vcc_lo
	s_wait_xcnt 0x0
	s_or_b32 exec_lo, exec_lo, s0
	s_and_saveexec_b32 s0, s24
	s_cbranch_execz .LBB126_1942
	s_branch .LBB126_1897
.LBB126_1825:
	s_mov_b32 s24, -1
	s_mov_b32 s26, 0
	s_mov_b32 s25, s23
                                        ; implicit-def: $vgpr5
	s_branch .LBB126_1894
.LBB126_1826:
	s_mov_b32 s25, s23
                                        ; implicit-def: $vgpr5
	s_cbranch_execnz .LBB126_1861
	s_branch .LBB126_1893
.LBB126_1827:
	s_mov_b32 s28, -1
	s_mov_b32 s25, s23
                                        ; implicit-def: $vgpr5
	s_branch .LBB126_1842
.LBB126_1828:
	s_mov_b32 s28, -1
	s_mov_b32 s25, s23
                                        ; implicit-def: $vgpr5
	s_branch .LBB126_1837
.LBB126_1829:
	s_mov_b32 s28, -1
	s_mov_b32 s25, s23
	s_branch .LBB126_1831
.LBB126_1830:
	s_mov_b32 s25, -1
.LBB126_1831:
                                        ; implicit-def: $vgpr5
.LBB126_1832:
	s_and_b32 vcc_lo, exec_lo, s28
	s_cbranch_vccz .LBB126_1836
; %bb.1833:
	s_cmp_eq_u32 s24, 44
	s_cbranch_scc0 .LBB126_1835
; %bb.1834:
	s_wait_loadcnt 0x0
	global_load_u8 v2, v[0:1], off
	s_mov_b32 s25, 0
	s_mov_b32 s27, -1
	s_wait_loadcnt 0x0
	v_lshlrev_b32_e32 v5, 23, v2
	v_cmp_ne_u32_e32 vcc_lo, 0xff, v2
	s_delay_alu instid0(VALU_DEP_2) | instskip(SKIP_1) | instid1(VALU_DEP_2)
	v_cndmask_b32_e32 v5, 0x7f800001, v5, vcc_lo
	v_cmp_ne_u32_e32 vcc_lo, 0, v2
	v_cndmask_b32_e32 v5, 0x400000, v5, vcc_lo
	s_branch .LBB126_1836
.LBB126_1835:
	s_mov_b32 s25, -1
                                        ; implicit-def: $vgpr5
.LBB126_1836:
	s_mov_b32 s28, 0
.LBB126_1837:
	s_delay_alu instid0(SALU_CYCLE_1)
	s_and_b32 vcc_lo, exec_lo, s28
	s_cbranch_vccz .LBB126_1841
; %bb.1838:
	s_cmp_eq_u32 s24, 29
	s_cbranch_scc0 .LBB126_1840
; %bb.1839:
	global_load_b64 v[6:7], v[0:1], off
	s_mov_b32 s25, 0
	s_mov_b32 s27, -1
	s_mov_b32 s28, 0
	s_wait_loadcnt 0x0
	v_clz_i32_u32_e32 v2, v7
	s_delay_alu instid0(VALU_DEP_1) | instskip(NEXT) | instid1(VALU_DEP_1)
	v_min_u32_e32 v2, 32, v2
	v_lshlrev_b64_e32 v[6:7], v2, v[6:7]
	v_sub_nc_u32_e32 v2, 32, v2
	s_delay_alu instid0(VALU_DEP_2) | instskip(NEXT) | instid1(VALU_DEP_1)
	v_min_u32_e32 v5, 1, v6
	v_or_b32_e32 v5, v7, v5
	s_delay_alu instid0(VALU_DEP_1) | instskip(NEXT) | instid1(VALU_DEP_1)
	v_cvt_f32_u32_e32 v5, v5
	v_ldexp_f32 v5, v5, v2
	s_branch .LBB126_1842
.LBB126_1840:
	s_mov_b32 s25, -1
                                        ; implicit-def: $vgpr5
.LBB126_1841:
	s_mov_b32 s28, 0
.LBB126_1842:
	s_delay_alu instid0(SALU_CYCLE_1)
	s_and_b32 vcc_lo, exec_lo, s28
	s_cbranch_vccz .LBB126_1860
; %bb.1843:
	s_cmp_lt_i32 s24, 27
	s_cbranch_scc1 .LBB126_1846
; %bb.1844:
	s_cmp_gt_i32 s24, 27
	s_cbranch_scc0 .LBB126_1847
; %bb.1845:
	s_wait_loadcnt 0x0
	global_load_b32 v2, v[0:1], off
	s_mov_b32 s27, 0
	s_wait_loadcnt 0x0
	v_cvt_f32_u32_e32 v5, v2
	s_branch .LBB126_1848
.LBB126_1846:
	s_mov_b32 s27, -1
                                        ; implicit-def: $vgpr5
	s_branch .LBB126_1851
.LBB126_1847:
	s_mov_b32 s27, -1
                                        ; implicit-def: $vgpr5
.LBB126_1848:
	s_delay_alu instid0(SALU_CYCLE_1)
	s_and_not1_b32 vcc_lo, exec_lo, s27
	s_cbranch_vccnz .LBB126_1850
; %bb.1849:
	s_wait_loadcnt 0x0
	global_load_u16 v2, v[0:1], off
	s_wait_loadcnt 0x0
	v_cvt_f32_u32_e32 v5, v2
.LBB126_1850:
	s_mov_b32 s27, 0
.LBB126_1851:
	s_delay_alu instid0(SALU_CYCLE_1)
	s_and_not1_b32 vcc_lo, exec_lo, s27
	s_cbranch_vccnz .LBB126_1859
; %bb.1852:
	s_wait_loadcnt 0x0
	global_load_u8 v2, v[0:1], off
	s_mov_b32 s27, 0
	s_mov_b32 s28, exec_lo
	s_wait_loadcnt 0x0
	v_cmpx_lt_i16_e32 0x7f, v2
	s_xor_b32 s28, exec_lo, s28
	s_cbranch_execz .LBB126_1872
; %bb.1853:
	s_mov_b32 s27, -1
	s_mov_b32 s29, exec_lo
	v_cmpx_eq_u16_e32 0x80, v2
; %bb.1854:
	s_xor_b32 s27, exec_lo, -1
; %bb.1855:
	s_or_b32 exec_lo, exec_lo, s29
	s_delay_alu instid0(SALU_CYCLE_1)
	s_and_b32 s27, s27, exec_lo
	s_or_saveexec_b32 s28, s28
	v_mov_b32_e32 v5, 0x7f800001
	s_xor_b32 exec_lo, exec_lo, s28
	s_cbranch_execnz .LBB126_1873
.LBB126_1856:
	s_or_b32 exec_lo, exec_lo, s28
	s_and_saveexec_b32 s28, s27
	s_cbranch_execz .LBB126_1858
.LBB126_1857:
	v_and_b32_e32 v5, 0xffff, v2
	s_delay_alu instid0(VALU_DEP_1) | instskip(SKIP_1) | instid1(VALU_DEP_2)
	v_and_b32_e32 v6, 7, v5
	v_bfe_u32 v10, v5, 3, 4
	v_clz_i32_u32_e32 v7, v6
	s_delay_alu instid0(VALU_DEP_2) | instskip(NEXT) | instid1(VALU_DEP_2)
	v_cmp_eq_u32_e32 vcc_lo, 0, v10
	v_min_u32_e32 v7, 32, v7
	s_delay_alu instid0(VALU_DEP_1) | instskip(NEXT) | instid1(VALU_DEP_1)
	v_subrev_nc_u32_e32 v9, 28, v7
	v_dual_lshlrev_b32 v5, v9, v5 :: v_dual_sub_nc_u32 v7, 29, v7
	s_delay_alu instid0(VALU_DEP_1) | instskip(NEXT) | instid1(VALU_DEP_2)
	v_dual_lshlrev_b32 v2, 24, v2 :: v_dual_bitop2_b32 v5, 7, v5 bitop3:0x40
	v_cndmask_b32_e32 v7, v10, v7, vcc_lo
	s_delay_alu instid0(VALU_DEP_2) | instskip(NEXT) | instid1(VALU_DEP_3)
	v_cndmask_b32_e32 v5, v6, v5, vcc_lo
	v_and_b32_e32 v2, 0x80000000, v2
	s_delay_alu instid0(VALU_DEP_3) | instskip(NEXT) | instid1(VALU_DEP_3)
	v_lshl_add_u32 v6, v7, 23, 0x3b800000
	v_lshlrev_b32_e32 v5, 20, v5
	s_delay_alu instid0(VALU_DEP_1)
	v_or3_b32 v5, v2, v6, v5
.LBB126_1858:
	s_or_b32 exec_lo, exec_lo, s28
.LBB126_1859:
	s_mov_b32 s27, -1
.LBB126_1860:
	s_branch .LBB126_1893
.LBB126_1861:
	s_cmp_gt_i32 s24, 22
	s_cbranch_scc0 .LBB126_1871
; %bb.1862:
	s_cmp_lt_i32 s24, 24
	s_cbranch_scc1 .LBB126_1874
; %bb.1863:
	s_cmp_gt_i32 s24, 24
	s_cbranch_scc0 .LBB126_1875
; %bb.1864:
	s_wait_loadcnt 0x0
	global_load_u8 v2, v[0:1], off
	s_mov_b32 s27, exec_lo
	s_wait_loadcnt 0x0
	v_cmpx_lt_i16_e32 0x7f, v2
	s_xor_b32 s27, exec_lo, s27
	s_cbranch_execz .LBB126_1887
; %bb.1865:
	s_mov_b32 s26, -1
	s_mov_b32 s28, exec_lo
	v_cmpx_eq_u16_e32 0x80, v2
; %bb.1866:
	s_xor_b32 s26, exec_lo, -1
; %bb.1867:
	s_or_b32 exec_lo, exec_lo, s28
	s_delay_alu instid0(SALU_CYCLE_1)
	s_and_b32 s26, s26, exec_lo
	s_or_saveexec_b32 s27, s27
	v_mov_b32_e32 v5, 0x7f800001
	s_xor_b32 exec_lo, exec_lo, s27
	s_cbranch_execnz .LBB126_1888
.LBB126_1868:
	s_or_b32 exec_lo, exec_lo, s27
	s_and_saveexec_b32 s27, s26
	s_cbranch_execz .LBB126_1870
.LBB126_1869:
	v_and_b32_e32 v5, 0xffff, v2
	s_delay_alu instid0(VALU_DEP_1) | instskip(SKIP_1) | instid1(VALU_DEP_2)
	v_and_b32_e32 v6, 3, v5
	v_bfe_u32 v10, v5, 2, 5
	v_clz_i32_u32_e32 v7, v6
	s_delay_alu instid0(VALU_DEP_2) | instskip(NEXT) | instid1(VALU_DEP_2)
	v_cmp_eq_u32_e32 vcc_lo, 0, v10
	v_min_u32_e32 v7, 32, v7
	s_delay_alu instid0(VALU_DEP_1) | instskip(NEXT) | instid1(VALU_DEP_1)
	v_subrev_nc_u32_e32 v9, 29, v7
	v_dual_lshlrev_b32 v5, v9, v5 :: v_dual_sub_nc_u32 v7, 30, v7
	s_delay_alu instid0(VALU_DEP_1) | instskip(NEXT) | instid1(VALU_DEP_2)
	v_dual_lshlrev_b32 v2, 24, v2 :: v_dual_bitop2_b32 v5, 3, v5 bitop3:0x40
	v_cndmask_b32_e32 v7, v10, v7, vcc_lo
	s_delay_alu instid0(VALU_DEP_2) | instskip(NEXT) | instid1(VALU_DEP_3)
	v_cndmask_b32_e32 v5, v6, v5, vcc_lo
	v_and_b32_e32 v2, 0x80000000, v2
	s_delay_alu instid0(VALU_DEP_3) | instskip(NEXT) | instid1(VALU_DEP_3)
	v_lshl_add_u32 v6, v7, 23, 0x37800000
	v_lshlrev_b32_e32 v5, 21, v5
	s_delay_alu instid0(VALU_DEP_1)
	v_or3_b32 v5, v2, v6, v5
.LBB126_1870:
	s_or_b32 exec_lo, exec_lo, s27
	s_mov_b32 s26, 0
	s_branch .LBB126_1876
.LBB126_1871:
	s_mov_b32 s26, -1
                                        ; implicit-def: $vgpr5
	s_branch .LBB126_1882
.LBB126_1872:
	s_or_saveexec_b32 s28, s28
	v_mov_b32_e32 v5, 0x7f800001
	s_xor_b32 exec_lo, exec_lo, s28
	s_cbranch_execz .LBB126_1856
.LBB126_1873:
	v_cmp_ne_u16_e32 vcc_lo, 0, v2
	v_mov_b32_e32 v5, 0
	s_and_not1_b32 s27, s27, exec_lo
	s_and_b32 s29, vcc_lo, exec_lo
	s_delay_alu instid0(SALU_CYCLE_1)
	s_or_b32 s27, s27, s29
	s_or_b32 exec_lo, exec_lo, s28
	s_and_saveexec_b32 s28, s27
	s_cbranch_execnz .LBB126_1857
	s_branch .LBB126_1858
.LBB126_1874:
	s_mov_b32 s26, -1
                                        ; implicit-def: $vgpr5
	s_branch .LBB126_1879
.LBB126_1875:
	s_mov_b32 s26, -1
                                        ; implicit-def: $vgpr5
.LBB126_1876:
	s_delay_alu instid0(SALU_CYCLE_1)
	s_and_b32 vcc_lo, exec_lo, s26
	s_cbranch_vccz .LBB126_1878
; %bb.1877:
	s_wait_loadcnt 0x0
	global_load_u8 v2, v[0:1], off
	s_wait_loadcnt 0x0
	v_lshlrev_b32_e32 v2, 24, v2
	s_delay_alu instid0(VALU_DEP_1) | instskip(NEXT) | instid1(VALU_DEP_1)
	v_and_b32_e32 v5, 0x7f000000, v2
	v_clz_i32_u32_e32 v6, v5
	v_add_nc_u32_e32 v9, 0x1000000, v5
	v_cmp_ne_u32_e32 vcc_lo, 0, v5
	s_delay_alu instid0(VALU_DEP_3) | instskip(NEXT) | instid1(VALU_DEP_1)
	v_min_u32_e32 v6, 32, v6
	v_sub_nc_u32_e64 v6, v6, 4 clamp
	s_delay_alu instid0(VALU_DEP_1) | instskip(NEXT) | instid1(VALU_DEP_1)
	v_dual_lshlrev_b32 v7, v6, v5 :: v_dual_lshlrev_b32 v6, 23, v6
	v_lshrrev_b32_e32 v7, 4, v7
	s_delay_alu instid0(VALU_DEP_1) | instskip(NEXT) | instid1(VALU_DEP_1)
	v_dual_sub_nc_u32 v6, v7, v6 :: v_dual_ashrrev_i32 v7, 8, v9
	v_add_nc_u32_e32 v6, 0x3c000000, v6
	s_delay_alu instid0(VALU_DEP_1) | instskip(NEXT) | instid1(VALU_DEP_1)
	v_and_or_b32 v6, 0x7f800000, v7, v6
	v_cndmask_b32_e32 v5, 0, v6, vcc_lo
	s_delay_alu instid0(VALU_DEP_1)
	v_and_or_b32 v5, 0x80000000, v2, v5
.LBB126_1878:
	s_mov_b32 s26, 0
.LBB126_1879:
	s_delay_alu instid0(SALU_CYCLE_1)
	s_and_not1_b32 vcc_lo, exec_lo, s26
	s_cbranch_vccnz .LBB126_1881
; %bb.1880:
	s_wait_loadcnt 0x0
	global_load_u8 v2, v[0:1], off
	s_wait_loadcnt 0x0
	v_lshlrev_b32_e32 v5, 25, v2
	v_lshlrev_b16 v2, 8, v2
	s_delay_alu instid0(VALU_DEP_1) | instskip(SKIP_1) | instid1(VALU_DEP_2)
	v_and_or_b32 v7, 0x7f00, v2, 0.5
	v_bfe_i32 v2, v2, 0, 16
	v_dual_add_f32 v7, -0.5, v7 :: v_dual_lshrrev_b32 v6, 4, v5
	v_cmp_gt_u32_e32 vcc_lo, 0x8000000, v5
	s_delay_alu instid0(VALU_DEP_2) | instskip(NEXT) | instid1(VALU_DEP_1)
	v_or_b32_e32 v6, 0x70000000, v6
	v_mul_f32_e32 v6, 0x7800000, v6
	s_delay_alu instid0(VALU_DEP_1) | instskip(NEXT) | instid1(VALU_DEP_1)
	v_cndmask_b32_e32 v5, v6, v7, vcc_lo
	v_and_or_b32 v5, 0x80000000, v2, v5
.LBB126_1881:
	s_mov_b32 s26, 0
	s_mov_b32 s27, -1
.LBB126_1882:
	s_and_not1_b32 vcc_lo, exec_lo, s26
	s_mov_b32 s26, 0
	s_cbranch_vccnz .LBB126_1893
; %bb.1883:
	s_cmp_gt_i32 s24, 14
	s_cbranch_scc0 .LBB126_1886
; %bb.1884:
	s_cmp_eq_u32 s24, 15
	s_cbranch_scc0 .LBB126_1889
; %bb.1885:
	s_wait_loadcnt 0x0
	global_load_u16 v2, v[0:1], off
	s_mov_b32 s25, 0
	s_mov_b32 s27, -1
	s_wait_loadcnt 0x0
	v_lshlrev_b32_e32 v5, 16, v2
	s_branch .LBB126_1891
.LBB126_1886:
	s_mov_b32 s26, -1
	s_branch .LBB126_1890
.LBB126_1887:
	s_or_saveexec_b32 s27, s27
	v_mov_b32_e32 v5, 0x7f800001
	s_xor_b32 exec_lo, exec_lo, s27
	s_cbranch_execz .LBB126_1868
.LBB126_1888:
	v_cmp_ne_u16_e32 vcc_lo, 0, v2
	v_mov_b32_e32 v5, 0
	s_and_not1_b32 s26, s26, exec_lo
	s_and_b32 s28, vcc_lo, exec_lo
	s_delay_alu instid0(SALU_CYCLE_1)
	s_or_b32 s26, s26, s28
	s_or_b32 exec_lo, exec_lo, s27
	s_and_saveexec_b32 s27, s26
	s_cbranch_execnz .LBB126_1869
	s_branch .LBB126_1870
.LBB126_1889:
	s_mov_b32 s25, -1
.LBB126_1890:
                                        ; implicit-def: $vgpr5
.LBB126_1891:
	s_and_b32 vcc_lo, exec_lo, s26
	s_mov_b32 s26, 0
	s_cbranch_vccz .LBB126_1893
; %bb.1892:
	s_cmp_lg_u32 s24, 11
	s_mov_b32 s26, -1
	s_cselect_b32 s24, -1, 0
	s_and_not1_b32 s25, s25, exec_lo
	s_and_b32 s24, s24, exec_lo
	s_delay_alu instid0(SALU_CYCLE_1)
	s_or_b32 s25, s25, s24
.LBB126_1893:
	s_mov_b32 s24, 0
.LBB126_1894:
	s_and_not1_b32 s23, s23, exec_lo
	s_and_b32 s28, s25, exec_lo
	s_and_b32 s27, s27, exec_lo
	;; [unrolled: 1-line block ×4, first 2 shown]
	s_or_b32 s23, s23, s28
	s_wait_xcnt 0x0
	s_or_b32 exec_lo, exec_lo, s0
	s_and_saveexec_b32 s0, s23
	s_cbranch_execz .LBB126_1823
.LBB126_1895:
	s_or_b32 s22, s22, exec_lo
	s_and_not1_b32 s25, s25, exec_lo
	s_trap 2
	s_or_b32 exec_lo, exec_lo, s0
	s_and_saveexec_b32 s0, s25
	s_delay_alu instid0(SALU_CYCLE_1)
	s_xor_b32 s0, exec_lo, s0
	s_cbranch_execnz .LBB126_1824
.LBB126_1896:
	s_or_b32 exec_lo, exec_lo, s0
	s_and_saveexec_b32 s0, s24
	s_cbranch_execz .LBB126_1942
.LBB126_1897:
	s_sext_i32_i16 s23, s1
	s_delay_alu instid0(SALU_CYCLE_1)
	s_cmp_lt_i32 s23, 5
	s_cbranch_scc1 .LBB126_1902
; %bb.1898:
	s_cmp_lt_i32 s23, 8
	s_cbranch_scc1 .LBB126_1903
; %bb.1899:
	;; [unrolled: 3-line block ×3, first 2 shown]
	s_cmp_gt_i32 s23, 9
	s_cbranch_scc0 .LBB126_1905
; %bb.1901:
	global_load_b64 v[6:7], v[0:1], off
	s_mov_b32 s23, 0
	s_wait_loadcnt 0x0
	v_cvt_f32_f64_e32 v5, v[6:7]
	s_branch .LBB126_1906
.LBB126_1902:
                                        ; implicit-def: $vgpr5
	s_branch .LBB126_1923
.LBB126_1903:
                                        ; implicit-def: $vgpr5
	s_branch .LBB126_1912
.LBB126_1904:
	s_mov_b32 s23, -1
                                        ; implicit-def: $vgpr5
	s_branch .LBB126_1909
.LBB126_1905:
	s_mov_b32 s23, -1
                                        ; implicit-def: $vgpr5
.LBB126_1906:
	s_delay_alu instid0(SALU_CYCLE_1)
	s_and_not1_b32 vcc_lo, exec_lo, s23
	s_cbranch_vccnz .LBB126_1908
; %bb.1907:
	global_load_b32 v5, v[0:1], off
.LBB126_1908:
	s_mov_b32 s23, 0
.LBB126_1909:
	s_delay_alu instid0(SALU_CYCLE_1)
	s_and_not1_b32 vcc_lo, exec_lo, s23
	s_cbranch_vccnz .LBB126_1911
; %bb.1910:
	s_wait_loadcnt 0x0
	global_load_b32 v2, v[0:1], off
	s_wait_loadcnt 0x0
	v_cvt_f32_f16_e32 v5, v2
.LBB126_1911:
	s_cbranch_execnz .LBB126_1922
.LBB126_1912:
	s_sext_i32_i16 s23, s1
	s_delay_alu instid0(SALU_CYCLE_1)
	s_cmp_lt_i32 s23, 6
	s_cbranch_scc1 .LBB126_1915
; %bb.1913:
	s_cmp_gt_i32 s23, 6
	s_cbranch_scc0 .LBB126_1916
; %bb.1914:
	global_load_b64 v[6:7], v[0:1], off
	s_mov_b32 s23, 0
	s_wait_loadcnt 0x0
	v_cvt_f32_f64_e32 v5, v[6:7]
	s_branch .LBB126_1917
.LBB126_1915:
	s_mov_b32 s23, -1
                                        ; implicit-def: $vgpr5
	s_branch .LBB126_1920
.LBB126_1916:
	s_mov_b32 s23, -1
                                        ; implicit-def: $vgpr5
.LBB126_1917:
	s_delay_alu instid0(SALU_CYCLE_1)
	s_and_not1_b32 vcc_lo, exec_lo, s23
	s_cbranch_vccnz .LBB126_1919
; %bb.1918:
	s_wait_loadcnt 0x0
	global_load_b32 v5, v[0:1], off
.LBB126_1919:
	s_mov_b32 s23, 0
.LBB126_1920:
	s_delay_alu instid0(SALU_CYCLE_1)
	s_and_not1_b32 vcc_lo, exec_lo, s23
	s_cbranch_vccnz .LBB126_1922
; %bb.1921:
	s_wait_loadcnt 0x0
	global_load_u16 v2, v[0:1], off
	s_wait_loadcnt 0x0
	v_cvt_f32_f16_e32 v5, v2
.LBB126_1922:
	s_cbranch_execnz .LBB126_1941
.LBB126_1923:
	s_sext_i32_i16 s23, s1
	s_delay_alu instid0(SALU_CYCLE_1)
	s_cmp_lt_i32 s23, 2
	s_cbranch_scc1 .LBB126_1927
; %bb.1924:
	s_cmp_lt_i32 s23, 3
	s_cbranch_scc1 .LBB126_1928
; %bb.1925:
	s_cmp_gt_i32 s23, 3
	s_cbranch_scc0 .LBB126_1929
; %bb.1926:
	global_load_b64 v[6:7], v[0:1], off
	s_mov_b32 s23, 0
	s_wait_loadcnt 0x0
	v_xor_b32_e32 v2, v6, v7
	v_cls_i32_e32 v5, v7
	s_delay_alu instid0(VALU_DEP_2) | instskip(NEXT) | instid1(VALU_DEP_1)
	v_ashrrev_i32_e32 v2, 31, v2
	v_add_nc_u32_e32 v2, 32, v2
	s_delay_alu instid0(VALU_DEP_1) | instskip(NEXT) | instid1(VALU_DEP_1)
	v_add_min_u32_e64 v2, v5, -1, v2
	v_lshlrev_b64_e32 v[6:7], v2, v[6:7]
	v_sub_nc_u32_e32 v2, 32, v2
	s_delay_alu instid0(VALU_DEP_2) | instskip(NEXT) | instid1(VALU_DEP_1)
	v_min_u32_e32 v5, 1, v6
	v_or_b32_e32 v5, v7, v5
	s_delay_alu instid0(VALU_DEP_1) | instskip(NEXT) | instid1(VALU_DEP_1)
	v_cvt_f32_i32_e32 v5, v5
	v_ldexp_f32 v5, v5, v2
	s_branch .LBB126_1930
.LBB126_1927:
                                        ; implicit-def: $vgpr5
	s_branch .LBB126_1936
.LBB126_1928:
	s_mov_b32 s23, -1
                                        ; implicit-def: $vgpr5
	s_branch .LBB126_1933
.LBB126_1929:
	s_mov_b32 s23, -1
                                        ; implicit-def: $vgpr5
.LBB126_1930:
	s_delay_alu instid0(SALU_CYCLE_1)
	s_and_not1_b32 vcc_lo, exec_lo, s23
	s_cbranch_vccnz .LBB126_1932
; %bb.1931:
	s_wait_loadcnt 0x0
	global_load_b32 v2, v[0:1], off
	s_wait_loadcnt 0x0
	v_cvt_f32_i32_e32 v5, v2
.LBB126_1932:
	s_mov_b32 s23, 0
.LBB126_1933:
	s_delay_alu instid0(SALU_CYCLE_1)
	s_and_not1_b32 vcc_lo, exec_lo, s23
	s_cbranch_vccnz .LBB126_1935
; %bb.1934:
	s_wait_loadcnt 0x0
	global_load_i16 v2, v[0:1], off
	s_wait_loadcnt 0x0
	v_cvt_f32_i32_e32 v5, v2
.LBB126_1935:
	s_cbranch_execnz .LBB126_1941
.LBB126_1936:
	s_sext_i32_i16 s23, s1
	s_delay_alu instid0(SALU_CYCLE_1)
	s_cmp_gt_i32 s23, 0
	s_mov_b32 s23, 0
	s_cbranch_scc0 .LBB126_1938
; %bb.1937:
	s_wait_loadcnt 0x0
	global_load_i8 v2, v[0:1], off
	s_wait_loadcnt 0x0
	v_cvt_f32_i32_e32 v5, v2
	s_branch .LBB126_1939
.LBB126_1938:
	s_mov_b32 s23, -1
                                        ; implicit-def: $vgpr5
.LBB126_1939:
	s_delay_alu instid0(SALU_CYCLE_1)
	s_and_not1_b32 vcc_lo, exec_lo, s23
	s_cbranch_vccnz .LBB126_1941
; %bb.1940:
	global_load_u8 v0, v[0:1], off
	s_wait_loadcnt 0x0
	v_cvt_f32_ubyte0_e32 v5, v0
.LBB126_1941:
	s_or_b32 s27, s27, exec_lo
.LBB126_1942:
	s_wait_xcnt 0x0
	s_or_b32 exec_lo, exec_lo, s0
	s_mov_b32 s0, 0
	s_mov_b32 s25, 0
                                        ; implicit-def: $sgpr23
                                        ; implicit-def: $vgpr0_vgpr1
                                        ; implicit-def: $vgpr2
	s_and_saveexec_b32 s24, s27
	s_cbranch_execz .LBB126_1950
; %bb.1943:
	v_mul_lo_u32 v0, v8, s12
	s_wait_loadcnt 0x0
	v_mul_f32_e32 v2, s17, v4
	s_and_b32 s23, s18, 0xff
	s_delay_alu instid0(SALU_CYCLE_1) | instskip(NEXT) | instid1(VALU_DEP_1)
	s_cmp_lt_i32 s23, 11
	v_dual_mul_f32 v2, v2, v5 :: v_dual_ashrrev_i32 v1, 31, v0
	s_delay_alu instid0(VALU_DEP_1) | instskip(NEXT) | instid1(VALU_DEP_2)
	v_fmac_f32_e32 v2, s16, v3
	v_add_nc_u64_e32 v[0:1], s[4:5], v[0:1]
	s_cbranch_scc1 .LBB126_1953
; %bb.1944:
	s_and_b32 s25, 0xffff, s23
	s_mov_b32 s26, -1
	s_cmp_gt_i32 s25, 25
	s_mov_b32 s0, s21
	s_cbranch_scc0 .LBB126_1981
; %bb.1945:
	s_cmp_gt_i32 s25, 28
	s_mov_b32 s0, s21
	s_cbranch_scc0 .LBB126_1965
; %bb.1946:
	;; [unrolled: 4-line block ×4, first 2 shown]
	s_cmp_eq_u32 s25, 46
	s_mov_b32 s0, -1
	s_cbranch_scc0 .LBB126_1954
; %bb.1949:
	v_bfe_u32 v3, v2, 16, 1
	v_cmp_o_f32_e32 vcc_lo, v2, v2
	s_mov_b32 s0, 0
	s_mov_b32 s26, 0
	s_delay_alu instid0(VALU_DEP_2) | instskip(NEXT) | instid1(VALU_DEP_1)
	v_add3_u32 v3, v2, v3, 0x7fff
	v_lshrrev_b32_e32 v3, 16, v3
	s_delay_alu instid0(VALU_DEP_1)
	v_cndmask_b32_e32 v3, 0x7fc0, v3, vcc_lo
	global_store_b32 v[0:1], v3, off
	s_branch .LBB126_1955
.LBB126_1950:
	s_or_b32 exec_lo, exec_lo, s24
	s_and_saveexec_b32 s24, s21
	s_cbranch_execnz .LBB126_2023
.LBB126_1951:
	s_or_b32 exec_lo, exec_lo, s24
	s_and_saveexec_b32 s21, s0
	s_delay_alu instid0(SALU_CYCLE_1)
	s_xor_b32 s0, exec_lo, s21
	s_cbranch_execz .LBB126_2024
.LBB126_1952:
	s_wait_loadcnt 0x0
	v_cmp_neq_f32_e32 vcc_lo, 0, v2
	v_cndmask_b32_e64 v3, 0, 1, vcc_lo
	global_store_b8 v[0:1], v3, off
	s_wait_xcnt 0x0
	s_or_b32 exec_lo, exec_lo, s0
	s_and_saveexec_b32 s0, s25
	s_delay_alu instid0(SALU_CYCLE_1)
	s_xor_b32 s0, exec_lo, s0
	s_cbranch_execz .LBB126_2062
	s_branch .LBB126_2025
.LBB126_1953:
	s_mov_b32 s27, 0
	s_mov_b32 s26, -1
	s_mov_b32 s0, s21
	s_branch .LBB126_2022
.LBB126_1954:
	s_mov_b32 s26, 0
.LBB126_1955:
	s_delay_alu instid0(SALU_CYCLE_1)
	s_and_b32 vcc_lo, exec_lo, s26
	s_cbranch_vccz .LBB126_1960
; %bb.1956:
	s_cmp_eq_u32 s25, 44
	s_mov_b32 s0, -1
	s_cbranch_scc0 .LBB126_1960
; %bb.1957:
	v_bfe_u32 v4, v2, 23, 8
	s_wait_xcnt 0x0
	v_mov_b32_e32 v3, 0xff
	s_mov_b32 s26, exec_lo
	s_delay_alu instid0(VALU_DEP_2)
	v_cmpx_ne_u32_e32 0xff, v4
	s_cbranch_execz .LBB126_1959
; %bb.1958:
	v_and_b32_e32 v3, 0x400000, v2
	v_and_or_b32 v4, 0x3fffff, v2, v4
	s_delay_alu instid0(VALU_DEP_2) | instskip(NEXT) | instid1(VALU_DEP_2)
	v_cmp_ne_u32_e32 vcc_lo, 0, v3
	v_cmp_ne_u32_e64 s0, 0, v4
	v_lshrrev_b32_e32 v3, 23, v2
	s_and_b32 s0, vcc_lo, s0
	s_delay_alu instid0(SALU_CYCLE_1) | instskip(NEXT) | instid1(VALU_DEP_1)
	v_cndmask_b32_e64 v4, 0, 1, s0
	v_add_nc_u32_e32 v3, v3, v4
.LBB126_1959:
	s_or_b32 exec_lo, exec_lo, s26
	s_mov_b32 s0, 0
	global_store_b8 v[0:1], v3, off
.LBB126_1960:
	s_mov_b32 s26, 0
.LBB126_1961:
	s_delay_alu instid0(SALU_CYCLE_1)
	s_and_b32 vcc_lo, exec_lo, s26
	s_cbranch_vccz .LBB126_1964
; %bb.1962:
	s_cmp_eq_u32 s25, 29
	s_mov_b32 s0, -1
	s_cbranch_scc0 .LBB126_1964
; %bb.1963:
	s_wait_xcnt 0x0
	v_trunc_f32_e32 v3, v2
	s_mov_b32 s0, 0
	s_mov_b32 s26, 0
	s_delay_alu instid0(VALU_DEP_1) | instskip(NEXT) | instid1(VALU_DEP_1)
	v_mul_f32_e32 v4, 0x2f800000, v3
	v_floor_f32_e32 v4, v4
	s_delay_alu instid0(VALU_DEP_1) | instskip(SKIP_1) | instid1(VALU_DEP_2)
	v_fmamk_f32 v3, v4, 0xcf800000, v3
	v_cvt_u32_f32_e32 v5, v4
	v_cvt_u32_f32_e32 v4, v3
	global_store_b64 v[0:1], v[4:5], off
	s_branch .LBB126_1965
.LBB126_1964:
	s_mov_b32 s26, 0
.LBB126_1965:
	s_delay_alu instid0(SALU_CYCLE_1)
	s_and_b32 vcc_lo, exec_lo, s26
	s_cbranch_vccz .LBB126_1980
; %bb.1966:
	s_cmp_lt_i32 s25, 27
	s_mov_b32 s26, -1
	s_cbranch_scc1 .LBB126_1972
; %bb.1967:
	s_wait_xcnt 0x0
	v_cvt_u32_f32_e32 v3, v2
	s_cmp_gt_i32 s25, 27
	s_cbranch_scc0 .LBB126_1969
; %bb.1968:
	s_mov_b32 s26, 0
	global_store_b32 v[0:1], v3, off
.LBB126_1969:
	s_and_not1_b32 vcc_lo, exec_lo, s26
	s_cbranch_vccnz .LBB126_1971
; %bb.1970:
	global_store_b16 v[0:1], v3, off
.LBB126_1971:
	s_mov_b32 s26, 0
.LBB126_1972:
	s_delay_alu instid0(SALU_CYCLE_1)
	s_and_not1_b32 vcc_lo, exec_lo, s26
	s_cbranch_vccnz .LBB126_1980
; %bb.1973:
	s_wait_xcnt 0x0
	v_and_b32_e32 v3, 0x7fffffff, v2
	v_mov_b32_e32 v4, 0x80
	s_mov_b32 s26, exec_lo
	s_delay_alu instid0(VALU_DEP_2)
	v_cmpx_gt_u32_e32 0x43800000, v3
	s_cbranch_execz .LBB126_1979
; %bb.1974:
	v_cmp_lt_u32_e32 vcc_lo, 0x3bffffff, v3
	s_mov_b32 s27, 0
                                        ; implicit-def: $vgpr3
	s_and_saveexec_b32 s28, vcc_lo
	s_delay_alu instid0(SALU_CYCLE_1)
	s_xor_b32 s28, exec_lo, s28
	s_cbranch_execz .LBB126_2077
; %bb.1975:
	v_bfe_u32 v3, v2, 20, 1
	s_mov_b32 s27, exec_lo
	s_delay_alu instid0(VALU_DEP_1) | instskip(NEXT) | instid1(VALU_DEP_1)
	v_add3_u32 v3, v2, v3, 0x487ffff
	v_lshrrev_b32_e32 v3, 20, v3
	s_and_not1_saveexec_b32 s28, s28
	s_cbranch_execnz .LBB126_2078
.LBB126_1976:
	s_or_b32 exec_lo, exec_lo, s28
	v_mov_b32_e32 v4, 0
	s_and_saveexec_b32 s28, s27
.LBB126_1977:
	v_lshrrev_b32_e32 v4, 24, v2
	s_delay_alu instid0(VALU_DEP_1)
	v_and_or_b32 v4, 0x80, v4, v3
.LBB126_1978:
	s_or_b32 exec_lo, exec_lo, s28
.LBB126_1979:
	s_delay_alu instid0(SALU_CYCLE_1)
	s_or_b32 exec_lo, exec_lo, s26
	global_store_b8 v[0:1], v4, off
.LBB126_1980:
	s_mov_b32 s26, 0
.LBB126_1981:
	s_delay_alu instid0(SALU_CYCLE_1)
	s_and_b32 vcc_lo, exec_lo, s26
	s_mov_b32 s26, 0
	s_cbranch_vccz .LBB126_2021
; %bb.1982:
	s_cmp_gt_i32 s25, 22
	s_mov_b32 s27, -1
	s_cbranch_scc0 .LBB126_2014
; %bb.1983:
	s_cmp_lt_i32 s25, 24
	s_cbranch_scc1 .LBB126_2003
; %bb.1984:
	s_cmp_gt_i32 s25, 24
	s_cbranch_scc0 .LBB126_1992
; %bb.1985:
	s_wait_xcnt 0x0
	v_and_b32_e32 v3, 0x7fffffff, v2
	v_mov_b32_e32 v4, 0x80
	s_mov_b32 s27, exec_lo
	s_delay_alu instid0(VALU_DEP_2)
	v_cmpx_gt_u32_e32 0x47800000, v3
	s_cbranch_execz .LBB126_1991
; %bb.1986:
	v_cmp_lt_u32_e32 vcc_lo, 0x37ffffff, v3
	s_mov_b32 s28, 0
                                        ; implicit-def: $vgpr3
	s_and_saveexec_b32 s29, vcc_lo
	s_delay_alu instid0(SALU_CYCLE_1)
	s_xor_b32 s29, exec_lo, s29
	s_cbranch_execz .LBB126_2203
; %bb.1987:
	v_bfe_u32 v3, v2, 21, 1
	s_mov_b32 s28, exec_lo
	s_delay_alu instid0(VALU_DEP_1) | instskip(NEXT) | instid1(VALU_DEP_1)
	v_add3_u32 v3, v2, v3, 0x88fffff
	v_lshrrev_b32_e32 v3, 21, v3
	s_and_not1_saveexec_b32 s29, s29
	s_cbranch_execnz .LBB126_2204
.LBB126_1988:
	s_or_b32 exec_lo, exec_lo, s29
	v_mov_b32_e32 v4, 0
	s_and_saveexec_b32 s29, s28
.LBB126_1989:
	v_lshrrev_b32_e32 v4, 24, v2
	s_delay_alu instid0(VALU_DEP_1)
	v_and_or_b32 v4, 0x80, v4, v3
.LBB126_1990:
	s_or_b32 exec_lo, exec_lo, s29
.LBB126_1991:
	s_delay_alu instid0(SALU_CYCLE_1)
	s_or_b32 exec_lo, exec_lo, s27
	s_mov_b32 s27, 0
	global_store_b8 v[0:1], v4, off
.LBB126_1992:
	s_and_b32 vcc_lo, exec_lo, s27
	s_cbranch_vccz .LBB126_2002
; %bb.1993:
	s_wait_xcnt 0x0
	v_and_b32_e32 v4, 0x7fffffff, v2
	s_mov_b32 s27, exec_lo
                                        ; implicit-def: $vgpr3
	s_delay_alu instid0(VALU_DEP_1)
	v_cmpx_gt_u32_e32 0x43f00000, v4
	s_xor_b32 s27, exec_lo, s27
	s_cbranch_execz .LBB126_1999
; %bb.1994:
	s_mov_b32 s28, exec_lo
                                        ; implicit-def: $vgpr3
	v_cmpx_lt_u32_e32 0x3c7fffff, v4
	s_xor_b32 s28, exec_lo, s28
; %bb.1995:
	v_bfe_u32 v3, v2, 20, 1
	s_delay_alu instid0(VALU_DEP_1) | instskip(NEXT) | instid1(VALU_DEP_1)
	v_add3_u32 v3, v2, v3, 0x407ffff
	v_and_b32_e32 v4, 0xff00000, v3
	v_lshrrev_b32_e32 v3, 20, v3
	s_delay_alu instid0(VALU_DEP_2) | instskip(NEXT) | instid1(VALU_DEP_2)
	v_cmp_ne_u32_e32 vcc_lo, 0x7f00000, v4
	v_cndmask_b32_e32 v3, 0x7e, v3, vcc_lo
; %bb.1996:
	s_and_not1_saveexec_b32 s28, s28
; %bb.1997:
	v_add_f32_e64 v3, 0x46800000, |v2|
; %bb.1998:
	s_or_b32 exec_lo, exec_lo, s28
                                        ; implicit-def: $vgpr4
.LBB126_1999:
	s_and_not1_saveexec_b32 s27, s27
; %bb.2000:
	v_mov_b32_e32 v3, 0x7f
	v_cmp_lt_u32_e32 vcc_lo, 0x7f800000, v4
	s_delay_alu instid0(VALU_DEP_2)
	v_cndmask_b32_e32 v3, 0x7e, v3, vcc_lo
; %bb.2001:
	s_or_b32 exec_lo, exec_lo, s27
	v_lshrrev_b32_e32 v4, 24, v2
	s_delay_alu instid0(VALU_DEP_1)
	v_and_or_b32 v3, 0x80, v4, v3
	global_store_b8 v[0:1], v3, off
.LBB126_2002:
	s_mov_b32 s27, 0
.LBB126_2003:
	s_delay_alu instid0(SALU_CYCLE_1)
	s_and_not1_b32 vcc_lo, exec_lo, s27
	s_cbranch_vccnz .LBB126_2013
; %bb.2004:
	s_wait_xcnt 0x0
	v_and_b32_e32 v4, 0x7fffffff, v2
	s_mov_b32 s27, exec_lo
                                        ; implicit-def: $vgpr3
	s_delay_alu instid0(VALU_DEP_1)
	v_cmpx_gt_u32_e32 0x47800000, v4
	s_xor_b32 s27, exec_lo, s27
	s_cbranch_execz .LBB126_2010
; %bb.2005:
	s_mov_b32 s28, exec_lo
                                        ; implicit-def: $vgpr3
	v_cmpx_lt_u32_e32 0x387fffff, v4
	s_xor_b32 s28, exec_lo, s28
; %bb.2006:
	v_bfe_u32 v3, v2, 21, 1
	s_delay_alu instid0(VALU_DEP_1) | instskip(NEXT) | instid1(VALU_DEP_1)
	v_add3_u32 v3, v2, v3, 0x80fffff
	v_lshrrev_b32_e32 v3, 21, v3
; %bb.2007:
	s_and_not1_saveexec_b32 s28, s28
; %bb.2008:
	v_add_f32_e64 v3, 0x43000000, |v2|
; %bb.2009:
	s_or_b32 exec_lo, exec_lo, s28
                                        ; implicit-def: $vgpr4
.LBB126_2010:
	s_and_not1_saveexec_b32 s27, s27
; %bb.2011:
	v_mov_b32_e32 v3, 0x7f
	v_cmp_lt_u32_e32 vcc_lo, 0x7f800000, v4
	s_delay_alu instid0(VALU_DEP_2)
	v_cndmask_b32_e32 v3, 0x7c, v3, vcc_lo
; %bb.2012:
	s_or_b32 exec_lo, exec_lo, s27
	v_lshrrev_b32_e32 v4, 24, v2
	s_delay_alu instid0(VALU_DEP_1)
	v_and_or_b32 v3, 0x80, v4, v3
	global_store_b8 v[0:1], v3, off
.LBB126_2013:
	s_mov_b32 s27, 0
.LBB126_2014:
	s_delay_alu instid0(SALU_CYCLE_1)
	s_and_not1_b32 vcc_lo, exec_lo, s27
	s_mov_b32 s27, 0
	s_cbranch_vccnz .LBB126_2022
; %bb.2015:
	s_cmp_gt_i32 s25, 14
	s_mov_b32 s27, -1
	s_cbranch_scc0 .LBB126_2019
; %bb.2016:
	s_cmp_eq_u32 s25, 15
	s_mov_b32 s0, -1
	s_cbranch_scc0 .LBB126_2018
; %bb.2017:
	s_wait_xcnt 0x0
	v_bfe_u32 v3, v2, 16, 1
	v_cmp_o_f32_e32 vcc_lo, v2, v2
	s_mov_b32 s0, 0
	s_delay_alu instid0(VALU_DEP_2) | instskip(NEXT) | instid1(VALU_DEP_1)
	v_add3_u32 v3, v2, v3, 0x7fff
	v_lshrrev_b32_e32 v3, 16, v3
	s_delay_alu instid0(VALU_DEP_1)
	v_cndmask_b32_e32 v3, 0x7fc0, v3, vcc_lo
	global_store_b16 v[0:1], v3, off
.LBB126_2018:
	s_mov_b32 s27, 0
.LBB126_2019:
	s_delay_alu instid0(SALU_CYCLE_1)
	s_and_b32 vcc_lo, exec_lo, s27
	s_mov_b32 s27, 0
	s_cbranch_vccz .LBB126_2022
; %bb.2020:
	s_cmp_lg_u32 s25, 11
	s_mov_b32 s27, -1
	s_cselect_b32 s25, -1, 0
	s_and_not1_b32 s0, s0, exec_lo
	s_and_b32 s25, s25, exec_lo
	s_delay_alu instid0(SALU_CYCLE_1)
	s_or_b32 s0, s0, s25
	s_branch .LBB126_2022
.LBB126_2021:
	s_mov_b32 s27, 0
.LBB126_2022:
	s_and_b32 s25, s26, exec_lo
	s_and_not1_b32 s21, s21, exec_lo
	s_and_b32 s26, s0, exec_lo
	s_and_b32 s0, s27, exec_lo
	s_or_b32 s21, s21, s26
	s_wait_xcnt 0x0
	s_or_b32 exec_lo, exec_lo, s24
	s_and_saveexec_b32 s24, s21
	s_cbranch_execz .LBB126_1951
.LBB126_2023:
	s_or_b32 s22, s22, exec_lo
	s_and_not1_b32 s0, s0, exec_lo
	s_trap 2
	s_or_b32 exec_lo, exec_lo, s24
	s_and_saveexec_b32 s21, s0
	s_delay_alu instid0(SALU_CYCLE_1)
	s_xor_b32 s0, exec_lo, s21
	s_cbranch_execnz .LBB126_1952
.LBB126_2024:
	s_or_b32 exec_lo, exec_lo, s0
	s_and_saveexec_b32 s0, s25
	s_delay_alu instid0(SALU_CYCLE_1)
	s_xor_b32 s0, exec_lo, s0
	s_cbranch_execz .LBB126_2062
.LBB126_2025:
	s_sext_i32_i16 s24, s23
	s_mov_b32 s21, -1
	s_cmp_lt_i32 s24, 5
	s_cbranch_scc1 .LBB126_2046
; %bb.2026:
	s_cmp_lt_i32 s24, 8
	s_cbranch_scc1 .LBB126_2036
; %bb.2027:
	;; [unrolled: 3-line block ×3, first 2 shown]
	s_cmp_gt_i32 s24, 9
	s_cbranch_scc0 .LBB126_2030
; %bb.2029:
	s_wait_loadcnt 0x0
	v_cvt_f64_f32_e32 v[4:5], v2
	v_mov_b32_e32 v6, 0
	s_mov_b32 s21, 0
	s_delay_alu instid0(VALU_DEP_1)
	v_mov_b32_e32 v7, v6
	global_store_b128 v[0:1], v[4:7], off
.LBB126_2030:
	s_and_not1_b32 vcc_lo, exec_lo, s21
	s_cbranch_vccnz .LBB126_2032
; %bb.2031:
	s_wait_loadcnt 0x0
	v_mov_b32_e32 v3, 0
	global_store_b64 v[0:1], v[2:3], off
.LBB126_2032:
	s_mov_b32 s21, 0
.LBB126_2033:
	s_delay_alu instid0(SALU_CYCLE_1)
	s_and_not1_b32 vcc_lo, exec_lo, s21
	s_cbranch_vccnz .LBB126_2035
; %bb.2034:
	s_wait_loadcnt 0x0
	v_cvt_f16_f32_e32 v3, v2
	s_delay_alu instid0(VALU_DEP_1)
	v_and_b32_e32 v3, 0xffff, v3
	global_store_b32 v[0:1], v3, off
.LBB126_2035:
	s_mov_b32 s21, 0
.LBB126_2036:
	s_delay_alu instid0(SALU_CYCLE_1)
	s_and_not1_b32 vcc_lo, exec_lo, s21
	s_cbranch_vccnz .LBB126_2045
; %bb.2037:
	s_sext_i32_i16 s24, s23
	s_mov_b32 s21, -1
	s_cmp_lt_i32 s24, 6
	s_cbranch_scc1 .LBB126_2043
; %bb.2038:
	s_cmp_gt_i32 s24, 6
	s_cbranch_scc0 .LBB126_2040
; %bb.2039:
	s_wait_loadcnt 0x0
	v_cvt_f64_f32_e32 v[4:5], v2
	s_mov_b32 s21, 0
	global_store_b64 v[0:1], v[4:5], off
.LBB126_2040:
	s_and_not1_b32 vcc_lo, exec_lo, s21
	s_cbranch_vccnz .LBB126_2042
; %bb.2041:
	s_wait_loadcnt 0x0
	global_store_b32 v[0:1], v2, off
.LBB126_2042:
	s_mov_b32 s21, 0
.LBB126_2043:
	s_delay_alu instid0(SALU_CYCLE_1)
	s_and_not1_b32 vcc_lo, exec_lo, s21
	s_cbranch_vccnz .LBB126_2045
; %bb.2044:
	s_wait_loadcnt 0x0
	v_cvt_f16_f32_e32 v3, v2
	global_store_b16 v[0:1], v3, off
.LBB126_2045:
	s_mov_b32 s21, 0
.LBB126_2046:
	s_delay_alu instid0(SALU_CYCLE_1)
	s_and_not1_b32 vcc_lo, exec_lo, s21
	s_cbranch_vccnz .LBB126_2062
; %bb.2047:
	s_sext_i32_i16 s24, s23
	s_mov_b32 s21, -1
	s_cmp_lt_i32 s24, 2
	s_cbranch_scc1 .LBB126_2057
; %bb.2048:
	s_cmp_lt_i32 s24, 3
	s_cbranch_scc1 .LBB126_2054
; %bb.2049:
	s_cmp_gt_i32 s24, 3
	s_cbranch_scc0 .LBB126_2051
; %bb.2050:
	s_wait_loadcnt 0x0
	v_trunc_f32_e32 v3, v2
	s_mov_b32 s21, 0
	s_delay_alu instid0(VALU_DEP_1) | instskip(NEXT) | instid1(VALU_DEP_1)
	v_mul_f32_e64 v4, 0x2f800000, |v3|
	v_floor_f32_e32 v5, v4
	v_ashrrev_i32_e32 v4, 31, v3
	s_delay_alu instid0(VALU_DEP_2) | instskip(SKIP_1) | instid1(VALU_DEP_3)
	v_fma_f32 v6, 0xcf800000, v5, |v3|
	v_cvt_u32_f32_e32 v3, v5
	v_mov_b32_e32 v5, v4
	s_delay_alu instid0(VALU_DEP_3) | instskip(NEXT) | instid1(VALU_DEP_3)
	v_cvt_u32_f32_e32 v6, v6
	v_xor_b32_e32 v7, v3, v4
	s_delay_alu instid0(VALU_DEP_2) | instskip(NEXT) | instid1(VALU_DEP_1)
	v_xor_b32_e32 v6, v6, v4
	v_sub_nc_u64_e32 v[4:5], v[6:7], v[4:5]
	global_store_b64 v[0:1], v[4:5], off
.LBB126_2051:
	s_and_not1_b32 vcc_lo, exec_lo, s21
	s_cbranch_vccnz .LBB126_2053
; %bb.2052:
	s_wait_loadcnt 0x0
	v_cvt_i32_f32_e32 v3, v2
	global_store_b32 v[0:1], v3, off
.LBB126_2053:
	s_mov_b32 s21, 0
.LBB126_2054:
	s_delay_alu instid0(SALU_CYCLE_1)
	s_and_not1_b32 vcc_lo, exec_lo, s21
	s_cbranch_vccnz .LBB126_2056
; %bb.2055:
	s_wait_loadcnt 0x0
	v_cvt_i32_f32_e32 v3, v2
	global_store_b16 v[0:1], v3, off
.LBB126_2056:
	s_mov_b32 s21, 0
.LBB126_2057:
	s_delay_alu instid0(SALU_CYCLE_1)
	s_and_not1_b32 vcc_lo, exec_lo, s21
	s_cbranch_vccnz .LBB126_2062
; %bb.2058:
	s_sext_i32_i16 s21, s23
	s_delay_alu instid0(SALU_CYCLE_1)
	s_cmp_gt_i32 s21, 0
	s_mov_b32 s21, -1
	s_cbranch_scc0 .LBB126_2060
; %bb.2059:
	s_wait_loadcnt 0x0
	v_cvt_i32_f32_e32 v3, v2
	s_mov_b32 s21, 0
	global_store_b8 v[0:1], v3, off
.LBB126_2060:
	s_and_not1_b32 vcc_lo, exec_lo, s21
	s_cbranch_vccnz .LBB126_2062
; %bb.2061:
	s_wait_loadcnt 0x0
	v_trunc_f32_e32 v2, v2
	s_delay_alu instid0(VALU_DEP_1) | instskip(NEXT) | instid1(VALU_DEP_1)
	v_mul_f32_e64 v3, 0x2f800000, |v2|
	v_floor_f32_e32 v3, v3
	s_delay_alu instid0(VALU_DEP_1) | instskip(SKIP_1) | instid1(VALU_DEP_2)
	v_fma_f32 v3, 0xcf800000, v3, |v2|
	v_ashrrev_i32_e32 v2, 31, v2
	v_cvt_u32_f32_e32 v3, v3
	s_delay_alu instid0(VALU_DEP_1) | instskip(NEXT) | instid1(VALU_DEP_1)
	v_xor_b32_e32 v3, v3, v2
	v_sub_nc_u32_e32 v2, v3, v2
	global_store_b8 v[0:1], v2, off
.LBB126_2062:
	s_wait_xcnt 0x0
	s_or_b32 exec_lo, exec_lo, s0
	s_delay_alu instid0(SALU_CYCLE_1)
	s_and_b32 s21, s22, exec_lo
                                        ; implicit-def: $vgpr8
.LBB126_2063:
	s_or_saveexec_b32 s20, s20
	s_mov_b32 s0, 0
                                        ; implicit-def: $sgpr22
                                        ; implicit-def: $vgpr0_vgpr1
                                        ; implicit-def: $vgpr2
	s_xor_b32 exec_lo, exec_lo, s20
	s_cbranch_execz .LBB126_4067
; %bb.2064:
	v_mul_lo_u32 v0, s13, v8
	s_and_b32 s19, s19, 0xff
	s_delay_alu instid0(SALU_CYCLE_1) | instskip(NEXT) | instid1(VALU_DEP_1)
	s_cmp_lt_i32 s19, 11
	v_ashrrev_i32_e32 v1, 31, v0
	s_wait_loadcnt 0x0
	s_delay_alu instid0(VALU_DEP_1)
	v_add_nc_u64_e32 v[2:3], s[6:7], v[0:1]
	s_cbranch_scc1 .LBB126_2071
; %bb.2065:
	s_and_b32 s0, 0xffff, s19
	s_mov_b32 s22, 0
	s_cmp_gt_i32 s0, 25
	s_cbranch_scc0 .LBB126_2073
; %bb.2066:
	s_cmp_gt_i32 s0, 28
	s_cbranch_scc0 .LBB126_2074
; %bb.2067:
	;; [unrolled: 3-line block ×4, first 2 shown]
	s_cmp_eq_u32 s0, 46
	s_mov_b32 s24, 0
	s_cbranch_scc0 .LBB126_2079
; %bb.2070:
	global_load_b32 v1, v[2:3], off
	s_mov_b32 s23, -1
	s_wait_loadcnt 0x0
	v_lshlrev_b32_e32 v9, 16, v1
	s_branch .LBB126_2081
.LBB126_2071:
	s_mov_b32 s23, 0
	s_mov_b32 s3, s21
                                        ; implicit-def: $vgpr9
	s_cbranch_execnz .LBB126_2144
.LBB126_2072:
	s_and_not1_b32 vcc_lo, exec_lo, s23
	s_cbranch_vccz .LBB126_2189
	s_branch .LBB126_4065
.LBB126_2073:
	s_mov_b32 s23, 0
                                        ; implicit-def: $vgpr9
	s_cbranch_execnz .LBB126_2109
	s_branch .LBB126_2140
.LBB126_2074:
	s_mov_b32 s24, -1
	s_mov_b32 s23, 0
                                        ; implicit-def: $vgpr9
	s_branch .LBB126_2090
.LBB126_2075:
	s_mov_b32 s23, 0
                                        ; implicit-def: $vgpr9
	s_cbranch_execnz .LBB126_2086
	s_branch .LBB126_2089
.LBB126_2076:
	s_mov_b32 s24, -1
	s_branch .LBB126_2080
.LBB126_2077:
	s_and_not1_saveexec_b32 s28, s28
	s_cbranch_execz .LBB126_1976
.LBB126_2078:
	v_add_f32_e64 v3, 0x46000000, |v2|
	s_and_not1_b32 s27, s27, exec_lo
	s_delay_alu instid0(VALU_DEP_1) | instskip(NEXT) | instid1(VALU_DEP_1)
	v_and_b32_e32 v3, 0xff, v3
	v_cmp_ne_u32_e32 vcc_lo, 0, v3
	s_and_b32 s29, vcc_lo, exec_lo
	s_delay_alu instid0(SALU_CYCLE_1)
	s_or_b32 s27, s27, s29
	s_or_b32 exec_lo, exec_lo, s28
	v_mov_b32_e32 v4, 0
	s_and_saveexec_b32 s28, s27
	s_cbranch_execnz .LBB126_1977
	s_branch .LBB126_1978
.LBB126_2079:
	s_mov_b32 s3, -1
.LBB126_2080:
	s_mov_b32 s23, 0
                                        ; implicit-def: $vgpr9
.LBB126_2081:
	s_and_b32 vcc_lo, exec_lo, s24
	s_cbranch_vccz .LBB126_2084
; %bb.2082:
	s_cmp_eq_u32 s0, 44
	s_cbranch_scc0 .LBB126_2085
; %bb.2083:
	global_load_u8 v1, v[2:3], off
	s_mov_b32 s3, 0
	s_mov_b32 s23, -1
	s_wait_loadcnt 0x0
	v_lshlrev_b32_e32 v4, 23, v1
	v_cmp_ne_u32_e32 vcc_lo, 0xff, v1
	s_delay_alu instid0(VALU_DEP_2) | instskip(SKIP_1) | instid1(VALU_DEP_2)
	v_cndmask_b32_e32 v4, 0x7f800001, v4, vcc_lo
	v_cmp_ne_u32_e32 vcc_lo, 0, v1
	v_cndmask_b32_e32 v9, 0x400000, v4, vcc_lo
.LBB126_2084:
	s_branch .LBB126_2089
.LBB126_2085:
	s_mov_b32 s3, -1
                                        ; implicit-def: $vgpr9
	s_branch .LBB126_2089
.LBB126_2086:
	s_cmp_eq_u32 s0, 29
	s_cbranch_scc0 .LBB126_2088
; %bb.2087:
	global_load_b64 v[4:5], v[2:3], off
	s_mov_b32 s3, 0
	s_mov_b32 s23, -1
	s_mov_b32 s24, 0
	s_wait_loadcnt 0x0
	v_clz_i32_u32_e32 v1, v5
	s_delay_alu instid0(VALU_DEP_1) | instskip(NEXT) | instid1(VALU_DEP_1)
	v_min_u32_e32 v1, 32, v1
	v_lshlrev_b64_e32 v[4:5], v1, v[4:5]
	v_sub_nc_u32_e32 v1, 32, v1
	s_delay_alu instid0(VALU_DEP_2) | instskip(NEXT) | instid1(VALU_DEP_1)
	v_min_u32_e32 v4, 1, v4
	v_or_b32_e32 v4, v5, v4
	s_delay_alu instid0(VALU_DEP_1) | instskip(NEXT) | instid1(VALU_DEP_1)
	v_cvt_f32_u32_e32 v4, v4
	v_ldexp_f32 v9, v4, v1
	s_branch .LBB126_2090
.LBB126_2088:
	s_mov_b32 s3, -1
                                        ; implicit-def: $vgpr9
.LBB126_2089:
	s_mov_b32 s24, 0
.LBB126_2090:
	s_delay_alu instid0(SALU_CYCLE_1)
	s_and_b32 vcc_lo, exec_lo, s24
	s_cbranch_vccz .LBB126_2108
; %bb.2091:
	s_cmp_lt_i32 s0, 27
	s_cbranch_scc1 .LBB126_2094
; %bb.2092:
	s_cmp_gt_i32 s0, 27
	s_cbranch_scc0 .LBB126_2095
; %bb.2093:
	global_load_b32 v1, v[2:3], off
	s_mov_b32 s23, 0
	s_wait_loadcnt 0x0
	v_cvt_f32_u32_e32 v9, v1
	s_branch .LBB126_2096
.LBB126_2094:
	s_mov_b32 s23, -1
                                        ; implicit-def: $vgpr9
	s_branch .LBB126_2099
.LBB126_2095:
	s_mov_b32 s23, -1
                                        ; implicit-def: $vgpr9
.LBB126_2096:
	s_delay_alu instid0(SALU_CYCLE_1)
	s_and_not1_b32 vcc_lo, exec_lo, s23
	s_cbranch_vccnz .LBB126_2098
; %bb.2097:
	global_load_u16 v1, v[2:3], off
	s_wait_loadcnt 0x0
	v_cvt_f32_u32_e32 v9, v1
.LBB126_2098:
	s_mov_b32 s23, 0
.LBB126_2099:
	s_delay_alu instid0(SALU_CYCLE_1)
	s_and_not1_b32 vcc_lo, exec_lo, s23
	s_cbranch_vccnz .LBB126_2107
; %bb.2100:
	global_load_u8 v1, v[2:3], off
	s_mov_b32 s23, 0
	s_mov_b32 s24, exec_lo
	s_wait_loadcnt 0x0
	v_cmpx_lt_i16_e32 0x7f, v1
	s_xor_b32 s24, exec_lo, s24
	s_cbranch_execz .LBB126_2120
; %bb.2101:
	s_mov_b32 s23, -1
	s_mov_b32 s25, exec_lo
	v_cmpx_eq_u16_e32 0x80, v1
; %bb.2102:
	s_xor_b32 s23, exec_lo, -1
; %bb.2103:
	s_or_b32 exec_lo, exec_lo, s25
	s_delay_alu instid0(SALU_CYCLE_1)
	s_and_b32 s23, s23, exec_lo
	s_or_saveexec_b32 s24, s24
	v_mov_b32_e32 v9, 0x7f800001
	s_xor_b32 exec_lo, exec_lo, s24
	s_cbranch_execnz .LBB126_2121
.LBB126_2104:
	s_or_b32 exec_lo, exec_lo, s24
	s_and_saveexec_b32 s24, s23
	s_cbranch_execz .LBB126_2106
.LBB126_2105:
	v_and_b32_e32 v4, 0xffff, v1
	s_delay_alu instid0(VALU_DEP_1) | instskip(SKIP_1) | instid1(VALU_DEP_2)
	v_and_b32_e32 v5, 7, v4
	v_bfe_u32 v9, v4, 3, 4
	v_clz_i32_u32_e32 v6, v5
	s_delay_alu instid0(VALU_DEP_2) | instskip(NEXT) | instid1(VALU_DEP_2)
	v_cmp_eq_u32_e32 vcc_lo, 0, v9
	v_min_u32_e32 v6, 32, v6
	s_delay_alu instid0(VALU_DEP_1) | instskip(NEXT) | instid1(VALU_DEP_1)
	v_subrev_nc_u32_e32 v7, 28, v6
	v_dual_lshlrev_b32 v4, v7, v4 :: v_dual_sub_nc_u32 v6, 29, v6
	s_delay_alu instid0(VALU_DEP_1) | instskip(NEXT) | instid1(VALU_DEP_2)
	v_dual_lshlrev_b32 v1, 24, v1 :: v_dual_bitop2_b32 v4, 7, v4 bitop3:0x40
	v_cndmask_b32_e32 v6, v9, v6, vcc_lo
	s_delay_alu instid0(VALU_DEP_2) | instskip(NEXT) | instid1(VALU_DEP_3)
	v_cndmask_b32_e32 v4, v5, v4, vcc_lo
	v_and_b32_e32 v1, 0x80000000, v1
	s_delay_alu instid0(VALU_DEP_3) | instskip(NEXT) | instid1(VALU_DEP_3)
	v_lshl_add_u32 v5, v6, 23, 0x3b800000
	v_lshlrev_b32_e32 v4, 20, v4
	s_delay_alu instid0(VALU_DEP_1)
	v_or3_b32 v9, v1, v5, v4
.LBB126_2106:
	s_or_b32 exec_lo, exec_lo, s24
.LBB126_2107:
	s_mov_b32 s23, -1
.LBB126_2108:
	s_branch .LBB126_2140
.LBB126_2109:
	s_cmp_gt_i32 s0, 22
	s_cbranch_scc0 .LBB126_2119
; %bb.2110:
	s_cmp_lt_i32 s0, 24
	s_cbranch_scc1 .LBB126_2122
; %bb.2111:
	s_cmp_gt_i32 s0, 24
	s_cbranch_scc0 .LBB126_2123
; %bb.2112:
	global_load_u8 v1, v[2:3], off
	s_mov_b32 s23, exec_lo
	s_wait_loadcnt 0x0
	v_cmpx_lt_i16_e32 0x7f, v1
	s_xor_b32 s23, exec_lo, s23
	s_cbranch_execz .LBB126_2134
; %bb.2113:
	s_mov_b32 s22, -1
	s_mov_b32 s24, exec_lo
	v_cmpx_eq_u16_e32 0x80, v1
; %bb.2114:
	s_xor_b32 s22, exec_lo, -1
; %bb.2115:
	s_or_b32 exec_lo, exec_lo, s24
	s_delay_alu instid0(SALU_CYCLE_1)
	s_and_b32 s22, s22, exec_lo
	s_or_saveexec_b32 s23, s23
	v_mov_b32_e32 v9, 0x7f800001
	s_xor_b32 exec_lo, exec_lo, s23
	s_cbranch_execnz .LBB126_2135
.LBB126_2116:
	s_or_b32 exec_lo, exec_lo, s23
	s_and_saveexec_b32 s23, s22
	s_cbranch_execz .LBB126_2118
.LBB126_2117:
	v_and_b32_e32 v4, 0xffff, v1
	s_delay_alu instid0(VALU_DEP_1) | instskip(SKIP_1) | instid1(VALU_DEP_2)
	v_and_b32_e32 v5, 3, v4
	v_bfe_u32 v9, v4, 2, 5
	v_clz_i32_u32_e32 v6, v5
	s_delay_alu instid0(VALU_DEP_2) | instskip(NEXT) | instid1(VALU_DEP_2)
	v_cmp_eq_u32_e32 vcc_lo, 0, v9
	v_min_u32_e32 v6, 32, v6
	s_delay_alu instid0(VALU_DEP_1) | instskip(NEXT) | instid1(VALU_DEP_1)
	v_subrev_nc_u32_e32 v7, 29, v6
	v_dual_lshlrev_b32 v4, v7, v4 :: v_dual_sub_nc_u32 v6, 30, v6
	s_delay_alu instid0(VALU_DEP_1) | instskip(NEXT) | instid1(VALU_DEP_2)
	v_dual_lshlrev_b32 v1, 24, v1 :: v_dual_bitop2_b32 v4, 3, v4 bitop3:0x40
	v_cndmask_b32_e32 v6, v9, v6, vcc_lo
	s_delay_alu instid0(VALU_DEP_2) | instskip(NEXT) | instid1(VALU_DEP_3)
	v_cndmask_b32_e32 v4, v5, v4, vcc_lo
	v_and_b32_e32 v1, 0x80000000, v1
	s_delay_alu instid0(VALU_DEP_3) | instskip(NEXT) | instid1(VALU_DEP_3)
	v_lshl_add_u32 v5, v6, 23, 0x37800000
	v_lshlrev_b32_e32 v4, 21, v4
	s_delay_alu instid0(VALU_DEP_1)
	v_or3_b32 v9, v1, v5, v4
.LBB126_2118:
	s_or_b32 exec_lo, exec_lo, s23
	s_mov_b32 s22, 0
	s_branch .LBB126_2124
.LBB126_2119:
                                        ; implicit-def: $vgpr9
	s_mov_b32 s22, 0
	s_branch .LBB126_2130
.LBB126_2120:
	s_or_saveexec_b32 s24, s24
	v_mov_b32_e32 v9, 0x7f800001
	s_xor_b32 exec_lo, exec_lo, s24
	s_cbranch_execz .LBB126_2104
.LBB126_2121:
	v_cmp_ne_u16_e32 vcc_lo, 0, v1
	v_mov_b32_e32 v9, 0
	s_and_not1_b32 s23, s23, exec_lo
	s_and_b32 s25, vcc_lo, exec_lo
	s_delay_alu instid0(SALU_CYCLE_1)
	s_or_b32 s23, s23, s25
	s_or_b32 exec_lo, exec_lo, s24
	s_and_saveexec_b32 s24, s23
	s_cbranch_execnz .LBB126_2105
	s_branch .LBB126_2106
.LBB126_2122:
	s_mov_b32 s22, -1
                                        ; implicit-def: $vgpr9
	s_branch .LBB126_2127
.LBB126_2123:
	s_mov_b32 s22, -1
                                        ; implicit-def: $vgpr9
.LBB126_2124:
	s_delay_alu instid0(SALU_CYCLE_1)
	s_and_b32 vcc_lo, exec_lo, s22
	s_cbranch_vccz .LBB126_2126
; %bb.2125:
	global_load_u8 v1, v[2:3], off
	s_wait_loadcnt 0x0
	v_lshlrev_b32_e32 v1, 24, v1
	s_delay_alu instid0(VALU_DEP_1) | instskip(NEXT) | instid1(VALU_DEP_1)
	v_and_b32_e32 v4, 0x7f000000, v1
	v_clz_i32_u32_e32 v5, v4
	v_cmp_ne_u32_e32 vcc_lo, 0, v4
	v_add_nc_u32_e32 v7, 0x1000000, v4
	s_delay_alu instid0(VALU_DEP_3) | instskip(NEXT) | instid1(VALU_DEP_1)
	v_min_u32_e32 v5, 32, v5
	v_sub_nc_u32_e64 v5, v5, 4 clamp
	s_delay_alu instid0(VALU_DEP_1) | instskip(NEXT) | instid1(VALU_DEP_1)
	v_dual_lshlrev_b32 v6, v5, v4 :: v_dual_lshlrev_b32 v5, 23, v5
	v_lshrrev_b32_e32 v6, 4, v6
	s_delay_alu instid0(VALU_DEP_1) | instskip(NEXT) | instid1(VALU_DEP_1)
	v_dual_sub_nc_u32 v5, v6, v5 :: v_dual_ashrrev_i32 v6, 8, v7
	v_add_nc_u32_e32 v5, 0x3c000000, v5
	s_delay_alu instid0(VALU_DEP_1) | instskip(NEXT) | instid1(VALU_DEP_1)
	v_and_or_b32 v5, 0x7f800000, v6, v5
	v_cndmask_b32_e32 v4, 0, v5, vcc_lo
	s_delay_alu instid0(VALU_DEP_1)
	v_and_or_b32 v9, 0x80000000, v1, v4
.LBB126_2126:
	s_mov_b32 s22, 0
.LBB126_2127:
	s_delay_alu instid0(SALU_CYCLE_1)
	s_and_not1_b32 vcc_lo, exec_lo, s22
	s_cbranch_vccnz .LBB126_2129
; %bb.2128:
	global_load_u8 v1, v[2:3], off
	s_wait_loadcnt 0x0
	v_lshlrev_b32_e32 v4, 25, v1
	v_lshlrev_b16 v1, 8, v1
	s_delay_alu instid0(VALU_DEP_1) | instskip(SKIP_1) | instid1(VALU_DEP_2)
	v_and_or_b32 v6, 0x7f00, v1, 0.5
	v_bfe_i32 v1, v1, 0, 16
	v_dual_add_f32 v6, -0.5, v6 :: v_dual_lshrrev_b32 v5, 4, v4
	v_cmp_gt_u32_e32 vcc_lo, 0x8000000, v4
	s_delay_alu instid0(VALU_DEP_2) | instskip(NEXT) | instid1(VALU_DEP_1)
	v_or_b32_e32 v5, 0x70000000, v5
	v_mul_f32_e32 v5, 0x7800000, v5
	s_delay_alu instid0(VALU_DEP_1) | instskip(NEXT) | instid1(VALU_DEP_1)
	v_cndmask_b32_e32 v4, v5, v6, vcc_lo
	v_and_or_b32 v9, 0x80000000, v1, v4
.LBB126_2129:
	s_mov_b32 s23, -1
	s_mov_b32 s22, 0
	s_cbranch_execnz .LBB126_2140
.LBB126_2130:
	s_cmp_gt_i32 s0, 14
	s_cbranch_scc0 .LBB126_2133
; %bb.2131:
	s_cmp_eq_u32 s0, 15
	s_cbranch_scc0 .LBB126_2136
; %bb.2132:
	global_load_u16 v1, v[2:3], off
	s_mov_b32 s3, 0
	s_mov_b32 s23, -1
	s_wait_loadcnt 0x0
	v_lshlrev_b32_e32 v9, 16, v1
	s_branch .LBB126_2138
.LBB126_2133:
	s_mov_b32 s22, -1
	s_branch .LBB126_2137
.LBB126_2134:
	s_or_saveexec_b32 s23, s23
	v_mov_b32_e32 v9, 0x7f800001
	s_xor_b32 exec_lo, exec_lo, s23
	s_cbranch_execz .LBB126_2116
.LBB126_2135:
	v_cmp_ne_u16_e32 vcc_lo, 0, v1
	v_mov_b32_e32 v9, 0
	s_and_not1_b32 s22, s22, exec_lo
	s_and_b32 s24, vcc_lo, exec_lo
	s_delay_alu instid0(SALU_CYCLE_1)
	s_or_b32 s22, s22, s24
	s_or_b32 exec_lo, exec_lo, s23
	s_and_saveexec_b32 s23, s22
	s_cbranch_execnz .LBB126_2117
	s_branch .LBB126_2118
.LBB126_2136:
	s_mov_b32 s3, -1
.LBB126_2137:
                                        ; implicit-def: $vgpr9
.LBB126_2138:
	s_and_b32 vcc_lo, exec_lo, s22
	s_mov_b32 s22, 0
	s_cbranch_vccz .LBB126_2140
; %bb.2139:
	s_cmp_lg_u32 s0, 11
	s_mov_b32 s22, -1
	s_cselect_b32 s3, -1, 0
.LBB126_2140:
	s_delay_alu instid0(SALU_CYCLE_1)
	s_and_b32 vcc_lo, exec_lo, s3
	s_mov_b32 s3, s21
	s_cbranch_vccnz .LBB126_2201
; %bb.2141:
	s_and_not1_b32 vcc_lo, exec_lo, s22
	s_cbranch_vccnz .LBB126_2143
.LBB126_2142:
	global_load_u8 v1, v[2:3], off
	s_mov_b32 s23, -1
	s_wait_loadcnt 0x0
	v_cmp_ne_u16_e32 vcc_lo, 0, v1
	v_cndmask_b32_e64 v9, 0, 1.0, vcc_lo
.LBB126_2143:
	s_branch .LBB126_2072
.LBB126_2144:
	s_and_b32 s0, 0xffff, s19
	s_delay_alu instid0(SALU_CYCLE_1)
	s_cmp_lt_i32 s0, 5
	s_cbranch_scc1 .LBB126_2149
; %bb.2145:
	s_cmp_lt_i32 s0, 8
	s_cbranch_scc1 .LBB126_2150
; %bb.2146:
	;; [unrolled: 3-line block ×3, first 2 shown]
	s_cmp_gt_i32 s0, 9
	s_cbranch_scc0 .LBB126_2152
; %bb.2148:
	global_load_b64 v[4:5], v[2:3], off
	s_mov_b32 s22, 0
	s_wait_loadcnt 0x0
	v_cvt_f32_f64_e32 v9, v[4:5]
	s_branch .LBB126_2153
.LBB126_2149:
                                        ; implicit-def: $vgpr9
	s_branch .LBB126_2170
.LBB126_2150:
                                        ; implicit-def: $vgpr9
	s_branch .LBB126_2159
.LBB126_2151:
	s_mov_b32 s22, -1
                                        ; implicit-def: $vgpr9
	s_branch .LBB126_2156
.LBB126_2152:
	s_mov_b32 s22, -1
                                        ; implicit-def: $vgpr9
.LBB126_2153:
	s_delay_alu instid0(SALU_CYCLE_1)
	s_and_not1_b32 vcc_lo, exec_lo, s22
	s_cbranch_vccnz .LBB126_2155
; %bb.2154:
	global_load_b32 v9, v[2:3], off
.LBB126_2155:
	s_mov_b32 s22, 0
.LBB126_2156:
	s_delay_alu instid0(SALU_CYCLE_1)
	s_and_not1_b32 vcc_lo, exec_lo, s22
	s_cbranch_vccnz .LBB126_2158
; %bb.2157:
	global_load_b32 v1, v[2:3], off
	s_wait_loadcnt 0x0
	v_cvt_f32_f16_e32 v9, v1
.LBB126_2158:
	s_cbranch_execnz .LBB126_2169
.LBB126_2159:
	s_cmp_lt_i32 s0, 6
	s_cbranch_scc1 .LBB126_2162
; %bb.2160:
	s_cmp_gt_i32 s0, 6
	s_cbranch_scc0 .LBB126_2163
; %bb.2161:
	global_load_b64 v[4:5], v[2:3], off
	s_mov_b32 s22, 0
	s_wait_loadcnt 0x0
	v_cvt_f32_f64_e32 v9, v[4:5]
	s_branch .LBB126_2164
.LBB126_2162:
	s_mov_b32 s22, -1
                                        ; implicit-def: $vgpr9
	s_branch .LBB126_2167
.LBB126_2163:
	s_mov_b32 s22, -1
                                        ; implicit-def: $vgpr9
.LBB126_2164:
	s_delay_alu instid0(SALU_CYCLE_1)
	s_and_not1_b32 vcc_lo, exec_lo, s22
	s_cbranch_vccnz .LBB126_2166
; %bb.2165:
	s_wait_loadcnt 0x0
	global_load_b32 v9, v[2:3], off
.LBB126_2166:
	s_mov_b32 s22, 0
.LBB126_2167:
	s_delay_alu instid0(SALU_CYCLE_1)
	s_and_not1_b32 vcc_lo, exec_lo, s22
	s_cbranch_vccnz .LBB126_2169
; %bb.2168:
	global_load_u16 v1, v[2:3], off
	s_wait_loadcnt 0x0
	v_cvt_f32_f16_e32 v9, v1
.LBB126_2169:
	s_cbranch_execnz .LBB126_2188
.LBB126_2170:
	s_cmp_lt_i32 s0, 2
	s_cbranch_scc1 .LBB126_2174
; %bb.2171:
	s_cmp_lt_i32 s0, 3
	s_cbranch_scc1 .LBB126_2175
; %bb.2172:
	s_cmp_gt_i32 s0, 3
	s_cbranch_scc0 .LBB126_2176
; %bb.2173:
	global_load_b64 v[4:5], v[2:3], off
	s_mov_b32 s22, 0
	s_wait_loadcnt 0x0
	v_xor_b32_e32 v1, v4, v5
	v_cls_i32_e32 v6, v5
	s_delay_alu instid0(VALU_DEP_2) | instskip(NEXT) | instid1(VALU_DEP_1)
	v_ashrrev_i32_e32 v1, 31, v1
	v_add_nc_u32_e32 v1, 32, v1
	s_delay_alu instid0(VALU_DEP_1) | instskip(NEXT) | instid1(VALU_DEP_1)
	v_add_min_u32_e64 v1, v6, -1, v1
	v_lshlrev_b64_e32 v[4:5], v1, v[4:5]
	v_sub_nc_u32_e32 v1, 32, v1
	s_delay_alu instid0(VALU_DEP_2) | instskip(NEXT) | instid1(VALU_DEP_1)
	v_min_u32_e32 v4, 1, v4
	v_or_b32_e32 v4, v5, v4
	s_delay_alu instid0(VALU_DEP_1) | instskip(NEXT) | instid1(VALU_DEP_1)
	v_cvt_f32_i32_e32 v4, v4
	v_ldexp_f32 v9, v4, v1
	s_branch .LBB126_2177
.LBB126_2174:
                                        ; implicit-def: $vgpr9
	s_branch .LBB126_2183
.LBB126_2175:
	s_mov_b32 s22, -1
                                        ; implicit-def: $vgpr9
	s_branch .LBB126_2180
.LBB126_2176:
	s_mov_b32 s22, -1
                                        ; implicit-def: $vgpr9
.LBB126_2177:
	s_delay_alu instid0(SALU_CYCLE_1)
	s_and_not1_b32 vcc_lo, exec_lo, s22
	s_cbranch_vccnz .LBB126_2179
; %bb.2178:
	global_load_b32 v1, v[2:3], off
	s_wait_loadcnt 0x0
	v_cvt_f32_i32_e32 v9, v1
.LBB126_2179:
	s_mov_b32 s22, 0
.LBB126_2180:
	s_delay_alu instid0(SALU_CYCLE_1)
	s_and_not1_b32 vcc_lo, exec_lo, s22
	s_cbranch_vccnz .LBB126_2182
; %bb.2181:
	global_load_i16 v1, v[2:3], off
	s_wait_loadcnt 0x0
	v_cvt_f32_i32_e32 v9, v1
.LBB126_2182:
	s_cbranch_execnz .LBB126_2188
.LBB126_2183:
	s_cmp_gt_i32 s0, 0
	s_mov_b32 s0, 0
	s_cbranch_scc0 .LBB126_2185
; %bb.2184:
	global_load_i8 v1, v[2:3], off
	s_wait_loadcnt 0x0
	v_cvt_f32_i32_e32 v9, v1
	s_branch .LBB126_2186
.LBB126_2185:
	s_mov_b32 s0, -1
                                        ; implicit-def: $vgpr9
.LBB126_2186:
	s_delay_alu instid0(SALU_CYCLE_1)
	s_and_not1_b32 vcc_lo, exec_lo, s0
	s_cbranch_vccnz .LBB126_2188
; %bb.2187:
	global_load_u8 v1, v[2:3], off
	s_wait_loadcnt 0x0
	v_cvt_f32_ubyte0_e32 v9, v1
.LBB126_2188:
.LBB126_2189:
	s_wait_xcnt 0x0
	v_mul_lo_u32 v2, s14, v8
	s_and_b32 s2, s2, 0xff
	s_delay_alu instid0(SALU_CYCLE_1) | instskip(NEXT) | instid1(VALU_DEP_1)
	s_cmp_lt_i32 s2, 11
	v_ashrrev_i32_e32 v3, 31, v2
	s_delay_alu instid0(VALU_DEP_1)
	v_add_nc_u64_e32 v[4:5], s[8:9], v[2:3]
	s_cbranch_scc1 .LBB126_2196
; %bb.2190:
	s_and_b32 s0, 0xffff, s2
	s_mov_b32 s23, 0
	s_cmp_gt_i32 s0, 25
	s_cbranch_scc0 .LBB126_2198
; %bb.2191:
	s_cmp_gt_i32 s0, 28
	s_cbranch_scc0 .LBB126_2199
; %bb.2192:
	;; [unrolled: 3-line block ×4, first 2 shown]
	s_cmp_eq_u32 s0, 46
	s_mov_b32 s25, 0
	s_cbranch_scc0 .LBB126_2205
; %bb.2195:
	global_load_b32 v1, v[4:5], off
	s_mov_b32 s22, 0
	s_mov_b32 s24, -1
	s_wait_loadcnt 0x0
	v_lshlrev_b32_e32 v10, 16, v1
	s_branch .LBB126_2207
.LBB126_2196:
	s_mov_b32 s24, 0
                                        ; implicit-def: $vgpr10
	s_cbranch_execnz .LBB126_2272
.LBB126_2197:
	s_and_not1_b32 vcc_lo, exec_lo, s24
	s_cbranch_vccnz .LBB126_4065
	s_branch .LBB126_2319
.LBB126_2198:
	s_mov_b32 s24, 0
	s_mov_b32 s22, 0
                                        ; implicit-def: $vgpr10
	s_cbranch_execnz .LBB126_2236
	s_branch .LBB126_2268
.LBB126_2199:
	s_mov_b32 s25, -1
	s_mov_b32 s24, 0
	s_mov_b32 s22, 0
                                        ; implicit-def: $vgpr10
	s_branch .LBB126_2217
.LBB126_2200:
	s_mov_b32 s25, -1
	s_mov_b32 s24, 0
	s_mov_b32 s22, 0
                                        ; implicit-def: $vgpr10
	s_branch .LBB126_2212
.LBB126_2201:
	s_or_b32 s3, s21, exec_lo
	s_trap 2
	s_cbranch_execz .LBB126_2142
	s_branch .LBB126_2143
.LBB126_2202:
	s_mov_b32 s25, -1
	s_mov_b32 s24, 0
	s_mov_b32 s22, 0
	s_branch .LBB126_2206
.LBB126_2203:
	s_and_not1_saveexec_b32 s29, s29
	s_cbranch_execz .LBB126_1988
.LBB126_2204:
	v_add_f32_e64 v3, 0x42800000, |v2|
	s_and_not1_b32 s28, s28, exec_lo
	s_delay_alu instid0(VALU_DEP_1) | instskip(NEXT) | instid1(VALU_DEP_1)
	v_and_b32_e32 v3, 0xff, v3
	v_cmp_ne_u32_e32 vcc_lo, 0, v3
	s_and_b32 s30, vcc_lo, exec_lo
	s_delay_alu instid0(SALU_CYCLE_1)
	s_or_b32 s28, s28, s30
	s_or_b32 exec_lo, exec_lo, s29
	v_mov_b32_e32 v4, 0
	s_and_saveexec_b32 s29, s28
	s_cbranch_execnz .LBB126_1989
	s_branch .LBB126_1990
.LBB126_2205:
	s_mov_b32 s22, -1
	s_mov_b32 s24, 0
.LBB126_2206:
                                        ; implicit-def: $vgpr10
.LBB126_2207:
	s_and_b32 vcc_lo, exec_lo, s25
	s_cbranch_vccz .LBB126_2211
; %bb.2208:
	s_cmp_eq_u32 s0, 44
	s_cbranch_scc0 .LBB126_2210
; %bb.2209:
	global_load_u8 v1, v[4:5], off
	s_mov_b32 s22, 0
	s_mov_b32 s24, -1
	s_wait_loadcnt 0x0
	v_lshlrev_b32_e32 v3, 23, v1
	v_cmp_ne_u32_e32 vcc_lo, 0xff, v1
	s_delay_alu instid0(VALU_DEP_2) | instskip(SKIP_1) | instid1(VALU_DEP_2)
	v_cndmask_b32_e32 v3, 0x7f800001, v3, vcc_lo
	v_cmp_ne_u32_e32 vcc_lo, 0, v1
	v_cndmask_b32_e32 v10, 0x400000, v3, vcc_lo
	s_branch .LBB126_2211
.LBB126_2210:
	s_mov_b32 s22, -1
                                        ; implicit-def: $vgpr10
.LBB126_2211:
	s_mov_b32 s25, 0
.LBB126_2212:
	s_delay_alu instid0(SALU_CYCLE_1)
	s_and_b32 vcc_lo, exec_lo, s25
	s_cbranch_vccz .LBB126_2216
; %bb.2213:
	s_cmp_eq_u32 s0, 29
	s_cbranch_scc0 .LBB126_2215
; %bb.2214:
	global_load_b64 v[6:7], v[4:5], off
	s_mov_b32 s22, 0
	s_mov_b32 s24, -1
	s_mov_b32 s25, 0
	s_wait_loadcnt 0x0
	v_clz_i32_u32_e32 v1, v7
	s_delay_alu instid0(VALU_DEP_1) | instskip(NEXT) | instid1(VALU_DEP_1)
	v_min_u32_e32 v1, 32, v1
	v_lshlrev_b64_e32 v[6:7], v1, v[6:7]
	v_sub_nc_u32_e32 v1, 32, v1
	s_delay_alu instid0(VALU_DEP_2) | instskip(NEXT) | instid1(VALU_DEP_1)
	v_min_u32_e32 v3, 1, v6
	v_or_b32_e32 v3, v7, v3
	s_delay_alu instid0(VALU_DEP_1) | instskip(NEXT) | instid1(VALU_DEP_1)
	v_cvt_f32_u32_e32 v3, v3
	v_ldexp_f32 v10, v3, v1
	s_branch .LBB126_2217
.LBB126_2215:
	s_mov_b32 s22, -1
                                        ; implicit-def: $vgpr10
.LBB126_2216:
	s_mov_b32 s25, 0
.LBB126_2217:
	s_delay_alu instid0(SALU_CYCLE_1)
	s_and_b32 vcc_lo, exec_lo, s25
	s_cbranch_vccz .LBB126_2235
; %bb.2218:
	s_cmp_lt_i32 s0, 27
	s_cbranch_scc1 .LBB126_2221
; %bb.2219:
	s_cmp_gt_i32 s0, 27
	s_cbranch_scc0 .LBB126_2222
; %bb.2220:
	global_load_b32 v1, v[4:5], off
	s_mov_b32 s24, 0
	s_wait_loadcnt 0x0
	v_cvt_f32_u32_e32 v10, v1
	s_branch .LBB126_2223
.LBB126_2221:
	s_mov_b32 s24, -1
                                        ; implicit-def: $vgpr10
	s_branch .LBB126_2226
.LBB126_2222:
	s_mov_b32 s24, -1
                                        ; implicit-def: $vgpr10
.LBB126_2223:
	s_delay_alu instid0(SALU_CYCLE_1)
	s_and_not1_b32 vcc_lo, exec_lo, s24
	s_cbranch_vccnz .LBB126_2225
; %bb.2224:
	global_load_u16 v1, v[4:5], off
	s_wait_loadcnt 0x0
	v_cvt_f32_u32_e32 v10, v1
.LBB126_2225:
	s_mov_b32 s24, 0
.LBB126_2226:
	s_delay_alu instid0(SALU_CYCLE_1)
	s_and_not1_b32 vcc_lo, exec_lo, s24
	s_cbranch_vccnz .LBB126_2234
; %bb.2227:
	global_load_u8 v1, v[4:5], off
	s_mov_b32 s24, 0
	s_mov_b32 s25, exec_lo
	s_wait_loadcnt 0x0
	v_cmpx_lt_i16_e32 0x7f, v1
	s_xor_b32 s25, exec_lo, s25
	s_cbranch_execz .LBB126_2247
; %bb.2228:
	s_mov_b32 s24, -1
	s_mov_b32 s26, exec_lo
	v_cmpx_eq_u16_e32 0x80, v1
; %bb.2229:
	s_xor_b32 s24, exec_lo, -1
; %bb.2230:
	s_or_b32 exec_lo, exec_lo, s26
	s_delay_alu instid0(SALU_CYCLE_1)
	s_and_b32 s24, s24, exec_lo
	s_or_saveexec_b32 s25, s25
	v_mov_b32_e32 v10, 0x7f800001
	s_xor_b32 exec_lo, exec_lo, s25
	s_cbranch_execnz .LBB126_2248
.LBB126_2231:
	s_or_b32 exec_lo, exec_lo, s25
	s_and_saveexec_b32 s25, s24
	s_cbranch_execz .LBB126_2233
.LBB126_2232:
	v_and_b32_e32 v3, 0xffff, v1
	s_delay_alu instid0(VALU_DEP_1) | instskip(SKIP_1) | instid1(VALU_DEP_2)
	v_dual_lshlrev_b32 v1, 24, v1 :: v_dual_bitop2_b32 v6, 7, v3 bitop3:0x40
	v_bfe_u32 v11, v3, 3, 4
	v_and_b32_e32 v1, 0x80000000, v1
	s_delay_alu instid0(VALU_DEP_3) | instskip(NEXT) | instid1(VALU_DEP_3)
	v_clz_i32_u32_e32 v7, v6
	v_cmp_eq_u32_e32 vcc_lo, 0, v11
	s_delay_alu instid0(VALU_DEP_2) | instskip(NEXT) | instid1(VALU_DEP_1)
	v_min_u32_e32 v7, 32, v7
	v_subrev_nc_u32_e32 v10, 28, v7
	v_sub_nc_u32_e32 v7, 29, v7
	s_delay_alu instid0(VALU_DEP_2) | instskip(NEXT) | instid1(VALU_DEP_2)
	v_lshlrev_b32_e32 v3, v10, v3
	v_cndmask_b32_e32 v7, v11, v7, vcc_lo
	s_delay_alu instid0(VALU_DEP_2) | instskip(NEXT) | instid1(VALU_DEP_1)
	v_and_b32_e32 v3, 7, v3
	v_cndmask_b32_e32 v3, v6, v3, vcc_lo
	s_delay_alu instid0(VALU_DEP_3) | instskip(NEXT) | instid1(VALU_DEP_2)
	v_lshl_add_u32 v6, v7, 23, 0x3b800000
	v_lshlrev_b32_e32 v3, 20, v3
	s_delay_alu instid0(VALU_DEP_1)
	v_or3_b32 v10, v1, v6, v3
.LBB126_2233:
	s_or_b32 exec_lo, exec_lo, s25
.LBB126_2234:
	s_mov_b32 s24, -1
.LBB126_2235:
	s_branch .LBB126_2268
.LBB126_2236:
	s_cmp_gt_i32 s0, 22
	s_cbranch_scc0 .LBB126_2246
; %bb.2237:
	s_cmp_lt_i32 s0, 24
	s_cbranch_scc1 .LBB126_2249
; %bb.2238:
	s_cmp_gt_i32 s0, 24
	s_cbranch_scc0 .LBB126_2250
; %bb.2239:
	global_load_u8 v1, v[4:5], off
	s_mov_b32 s24, exec_lo
	s_wait_loadcnt 0x0
	v_cmpx_lt_i16_e32 0x7f, v1
	s_xor_b32 s24, exec_lo, s24
	s_cbranch_execz .LBB126_2262
; %bb.2240:
	s_mov_b32 s23, -1
	s_mov_b32 s25, exec_lo
	v_cmpx_eq_u16_e32 0x80, v1
; %bb.2241:
	s_xor_b32 s23, exec_lo, -1
; %bb.2242:
	s_or_b32 exec_lo, exec_lo, s25
	s_delay_alu instid0(SALU_CYCLE_1)
	s_and_b32 s23, s23, exec_lo
	s_or_saveexec_b32 s24, s24
	v_mov_b32_e32 v10, 0x7f800001
	s_xor_b32 exec_lo, exec_lo, s24
	s_cbranch_execnz .LBB126_2263
.LBB126_2243:
	s_or_b32 exec_lo, exec_lo, s24
	s_and_saveexec_b32 s24, s23
	s_cbranch_execz .LBB126_2245
.LBB126_2244:
	v_and_b32_e32 v3, 0xffff, v1
	s_delay_alu instid0(VALU_DEP_1) | instskip(SKIP_1) | instid1(VALU_DEP_2)
	v_dual_lshlrev_b32 v1, 24, v1 :: v_dual_bitop2_b32 v6, 3, v3 bitop3:0x40
	v_bfe_u32 v11, v3, 2, 5
	v_and_b32_e32 v1, 0x80000000, v1
	s_delay_alu instid0(VALU_DEP_3) | instskip(NEXT) | instid1(VALU_DEP_3)
	v_clz_i32_u32_e32 v7, v6
	v_cmp_eq_u32_e32 vcc_lo, 0, v11
	s_delay_alu instid0(VALU_DEP_2) | instskip(NEXT) | instid1(VALU_DEP_1)
	v_min_u32_e32 v7, 32, v7
	v_subrev_nc_u32_e32 v10, 29, v7
	v_sub_nc_u32_e32 v7, 30, v7
	s_delay_alu instid0(VALU_DEP_2) | instskip(NEXT) | instid1(VALU_DEP_2)
	v_lshlrev_b32_e32 v3, v10, v3
	v_cndmask_b32_e32 v7, v11, v7, vcc_lo
	s_delay_alu instid0(VALU_DEP_2) | instskip(NEXT) | instid1(VALU_DEP_1)
	v_and_b32_e32 v3, 3, v3
	v_cndmask_b32_e32 v3, v6, v3, vcc_lo
	s_delay_alu instid0(VALU_DEP_3) | instskip(NEXT) | instid1(VALU_DEP_2)
	v_lshl_add_u32 v6, v7, 23, 0x37800000
	v_lshlrev_b32_e32 v3, 21, v3
	s_delay_alu instid0(VALU_DEP_1)
	v_or3_b32 v10, v1, v6, v3
.LBB126_2245:
	s_or_b32 exec_lo, exec_lo, s24
	s_mov_b32 s23, 0
	s_branch .LBB126_2251
.LBB126_2246:
	s_mov_b32 s23, -1
                                        ; implicit-def: $vgpr10
	s_branch .LBB126_2257
.LBB126_2247:
	s_or_saveexec_b32 s25, s25
	v_mov_b32_e32 v10, 0x7f800001
	s_xor_b32 exec_lo, exec_lo, s25
	s_cbranch_execz .LBB126_2231
.LBB126_2248:
	v_cmp_ne_u16_e32 vcc_lo, 0, v1
	v_mov_b32_e32 v10, 0
	s_and_not1_b32 s24, s24, exec_lo
	s_and_b32 s26, vcc_lo, exec_lo
	s_delay_alu instid0(SALU_CYCLE_1)
	s_or_b32 s24, s24, s26
	s_or_b32 exec_lo, exec_lo, s25
	s_and_saveexec_b32 s25, s24
	s_cbranch_execnz .LBB126_2232
	s_branch .LBB126_2233
.LBB126_2249:
	s_mov_b32 s23, -1
                                        ; implicit-def: $vgpr10
	s_branch .LBB126_2254
.LBB126_2250:
	s_mov_b32 s23, -1
                                        ; implicit-def: $vgpr10
.LBB126_2251:
	s_delay_alu instid0(SALU_CYCLE_1)
	s_and_b32 vcc_lo, exec_lo, s23
	s_cbranch_vccz .LBB126_2253
; %bb.2252:
	global_load_u8 v1, v[4:5], off
	s_wait_loadcnt 0x0
	v_lshlrev_b32_e32 v1, 24, v1
	s_delay_alu instid0(VALU_DEP_1) | instskip(NEXT) | instid1(VALU_DEP_1)
	v_and_b32_e32 v3, 0x7f000000, v1
	v_clz_i32_u32_e32 v6, v3
	v_cmp_ne_u32_e32 vcc_lo, 0, v3
	v_add_nc_u32_e32 v10, 0x1000000, v3
	s_delay_alu instid0(VALU_DEP_3) | instskip(NEXT) | instid1(VALU_DEP_1)
	v_min_u32_e32 v6, 32, v6
	v_sub_nc_u32_e64 v6, v6, 4 clamp
	s_delay_alu instid0(VALU_DEP_1) | instskip(NEXT) | instid1(VALU_DEP_1)
	v_dual_lshlrev_b32 v7, v6, v3 :: v_dual_lshlrev_b32 v6, 23, v6
	v_lshrrev_b32_e32 v7, 4, v7
	s_delay_alu instid0(VALU_DEP_1) | instskip(SKIP_1) | instid1(VALU_DEP_2)
	v_sub_nc_u32_e32 v6, v7, v6
	v_ashrrev_i32_e32 v7, 8, v10
	v_add_nc_u32_e32 v6, 0x3c000000, v6
	s_delay_alu instid0(VALU_DEP_1) | instskip(NEXT) | instid1(VALU_DEP_1)
	v_and_or_b32 v6, 0x7f800000, v7, v6
	v_cndmask_b32_e32 v3, 0, v6, vcc_lo
	s_delay_alu instid0(VALU_DEP_1)
	v_and_or_b32 v10, 0x80000000, v1, v3
.LBB126_2253:
	s_mov_b32 s23, 0
.LBB126_2254:
	s_delay_alu instid0(SALU_CYCLE_1)
	s_and_not1_b32 vcc_lo, exec_lo, s23
	s_cbranch_vccnz .LBB126_2256
; %bb.2255:
	global_load_u8 v1, v[4:5], off
	s_wait_loadcnt 0x0
	v_lshlrev_b32_e32 v3, 25, v1
	v_lshlrev_b16 v1, 8, v1
	s_delay_alu instid0(VALU_DEP_1) | instskip(SKIP_1) | instid1(VALU_DEP_2)
	v_and_or_b32 v7, 0x7f00, v1, 0.5
	v_bfe_i32 v1, v1, 0, 16
	v_add_f32_e32 v7, -0.5, v7
	v_lshrrev_b32_e32 v6, 4, v3
	v_cmp_gt_u32_e32 vcc_lo, 0x8000000, v3
	s_delay_alu instid0(VALU_DEP_2) | instskip(NEXT) | instid1(VALU_DEP_1)
	v_or_b32_e32 v6, 0x70000000, v6
	v_mul_f32_e32 v6, 0x7800000, v6
	s_delay_alu instid0(VALU_DEP_1) | instskip(NEXT) | instid1(VALU_DEP_1)
	v_cndmask_b32_e32 v3, v6, v7, vcc_lo
	v_and_or_b32 v10, 0x80000000, v1, v3
.LBB126_2256:
	s_mov_b32 s23, 0
	s_mov_b32 s24, -1
.LBB126_2257:
	s_and_not1_b32 vcc_lo, exec_lo, s23
	s_mov_b32 s23, 0
	s_cbranch_vccnz .LBB126_2268
; %bb.2258:
	s_cmp_gt_i32 s0, 14
	s_cbranch_scc0 .LBB126_2261
; %bb.2259:
	s_cmp_eq_u32 s0, 15
	s_cbranch_scc0 .LBB126_2264
; %bb.2260:
	global_load_u16 v1, v[4:5], off
	s_mov_b32 s22, 0
	s_mov_b32 s24, -1
	s_wait_loadcnt 0x0
	v_lshlrev_b32_e32 v10, 16, v1
	s_branch .LBB126_2266
.LBB126_2261:
	s_mov_b32 s23, -1
	s_branch .LBB126_2265
.LBB126_2262:
	s_or_saveexec_b32 s24, s24
	v_mov_b32_e32 v10, 0x7f800001
	s_xor_b32 exec_lo, exec_lo, s24
	s_cbranch_execz .LBB126_2243
.LBB126_2263:
	v_cmp_ne_u16_e32 vcc_lo, 0, v1
	v_mov_b32_e32 v10, 0
	s_and_not1_b32 s23, s23, exec_lo
	s_and_b32 s25, vcc_lo, exec_lo
	s_delay_alu instid0(SALU_CYCLE_1)
	s_or_b32 s23, s23, s25
	s_or_b32 exec_lo, exec_lo, s24
	s_and_saveexec_b32 s24, s23
	s_cbranch_execnz .LBB126_2244
	s_branch .LBB126_2245
.LBB126_2264:
	s_mov_b32 s22, -1
.LBB126_2265:
                                        ; implicit-def: $vgpr10
.LBB126_2266:
	s_and_b32 vcc_lo, exec_lo, s23
	s_mov_b32 s23, 0
	s_cbranch_vccz .LBB126_2268
; %bb.2267:
	s_cmp_lg_u32 s0, 11
	s_mov_b32 s23, -1
	s_cselect_b32 s22, -1, 0
.LBB126_2268:
	s_delay_alu instid0(SALU_CYCLE_1)
	s_and_b32 vcc_lo, exec_lo, s22
	s_cbranch_vccnz .LBB126_2331
; %bb.2269:
	s_and_not1_b32 vcc_lo, exec_lo, s23
	s_cbranch_vccnz .LBB126_2271
.LBB126_2270:
	global_load_u8 v1, v[4:5], off
	s_mov_b32 s24, -1
	s_wait_loadcnt 0x0
	v_cmp_ne_u16_e32 vcc_lo, 0, v1
	v_cndmask_b32_e64 v10, 0, 1.0, vcc_lo
.LBB126_2271:
	s_branch .LBB126_2197
.LBB126_2272:
	s_and_b32 s0, 0xffff, s2
	s_delay_alu instid0(SALU_CYCLE_1)
	s_cmp_lt_i32 s0, 5
	s_cbranch_scc1 .LBB126_2277
; %bb.2273:
	s_cmp_lt_i32 s0, 8
	s_cbranch_scc1 .LBB126_2278
; %bb.2274:
	;; [unrolled: 3-line block ×3, first 2 shown]
	s_cmp_gt_i32 s0, 9
	s_cbranch_scc0 .LBB126_2280
; %bb.2276:
	global_load_b64 v[6:7], v[4:5], off
	s_mov_b32 s22, 0
	s_wait_loadcnt 0x0
	v_cvt_f32_f64_e32 v10, v[6:7]
	s_branch .LBB126_2281
.LBB126_2277:
                                        ; implicit-def: $vgpr10
	s_branch .LBB126_2299
.LBB126_2278:
	s_mov_b32 s22, -1
                                        ; implicit-def: $vgpr10
	s_branch .LBB126_2287
.LBB126_2279:
	s_mov_b32 s22, -1
                                        ; implicit-def: $vgpr10
	s_branch .LBB126_2284
.LBB126_2280:
	s_mov_b32 s22, -1
                                        ; implicit-def: $vgpr10
.LBB126_2281:
	s_delay_alu instid0(SALU_CYCLE_1)
	s_and_not1_b32 vcc_lo, exec_lo, s22
	s_cbranch_vccnz .LBB126_2283
; %bb.2282:
	global_load_b32 v10, v[4:5], off
.LBB126_2283:
	s_mov_b32 s22, 0
.LBB126_2284:
	s_delay_alu instid0(SALU_CYCLE_1)
	s_and_not1_b32 vcc_lo, exec_lo, s22
	s_cbranch_vccnz .LBB126_2286
; %bb.2285:
	global_load_b32 v1, v[4:5], off
	s_wait_loadcnt 0x0
	v_cvt_f32_f16_e32 v10, v1
.LBB126_2286:
	s_mov_b32 s22, 0
.LBB126_2287:
	s_delay_alu instid0(SALU_CYCLE_1)
	s_and_not1_b32 vcc_lo, exec_lo, s22
	s_cbranch_vccnz .LBB126_2298
; %bb.2288:
	s_cmp_lt_i32 s0, 6
	s_cbranch_scc1 .LBB126_2291
; %bb.2289:
	s_cmp_gt_i32 s0, 6
	s_cbranch_scc0 .LBB126_2292
; %bb.2290:
	global_load_b64 v[6:7], v[4:5], off
	s_mov_b32 s22, 0
	s_wait_loadcnt 0x0
	v_cvt_f32_f64_e32 v10, v[6:7]
	s_branch .LBB126_2293
.LBB126_2291:
	s_mov_b32 s22, -1
                                        ; implicit-def: $vgpr10
	s_branch .LBB126_2296
.LBB126_2292:
	s_mov_b32 s22, -1
                                        ; implicit-def: $vgpr10
.LBB126_2293:
	s_delay_alu instid0(SALU_CYCLE_1)
	s_and_not1_b32 vcc_lo, exec_lo, s22
	s_cbranch_vccnz .LBB126_2295
; %bb.2294:
	s_wait_loadcnt 0x0
	global_load_b32 v10, v[4:5], off
.LBB126_2295:
	s_mov_b32 s22, 0
.LBB126_2296:
	s_delay_alu instid0(SALU_CYCLE_1)
	s_and_not1_b32 vcc_lo, exec_lo, s22
	s_cbranch_vccnz .LBB126_2298
; %bb.2297:
	global_load_u16 v1, v[4:5], off
	s_wait_loadcnt 0x0
	v_cvt_f32_f16_e32 v10, v1
.LBB126_2298:
	s_cbranch_execnz .LBB126_2318
.LBB126_2299:
	s_cmp_lt_i32 s0, 2
	s_cbranch_scc1 .LBB126_2303
; %bb.2300:
	s_cmp_lt_i32 s0, 3
	s_cbranch_scc1 .LBB126_2304
; %bb.2301:
	s_cmp_gt_i32 s0, 3
	s_cbranch_scc0 .LBB126_2305
; %bb.2302:
	global_load_b64 v[6:7], v[4:5], off
	s_mov_b32 s22, 0
	s_wait_loadcnt 0x0
	v_xor_b32_e32 v1, v6, v7
	v_cls_i32_e32 v3, v7
	s_delay_alu instid0(VALU_DEP_2) | instskip(NEXT) | instid1(VALU_DEP_1)
	v_ashrrev_i32_e32 v1, 31, v1
	v_add_nc_u32_e32 v1, 32, v1
	s_delay_alu instid0(VALU_DEP_1) | instskip(NEXT) | instid1(VALU_DEP_1)
	v_add_min_u32_e64 v1, v3, -1, v1
	v_lshlrev_b64_e32 v[6:7], v1, v[6:7]
	v_sub_nc_u32_e32 v1, 32, v1
	s_delay_alu instid0(VALU_DEP_2) | instskip(NEXT) | instid1(VALU_DEP_1)
	v_min_u32_e32 v3, 1, v6
	v_or_b32_e32 v3, v7, v3
	s_delay_alu instid0(VALU_DEP_1) | instskip(NEXT) | instid1(VALU_DEP_1)
	v_cvt_f32_i32_e32 v3, v3
	v_ldexp_f32 v10, v3, v1
	s_branch .LBB126_2306
.LBB126_2303:
	s_mov_b32 s22, -1
                                        ; implicit-def: $vgpr10
	s_branch .LBB126_2312
.LBB126_2304:
	s_mov_b32 s22, -1
                                        ; implicit-def: $vgpr10
	s_branch .LBB126_2309
.LBB126_2305:
	s_mov_b32 s22, -1
                                        ; implicit-def: $vgpr10
.LBB126_2306:
	s_delay_alu instid0(SALU_CYCLE_1)
	s_and_not1_b32 vcc_lo, exec_lo, s22
	s_cbranch_vccnz .LBB126_2308
; %bb.2307:
	global_load_b32 v1, v[4:5], off
	s_wait_loadcnt 0x0
	v_cvt_f32_i32_e32 v10, v1
.LBB126_2308:
	s_mov_b32 s22, 0
.LBB126_2309:
	s_delay_alu instid0(SALU_CYCLE_1)
	s_and_not1_b32 vcc_lo, exec_lo, s22
	s_cbranch_vccnz .LBB126_2311
; %bb.2310:
	global_load_i16 v1, v[4:5], off
	s_wait_loadcnt 0x0
	v_cvt_f32_i32_e32 v10, v1
.LBB126_2311:
	s_mov_b32 s22, 0
.LBB126_2312:
	s_delay_alu instid0(SALU_CYCLE_1)
	s_and_not1_b32 vcc_lo, exec_lo, s22
	s_cbranch_vccnz .LBB126_2318
; %bb.2313:
	s_cmp_gt_i32 s0, 0
	s_mov_b32 s0, 0
	s_cbranch_scc0 .LBB126_2315
; %bb.2314:
	global_load_i8 v1, v[4:5], off
	s_wait_loadcnt 0x0
	v_cvt_f32_i32_e32 v10, v1
	s_branch .LBB126_2316
.LBB126_2315:
	s_mov_b32 s0, -1
                                        ; implicit-def: $vgpr10
.LBB126_2316:
	s_delay_alu instid0(SALU_CYCLE_1)
	s_and_not1_b32 vcc_lo, exec_lo, s0
	s_cbranch_vccnz .LBB126_2318
; %bb.2317:
	global_load_u8 v1, v[4:5], off
	s_wait_loadcnt 0x0
	v_cvt_f32_ubyte0_e32 v10, v1
.LBB126_2318:
.LBB126_2319:
	s_wait_xcnt 0x0
	v_mul_lo_u32 v4, s15, v8
	s_and_b32 s0, 0xffff, s1
	s_delay_alu instid0(SALU_CYCLE_1) | instskip(NEXT) | instid1(VALU_DEP_1)
	s_cmp_lt_i32 s0, 11
	v_ashrrev_i32_e32 v5, 31, v4
	s_delay_alu instid0(VALU_DEP_1)
	v_add_nc_u64_e32 v[6:7], s[10:11], v[4:5]
	s_cbranch_scc1 .LBB126_2326
; %bb.2320:
	s_cmp_gt_i32 s0, 25
	s_mov_b32 s22, 0
	s_cbranch_scc0 .LBB126_2328
; %bb.2321:
	s_cmp_gt_i32 s0, 28
	s_cbranch_scc0 .LBB126_2329
; %bb.2322:
	s_cmp_gt_i32 s0, 43
	s_cbranch_scc0 .LBB126_2330
; %bb.2323:
	s_cmp_gt_i32 s0, 45
	s_cbranch_scc0 .LBB126_2332
; %bb.2324:
	s_cmp_eq_u32 s0, 46
	s_mov_b32 s24, 0
	s_cbranch_scc0 .LBB126_2333
; %bb.2325:
	global_load_b32 v1, v[6:7], off
	s_mov_b32 s1, 0
	s_mov_b32 s23, -1
	s_wait_loadcnt 0x0
	v_lshlrev_b32_e32 v12, 16, v1
	s_branch .LBB126_2335
.LBB126_2326:
	s_mov_b32 s23, 0
                                        ; implicit-def: $vgpr12
	s_cbranch_execnz .LBB126_2401
.LBB126_2327:
	s_and_not1_b32 vcc_lo, exec_lo, s23
	s_cbranch_vccnz .LBB126_4065
	s_branch .LBB126_2449
.LBB126_2328:
	s_mov_b32 s24, -1
	s_mov_b32 s23, 0
	s_mov_b32 s1, 0
                                        ; implicit-def: $vgpr12
	s_branch .LBB126_2364
.LBB126_2329:
	s_mov_b32 s24, -1
	s_mov_b32 s23, 0
	s_mov_b32 s1, 0
                                        ; implicit-def: $vgpr12
	s_branch .LBB126_2345
.LBB126_2330:
	s_mov_b32 s24, -1
	s_mov_b32 s23, 0
	s_mov_b32 s1, 0
                                        ; implicit-def: $vgpr12
	s_branch .LBB126_2340
.LBB126_2331:
	s_or_b32 s3, s3, exec_lo
	s_trap 2
	s_cbranch_execz .LBB126_2270
	s_branch .LBB126_2271
.LBB126_2332:
	s_mov_b32 s24, -1
	s_mov_b32 s23, 0
	s_mov_b32 s1, 0
	s_branch .LBB126_2334
.LBB126_2333:
	s_mov_b32 s1, -1
	s_mov_b32 s23, 0
.LBB126_2334:
                                        ; implicit-def: $vgpr12
.LBB126_2335:
	s_and_b32 vcc_lo, exec_lo, s24
	s_cbranch_vccz .LBB126_2339
; %bb.2336:
	s_cmp_eq_u32 s0, 44
	s_cbranch_scc0 .LBB126_2338
; %bb.2337:
	global_load_u8 v1, v[6:7], off
	s_mov_b32 s1, 0
	s_mov_b32 s23, -1
	s_wait_loadcnt 0x0
	v_lshlrev_b32_e32 v3, 23, v1
	v_cmp_ne_u32_e32 vcc_lo, 0xff, v1
	s_delay_alu instid0(VALU_DEP_2) | instskip(SKIP_1) | instid1(VALU_DEP_2)
	v_cndmask_b32_e32 v3, 0x7f800001, v3, vcc_lo
	v_cmp_ne_u32_e32 vcc_lo, 0, v1
	v_cndmask_b32_e32 v12, 0x400000, v3, vcc_lo
	s_branch .LBB126_2339
.LBB126_2338:
	s_mov_b32 s1, -1
                                        ; implicit-def: $vgpr12
.LBB126_2339:
	s_mov_b32 s24, 0
.LBB126_2340:
	s_delay_alu instid0(SALU_CYCLE_1)
	s_and_b32 vcc_lo, exec_lo, s24
	s_cbranch_vccz .LBB126_2344
; %bb.2341:
	s_cmp_eq_u32 s0, 29
	s_cbranch_scc0 .LBB126_2343
; %bb.2342:
	global_load_b64 v[12:13], v[6:7], off
	s_mov_b32 s1, 0
	s_mov_b32 s23, -1
	s_mov_b32 s24, 0
	s_wait_loadcnt 0x0
	v_clz_i32_u32_e32 v1, v13
	s_delay_alu instid0(VALU_DEP_1) | instskip(NEXT) | instid1(VALU_DEP_1)
	v_min_u32_e32 v1, 32, v1
	v_lshlrev_b64_e32 v[12:13], v1, v[12:13]
	v_sub_nc_u32_e32 v1, 32, v1
	s_delay_alu instid0(VALU_DEP_2) | instskip(NEXT) | instid1(VALU_DEP_1)
	v_min_u32_e32 v3, 1, v12
	v_or_b32_e32 v3, v13, v3
	s_delay_alu instid0(VALU_DEP_1) | instskip(NEXT) | instid1(VALU_DEP_1)
	v_cvt_f32_u32_e32 v3, v3
	v_ldexp_f32 v12, v3, v1
	s_branch .LBB126_2345
.LBB126_2343:
	s_mov_b32 s1, -1
                                        ; implicit-def: $vgpr12
.LBB126_2344:
	s_mov_b32 s24, 0
.LBB126_2345:
	s_delay_alu instid0(SALU_CYCLE_1)
	s_and_b32 vcc_lo, exec_lo, s24
	s_cbranch_vccz .LBB126_2363
; %bb.2346:
	s_cmp_lt_i32 s0, 27
	s_cbranch_scc1 .LBB126_2349
; %bb.2347:
	s_cmp_gt_i32 s0, 27
	s_cbranch_scc0 .LBB126_2350
; %bb.2348:
	global_load_b32 v1, v[6:7], off
	s_mov_b32 s23, 0
	s_wait_loadcnt 0x0
	v_cvt_f32_u32_e32 v12, v1
	s_branch .LBB126_2351
.LBB126_2349:
	s_mov_b32 s23, -1
                                        ; implicit-def: $vgpr12
	s_branch .LBB126_2354
.LBB126_2350:
	s_mov_b32 s23, -1
                                        ; implicit-def: $vgpr12
.LBB126_2351:
	s_delay_alu instid0(SALU_CYCLE_1)
	s_and_not1_b32 vcc_lo, exec_lo, s23
	s_cbranch_vccnz .LBB126_2353
; %bb.2352:
	global_load_u16 v1, v[6:7], off
	s_wait_loadcnt 0x0
	v_cvt_f32_u32_e32 v12, v1
.LBB126_2353:
	s_mov_b32 s23, 0
.LBB126_2354:
	s_delay_alu instid0(SALU_CYCLE_1)
	s_and_not1_b32 vcc_lo, exec_lo, s23
	s_cbranch_vccnz .LBB126_2362
; %bb.2355:
	global_load_u8 v1, v[6:7], off
	s_mov_b32 s23, 0
	s_mov_b32 s24, exec_lo
	s_wait_loadcnt 0x0
	v_cmpx_lt_i16_e32 0x7f, v1
	s_xor_b32 s24, exec_lo, s24
	s_cbranch_execz .LBB126_2376
; %bb.2356:
	s_mov_b32 s23, -1
	s_mov_b32 s25, exec_lo
	v_cmpx_eq_u16_e32 0x80, v1
; %bb.2357:
	s_xor_b32 s23, exec_lo, -1
; %bb.2358:
	s_or_b32 exec_lo, exec_lo, s25
	s_delay_alu instid0(SALU_CYCLE_1)
	s_and_b32 s23, s23, exec_lo
	s_or_saveexec_b32 s24, s24
	v_mov_b32_e32 v12, 0x7f800001
	s_xor_b32 exec_lo, exec_lo, s24
	s_cbranch_execnz .LBB126_2377
.LBB126_2359:
	s_or_b32 exec_lo, exec_lo, s24
	s_and_saveexec_b32 s24, s23
	s_cbranch_execz .LBB126_2361
.LBB126_2360:
	v_and_b32_e32 v3, 0xffff, v1
	s_delay_alu instid0(VALU_DEP_1) | instskip(SKIP_1) | instid1(VALU_DEP_2)
	v_dual_lshlrev_b32 v1, 24, v1 :: v_dual_bitop2_b32 v5, 7, v3 bitop3:0x40
	v_bfe_u32 v13, v3, 3, 4
	v_and_b32_e32 v1, 0x80000000, v1
	s_delay_alu instid0(VALU_DEP_3) | instskip(NEXT) | instid1(VALU_DEP_3)
	v_clz_i32_u32_e32 v11, v5
	v_cmp_eq_u32_e32 vcc_lo, 0, v13
	s_delay_alu instid0(VALU_DEP_2) | instskip(NEXT) | instid1(VALU_DEP_1)
	v_min_u32_e32 v11, 32, v11
	v_subrev_nc_u32_e32 v12, 28, v11
	v_sub_nc_u32_e32 v11, 29, v11
	s_delay_alu instid0(VALU_DEP_2) | instskip(NEXT) | instid1(VALU_DEP_2)
	v_lshlrev_b32_e32 v3, v12, v3
	v_cndmask_b32_e32 v11, v13, v11, vcc_lo
	s_delay_alu instid0(VALU_DEP_2) | instskip(NEXT) | instid1(VALU_DEP_1)
	v_and_b32_e32 v3, 7, v3
	v_cndmask_b32_e32 v3, v5, v3, vcc_lo
	s_delay_alu instid0(VALU_DEP_3) | instskip(NEXT) | instid1(VALU_DEP_2)
	v_lshl_add_u32 v5, v11, 23, 0x3b800000
	v_lshlrev_b32_e32 v3, 20, v3
	s_delay_alu instid0(VALU_DEP_1)
	v_or3_b32 v12, v1, v5, v3
.LBB126_2361:
	s_or_b32 exec_lo, exec_lo, s24
.LBB126_2362:
	s_mov_b32 s23, -1
.LBB126_2363:
	s_mov_b32 s24, 0
.LBB126_2364:
	s_delay_alu instid0(SALU_CYCLE_1)
	s_and_b32 vcc_lo, exec_lo, s24
	s_cbranch_vccz .LBB126_2397
; %bb.2365:
	s_cmp_gt_i32 s0, 22
	s_cbranch_scc0 .LBB126_2375
; %bb.2366:
	s_cmp_lt_i32 s0, 24
	s_cbranch_scc1 .LBB126_2378
; %bb.2367:
	s_cmp_gt_i32 s0, 24
	s_cbranch_scc0 .LBB126_2379
; %bb.2368:
	global_load_u8 v1, v[6:7], off
	s_mov_b32 s23, exec_lo
	s_wait_loadcnt 0x0
	v_cmpx_lt_i16_e32 0x7f, v1
	s_xor_b32 s23, exec_lo, s23
	s_cbranch_execz .LBB126_2391
; %bb.2369:
	s_mov_b32 s22, -1
	s_mov_b32 s24, exec_lo
	v_cmpx_eq_u16_e32 0x80, v1
; %bb.2370:
	s_xor_b32 s22, exec_lo, -1
; %bb.2371:
	s_or_b32 exec_lo, exec_lo, s24
	s_delay_alu instid0(SALU_CYCLE_1)
	s_and_b32 s22, s22, exec_lo
	s_or_saveexec_b32 s23, s23
	v_mov_b32_e32 v12, 0x7f800001
	s_xor_b32 exec_lo, exec_lo, s23
	s_cbranch_execnz .LBB126_2392
.LBB126_2372:
	s_or_b32 exec_lo, exec_lo, s23
	s_and_saveexec_b32 s23, s22
	s_cbranch_execz .LBB126_2374
.LBB126_2373:
	v_and_b32_e32 v3, 0xffff, v1
	s_delay_alu instid0(VALU_DEP_1) | instskip(SKIP_1) | instid1(VALU_DEP_2)
	v_dual_lshlrev_b32 v1, 24, v1 :: v_dual_bitop2_b32 v5, 3, v3 bitop3:0x40
	v_bfe_u32 v13, v3, 2, 5
	v_and_b32_e32 v1, 0x80000000, v1
	s_delay_alu instid0(VALU_DEP_3) | instskip(NEXT) | instid1(VALU_DEP_3)
	v_clz_i32_u32_e32 v11, v5
	v_cmp_eq_u32_e32 vcc_lo, 0, v13
	s_delay_alu instid0(VALU_DEP_2) | instskip(NEXT) | instid1(VALU_DEP_1)
	v_min_u32_e32 v11, 32, v11
	v_subrev_nc_u32_e32 v12, 29, v11
	v_sub_nc_u32_e32 v11, 30, v11
	s_delay_alu instid0(VALU_DEP_2) | instskip(NEXT) | instid1(VALU_DEP_2)
	v_lshlrev_b32_e32 v3, v12, v3
	v_cndmask_b32_e32 v11, v13, v11, vcc_lo
	s_delay_alu instid0(VALU_DEP_2) | instskip(NEXT) | instid1(VALU_DEP_1)
	v_and_b32_e32 v3, 3, v3
	v_cndmask_b32_e32 v3, v5, v3, vcc_lo
	s_delay_alu instid0(VALU_DEP_3) | instskip(NEXT) | instid1(VALU_DEP_2)
	v_lshl_add_u32 v5, v11, 23, 0x37800000
	v_lshlrev_b32_e32 v3, 21, v3
	s_delay_alu instid0(VALU_DEP_1)
	v_or3_b32 v12, v1, v5, v3
.LBB126_2374:
	s_or_b32 exec_lo, exec_lo, s23
	s_mov_b32 s22, 0
	s_branch .LBB126_2380
.LBB126_2375:
	s_mov_b32 s22, -1
                                        ; implicit-def: $vgpr12
	s_branch .LBB126_2386
.LBB126_2376:
	s_or_saveexec_b32 s24, s24
	v_mov_b32_e32 v12, 0x7f800001
	s_xor_b32 exec_lo, exec_lo, s24
	s_cbranch_execz .LBB126_2359
.LBB126_2377:
	v_cmp_ne_u16_e32 vcc_lo, 0, v1
	v_mov_b32_e32 v12, 0
	s_and_not1_b32 s23, s23, exec_lo
	s_and_b32 s25, vcc_lo, exec_lo
	s_delay_alu instid0(SALU_CYCLE_1)
	s_or_b32 s23, s23, s25
	s_or_b32 exec_lo, exec_lo, s24
	s_and_saveexec_b32 s24, s23
	s_cbranch_execnz .LBB126_2360
	s_branch .LBB126_2361
.LBB126_2378:
	s_mov_b32 s22, -1
                                        ; implicit-def: $vgpr12
	s_branch .LBB126_2383
.LBB126_2379:
	s_mov_b32 s22, -1
                                        ; implicit-def: $vgpr12
.LBB126_2380:
	s_delay_alu instid0(SALU_CYCLE_1)
	s_and_b32 vcc_lo, exec_lo, s22
	s_cbranch_vccz .LBB126_2382
; %bb.2381:
	global_load_u8 v1, v[6:7], off
	s_wait_loadcnt 0x0
	v_lshlrev_b32_e32 v1, 24, v1
	s_delay_alu instid0(VALU_DEP_1) | instskip(NEXT) | instid1(VALU_DEP_1)
	v_and_b32_e32 v3, 0x7f000000, v1
	v_clz_i32_u32_e32 v5, v3
	v_cmp_ne_u32_e32 vcc_lo, 0, v3
	v_add_nc_u32_e32 v12, 0x1000000, v3
	s_delay_alu instid0(VALU_DEP_3) | instskip(NEXT) | instid1(VALU_DEP_1)
	v_min_u32_e32 v5, 32, v5
	v_sub_nc_u32_e64 v5, v5, 4 clamp
	s_delay_alu instid0(VALU_DEP_1) | instskip(NEXT) | instid1(VALU_DEP_1)
	v_dual_lshlrev_b32 v11, v5, v3 :: v_dual_lshlrev_b32 v5, 23, v5
	v_lshrrev_b32_e32 v11, 4, v11
	s_delay_alu instid0(VALU_DEP_1) | instskip(NEXT) | instid1(VALU_DEP_1)
	v_dual_sub_nc_u32 v5, v11, v5 :: v_dual_ashrrev_i32 v11, 8, v12
	v_add_nc_u32_e32 v5, 0x3c000000, v5
	s_delay_alu instid0(VALU_DEP_1) | instskip(NEXT) | instid1(VALU_DEP_1)
	v_and_or_b32 v5, 0x7f800000, v11, v5
	v_cndmask_b32_e32 v3, 0, v5, vcc_lo
	s_delay_alu instid0(VALU_DEP_1)
	v_and_or_b32 v12, 0x80000000, v1, v3
.LBB126_2382:
	s_mov_b32 s22, 0
.LBB126_2383:
	s_delay_alu instid0(SALU_CYCLE_1)
	s_and_not1_b32 vcc_lo, exec_lo, s22
	s_cbranch_vccnz .LBB126_2385
; %bb.2384:
	global_load_u8 v1, v[6:7], off
	s_wait_loadcnt 0x0
	v_lshlrev_b32_e32 v3, 25, v1
	v_lshlrev_b16 v1, 8, v1
	s_delay_alu instid0(VALU_DEP_1) | instskip(SKIP_1) | instid1(VALU_DEP_2)
	v_and_or_b32 v11, 0x7f00, v1, 0.5
	v_bfe_i32 v1, v1, 0, 16
	v_add_f32_e32 v11, -0.5, v11
	v_lshrrev_b32_e32 v5, 4, v3
	v_cmp_gt_u32_e32 vcc_lo, 0x8000000, v3
	s_delay_alu instid0(VALU_DEP_2) | instskip(NEXT) | instid1(VALU_DEP_1)
	v_or_b32_e32 v5, 0x70000000, v5
	v_mul_f32_e32 v5, 0x7800000, v5
	s_delay_alu instid0(VALU_DEP_1) | instskip(NEXT) | instid1(VALU_DEP_1)
	v_cndmask_b32_e32 v3, v5, v11, vcc_lo
	v_and_or_b32 v12, 0x80000000, v1, v3
.LBB126_2385:
	s_mov_b32 s22, 0
	s_mov_b32 s23, -1
.LBB126_2386:
	s_and_not1_b32 vcc_lo, exec_lo, s22
	s_mov_b32 s22, 0
	s_cbranch_vccnz .LBB126_2397
; %bb.2387:
	s_cmp_gt_i32 s0, 14
	s_cbranch_scc0 .LBB126_2390
; %bb.2388:
	s_cmp_eq_u32 s0, 15
	s_cbranch_scc0 .LBB126_2393
; %bb.2389:
	global_load_u16 v1, v[6:7], off
	s_mov_b32 s1, 0
	s_mov_b32 s23, -1
	s_wait_loadcnt 0x0
	v_lshlrev_b32_e32 v12, 16, v1
	s_branch .LBB126_2395
.LBB126_2390:
	s_mov_b32 s22, -1
	s_branch .LBB126_2394
.LBB126_2391:
	s_or_saveexec_b32 s23, s23
	v_mov_b32_e32 v12, 0x7f800001
	s_xor_b32 exec_lo, exec_lo, s23
	s_cbranch_execz .LBB126_2372
.LBB126_2392:
	v_cmp_ne_u16_e32 vcc_lo, 0, v1
	v_mov_b32_e32 v12, 0
	s_and_not1_b32 s22, s22, exec_lo
	s_and_b32 s24, vcc_lo, exec_lo
	s_delay_alu instid0(SALU_CYCLE_1)
	s_or_b32 s22, s22, s24
	s_or_b32 exec_lo, exec_lo, s23
	s_and_saveexec_b32 s23, s22
	s_cbranch_execnz .LBB126_2373
	s_branch .LBB126_2374
.LBB126_2393:
	s_mov_b32 s1, -1
.LBB126_2394:
                                        ; implicit-def: $vgpr12
.LBB126_2395:
	s_and_b32 vcc_lo, exec_lo, s22
	s_mov_b32 s22, 0
	s_cbranch_vccz .LBB126_2397
; %bb.2396:
	s_cmp_lg_u32 s0, 11
	s_mov_b32 s22, -1
	s_cselect_b32 s1, -1, 0
.LBB126_2397:
	s_delay_alu instid0(SALU_CYCLE_1)
	s_and_b32 vcc_lo, exec_lo, s1
	s_cbranch_vccnz .LBB126_2460
; %bb.2398:
	s_and_not1_b32 vcc_lo, exec_lo, s22
	s_cbranch_vccnz .LBB126_2400
.LBB126_2399:
	global_load_u8 v1, v[6:7], off
	s_mov_b32 s23, -1
	s_wait_loadcnt 0x0
	v_cmp_ne_u16_e32 vcc_lo, 0, v1
	v_cndmask_b32_e64 v12, 0, 1.0, vcc_lo
.LBB126_2400:
	s_branch .LBB126_2327
.LBB126_2401:
	s_cmp_lt_i32 s0, 5
	s_cbranch_scc1 .LBB126_2406
; %bb.2402:
	s_cmp_lt_i32 s0, 8
	s_cbranch_scc1 .LBB126_2407
; %bb.2403:
	s_cmp_lt_i32 s0, 9
	s_cbranch_scc1 .LBB126_2408
; %bb.2404:
	s_cmp_gt_i32 s0, 9
	s_cbranch_scc0 .LBB126_2409
; %bb.2405:
	global_load_b64 v[12:13], v[6:7], off
	s_mov_b32 s1, 0
	s_wait_loadcnt 0x0
	v_cvt_f32_f64_e32 v12, v[12:13]
	s_branch .LBB126_2410
.LBB126_2406:
	s_mov_b32 s1, -1
                                        ; implicit-def: $vgpr12
	s_branch .LBB126_2428
.LBB126_2407:
	s_mov_b32 s1, -1
                                        ; implicit-def: $vgpr12
	s_branch .LBB126_2416
.LBB126_2408:
	s_mov_b32 s1, -1
                                        ; implicit-def: $vgpr12
	s_branch .LBB126_2413
.LBB126_2409:
	s_mov_b32 s1, -1
                                        ; implicit-def: $vgpr12
.LBB126_2410:
	s_delay_alu instid0(SALU_CYCLE_1)
	s_and_not1_b32 vcc_lo, exec_lo, s1
	s_cbranch_vccnz .LBB126_2412
; %bb.2411:
	global_load_b32 v12, v[6:7], off
.LBB126_2412:
	s_mov_b32 s1, 0
.LBB126_2413:
	s_delay_alu instid0(SALU_CYCLE_1)
	s_and_not1_b32 vcc_lo, exec_lo, s1
	s_cbranch_vccnz .LBB126_2415
; %bb.2414:
	global_load_b32 v1, v[6:7], off
	s_wait_loadcnt 0x0
	v_cvt_f32_f16_e32 v12, v1
.LBB126_2415:
	s_mov_b32 s1, 0
.LBB126_2416:
	s_delay_alu instid0(SALU_CYCLE_1)
	s_and_not1_b32 vcc_lo, exec_lo, s1
	s_cbranch_vccnz .LBB126_2427
; %bb.2417:
	s_cmp_lt_i32 s0, 6
	s_cbranch_scc1 .LBB126_2420
; %bb.2418:
	s_cmp_gt_i32 s0, 6
	s_cbranch_scc0 .LBB126_2421
; %bb.2419:
	s_wait_loadcnt 0x0
	global_load_b64 v[12:13], v[6:7], off
	s_mov_b32 s1, 0
	s_wait_loadcnt 0x0
	v_cvt_f32_f64_e32 v12, v[12:13]
	s_branch .LBB126_2422
.LBB126_2420:
	s_mov_b32 s1, -1
                                        ; implicit-def: $vgpr12
	s_branch .LBB126_2425
.LBB126_2421:
	s_mov_b32 s1, -1
                                        ; implicit-def: $vgpr12
.LBB126_2422:
	s_delay_alu instid0(SALU_CYCLE_1)
	s_and_not1_b32 vcc_lo, exec_lo, s1
	s_cbranch_vccnz .LBB126_2424
; %bb.2423:
	s_wait_loadcnt 0x0
	global_load_b32 v12, v[6:7], off
.LBB126_2424:
	s_mov_b32 s1, 0
.LBB126_2425:
	s_delay_alu instid0(SALU_CYCLE_1)
	s_and_not1_b32 vcc_lo, exec_lo, s1
	s_cbranch_vccnz .LBB126_2427
; %bb.2426:
	global_load_u16 v1, v[6:7], off
	s_wait_loadcnt 0x0
	v_cvt_f32_f16_e32 v12, v1
.LBB126_2427:
	s_mov_b32 s1, 0
.LBB126_2428:
	s_delay_alu instid0(SALU_CYCLE_1)
	s_and_not1_b32 vcc_lo, exec_lo, s1
	s_cbranch_vccnz .LBB126_2448
; %bb.2429:
	s_cmp_lt_i32 s0, 2
	s_cbranch_scc1 .LBB126_2433
; %bb.2430:
	s_cmp_lt_i32 s0, 3
	s_cbranch_scc1 .LBB126_2434
; %bb.2431:
	s_cmp_gt_i32 s0, 3
	s_cbranch_scc0 .LBB126_2435
; %bb.2432:
	s_wait_loadcnt 0x0
	global_load_b64 v[12:13], v[6:7], off
	s_mov_b32 s1, 0
	s_wait_loadcnt 0x0
	v_xor_b32_e32 v1, v12, v13
	v_cls_i32_e32 v3, v13
	s_delay_alu instid0(VALU_DEP_2) | instskip(NEXT) | instid1(VALU_DEP_1)
	v_ashrrev_i32_e32 v1, 31, v1
	v_add_nc_u32_e32 v1, 32, v1
	s_delay_alu instid0(VALU_DEP_1) | instskip(NEXT) | instid1(VALU_DEP_1)
	v_add_min_u32_e64 v1, v3, -1, v1
	v_lshlrev_b64_e32 v[12:13], v1, v[12:13]
	v_sub_nc_u32_e32 v1, 32, v1
	s_delay_alu instid0(VALU_DEP_2) | instskip(NEXT) | instid1(VALU_DEP_1)
	v_min_u32_e32 v3, 1, v12
	v_or_b32_e32 v3, v13, v3
	s_delay_alu instid0(VALU_DEP_1) | instskip(NEXT) | instid1(VALU_DEP_1)
	v_cvt_f32_i32_e32 v3, v3
	v_ldexp_f32 v12, v3, v1
	s_branch .LBB126_2436
.LBB126_2433:
	s_mov_b32 s1, -1
                                        ; implicit-def: $vgpr12
	s_branch .LBB126_2442
.LBB126_2434:
	s_mov_b32 s1, -1
                                        ; implicit-def: $vgpr12
	s_branch .LBB126_2439
.LBB126_2435:
	s_mov_b32 s1, -1
                                        ; implicit-def: $vgpr12
.LBB126_2436:
	s_delay_alu instid0(SALU_CYCLE_1)
	s_and_not1_b32 vcc_lo, exec_lo, s1
	s_cbranch_vccnz .LBB126_2438
; %bb.2437:
	global_load_b32 v1, v[6:7], off
	s_wait_loadcnt 0x0
	v_cvt_f32_i32_e32 v12, v1
.LBB126_2438:
	s_mov_b32 s1, 0
.LBB126_2439:
	s_delay_alu instid0(SALU_CYCLE_1)
	s_and_not1_b32 vcc_lo, exec_lo, s1
	s_cbranch_vccnz .LBB126_2441
; %bb.2440:
	global_load_i16 v1, v[6:7], off
	s_wait_loadcnt 0x0
	v_cvt_f32_i32_e32 v12, v1
.LBB126_2441:
	s_mov_b32 s1, 0
.LBB126_2442:
	s_delay_alu instid0(SALU_CYCLE_1)
	s_and_not1_b32 vcc_lo, exec_lo, s1
	s_cbranch_vccnz .LBB126_2448
; %bb.2443:
	s_cmp_gt_i32 s0, 0
	s_mov_b32 s1, 0
	s_cbranch_scc0 .LBB126_2445
; %bb.2444:
	global_load_i8 v1, v[6:7], off
	s_wait_loadcnt 0x0
	v_cvt_f32_i32_e32 v12, v1
	s_branch .LBB126_2446
.LBB126_2445:
	s_mov_b32 s1, -1
                                        ; implicit-def: $vgpr12
.LBB126_2446:
	s_delay_alu instid0(SALU_CYCLE_1)
	s_and_not1_b32 vcc_lo, exec_lo, s1
	s_cbranch_vccnz .LBB126_2448
; %bb.2447:
	global_load_u8 v1, v[6:7], off
	s_wait_loadcnt 0x0
	v_cvt_f32_ubyte0_e32 v12, v1
.LBB126_2448:
.LBB126_2449:
	s_lshl_b32 s1, s13, 7
	s_cmp_lt_i32 s19, 11
	v_add_nc_u32_e32 v0, s1, v0
	s_delay_alu instid0(VALU_DEP_1) | instskip(SKIP_1) | instid1(VALU_DEP_1)
	v_ashrrev_i32_e32 v1, 31, v0
	s_wait_xcnt 0x0
	v_add_nc_u64_e32 v[6:7], s[6:7], v[0:1]
	s_cbranch_scc1 .LBB126_2456
; %bb.2450:
	s_and_b32 s13, 0xffff, s19
	s_mov_b32 s23, 0
	s_cmp_gt_i32 s13, 25
	s_cbranch_scc0 .LBB126_2457
; %bb.2451:
	s_cmp_gt_i32 s13, 28
	s_cbranch_scc0 .LBB126_2458
; %bb.2452:
	;; [unrolled: 3-line block ×4, first 2 shown]
	s_cmp_eq_u32 s13, 46
	s_mov_b32 s25, 0
	s_cbranch_scc0 .LBB126_2462
; %bb.2455:
	global_load_b32 v1, v[6:7], off
	s_mov_b32 s22, 0
	s_mov_b32 s24, -1
	s_wait_loadcnt 0x0
	v_lshlrev_b32_e32 v11, 16, v1
	s_branch .LBB126_2464
.LBB126_2456:
	s_mov_b32 s13, -1
	s_mov_b32 s24, 0
                                        ; implicit-def: $vgpr11
	s_branch .LBB126_2530
.LBB126_2457:
	s_mov_b32 s25, -1
	s_mov_b32 s24, 0
	s_mov_b32 s22, 0
                                        ; implicit-def: $vgpr11
	s_branch .LBB126_2493
.LBB126_2458:
	s_mov_b32 s25, -1
	s_mov_b32 s24, 0
	s_mov_b32 s22, 0
                                        ; implicit-def: $vgpr11
	s_branch .LBB126_2474
.LBB126_2459:
	s_mov_b32 s25, -1
	s_mov_b32 s24, 0
	s_mov_b32 s22, 0
                                        ; implicit-def: $vgpr11
	s_branch .LBB126_2469
.LBB126_2460:
	s_or_b32 s3, s3, exec_lo
	s_trap 2
	s_cbranch_execz .LBB126_2399
	s_branch .LBB126_2400
.LBB126_2461:
	s_mov_b32 s25, -1
	s_mov_b32 s24, 0
	s_mov_b32 s22, 0
	s_branch .LBB126_2463
.LBB126_2462:
	s_mov_b32 s22, -1
	s_mov_b32 s24, 0
.LBB126_2463:
                                        ; implicit-def: $vgpr11
.LBB126_2464:
	s_and_b32 vcc_lo, exec_lo, s25
	s_cbranch_vccz .LBB126_2468
; %bb.2465:
	s_cmp_eq_u32 s13, 44
	s_cbranch_scc0 .LBB126_2467
; %bb.2466:
	global_load_u8 v1, v[6:7], off
	s_mov_b32 s22, 0
	s_mov_b32 s24, -1
	s_wait_loadcnt 0x0
	v_lshlrev_b32_e32 v3, 23, v1
	v_cmp_ne_u32_e32 vcc_lo, 0xff, v1
	s_delay_alu instid0(VALU_DEP_2) | instskip(SKIP_1) | instid1(VALU_DEP_2)
	v_cndmask_b32_e32 v3, 0x7f800001, v3, vcc_lo
	v_cmp_ne_u32_e32 vcc_lo, 0, v1
	v_cndmask_b32_e32 v11, 0x400000, v3, vcc_lo
	s_branch .LBB126_2468
.LBB126_2467:
	s_mov_b32 s22, -1
                                        ; implicit-def: $vgpr11
.LBB126_2468:
	s_mov_b32 s25, 0
.LBB126_2469:
	s_delay_alu instid0(SALU_CYCLE_1)
	s_and_b32 vcc_lo, exec_lo, s25
	s_cbranch_vccz .LBB126_2473
; %bb.2470:
	s_cmp_eq_u32 s13, 29
	s_cbranch_scc0 .LBB126_2472
; %bb.2471:
	global_load_b64 v[14:15], v[6:7], off
	s_mov_b32 s22, 0
	s_mov_b32 s24, -1
	s_mov_b32 s25, 0
	s_wait_loadcnt 0x0
	v_clz_i32_u32_e32 v1, v15
	s_delay_alu instid0(VALU_DEP_1) | instskip(NEXT) | instid1(VALU_DEP_1)
	v_min_u32_e32 v1, 32, v1
	v_lshlrev_b64_e32 v[14:15], v1, v[14:15]
	v_sub_nc_u32_e32 v1, 32, v1
	s_delay_alu instid0(VALU_DEP_2) | instskip(NEXT) | instid1(VALU_DEP_1)
	v_min_u32_e32 v3, 1, v14
	v_or_b32_e32 v3, v15, v3
	s_delay_alu instid0(VALU_DEP_1) | instskip(NEXT) | instid1(VALU_DEP_1)
	v_cvt_f32_u32_e32 v3, v3
	v_ldexp_f32 v11, v3, v1
	s_branch .LBB126_2474
.LBB126_2472:
	s_mov_b32 s22, -1
                                        ; implicit-def: $vgpr11
.LBB126_2473:
	s_mov_b32 s25, 0
.LBB126_2474:
	s_delay_alu instid0(SALU_CYCLE_1)
	s_and_b32 vcc_lo, exec_lo, s25
	s_cbranch_vccz .LBB126_2492
; %bb.2475:
	s_cmp_lt_i32 s13, 27
	s_cbranch_scc1 .LBB126_2478
; %bb.2476:
	s_cmp_gt_i32 s13, 27
	s_cbranch_scc0 .LBB126_2479
; %bb.2477:
	global_load_b32 v1, v[6:7], off
	s_mov_b32 s24, 0
	s_wait_loadcnt 0x0
	v_cvt_f32_u32_e32 v11, v1
	s_branch .LBB126_2480
.LBB126_2478:
	s_mov_b32 s24, -1
                                        ; implicit-def: $vgpr11
	s_branch .LBB126_2483
.LBB126_2479:
	s_mov_b32 s24, -1
                                        ; implicit-def: $vgpr11
.LBB126_2480:
	s_delay_alu instid0(SALU_CYCLE_1)
	s_and_not1_b32 vcc_lo, exec_lo, s24
	s_cbranch_vccnz .LBB126_2482
; %bb.2481:
	global_load_u16 v1, v[6:7], off
	s_wait_loadcnt 0x0
	v_cvt_f32_u32_e32 v11, v1
.LBB126_2482:
	s_mov_b32 s24, 0
.LBB126_2483:
	s_delay_alu instid0(SALU_CYCLE_1)
	s_and_not1_b32 vcc_lo, exec_lo, s24
	s_cbranch_vccnz .LBB126_2491
; %bb.2484:
	global_load_u8 v1, v[6:7], off
	s_mov_b32 s24, 0
	s_mov_b32 s25, exec_lo
	s_wait_loadcnt 0x0
	v_cmpx_lt_i16_e32 0x7f, v1
	s_xor_b32 s25, exec_lo, s25
	s_cbranch_execz .LBB126_2505
; %bb.2485:
	s_mov_b32 s24, -1
	s_mov_b32 s26, exec_lo
	v_cmpx_eq_u16_e32 0x80, v1
; %bb.2486:
	s_xor_b32 s24, exec_lo, -1
; %bb.2487:
	s_or_b32 exec_lo, exec_lo, s26
	s_delay_alu instid0(SALU_CYCLE_1)
	s_and_b32 s24, s24, exec_lo
	s_or_saveexec_b32 s25, s25
	v_mov_b32_e32 v11, 0x7f800001
	s_xor_b32 exec_lo, exec_lo, s25
	s_cbranch_execnz .LBB126_2506
.LBB126_2488:
	s_or_b32 exec_lo, exec_lo, s25
	s_and_saveexec_b32 s25, s24
	s_cbranch_execz .LBB126_2490
.LBB126_2489:
	v_and_b32_e32 v3, 0xffff, v1
	s_delay_alu instid0(VALU_DEP_1) | instskip(SKIP_1) | instid1(VALU_DEP_2)
	v_dual_lshlrev_b32 v1, 24, v1 :: v_dual_bitop2_b32 v5, 7, v3 bitop3:0x40
	v_bfe_u32 v14, v3, 3, 4
	v_and_b32_e32 v1, 0x80000000, v1
	s_delay_alu instid0(VALU_DEP_3) | instskip(NEXT) | instid1(VALU_DEP_3)
	v_clz_i32_u32_e32 v11, v5
	v_cmp_eq_u32_e32 vcc_lo, 0, v14
	s_delay_alu instid0(VALU_DEP_2) | instskip(NEXT) | instid1(VALU_DEP_1)
	v_min_u32_e32 v11, 32, v11
	v_subrev_nc_u32_e32 v13, 28, v11
	v_sub_nc_u32_e32 v11, 29, v11
	s_delay_alu instid0(VALU_DEP_2) | instskip(NEXT) | instid1(VALU_DEP_2)
	v_lshlrev_b32_e32 v3, v13, v3
	v_cndmask_b32_e32 v11, v14, v11, vcc_lo
	s_delay_alu instid0(VALU_DEP_2) | instskip(NEXT) | instid1(VALU_DEP_1)
	v_and_b32_e32 v3, 7, v3
	v_cndmask_b32_e32 v3, v5, v3, vcc_lo
	s_delay_alu instid0(VALU_DEP_3) | instskip(NEXT) | instid1(VALU_DEP_2)
	v_lshl_add_u32 v5, v11, 23, 0x3b800000
	v_lshlrev_b32_e32 v3, 20, v3
	s_delay_alu instid0(VALU_DEP_1)
	v_or3_b32 v11, v1, v5, v3
.LBB126_2490:
	s_or_b32 exec_lo, exec_lo, s25
.LBB126_2491:
	s_mov_b32 s24, -1
.LBB126_2492:
	s_mov_b32 s25, 0
.LBB126_2493:
	s_delay_alu instid0(SALU_CYCLE_1)
	s_and_b32 vcc_lo, exec_lo, s25
	s_cbranch_vccz .LBB126_2526
; %bb.2494:
	s_cmp_gt_i32 s13, 22
	s_cbranch_scc0 .LBB126_2504
; %bb.2495:
	s_cmp_lt_i32 s13, 24
	s_cbranch_scc1 .LBB126_2507
; %bb.2496:
	s_cmp_gt_i32 s13, 24
	s_cbranch_scc0 .LBB126_2508
; %bb.2497:
	global_load_u8 v1, v[6:7], off
	s_mov_b32 s24, exec_lo
	s_wait_loadcnt 0x0
	v_cmpx_lt_i16_e32 0x7f, v1
	s_xor_b32 s24, exec_lo, s24
	s_cbranch_execz .LBB126_2520
; %bb.2498:
	s_mov_b32 s23, -1
	s_mov_b32 s25, exec_lo
	v_cmpx_eq_u16_e32 0x80, v1
; %bb.2499:
	s_xor_b32 s23, exec_lo, -1
; %bb.2500:
	s_or_b32 exec_lo, exec_lo, s25
	s_delay_alu instid0(SALU_CYCLE_1)
	s_and_b32 s23, s23, exec_lo
	s_or_saveexec_b32 s24, s24
	v_mov_b32_e32 v11, 0x7f800001
	s_xor_b32 exec_lo, exec_lo, s24
	s_cbranch_execnz .LBB126_2521
.LBB126_2501:
	s_or_b32 exec_lo, exec_lo, s24
	s_and_saveexec_b32 s24, s23
	s_cbranch_execz .LBB126_2503
.LBB126_2502:
	v_and_b32_e32 v3, 0xffff, v1
	s_delay_alu instid0(VALU_DEP_1) | instskip(SKIP_1) | instid1(VALU_DEP_2)
	v_dual_lshlrev_b32 v1, 24, v1 :: v_dual_bitop2_b32 v5, 3, v3 bitop3:0x40
	v_bfe_u32 v14, v3, 2, 5
	v_and_b32_e32 v1, 0x80000000, v1
	s_delay_alu instid0(VALU_DEP_3) | instskip(NEXT) | instid1(VALU_DEP_3)
	v_clz_i32_u32_e32 v11, v5
	v_cmp_eq_u32_e32 vcc_lo, 0, v14
	s_delay_alu instid0(VALU_DEP_2) | instskip(NEXT) | instid1(VALU_DEP_1)
	v_min_u32_e32 v11, 32, v11
	v_subrev_nc_u32_e32 v13, 29, v11
	v_sub_nc_u32_e32 v11, 30, v11
	s_delay_alu instid0(VALU_DEP_2) | instskip(NEXT) | instid1(VALU_DEP_2)
	v_lshlrev_b32_e32 v3, v13, v3
	v_cndmask_b32_e32 v11, v14, v11, vcc_lo
	s_delay_alu instid0(VALU_DEP_2) | instskip(NEXT) | instid1(VALU_DEP_1)
	v_and_b32_e32 v3, 3, v3
	v_cndmask_b32_e32 v3, v5, v3, vcc_lo
	s_delay_alu instid0(VALU_DEP_3) | instskip(NEXT) | instid1(VALU_DEP_2)
	v_lshl_add_u32 v5, v11, 23, 0x37800000
	v_lshlrev_b32_e32 v3, 21, v3
	s_delay_alu instid0(VALU_DEP_1)
	v_or3_b32 v11, v1, v5, v3
.LBB126_2503:
	s_or_b32 exec_lo, exec_lo, s24
	s_mov_b32 s23, 0
	s_branch .LBB126_2509
.LBB126_2504:
	s_mov_b32 s23, -1
                                        ; implicit-def: $vgpr11
	s_branch .LBB126_2515
.LBB126_2505:
	s_or_saveexec_b32 s25, s25
	v_mov_b32_e32 v11, 0x7f800001
	s_xor_b32 exec_lo, exec_lo, s25
	s_cbranch_execz .LBB126_2488
.LBB126_2506:
	v_cmp_ne_u16_e32 vcc_lo, 0, v1
	v_mov_b32_e32 v11, 0
	s_and_not1_b32 s24, s24, exec_lo
	s_and_b32 s26, vcc_lo, exec_lo
	s_delay_alu instid0(SALU_CYCLE_1)
	s_or_b32 s24, s24, s26
	s_or_b32 exec_lo, exec_lo, s25
	s_and_saveexec_b32 s25, s24
	s_cbranch_execnz .LBB126_2489
	s_branch .LBB126_2490
.LBB126_2507:
	s_mov_b32 s23, -1
                                        ; implicit-def: $vgpr11
	s_branch .LBB126_2512
.LBB126_2508:
	s_mov_b32 s23, -1
                                        ; implicit-def: $vgpr11
.LBB126_2509:
	s_delay_alu instid0(SALU_CYCLE_1)
	s_and_b32 vcc_lo, exec_lo, s23
	s_cbranch_vccz .LBB126_2511
; %bb.2510:
	global_load_u8 v1, v[6:7], off
	s_wait_loadcnt 0x0
	v_lshlrev_b32_e32 v1, 24, v1
	s_delay_alu instid0(VALU_DEP_1) | instskip(NEXT) | instid1(VALU_DEP_1)
	v_and_b32_e32 v3, 0x7f000000, v1
	v_clz_i32_u32_e32 v5, v3
	v_add_nc_u32_e32 v13, 0x1000000, v3
	v_cmp_ne_u32_e32 vcc_lo, 0, v3
	s_delay_alu instid0(VALU_DEP_3) | instskip(NEXT) | instid1(VALU_DEP_1)
	v_min_u32_e32 v5, 32, v5
	v_sub_nc_u32_e64 v5, v5, 4 clamp
	s_delay_alu instid0(VALU_DEP_1) | instskip(NEXT) | instid1(VALU_DEP_1)
	v_dual_lshlrev_b32 v11, v5, v3 :: v_dual_lshlrev_b32 v5, 23, v5
	v_lshrrev_b32_e32 v11, 4, v11
	s_delay_alu instid0(VALU_DEP_1) | instskip(SKIP_1) | instid1(VALU_DEP_2)
	v_sub_nc_u32_e32 v5, v11, v5
	v_ashrrev_i32_e32 v11, 8, v13
	v_add_nc_u32_e32 v5, 0x3c000000, v5
	s_delay_alu instid0(VALU_DEP_1) | instskip(NEXT) | instid1(VALU_DEP_1)
	v_and_or_b32 v5, 0x7f800000, v11, v5
	v_cndmask_b32_e32 v3, 0, v5, vcc_lo
	s_delay_alu instid0(VALU_DEP_1)
	v_and_or_b32 v11, 0x80000000, v1, v3
.LBB126_2511:
	s_mov_b32 s23, 0
.LBB126_2512:
	s_delay_alu instid0(SALU_CYCLE_1)
	s_and_not1_b32 vcc_lo, exec_lo, s23
	s_cbranch_vccnz .LBB126_2514
; %bb.2513:
	global_load_u8 v1, v[6:7], off
	s_wait_loadcnt 0x0
	v_lshlrev_b32_e32 v3, 25, v1
	v_lshlrev_b16 v1, 8, v1
	s_delay_alu instid0(VALU_DEP_1) | instskip(SKIP_1) | instid1(VALU_DEP_2)
	v_and_or_b32 v11, 0x7f00, v1, 0.5
	v_bfe_i32 v1, v1, 0, 16
	v_add_f32_e32 v11, -0.5, v11
	v_lshrrev_b32_e32 v5, 4, v3
	v_cmp_gt_u32_e32 vcc_lo, 0x8000000, v3
	s_delay_alu instid0(VALU_DEP_2) | instskip(NEXT) | instid1(VALU_DEP_1)
	v_or_b32_e32 v5, 0x70000000, v5
	v_mul_f32_e32 v5, 0x7800000, v5
	s_delay_alu instid0(VALU_DEP_1) | instskip(NEXT) | instid1(VALU_DEP_1)
	v_cndmask_b32_e32 v3, v5, v11, vcc_lo
	v_and_or_b32 v11, 0x80000000, v1, v3
.LBB126_2514:
	s_mov_b32 s23, 0
	s_mov_b32 s24, -1
.LBB126_2515:
	s_and_not1_b32 vcc_lo, exec_lo, s23
	s_mov_b32 s23, 0
	s_cbranch_vccnz .LBB126_2526
; %bb.2516:
	s_cmp_gt_i32 s13, 14
	s_cbranch_scc0 .LBB126_2519
; %bb.2517:
	s_cmp_eq_u32 s13, 15
	s_cbranch_scc0 .LBB126_2522
; %bb.2518:
	global_load_u16 v1, v[6:7], off
	s_mov_b32 s22, 0
	s_mov_b32 s24, -1
	s_wait_loadcnt 0x0
	v_lshlrev_b32_e32 v11, 16, v1
	s_branch .LBB126_2524
.LBB126_2519:
	s_mov_b32 s23, -1
	s_branch .LBB126_2523
.LBB126_2520:
	s_or_saveexec_b32 s24, s24
	v_mov_b32_e32 v11, 0x7f800001
	s_xor_b32 exec_lo, exec_lo, s24
	s_cbranch_execz .LBB126_2501
.LBB126_2521:
	v_cmp_ne_u16_e32 vcc_lo, 0, v1
	v_mov_b32_e32 v11, 0
	s_and_not1_b32 s23, s23, exec_lo
	s_and_b32 s25, vcc_lo, exec_lo
	s_delay_alu instid0(SALU_CYCLE_1)
	s_or_b32 s23, s23, s25
	s_or_b32 exec_lo, exec_lo, s24
	s_and_saveexec_b32 s24, s23
	s_cbranch_execnz .LBB126_2502
	s_branch .LBB126_2503
.LBB126_2522:
	s_mov_b32 s22, -1
.LBB126_2523:
                                        ; implicit-def: $vgpr11
.LBB126_2524:
	s_and_b32 vcc_lo, exec_lo, s23
	s_mov_b32 s23, 0
	s_cbranch_vccz .LBB126_2526
; %bb.2525:
	s_cmp_lg_u32 s13, 11
	s_mov_b32 s23, -1
	s_cselect_b32 s22, -1, 0
.LBB126_2526:
	s_delay_alu instid0(SALU_CYCLE_1)
	s_and_b32 vcc_lo, exec_lo, s22
	s_cbranch_vccnz .LBB126_2591
; %bb.2527:
	s_and_not1_b32 vcc_lo, exec_lo, s23
	s_cbranch_vccnz .LBB126_2529
.LBB126_2528:
	global_load_u8 v1, v[6:7], off
	s_mov_b32 s24, -1
	s_wait_loadcnt 0x0
	v_cmp_ne_u16_e32 vcc_lo, 0, v1
	v_cndmask_b32_e64 v11, 0, 1.0, vcc_lo
.LBB126_2529:
	s_mov_b32 s13, 0
.LBB126_2530:
	s_delay_alu instid0(SALU_CYCLE_1)
	s_and_b32 vcc_lo, exec_lo, s13
	s_cbranch_vccz .LBB126_2579
; %bb.2531:
	s_and_b32 s13, 0xffff, s19
	s_delay_alu instid0(SALU_CYCLE_1)
	s_cmp_lt_i32 s13, 5
	s_cbranch_scc1 .LBB126_2536
; %bb.2532:
	s_cmp_lt_i32 s13, 8
	s_cbranch_scc1 .LBB126_2537
; %bb.2533:
	;; [unrolled: 3-line block ×3, first 2 shown]
	s_cmp_gt_i32 s13, 9
	s_cbranch_scc0 .LBB126_2539
; %bb.2535:
	global_load_b64 v[14:15], v[6:7], off
	s_mov_b32 s22, 0
	s_wait_loadcnt 0x0
	v_cvt_f32_f64_e32 v11, v[14:15]
	s_branch .LBB126_2540
.LBB126_2536:
	s_mov_b32 s22, -1
                                        ; implicit-def: $vgpr11
	s_branch .LBB126_2558
.LBB126_2537:
	s_mov_b32 s22, -1
                                        ; implicit-def: $vgpr11
	s_branch .LBB126_2546
.LBB126_2538:
	s_mov_b32 s22, -1
                                        ; implicit-def: $vgpr11
	s_branch .LBB126_2543
.LBB126_2539:
	s_mov_b32 s22, -1
                                        ; implicit-def: $vgpr11
.LBB126_2540:
	s_delay_alu instid0(SALU_CYCLE_1)
	s_and_not1_b32 vcc_lo, exec_lo, s22
	s_cbranch_vccnz .LBB126_2542
; %bb.2541:
	global_load_b32 v11, v[6:7], off
.LBB126_2542:
	s_mov_b32 s22, 0
.LBB126_2543:
	s_delay_alu instid0(SALU_CYCLE_1)
	s_and_not1_b32 vcc_lo, exec_lo, s22
	s_cbranch_vccnz .LBB126_2545
; %bb.2544:
	global_load_b32 v1, v[6:7], off
	s_wait_loadcnt 0x0
	v_cvt_f32_f16_e32 v11, v1
.LBB126_2545:
	s_mov_b32 s22, 0
.LBB126_2546:
	s_delay_alu instid0(SALU_CYCLE_1)
	s_and_not1_b32 vcc_lo, exec_lo, s22
	s_cbranch_vccnz .LBB126_2557
; %bb.2547:
	s_cmp_lt_i32 s13, 6
	s_cbranch_scc1 .LBB126_2550
; %bb.2548:
	s_cmp_gt_i32 s13, 6
	s_cbranch_scc0 .LBB126_2551
; %bb.2549:
	global_load_b64 v[14:15], v[6:7], off
	s_mov_b32 s22, 0
	s_wait_loadcnt 0x0
	v_cvt_f32_f64_e32 v11, v[14:15]
	s_branch .LBB126_2552
.LBB126_2550:
	s_mov_b32 s22, -1
                                        ; implicit-def: $vgpr11
	s_branch .LBB126_2555
.LBB126_2551:
	s_mov_b32 s22, -1
                                        ; implicit-def: $vgpr11
.LBB126_2552:
	s_delay_alu instid0(SALU_CYCLE_1)
	s_and_not1_b32 vcc_lo, exec_lo, s22
	s_cbranch_vccnz .LBB126_2554
; %bb.2553:
	s_wait_loadcnt 0x0
	global_load_b32 v11, v[6:7], off
.LBB126_2554:
	s_mov_b32 s22, 0
.LBB126_2555:
	s_delay_alu instid0(SALU_CYCLE_1)
	s_and_not1_b32 vcc_lo, exec_lo, s22
	s_cbranch_vccnz .LBB126_2557
; %bb.2556:
	global_load_u16 v1, v[6:7], off
	s_wait_loadcnt 0x0
	v_cvt_f32_f16_e32 v11, v1
.LBB126_2557:
	s_mov_b32 s22, 0
.LBB126_2558:
	s_delay_alu instid0(SALU_CYCLE_1)
	s_and_not1_b32 vcc_lo, exec_lo, s22
	s_cbranch_vccnz .LBB126_2578
; %bb.2559:
	s_cmp_lt_i32 s13, 2
	s_cbranch_scc1 .LBB126_2563
; %bb.2560:
	s_cmp_lt_i32 s13, 3
	s_cbranch_scc1 .LBB126_2564
; %bb.2561:
	s_cmp_gt_i32 s13, 3
	s_cbranch_scc0 .LBB126_2565
; %bb.2562:
	global_load_b64 v[14:15], v[6:7], off
	s_mov_b32 s22, 0
	s_wait_loadcnt 0x0
	v_xor_b32_e32 v1, v14, v15
	v_cls_i32_e32 v3, v15
	s_delay_alu instid0(VALU_DEP_2) | instskip(NEXT) | instid1(VALU_DEP_1)
	v_ashrrev_i32_e32 v1, 31, v1
	v_add_nc_u32_e32 v1, 32, v1
	s_delay_alu instid0(VALU_DEP_1) | instskip(NEXT) | instid1(VALU_DEP_1)
	v_add_min_u32_e64 v1, v3, -1, v1
	v_lshlrev_b64_e32 v[14:15], v1, v[14:15]
	v_sub_nc_u32_e32 v1, 32, v1
	s_delay_alu instid0(VALU_DEP_2) | instskip(NEXT) | instid1(VALU_DEP_1)
	v_min_u32_e32 v3, 1, v14
	v_or_b32_e32 v3, v15, v3
	s_delay_alu instid0(VALU_DEP_1) | instskip(NEXT) | instid1(VALU_DEP_1)
	v_cvt_f32_i32_e32 v3, v3
	v_ldexp_f32 v11, v3, v1
	s_branch .LBB126_2566
.LBB126_2563:
	s_mov_b32 s22, -1
                                        ; implicit-def: $vgpr11
	s_branch .LBB126_2572
.LBB126_2564:
	s_mov_b32 s22, -1
                                        ; implicit-def: $vgpr11
	s_branch .LBB126_2569
.LBB126_2565:
	s_mov_b32 s22, -1
                                        ; implicit-def: $vgpr11
.LBB126_2566:
	s_delay_alu instid0(SALU_CYCLE_1)
	s_and_not1_b32 vcc_lo, exec_lo, s22
	s_cbranch_vccnz .LBB126_2568
; %bb.2567:
	global_load_b32 v1, v[6:7], off
	s_wait_loadcnt 0x0
	v_cvt_f32_i32_e32 v11, v1
.LBB126_2568:
	s_mov_b32 s22, 0
.LBB126_2569:
	s_delay_alu instid0(SALU_CYCLE_1)
	s_and_not1_b32 vcc_lo, exec_lo, s22
	s_cbranch_vccnz .LBB126_2571
; %bb.2570:
	global_load_i16 v1, v[6:7], off
	s_wait_loadcnt 0x0
	v_cvt_f32_i32_e32 v11, v1
.LBB126_2571:
	s_mov_b32 s22, 0
.LBB126_2572:
	s_delay_alu instid0(SALU_CYCLE_1)
	s_and_not1_b32 vcc_lo, exec_lo, s22
	s_cbranch_vccnz .LBB126_2578
; %bb.2573:
	s_cmp_gt_i32 s13, 0
	s_mov_b32 s13, 0
	s_cbranch_scc0 .LBB126_2575
; %bb.2574:
	global_load_i8 v1, v[6:7], off
	s_wait_loadcnt 0x0
	v_cvt_f32_i32_e32 v11, v1
	s_branch .LBB126_2576
.LBB126_2575:
	s_mov_b32 s13, -1
                                        ; implicit-def: $vgpr11
.LBB126_2576:
	s_delay_alu instid0(SALU_CYCLE_1)
	s_and_not1_b32 vcc_lo, exec_lo, s13
	s_cbranch_vccnz .LBB126_2578
; %bb.2577:
	global_load_u8 v1, v[6:7], off
	s_wait_loadcnt 0x0
	v_cvt_f32_ubyte0_e32 v11, v1
.LBB126_2578:
	s_mov_b32 s24, -1
.LBB126_2579:
	s_delay_alu instid0(SALU_CYCLE_1)
	s_and_not1_b32 vcc_lo, exec_lo, s24
	s_cbranch_vccnz .LBB126_4065
; %bb.2580:
	s_lshl_b32 s13, s14, 7
	s_cmp_lt_i32 s2, 11
	v_add_nc_u32_e32 v2, s13, v2
	s_delay_alu instid0(VALU_DEP_1) | instskip(SKIP_1) | instid1(VALU_DEP_1)
	v_ashrrev_i32_e32 v3, 31, v2
	s_wait_xcnt 0x0
	v_add_nc_u64_e32 v[6:7], s[8:9], v[2:3]
	s_cbranch_scc1 .LBB126_2587
; %bb.2581:
	s_and_b32 s14, 0xffff, s2
	s_mov_b32 s23, 0
	s_cmp_gt_i32 s14, 25
	s_cbranch_scc0 .LBB126_2588
; %bb.2582:
	s_cmp_gt_i32 s14, 28
	s_cbranch_scc0 .LBB126_2589
; %bb.2583:
	;; [unrolled: 3-line block ×4, first 2 shown]
	s_cmp_eq_u32 s14, 46
	s_mov_b32 s25, 0
	s_cbranch_scc0 .LBB126_2593
; %bb.2586:
	global_load_b32 v1, v[6:7], off
	s_mov_b32 s22, 0
	s_mov_b32 s24, -1
	s_wait_loadcnt 0x0
	v_lshlrev_b32_e32 v13, 16, v1
	s_branch .LBB126_2595
.LBB126_2587:
	s_mov_b32 s14, -1
	s_mov_b32 s24, 0
                                        ; implicit-def: $vgpr13
	s_branch .LBB126_2661
.LBB126_2588:
	s_mov_b32 s25, -1
	s_mov_b32 s24, 0
	s_mov_b32 s22, 0
                                        ; implicit-def: $vgpr13
	s_branch .LBB126_2624
.LBB126_2589:
	s_mov_b32 s25, -1
	s_mov_b32 s24, 0
	s_mov_b32 s22, 0
                                        ; implicit-def: $vgpr13
	s_branch .LBB126_2605
.LBB126_2590:
	s_mov_b32 s25, -1
	s_mov_b32 s24, 0
	s_mov_b32 s22, 0
                                        ; implicit-def: $vgpr13
	s_branch .LBB126_2600
.LBB126_2591:
	s_or_b32 s3, s3, exec_lo
	s_trap 2
	s_cbranch_execz .LBB126_2528
	s_branch .LBB126_2529
.LBB126_2592:
	s_mov_b32 s25, -1
	s_mov_b32 s24, 0
	s_mov_b32 s22, 0
	s_branch .LBB126_2594
.LBB126_2593:
	s_mov_b32 s22, -1
	s_mov_b32 s24, 0
.LBB126_2594:
                                        ; implicit-def: $vgpr13
.LBB126_2595:
	s_and_b32 vcc_lo, exec_lo, s25
	s_cbranch_vccz .LBB126_2599
; %bb.2596:
	s_cmp_eq_u32 s14, 44
	s_cbranch_scc0 .LBB126_2598
; %bb.2597:
	global_load_u8 v1, v[6:7], off
	s_mov_b32 s22, 0
	s_mov_b32 s24, -1
	s_wait_loadcnt 0x0
	v_lshlrev_b32_e32 v3, 23, v1
	v_cmp_ne_u32_e32 vcc_lo, 0xff, v1
	s_delay_alu instid0(VALU_DEP_2) | instskip(SKIP_1) | instid1(VALU_DEP_2)
	v_cndmask_b32_e32 v3, 0x7f800001, v3, vcc_lo
	v_cmp_ne_u32_e32 vcc_lo, 0, v1
	v_cndmask_b32_e32 v13, 0x400000, v3, vcc_lo
	s_branch .LBB126_2599
.LBB126_2598:
	s_mov_b32 s22, -1
                                        ; implicit-def: $vgpr13
.LBB126_2599:
	s_mov_b32 s25, 0
.LBB126_2600:
	s_delay_alu instid0(SALU_CYCLE_1)
	s_and_b32 vcc_lo, exec_lo, s25
	s_cbranch_vccz .LBB126_2604
; %bb.2601:
	s_cmp_eq_u32 s14, 29
	s_cbranch_scc0 .LBB126_2603
; %bb.2602:
	global_load_b64 v[14:15], v[6:7], off
	s_mov_b32 s22, 0
	s_mov_b32 s24, -1
	s_mov_b32 s25, 0
	s_wait_loadcnt 0x0
	v_clz_i32_u32_e32 v1, v15
	s_delay_alu instid0(VALU_DEP_1) | instskip(NEXT) | instid1(VALU_DEP_1)
	v_min_u32_e32 v1, 32, v1
	v_lshlrev_b64_e32 v[14:15], v1, v[14:15]
	v_sub_nc_u32_e32 v1, 32, v1
	s_delay_alu instid0(VALU_DEP_2) | instskip(NEXT) | instid1(VALU_DEP_1)
	v_min_u32_e32 v3, 1, v14
	v_or_b32_e32 v3, v15, v3
	s_delay_alu instid0(VALU_DEP_1) | instskip(NEXT) | instid1(VALU_DEP_1)
	v_cvt_f32_u32_e32 v3, v3
	v_ldexp_f32 v13, v3, v1
	s_branch .LBB126_2605
.LBB126_2603:
	s_mov_b32 s22, -1
                                        ; implicit-def: $vgpr13
.LBB126_2604:
	s_mov_b32 s25, 0
.LBB126_2605:
	s_delay_alu instid0(SALU_CYCLE_1)
	s_and_b32 vcc_lo, exec_lo, s25
	s_cbranch_vccz .LBB126_2623
; %bb.2606:
	s_cmp_lt_i32 s14, 27
	s_cbranch_scc1 .LBB126_2609
; %bb.2607:
	s_cmp_gt_i32 s14, 27
	s_cbranch_scc0 .LBB126_2610
; %bb.2608:
	global_load_b32 v1, v[6:7], off
	s_mov_b32 s24, 0
	s_wait_loadcnt 0x0
	v_cvt_f32_u32_e32 v13, v1
	s_branch .LBB126_2611
.LBB126_2609:
	s_mov_b32 s24, -1
                                        ; implicit-def: $vgpr13
	s_branch .LBB126_2614
.LBB126_2610:
	s_mov_b32 s24, -1
                                        ; implicit-def: $vgpr13
.LBB126_2611:
	s_delay_alu instid0(SALU_CYCLE_1)
	s_and_not1_b32 vcc_lo, exec_lo, s24
	s_cbranch_vccnz .LBB126_2613
; %bb.2612:
	global_load_u16 v1, v[6:7], off
	s_wait_loadcnt 0x0
	v_cvt_f32_u32_e32 v13, v1
.LBB126_2613:
	s_mov_b32 s24, 0
.LBB126_2614:
	s_delay_alu instid0(SALU_CYCLE_1)
	s_and_not1_b32 vcc_lo, exec_lo, s24
	s_cbranch_vccnz .LBB126_2622
; %bb.2615:
	global_load_u8 v1, v[6:7], off
	s_mov_b32 s24, 0
	s_mov_b32 s25, exec_lo
	s_wait_loadcnt 0x0
	v_cmpx_lt_i16_e32 0x7f, v1
	s_xor_b32 s25, exec_lo, s25
	s_cbranch_execz .LBB126_2636
; %bb.2616:
	s_mov_b32 s24, -1
	s_mov_b32 s26, exec_lo
	v_cmpx_eq_u16_e32 0x80, v1
; %bb.2617:
	s_xor_b32 s24, exec_lo, -1
; %bb.2618:
	s_or_b32 exec_lo, exec_lo, s26
	s_delay_alu instid0(SALU_CYCLE_1)
	s_and_b32 s24, s24, exec_lo
	s_or_saveexec_b32 s25, s25
	v_mov_b32_e32 v13, 0x7f800001
	s_xor_b32 exec_lo, exec_lo, s25
	s_cbranch_execnz .LBB126_2637
.LBB126_2619:
	s_or_b32 exec_lo, exec_lo, s25
	s_and_saveexec_b32 s25, s24
	s_cbranch_execz .LBB126_2621
.LBB126_2620:
	v_and_b32_e32 v3, 0xffff, v1
	s_delay_alu instid0(VALU_DEP_1) | instskip(SKIP_1) | instid1(VALU_DEP_2)
	v_and_b32_e32 v5, 7, v3
	v_bfe_u32 v15, v3, 3, 4
	v_clz_i32_u32_e32 v13, v5
	s_delay_alu instid0(VALU_DEP_2) | instskip(NEXT) | instid1(VALU_DEP_2)
	v_cmp_eq_u32_e32 vcc_lo, 0, v15
	v_min_u32_e32 v13, 32, v13
	s_delay_alu instid0(VALU_DEP_1) | instskip(NEXT) | instid1(VALU_DEP_1)
	v_subrev_nc_u32_e32 v14, 28, v13
	v_dual_lshlrev_b32 v3, v14, v3 :: v_dual_sub_nc_u32 v13, 29, v13
	s_delay_alu instid0(VALU_DEP_1) | instskip(NEXT) | instid1(VALU_DEP_1)
	v_dual_lshlrev_b32 v1, 24, v1 :: v_dual_bitop2_b32 v3, 7, v3 bitop3:0x40
	v_dual_cndmask_b32 v3, v5, v3, vcc_lo :: v_dual_cndmask_b32 v13, v15, v13, vcc_lo
	s_delay_alu instid0(VALU_DEP_2) | instskip(NEXT) | instid1(VALU_DEP_2)
	v_and_b32_e32 v1, 0x80000000, v1
	v_lshlrev_b32_e32 v3, 20, v3
	s_delay_alu instid0(VALU_DEP_3) | instskip(NEXT) | instid1(VALU_DEP_1)
	v_lshl_add_u32 v5, v13, 23, 0x3b800000
	v_or3_b32 v13, v1, v5, v3
.LBB126_2621:
	s_or_b32 exec_lo, exec_lo, s25
.LBB126_2622:
	s_mov_b32 s24, -1
.LBB126_2623:
	s_mov_b32 s25, 0
.LBB126_2624:
	s_delay_alu instid0(SALU_CYCLE_1)
	s_and_b32 vcc_lo, exec_lo, s25
	s_cbranch_vccz .LBB126_2657
; %bb.2625:
	s_cmp_gt_i32 s14, 22
	s_cbranch_scc0 .LBB126_2635
; %bb.2626:
	s_cmp_lt_i32 s14, 24
	s_cbranch_scc1 .LBB126_2638
; %bb.2627:
	s_cmp_gt_i32 s14, 24
	s_cbranch_scc0 .LBB126_2639
; %bb.2628:
	global_load_u8 v1, v[6:7], off
	s_mov_b32 s24, exec_lo
	s_wait_loadcnt 0x0
	v_cmpx_lt_i16_e32 0x7f, v1
	s_xor_b32 s24, exec_lo, s24
	s_cbranch_execz .LBB126_2651
; %bb.2629:
	s_mov_b32 s23, -1
	s_mov_b32 s25, exec_lo
	v_cmpx_eq_u16_e32 0x80, v1
; %bb.2630:
	s_xor_b32 s23, exec_lo, -1
; %bb.2631:
	s_or_b32 exec_lo, exec_lo, s25
	s_delay_alu instid0(SALU_CYCLE_1)
	s_and_b32 s23, s23, exec_lo
	s_or_saveexec_b32 s24, s24
	v_mov_b32_e32 v13, 0x7f800001
	s_xor_b32 exec_lo, exec_lo, s24
	s_cbranch_execnz .LBB126_2652
.LBB126_2632:
	s_or_b32 exec_lo, exec_lo, s24
	s_and_saveexec_b32 s24, s23
	s_cbranch_execz .LBB126_2634
.LBB126_2633:
	v_and_b32_e32 v3, 0xffff, v1
	s_delay_alu instid0(VALU_DEP_1) | instskip(SKIP_1) | instid1(VALU_DEP_2)
	v_and_b32_e32 v5, 3, v3
	v_bfe_u32 v15, v3, 2, 5
	v_clz_i32_u32_e32 v13, v5
	s_delay_alu instid0(VALU_DEP_2) | instskip(NEXT) | instid1(VALU_DEP_2)
	v_cmp_eq_u32_e32 vcc_lo, 0, v15
	v_min_u32_e32 v13, 32, v13
	s_delay_alu instid0(VALU_DEP_1) | instskip(NEXT) | instid1(VALU_DEP_1)
	v_subrev_nc_u32_e32 v14, 29, v13
	v_dual_lshlrev_b32 v3, v14, v3 :: v_dual_sub_nc_u32 v13, 30, v13
	s_delay_alu instid0(VALU_DEP_1) | instskip(NEXT) | instid1(VALU_DEP_1)
	v_dual_lshlrev_b32 v1, 24, v1 :: v_dual_bitop2_b32 v3, 3, v3 bitop3:0x40
	v_dual_cndmask_b32 v3, v5, v3, vcc_lo :: v_dual_cndmask_b32 v13, v15, v13, vcc_lo
	s_delay_alu instid0(VALU_DEP_2) | instskip(NEXT) | instid1(VALU_DEP_2)
	v_and_b32_e32 v1, 0x80000000, v1
	v_lshlrev_b32_e32 v3, 21, v3
	s_delay_alu instid0(VALU_DEP_3) | instskip(NEXT) | instid1(VALU_DEP_1)
	v_lshl_add_u32 v5, v13, 23, 0x37800000
	v_or3_b32 v13, v1, v5, v3
.LBB126_2634:
	s_or_b32 exec_lo, exec_lo, s24
	s_mov_b32 s23, 0
	s_branch .LBB126_2640
.LBB126_2635:
	s_mov_b32 s23, -1
                                        ; implicit-def: $vgpr13
	s_branch .LBB126_2646
.LBB126_2636:
	s_or_saveexec_b32 s25, s25
	v_mov_b32_e32 v13, 0x7f800001
	s_xor_b32 exec_lo, exec_lo, s25
	s_cbranch_execz .LBB126_2619
.LBB126_2637:
	v_cmp_ne_u16_e32 vcc_lo, 0, v1
	v_mov_b32_e32 v13, 0
	s_and_not1_b32 s24, s24, exec_lo
	s_and_b32 s26, vcc_lo, exec_lo
	s_delay_alu instid0(SALU_CYCLE_1)
	s_or_b32 s24, s24, s26
	s_or_b32 exec_lo, exec_lo, s25
	s_and_saveexec_b32 s25, s24
	s_cbranch_execnz .LBB126_2620
	s_branch .LBB126_2621
.LBB126_2638:
	s_mov_b32 s23, -1
                                        ; implicit-def: $vgpr13
	s_branch .LBB126_2643
.LBB126_2639:
	s_mov_b32 s23, -1
                                        ; implicit-def: $vgpr13
.LBB126_2640:
	s_delay_alu instid0(SALU_CYCLE_1)
	s_and_b32 vcc_lo, exec_lo, s23
	s_cbranch_vccz .LBB126_2642
; %bb.2641:
	global_load_u8 v1, v[6:7], off
	s_wait_loadcnt 0x0
	v_lshlrev_b32_e32 v1, 24, v1
	s_delay_alu instid0(VALU_DEP_1) | instskip(NEXT) | instid1(VALU_DEP_1)
	v_and_b32_e32 v3, 0x7f000000, v1
	v_clz_i32_u32_e32 v5, v3
	v_cmp_ne_u32_e32 vcc_lo, 0, v3
	v_add_nc_u32_e32 v14, 0x1000000, v3
	s_delay_alu instid0(VALU_DEP_3) | instskip(NEXT) | instid1(VALU_DEP_1)
	v_min_u32_e32 v5, 32, v5
	v_sub_nc_u32_e64 v5, v5, 4 clamp
	s_delay_alu instid0(VALU_DEP_1) | instskip(NEXT) | instid1(VALU_DEP_1)
	v_dual_lshlrev_b32 v13, v5, v3 :: v_dual_lshlrev_b32 v5, 23, v5
	v_lshrrev_b32_e32 v13, 4, v13
	s_delay_alu instid0(VALU_DEP_1) | instskip(NEXT) | instid1(VALU_DEP_1)
	v_dual_sub_nc_u32 v5, v13, v5 :: v_dual_ashrrev_i32 v13, 8, v14
	v_add_nc_u32_e32 v5, 0x3c000000, v5
	s_delay_alu instid0(VALU_DEP_1) | instskip(NEXT) | instid1(VALU_DEP_1)
	v_and_or_b32 v5, 0x7f800000, v13, v5
	v_cndmask_b32_e32 v3, 0, v5, vcc_lo
	s_delay_alu instid0(VALU_DEP_1)
	v_and_or_b32 v13, 0x80000000, v1, v3
.LBB126_2642:
	s_mov_b32 s23, 0
.LBB126_2643:
	s_delay_alu instid0(SALU_CYCLE_1)
	s_and_not1_b32 vcc_lo, exec_lo, s23
	s_cbranch_vccnz .LBB126_2645
; %bb.2644:
	global_load_u8 v1, v[6:7], off
	s_wait_loadcnt 0x0
	v_lshlrev_b32_e32 v3, 25, v1
	v_lshlrev_b16 v1, 8, v1
	s_delay_alu instid0(VALU_DEP_2) | instskip(NEXT) | instid1(VALU_DEP_2)
	v_cmp_gt_u32_e32 vcc_lo, 0x8000000, v3
	v_and_or_b32 v13, 0x7f00, v1, 0.5
	v_lshrrev_b32_e32 v5, 4, v3
	v_bfe_i32 v1, v1, 0, 16
	s_delay_alu instid0(VALU_DEP_3) | instskip(NEXT) | instid1(VALU_DEP_3)
	v_add_f32_e32 v13, -0.5, v13
	v_or_b32_e32 v5, 0x70000000, v5
	s_delay_alu instid0(VALU_DEP_1) | instskip(NEXT) | instid1(VALU_DEP_1)
	v_mul_f32_e32 v5, 0x7800000, v5
	v_cndmask_b32_e32 v3, v5, v13, vcc_lo
	s_delay_alu instid0(VALU_DEP_1)
	v_and_or_b32 v13, 0x80000000, v1, v3
.LBB126_2645:
	s_mov_b32 s23, 0
	s_mov_b32 s24, -1
.LBB126_2646:
	s_and_not1_b32 vcc_lo, exec_lo, s23
	s_mov_b32 s23, 0
	s_cbranch_vccnz .LBB126_2657
; %bb.2647:
	s_cmp_gt_i32 s14, 14
	s_cbranch_scc0 .LBB126_2650
; %bb.2648:
	s_cmp_eq_u32 s14, 15
	s_cbranch_scc0 .LBB126_2653
; %bb.2649:
	global_load_u16 v1, v[6:7], off
	s_mov_b32 s22, 0
	s_mov_b32 s24, -1
	s_wait_loadcnt 0x0
	v_lshlrev_b32_e32 v13, 16, v1
	s_branch .LBB126_2655
.LBB126_2650:
	s_mov_b32 s23, -1
	s_branch .LBB126_2654
.LBB126_2651:
	s_or_saveexec_b32 s24, s24
	v_mov_b32_e32 v13, 0x7f800001
	s_xor_b32 exec_lo, exec_lo, s24
	s_cbranch_execz .LBB126_2632
.LBB126_2652:
	v_cmp_ne_u16_e32 vcc_lo, 0, v1
	v_mov_b32_e32 v13, 0
	s_and_not1_b32 s23, s23, exec_lo
	s_and_b32 s25, vcc_lo, exec_lo
	s_delay_alu instid0(SALU_CYCLE_1)
	s_or_b32 s23, s23, s25
	s_or_b32 exec_lo, exec_lo, s24
	s_and_saveexec_b32 s24, s23
	s_cbranch_execnz .LBB126_2633
	s_branch .LBB126_2634
.LBB126_2653:
	s_mov_b32 s22, -1
.LBB126_2654:
                                        ; implicit-def: $vgpr13
.LBB126_2655:
	s_and_b32 vcc_lo, exec_lo, s23
	s_mov_b32 s23, 0
	s_cbranch_vccz .LBB126_2657
; %bb.2656:
	s_cmp_lg_u32 s14, 11
	s_mov_b32 s23, -1
	s_cselect_b32 s22, -1, 0
.LBB126_2657:
	s_delay_alu instid0(SALU_CYCLE_1)
	s_and_b32 vcc_lo, exec_lo, s22
	s_cbranch_vccnz .LBB126_2722
; %bb.2658:
	s_and_not1_b32 vcc_lo, exec_lo, s23
	s_cbranch_vccnz .LBB126_2660
.LBB126_2659:
	global_load_u8 v1, v[6:7], off
	s_mov_b32 s24, -1
	s_wait_loadcnt 0x0
	v_cmp_ne_u16_e32 vcc_lo, 0, v1
	v_cndmask_b32_e64 v13, 0, 1.0, vcc_lo
.LBB126_2660:
	s_mov_b32 s14, 0
.LBB126_2661:
	s_delay_alu instid0(SALU_CYCLE_1)
	s_and_b32 vcc_lo, exec_lo, s14
	s_cbranch_vccz .LBB126_2710
; %bb.2662:
	s_and_b32 s14, 0xffff, s2
	s_delay_alu instid0(SALU_CYCLE_1)
	s_cmp_lt_i32 s14, 5
	s_cbranch_scc1 .LBB126_2667
; %bb.2663:
	s_cmp_lt_i32 s14, 8
	s_cbranch_scc1 .LBB126_2668
; %bb.2664:
	;; [unrolled: 3-line block ×3, first 2 shown]
	s_cmp_gt_i32 s14, 9
	s_cbranch_scc0 .LBB126_2670
; %bb.2666:
	global_load_b64 v[14:15], v[6:7], off
	s_mov_b32 s22, 0
	s_wait_loadcnt 0x0
	v_cvt_f32_f64_e32 v13, v[14:15]
	s_branch .LBB126_2671
.LBB126_2667:
	s_mov_b32 s22, -1
                                        ; implicit-def: $vgpr13
	s_branch .LBB126_2689
.LBB126_2668:
	s_mov_b32 s22, -1
                                        ; implicit-def: $vgpr13
	s_branch .LBB126_2677
.LBB126_2669:
	s_mov_b32 s22, -1
                                        ; implicit-def: $vgpr13
	s_branch .LBB126_2674
.LBB126_2670:
	s_mov_b32 s22, -1
                                        ; implicit-def: $vgpr13
.LBB126_2671:
	s_delay_alu instid0(SALU_CYCLE_1)
	s_and_not1_b32 vcc_lo, exec_lo, s22
	s_cbranch_vccnz .LBB126_2673
; %bb.2672:
	global_load_b32 v13, v[6:7], off
.LBB126_2673:
	s_mov_b32 s22, 0
.LBB126_2674:
	s_delay_alu instid0(SALU_CYCLE_1)
	s_and_not1_b32 vcc_lo, exec_lo, s22
	s_cbranch_vccnz .LBB126_2676
; %bb.2675:
	global_load_b32 v1, v[6:7], off
	s_wait_loadcnt 0x0
	v_cvt_f32_f16_e32 v13, v1
.LBB126_2676:
	s_mov_b32 s22, 0
.LBB126_2677:
	s_delay_alu instid0(SALU_CYCLE_1)
	s_and_not1_b32 vcc_lo, exec_lo, s22
	s_cbranch_vccnz .LBB126_2688
; %bb.2678:
	s_cmp_lt_i32 s14, 6
	s_cbranch_scc1 .LBB126_2681
; %bb.2679:
	s_cmp_gt_i32 s14, 6
	s_cbranch_scc0 .LBB126_2682
; %bb.2680:
	global_load_b64 v[14:15], v[6:7], off
	s_mov_b32 s22, 0
	s_wait_loadcnt 0x0
	v_cvt_f32_f64_e32 v13, v[14:15]
	s_branch .LBB126_2683
.LBB126_2681:
	s_mov_b32 s22, -1
                                        ; implicit-def: $vgpr13
	s_branch .LBB126_2686
.LBB126_2682:
	s_mov_b32 s22, -1
                                        ; implicit-def: $vgpr13
.LBB126_2683:
	s_delay_alu instid0(SALU_CYCLE_1)
	s_and_not1_b32 vcc_lo, exec_lo, s22
	s_cbranch_vccnz .LBB126_2685
; %bb.2684:
	s_wait_loadcnt 0x0
	global_load_b32 v13, v[6:7], off
.LBB126_2685:
	s_mov_b32 s22, 0
.LBB126_2686:
	s_delay_alu instid0(SALU_CYCLE_1)
	s_and_not1_b32 vcc_lo, exec_lo, s22
	s_cbranch_vccnz .LBB126_2688
; %bb.2687:
	global_load_u16 v1, v[6:7], off
	s_wait_loadcnt 0x0
	v_cvt_f32_f16_e32 v13, v1
.LBB126_2688:
	s_mov_b32 s22, 0
.LBB126_2689:
	s_delay_alu instid0(SALU_CYCLE_1)
	s_and_not1_b32 vcc_lo, exec_lo, s22
	s_cbranch_vccnz .LBB126_2709
; %bb.2690:
	s_cmp_lt_i32 s14, 2
	s_cbranch_scc1 .LBB126_2694
; %bb.2691:
	s_cmp_lt_i32 s14, 3
	s_cbranch_scc1 .LBB126_2695
; %bb.2692:
	s_cmp_gt_i32 s14, 3
	s_cbranch_scc0 .LBB126_2696
; %bb.2693:
	global_load_b64 v[14:15], v[6:7], off
	s_mov_b32 s22, 0
	s_wait_loadcnt 0x0
	v_xor_b32_e32 v1, v14, v15
	v_cls_i32_e32 v3, v15
	s_delay_alu instid0(VALU_DEP_2) | instskip(NEXT) | instid1(VALU_DEP_1)
	v_ashrrev_i32_e32 v1, 31, v1
	v_add_nc_u32_e32 v1, 32, v1
	s_delay_alu instid0(VALU_DEP_1) | instskip(NEXT) | instid1(VALU_DEP_1)
	v_add_min_u32_e64 v1, v3, -1, v1
	v_lshlrev_b64_e32 v[14:15], v1, v[14:15]
	v_sub_nc_u32_e32 v1, 32, v1
	s_delay_alu instid0(VALU_DEP_2) | instskip(NEXT) | instid1(VALU_DEP_1)
	v_min_u32_e32 v3, 1, v14
	v_or_b32_e32 v3, v15, v3
	s_delay_alu instid0(VALU_DEP_1) | instskip(NEXT) | instid1(VALU_DEP_1)
	v_cvt_f32_i32_e32 v3, v3
	v_ldexp_f32 v13, v3, v1
	s_branch .LBB126_2697
.LBB126_2694:
	s_mov_b32 s22, -1
                                        ; implicit-def: $vgpr13
	s_branch .LBB126_2703
.LBB126_2695:
	s_mov_b32 s22, -1
                                        ; implicit-def: $vgpr13
	s_branch .LBB126_2700
.LBB126_2696:
	s_mov_b32 s22, -1
                                        ; implicit-def: $vgpr13
.LBB126_2697:
	s_delay_alu instid0(SALU_CYCLE_1)
	s_and_not1_b32 vcc_lo, exec_lo, s22
	s_cbranch_vccnz .LBB126_2699
; %bb.2698:
	global_load_b32 v1, v[6:7], off
	s_wait_loadcnt 0x0
	v_cvt_f32_i32_e32 v13, v1
.LBB126_2699:
	s_mov_b32 s22, 0
.LBB126_2700:
	s_delay_alu instid0(SALU_CYCLE_1)
	s_and_not1_b32 vcc_lo, exec_lo, s22
	s_cbranch_vccnz .LBB126_2702
; %bb.2701:
	global_load_i16 v1, v[6:7], off
	s_wait_loadcnt 0x0
	v_cvt_f32_i32_e32 v13, v1
.LBB126_2702:
	s_mov_b32 s22, 0
.LBB126_2703:
	s_delay_alu instid0(SALU_CYCLE_1)
	s_and_not1_b32 vcc_lo, exec_lo, s22
	s_cbranch_vccnz .LBB126_2709
; %bb.2704:
	s_cmp_gt_i32 s14, 0
	s_mov_b32 s14, 0
	s_cbranch_scc0 .LBB126_2706
; %bb.2705:
	global_load_i8 v1, v[6:7], off
	s_wait_loadcnt 0x0
	v_cvt_f32_i32_e32 v13, v1
	s_branch .LBB126_2707
.LBB126_2706:
	s_mov_b32 s14, -1
                                        ; implicit-def: $vgpr13
.LBB126_2707:
	s_delay_alu instid0(SALU_CYCLE_1)
	s_and_not1_b32 vcc_lo, exec_lo, s14
	s_cbranch_vccnz .LBB126_2709
; %bb.2708:
	global_load_u8 v1, v[6:7], off
	s_wait_loadcnt 0x0
	v_cvt_f32_ubyte0_e32 v13, v1
.LBB126_2709:
	s_mov_b32 s24, -1
.LBB126_2710:
	s_delay_alu instid0(SALU_CYCLE_1)
	s_and_not1_b32 vcc_lo, exec_lo, s24
	s_cbranch_vccnz .LBB126_4065
; %bb.2711:
	s_lshl_b32 s14, s15, 7
	s_cmp_lt_i32 s0, 11
	v_add_nc_u32_e32 v4, s14, v4
	s_delay_alu instid0(VALU_DEP_1) | instskip(SKIP_1) | instid1(VALU_DEP_1)
	v_ashrrev_i32_e32 v5, 31, v4
	s_wait_xcnt 0x0
	v_add_nc_u64_e32 v[6:7], s[10:11], v[4:5]
	s_cbranch_scc1 .LBB126_2718
; %bb.2712:
	s_cmp_gt_i32 s0, 25
	s_mov_b32 s22, 0
	s_cbranch_scc0 .LBB126_2719
; %bb.2713:
	s_cmp_gt_i32 s0, 28
	s_cbranch_scc0 .LBB126_2720
; %bb.2714:
	s_cmp_gt_i32 s0, 43
	;; [unrolled: 3-line block ×3, first 2 shown]
	s_cbranch_scc0 .LBB126_2723
; %bb.2716:
	s_cmp_eq_u32 s0, 46
	s_mov_b32 s24, 0
	s_cbranch_scc0 .LBB126_2726
; %bb.2717:
	global_load_b32 v1, v[6:7], off
	s_mov_b32 s15, 0
	s_mov_b32 s23, -1
	s_wait_loadcnt 0x0
	v_lshlrev_b32_e32 v15, 16, v1
	s_branch .LBB126_2728
.LBB126_2718:
	s_mov_b32 s15, -1
	s_mov_b32 s23, 0
                                        ; implicit-def: $vgpr15
	s_branch .LBB126_2794
.LBB126_2719:
	s_mov_b32 s24, -1
	s_mov_b32 s23, 0
	s_mov_b32 s15, 0
                                        ; implicit-def: $vgpr15
	s_branch .LBB126_2757
.LBB126_2720:
	s_mov_b32 s24, -1
	s_mov_b32 s23, 0
	s_mov_b32 s15, 0
                                        ; implicit-def: $vgpr15
	s_branch .LBB126_2738
.LBB126_2721:
	s_mov_b32 s24, -1
	s_mov_b32 s23, 0
	s_mov_b32 s15, 0
                                        ; implicit-def: $vgpr15
	s_branch .LBB126_2733
.LBB126_2722:
	s_or_b32 s3, s3, exec_lo
	s_trap 2
	s_cbranch_execz .LBB126_2659
	s_branch .LBB126_2660
.LBB126_2723:
	s_mov_b32 s24, -1
	s_mov_b32 s23, 0
	s_mov_b32 s15, 0
	s_branch .LBB126_2727
.LBB126_2724:
	s_and_not1_saveexec_b32 s41, s41
	s_cbranch_execz .LBB126_1464
.LBB126_2725:
	v_add_f32_e64 v3, 0x46000000, |v2|
	s_and_not1_b32 s40, s40, exec_lo
	s_delay_alu instid0(VALU_DEP_1) | instskip(NEXT) | instid1(VALU_DEP_1)
	v_and_b32_e32 v3, 0xff, v3
	v_cmp_ne_u32_e32 vcc_lo, 0, v3
	s_and_b32 s42, vcc_lo, exec_lo
	s_delay_alu instid0(SALU_CYCLE_1)
	s_or_b32 s40, s40, s42
	s_or_b32 exec_lo, exec_lo, s41
	v_mov_b32_e32 v4, 0
	s_and_saveexec_b32 s41, s40
	s_cbranch_execnz .LBB126_1465
	s_branch .LBB126_1466
.LBB126_2726:
	s_mov_b32 s15, -1
	s_mov_b32 s23, 0
.LBB126_2727:
                                        ; implicit-def: $vgpr15
.LBB126_2728:
	s_and_b32 vcc_lo, exec_lo, s24
	s_cbranch_vccz .LBB126_2732
; %bb.2729:
	s_cmp_eq_u32 s0, 44
	s_cbranch_scc0 .LBB126_2731
; %bb.2730:
	global_load_u8 v1, v[6:7], off
	s_mov_b32 s15, 0
	s_mov_b32 s23, -1
	s_wait_loadcnt 0x0
	v_lshlrev_b32_e32 v3, 23, v1
	v_cmp_ne_u32_e32 vcc_lo, 0xff, v1
	s_delay_alu instid0(VALU_DEP_2) | instskip(SKIP_1) | instid1(VALU_DEP_2)
	v_cndmask_b32_e32 v3, 0x7f800001, v3, vcc_lo
	v_cmp_ne_u32_e32 vcc_lo, 0, v1
	v_cndmask_b32_e32 v15, 0x400000, v3, vcc_lo
	s_branch .LBB126_2732
.LBB126_2731:
	s_mov_b32 s15, -1
                                        ; implicit-def: $vgpr15
.LBB126_2732:
	s_mov_b32 s24, 0
.LBB126_2733:
	s_delay_alu instid0(SALU_CYCLE_1)
	s_and_b32 vcc_lo, exec_lo, s24
	s_cbranch_vccz .LBB126_2737
; %bb.2734:
	s_cmp_eq_u32 s0, 29
	s_cbranch_scc0 .LBB126_2736
; %bb.2735:
	global_load_b64 v[14:15], v[6:7], off
	s_mov_b32 s15, 0
	s_mov_b32 s23, -1
	s_mov_b32 s24, 0
	s_wait_loadcnt 0x0
	v_clz_i32_u32_e32 v1, v15
	s_delay_alu instid0(VALU_DEP_1) | instskip(NEXT) | instid1(VALU_DEP_1)
	v_min_u32_e32 v1, 32, v1
	v_lshlrev_b64_e32 v[14:15], v1, v[14:15]
	v_sub_nc_u32_e32 v1, 32, v1
	s_delay_alu instid0(VALU_DEP_2) | instskip(NEXT) | instid1(VALU_DEP_1)
	v_min_u32_e32 v3, 1, v14
	v_or_b32_e32 v3, v15, v3
	s_delay_alu instid0(VALU_DEP_1) | instskip(NEXT) | instid1(VALU_DEP_1)
	v_cvt_f32_u32_e32 v3, v3
	v_ldexp_f32 v15, v3, v1
	s_branch .LBB126_2738
.LBB126_2736:
	s_mov_b32 s15, -1
                                        ; implicit-def: $vgpr15
.LBB126_2737:
	s_mov_b32 s24, 0
.LBB126_2738:
	s_delay_alu instid0(SALU_CYCLE_1)
	s_and_b32 vcc_lo, exec_lo, s24
	s_cbranch_vccz .LBB126_2756
; %bb.2739:
	s_cmp_lt_i32 s0, 27
	s_cbranch_scc1 .LBB126_2742
; %bb.2740:
	s_cmp_gt_i32 s0, 27
	s_cbranch_scc0 .LBB126_2743
; %bb.2741:
	global_load_b32 v1, v[6:7], off
	s_mov_b32 s23, 0
	s_wait_loadcnt 0x0
	v_cvt_f32_u32_e32 v15, v1
	s_branch .LBB126_2744
.LBB126_2742:
	s_mov_b32 s23, -1
                                        ; implicit-def: $vgpr15
	s_branch .LBB126_2747
.LBB126_2743:
	s_mov_b32 s23, -1
                                        ; implicit-def: $vgpr15
.LBB126_2744:
	s_delay_alu instid0(SALU_CYCLE_1)
	s_and_not1_b32 vcc_lo, exec_lo, s23
	s_cbranch_vccnz .LBB126_2746
; %bb.2745:
	global_load_u16 v1, v[6:7], off
	s_wait_loadcnt 0x0
	v_cvt_f32_u32_e32 v15, v1
.LBB126_2746:
	s_mov_b32 s23, 0
.LBB126_2747:
	s_delay_alu instid0(SALU_CYCLE_1)
	s_and_not1_b32 vcc_lo, exec_lo, s23
	s_cbranch_vccnz .LBB126_2755
; %bb.2748:
	global_load_u8 v1, v[6:7], off
	s_mov_b32 s23, 0
	s_mov_b32 s24, exec_lo
	s_wait_loadcnt 0x0
	v_cmpx_lt_i16_e32 0x7f, v1
	s_xor_b32 s24, exec_lo, s24
	s_cbranch_execz .LBB126_2769
; %bb.2749:
	s_mov_b32 s23, -1
	s_mov_b32 s25, exec_lo
	v_cmpx_eq_u16_e32 0x80, v1
; %bb.2750:
	s_xor_b32 s23, exec_lo, -1
; %bb.2751:
	s_or_b32 exec_lo, exec_lo, s25
	s_delay_alu instid0(SALU_CYCLE_1)
	s_and_b32 s23, s23, exec_lo
	s_or_saveexec_b32 s24, s24
	v_mov_b32_e32 v15, 0x7f800001
	s_xor_b32 exec_lo, exec_lo, s24
	s_cbranch_execnz .LBB126_2770
.LBB126_2752:
	s_or_b32 exec_lo, exec_lo, s24
	s_and_saveexec_b32 s24, s23
	s_cbranch_execz .LBB126_2754
.LBB126_2753:
	v_and_b32_e32 v3, 0xffff, v1
	s_delay_alu instid0(VALU_DEP_1) | instskip(SKIP_1) | instid1(VALU_DEP_2)
	v_and_b32_e32 v5, 7, v3
	v_bfe_u32 v16, v3, 3, 4
	v_clz_i32_u32_e32 v14, v5
	s_delay_alu instid0(VALU_DEP_2) | instskip(NEXT) | instid1(VALU_DEP_2)
	v_cmp_eq_u32_e32 vcc_lo, 0, v16
	v_min_u32_e32 v14, 32, v14
	s_delay_alu instid0(VALU_DEP_1) | instskip(NEXT) | instid1(VALU_DEP_1)
	v_subrev_nc_u32_e32 v15, 28, v14
	v_dual_lshlrev_b32 v3, v15, v3 :: v_dual_sub_nc_u32 v14, 29, v14
	s_delay_alu instid0(VALU_DEP_1) | instskip(NEXT) | instid1(VALU_DEP_1)
	v_dual_lshlrev_b32 v1, 24, v1 :: v_dual_bitop2_b32 v3, 7, v3 bitop3:0x40
	v_dual_cndmask_b32 v14, v16, v14 :: v_dual_cndmask_b32 v3, v5, v3
	s_delay_alu instid0(VALU_DEP_2) | instskip(NEXT) | instid1(VALU_DEP_2)
	v_and_b32_e32 v1, 0x80000000, v1
	v_lshl_add_u32 v5, v14, 23, 0x3b800000
	s_delay_alu instid0(VALU_DEP_3) | instskip(NEXT) | instid1(VALU_DEP_1)
	v_lshlrev_b32_e32 v3, 20, v3
	v_or3_b32 v15, v1, v5, v3
.LBB126_2754:
	s_or_b32 exec_lo, exec_lo, s24
.LBB126_2755:
	s_mov_b32 s23, -1
.LBB126_2756:
	s_mov_b32 s24, 0
.LBB126_2757:
	s_delay_alu instid0(SALU_CYCLE_1)
	s_and_b32 vcc_lo, exec_lo, s24
	s_cbranch_vccz .LBB126_2790
; %bb.2758:
	s_cmp_gt_i32 s0, 22
	s_cbranch_scc0 .LBB126_2768
; %bb.2759:
	s_cmp_lt_i32 s0, 24
	s_cbranch_scc1 .LBB126_2771
; %bb.2760:
	s_cmp_gt_i32 s0, 24
	s_cbranch_scc0 .LBB126_2772
; %bb.2761:
	global_load_u8 v1, v[6:7], off
	s_mov_b32 s23, exec_lo
	s_wait_loadcnt 0x0
	v_cmpx_lt_i16_e32 0x7f, v1
	s_xor_b32 s23, exec_lo, s23
	s_cbranch_execz .LBB126_2784
; %bb.2762:
	s_mov_b32 s22, -1
	s_mov_b32 s24, exec_lo
	v_cmpx_eq_u16_e32 0x80, v1
; %bb.2763:
	s_xor_b32 s22, exec_lo, -1
; %bb.2764:
	s_or_b32 exec_lo, exec_lo, s24
	s_delay_alu instid0(SALU_CYCLE_1)
	s_and_b32 s22, s22, exec_lo
	s_or_saveexec_b32 s23, s23
	v_mov_b32_e32 v15, 0x7f800001
	s_xor_b32 exec_lo, exec_lo, s23
	s_cbranch_execnz .LBB126_2785
.LBB126_2765:
	s_or_b32 exec_lo, exec_lo, s23
	s_and_saveexec_b32 s23, s22
	s_cbranch_execz .LBB126_2767
.LBB126_2766:
	v_and_b32_e32 v3, 0xffff, v1
	s_delay_alu instid0(VALU_DEP_1) | instskip(SKIP_1) | instid1(VALU_DEP_2)
	v_and_b32_e32 v5, 3, v3
	v_bfe_u32 v16, v3, 2, 5
	v_clz_i32_u32_e32 v14, v5
	s_delay_alu instid0(VALU_DEP_2) | instskip(NEXT) | instid1(VALU_DEP_2)
	v_cmp_eq_u32_e32 vcc_lo, 0, v16
	v_min_u32_e32 v14, 32, v14
	s_delay_alu instid0(VALU_DEP_1) | instskip(NEXT) | instid1(VALU_DEP_1)
	v_subrev_nc_u32_e32 v15, 29, v14
	v_dual_lshlrev_b32 v3, v15, v3 :: v_dual_sub_nc_u32 v14, 30, v14
	s_delay_alu instid0(VALU_DEP_1) | instskip(NEXT) | instid1(VALU_DEP_1)
	v_dual_lshlrev_b32 v1, 24, v1 :: v_dual_bitop2_b32 v3, 3, v3 bitop3:0x40
	v_dual_cndmask_b32 v14, v16, v14 :: v_dual_cndmask_b32 v3, v5, v3
	s_delay_alu instid0(VALU_DEP_2) | instskip(NEXT) | instid1(VALU_DEP_2)
	v_and_b32_e32 v1, 0x80000000, v1
	v_lshl_add_u32 v5, v14, 23, 0x37800000
	s_delay_alu instid0(VALU_DEP_3) | instskip(NEXT) | instid1(VALU_DEP_1)
	v_lshlrev_b32_e32 v3, 21, v3
	v_or3_b32 v15, v1, v5, v3
.LBB126_2767:
	s_or_b32 exec_lo, exec_lo, s23
	s_mov_b32 s22, 0
	s_branch .LBB126_2773
.LBB126_2768:
	s_mov_b32 s22, -1
                                        ; implicit-def: $vgpr15
	s_branch .LBB126_2779
.LBB126_2769:
	s_or_saveexec_b32 s24, s24
	v_mov_b32_e32 v15, 0x7f800001
	s_xor_b32 exec_lo, exec_lo, s24
	s_cbranch_execz .LBB126_2752
.LBB126_2770:
	v_cmp_ne_u16_e32 vcc_lo, 0, v1
	v_mov_b32_e32 v15, 0
	s_and_not1_b32 s23, s23, exec_lo
	s_and_b32 s25, vcc_lo, exec_lo
	s_delay_alu instid0(SALU_CYCLE_1)
	s_or_b32 s23, s23, s25
	s_or_b32 exec_lo, exec_lo, s24
	s_and_saveexec_b32 s24, s23
	s_cbranch_execnz .LBB126_2753
	s_branch .LBB126_2754
.LBB126_2771:
	s_mov_b32 s22, -1
                                        ; implicit-def: $vgpr15
	s_branch .LBB126_2776
.LBB126_2772:
	s_mov_b32 s22, -1
                                        ; implicit-def: $vgpr15
.LBB126_2773:
	s_delay_alu instid0(SALU_CYCLE_1)
	s_and_b32 vcc_lo, exec_lo, s22
	s_cbranch_vccz .LBB126_2775
; %bb.2774:
	global_load_u8 v1, v[6:7], off
	s_wait_loadcnt 0x0
	v_lshlrev_b32_e32 v1, 24, v1
	s_delay_alu instid0(VALU_DEP_1) | instskip(NEXT) | instid1(VALU_DEP_1)
	v_and_b32_e32 v3, 0x7f000000, v1
	v_clz_i32_u32_e32 v5, v3
	v_add_nc_u32_e32 v15, 0x1000000, v3
	v_cmp_ne_u32_e32 vcc_lo, 0, v3
	s_delay_alu instid0(VALU_DEP_3) | instskip(NEXT) | instid1(VALU_DEP_1)
	v_min_u32_e32 v5, 32, v5
	v_sub_nc_u32_e64 v5, v5, 4 clamp
	s_delay_alu instid0(VALU_DEP_1) | instskip(NEXT) | instid1(VALU_DEP_1)
	v_dual_lshlrev_b32 v14, v5, v3 :: v_dual_lshlrev_b32 v5, 23, v5
	v_lshrrev_b32_e32 v14, 4, v14
	s_delay_alu instid0(VALU_DEP_1) | instskip(NEXT) | instid1(VALU_DEP_1)
	v_dual_sub_nc_u32 v5, v14, v5 :: v_dual_ashrrev_i32 v14, 8, v15
	v_add_nc_u32_e32 v5, 0x3c000000, v5
	s_delay_alu instid0(VALU_DEP_1) | instskip(NEXT) | instid1(VALU_DEP_1)
	v_and_or_b32 v5, 0x7f800000, v14, v5
	v_cndmask_b32_e32 v3, 0, v5, vcc_lo
	s_delay_alu instid0(VALU_DEP_1)
	v_and_or_b32 v15, 0x80000000, v1, v3
.LBB126_2775:
	s_mov_b32 s22, 0
.LBB126_2776:
	s_delay_alu instid0(SALU_CYCLE_1)
	s_and_not1_b32 vcc_lo, exec_lo, s22
	s_cbranch_vccnz .LBB126_2778
; %bb.2777:
	global_load_u8 v1, v[6:7], off
	s_wait_loadcnt 0x0
	v_lshlrev_b32_e32 v3, 25, v1
	v_lshlrev_b16 v1, 8, v1
	s_delay_alu instid0(VALU_DEP_1) | instskip(SKIP_1) | instid1(VALU_DEP_2)
	v_and_or_b32 v14, 0x7f00, v1, 0.5
	v_bfe_i32 v1, v1, 0, 16
	v_dual_add_f32 v14, -0.5, v14 :: v_dual_lshrrev_b32 v5, 4, v3
	v_cmp_gt_u32_e32 vcc_lo, 0x8000000, v3
	s_delay_alu instid0(VALU_DEP_2) | instskip(NEXT) | instid1(VALU_DEP_1)
	v_or_b32_e32 v5, 0x70000000, v5
	v_mul_f32_e32 v5, 0x7800000, v5
	s_delay_alu instid0(VALU_DEP_1) | instskip(NEXT) | instid1(VALU_DEP_1)
	v_cndmask_b32_e32 v3, v5, v14, vcc_lo
	v_and_or_b32 v15, 0x80000000, v1, v3
.LBB126_2778:
	s_mov_b32 s22, 0
	s_mov_b32 s23, -1
.LBB126_2779:
	s_and_not1_b32 vcc_lo, exec_lo, s22
	s_mov_b32 s22, 0
	s_cbranch_vccnz .LBB126_2790
; %bb.2780:
	s_cmp_gt_i32 s0, 14
	s_cbranch_scc0 .LBB126_2783
; %bb.2781:
	s_cmp_eq_u32 s0, 15
	s_cbranch_scc0 .LBB126_2786
; %bb.2782:
	global_load_u16 v1, v[6:7], off
	s_mov_b32 s15, 0
	s_mov_b32 s23, -1
	s_wait_loadcnt 0x0
	v_lshlrev_b32_e32 v15, 16, v1
	s_branch .LBB126_2788
.LBB126_2783:
	s_mov_b32 s22, -1
	s_branch .LBB126_2787
.LBB126_2784:
	s_or_saveexec_b32 s23, s23
	v_mov_b32_e32 v15, 0x7f800001
	s_xor_b32 exec_lo, exec_lo, s23
	s_cbranch_execz .LBB126_2765
.LBB126_2785:
	v_cmp_ne_u16_e32 vcc_lo, 0, v1
	v_mov_b32_e32 v15, 0
	s_and_not1_b32 s22, s22, exec_lo
	s_and_b32 s24, vcc_lo, exec_lo
	s_delay_alu instid0(SALU_CYCLE_1)
	s_or_b32 s22, s22, s24
	s_or_b32 exec_lo, exec_lo, s23
	s_and_saveexec_b32 s23, s22
	s_cbranch_execnz .LBB126_2766
	s_branch .LBB126_2767
.LBB126_2786:
	s_mov_b32 s15, -1
.LBB126_2787:
                                        ; implicit-def: $vgpr15
.LBB126_2788:
	s_and_b32 vcc_lo, exec_lo, s22
	s_mov_b32 s22, 0
	s_cbranch_vccz .LBB126_2790
; %bb.2789:
	s_cmp_lg_u32 s0, 11
	s_mov_b32 s22, -1
	s_cselect_b32 s15, -1, 0
.LBB126_2790:
	s_delay_alu instid0(SALU_CYCLE_1)
	s_and_b32 vcc_lo, exec_lo, s15
	s_cbranch_vccnz .LBB126_2855
; %bb.2791:
	s_and_not1_b32 vcc_lo, exec_lo, s22
	s_cbranch_vccnz .LBB126_2793
.LBB126_2792:
	global_load_u8 v1, v[6:7], off
	s_mov_b32 s23, -1
	s_wait_loadcnt 0x0
	v_cmp_ne_u16_e32 vcc_lo, 0, v1
	v_cndmask_b32_e64 v15, 0, 1.0, vcc_lo
.LBB126_2793:
	s_mov_b32 s15, 0
.LBB126_2794:
	s_delay_alu instid0(SALU_CYCLE_1)
	s_and_b32 vcc_lo, exec_lo, s15
	s_cbranch_vccz .LBB126_2843
; %bb.2795:
	s_cmp_lt_i32 s0, 5
	s_cbranch_scc1 .LBB126_2800
; %bb.2796:
	s_cmp_lt_i32 s0, 8
	s_cbranch_scc1 .LBB126_2801
	;; [unrolled: 3-line block ×3, first 2 shown]
; %bb.2798:
	s_cmp_gt_i32 s0, 9
	s_cbranch_scc0 .LBB126_2803
; %bb.2799:
	global_load_b64 v[14:15], v[6:7], off
	s_mov_b32 s15, 0
	s_wait_loadcnt 0x0
	v_cvt_f32_f64_e32 v15, v[14:15]
	s_branch .LBB126_2804
.LBB126_2800:
	s_mov_b32 s15, -1
                                        ; implicit-def: $vgpr15
	s_branch .LBB126_2822
.LBB126_2801:
	s_mov_b32 s15, -1
                                        ; implicit-def: $vgpr15
	s_branch .LBB126_2810
.LBB126_2802:
	s_mov_b32 s15, -1
                                        ; implicit-def: $vgpr15
	s_branch .LBB126_2807
.LBB126_2803:
	s_mov_b32 s15, -1
                                        ; implicit-def: $vgpr15
.LBB126_2804:
	s_delay_alu instid0(SALU_CYCLE_1)
	s_and_not1_b32 vcc_lo, exec_lo, s15
	s_cbranch_vccnz .LBB126_2806
; %bb.2805:
	global_load_b32 v15, v[6:7], off
.LBB126_2806:
	s_mov_b32 s15, 0
.LBB126_2807:
	s_delay_alu instid0(SALU_CYCLE_1)
	s_and_not1_b32 vcc_lo, exec_lo, s15
	s_cbranch_vccnz .LBB126_2809
; %bb.2808:
	global_load_b32 v1, v[6:7], off
	s_wait_loadcnt 0x0
	v_cvt_f32_f16_e32 v15, v1
.LBB126_2809:
	s_mov_b32 s15, 0
.LBB126_2810:
	s_delay_alu instid0(SALU_CYCLE_1)
	s_and_not1_b32 vcc_lo, exec_lo, s15
	s_cbranch_vccnz .LBB126_2821
; %bb.2811:
	s_cmp_lt_i32 s0, 6
	s_cbranch_scc1 .LBB126_2814
; %bb.2812:
	s_cmp_gt_i32 s0, 6
	s_cbranch_scc0 .LBB126_2815
; %bb.2813:
	s_wait_loadcnt 0x0
	global_load_b64 v[14:15], v[6:7], off
	s_mov_b32 s15, 0
	s_wait_loadcnt 0x0
	v_cvt_f32_f64_e32 v15, v[14:15]
	s_branch .LBB126_2816
.LBB126_2814:
	s_mov_b32 s15, -1
                                        ; implicit-def: $vgpr15
	s_branch .LBB126_2819
.LBB126_2815:
	s_mov_b32 s15, -1
                                        ; implicit-def: $vgpr15
.LBB126_2816:
	s_delay_alu instid0(SALU_CYCLE_1)
	s_and_not1_b32 vcc_lo, exec_lo, s15
	s_cbranch_vccnz .LBB126_2818
; %bb.2817:
	s_wait_loadcnt 0x0
	global_load_b32 v15, v[6:7], off
.LBB126_2818:
	s_mov_b32 s15, 0
.LBB126_2819:
	s_delay_alu instid0(SALU_CYCLE_1)
	s_and_not1_b32 vcc_lo, exec_lo, s15
	s_cbranch_vccnz .LBB126_2821
; %bb.2820:
	global_load_u16 v1, v[6:7], off
	s_wait_loadcnt 0x0
	v_cvt_f32_f16_e32 v15, v1
.LBB126_2821:
	s_mov_b32 s15, 0
.LBB126_2822:
	s_delay_alu instid0(SALU_CYCLE_1)
	s_and_not1_b32 vcc_lo, exec_lo, s15
	s_cbranch_vccnz .LBB126_2842
; %bb.2823:
	s_cmp_lt_i32 s0, 2
	s_cbranch_scc1 .LBB126_2827
; %bb.2824:
	s_cmp_lt_i32 s0, 3
	s_cbranch_scc1 .LBB126_2828
; %bb.2825:
	s_cmp_gt_i32 s0, 3
	s_cbranch_scc0 .LBB126_2829
; %bb.2826:
	s_wait_loadcnt 0x0
	global_load_b64 v[14:15], v[6:7], off
	s_mov_b32 s15, 0
	s_wait_loadcnt 0x0
	v_xor_b32_e32 v1, v14, v15
	v_cls_i32_e32 v3, v15
	s_delay_alu instid0(VALU_DEP_2) | instskip(NEXT) | instid1(VALU_DEP_1)
	v_ashrrev_i32_e32 v1, 31, v1
	v_add_nc_u32_e32 v1, 32, v1
	s_delay_alu instid0(VALU_DEP_1) | instskip(NEXT) | instid1(VALU_DEP_1)
	v_add_min_u32_e64 v1, v3, -1, v1
	v_lshlrev_b64_e32 v[14:15], v1, v[14:15]
	v_sub_nc_u32_e32 v1, 32, v1
	s_delay_alu instid0(VALU_DEP_2) | instskip(NEXT) | instid1(VALU_DEP_1)
	v_min_u32_e32 v3, 1, v14
	v_or_b32_e32 v3, v15, v3
	s_delay_alu instid0(VALU_DEP_1) | instskip(NEXT) | instid1(VALU_DEP_1)
	v_cvt_f32_i32_e32 v3, v3
	v_ldexp_f32 v15, v3, v1
	s_branch .LBB126_2830
.LBB126_2827:
	s_mov_b32 s15, -1
                                        ; implicit-def: $vgpr15
	s_branch .LBB126_2836
.LBB126_2828:
	s_mov_b32 s15, -1
                                        ; implicit-def: $vgpr15
	s_branch .LBB126_2833
.LBB126_2829:
	s_mov_b32 s15, -1
                                        ; implicit-def: $vgpr15
.LBB126_2830:
	s_delay_alu instid0(SALU_CYCLE_1)
	s_and_not1_b32 vcc_lo, exec_lo, s15
	s_cbranch_vccnz .LBB126_2832
; %bb.2831:
	global_load_b32 v1, v[6:7], off
	s_wait_loadcnt 0x0
	v_cvt_f32_i32_e32 v15, v1
.LBB126_2832:
	s_mov_b32 s15, 0
.LBB126_2833:
	s_delay_alu instid0(SALU_CYCLE_1)
	s_and_not1_b32 vcc_lo, exec_lo, s15
	s_cbranch_vccnz .LBB126_2835
; %bb.2834:
	global_load_i16 v1, v[6:7], off
	s_wait_loadcnt 0x0
	v_cvt_f32_i32_e32 v15, v1
.LBB126_2835:
	s_mov_b32 s15, 0
.LBB126_2836:
	s_delay_alu instid0(SALU_CYCLE_1)
	s_and_not1_b32 vcc_lo, exec_lo, s15
	s_cbranch_vccnz .LBB126_2842
; %bb.2837:
	s_cmp_gt_i32 s0, 0
	s_mov_b32 s15, 0
	s_cbranch_scc0 .LBB126_2839
; %bb.2838:
	global_load_i8 v1, v[6:7], off
	s_wait_loadcnt 0x0
	v_cvt_f32_i32_e32 v15, v1
	s_branch .LBB126_2840
.LBB126_2839:
	s_mov_b32 s15, -1
                                        ; implicit-def: $vgpr15
.LBB126_2840:
	s_delay_alu instid0(SALU_CYCLE_1)
	s_and_not1_b32 vcc_lo, exec_lo, s15
	s_cbranch_vccnz .LBB126_2842
; %bb.2841:
	global_load_u8 v1, v[6:7], off
	s_wait_loadcnt 0x0
	v_cvt_f32_ubyte0_e32 v15, v1
.LBB126_2842:
	s_mov_b32 s23, -1
.LBB126_2843:
	s_delay_alu instid0(SALU_CYCLE_1)
	s_and_not1_b32 vcc_lo, exec_lo, s23
	s_cbranch_vccnz .LBB126_4065
; %bb.2844:
	v_add_nc_u32_e32 v0, s1, v0
	s_cmp_lt_i32 s19, 11
	s_delay_alu instid0(VALU_DEP_1) | instskip(SKIP_1) | instid1(VALU_DEP_1)
	v_ashrrev_i32_e32 v1, 31, v0
	s_wait_xcnt 0x0
	v_add_nc_u64_e32 v[6:7], s[6:7], v[0:1]
	s_cbranch_scc1 .LBB126_2851
; %bb.2845:
	s_and_b32 s15, 0xffff, s19
	s_mov_b32 s23, 0
	s_cmp_gt_i32 s15, 25
	s_cbranch_scc0 .LBB126_2852
; %bb.2846:
	s_cmp_gt_i32 s15, 28
	s_cbranch_scc0 .LBB126_2853
; %bb.2847:
	;; [unrolled: 3-line block ×4, first 2 shown]
	s_cmp_eq_u32 s15, 46
	s_mov_b32 s25, 0
	s_cbranch_scc0 .LBB126_2859
; %bb.2850:
	global_load_b32 v1, v[6:7], off
	s_mov_b32 s22, 0
	s_mov_b32 s24, -1
	s_wait_loadcnt 0x0
	v_lshlrev_b32_e32 v14, 16, v1
	s_branch .LBB126_2861
.LBB126_2851:
	s_mov_b32 s15, -1
	s_mov_b32 s24, 0
                                        ; implicit-def: $vgpr14
	s_branch .LBB126_2927
.LBB126_2852:
	s_mov_b32 s25, -1
	s_mov_b32 s24, 0
	s_mov_b32 s22, 0
                                        ; implicit-def: $vgpr14
	s_branch .LBB126_2890
.LBB126_2853:
	s_mov_b32 s25, -1
	s_mov_b32 s24, 0
	s_mov_b32 s22, 0
                                        ; implicit-def: $vgpr14
	s_branch .LBB126_2871
.LBB126_2854:
	s_mov_b32 s25, -1
	s_mov_b32 s24, 0
	s_mov_b32 s22, 0
                                        ; implicit-def: $vgpr14
	s_branch .LBB126_2866
.LBB126_2855:
	s_or_b32 s3, s3, exec_lo
	s_trap 2
	s_cbranch_execz .LBB126_2792
	s_branch .LBB126_2793
.LBB126_2856:
	s_mov_b32 s25, -1
	s_mov_b32 s24, 0
	s_mov_b32 s22, 0
	s_branch .LBB126_2860
.LBB126_2857:
	s_and_not1_saveexec_b32 s41, s41
	s_cbranch_execz .LBB126_1477
.LBB126_2858:
	v_add_f32_e64 v3, 0x42800000, |v2|
	s_and_not1_b32 s40, s40, exec_lo
	s_delay_alu instid0(VALU_DEP_1) | instskip(NEXT) | instid1(VALU_DEP_1)
	v_and_b32_e32 v3, 0xff, v3
	v_cmp_ne_u32_e32 vcc_lo, 0, v3
	s_and_b32 s42, vcc_lo, exec_lo
	s_delay_alu instid0(SALU_CYCLE_1)
	s_or_b32 s40, s40, s42
	s_or_b32 exec_lo, exec_lo, s41
	v_mov_b32_e32 v4, 0
	s_and_saveexec_b32 s41, s40
	s_cbranch_execnz .LBB126_1478
	s_branch .LBB126_1479
.LBB126_2859:
	s_mov_b32 s22, -1
	s_mov_b32 s24, 0
.LBB126_2860:
                                        ; implicit-def: $vgpr14
.LBB126_2861:
	s_and_b32 vcc_lo, exec_lo, s25
	s_cbranch_vccz .LBB126_2865
; %bb.2862:
	s_cmp_eq_u32 s15, 44
	s_cbranch_scc0 .LBB126_2864
; %bb.2863:
	global_load_u8 v1, v[6:7], off
	s_mov_b32 s22, 0
	s_mov_b32 s24, -1
	s_wait_loadcnt 0x0
	v_lshlrev_b32_e32 v3, 23, v1
	v_cmp_ne_u32_e32 vcc_lo, 0xff, v1
	s_delay_alu instid0(VALU_DEP_2) | instskip(SKIP_1) | instid1(VALU_DEP_2)
	v_cndmask_b32_e32 v3, 0x7f800001, v3, vcc_lo
	v_cmp_ne_u32_e32 vcc_lo, 0, v1
	v_cndmask_b32_e32 v14, 0x400000, v3, vcc_lo
	s_branch .LBB126_2865
.LBB126_2864:
	s_mov_b32 s22, -1
                                        ; implicit-def: $vgpr14
.LBB126_2865:
	s_mov_b32 s25, 0
.LBB126_2866:
	s_delay_alu instid0(SALU_CYCLE_1)
	s_and_b32 vcc_lo, exec_lo, s25
	s_cbranch_vccz .LBB126_2870
; %bb.2867:
	s_cmp_eq_u32 s15, 29
	s_cbranch_scc0 .LBB126_2869
; %bb.2868:
	global_load_b64 v[16:17], v[6:7], off
	s_mov_b32 s22, 0
	s_mov_b32 s24, -1
	s_mov_b32 s25, 0
	s_wait_loadcnt 0x0
	v_clz_i32_u32_e32 v1, v17
	s_delay_alu instid0(VALU_DEP_1) | instskip(NEXT) | instid1(VALU_DEP_1)
	v_min_u32_e32 v1, 32, v1
	v_lshlrev_b64_e32 v[16:17], v1, v[16:17]
	v_sub_nc_u32_e32 v1, 32, v1
	s_delay_alu instid0(VALU_DEP_2) | instskip(NEXT) | instid1(VALU_DEP_1)
	v_min_u32_e32 v3, 1, v16
	v_or_b32_e32 v3, v17, v3
	s_delay_alu instid0(VALU_DEP_1) | instskip(NEXT) | instid1(VALU_DEP_1)
	v_cvt_f32_u32_e32 v3, v3
	v_ldexp_f32 v14, v3, v1
	s_branch .LBB126_2871
.LBB126_2869:
	s_mov_b32 s22, -1
                                        ; implicit-def: $vgpr14
.LBB126_2870:
	s_mov_b32 s25, 0
.LBB126_2871:
	s_delay_alu instid0(SALU_CYCLE_1)
	s_and_b32 vcc_lo, exec_lo, s25
	s_cbranch_vccz .LBB126_2889
; %bb.2872:
	s_cmp_lt_i32 s15, 27
	s_cbranch_scc1 .LBB126_2875
; %bb.2873:
	s_cmp_gt_i32 s15, 27
	s_cbranch_scc0 .LBB126_2876
; %bb.2874:
	global_load_b32 v1, v[6:7], off
	s_mov_b32 s24, 0
	s_wait_loadcnt 0x0
	v_cvt_f32_u32_e32 v14, v1
	s_branch .LBB126_2877
.LBB126_2875:
	s_mov_b32 s24, -1
                                        ; implicit-def: $vgpr14
	s_branch .LBB126_2880
.LBB126_2876:
	s_mov_b32 s24, -1
                                        ; implicit-def: $vgpr14
.LBB126_2877:
	s_delay_alu instid0(SALU_CYCLE_1)
	s_and_not1_b32 vcc_lo, exec_lo, s24
	s_cbranch_vccnz .LBB126_2879
; %bb.2878:
	global_load_u16 v1, v[6:7], off
	s_wait_loadcnt 0x0
	v_cvt_f32_u32_e32 v14, v1
.LBB126_2879:
	s_mov_b32 s24, 0
.LBB126_2880:
	s_delay_alu instid0(SALU_CYCLE_1)
	s_and_not1_b32 vcc_lo, exec_lo, s24
	s_cbranch_vccnz .LBB126_2888
; %bb.2881:
	global_load_u8 v1, v[6:7], off
	s_mov_b32 s24, 0
	s_mov_b32 s25, exec_lo
	s_wait_loadcnt 0x0
	v_cmpx_lt_i16_e32 0x7f, v1
	s_xor_b32 s25, exec_lo, s25
	s_cbranch_execz .LBB126_2902
; %bb.2882:
	s_mov_b32 s24, -1
	s_mov_b32 s26, exec_lo
	v_cmpx_eq_u16_e32 0x80, v1
; %bb.2883:
	s_xor_b32 s24, exec_lo, -1
; %bb.2884:
	s_or_b32 exec_lo, exec_lo, s26
	s_delay_alu instid0(SALU_CYCLE_1)
	s_and_b32 s24, s24, exec_lo
	s_or_saveexec_b32 s25, s25
	v_mov_b32_e32 v14, 0x7f800001
	s_xor_b32 exec_lo, exec_lo, s25
	s_cbranch_execnz .LBB126_2903
.LBB126_2885:
	s_or_b32 exec_lo, exec_lo, s25
	s_and_saveexec_b32 s25, s24
	s_cbranch_execz .LBB126_2887
.LBB126_2886:
	v_and_b32_e32 v3, 0xffff, v1
	s_delay_alu instid0(VALU_DEP_1) | instskip(SKIP_1) | instid1(VALU_DEP_2)
	v_and_b32_e32 v5, 7, v3
	v_bfe_u32 v17, v3, 3, 4
	v_clz_i32_u32_e32 v14, v5
	s_delay_alu instid0(VALU_DEP_2) | instskip(NEXT) | instid1(VALU_DEP_2)
	v_cmp_eq_u32_e32 vcc_lo, 0, v17
	v_min_u32_e32 v14, 32, v14
	s_delay_alu instid0(VALU_DEP_1) | instskip(NEXT) | instid1(VALU_DEP_1)
	v_subrev_nc_u32_e32 v16, 28, v14
	v_dual_lshlrev_b32 v3, v16, v3 :: v_dual_sub_nc_u32 v14, 29, v14
	s_delay_alu instid0(VALU_DEP_1) | instskip(NEXT) | instid1(VALU_DEP_2)
	v_dual_lshlrev_b32 v1, 24, v1 :: v_dual_bitop2_b32 v3, 7, v3 bitop3:0x40
	v_cndmask_b32_e32 v14, v17, v14, vcc_lo
	s_delay_alu instid0(VALU_DEP_2) | instskip(NEXT) | instid1(VALU_DEP_3)
	v_cndmask_b32_e32 v3, v5, v3, vcc_lo
	v_and_b32_e32 v1, 0x80000000, v1
	s_delay_alu instid0(VALU_DEP_3) | instskip(NEXT) | instid1(VALU_DEP_3)
	v_lshl_add_u32 v5, v14, 23, 0x3b800000
	v_lshlrev_b32_e32 v3, 20, v3
	s_delay_alu instid0(VALU_DEP_1)
	v_or3_b32 v14, v1, v5, v3
.LBB126_2887:
	s_or_b32 exec_lo, exec_lo, s25
.LBB126_2888:
	s_mov_b32 s24, -1
.LBB126_2889:
	s_mov_b32 s25, 0
.LBB126_2890:
	s_delay_alu instid0(SALU_CYCLE_1)
	s_and_b32 vcc_lo, exec_lo, s25
	s_cbranch_vccz .LBB126_2923
; %bb.2891:
	s_cmp_gt_i32 s15, 22
	s_cbranch_scc0 .LBB126_2901
; %bb.2892:
	s_cmp_lt_i32 s15, 24
	s_cbranch_scc1 .LBB126_2904
; %bb.2893:
	s_cmp_gt_i32 s15, 24
	s_cbranch_scc0 .LBB126_2905
; %bb.2894:
	global_load_u8 v1, v[6:7], off
	s_mov_b32 s24, exec_lo
	s_wait_loadcnt 0x0
	v_cmpx_lt_i16_e32 0x7f, v1
	s_xor_b32 s24, exec_lo, s24
	s_cbranch_execz .LBB126_2917
; %bb.2895:
	s_mov_b32 s23, -1
	s_mov_b32 s25, exec_lo
	v_cmpx_eq_u16_e32 0x80, v1
; %bb.2896:
	s_xor_b32 s23, exec_lo, -1
; %bb.2897:
	s_or_b32 exec_lo, exec_lo, s25
	s_delay_alu instid0(SALU_CYCLE_1)
	s_and_b32 s23, s23, exec_lo
	s_or_saveexec_b32 s24, s24
	v_mov_b32_e32 v14, 0x7f800001
	s_xor_b32 exec_lo, exec_lo, s24
	s_cbranch_execnz .LBB126_2918
.LBB126_2898:
	s_or_b32 exec_lo, exec_lo, s24
	s_and_saveexec_b32 s24, s23
	s_cbranch_execz .LBB126_2900
.LBB126_2899:
	v_and_b32_e32 v3, 0xffff, v1
	s_delay_alu instid0(VALU_DEP_1) | instskip(SKIP_1) | instid1(VALU_DEP_2)
	v_and_b32_e32 v5, 3, v3
	v_bfe_u32 v17, v3, 2, 5
	v_clz_i32_u32_e32 v14, v5
	s_delay_alu instid0(VALU_DEP_2) | instskip(NEXT) | instid1(VALU_DEP_2)
	v_cmp_eq_u32_e32 vcc_lo, 0, v17
	v_min_u32_e32 v14, 32, v14
	s_delay_alu instid0(VALU_DEP_1) | instskip(NEXT) | instid1(VALU_DEP_1)
	v_subrev_nc_u32_e32 v16, 29, v14
	v_dual_lshlrev_b32 v3, v16, v3 :: v_dual_sub_nc_u32 v14, 30, v14
	s_delay_alu instid0(VALU_DEP_1) | instskip(NEXT) | instid1(VALU_DEP_2)
	v_dual_lshlrev_b32 v1, 24, v1 :: v_dual_bitop2_b32 v3, 3, v3 bitop3:0x40
	v_cndmask_b32_e32 v14, v17, v14, vcc_lo
	s_delay_alu instid0(VALU_DEP_2) | instskip(NEXT) | instid1(VALU_DEP_3)
	v_cndmask_b32_e32 v3, v5, v3, vcc_lo
	v_and_b32_e32 v1, 0x80000000, v1
	s_delay_alu instid0(VALU_DEP_3) | instskip(NEXT) | instid1(VALU_DEP_3)
	v_lshl_add_u32 v5, v14, 23, 0x37800000
	v_lshlrev_b32_e32 v3, 21, v3
	s_delay_alu instid0(VALU_DEP_1)
	v_or3_b32 v14, v1, v5, v3
.LBB126_2900:
	s_or_b32 exec_lo, exec_lo, s24
	s_mov_b32 s23, 0
	s_branch .LBB126_2906
.LBB126_2901:
	s_mov_b32 s23, -1
                                        ; implicit-def: $vgpr14
	s_branch .LBB126_2912
.LBB126_2902:
	s_or_saveexec_b32 s25, s25
	v_mov_b32_e32 v14, 0x7f800001
	s_xor_b32 exec_lo, exec_lo, s25
	s_cbranch_execz .LBB126_2885
.LBB126_2903:
	v_cmp_ne_u16_e32 vcc_lo, 0, v1
	v_mov_b32_e32 v14, 0
	s_and_not1_b32 s24, s24, exec_lo
	s_and_b32 s26, vcc_lo, exec_lo
	s_delay_alu instid0(SALU_CYCLE_1)
	s_or_b32 s24, s24, s26
	s_or_b32 exec_lo, exec_lo, s25
	s_and_saveexec_b32 s25, s24
	s_cbranch_execnz .LBB126_2886
	s_branch .LBB126_2887
.LBB126_2904:
	s_mov_b32 s23, -1
                                        ; implicit-def: $vgpr14
	s_branch .LBB126_2909
.LBB126_2905:
	s_mov_b32 s23, -1
                                        ; implicit-def: $vgpr14
.LBB126_2906:
	s_delay_alu instid0(SALU_CYCLE_1)
	s_and_b32 vcc_lo, exec_lo, s23
	s_cbranch_vccz .LBB126_2908
; %bb.2907:
	global_load_u8 v1, v[6:7], off
	s_wait_loadcnt 0x0
	v_lshlrev_b32_e32 v1, 24, v1
	s_delay_alu instid0(VALU_DEP_1) | instskip(NEXT) | instid1(VALU_DEP_1)
	v_and_b32_e32 v3, 0x7f000000, v1
	v_clz_i32_u32_e32 v5, v3
	v_cmp_ne_u32_e32 vcc_lo, 0, v3
	v_add_nc_u32_e32 v16, 0x1000000, v3
	s_delay_alu instid0(VALU_DEP_3) | instskip(NEXT) | instid1(VALU_DEP_1)
	v_min_u32_e32 v5, 32, v5
	v_sub_nc_u32_e64 v5, v5, 4 clamp
	s_delay_alu instid0(VALU_DEP_1) | instskip(NEXT) | instid1(VALU_DEP_1)
	v_dual_lshlrev_b32 v14, v5, v3 :: v_dual_lshlrev_b32 v5, 23, v5
	v_lshrrev_b32_e32 v14, 4, v14
	s_delay_alu instid0(VALU_DEP_1) | instskip(NEXT) | instid1(VALU_DEP_1)
	v_dual_sub_nc_u32 v5, v14, v5 :: v_dual_ashrrev_i32 v14, 8, v16
	v_add_nc_u32_e32 v5, 0x3c000000, v5
	s_delay_alu instid0(VALU_DEP_1) | instskip(NEXT) | instid1(VALU_DEP_1)
	v_and_or_b32 v5, 0x7f800000, v14, v5
	v_cndmask_b32_e32 v3, 0, v5, vcc_lo
	s_delay_alu instid0(VALU_DEP_1)
	v_and_or_b32 v14, 0x80000000, v1, v3
.LBB126_2908:
	s_mov_b32 s23, 0
.LBB126_2909:
	s_delay_alu instid0(SALU_CYCLE_1)
	s_and_not1_b32 vcc_lo, exec_lo, s23
	s_cbranch_vccnz .LBB126_2911
; %bb.2910:
	global_load_u8 v1, v[6:7], off
	s_wait_loadcnt 0x0
	v_lshlrev_b32_e32 v3, 25, v1
	v_lshlrev_b16 v1, 8, v1
	s_delay_alu instid0(VALU_DEP_1) | instskip(SKIP_1) | instid1(VALU_DEP_2)
	v_and_or_b32 v14, 0x7f00, v1, 0.5
	v_bfe_i32 v1, v1, 0, 16
	v_dual_add_f32 v14, -0.5, v14 :: v_dual_lshrrev_b32 v5, 4, v3
	v_cmp_gt_u32_e32 vcc_lo, 0x8000000, v3
	s_delay_alu instid0(VALU_DEP_2) | instskip(NEXT) | instid1(VALU_DEP_1)
	v_or_b32_e32 v5, 0x70000000, v5
	v_mul_f32_e32 v5, 0x7800000, v5
	s_delay_alu instid0(VALU_DEP_1) | instskip(NEXT) | instid1(VALU_DEP_1)
	v_cndmask_b32_e32 v3, v5, v14, vcc_lo
	v_and_or_b32 v14, 0x80000000, v1, v3
.LBB126_2911:
	s_mov_b32 s23, 0
	s_mov_b32 s24, -1
.LBB126_2912:
	s_and_not1_b32 vcc_lo, exec_lo, s23
	s_mov_b32 s23, 0
	s_cbranch_vccnz .LBB126_2923
; %bb.2913:
	s_cmp_gt_i32 s15, 14
	s_cbranch_scc0 .LBB126_2916
; %bb.2914:
	s_cmp_eq_u32 s15, 15
	s_cbranch_scc0 .LBB126_2919
; %bb.2915:
	global_load_u16 v1, v[6:7], off
	s_mov_b32 s22, 0
	s_mov_b32 s24, -1
	s_wait_loadcnt 0x0
	v_lshlrev_b32_e32 v14, 16, v1
	s_branch .LBB126_2921
.LBB126_2916:
	s_mov_b32 s23, -1
	s_branch .LBB126_2920
.LBB126_2917:
	s_or_saveexec_b32 s24, s24
	v_mov_b32_e32 v14, 0x7f800001
	s_xor_b32 exec_lo, exec_lo, s24
	s_cbranch_execz .LBB126_2898
.LBB126_2918:
	v_cmp_ne_u16_e32 vcc_lo, 0, v1
	v_mov_b32_e32 v14, 0
	s_and_not1_b32 s23, s23, exec_lo
	s_and_b32 s25, vcc_lo, exec_lo
	s_delay_alu instid0(SALU_CYCLE_1)
	s_or_b32 s23, s23, s25
	s_or_b32 exec_lo, exec_lo, s24
	s_and_saveexec_b32 s24, s23
	s_cbranch_execnz .LBB126_2899
	s_branch .LBB126_2900
.LBB126_2919:
	s_mov_b32 s22, -1
.LBB126_2920:
                                        ; implicit-def: $vgpr14
.LBB126_2921:
	s_and_b32 vcc_lo, exec_lo, s23
	s_mov_b32 s23, 0
	s_cbranch_vccz .LBB126_2923
; %bb.2922:
	s_cmp_lg_u32 s15, 11
	s_mov_b32 s23, -1
	s_cselect_b32 s22, -1, 0
.LBB126_2923:
	s_delay_alu instid0(SALU_CYCLE_1)
	s_and_b32 vcc_lo, exec_lo, s22
	s_cbranch_vccnz .LBB126_2988
; %bb.2924:
	s_and_not1_b32 vcc_lo, exec_lo, s23
	s_cbranch_vccnz .LBB126_2926
.LBB126_2925:
	global_load_u8 v1, v[6:7], off
	s_mov_b32 s24, -1
	s_wait_loadcnt 0x0
	v_cmp_ne_u16_e32 vcc_lo, 0, v1
	v_cndmask_b32_e64 v14, 0, 1.0, vcc_lo
.LBB126_2926:
	s_mov_b32 s15, 0
.LBB126_2927:
	s_delay_alu instid0(SALU_CYCLE_1)
	s_and_b32 vcc_lo, exec_lo, s15
	s_cbranch_vccz .LBB126_2976
; %bb.2928:
	s_and_b32 s15, 0xffff, s19
	s_delay_alu instid0(SALU_CYCLE_1)
	s_cmp_lt_i32 s15, 5
	s_cbranch_scc1 .LBB126_2933
; %bb.2929:
	s_cmp_lt_i32 s15, 8
	s_cbranch_scc1 .LBB126_2934
; %bb.2930:
	;; [unrolled: 3-line block ×3, first 2 shown]
	s_cmp_gt_i32 s15, 9
	s_cbranch_scc0 .LBB126_2936
; %bb.2932:
	global_load_b64 v[16:17], v[6:7], off
	s_mov_b32 s22, 0
	s_wait_loadcnt 0x0
	v_cvt_f32_f64_e32 v14, v[16:17]
	s_branch .LBB126_2937
.LBB126_2933:
	s_mov_b32 s22, -1
                                        ; implicit-def: $vgpr14
	s_branch .LBB126_2955
.LBB126_2934:
	s_mov_b32 s22, -1
                                        ; implicit-def: $vgpr14
	s_branch .LBB126_2943
.LBB126_2935:
	s_mov_b32 s22, -1
                                        ; implicit-def: $vgpr14
	s_branch .LBB126_2940
.LBB126_2936:
	s_mov_b32 s22, -1
                                        ; implicit-def: $vgpr14
.LBB126_2937:
	s_delay_alu instid0(SALU_CYCLE_1)
	s_and_not1_b32 vcc_lo, exec_lo, s22
	s_cbranch_vccnz .LBB126_2939
; %bb.2938:
	global_load_b32 v14, v[6:7], off
.LBB126_2939:
	s_mov_b32 s22, 0
.LBB126_2940:
	s_delay_alu instid0(SALU_CYCLE_1)
	s_and_not1_b32 vcc_lo, exec_lo, s22
	s_cbranch_vccnz .LBB126_2942
; %bb.2941:
	global_load_b32 v1, v[6:7], off
	s_wait_loadcnt 0x0
	v_cvt_f32_f16_e32 v14, v1
.LBB126_2942:
	s_mov_b32 s22, 0
.LBB126_2943:
	s_delay_alu instid0(SALU_CYCLE_1)
	s_and_not1_b32 vcc_lo, exec_lo, s22
	s_cbranch_vccnz .LBB126_2954
; %bb.2944:
	s_cmp_lt_i32 s15, 6
	s_cbranch_scc1 .LBB126_2947
; %bb.2945:
	s_cmp_gt_i32 s15, 6
	s_cbranch_scc0 .LBB126_2948
; %bb.2946:
	global_load_b64 v[16:17], v[6:7], off
	s_mov_b32 s22, 0
	s_wait_loadcnt 0x0
	v_cvt_f32_f64_e32 v14, v[16:17]
	s_branch .LBB126_2949
.LBB126_2947:
	s_mov_b32 s22, -1
                                        ; implicit-def: $vgpr14
	s_branch .LBB126_2952
.LBB126_2948:
	s_mov_b32 s22, -1
                                        ; implicit-def: $vgpr14
.LBB126_2949:
	s_delay_alu instid0(SALU_CYCLE_1)
	s_and_not1_b32 vcc_lo, exec_lo, s22
	s_cbranch_vccnz .LBB126_2951
; %bb.2950:
	s_wait_loadcnt 0x0
	global_load_b32 v14, v[6:7], off
.LBB126_2951:
	s_mov_b32 s22, 0
.LBB126_2952:
	s_delay_alu instid0(SALU_CYCLE_1)
	s_and_not1_b32 vcc_lo, exec_lo, s22
	s_cbranch_vccnz .LBB126_2954
; %bb.2953:
	global_load_u16 v1, v[6:7], off
	s_wait_loadcnt 0x0
	v_cvt_f32_f16_e32 v14, v1
.LBB126_2954:
	s_mov_b32 s22, 0
.LBB126_2955:
	s_delay_alu instid0(SALU_CYCLE_1)
	s_and_not1_b32 vcc_lo, exec_lo, s22
	s_cbranch_vccnz .LBB126_2975
; %bb.2956:
	s_cmp_lt_i32 s15, 2
	s_cbranch_scc1 .LBB126_2960
; %bb.2957:
	s_cmp_lt_i32 s15, 3
	s_cbranch_scc1 .LBB126_2961
; %bb.2958:
	s_cmp_gt_i32 s15, 3
	s_cbranch_scc0 .LBB126_2962
; %bb.2959:
	global_load_b64 v[16:17], v[6:7], off
	s_mov_b32 s22, 0
	s_wait_loadcnt 0x0
	v_xor_b32_e32 v1, v16, v17
	v_cls_i32_e32 v3, v17
	s_delay_alu instid0(VALU_DEP_2) | instskip(NEXT) | instid1(VALU_DEP_1)
	v_ashrrev_i32_e32 v1, 31, v1
	v_add_nc_u32_e32 v1, 32, v1
	s_delay_alu instid0(VALU_DEP_1) | instskip(NEXT) | instid1(VALU_DEP_1)
	v_add_min_u32_e64 v1, v3, -1, v1
	v_lshlrev_b64_e32 v[16:17], v1, v[16:17]
	v_sub_nc_u32_e32 v1, 32, v1
	s_delay_alu instid0(VALU_DEP_2) | instskip(NEXT) | instid1(VALU_DEP_1)
	v_min_u32_e32 v3, 1, v16
	v_or_b32_e32 v3, v17, v3
	s_delay_alu instid0(VALU_DEP_1) | instskip(NEXT) | instid1(VALU_DEP_1)
	v_cvt_f32_i32_e32 v3, v3
	v_ldexp_f32 v14, v3, v1
	s_branch .LBB126_2963
.LBB126_2960:
	s_mov_b32 s22, -1
                                        ; implicit-def: $vgpr14
	s_branch .LBB126_2969
.LBB126_2961:
	s_mov_b32 s22, -1
                                        ; implicit-def: $vgpr14
	s_branch .LBB126_2966
.LBB126_2962:
	s_mov_b32 s22, -1
                                        ; implicit-def: $vgpr14
.LBB126_2963:
	s_delay_alu instid0(SALU_CYCLE_1)
	s_and_not1_b32 vcc_lo, exec_lo, s22
	s_cbranch_vccnz .LBB126_2965
; %bb.2964:
	global_load_b32 v1, v[6:7], off
	s_wait_loadcnt 0x0
	v_cvt_f32_i32_e32 v14, v1
.LBB126_2965:
	s_mov_b32 s22, 0
.LBB126_2966:
	s_delay_alu instid0(SALU_CYCLE_1)
	s_and_not1_b32 vcc_lo, exec_lo, s22
	s_cbranch_vccnz .LBB126_2968
; %bb.2967:
	global_load_i16 v1, v[6:7], off
	s_wait_loadcnt 0x0
	v_cvt_f32_i32_e32 v14, v1
.LBB126_2968:
	s_mov_b32 s22, 0
.LBB126_2969:
	s_delay_alu instid0(SALU_CYCLE_1)
	s_and_not1_b32 vcc_lo, exec_lo, s22
	s_cbranch_vccnz .LBB126_2975
; %bb.2970:
	s_cmp_gt_i32 s15, 0
	s_mov_b32 s15, 0
	s_cbranch_scc0 .LBB126_2972
; %bb.2971:
	global_load_i8 v1, v[6:7], off
	s_wait_loadcnt 0x0
	v_cvt_f32_i32_e32 v14, v1
	s_branch .LBB126_2973
.LBB126_2972:
	s_mov_b32 s15, -1
                                        ; implicit-def: $vgpr14
.LBB126_2973:
	s_delay_alu instid0(SALU_CYCLE_1)
	s_and_not1_b32 vcc_lo, exec_lo, s15
	s_cbranch_vccnz .LBB126_2975
; %bb.2974:
	global_load_u8 v1, v[6:7], off
	s_wait_loadcnt 0x0
	v_cvt_f32_ubyte0_e32 v14, v1
.LBB126_2975:
	s_mov_b32 s24, -1
.LBB126_2976:
	s_delay_alu instid0(SALU_CYCLE_1)
	s_and_not1_b32 vcc_lo, exec_lo, s24
	s_cbranch_vccnz .LBB126_4065
; %bb.2977:
	v_add_nc_u32_e32 v2, s13, v2
	s_cmp_lt_i32 s2, 11
	s_delay_alu instid0(VALU_DEP_1) | instskip(SKIP_1) | instid1(VALU_DEP_1)
	v_ashrrev_i32_e32 v3, 31, v2
	s_wait_xcnt 0x0
	v_add_nc_u64_e32 v[6:7], s[8:9], v[2:3]
	s_cbranch_scc1 .LBB126_2984
; %bb.2978:
	s_and_b32 s15, 0xffff, s2
	s_mov_b32 s23, 0
	s_cmp_gt_i32 s15, 25
	s_cbranch_scc0 .LBB126_2985
; %bb.2979:
	s_cmp_gt_i32 s15, 28
	s_cbranch_scc0 .LBB126_2986
; %bb.2980:
	;; [unrolled: 3-line block ×4, first 2 shown]
	s_cmp_eq_u32 s15, 46
	s_mov_b32 s25, 0
	s_cbranch_scc0 .LBB126_2990
; %bb.2983:
	global_load_b32 v1, v[6:7], off
	s_mov_b32 s22, 0
	s_mov_b32 s24, -1
	s_wait_loadcnt 0x0
	v_lshlrev_b32_e32 v16, 16, v1
	s_branch .LBB126_2992
.LBB126_2984:
	s_mov_b32 s15, -1
	s_mov_b32 s24, 0
                                        ; implicit-def: $vgpr16
	s_branch .LBB126_3058
.LBB126_2985:
	s_mov_b32 s25, -1
	s_mov_b32 s24, 0
	s_mov_b32 s22, 0
                                        ; implicit-def: $vgpr16
	s_branch .LBB126_3021
.LBB126_2986:
	s_mov_b32 s25, -1
	s_mov_b32 s24, 0
	s_mov_b32 s22, 0
                                        ; implicit-def: $vgpr16
	s_branch .LBB126_3002
.LBB126_2987:
	s_mov_b32 s25, -1
	s_mov_b32 s24, 0
	s_mov_b32 s22, 0
                                        ; implicit-def: $vgpr16
	s_branch .LBB126_2997
.LBB126_2988:
	s_or_b32 s3, s3, exec_lo
	s_trap 2
	s_cbranch_execz .LBB126_2925
	s_branch .LBB126_2926
.LBB126_2989:
	s_mov_b32 s25, -1
	s_mov_b32 s24, 0
	s_mov_b32 s22, 0
	s_branch .LBB126_2991
.LBB126_2990:
	s_mov_b32 s22, -1
	s_mov_b32 s24, 0
.LBB126_2991:
                                        ; implicit-def: $vgpr16
.LBB126_2992:
	s_and_b32 vcc_lo, exec_lo, s25
	s_cbranch_vccz .LBB126_2996
; %bb.2993:
	s_cmp_eq_u32 s15, 44
	s_cbranch_scc0 .LBB126_2995
; %bb.2994:
	global_load_u8 v1, v[6:7], off
	s_mov_b32 s22, 0
	s_mov_b32 s24, -1
	s_wait_loadcnt 0x0
	v_lshlrev_b32_e32 v3, 23, v1
	v_cmp_ne_u32_e32 vcc_lo, 0xff, v1
	s_delay_alu instid0(VALU_DEP_2) | instskip(SKIP_1) | instid1(VALU_DEP_2)
	v_cndmask_b32_e32 v3, 0x7f800001, v3, vcc_lo
	v_cmp_ne_u32_e32 vcc_lo, 0, v1
	v_cndmask_b32_e32 v16, 0x400000, v3, vcc_lo
	s_branch .LBB126_2996
.LBB126_2995:
	s_mov_b32 s22, -1
                                        ; implicit-def: $vgpr16
.LBB126_2996:
	s_mov_b32 s25, 0
.LBB126_2997:
	s_delay_alu instid0(SALU_CYCLE_1)
	s_and_b32 vcc_lo, exec_lo, s25
	s_cbranch_vccz .LBB126_3001
; %bb.2998:
	s_cmp_eq_u32 s15, 29
	s_cbranch_scc0 .LBB126_3000
; %bb.2999:
	global_load_b64 v[16:17], v[6:7], off
	s_mov_b32 s22, 0
	s_mov_b32 s24, -1
	s_mov_b32 s25, 0
	s_wait_loadcnt 0x0
	v_clz_i32_u32_e32 v1, v17
	s_delay_alu instid0(VALU_DEP_1) | instskip(NEXT) | instid1(VALU_DEP_1)
	v_min_u32_e32 v1, 32, v1
	v_lshlrev_b64_e32 v[16:17], v1, v[16:17]
	v_sub_nc_u32_e32 v1, 32, v1
	s_delay_alu instid0(VALU_DEP_2) | instskip(NEXT) | instid1(VALU_DEP_1)
	v_min_u32_e32 v3, 1, v16
	v_or_b32_e32 v3, v17, v3
	s_delay_alu instid0(VALU_DEP_1) | instskip(NEXT) | instid1(VALU_DEP_1)
	v_cvt_f32_u32_e32 v3, v3
	v_ldexp_f32 v16, v3, v1
	s_branch .LBB126_3002
.LBB126_3000:
	s_mov_b32 s22, -1
                                        ; implicit-def: $vgpr16
.LBB126_3001:
	s_mov_b32 s25, 0
.LBB126_3002:
	s_delay_alu instid0(SALU_CYCLE_1)
	s_and_b32 vcc_lo, exec_lo, s25
	s_cbranch_vccz .LBB126_3020
; %bb.3003:
	s_cmp_lt_i32 s15, 27
	s_cbranch_scc1 .LBB126_3006
; %bb.3004:
	s_cmp_gt_i32 s15, 27
	s_cbranch_scc0 .LBB126_3007
; %bb.3005:
	global_load_b32 v1, v[6:7], off
	s_mov_b32 s24, 0
	s_wait_loadcnt 0x0
	v_cvt_f32_u32_e32 v16, v1
	s_branch .LBB126_3008
.LBB126_3006:
	s_mov_b32 s24, -1
                                        ; implicit-def: $vgpr16
	s_branch .LBB126_3011
.LBB126_3007:
	s_mov_b32 s24, -1
                                        ; implicit-def: $vgpr16
.LBB126_3008:
	s_delay_alu instid0(SALU_CYCLE_1)
	s_and_not1_b32 vcc_lo, exec_lo, s24
	s_cbranch_vccnz .LBB126_3010
; %bb.3009:
	global_load_u16 v1, v[6:7], off
	s_wait_loadcnt 0x0
	v_cvt_f32_u32_e32 v16, v1
.LBB126_3010:
	s_mov_b32 s24, 0
.LBB126_3011:
	s_delay_alu instid0(SALU_CYCLE_1)
	s_and_not1_b32 vcc_lo, exec_lo, s24
	s_cbranch_vccnz .LBB126_3019
; %bb.3012:
	global_load_u8 v1, v[6:7], off
	s_mov_b32 s24, 0
	s_mov_b32 s25, exec_lo
	s_wait_loadcnt 0x0
	v_cmpx_lt_i16_e32 0x7f, v1
	s_xor_b32 s25, exec_lo, s25
	s_cbranch_execz .LBB126_3033
; %bb.3013:
	s_mov_b32 s24, -1
	s_mov_b32 s26, exec_lo
	v_cmpx_eq_u16_e32 0x80, v1
; %bb.3014:
	s_xor_b32 s24, exec_lo, -1
; %bb.3015:
	s_or_b32 exec_lo, exec_lo, s26
	s_delay_alu instid0(SALU_CYCLE_1)
	s_and_b32 s24, s24, exec_lo
	s_or_saveexec_b32 s25, s25
	v_mov_b32_e32 v16, 0x7f800001
	s_xor_b32 exec_lo, exec_lo, s25
	s_cbranch_execnz .LBB126_3034
.LBB126_3016:
	s_or_b32 exec_lo, exec_lo, s25
	s_and_saveexec_b32 s25, s24
	s_cbranch_execz .LBB126_3018
.LBB126_3017:
	v_and_b32_e32 v3, 0xffff, v1
	s_delay_alu instid0(VALU_DEP_1) | instskip(SKIP_1) | instid1(VALU_DEP_2)
	v_and_b32_e32 v5, 7, v3
	v_bfe_u32 v18, v3, 3, 4
	v_clz_i32_u32_e32 v16, v5
	s_delay_alu instid0(VALU_DEP_2) | instskip(NEXT) | instid1(VALU_DEP_2)
	v_cmp_eq_u32_e32 vcc_lo, 0, v18
	v_min_u32_e32 v16, 32, v16
	s_delay_alu instid0(VALU_DEP_1) | instskip(NEXT) | instid1(VALU_DEP_1)
	v_subrev_nc_u32_e32 v17, 28, v16
	v_dual_lshlrev_b32 v3, v17, v3 :: v_dual_sub_nc_u32 v16, 29, v16
	s_delay_alu instid0(VALU_DEP_1) | instskip(NEXT) | instid1(VALU_DEP_1)
	v_dual_lshlrev_b32 v1, 24, v1 :: v_dual_bitop2_b32 v3, 7, v3 bitop3:0x40
	v_dual_cndmask_b32 v16, v18, v16 :: v_dual_cndmask_b32 v3, v5, v3
	s_delay_alu instid0(VALU_DEP_2) | instskip(NEXT) | instid1(VALU_DEP_2)
	v_and_b32_e32 v1, 0x80000000, v1
	v_lshl_add_u32 v5, v16, 23, 0x3b800000
	s_delay_alu instid0(VALU_DEP_3) | instskip(NEXT) | instid1(VALU_DEP_1)
	v_lshlrev_b32_e32 v3, 20, v3
	v_or3_b32 v16, v1, v5, v3
.LBB126_3018:
	s_or_b32 exec_lo, exec_lo, s25
.LBB126_3019:
	s_mov_b32 s24, -1
.LBB126_3020:
	s_mov_b32 s25, 0
.LBB126_3021:
	s_delay_alu instid0(SALU_CYCLE_1)
	s_and_b32 vcc_lo, exec_lo, s25
	s_cbranch_vccz .LBB126_3054
; %bb.3022:
	s_cmp_gt_i32 s15, 22
	s_cbranch_scc0 .LBB126_3032
; %bb.3023:
	s_cmp_lt_i32 s15, 24
	s_cbranch_scc1 .LBB126_3035
; %bb.3024:
	s_cmp_gt_i32 s15, 24
	s_cbranch_scc0 .LBB126_3036
; %bb.3025:
	global_load_u8 v1, v[6:7], off
	s_mov_b32 s24, exec_lo
	s_wait_loadcnt 0x0
	v_cmpx_lt_i16_e32 0x7f, v1
	s_xor_b32 s24, exec_lo, s24
	s_cbranch_execz .LBB126_3048
; %bb.3026:
	s_mov_b32 s23, -1
	s_mov_b32 s25, exec_lo
	v_cmpx_eq_u16_e32 0x80, v1
; %bb.3027:
	s_xor_b32 s23, exec_lo, -1
; %bb.3028:
	s_or_b32 exec_lo, exec_lo, s25
	s_delay_alu instid0(SALU_CYCLE_1)
	s_and_b32 s23, s23, exec_lo
	s_or_saveexec_b32 s24, s24
	v_mov_b32_e32 v16, 0x7f800001
	s_xor_b32 exec_lo, exec_lo, s24
	s_cbranch_execnz .LBB126_3049
.LBB126_3029:
	s_or_b32 exec_lo, exec_lo, s24
	s_and_saveexec_b32 s24, s23
	s_cbranch_execz .LBB126_3031
.LBB126_3030:
	v_and_b32_e32 v3, 0xffff, v1
	s_delay_alu instid0(VALU_DEP_1) | instskip(SKIP_1) | instid1(VALU_DEP_2)
	v_and_b32_e32 v5, 3, v3
	v_bfe_u32 v18, v3, 2, 5
	v_clz_i32_u32_e32 v16, v5
	s_delay_alu instid0(VALU_DEP_2) | instskip(NEXT) | instid1(VALU_DEP_2)
	v_cmp_eq_u32_e32 vcc_lo, 0, v18
	v_min_u32_e32 v16, 32, v16
	s_delay_alu instid0(VALU_DEP_1) | instskip(NEXT) | instid1(VALU_DEP_1)
	v_subrev_nc_u32_e32 v17, 29, v16
	v_dual_lshlrev_b32 v3, v17, v3 :: v_dual_sub_nc_u32 v16, 30, v16
	s_delay_alu instid0(VALU_DEP_1) | instskip(NEXT) | instid1(VALU_DEP_1)
	v_dual_lshlrev_b32 v1, 24, v1 :: v_dual_bitop2_b32 v3, 3, v3 bitop3:0x40
	v_dual_cndmask_b32 v16, v18, v16 :: v_dual_cndmask_b32 v3, v5, v3
	s_delay_alu instid0(VALU_DEP_2) | instskip(NEXT) | instid1(VALU_DEP_2)
	v_and_b32_e32 v1, 0x80000000, v1
	v_lshl_add_u32 v5, v16, 23, 0x37800000
	s_delay_alu instid0(VALU_DEP_3) | instskip(NEXT) | instid1(VALU_DEP_1)
	v_lshlrev_b32_e32 v3, 21, v3
	v_or3_b32 v16, v1, v5, v3
.LBB126_3031:
	s_or_b32 exec_lo, exec_lo, s24
	s_mov_b32 s23, 0
	s_branch .LBB126_3037
.LBB126_3032:
	s_mov_b32 s23, -1
                                        ; implicit-def: $vgpr16
	s_branch .LBB126_3043
.LBB126_3033:
	s_or_saveexec_b32 s25, s25
	v_mov_b32_e32 v16, 0x7f800001
	s_xor_b32 exec_lo, exec_lo, s25
	s_cbranch_execz .LBB126_3016
.LBB126_3034:
	v_cmp_ne_u16_e32 vcc_lo, 0, v1
	v_mov_b32_e32 v16, 0
	s_and_not1_b32 s24, s24, exec_lo
	s_and_b32 s26, vcc_lo, exec_lo
	s_delay_alu instid0(SALU_CYCLE_1)
	s_or_b32 s24, s24, s26
	s_or_b32 exec_lo, exec_lo, s25
	s_and_saveexec_b32 s25, s24
	s_cbranch_execnz .LBB126_3017
	s_branch .LBB126_3018
.LBB126_3035:
	s_mov_b32 s23, -1
                                        ; implicit-def: $vgpr16
	s_branch .LBB126_3040
.LBB126_3036:
	s_mov_b32 s23, -1
                                        ; implicit-def: $vgpr16
.LBB126_3037:
	s_delay_alu instid0(SALU_CYCLE_1)
	s_and_b32 vcc_lo, exec_lo, s23
	s_cbranch_vccz .LBB126_3039
; %bb.3038:
	global_load_u8 v1, v[6:7], off
	s_wait_loadcnt 0x0
	v_lshlrev_b32_e32 v1, 24, v1
	s_delay_alu instid0(VALU_DEP_1) | instskip(NEXT) | instid1(VALU_DEP_1)
	v_and_b32_e32 v3, 0x7f000000, v1
	v_clz_i32_u32_e32 v5, v3
	v_add_nc_u32_e32 v17, 0x1000000, v3
	v_cmp_ne_u32_e32 vcc_lo, 0, v3
	s_delay_alu instid0(VALU_DEP_3) | instskip(NEXT) | instid1(VALU_DEP_1)
	v_min_u32_e32 v5, 32, v5
	v_sub_nc_u32_e64 v5, v5, 4 clamp
	s_delay_alu instid0(VALU_DEP_1) | instskip(NEXT) | instid1(VALU_DEP_1)
	v_dual_lshlrev_b32 v16, v5, v3 :: v_dual_lshlrev_b32 v5, 23, v5
	v_lshrrev_b32_e32 v16, 4, v16
	s_delay_alu instid0(VALU_DEP_1) | instskip(SKIP_1) | instid1(VALU_DEP_2)
	v_sub_nc_u32_e32 v5, v16, v5
	v_ashrrev_i32_e32 v16, 8, v17
	v_add_nc_u32_e32 v5, 0x3c000000, v5
	s_delay_alu instid0(VALU_DEP_1) | instskip(NEXT) | instid1(VALU_DEP_1)
	v_and_or_b32 v5, 0x7f800000, v16, v5
	v_cndmask_b32_e32 v3, 0, v5, vcc_lo
	s_delay_alu instid0(VALU_DEP_1)
	v_and_or_b32 v16, 0x80000000, v1, v3
.LBB126_3039:
	s_mov_b32 s23, 0
.LBB126_3040:
	s_delay_alu instid0(SALU_CYCLE_1)
	s_and_not1_b32 vcc_lo, exec_lo, s23
	s_cbranch_vccnz .LBB126_3042
; %bb.3041:
	global_load_u8 v1, v[6:7], off
	s_wait_loadcnt 0x0
	v_lshlrev_b32_e32 v3, 25, v1
	v_lshlrev_b16 v1, 8, v1
	s_delay_alu instid0(VALU_DEP_1) | instskip(SKIP_1) | instid1(VALU_DEP_2)
	v_and_or_b32 v16, 0x7f00, v1, 0.5
	v_bfe_i32 v1, v1, 0, 16
	v_dual_add_f32 v16, -0.5, v16 :: v_dual_lshrrev_b32 v5, 4, v3
	v_cmp_gt_u32_e32 vcc_lo, 0x8000000, v3
	s_delay_alu instid0(VALU_DEP_2) | instskip(NEXT) | instid1(VALU_DEP_1)
	v_or_b32_e32 v5, 0x70000000, v5
	v_mul_f32_e32 v5, 0x7800000, v5
	s_delay_alu instid0(VALU_DEP_1) | instskip(NEXT) | instid1(VALU_DEP_1)
	v_cndmask_b32_e32 v3, v5, v16, vcc_lo
	v_and_or_b32 v16, 0x80000000, v1, v3
.LBB126_3042:
	s_mov_b32 s23, 0
	s_mov_b32 s24, -1
.LBB126_3043:
	s_and_not1_b32 vcc_lo, exec_lo, s23
	s_mov_b32 s23, 0
	s_cbranch_vccnz .LBB126_3054
; %bb.3044:
	s_cmp_gt_i32 s15, 14
	s_cbranch_scc0 .LBB126_3047
; %bb.3045:
	s_cmp_eq_u32 s15, 15
	s_cbranch_scc0 .LBB126_3050
; %bb.3046:
	global_load_u16 v1, v[6:7], off
	s_mov_b32 s22, 0
	s_mov_b32 s24, -1
	s_wait_loadcnt 0x0
	v_lshlrev_b32_e32 v16, 16, v1
	s_branch .LBB126_3052
.LBB126_3047:
	s_mov_b32 s23, -1
	s_branch .LBB126_3051
.LBB126_3048:
	s_or_saveexec_b32 s24, s24
	v_mov_b32_e32 v16, 0x7f800001
	s_xor_b32 exec_lo, exec_lo, s24
	s_cbranch_execz .LBB126_3029
.LBB126_3049:
	v_cmp_ne_u16_e32 vcc_lo, 0, v1
	v_mov_b32_e32 v16, 0
	s_and_not1_b32 s23, s23, exec_lo
	s_and_b32 s25, vcc_lo, exec_lo
	s_delay_alu instid0(SALU_CYCLE_1)
	s_or_b32 s23, s23, s25
	s_or_b32 exec_lo, exec_lo, s24
	s_and_saveexec_b32 s24, s23
	s_cbranch_execnz .LBB126_3030
	s_branch .LBB126_3031
.LBB126_3050:
	s_mov_b32 s22, -1
.LBB126_3051:
                                        ; implicit-def: $vgpr16
.LBB126_3052:
	s_and_b32 vcc_lo, exec_lo, s23
	s_mov_b32 s23, 0
	s_cbranch_vccz .LBB126_3054
; %bb.3053:
	s_cmp_lg_u32 s15, 11
	s_mov_b32 s23, -1
	s_cselect_b32 s22, -1, 0
.LBB126_3054:
	s_delay_alu instid0(SALU_CYCLE_1)
	s_and_b32 vcc_lo, exec_lo, s22
	s_cbranch_vccnz .LBB126_3119
; %bb.3055:
	s_and_not1_b32 vcc_lo, exec_lo, s23
	s_cbranch_vccnz .LBB126_3057
.LBB126_3056:
	global_load_u8 v1, v[6:7], off
	s_mov_b32 s24, -1
	s_wait_loadcnt 0x0
	v_cmp_ne_u16_e32 vcc_lo, 0, v1
	v_cndmask_b32_e64 v16, 0, 1.0, vcc_lo
.LBB126_3057:
	s_mov_b32 s15, 0
.LBB126_3058:
	s_delay_alu instid0(SALU_CYCLE_1)
	s_and_b32 vcc_lo, exec_lo, s15
	s_cbranch_vccz .LBB126_3107
; %bb.3059:
	s_and_b32 s15, 0xffff, s2
	s_delay_alu instid0(SALU_CYCLE_1)
	s_cmp_lt_i32 s15, 5
	s_cbranch_scc1 .LBB126_3064
; %bb.3060:
	s_cmp_lt_i32 s15, 8
	s_cbranch_scc1 .LBB126_3065
; %bb.3061:
	;; [unrolled: 3-line block ×3, first 2 shown]
	s_cmp_gt_i32 s15, 9
	s_cbranch_scc0 .LBB126_3067
; %bb.3063:
	global_load_b64 v[16:17], v[6:7], off
	s_mov_b32 s22, 0
	s_wait_loadcnt 0x0
	v_cvt_f32_f64_e32 v16, v[16:17]
	s_branch .LBB126_3068
.LBB126_3064:
	s_mov_b32 s22, -1
                                        ; implicit-def: $vgpr16
	s_branch .LBB126_3086
.LBB126_3065:
	s_mov_b32 s22, -1
                                        ; implicit-def: $vgpr16
	s_branch .LBB126_3074
.LBB126_3066:
	s_mov_b32 s22, -1
                                        ; implicit-def: $vgpr16
	s_branch .LBB126_3071
.LBB126_3067:
	s_mov_b32 s22, -1
                                        ; implicit-def: $vgpr16
.LBB126_3068:
	s_delay_alu instid0(SALU_CYCLE_1)
	s_and_not1_b32 vcc_lo, exec_lo, s22
	s_cbranch_vccnz .LBB126_3070
; %bb.3069:
	global_load_b32 v16, v[6:7], off
.LBB126_3070:
	s_mov_b32 s22, 0
.LBB126_3071:
	s_delay_alu instid0(SALU_CYCLE_1)
	s_and_not1_b32 vcc_lo, exec_lo, s22
	s_cbranch_vccnz .LBB126_3073
; %bb.3072:
	global_load_b32 v1, v[6:7], off
	s_wait_loadcnt 0x0
	v_cvt_f32_f16_e32 v16, v1
.LBB126_3073:
	s_mov_b32 s22, 0
.LBB126_3074:
	s_delay_alu instid0(SALU_CYCLE_1)
	s_and_not1_b32 vcc_lo, exec_lo, s22
	s_cbranch_vccnz .LBB126_3085
; %bb.3075:
	s_cmp_lt_i32 s15, 6
	s_cbranch_scc1 .LBB126_3078
; %bb.3076:
	s_cmp_gt_i32 s15, 6
	s_cbranch_scc0 .LBB126_3079
; %bb.3077:
	s_wait_loadcnt 0x0
	global_load_b64 v[16:17], v[6:7], off
	s_mov_b32 s22, 0
	s_wait_loadcnt 0x0
	v_cvt_f32_f64_e32 v16, v[16:17]
	s_branch .LBB126_3080
.LBB126_3078:
	s_mov_b32 s22, -1
                                        ; implicit-def: $vgpr16
	s_branch .LBB126_3083
.LBB126_3079:
	s_mov_b32 s22, -1
                                        ; implicit-def: $vgpr16
.LBB126_3080:
	s_delay_alu instid0(SALU_CYCLE_1)
	s_and_not1_b32 vcc_lo, exec_lo, s22
	s_cbranch_vccnz .LBB126_3082
; %bb.3081:
	s_wait_loadcnt 0x0
	global_load_b32 v16, v[6:7], off
.LBB126_3082:
	s_mov_b32 s22, 0
.LBB126_3083:
	s_delay_alu instid0(SALU_CYCLE_1)
	s_and_not1_b32 vcc_lo, exec_lo, s22
	s_cbranch_vccnz .LBB126_3085
; %bb.3084:
	global_load_u16 v1, v[6:7], off
	s_wait_loadcnt 0x0
	v_cvt_f32_f16_e32 v16, v1
.LBB126_3085:
	s_mov_b32 s22, 0
.LBB126_3086:
	s_delay_alu instid0(SALU_CYCLE_1)
	s_and_not1_b32 vcc_lo, exec_lo, s22
	s_cbranch_vccnz .LBB126_3106
; %bb.3087:
	s_cmp_lt_i32 s15, 2
	s_cbranch_scc1 .LBB126_3091
; %bb.3088:
	s_cmp_lt_i32 s15, 3
	s_cbranch_scc1 .LBB126_3092
; %bb.3089:
	s_cmp_gt_i32 s15, 3
	s_cbranch_scc0 .LBB126_3093
; %bb.3090:
	s_wait_loadcnt 0x0
	global_load_b64 v[16:17], v[6:7], off
	s_mov_b32 s22, 0
	s_wait_loadcnt 0x0
	v_xor_b32_e32 v1, v16, v17
	v_cls_i32_e32 v3, v17
	s_delay_alu instid0(VALU_DEP_2) | instskip(NEXT) | instid1(VALU_DEP_1)
	v_ashrrev_i32_e32 v1, 31, v1
	v_add_nc_u32_e32 v1, 32, v1
	s_delay_alu instid0(VALU_DEP_1) | instskip(NEXT) | instid1(VALU_DEP_1)
	v_add_min_u32_e64 v1, v3, -1, v1
	v_lshlrev_b64_e32 v[16:17], v1, v[16:17]
	v_sub_nc_u32_e32 v1, 32, v1
	s_delay_alu instid0(VALU_DEP_2) | instskip(NEXT) | instid1(VALU_DEP_1)
	v_min_u32_e32 v3, 1, v16
	v_or_b32_e32 v3, v17, v3
	s_delay_alu instid0(VALU_DEP_1) | instskip(NEXT) | instid1(VALU_DEP_1)
	v_cvt_f32_i32_e32 v3, v3
	v_ldexp_f32 v16, v3, v1
	s_branch .LBB126_3094
.LBB126_3091:
	s_mov_b32 s22, -1
                                        ; implicit-def: $vgpr16
	s_branch .LBB126_3100
.LBB126_3092:
	s_mov_b32 s22, -1
                                        ; implicit-def: $vgpr16
	s_branch .LBB126_3097
.LBB126_3093:
	s_mov_b32 s22, -1
                                        ; implicit-def: $vgpr16
.LBB126_3094:
	s_delay_alu instid0(SALU_CYCLE_1)
	s_and_not1_b32 vcc_lo, exec_lo, s22
	s_cbranch_vccnz .LBB126_3096
; %bb.3095:
	global_load_b32 v1, v[6:7], off
	s_wait_loadcnt 0x0
	v_cvt_f32_i32_e32 v16, v1
.LBB126_3096:
	s_mov_b32 s22, 0
.LBB126_3097:
	s_delay_alu instid0(SALU_CYCLE_1)
	s_and_not1_b32 vcc_lo, exec_lo, s22
	s_cbranch_vccnz .LBB126_3099
; %bb.3098:
	global_load_i16 v1, v[6:7], off
	s_wait_loadcnt 0x0
	v_cvt_f32_i32_e32 v16, v1
.LBB126_3099:
	s_mov_b32 s22, 0
.LBB126_3100:
	s_delay_alu instid0(SALU_CYCLE_1)
	s_and_not1_b32 vcc_lo, exec_lo, s22
	s_cbranch_vccnz .LBB126_3106
; %bb.3101:
	s_cmp_gt_i32 s15, 0
	s_mov_b32 s15, 0
	s_cbranch_scc0 .LBB126_3103
; %bb.3102:
	global_load_i8 v1, v[6:7], off
	s_wait_loadcnt 0x0
	v_cvt_f32_i32_e32 v16, v1
	s_branch .LBB126_3104
.LBB126_3103:
	s_mov_b32 s15, -1
                                        ; implicit-def: $vgpr16
.LBB126_3104:
	s_delay_alu instid0(SALU_CYCLE_1)
	s_and_not1_b32 vcc_lo, exec_lo, s15
	s_cbranch_vccnz .LBB126_3106
; %bb.3105:
	global_load_u8 v1, v[6:7], off
	s_wait_loadcnt 0x0
	v_cvt_f32_ubyte0_e32 v16, v1
.LBB126_3106:
	s_mov_b32 s24, -1
.LBB126_3107:
	s_delay_alu instid0(SALU_CYCLE_1)
	s_and_not1_b32 vcc_lo, exec_lo, s24
	s_cbranch_vccnz .LBB126_4065
; %bb.3108:
	v_add_nc_u32_e32 v4, s14, v4
	s_cmp_lt_i32 s0, 11
	s_delay_alu instid0(VALU_DEP_1) | instskip(SKIP_1) | instid1(VALU_DEP_1)
	v_ashrrev_i32_e32 v5, 31, v4
	s_wait_xcnt 0x0
	v_add_nc_u64_e32 v[6:7], s[10:11], v[4:5]
	s_cbranch_scc1 .LBB126_3115
; %bb.3109:
	s_cmp_gt_i32 s0, 25
	s_mov_b32 s22, 0
	s_cbranch_scc0 .LBB126_3116
; %bb.3110:
	s_cmp_gt_i32 s0, 28
	s_cbranch_scc0 .LBB126_3117
; %bb.3111:
	s_cmp_gt_i32 s0, 43
	;; [unrolled: 3-line block ×3, first 2 shown]
	s_cbranch_scc0 .LBB126_3120
; %bb.3113:
	s_cmp_eq_u32 s0, 46
	s_mov_b32 s24, 0
	s_cbranch_scc0 .LBB126_3121
; %bb.3114:
	global_load_b32 v1, v[6:7], off
	s_mov_b32 s15, 0
	s_mov_b32 s23, -1
	s_wait_loadcnt 0x0
	v_lshlrev_b32_e32 v17, 16, v1
	s_branch .LBB126_3123
.LBB126_3115:
	s_mov_b32 s15, -1
	s_mov_b32 s23, 0
                                        ; implicit-def: $vgpr17
	s_branch .LBB126_3189
.LBB126_3116:
	s_mov_b32 s24, -1
	s_mov_b32 s23, 0
	s_mov_b32 s15, 0
                                        ; implicit-def: $vgpr17
	s_branch .LBB126_3152
.LBB126_3117:
	s_mov_b32 s24, -1
	s_mov_b32 s23, 0
	s_mov_b32 s15, 0
                                        ; implicit-def: $vgpr17
	s_branch .LBB126_3133
.LBB126_3118:
	s_mov_b32 s24, -1
	s_mov_b32 s23, 0
	s_mov_b32 s15, 0
                                        ; implicit-def: $vgpr17
	s_branch .LBB126_3128
.LBB126_3119:
	s_or_b32 s3, s3, exec_lo
	s_trap 2
	s_cbranch_execz .LBB126_3056
	s_branch .LBB126_3057
.LBB126_3120:
	s_mov_b32 s24, -1
	s_mov_b32 s23, 0
	s_mov_b32 s15, 0
	s_branch .LBB126_3122
.LBB126_3121:
	s_mov_b32 s15, -1
	s_mov_b32 s23, 0
.LBB126_3122:
                                        ; implicit-def: $vgpr17
.LBB126_3123:
	s_and_b32 vcc_lo, exec_lo, s24
	s_cbranch_vccz .LBB126_3127
; %bb.3124:
	s_cmp_eq_u32 s0, 44
	s_cbranch_scc0 .LBB126_3126
; %bb.3125:
	global_load_u8 v1, v[6:7], off
	s_mov_b32 s15, 0
	s_mov_b32 s23, -1
	s_wait_loadcnt 0x0
	v_lshlrev_b32_e32 v3, 23, v1
	v_cmp_ne_u32_e32 vcc_lo, 0xff, v1
	s_delay_alu instid0(VALU_DEP_2) | instskip(SKIP_1) | instid1(VALU_DEP_2)
	v_cndmask_b32_e32 v3, 0x7f800001, v3, vcc_lo
	v_cmp_ne_u32_e32 vcc_lo, 0, v1
	v_cndmask_b32_e32 v17, 0x400000, v3, vcc_lo
	s_branch .LBB126_3127
.LBB126_3126:
	s_mov_b32 s15, -1
                                        ; implicit-def: $vgpr17
.LBB126_3127:
	s_mov_b32 s24, 0
.LBB126_3128:
	s_delay_alu instid0(SALU_CYCLE_1)
	s_and_b32 vcc_lo, exec_lo, s24
	s_cbranch_vccz .LBB126_3132
; %bb.3129:
	s_cmp_eq_u32 s0, 29
	s_cbranch_scc0 .LBB126_3131
; %bb.3130:
	global_load_b64 v[18:19], v[6:7], off
	s_mov_b32 s15, 0
	s_mov_b32 s23, -1
	s_mov_b32 s24, 0
	s_wait_loadcnt 0x0
	v_clz_i32_u32_e32 v1, v19
	s_delay_alu instid0(VALU_DEP_1) | instskip(NEXT) | instid1(VALU_DEP_1)
	v_min_u32_e32 v1, 32, v1
	v_lshlrev_b64_e32 v[18:19], v1, v[18:19]
	v_sub_nc_u32_e32 v1, 32, v1
	s_delay_alu instid0(VALU_DEP_2) | instskip(NEXT) | instid1(VALU_DEP_1)
	v_min_u32_e32 v3, 1, v18
	v_or_b32_e32 v3, v19, v3
	s_delay_alu instid0(VALU_DEP_1) | instskip(NEXT) | instid1(VALU_DEP_1)
	v_cvt_f32_u32_e32 v3, v3
	v_ldexp_f32 v17, v3, v1
	s_branch .LBB126_3133
.LBB126_3131:
	s_mov_b32 s15, -1
                                        ; implicit-def: $vgpr17
.LBB126_3132:
	s_mov_b32 s24, 0
.LBB126_3133:
	s_delay_alu instid0(SALU_CYCLE_1)
	s_and_b32 vcc_lo, exec_lo, s24
	s_cbranch_vccz .LBB126_3151
; %bb.3134:
	s_cmp_lt_i32 s0, 27
	s_cbranch_scc1 .LBB126_3137
; %bb.3135:
	s_cmp_gt_i32 s0, 27
	s_cbranch_scc0 .LBB126_3138
; %bb.3136:
	global_load_b32 v1, v[6:7], off
	s_mov_b32 s23, 0
	s_wait_loadcnt 0x0
	v_cvt_f32_u32_e32 v17, v1
	s_branch .LBB126_3139
.LBB126_3137:
	s_mov_b32 s23, -1
                                        ; implicit-def: $vgpr17
	s_branch .LBB126_3142
.LBB126_3138:
	s_mov_b32 s23, -1
                                        ; implicit-def: $vgpr17
.LBB126_3139:
	s_delay_alu instid0(SALU_CYCLE_1)
	s_and_not1_b32 vcc_lo, exec_lo, s23
	s_cbranch_vccnz .LBB126_3141
; %bb.3140:
	global_load_u16 v1, v[6:7], off
	s_wait_loadcnt 0x0
	v_cvt_f32_u32_e32 v17, v1
.LBB126_3141:
	s_mov_b32 s23, 0
.LBB126_3142:
	s_delay_alu instid0(SALU_CYCLE_1)
	s_and_not1_b32 vcc_lo, exec_lo, s23
	s_cbranch_vccnz .LBB126_3150
; %bb.3143:
	global_load_u8 v1, v[6:7], off
	s_mov_b32 s23, 0
	s_mov_b32 s24, exec_lo
	s_wait_loadcnt 0x0
	v_cmpx_lt_i16_e32 0x7f, v1
	s_xor_b32 s24, exec_lo, s24
	s_cbranch_execz .LBB126_3164
; %bb.3144:
	s_mov_b32 s23, -1
	s_mov_b32 s25, exec_lo
	v_cmpx_eq_u16_e32 0x80, v1
; %bb.3145:
	s_xor_b32 s23, exec_lo, -1
; %bb.3146:
	s_or_b32 exec_lo, exec_lo, s25
	s_delay_alu instid0(SALU_CYCLE_1)
	s_and_b32 s23, s23, exec_lo
	s_or_saveexec_b32 s24, s24
	v_mov_b32_e32 v17, 0x7f800001
	s_xor_b32 exec_lo, exec_lo, s24
	s_cbranch_execnz .LBB126_3165
.LBB126_3147:
	s_or_b32 exec_lo, exec_lo, s24
	s_and_saveexec_b32 s24, s23
	s_cbranch_execz .LBB126_3149
.LBB126_3148:
	v_and_b32_e32 v3, 0xffff, v1
	s_delay_alu instid0(VALU_DEP_1) | instskip(SKIP_1) | instid1(VALU_DEP_2)
	v_and_b32_e32 v5, 7, v3
	v_bfe_u32 v19, v3, 3, 4
	v_clz_i32_u32_e32 v17, v5
	s_delay_alu instid0(VALU_DEP_2) | instskip(NEXT) | instid1(VALU_DEP_2)
	v_cmp_eq_u32_e32 vcc_lo, 0, v19
	v_min_u32_e32 v17, 32, v17
	s_delay_alu instid0(VALU_DEP_1) | instskip(NEXT) | instid1(VALU_DEP_1)
	v_subrev_nc_u32_e32 v18, 28, v17
	v_dual_lshlrev_b32 v3, v18, v3 :: v_dual_sub_nc_u32 v17, 29, v17
	s_delay_alu instid0(VALU_DEP_1) | instskip(NEXT) | instid1(VALU_DEP_1)
	v_dual_lshlrev_b32 v1, 24, v1 :: v_dual_bitop2_b32 v3, 7, v3 bitop3:0x40
	v_dual_cndmask_b32 v3, v5, v3, vcc_lo :: v_dual_cndmask_b32 v17, v19, v17, vcc_lo
	s_delay_alu instid0(VALU_DEP_2) | instskip(NEXT) | instid1(VALU_DEP_2)
	v_and_b32_e32 v1, 0x80000000, v1
	v_lshlrev_b32_e32 v3, 20, v3
	s_delay_alu instid0(VALU_DEP_3) | instskip(NEXT) | instid1(VALU_DEP_1)
	v_lshl_add_u32 v5, v17, 23, 0x3b800000
	v_or3_b32 v17, v1, v5, v3
.LBB126_3149:
	s_or_b32 exec_lo, exec_lo, s24
.LBB126_3150:
	s_mov_b32 s23, -1
.LBB126_3151:
	s_mov_b32 s24, 0
.LBB126_3152:
	s_delay_alu instid0(SALU_CYCLE_1)
	s_and_b32 vcc_lo, exec_lo, s24
	s_cbranch_vccz .LBB126_3185
; %bb.3153:
	s_cmp_gt_i32 s0, 22
	s_cbranch_scc0 .LBB126_3163
; %bb.3154:
	s_cmp_lt_i32 s0, 24
	s_cbranch_scc1 .LBB126_3166
; %bb.3155:
	s_cmp_gt_i32 s0, 24
	s_cbranch_scc0 .LBB126_3167
; %bb.3156:
	global_load_u8 v1, v[6:7], off
	s_mov_b32 s23, exec_lo
	s_wait_loadcnt 0x0
	v_cmpx_lt_i16_e32 0x7f, v1
	s_xor_b32 s23, exec_lo, s23
	s_cbranch_execz .LBB126_3179
; %bb.3157:
	s_mov_b32 s22, -1
	s_mov_b32 s24, exec_lo
	v_cmpx_eq_u16_e32 0x80, v1
; %bb.3158:
	s_xor_b32 s22, exec_lo, -1
; %bb.3159:
	s_or_b32 exec_lo, exec_lo, s24
	s_delay_alu instid0(SALU_CYCLE_1)
	s_and_b32 s22, s22, exec_lo
	s_or_saveexec_b32 s23, s23
	v_mov_b32_e32 v17, 0x7f800001
	s_xor_b32 exec_lo, exec_lo, s23
	s_cbranch_execnz .LBB126_3180
.LBB126_3160:
	s_or_b32 exec_lo, exec_lo, s23
	s_and_saveexec_b32 s23, s22
	s_cbranch_execz .LBB126_3162
.LBB126_3161:
	v_and_b32_e32 v3, 0xffff, v1
	s_delay_alu instid0(VALU_DEP_1) | instskip(SKIP_1) | instid1(VALU_DEP_2)
	v_and_b32_e32 v5, 3, v3
	v_bfe_u32 v19, v3, 2, 5
	v_clz_i32_u32_e32 v17, v5
	s_delay_alu instid0(VALU_DEP_2) | instskip(NEXT) | instid1(VALU_DEP_2)
	v_cmp_eq_u32_e32 vcc_lo, 0, v19
	v_min_u32_e32 v17, 32, v17
	s_delay_alu instid0(VALU_DEP_1) | instskip(NEXT) | instid1(VALU_DEP_1)
	v_subrev_nc_u32_e32 v18, 29, v17
	v_dual_lshlrev_b32 v3, v18, v3 :: v_dual_sub_nc_u32 v17, 30, v17
	s_delay_alu instid0(VALU_DEP_1) | instskip(NEXT) | instid1(VALU_DEP_1)
	v_dual_lshlrev_b32 v1, 24, v1 :: v_dual_bitop2_b32 v3, 3, v3 bitop3:0x40
	v_dual_cndmask_b32 v3, v5, v3, vcc_lo :: v_dual_cndmask_b32 v17, v19, v17, vcc_lo
	s_delay_alu instid0(VALU_DEP_2) | instskip(NEXT) | instid1(VALU_DEP_2)
	v_and_b32_e32 v1, 0x80000000, v1
	v_lshlrev_b32_e32 v3, 21, v3
	s_delay_alu instid0(VALU_DEP_3) | instskip(NEXT) | instid1(VALU_DEP_1)
	v_lshl_add_u32 v5, v17, 23, 0x37800000
	v_or3_b32 v17, v1, v5, v3
.LBB126_3162:
	s_or_b32 exec_lo, exec_lo, s23
	s_mov_b32 s22, 0
	s_branch .LBB126_3168
.LBB126_3163:
	s_mov_b32 s22, -1
                                        ; implicit-def: $vgpr17
	s_branch .LBB126_3174
.LBB126_3164:
	s_or_saveexec_b32 s24, s24
	v_mov_b32_e32 v17, 0x7f800001
	s_xor_b32 exec_lo, exec_lo, s24
	s_cbranch_execz .LBB126_3147
.LBB126_3165:
	v_cmp_ne_u16_e32 vcc_lo, 0, v1
	v_mov_b32_e32 v17, 0
	s_and_not1_b32 s23, s23, exec_lo
	s_and_b32 s25, vcc_lo, exec_lo
	s_delay_alu instid0(SALU_CYCLE_1)
	s_or_b32 s23, s23, s25
	s_or_b32 exec_lo, exec_lo, s24
	s_and_saveexec_b32 s24, s23
	s_cbranch_execnz .LBB126_3148
	s_branch .LBB126_3149
.LBB126_3166:
	s_mov_b32 s22, -1
                                        ; implicit-def: $vgpr17
	s_branch .LBB126_3171
.LBB126_3167:
	s_mov_b32 s22, -1
                                        ; implicit-def: $vgpr17
.LBB126_3168:
	s_delay_alu instid0(SALU_CYCLE_1)
	s_and_b32 vcc_lo, exec_lo, s22
	s_cbranch_vccz .LBB126_3170
; %bb.3169:
	global_load_u8 v1, v[6:7], off
	s_wait_loadcnt 0x0
	v_lshlrev_b32_e32 v1, 24, v1
	s_delay_alu instid0(VALU_DEP_1) | instskip(NEXT) | instid1(VALU_DEP_1)
	v_and_b32_e32 v3, 0x7f000000, v1
	v_clz_i32_u32_e32 v5, v3
	v_cmp_ne_u32_e32 vcc_lo, 0, v3
	v_add_nc_u32_e32 v18, 0x1000000, v3
	s_delay_alu instid0(VALU_DEP_3) | instskip(NEXT) | instid1(VALU_DEP_1)
	v_min_u32_e32 v5, 32, v5
	v_sub_nc_u32_e64 v5, v5, 4 clamp
	s_delay_alu instid0(VALU_DEP_1) | instskip(NEXT) | instid1(VALU_DEP_1)
	v_dual_lshlrev_b32 v17, v5, v3 :: v_dual_lshlrev_b32 v5, 23, v5
	v_lshrrev_b32_e32 v17, 4, v17
	s_delay_alu instid0(VALU_DEP_1) | instskip(NEXT) | instid1(VALU_DEP_1)
	v_dual_sub_nc_u32 v5, v17, v5 :: v_dual_ashrrev_i32 v17, 8, v18
	v_add_nc_u32_e32 v5, 0x3c000000, v5
	s_delay_alu instid0(VALU_DEP_1) | instskip(NEXT) | instid1(VALU_DEP_1)
	v_and_or_b32 v5, 0x7f800000, v17, v5
	v_cndmask_b32_e32 v3, 0, v5, vcc_lo
	s_delay_alu instid0(VALU_DEP_1)
	v_and_or_b32 v17, 0x80000000, v1, v3
.LBB126_3170:
	s_mov_b32 s22, 0
.LBB126_3171:
	s_delay_alu instid0(SALU_CYCLE_1)
	s_and_not1_b32 vcc_lo, exec_lo, s22
	s_cbranch_vccnz .LBB126_3173
; %bb.3172:
	global_load_u8 v1, v[6:7], off
	s_wait_loadcnt 0x0
	v_lshlrev_b32_e32 v3, 25, v1
	v_lshlrev_b16 v1, 8, v1
	s_delay_alu instid0(VALU_DEP_2) | instskip(NEXT) | instid1(VALU_DEP_2)
	v_cmp_gt_u32_e32 vcc_lo, 0x8000000, v3
	v_and_or_b32 v17, 0x7f00, v1, 0.5
	v_lshrrev_b32_e32 v5, 4, v3
	v_bfe_i32 v1, v1, 0, 16
	s_delay_alu instid0(VALU_DEP_3) | instskip(NEXT) | instid1(VALU_DEP_3)
	v_add_f32_e32 v17, -0.5, v17
	v_or_b32_e32 v5, 0x70000000, v5
	s_delay_alu instid0(VALU_DEP_1) | instskip(NEXT) | instid1(VALU_DEP_1)
	v_mul_f32_e32 v5, 0x7800000, v5
	v_cndmask_b32_e32 v3, v5, v17, vcc_lo
	s_delay_alu instid0(VALU_DEP_1)
	v_and_or_b32 v17, 0x80000000, v1, v3
.LBB126_3173:
	s_mov_b32 s22, 0
	s_mov_b32 s23, -1
.LBB126_3174:
	s_and_not1_b32 vcc_lo, exec_lo, s22
	s_mov_b32 s22, 0
	s_cbranch_vccnz .LBB126_3185
; %bb.3175:
	s_cmp_gt_i32 s0, 14
	s_cbranch_scc0 .LBB126_3178
; %bb.3176:
	s_cmp_eq_u32 s0, 15
	s_cbranch_scc0 .LBB126_3181
; %bb.3177:
	global_load_u16 v1, v[6:7], off
	s_mov_b32 s15, 0
	s_mov_b32 s23, -1
	s_wait_loadcnt 0x0
	v_lshlrev_b32_e32 v17, 16, v1
	s_branch .LBB126_3183
.LBB126_3178:
	s_mov_b32 s22, -1
	s_branch .LBB126_3182
.LBB126_3179:
	s_or_saveexec_b32 s23, s23
	v_mov_b32_e32 v17, 0x7f800001
	s_xor_b32 exec_lo, exec_lo, s23
	s_cbranch_execz .LBB126_3160
.LBB126_3180:
	v_cmp_ne_u16_e32 vcc_lo, 0, v1
	v_mov_b32_e32 v17, 0
	s_and_not1_b32 s22, s22, exec_lo
	s_and_b32 s24, vcc_lo, exec_lo
	s_delay_alu instid0(SALU_CYCLE_1)
	s_or_b32 s22, s22, s24
	s_or_b32 exec_lo, exec_lo, s23
	s_and_saveexec_b32 s23, s22
	s_cbranch_execnz .LBB126_3161
	s_branch .LBB126_3162
.LBB126_3181:
	s_mov_b32 s15, -1
.LBB126_3182:
                                        ; implicit-def: $vgpr17
.LBB126_3183:
	s_and_b32 vcc_lo, exec_lo, s22
	s_mov_b32 s22, 0
	s_cbranch_vccz .LBB126_3185
; %bb.3184:
	s_cmp_lg_u32 s0, 11
	s_mov_b32 s22, -1
	s_cselect_b32 s15, -1, 0
.LBB126_3185:
	s_delay_alu instid0(SALU_CYCLE_1)
	s_and_b32 vcc_lo, exec_lo, s15
	s_cbranch_vccnz .LBB126_3250
; %bb.3186:
	s_and_not1_b32 vcc_lo, exec_lo, s22
	s_cbranch_vccnz .LBB126_3188
.LBB126_3187:
	global_load_u8 v1, v[6:7], off
	s_mov_b32 s23, -1
	s_wait_loadcnt 0x0
	v_cmp_ne_u16_e32 vcc_lo, 0, v1
	v_cndmask_b32_e64 v17, 0, 1.0, vcc_lo
.LBB126_3188:
	s_mov_b32 s15, 0
.LBB126_3189:
	s_delay_alu instid0(SALU_CYCLE_1)
	s_and_b32 vcc_lo, exec_lo, s15
	s_cbranch_vccz .LBB126_3238
; %bb.3190:
	s_cmp_lt_i32 s0, 5
	s_cbranch_scc1 .LBB126_3195
; %bb.3191:
	s_cmp_lt_i32 s0, 8
	s_cbranch_scc1 .LBB126_3196
	;; [unrolled: 3-line block ×3, first 2 shown]
; %bb.3193:
	s_cmp_gt_i32 s0, 9
	s_cbranch_scc0 .LBB126_3198
; %bb.3194:
	global_load_b64 v[18:19], v[6:7], off
	s_mov_b32 s15, 0
	s_wait_loadcnt 0x0
	v_cvt_f32_f64_e32 v17, v[18:19]
	s_branch .LBB126_3199
.LBB126_3195:
	s_mov_b32 s15, -1
                                        ; implicit-def: $vgpr17
	s_branch .LBB126_3217
.LBB126_3196:
	s_mov_b32 s15, -1
                                        ; implicit-def: $vgpr17
	s_branch .LBB126_3205
.LBB126_3197:
	s_mov_b32 s15, -1
                                        ; implicit-def: $vgpr17
	s_branch .LBB126_3202
.LBB126_3198:
	s_mov_b32 s15, -1
                                        ; implicit-def: $vgpr17
.LBB126_3199:
	s_delay_alu instid0(SALU_CYCLE_1)
	s_and_not1_b32 vcc_lo, exec_lo, s15
	s_cbranch_vccnz .LBB126_3201
; %bb.3200:
	global_load_b32 v17, v[6:7], off
.LBB126_3201:
	s_mov_b32 s15, 0
.LBB126_3202:
	s_delay_alu instid0(SALU_CYCLE_1)
	s_and_not1_b32 vcc_lo, exec_lo, s15
	s_cbranch_vccnz .LBB126_3204
; %bb.3203:
	global_load_b32 v1, v[6:7], off
	s_wait_loadcnt 0x0
	v_cvt_f32_f16_e32 v17, v1
.LBB126_3204:
	s_mov_b32 s15, 0
.LBB126_3205:
	s_delay_alu instid0(SALU_CYCLE_1)
	s_and_not1_b32 vcc_lo, exec_lo, s15
	s_cbranch_vccnz .LBB126_3216
; %bb.3206:
	s_cmp_lt_i32 s0, 6
	s_cbranch_scc1 .LBB126_3209
; %bb.3207:
	s_cmp_gt_i32 s0, 6
	s_cbranch_scc0 .LBB126_3210
; %bb.3208:
	global_load_b64 v[18:19], v[6:7], off
	s_mov_b32 s15, 0
	s_wait_loadcnt 0x0
	v_cvt_f32_f64_e32 v17, v[18:19]
	s_branch .LBB126_3211
.LBB126_3209:
	s_mov_b32 s15, -1
                                        ; implicit-def: $vgpr17
	s_branch .LBB126_3214
.LBB126_3210:
	s_mov_b32 s15, -1
                                        ; implicit-def: $vgpr17
.LBB126_3211:
	s_delay_alu instid0(SALU_CYCLE_1)
	s_and_not1_b32 vcc_lo, exec_lo, s15
	s_cbranch_vccnz .LBB126_3213
; %bb.3212:
	s_wait_loadcnt 0x0
	global_load_b32 v17, v[6:7], off
.LBB126_3213:
	s_mov_b32 s15, 0
.LBB126_3214:
	s_delay_alu instid0(SALU_CYCLE_1)
	s_and_not1_b32 vcc_lo, exec_lo, s15
	s_cbranch_vccnz .LBB126_3216
; %bb.3215:
	global_load_u16 v1, v[6:7], off
	s_wait_loadcnt 0x0
	v_cvt_f32_f16_e32 v17, v1
.LBB126_3216:
	s_mov_b32 s15, 0
.LBB126_3217:
	s_delay_alu instid0(SALU_CYCLE_1)
	s_and_not1_b32 vcc_lo, exec_lo, s15
	s_cbranch_vccnz .LBB126_3237
; %bb.3218:
	s_cmp_lt_i32 s0, 2
	s_cbranch_scc1 .LBB126_3222
; %bb.3219:
	s_cmp_lt_i32 s0, 3
	s_cbranch_scc1 .LBB126_3223
; %bb.3220:
	s_cmp_gt_i32 s0, 3
	s_cbranch_scc0 .LBB126_3224
; %bb.3221:
	global_load_b64 v[18:19], v[6:7], off
	s_mov_b32 s15, 0
	s_wait_loadcnt 0x0
	v_xor_b32_e32 v1, v18, v19
	v_cls_i32_e32 v3, v19
	s_delay_alu instid0(VALU_DEP_2) | instskip(NEXT) | instid1(VALU_DEP_1)
	v_ashrrev_i32_e32 v1, 31, v1
	v_add_nc_u32_e32 v1, 32, v1
	s_delay_alu instid0(VALU_DEP_1) | instskip(NEXT) | instid1(VALU_DEP_1)
	v_add_min_u32_e64 v1, v3, -1, v1
	v_lshlrev_b64_e32 v[18:19], v1, v[18:19]
	v_sub_nc_u32_e32 v1, 32, v1
	s_delay_alu instid0(VALU_DEP_2) | instskip(NEXT) | instid1(VALU_DEP_1)
	v_min_u32_e32 v3, 1, v18
	v_or_b32_e32 v3, v19, v3
	s_delay_alu instid0(VALU_DEP_1) | instskip(NEXT) | instid1(VALU_DEP_1)
	v_cvt_f32_i32_e32 v3, v3
	v_ldexp_f32 v17, v3, v1
	s_branch .LBB126_3225
.LBB126_3222:
	s_mov_b32 s15, -1
                                        ; implicit-def: $vgpr17
	s_branch .LBB126_3231
.LBB126_3223:
	s_mov_b32 s15, -1
                                        ; implicit-def: $vgpr17
	s_branch .LBB126_3228
.LBB126_3224:
	s_mov_b32 s15, -1
                                        ; implicit-def: $vgpr17
.LBB126_3225:
	s_delay_alu instid0(SALU_CYCLE_1)
	s_and_not1_b32 vcc_lo, exec_lo, s15
	s_cbranch_vccnz .LBB126_3227
; %bb.3226:
	global_load_b32 v1, v[6:7], off
	s_wait_loadcnt 0x0
	v_cvt_f32_i32_e32 v17, v1
.LBB126_3227:
	s_mov_b32 s15, 0
.LBB126_3228:
	s_delay_alu instid0(SALU_CYCLE_1)
	s_and_not1_b32 vcc_lo, exec_lo, s15
	s_cbranch_vccnz .LBB126_3230
; %bb.3229:
	global_load_i16 v1, v[6:7], off
	s_wait_loadcnt 0x0
	v_cvt_f32_i32_e32 v17, v1
.LBB126_3230:
	s_mov_b32 s15, 0
.LBB126_3231:
	s_delay_alu instid0(SALU_CYCLE_1)
	s_and_not1_b32 vcc_lo, exec_lo, s15
	s_cbranch_vccnz .LBB126_3237
; %bb.3232:
	s_cmp_gt_i32 s0, 0
	s_mov_b32 s15, 0
	s_cbranch_scc0 .LBB126_3234
; %bb.3233:
	global_load_i8 v1, v[6:7], off
	s_wait_loadcnt 0x0
	v_cvt_f32_i32_e32 v17, v1
	s_branch .LBB126_3235
.LBB126_3234:
	s_mov_b32 s15, -1
                                        ; implicit-def: $vgpr17
.LBB126_3235:
	s_delay_alu instid0(SALU_CYCLE_1)
	s_and_not1_b32 vcc_lo, exec_lo, s15
	s_cbranch_vccnz .LBB126_3237
; %bb.3236:
	global_load_u8 v1, v[6:7], off
	s_wait_loadcnt 0x0
	v_cvt_f32_ubyte0_e32 v17, v1
.LBB126_3237:
	s_mov_b32 s23, -1
.LBB126_3238:
	s_delay_alu instid0(SALU_CYCLE_1)
	s_and_not1_b32 vcc_lo, exec_lo, s23
	s_cbranch_vccnz .LBB126_4065
; %bb.3239:
	v_add_nc_u32_e32 v0, s1, v0
	s_cmp_lt_i32 s19, 11
	s_delay_alu instid0(VALU_DEP_1) | instskip(NEXT) | instid1(VALU_DEP_1)
	v_ashrrev_i32_e32 v1, 31, v0
	v_add_nc_u64_e32 v[0:1], s[6:7], v[0:1]
	s_cbranch_scc1 .LBB126_3246
; %bb.3240:
	s_and_b32 s1, 0xffff, s19
	s_mov_b32 s7, 0
	s_cmp_gt_i32 s1, 25
	s_cbranch_scc0 .LBB126_3247
; %bb.3241:
	s_cmp_gt_i32 s1, 28
	s_cbranch_scc0 .LBB126_3248
; %bb.3242:
	;; [unrolled: 3-line block ×4, first 2 shown]
	s_cmp_eq_u32 s1, 46
	s_mov_b32 s22, 0
	s_cbranch_scc0 .LBB126_3252
; %bb.3245:
	global_load_b32 v3, v[0:1], off
	s_mov_b32 s6, 0
	s_mov_b32 s15, -1
	s_wait_loadcnt 0x0
	s_wait_xcnt 0x1
	v_lshlrev_b32_e32 v6, 16, v3
	s_branch .LBB126_3254
.LBB126_3246:
	s_mov_b32 s1, -1
	s_mov_b32 s15, 0
                                        ; implicit-def: $vgpr6
	s_branch .LBB126_3320
.LBB126_3247:
	s_mov_b32 s22, -1
	s_mov_b32 s15, 0
	s_mov_b32 s6, 0
                                        ; implicit-def: $vgpr6
	s_branch .LBB126_3283
.LBB126_3248:
	s_mov_b32 s22, -1
	s_mov_b32 s15, 0
	s_mov_b32 s6, 0
                                        ; implicit-def: $vgpr6
	s_branch .LBB126_3264
.LBB126_3249:
	s_mov_b32 s22, -1
	s_mov_b32 s15, 0
	s_mov_b32 s6, 0
                                        ; implicit-def: $vgpr6
	s_branch .LBB126_3259
.LBB126_3250:
	s_or_b32 s3, s3, exec_lo
	s_trap 2
	s_cbranch_execz .LBB126_3187
	s_branch .LBB126_3188
.LBB126_3251:
	s_mov_b32 s22, -1
	s_mov_b32 s15, 0
	s_mov_b32 s6, 0
	s_branch .LBB126_3253
.LBB126_3252:
	s_mov_b32 s6, -1
	s_mov_b32 s15, 0
.LBB126_3253:
                                        ; implicit-def: $vgpr6
.LBB126_3254:
	s_and_b32 vcc_lo, exec_lo, s22
	s_cbranch_vccz .LBB126_3258
; %bb.3255:
	s_cmp_eq_u32 s1, 44
	s_cbranch_scc0 .LBB126_3257
; %bb.3256:
	global_load_u8 v3, v[0:1], off
	s_mov_b32 s6, 0
	s_mov_b32 s15, -1
	s_wait_loadcnt 0x0
	v_lshlrev_b32_e32 v5, 23, v3
	v_cmp_ne_u32_e32 vcc_lo, 0xff, v3
	s_delay_alu instid0(VALU_DEP_2) | instskip(SKIP_2) | instid1(VALU_DEP_2)
	v_cndmask_b32_e32 v5, 0x7f800001, v5, vcc_lo
	v_cmp_ne_u32_e32 vcc_lo, 0, v3
	s_wait_xcnt 0x1
	v_cndmask_b32_e32 v6, 0x400000, v5, vcc_lo
	s_branch .LBB126_3258
.LBB126_3257:
	s_mov_b32 s6, -1
                                        ; implicit-def: $vgpr6
.LBB126_3258:
	s_mov_b32 s22, 0
.LBB126_3259:
	s_delay_alu instid0(SALU_CYCLE_1)
	s_and_b32 vcc_lo, exec_lo, s22
	s_cbranch_vccz .LBB126_3263
; %bb.3260:
	s_cmp_eq_u32 s1, 29
	s_cbranch_scc0 .LBB126_3262
; %bb.3261:
	global_load_b64 v[6:7], v[0:1], off
	s_mov_b32 s6, 0
	s_mov_b32 s15, -1
	s_mov_b32 s22, 0
	s_wait_loadcnt 0x0
	v_clz_i32_u32_e32 v3, v7
	s_delay_alu instid0(VALU_DEP_1) | instskip(NEXT) | instid1(VALU_DEP_1)
	v_min_u32_e32 v3, 32, v3
	v_lshlrev_b64_e32 v[6:7], v3, v[6:7]
	v_sub_nc_u32_e32 v3, 32, v3
	s_delay_alu instid0(VALU_DEP_2) | instskip(NEXT) | instid1(VALU_DEP_1)
	v_min_u32_e32 v5, 1, v6
	v_or_b32_e32 v5, v7, v5
	s_delay_alu instid0(VALU_DEP_1) | instskip(NEXT) | instid1(VALU_DEP_1)
	v_cvt_f32_u32_e32 v5, v5
	v_ldexp_f32 v6, v5, v3
	s_branch .LBB126_3264
.LBB126_3262:
	s_mov_b32 s6, -1
                                        ; implicit-def: $vgpr6
.LBB126_3263:
	s_mov_b32 s22, 0
.LBB126_3264:
	s_delay_alu instid0(SALU_CYCLE_1)
	s_and_b32 vcc_lo, exec_lo, s22
	s_cbranch_vccz .LBB126_3282
; %bb.3265:
	s_cmp_lt_i32 s1, 27
	s_cbranch_scc1 .LBB126_3268
; %bb.3266:
	s_cmp_gt_i32 s1, 27
	s_cbranch_scc0 .LBB126_3269
; %bb.3267:
	global_load_b32 v3, v[0:1], off
	s_mov_b32 s15, 0
	s_wait_loadcnt 0x0
	s_wait_xcnt 0x1
	v_cvt_f32_u32_e32 v6, v3
	s_branch .LBB126_3270
.LBB126_3268:
	s_mov_b32 s15, -1
                                        ; implicit-def: $vgpr6
	s_branch .LBB126_3273
.LBB126_3269:
	s_mov_b32 s15, -1
                                        ; implicit-def: $vgpr6
.LBB126_3270:
	s_delay_alu instid0(SALU_CYCLE_1)
	s_and_not1_b32 vcc_lo, exec_lo, s15
	s_cbranch_vccnz .LBB126_3272
; %bb.3271:
	global_load_u16 v3, v[0:1], off
	s_wait_loadcnt 0x0
	s_wait_xcnt 0x1
	v_cvt_f32_u32_e32 v6, v3
.LBB126_3272:
	s_mov_b32 s15, 0
.LBB126_3273:
	s_delay_alu instid0(SALU_CYCLE_1)
	s_and_not1_b32 vcc_lo, exec_lo, s15
	s_cbranch_vccnz .LBB126_3281
; %bb.3274:
	global_load_u8 v3, v[0:1], off
	s_mov_b32 s15, 0
	s_mov_b32 s22, exec_lo
	s_wait_loadcnt 0x0
	v_cmpx_lt_i16_e32 0x7f, v3
	s_xor_b32 s22, exec_lo, s22
	s_cbranch_execz .LBB126_3295
; %bb.3275:
	s_mov_b32 s15, -1
	s_mov_b32 s23, exec_lo
	v_cmpx_eq_u16_e32 0x80, v3
; %bb.3276:
	s_xor_b32 s15, exec_lo, -1
; %bb.3277:
	s_or_b32 exec_lo, exec_lo, s23
	s_delay_alu instid0(SALU_CYCLE_1)
	s_and_b32 s15, s15, exec_lo
	s_or_saveexec_b32 s22, s22
	v_mov_b32_e32 v6, 0x7f800001
	s_xor_b32 exec_lo, exec_lo, s22
	s_cbranch_execnz .LBB126_3296
.LBB126_3278:
	s_or_b32 exec_lo, exec_lo, s22
	s_and_saveexec_b32 s22, s15
	s_cbranch_execz .LBB126_3280
.LBB126_3279:
	v_and_b32_e32 v5, 0xffff, v3
	s_delay_alu instid0(VALU_DEP_1) | instskip(SKIP_1) | instid1(VALU_DEP_2)
	v_and_b32_e32 v6, 7, v5
	v_bfe_u32 v19, v5, 3, 4
	v_clz_i32_u32_e32 v7, v6
	s_delay_alu instid0(VALU_DEP_2) | instskip(NEXT) | instid1(VALU_DEP_2)
	v_cmp_eq_u32_e32 vcc_lo, 0, v19
	v_min_u32_e32 v7, 32, v7
	s_delay_alu instid0(VALU_DEP_1) | instskip(NEXT) | instid1(VALU_DEP_1)
	v_subrev_nc_u32_e32 v18, 28, v7
	v_dual_lshlrev_b32 v5, v18, v5 :: v_dual_sub_nc_u32 v7, 29, v7
	s_delay_alu instid0(VALU_DEP_1) | instskip(NEXT) | instid1(VALU_DEP_1)
	v_dual_lshlrev_b32 v3, 24, v3 :: v_dual_bitop2_b32 v5, 7, v5 bitop3:0x40
	v_dual_cndmask_b32 v5, v6, v5, vcc_lo :: v_dual_cndmask_b32 v7, v19, v7, vcc_lo
	s_delay_alu instid0(VALU_DEP_2) | instskip(NEXT) | instid1(VALU_DEP_2)
	v_and_b32_e32 v3, 0x80000000, v3
	v_lshlrev_b32_e32 v5, 20, v5
	s_delay_alu instid0(VALU_DEP_3) | instskip(NEXT) | instid1(VALU_DEP_1)
	v_lshl_add_u32 v6, v7, 23, 0x3b800000
	v_or3_b32 v6, v3, v6, v5
.LBB126_3280:
	s_or_b32 exec_lo, exec_lo, s22
.LBB126_3281:
	s_mov_b32 s15, -1
.LBB126_3282:
	s_mov_b32 s22, 0
.LBB126_3283:
	s_delay_alu instid0(SALU_CYCLE_1)
	s_and_b32 vcc_lo, exec_lo, s22
	s_cbranch_vccz .LBB126_3316
; %bb.3284:
	s_cmp_gt_i32 s1, 22
	s_cbranch_scc0 .LBB126_3294
; %bb.3285:
	s_cmp_lt_i32 s1, 24
	s_cbranch_scc1 .LBB126_3297
; %bb.3286:
	s_cmp_gt_i32 s1, 24
	s_cbranch_scc0 .LBB126_3298
; %bb.3287:
	global_load_u8 v3, v[0:1], off
	s_mov_b32 s15, exec_lo
	s_wait_loadcnt 0x0
	v_cmpx_lt_i16_e32 0x7f, v3
	s_xor_b32 s15, exec_lo, s15
	s_cbranch_execz .LBB126_3310
; %bb.3288:
	s_mov_b32 s7, -1
	s_mov_b32 s22, exec_lo
	v_cmpx_eq_u16_e32 0x80, v3
; %bb.3289:
	s_xor_b32 s7, exec_lo, -1
; %bb.3290:
	s_or_b32 exec_lo, exec_lo, s22
	s_delay_alu instid0(SALU_CYCLE_1)
	s_and_b32 s7, s7, exec_lo
	s_or_saveexec_b32 s15, s15
	v_mov_b32_e32 v6, 0x7f800001
	s_xor_b32 exec_lo, exec_lo, s15
	s_cbranch_execnz .LBB126_3311
.LBB126_3291:
	s_or_b32 exec_lo, exec_lo, s15
	s_and_saveexec_b32 s15, s7
	s_cbranch_execz .LBB126_3293
.LBB126_3292:
	v_and_b32_e32 v5, 0xffff, v3
	s_delay_alu instid0(VALU_DEP_1) | instskip(SKIP_1) | instid1(VALU_DEP_2)
	v_and_b32_e32 v6, 3, v5
	v_bfe_u32 v19, v5, 2, 5
	v_clz_i32_u32_e32 v7, v6
	s_delay_alu instid0(VALU_DEP_2) | instskip(NEXT) | instid1(VALU_DEP_2)
	v_cmp_eq_u32_e32 vcc_lo, 0, v19
	v_min_u32_e32 v7, 32, v7
	s_delay_alu instid0(VALU_DEP_1) | instskip(NEXT) | instid1(VALU_DEP_1)
	v_subrev_nc_u32_e32 v18, 29, v7
	v_dual_lshlrev_b32 v5, v18, v5 :: v_dual_sub_nc_u32 v7, 30, v7
	s_delay_alu instid0(VALU_DEP_1) | instskip(NEXT) | instid1(VALU_DEP_1)
	v_dual_lshlrev_b32 v3, 24, v3 :: v_dual_bitop2_b32 v5, 3, v5 bitop3:0x40
	v_dual_cndmask_b32 v5, v6, v5, vcc_lo :: v_dual_cndmask_b32 v7, v19, v7, vcc_lo
	s_delay_alu instid0(VALU_DEP_2) | instskip(NEXT) | instid1(VALU_DEP_2)
	v_and_b32_e32 v3, 0x80000000, v3
	v_lshlrev_b32_e32 v5, 21, v5
	s_delay_alu instid0(VALU_DEP_3) | instskip(NEXT) | instid1(VALU_DEP_1)
	v_lshl_add_u32 v6, v7, 23, 0x37800000
	v_or3_b32 v6, v3, v6, v5
.LBB126_3293:
	s_or_b32 exec_lo, exec_lo, s15
	s_mov_b32 s7, 0
	s_branch .LBB126_3299
.LBB126_3294:
	s_mov_b32 s7, -1
                                        ; implicit-def: $vgpr6
	s_branch .LBB126_3305
.LBB126_3295:
	s_or_saveexec_b32 s22, s22
	v_mov_b32_e32 v6, 0x7f800001
	s_xor_b32 exec_lo, exec_lo, s22
	s_cbranch_execz .LBB126_3278
.LBB126_3296:
	v_cmp_ne_u16_e32 vcc_lo, 0, v3
	v_mov_b32_e32 v6, 0
	s_and_not1_b32 s15, s15, exec_lo
	s_and_b32 s23, vcc_lo, exec_lo
	s_delay_alu instid0(SALU_CYCLE_1)
	s_or_b32 s15, s15, s23
	s_or_b32 exec_lo, exec_lo, s22
	s_and_saveexec_b32 s22, s15
	s_cbranch_execnz .LBB126_3279
	s_branch .LBB126_3280
.LBB126_3297:
	s_mov_b32 s7, -1
                                        ; implicit-def: $vgpr6
	s_branch .LBB126_3302
.LBB126_3298:
	s_mov_b32 s7, -1
                                        ; implicit-def: $vgpr6
.LBB126_3299:
	s_delay_alu instid0(SALU_CYCLE_1)
	s_and_b32 vcc_lo, exec_lo, s7
	s_cbranch_vccz .LBB126_3301
; %bb.3300:
	global_load_u8 v3, v[0:1], off
	s_wait_loadcnt 0x0
	v_lshlrev_b32_e32 v3, 24, v3
	s_delay_alu instid0(VALU_DEP_1) | instskip(SKIP_1) | instid1(VALU_DEP_1)
	v_and_b32_e32 v5, 0x7f000000, v3
	s_wait_xcnt 0x1
	v_clz_i32_u32_e32 v6, v5
	v_cmp_ne_u32_e32 vcc_lo, 0, v5
	v_add_nc_u32_e32 v18, 0x1000000, v5
	s_delay_alu instid0(VALU_DEP_3) | instskip(NEXT) | instid1(VALU_DEP_1)
	v_min_u32_e32 v6, 32, v6
	v_sub_nc_u32_e64 v6, v6, 4 clamp
	s_delay_alu instid0(VALU_DEP_1) | instskip(NEXT) | instid1(VALU_DEP_1)
	v_dual_lshlrev_b32 v7, v6, v5 :: v_dual_lshlrev_b32 v6, 23, v6
	v_lshrrev_b32_e32 v7, 4, v7
	s_delay_alu instid0(VALU_DEP_1) | instskip(SKIP_1) | instid1(VALU_DEP_2)
	v_sub_nc_u32_e32 v6, v7, v6
	v_ashrrev_i32_e32 v7, 8, v18
	v_add_nc_u32_e32 v6, 0x3c000000, v6
	s_delay_alu instid0(VALU_DEP_1) | instskip(NEXT) | instid1(VALU_DEP_1)
	v_and_or_b32 v6, 0x7f800000, v7, v6
	v_cndmask_b32_e32 v5, 0, v6, vcc_lo
	s_delay_alu instid0(VALU_DEP_1)
	v_and_or_b32 v6, 0x80000000, v3, v5
.LBB126_3301:
	s_mov_b32 s7, 0
.LBB126_3302:
	s_delay_alu instid0(SALU_CYCLE_1)
	s_and_not1_b32 vcc_lo, exec_lo, s7
	s_cbranch_vccnz .LBB126_3304
; %bb.3303:
	global_load_u8 v3, v[0:1], off
	s_wait_loadcnt 0x0
	v_lshlrev_b32_e32 v5, 25, v3
	v_lshlrev_b16 v3, 8, v3
	s_wait_xcnt 0x1
	s_delay_alu instid0(VALU_DEP_1) | instskip(NEXT) | instid1(VALU_DEP_3)
	v_and_or_b32 v7, 0x7f00, v3, 0.5
	v_lshrrev_b32_e32 v6, 4, v5
	v_bfe_i32 v3, v3, 0, 16
	s_delay_alu instid0(VALU_DEP_3) | instskip(NEXT) | instid1(VALU_DEP_3)
	v_add_f32_e32 v7, -0.5, v7
	v_or_b32_e32 v6, 0x70000000, v6
	s_delay_alu instid0(VALU_DEP_1) | instskip(SKIP_1) | instid1(VALU_DEP_2)
	v_mul_f32_e32 v6, 0x7800000, v6
	v_cmp_gt_u32_e32 vcc_lo, 0x8000000, v5
	v_cndmask_b32_e32 v5, v6, v7, vcc_lo
	s_delay_alu instid0(VALU_DEP_1)
	v_and_or_b32 v6, 0x80000000, v3, v5
.LBB126_3304:
	s_mov_b32 s7, 0
	s_mov_b32 s15, -1
.LBB126_3305:
	s_and_not1_b32 vcc_lo, exec_lo, s7
	s_mov_b32 s7, 0
	s_cbranch_vccnz .LBB126_3316
; %bb.3306:
	s_cmp_gt_i32 s1, 14
	s_cbranch_scc0 .LBB126_3309
; %bb.3307:
	s_cmp_eq_u32 s1, 15
	s_cbranch_scc0 .LBB126_3312
; %bb.3308:
	global_load_u16 v3, v[0:1], off
	s_mov_b32 s6, 0
	s_mov_b32 s15, -1
	s_wait_loadcnt 0x0
	s_wait_xcnt 0x1
	v_lshlrev_b32_e32 v6, 16, v3
	s_branch .LBB126_3314
.LBB126_3309:
	s_mov_b32 s7, -1
	s_branch .LBB126_3313
.LBB126_3310:
	s_or_saveexec_b32 s15, s15
	v_mov_b32_e32 v6, 0x7f800001
	s_xor_b32 exec_lo, exec_lo, s15
	s_cbranch_execz .LBB126_3291
.LBB126_3311:
	v_cmp_ne_u16_e32 vcc_lo, 0, v3
	v_mov_b32_e32 v6, 0
	s_and_not1_b32 s7, s7, exec_lo
	s_and_b32 s22, vcc_lo, exec_lo
	s_delay_alu instid0(SALU_CYCLE_1)
	s_or_b32 s7, s7, s22
	s_or_b32 exec_lo, exec_lo, s15
	s_and_saveexec_b32 s15, s7
	s_cbranch_execnz .LBB126_3292
	s_branch .LBB126_3293
.LBB126_3312:
	s_mov_b32 s6, -1
.LBB126_3313:
                                        ; implicit-def: $vgpr6
.LBB126_3314:
	s_and_b32 vcc_lo, exec_lo, s7
	s_mov_b32 s7, 0
	s_cbranch_vccz .LBB126_3316
; %bb.3315:
	s_cmp_lg_u32 s1, 11
	s_mov_b32 s7, -1
	s_cselect_b32 s6, -1, 0
.LBB126_3316:
	s_delay_alu instid0(SALU_CYCLE_1)
	s_and_b32 vcc_lo, exec_lo, s6
	s_cbranch_vccnz .LBB126_3381
; %bb.3317:
	s_and_not1_b32 vcc_lo, exec_lo, s7
	s_cbranch_vccnz .LBB126_3319
.LBB126_3318:
	global_load_u8 v3, v[0:1], off
	s_mov_b32 s15, -1
	s_wait_loadcnt 0x0
	v_cmp_ne_u16_e32 vcc_lo, 0, v3
	s_wait_xcnt 0x1
	v_cndmask_b32_e64 v6, 0, 1.0, vcc_lo
.LBB126_3319:
	s_mov_b32 s1, 0
.LBB126_3320:
	s_delay_alu instid0(SALU_CYCLE_1)
	s_and_b32 vcc_lo, exec_lo, s1
	s_cbranch_vccz .LBB126_3369
; %bb.3321:
	s_and_b32 s1, 0xffff, s19
	s_delay_alu instid0(SALU_CYCLE_1)
	s_cmp_lt_i32 s1, 5
	s_cbranch_scc1 .LBB126_3326
; %bb.3322:
	s_cmp_lt_i32 s1, 8
	s_cbranch_scc1 .LBB126_3327
; %bb.3323:
	;; [unrolled: 3-line block ×3, first 2 shown]
	s_cmp_gt_i32 s1, 9
	s_cbranch_scc0 .LBB126_3329
; %bb.3325:
	global_load_b64 v[6:7], v[0:1], off
	s_mov_b32 s6, 0
	s_wait_loadcnt 0x0
	v_cvt_f32_f64_e32 v6, v[6:7]
	s_branch .LBB126_3330
.LBB126_3326:
	s_mov_b32 s6, -1
                                        ; implicit-def: $vgpr6
	s_branch .LBB126_3348
.LBB126_3327:
	s_mov_b32 s6, -1
                                        ; implicit-def: $vgpr6
	s_branch .LBB126_3336
.LBB126_3328:
	s_mov_b32 s6, -1
                                        ; implicit-def: $vgpr6
	s_branch .LBB126_3333
.LBB126_3329:
	s_mov_b32 s6, -1
                                        ; implicit-def: $vgpr6
.LBB126_3330:
	s_delay_alu instid0(SALU_CYCLE_1)
	s_and_not1_b32 vcc_lo, exec_lo, s6
	s_cbranch_vccnz .LBB126_3332
; %bb.3331:
	global_load_b32 v6, v[0:1], off
.LBB126_3332:
	s_mov_b32 s6, 0
.LBB126_3333:
	s_delay_alu instid0(SALU_CYCLE_1)
	s_and_not1_b32 vcc_lo, exec_lo, s6
	s_cbranch_vccnz .LBB126_3335
; %bb.3334:
	global_load_b32 v3, v[0:1], off
	s_wait_loadcnt 0x0
	s_wait_xcnt 0x1
	v_cvt_f32_f16_e32 v6, v3
.LBB126_3335:
	s_mov_b32 s6, 0
.LBB126_3336:
	s_delay_alu instid0(SALU_CYCLE_1)
	s_and_not1_b32 vcc_lo, exec_lo, s6
	s_cbranch_vccnz .LBB126_3347
; %bb.3337:
	s_cmp_lt_i32 s1, 6
	s_cbranch_scc1 .LBB126_3340
; %bb.3338:
	s_cmp_gt_i32 s1, 6
	s_cbranch_scc0 .LBB126_3341
; %bb.3339:
	s_wait_loadcnt 0x0
	global_load_b64 v[6:7], v[0:1], off
	s_mov_b32 s6, 0
	s_wait_loadcnt 0x0
	v_cvt_f32_f64_e32 v6, v[6:7]
	s_branch .LBB126_3342
.LBB126_3340:
	s_mov_b32 s6, -1
                                        ; implicit-def: $vgpr6
	s_branch .LBB126_3345
.LBB126_3341:
	s_mov_b32 s6, -1
                                        ; implicit-def: $vgpr6
.LBB126_3342:
	s_delay_alu instid0(SALU_CYCLE_1)
	s_and_not1_b32 vcc_lo, exec_lo, s6
	s_cbranch_vccnz .LBB126_3344
; %bb.3343:
	s_wait_loadcnt 0x0
	global_load_b32 v6, v[0:1], off
.LBB126_3344:
	s_mov_b32 s6, 0
.LBB126_3345:
	s_delay_alu instid0(SALU_CYCLE_1)
	s_and_not1_b32 vcc_lo, exec_lo, s6
	s_cbranch_vccnz .LBB126_3347
; %bb.3346:
	global_load_u16 v3, v[0:1], off
	s_wait_loadcnt 0x0
	s_wait_xcnt 0x1
	v_cvt_f32_f16_e32 v6, v3
.LBB126_3347:
	s_mov_b32 s6, 0
.LBB126_3348:
	s_delay_alu instid0(SALU_CYCLE_1)
	s_and_not1_b32 vcc_lo, exec_lo, s6
	s_cbranch_vccnz .LBB126_3368
; %bb.3349:
	s_cmp_lt_i32 s1, 2
	s_cbranch_scc1 .LBB126_3353
; %bb.3350:
	s_cmp_lt_i32 s1, 3
	s_cbranch_scc1 .LBB126_3354
; %bb.3351:
	s_cmp_gt_i32 s1, 3
	s_cbranch_scc0 .LBB126_3355
; %bb.3352:
	s_wait_loadcnt 0x0
	global_load_b64 v[6:7], v[0:1], off
	s_mov_b32 s6, 0
	s_wait_loadcnt 0x0
	v_xor_b32_e32 v3, v6, v7
	v_cls_i32_e32 v5, v7
	s_delay_alu instid0(VALU_DEP_2) | instskip(NEXT) | instid1(VALU_DEP_1)
	v_ashrrev_i32_e32 v3, 31, v3
	v_add_nc_u32_e32 v3, 32, v3
	s_delay_alu instid0(VALU_DEP_1) | instskip(NEXT) | instid1(VALU_DEP_1)
	v_add_min_u32_e64 v3, v5, -1, v3
	v_lshlrev_b64_e32 v[6:7], v3, v[6:7]
	v_sub_nc_u32_e32 v3, 32, v3
	s_delay_alu instid0(VALU_DEP_2) | instskip(NEXT) | instid1(VALU_DEP_1)
	v_min_u32_e32 v5, 1, v6
	v_or_b32_e32 v5, v7, v5
	s_delay_alu instid0(VALU_DEP_1) | instskip(NEXT) | instid1(VALU_DEP_1)
	v_cvt_f32_i32_e32 v5, v5
	v_ldexp_f32 v6, v5, v3
	s_branch .LBB126_3356
.LBB126_3353:
	s_mov_b32 s6, -1
                                        ; implicit-def: $vgpr6
	s_branch .LBB126_3362
.LBB126_3354:
	s_mov_b32 s6, -1
                                        ; implicit-def: $vgpr6
	s_branch .LBB126_3359
.LBB126_3355:
	s_mov_b32 s6, -1
                                        ; implicit-def: $vgpr6
.LBB126_3356:
	s_delay_alu instid0(SALU_CYCLE_1)
	s_and_not1_b32 vcc_lo, exec_lo, s6
	s_cbranch_vccnz .LBB126_3358
; %bb.3357:
	global_load_b32 v3, v[0:1], off
	s_wait_loadcnt 0x0
	s_wait_xcnt 0x1
	v_cvt_f32_i32_e32 v6, v3
.LBB126_3358:
	s_mov_b32 s6, 0
.LBB126_3359:
	s_delay_alu instid0(SALU_CYCLE_1)
	s_and_not1_b32 vcc_lo, exec_lo, s6
	s_cbranch_vccnz .LBB126_3361
; %bb.3360:
	global_load_i16 v3, v[0:1], off
	s_wait_loadcnt 0x0
	s_wait_xcnt 0x1
	v_cvt_f32_i32_e32 v6, v3
.LBB126_3361:
	s_mov_b32 s6, 0
.LBB126_3362:
	s_delay_alu instid0(SALU_CYCLE_1)
	s_and_not1_b32 vcc_lo, exec_lo, s6
	s_cbranch_vccnz .LBB126_3368
; %bb.3363:
	s_cmp_gt_i32 s1, 0
	s_mov_b32 s1, 0
	s_cbranch_scc0 .LBB126_3365
; %bb.3364:
	global_load_i8 v3, v[0:1], off
	s_wait_loadcnt 0x0
	s_wait_xcnt 0x1
	v_cvt_f32_i32_e32 v6, v3
	s_branch .LBB126_3366
.LBB126_3365:
	s_mov_b32 s1, -1
                                        ; implicit-def: $vgpr6
.LBB126_3366:
	s_delay_alu instid0(SALU_CYCLE_1)
	s_and_not1_b32 vcc_lo, exec_lo, s1
	s_cbranch_vccnz .LBB126_3368
; %bb.3367:
	global_load_u8 v0, v[0:1], off
	s_wait_loadcnt 0x0
	v_cvt_f32_ubyte0_e32 v6, v0
.LBB126_3368:
	s_mov_b32 s15, -1
.LBB126_3369:
	s_delay_alu instid0(SALU_CYCLE_1)
	s_and_not1_b32 vcc_lo, exec_lo, s15
	s_cbranch_vccnz .LBB126_4065
; %bb.3370:
	s_wait_xcnt 0x0
	v_add_nc_u32_e32 v0, s13, v2
	s_cmp_lt_i32 s2, 11
	s_delay_alu instid0(VALU_DEP_1) | instskip(NEXT) | instid1(VALU_DEP_1)
	v_ashrrev_i32_e32 v1, 31, v0
	v_add_nc_u64_e32 v[0:1], s[8:9], v[0:1]
	s_cbranch_scc1 .LBB126_3377
; %bb.3371:
	s_and_b32 s1, 0xffff, s2
	s_mov_b32 s7, 0
	s_cmp_gt_i32 s1, 25
	s_cbranch_scc0 .LBB126_3378
; %bb.3372:
	s_cmp_gt_i32 s1, 28
	s_cbranch_scc0 .LBB126_3379
; %bb.3373:
	s_cmp_gt_i32 s1, 43
	s_cbranch_scc0 .LBB126_3380
; %bb.3374:
	s_cmp_gt_i32 s1, 45
	s_cbranch_scc0 .LBB126_3382
; %bb.3375:
	s_cmp_eq_u32 s1, 46
	s_mov_b32 s9, 0
	s_cbranch_scc0 .LBB126_3383
; %bb.3376:
	global_load_b32 v2, v[0:1], off
	s_mov_b32 s6, 0
	s_mov_b32 s8, -1
	s_wait_loadcnt 0x0
	v_lshlrev_b32_e32 v7, 16, v2
	s_branch .LBB126_3385
.LBB126_3377:
	s_mov_b32 s1, -1
	s_mov_b32 s8, 0
                                        ; implicit-def: $vgpr7
	s_branch .LBB126_3451
.LBB126_3378:
	s_mov_b32 s9, -1
	s_mov_b32 s8, 0
	s_mov_b32 s6, 0
                                        ; implicit-def: $vgpr7
	s_branch .LBB126_3414
.LBB126_3379:
	s_mov_b32 s9, -1
	s_mov_b32 s8, 0
	s_mov_b32 s6, 0
                                        ; implicit-def: $vgpr7
	s_branch .LBB126_3395
.LBB126_3380:
	s_mov_b32 s9, -1
	s_mov_b32 s8, 0
	s_mov_b32 s6, 0
                                        ; implicit-def: $vgpr7
	s_branch .LBB126_3390
.LBB126_3381:
	s_or_b32 s3, s3, exec_lo
	s_trap 2
	s_cbranch_execz .LBB126_3318
	s_branch .LBB126_3319
.LBB126_3382:
	s_mov_b32 s9, -1
	s_mov_b32 s8, 0
	s_mov_b32 s6, 0
	s_branch .LBB126_3384
.LBB126_3383:
	s_mov_b32 s6, -1
	s_mov_b32 s8, 0
.LBB126_3384:
                                        ; implicit-def: $vgpr7
.LBB126_3385:
	s_and_b32 vcc_lo, exec_lo, s9
	s_cbranch_vccz .LBB126_3389
; %bb.3386:
	s_cmp_eq_u32 s1, 44
	s_cbranch_scc0 .LBB126_3388
; %bb.3387:
	global_load_u8 v2, v[0:1], off
	s_mov_b32 s6, 0
	s_mov_b32 s8, -1
	s_wait_loadcnt 0x0
	v_lshlrev_b32_e32 v3, 23, v2
	v_cmp_ne_u32_e32 vcc_lo, 0xff, v2
	s_delay_alu instid0(VALU_DEP_2) | instskip(SKIP_1) | instid1(VALU_DEP_2)
	v_cndmask_b32_e32 v3, 0x7f800001, v3, vcc_lo
	v_cmp_ne_u32_e32 vcc_lo, 0, v2
	v_cndmask_b32_e32 v7, 0x400000, v3, vcc_lo
	s_branch .LBB126_3389
.LBB126_3388:
	s_mov_b32 s6, -1
                                        ; implicit-def: $vgpr7
.LBB126_3389:
	s_mov_b32 s9, 0
.LBB126_3390:
	s_delay_alu instid0(SALU_CYCLE_1)
	s_and_b32 vcc_lo, exec_lo, s9
	s_cbranch_vccz .LBB126_3394
; %bb.3391:
	s_cmp_eq_u32 s1, 29
	s_cbranch_scc0 .LBB126_3393
; %bb.3392:
	global_load_b64 v[2:3], v[0:1], off
	s_mov_b32 s6, 0
	s_mov_b32 s8, -1
	s_mov_b32 s9, 0
	s_wait_loadcnt 0x0
	v_clz_i32_u32_e32 v5, v3
	s_delay_alu instid0(VALU_DEP_1) | instskip(NEXT) | instid1(VALU_DEP_1)
	v_min_u32_e32 v5, 32, v5
	v_lshlrev_b64_e32 v[2:3], v5, v[2:3]
	s_delay_alu instid0(VALU_DEP_1) | instskip(NEXT) | instid1(VALU_DEP_1)
	v_min_u32_e32 v2, 1, v2
	v_dual_sub_nc_u32 v3, 32, v5 :: v_dual_bitop2_b32 v2, v3, v2 bitop3:0x54
	s_delay_alu instid0(VALU_DEP_1) | instskip(NEXT) | instid1(VALU_DEP_1)
	v_cvt_f32_u32_e32 v2, v2
	v_ldexp_f32 v7, v2, v3
	s_branch .LBB126_3395
.LBB126_3393:
	s_mov_b32 s6, -1
                                        ; implicit-def: $vgpr7
.LBB126_3394:
	s_mov_b32 s9, 0
.LBB126_3395:
	s_delay_alu instid0(SALU_CYCLE_1)
	s_and_b32 vcc_lo, exec_lo, s9
	s_cbranch_vccz .LBB126_3413
; %bb.3396:
	s_cmp_lt_i32 s1, 27
	s_cbranch_scc1 .LBB126_3399
; %bb.3397:
	s_cmp_gt_i32 s1, 27
	s_cbranch_scc0 .LBB126_3400
; %bb.3398:
	global_load_b32 v2, v[0:1], off
	s_mov_b32 s8, 0
	s_wait_loadcnt 0x0
	v_cvt_f32_u32_e32 v7, v2
	s_branch .LBB126_3401
.LBB126_3399:
	s_mov_b32 s8, -1
                                        ; implicit-def: $vgpr7
	s_branch .LBB126_3404
.LBB126_3400:
	s_mov_b32 s8, -1
                                        ; implicit-def: $vgpr7
.LBB126_3401:
	s_delay_alu instid0(SALU_CYCLE_1)
	s_and_not1_b32 vcc_lo, exec_lo, s8
	s_cbranch_vccnz .LBB126_3403
; %bb.3402:
	global_load_u16 v2, v[0:1], off
	s_wait_loadcnt 0x0
	v_cvt_f32_u32_e32 v7, v2
.LBB126_3403:
	s_mov_b32 s8, 0
.LBB126_3404:
	s_delay_alu instid0(SALU_CYCLE_1)
	s_and_not1_b32 vcc_lo, exec_lo, s8
	s_cbranch_vccnz .LBB126_3412
; %bb.3405:
	global_load_u8 v2, v[0:1], off
	s_mov_b32 s8, 0
	s_mov_b32 s9, exec_lo
	s_wait_loadcnt 0x0
	v_cmpx_lt_i16_e32 0x7f, v2
	s_xor_b32 s9, exec_lo, s9
	s_cbranch_execz .LBB126_3426
; %bb.3406:
	s_mov_b32 s8, -1
	s_mov_b32 s13, exec_lo
	v_cmpx_eq_u16_e32 0x80, v2
; %bb.3407:
	s_xor_b32 s8, exec_lo, -1
; %bb.3408:
	s_or_b32 exec_lo, exec_lo, s13
	s_delay_alu instid0(SALU_CYCLE_1)
	s_and_b32 s8, s8, exec_lo
	s_or_saveexec_b32 s9, s9
	v_mov_b32_e32 v7, 0x7f800001
	s_xor_b32 exec_lo, exec_lo, s9
	s_cbranch_execnz .LBB126_3427
.LBB126_3409:
	s_or_b32 exec_lo, exec_lo, s9
	s_and_saveexec_b32 s9, s8
	s_cbranch_execz .LBB126_3411
.LBB126_3410:
	v_and_b32_e32 v3, 0xffff, v2
	s_delay_alu instid0(VALU_DEP_1) | instskip(SKIP_1) | instid1(VALU_DEP_2)
	v_dual_lshlrev_b32 v2, 24, v2 :: v_dual_bitop2_b32 v5, 7, v3 bitop3:0x40
	v_bfe_u32 v19, v3, 3, 4
	v_and_b32_e32 v2, 0x80000000, v2
	s_delay_alu instid0(VALU_DEP_3) | instskip(NEXT) | instid1(VALU_DEP_3)
	v_clz_i32_u32_e32 v7, v5
	v_cmp_eq_u32_e32 vcc_lo, 0, v19
	s_delay_alu instid0(VALU_DEP_2) | instskip(NEXT) | instid1(VALU_DEP_1)
	v_min_u32_e32 v7, 32, v7
	v_subrev_nc_u32_e32 v18, 28, v7
	v_sub_nc_u32_e32 v7, 29, v7
	s_delay_alu instid0(VALU_DEP_2) | instskip(NEXT) | instid1(VALU_DEP_2)
	v_lshlrev_b32_e32 v3, v18, v3
	v_cndmask_b32_e32 v7, v19, v7, vcc_lo
	s_delay_alu instid0(VALU_DEP_2) | instskip(NEXT) | instid1(VALU_DEP_1)
	v_and_b32_e32 v3, 7, v3
	v_cndmask_b32_e32 v3, v5, v3, vcc_lo
	s_delay_alu instid0(VALU_DEP_3) | instskip(NEXT) | instid1(VALU_DEP_2)
	v_lshl_add_u32 v5, v7, 23, 0x3b800000
	v_lshlrev_b32_e32 v3, 20, v3
	s_delay_alu instid0(VALU_DEP_1)
	v_or3_b32 v7, v2, v5, v3
.LBB126_3411:
	s_or_b32 exec_lo, exec_lo, s9
.LBB126_3412:
	s_mov_b32 s8, -1
.LBB126_3413:
	s_mov_b32 s9, 0
.LBB126_3414:
	s_delay_alu instid0(SALU_CYCLE_1)
	s_and_b32 vcc_lo, exec_lo, s9
	s_cbranch_vccz .LBB126_3447
; %bb.3415:
	s_cmp_gt_i32 s1, 22
	s_cbranch_scc0 .LBB126_3425
; %bb.3416:
	s_cmp_lt_i32 s1, 24
	s_cbranch_scc1 .LBB126_3428
; %bb.3417:
	s_cmp_gt_i32 s1, 24
	s_cbranch_scc0 .LBB126_3429
; %bb.3418:
	global_load_u8 v2, v[0:1], off
	s_mov_b32 s8, exec_lo
	s_wait_loadcnt 0x0
	v_cmpx_lt_i16_e32 0x7f, v2
	s_xor_b32 s8, exec_lo, s8
	s_cbranch_execz .LBB126_3441
; %bb.3419:
	s_mov_b32 s7, -1
	s_mov_b32 s9, exec_lo
	v_cmpx_eq_u16_e32 0x80, v2
; %bb.3420:
	s_xor_b32 s7, exec_lo, -1
; %bb.3421:
	s_or_b32 exec_lo, exec_lo, s9
	s_delay_alu instid0(SALU_CYCLE_1)
	s_and_b32 s7, s7, exec_lo
	s_or_saveexec_b32 s8, s8
	v_mov_b32_e32 v7, 0x7f800001
	s_xor_b32 exec_lo, exec_lo, s8
	s_cbranch_execnz .LBB126_3442
.LBB126_3422:
	s_or_b32 exec_lo, exec_lo, s8
	s_and_saveexec_b32 s8, s7
	s_cbranch_execz .LBB126_3424
.LBB126_3423:
	v_and_b32_e32 v3, 0xffff, v2
	s_delay_alu instid0(VALU_DEP_1) | instskip(SKIP_1) | instid1(VALU_DEP_2)
	v_dual_lshlrev_b32 v2, 24, v2 :: v_dual_bitop2_b32 v5, 3, v3 bitop3:0x40
	v_bfe_u32 v19, v3, 2, 5
	v_and_b32_e32 v2, 0x80000000, v2
	s_delay_alu instid0(VALU_DEP_3) | instskip(NEXT) | instid1(VALU_DEP_3)
	v_clz_i32_u32_e32 v7, v5
	v_cmp_eq_u32_e32 vcc_lo, 0, v19
	s_delay_alu instid0(VALU_DEP_2) | instskip(NEXT) | instid1(VALU_DEP_1)
	v_min_u32_e32 v7, 32, v7
	v_subrev_nc_u32_e32 v18, 29, v7
	v_sub_nc_u32_e32 v7, 30, v7
	s_delay_alu instid0(VALU_DEP_2) | instskip(NEXT) | instid1(VALU_DEP_2)
	v_lshlrev_b32_e32 v3, v18, v3
	v_cndmask_b32_e32 v7, v19, v7, vcc_lo
	s_delay_alu instid0(VALU_DEP_2) | instskip(NEXT) | instid1(VALU_DEP_1)
	v_and_b32_e32 v3, 3, v3
	v_cndmask_b32_e32 v3, v5, v3, vcc_lo
	s_delay_alu instid0(VALU_DEP_3) | instskip(NEXT) | instid1(VALU_DEP_2)
	v_lshl_add_u32 v5, v7, 23, 0x37800000
	v_lshlrev_b32_e32 v3, 21, v3
	s_delay_alu instid0(VALU_DEP_1)
	v_or3_b32 v7, v2, v5, v3
.LBB126_3424:
	s_or_b32 exec_lo, exec_lo, s8
	s_mov_b32 s7, 0
	s_branch .LBB126_3430
.LBB126_3425:
	s_mov_b32 s7, -1
                                        ; implicit-def: $vgpr7
	s_branch .LBB126_3436
.LBB126_3426:
	s_or_saveexec_b32 s9, s9
	v_mov_b32_e32 v7, 0x7f800001
	s_xor_b32 exec_lo, exec_lo, s9
	s_cbranch_execz .LBB126_3409
.LBB126_3427:
	v_cmp_ne_u16_e32 vcc_lo, 0, v2
	v_mov_b32_e32 v7, 0
	s_and_not1_b32 s8, s8, exec_lo
	s_and_b32 s13, vcc_lo, exec_lo
	s_delay_alu instid0(SALU_CYCLE_1)
	s_or_b32 s8, s8, s13
	s_or_b32 exec_lo, exec_lo, s9
	s_and_saveexec_b32 s9, s8
	s_cbranch_execnz .LBB126_3410
	s_branch .LBB126_3411
.LBB126_3428:
	s_mov_b32 s7, -1
                                        ; implicit-def: $vgpr7
	s_branch .LBB126_3433
.LBB126_3429:
	s_mov_b32 s7, -1
                                        ; implicit-def: $vgpr7
.LBB126_3430:
	s_delay_alu instid0(SALU_CYCLE_1)
	s_and_b32 vcc_lo, exec_lo, s7
	s_cbranch_vccz .LBB126_3432
; %bb.3431:
	global_load_u8 v2, v[0:1], off
	s_wait_loadcnt 0x0
	v_lshlrev_b32_e32 v2, 24, v2
	s_delay_alu instid0(VALU_DEP_1) | instskip(NEXT) | instid1(VALU_DEP_1)
	v_and_b32_e32 v3, 0x7f000000, v2
	v_clz_i32_u32_e32 v5, v3
	v_cmp_ne_u32_e32 vcc_lo, 0, v3
	v_add_nc_u32_e32 v18, 0x1000000, v3
	s_delay_alu instid0(VALU_DEP_3) | instskip(NEXT) | instid1(VALU_DEP_1)
	v_min_u32_e32 v5, 32, v5
	v_sub_nc_u32_e64 v5, v5, 4 clamp
	s_delay_alu instid0(VALU_DEP_1) | instskip(NEXT) | instid1(VALU_DEP_1)
	v_dual_lshlrev_b32 v7, v5, v3 :: v_dual_lshlrev_b32 v5, 23, v5
	v_lshrrev_b32_e32 v7, 4, v7
	s_delay_alu instid0(VALU_DEP_1) | instskip(NEXT) | instid1(VALU_DEP_1)
	v_dual_sub_nc_u32 v5, v7, v5 :: v_dual_ashrrev_i32 v7, 8, v18
	v_add_nc_u32_e32 v5, 0x3c000000, v5
	s_delay_alu instid0(VALU_DEP_1) | instskip(NEXT) | instid1(VALU_DEP_1)
	v_and_or_b32 v5, 0x7f800000, v7, v5
	v_cndmask_b32_e32 v3, 0, v5, vcc_lo
	s_delay_alu instid0(VALU_DEP_1)
	v_and_or_b32 v7, 0x80000000, v2, v3
.LBB126_3432:
	s_mov_b32 s7, 0
.LBB126_3433:
	s_delay_alu instid0(SALU_CYCLE_1)
	s_and_not1_b32 vcc_lo, exec_lo, s7
	s_cbranch_vccnz .LBB126_3435
; %bb.3434:
	global_load_u8 v2, v[0:1], off
	s_wait_loadcnt 0x0
	v_lshlrev_b32_e32 v3, 25, v2
	v_lshlrev_b16 v2, 8, v2
	s_delay_alu instid0(VALU_DEP_1) | instskip(SKIP_1) | instid1(VALU_DEP_2)
	v_and_or_b32 v7, 0x7f00, v2, 0.5
	v_bfe_i32 v2, v2, 0, 16
	v_add_f32_e32 v7, -0.5, v7
	v_lshrrev_b32_e32 v5, 4, v3
	v_cmp_gt_u32_e32 vcc_lo, 0x8000000, v3
	s_delay_alu instid0(VALU_DEP_2) | instskip(NEXT) | instid1(VALU_DEP_1)
	v_or_b32_e32 v5, 0x70000000, v5
	v_mul_f32_e32 v5, 0x7800000, v5
	s_delay_alu instid0(VALU_DEP_1) | instskip(NEXT) | instid1(VALU_DEP_1)
	v_cndmask_b32_e32 v3, v5, v7, vcc_lo
	v_and_or_b32 v7, 0x80000000, v2, v3
.LBB126_3435:
	s_mov_b32 s7, 0
	s_mov_b32 s8, -1
.LBB126_3436:
	s_and_not1_b32 vcc_lo, exec_lo, s7
	s_mov_b32 s7, 0
	s_cbranch_vccnz .LBB126_3447
; %bb.3437:
	s_cmp_gt_i32 s1, 14
	s_cbranch_scc0 .LBB126_3440
; %bb.3438:
	s_cmp_eq_u32 s1, 15
	s_cbranch_scc0 .LBB126_3443
; %bb.3439:
	global_load_u16 v2, v[0:1], off
	s_mov_b32 s6, 0
	s_mov_b32 s8, -1
	s_wait_loadcnt 0x0
	v_lshlrev_b32_e32 v7, 16, v2
	s_branch .LBB126_3445
.LBB126_3440:
	s_mov_b32 s7, -1
	s_branch .LBB126_3444
.LBB126_3441:
	s_or_saveexec_b32 s8, s8
	v_mov_b32_e32 v7, 0x7f800001
	s_xor_b32 exec_lo, exec_lo, s8
	s_cbranch_execz .LBB126_3422
.LBB126_3442:
	v_cmp_ne_u16_e32 vcc_lo, 0, v2
	v_mov_b32_e32 v7, 0
	s_and_not1_b32 s7, s7, exec_lo
	s_and_b32 s9, vcc_lo, exec_lo
	s_delay_alu instid0(SALU_CYCLE_1)
	s_or_b32 s7, s7, s9
	s_or_b32 exec_lo, exec_lo, s8
	s_and_saveexec_b32 s8, s7
	s_cbranch_execnz .LBB126_3423
	s_branch .LBB126_3424
.LBB126_3443:
	s_mov_b32 s6, -1
.LBB126_3444:
                                        ; implicit-def: $vgpr7
.LBB126_3445:
	s_and_b32 vcc_lo, exec_lo, s7
	s_mov_b32 s7, 0
	s_cbranch_vccz .LBB126_3447
; %bb.3446:
	s_cmp_lg_u32 s1, 11
	s_mov_b32 s7, -1
	s_cselect_b32 s6, -1, 0
.LBB126_3447:
	s_delay_alu instid0(SALU_CYCLE_1)
	s_and_b32 vcc_lo, exec_lo, s6
	s_cbranch_vccnz .LBB126_3512
; %bb.3448:
	s_and_not1_b32 vcc_lo, exec_lo, s7
	s_cbranch_vccnz .LBB126_3450
.LBB126_3449:
	global_load_u8 v2, v[0:1], off
	s_mov_b32 s8, -1
	s_wait_loadcnt 0x0
	v_cmp_ne_u16_e32 vcc_lo, 0, v2
	v_cndmask_b32_e64 v7, 0, 1.0, vcc_lo
.LBB126_3450:
	s_mov_b32 s1, 0
.LBB126_3451:
	s_delay_alu instid0(SALU_CYCLE_1)
	s_and_b32 vcc_lo, exec_lo, s1
	s_cbranch_vccz .LBB126_3500
; %bb.3452:
	s_and_b32 s1, 0xffff, s2
	s_delay_alu instid0(SALU_CYCLE_1)
	s_cmp_lt_i32 s1, 5
	s_cbranch_scc1 .LBB126_3457
; %bb.3453:
	s_cmp_lt_i32 s1, 8
	s_cbranch_scc1 .LBB126_3458
; %bb.3454:
	;; [unrolled: 3-line block ×3, first 2 shown]
	s_cmp_gt_i32 s1, 9
	s_cbranch_scc0 .LBB126_3460
; %bb.3456:
	global_load_b64 v[2:3], v[0:1], off
	s_mov_b32 s2, 0
	s_wait_loadcnt 0x0
	v_cvt_f32_f64_e32 v7, v[2:3]
	s_branch .LBB126_3461
.LBB126_3457:
	s_mov_b32 s2, -1
                                        ; implicit-def: $vgpr7
	s_branch .LBB126_3479
.LBB126_3458:
	s_mov_b32 s2, -1
                                        ; implicit-def: $vgpr7
	s_branch .LBB126_3467
.LBB126_3459:
	s_mov_b32 s2, -1
                                        ; implicit-def: $vgpr7
	s_branch .LBB126_3464
.LBB126_3460:
	s_mov_b32 s2, -1
                                        ; implicit-def: $vgpr7
.LBB126_3461:
	s_delay_alu instid0(SALU_CYCLE_1)
	s_and_not1_b32 vcc_lo, exec_lo, s2
	s_cbranch_vccnz .LBB126_3463
; %bb.3462:
	global_load_b32 v7, v[0:1], off
.LBB126_3463:
	s_mov_b32 s2, 0
.LBB126_3464:
	s_delay_alu instid0(SALU_CYCLE_1)
	s_and_not1_b32 vcc_lo, exec_lo, s2
	s_cbranch_vccnz .LBB126_3466
; %bb.3465:
	global_load_b32 v2, v[0:1], off
	s_wait_loadcnt 0x0
	v_cvt_f32_f16_e32 v7, v2
.LBB126_3466:
	s_mov_b32 s2, 0
.LBB126_3467:
	s_delay_alu instid0(SALU_CYCLE_1)
	s_and_not1_b32 vcc_lo, exec_lo, s2
	s_cbranch_vccnz .LBB126_3478
; %bb.3468:
	s_cmp_lt_i32 s1, 6
	s_cbranch_scc1 .LBB126_3471
; %bb.3469:
	s_cmp_gt_i32 s1, 6
	s_cbranch_scc0 .LBB126_3472
; %bb.3470:
	global_load_b64 v[2:3], v[0:1], off
	s_mov_b32 s2, 0
	s_wait_loadcnt 0x0
	v_cvt_f32_f64_e32 v7, v[2:3]
	s_branch .LBB126_3473
.LBB126_3471:
	s_mov_b32 s2, -1
                                        ; implicit-def: $vgpr7
	s_branch .LBB126_3476
.LBB126_3472:
	s_mov_b32 s2, -1
                                        ; implicit-def: $vgpr7
.LBB126_3473:
	s_delay_alu instid0(SALU_CYCLE_1)
	s_and_not1_b32 vcc_lo, exec_lo, s2
	s_cbranch_vccnz .LBB126_3475
; %bb.3474:
	s_wait_loadcnt 0x0
	global_load_b32 v7, v[0:1], off
.LBB126_3475:
	s_mov_b32 s2, 0
.LBB126_3476:
	s_delay_alu instid0(SALU_CYCLE_1)
	s_and_not1_b32 vcc_lo, exec_lo, s2
	s_cbranch_vccnz .LBB126_3478
; %bb.3477:
	global_load_u16 v2, v[0:1], off
	s_wait_loadcnt 0x0
	v_cvt_f32_f16_e32 v7, v2
.LBB126_3478:
	s_mov_b32 s2, 0
.LBB126_3479:
	s_delay_alu instid0(SALU_CYCLE_1)
	s_and_not1_b32 vcc_lo, exec_lo, s2
	s_cbranch_vccnz .LBB126_3499
; %bb.3480:
	s_cmp_lt_i32 s1, 2
	s_cbranch_scc1 .LBB126_3484
; %bb.3481:
	s_cmp_lt_i32 s1, 3
	s_cbranch_scc1 .LBB126_3485
; %bb.3482:
	s_cmp_gt_i32 s1, 3
	s_cbranch_scc0 .LBB126_3486
; %bb.3483:
	global_load_b64 v[2:3], v[0:1], off
	s_mov_b32 s2, 0
	s_wait_loadcnt 0x0
	v_xor_b32_e32 v5, v2, v3
	v_cls_i32_e32 v7, v3
	s_delay_alu instid0(VALU_DEP_2) | instskip(NEXT) | instid1(VALU_DEP_1)
	v_ashrrev_i32_e32 v5, 31, v5
	v_add_nc_u32_e32 v5, 32, v5
	s_delay_alu instid0(VALU_DEP_1) | instskip(NEXT) | instid1(VALU_DEP_1)
	v_add_min_u32_e64 v5, v7, -1, v5
	v_lshlrev_b64_e32 v[2:3], v5, v[2:3]
	s_delay_alu instid0(VALU_DEP_1) | instskip(NEXT) | instid1(VALU_DEP_1)
	v_min_u32_e32 v2, 1, v2
	v_dual_sub_nc_u32 v3, 32, v5 :: v_dual_bitop2_b32 v2, v3, v2 bitop3:0x54
	s_delay_alu instid0(VALU_DEP_1) | instskip(NEXT) | instid1(VALU_DEP_1)
	v_cvt_f32_i32_e32 v2, v2
	v_ldexp_f32 v7, v2, v3
	s_branch .LBB126_3487
.LBB126_3484:
	s_mov_b32 s2, -1
                                        ; implicit-def: $vgpr7
	s_branch .LBB126_3493
.LBB126_3485:
	s_mov_b32 s2, -1
                                        ; implicit-def: $vgpr7
	s_branch .LBB126_3490
.LBB126_3486:
	s_mov_b32 s2, -1
                                        ; implicit-def: $vgpr7
.LBB126_3487:
	s_delay_alu instid0(SALU_CYCLE_1)
	s_and_not1_b32 vcc_lo, exec_lo, s2
	s_cbranch_vccnz .LBB126_3489
; %bb.3488:
	global_load_b32 v2, v[0:1], off
	s_wait_loadcnt 0x0
	v_cvt_f32_i32_e32 v7, v2
.LBB126_3489:
	s_mov_b32 s2, 0
.LBB126_3490:
	s_delay_alu instid0(SALU_CYCLE_1)
	s_and_not1_b32 vcc_lo, exec_lo, s2
	s_cbranch_vccnz .LBB126_3492
; %bb.3491:
	global_load_i16 v2, v[0:1], off
	s_wait_loadcnt 0x0
	v_cvt_f32_i32_e32 v7, v2
.LBB126_3492:
	s_mov_b32 s2, 0
.LBB126_3493:
	s_delay_alu instid0(SALU_CYCLE_1)
	s_and_not1_b32 vcc_lo, exec_lo, s2
	s_cbranch_vccnz .LBB126_3499
; %bb.3494:
	s_cmp_gt_i32 s1, 0
	s_mov_b32 s1, 0
	s_cbranch_scc0 .LBB126_3496
; %bb.3495:
	global_load_i8 v2, v[0:1], off
	s_wait_loadcnt 0x0
	v_cvt_f32_i32_e32 v7, v2
	s_branch .LBB126_3497
.LBB126_3496:
	s_mov_b32 s1, -1
                                        ; implicit-def: $vgpr7
.LBB126_3497:
	s_delay_alu instid0(SALU_CYCLE_1)
	s_and_not1_b32 vcc_lo, exec_lo, s1
	s_cbranch_vccnz .LBB126_3499
; %bb.3498:
	global_load_u8 v0, v[0:1], off
	s_wait_loadcnt 0x0
	v_cvt_f32_ubyte0_e32 v7, v0
.LBB126_3499:
	s_mov_b32 s8, -1
.LBB126_3500:
	s_delay_alu instid0(SALU_CYCLE_1)
	s_and_not1_b32 vcc_lo, exec_lo, s8
	s_cbranch_vccnz .LBB126_4065
; %bb.3501:
	s_wait_xcnt 0x0
	v_add_nc_u32_e32 v0, s14, v4
	s_cmp_lt_i32 s0, 11
	s_delay_alu instid0(VALU_DEP_1) | instskip(NEXT) | instid1(VALU_DEP_1)
	v_ashrrev_i32_e32 v1, 31, v0
	v_add_nc_u64_e32 v[0:1], s[10:11], v[0:1]
	s_cbranch_scc1 .LBB126_3508
; %bb.3502:
	s_cmp_gt_i32 s0, 25
	s_mov_b32 s2, 0
	s_cbranch_scc0 .LBB126_3509
; %bb.3503:
	s_cmp_gt_i32 s0, 28
	s_cbranch_scc0 .LBB126_3510
; %bb.3504:
	s_cmp_gt_i32 s0, 43
	;; [unrolled: 3-line block ×3, first 2 shown]
	s_cbranch_scc0 .LBB126_3513
; %bb.3506:
	s_cmp_eq_u32 s0, 46
	s_mov_b32 s7, 0
	s_cbranch_scc0 .LBB126_3514
; %bb.3507:
	global_load_b32 v2, v[0:1], off
	s_mov_b32 s1, 0
	s_mov_b32 s6, -1
	s_wait_loadcnt 0x0
	v_lshlrev_b32_e32 v18, 16, v2
	s_branch .LBB126_3516
.LBB126_3508:
	s_mov_b32 s1, -1
	s_mov_b32 s6, 0
                                        ; implicit-def: $vgpr18
	s_branch .LBB126_3582
.LBB126_3509:
	s_mov_b32 s7, -1
	s_mov_b32 s6, 0
	s_mov_b32 s1, 0
                                        ; implicit-def: $vgpr18
	s_branch .LBB126_3545
.LBB126_3510:
	s_mov_b32 s7, -1
	s_mov_b32 s6, 0
	s_mov_b32 s1, 0
                                        ; implicit-def: $vgpr18
	s_branch .LBB126_3526
.LBB126_3511:
	s_mov_b32 s7, -1
	s_mov_b32 s6, 0
	s_mov_b32 s1, 0
                                        ; implicit-def: $vgpr18
	s_branch .LBB126_3521
.LBB126_3512:
	s_or_b32 s3, s3, exec_lo
	s_trap 2
	s_cbranch_execz .LBB126_3449
	s_branch .LBB126_3450
.LBB126_3513:
	s_mov_b32 s7, -1
	s_mov_b32 s6, 0
	s_mov_b32 s1, 0
	s_branch .LBB126_3515
.LBB126_3514:
	s_mov_b32 s1, -1
	s_mov_b32 s6, 0
.LBB126_3515:
                                        ; implicit-def: $vgpr18
.LBB126_3516:
	s_and_b32 vcc_lo, exec_lo, s7
	s_cbranch_vccz .LBB126_3520
; %bb.3517:
	s_cmp_eq_u32 s0, 44
	s_cbranch_scc0 .LBB126_3519
; %bb.3518:
	global_load_u8 v2, v[0:1], off
	s_mov_b32 s1, 0
	s_mov_b32 s6, -1
	s_wait_loadcnt 0x0
	v_lshlrev_b32_e32 v3, 23, v2
	v_cmp_ne_u32_e32 vcc_lo, 0xff, v2
	s_delay_alu instid0(VALU_DEP_2) | instskip(SKIP_1) | instid1(VALU_DEP_2)
	v_cndmask_b32_e32 v3, 0x7f800001, v3, vcc_lo
	v_cmp_ne_u32_e32 vcc_lo, 0, v2
	v_cndmask_b32_e32 v18, 0x400000, v3, vcc_lo
	s_branch .LBB126_3520
.LBB126_3519:
	s_mov_b32 s1, -1
                                        ; implicit-def: $vgpr18
.LBB126_3520:
	s_mov_b32 s7, 0
.LBB126_3521:
	s_delay_alu instid0(SALU_CYCLE_1)
	s_and_b32 vcc_lo, exec_lo, s7
	s_cbranch_vccz .LBB126_3525
; %bb.3522:
	s_cmp_eq_u32 s0, 29
	s_cbranch_scc0 .LBB126_3524
; %bb.3523:
	global_load_b64 v[2:3], v[0:1], off
	s_mov_b32 s1, 0
	s_mov_b32 s6, -1
	s_mov_b32 s7, 0
	s_wait_loadcnt 0x0
	v_clz_i32_u32_e32 v4, v3
	s_delay_alu instid0(VALU_DEP_1) | instskip(NEXT) | instid1(VALU_DEP_1)
	v_min_u32_e32 v4, 32, v4
	v_lshlrev_b64_e32 v[2:3], v4, v[2:3]
	s_delay_alu instid0(VALU_DEP_1) | instskip(NEXT) | instid1(VALU_DEP_1)
	v_min_u32_e32 v2, 1, v2
	v_dual_sub_nc_u32 v3, 32, v4 :: v_dual_bitop2_b32 v2, v3, v2 bitop3:0x54
	s_delay_alu instid0(VALU_DEP_1) | instskip(NEXT) | instid1(VALU_DEP_1)
	v_cvt_f32_u32_e32 v2, v2
	v_ldexp_f32 v18, v2, v3
	s_branch .LBB126_3526
.LBB126_3524:
	s_mov_b32 s1, -1
                                        ; implicit-def: $vgpr18
.LBB126_3525:
	s_mov_b32 s7, 0
.LBB126_3526:
	s_delay_alu instid0(SALU_CYCLE_1)
	s_and_b32 vcc_lo, exec_lo, s7
	s_cbranch_vccz .LBB126_3544
; %bb.3527:
	s_cmp_lt_i32 s0, 27
	s_cbranch_scc1 .LBB126_3530
; %bb.3528:
	s_cmp_gt_i32 s0, 27
	s_cbranch_scc0 .LBB126_3531
; %bb.3529:
	global_load_b32 v2, v[0:1], off
	s_mov_b32 s6, 0
	s_wait_loadcnt 0x0
	v_cvt_f32_u32_e32 v18, v2
	s_branch .LBB126_3532
.LBB126_3530:
	s_mov_b32 s6, -1
                                        ; implicit-def: $vgpr18
	s_branch .LBB126_3535
.LBB126_3531:
	s_mov_b32 s6, -1
                                        ; implicit-def: $vgpr18
.LBB126_3532:
	s_delay_alu instid0(SALU_CYCLE_1)
	s_and_not1_b32 vcc_lo, exec_lo, s6
	s_cbranch_vccnz .LBB126_3534
; %bb.3533:
	global_load_u16 v2, v[0:1], off
	s_wait_loadcnt 0x0
	v_cvt_f32_u32_e32 v18, v2
.LBB126_3534:
	s_mov_b32 s6, 0
.LBB126_3535:
	s_delay_alu instid0(SALU_CYCLE_1)
	s_and_not1_b32 vcc_lo, exec_lo, s6
	s_cbranch_vccnz .LBB126_3543
; %bb.3536:
	global_load_u8 v2, v[0:1], off
	s_mov_b32 s6, 0
	s_mov_b32 s7, exec_lo
	s_wait_loadcnt 0x0
	v_cmpx_lt_i16_e32 0x7f, v2
	s_xor_b32 s7, exec_lo, s7
	s_cbranch_execz .LBB126_3557
; %bb.3537:
	s_mov_b32 s6, -1
	s_mov_b32 s8, exec_lo
	v_cmpx_eq_u16_e32 0x80, v2
; %bb.3538:
	s_xor_b32 s6, exec_lo, -1
; %bb.3539:
	s_or_b32 exec_lo, exec_lo, s8
	s_delay_alu instid0(SALU_CYCLE_1)
	s_and_b32 s6, s6, exec_lo
	s_or_saveexec_b32 s7, s7
	v_mov_b32_e32 v18, 0x7f800001
	s_xor_b32 exec_lo, exec_lo, s7
	s_cbranch_execnz .LBB126_3558
.LBB126_3540:
	s_or_b32 exec_lo, exec_lo, s7
	s_and_saveexec_b32 s7, s6
	s_cbranch_execz .LBB126_3542
.LBB126_3541:
	v_and_b32_e32 v3, 0xffff, v2
	s_delay_alu instid0(VALU_DEP_1) | instskip(SKIP_1) | instid1(VALU_DEP_2)
	v_and_b32_e32 v4, 7, v3
	v_bfe_u32 v19, v3, 3, 4
	v_clz_i32_u32_e32 v5, v4
	s_delay_alu instid0(VALU_DEP_2) | instskip(NEXT) | instid1(VALU_DEP_2)
	v_cmp_eq_u32_e32 vcc_lo, 0, v19
	v_min_u32_e32 v5, 32, v5
	s_delay_alu instid0(VALU_DEP_1) | instskip(NEXT) | instid1(VALU_DEP_1)
	v_subrev_nc_u32_e32 v18, 28, v5
	v_dual_lshlrev_b32 v3, v18, v3 :: v_dual_sub_nc_u32 v5, 29, v5
	s_delay_alu instid0(VALU_DEP_1) | instskip(NEXT) | instid1(VALU_DEP_1)
	v_dual_lshlrev_b32 v2, 24, v2 :: v_dual_bitop2_b32 v3, 7, v3 bitop3:0x40
	v_dual_cndmask_b32 v5, v19, v5, vcc_lo :: v_dual_cndmask_b32 v3, v4, v3, vcc_lo
	s_delay_alu instid0(VALU_DEP_2) | instskip(NEXT) | instid1(VALU_DEP_2)
	v_and_b32_e32 v2, 0x80000000, v2
	v_lshl_add_u32 v4, v5, 23, 0x3b800000
	s_delay_alu instid0(VALU_DEP_3) | instskip(NEXT) | instid1(VALU_DEP_1)
	v_lshlrev_b32_e32 v3, 20, v3
	v_or3_b32 v18, v2, v4, v3
.LBB126_3542:
	s_or_b32 exec_lo, exec_lo, s7
.LBB126_3543:
	s_mov_b32 s6, -1
.LBB126_3544:
	s_mov_b32 s7, 0
.LBB126_3545:
	s_delay_alu instid0(SALU_CYCLE_1)
	s_and_b32 vcc_lo, exec_lo, s7
	s_cbranch_vccz .LBB126_3578
; %bb.3546:
	s_cmp_gt_i32 s0, 22
	s_cbranch_scc0 .LBB126_3556
; %bb.3547:
	s_cmp_lt_i32 s0, 24
	s_cbranch_scc1 .LBB126_3559
; %bb.3548:
	s_cmp_gt_i32 s0, 24
	s_cbranch_scc0 .LBB126_3560
; %bb.3549:
	global_load_u8 v2, v[0:1], off
	s_mov_b32 s6, exec_lo
	s_wait_loadcnt 0x0
	v_cmpx_lt_i16_e32 0x7f, v2
	s_xor_b32 s6, exec_lo, s6
	s_cbranch_execz .LBB126_3572
; %bb.3550:
	s_mov_b32 s2, -1
	s_mov_b32 s7, exec_lo
	v_cmpx_eq_u16_e32 0x80, v2
; %bb.3551:
	s_xor_b32 s2, exec_lo, -1
; %bb.3552:
	s_or_b32 exec_lo, exec_lo, s7
	s_delay_alu instid0(SALU_CYCLE_1)
	s_and_b32 s2, s2, exec_lo
	s_or_saveexec_b32 s6, s6
	v_mov_b32_e32 v18, 0x7f800001
	s_xor_b32 exec_lo, exec_lo, s6
	s_cbranch_execnz .LBB126_3573
.LBB126_3553:
	s_or_b32 exec_lo, exec_lo, s6
	s_and_saveexec_b32 s6, s2
	s_cbranch_execz .LBB126_3555
.LBB126_3554:
	v_and_b32_e32 v3, 0xffff, v2
	s_delay_alu instid0(VALU_DEP_1) | instskip(SKIP_1) | instid1(VALU_DEP_2)
	v_and_b32_e32 v4, 3, v3
	v_bfe_u32 v19, v3, 2, 5
	v_clz_i32_u32_e32 v5, v4
	s_delay_alu instid0(VALU_DEP_2) | instskip(NEXT) | instid1(VALU_DEP_2)
	v_cmp_eq_u32_e32 vcc_lo, 0, v19
	v_min_u32_e32 v5, 32, v5
	s_delay_alu instid0(VALU_DEP_1) | instskip(NEXT) | instid1(VALU_DEP_1)
	v_subrev_nc_u32_e32 v18, 29, v5
	v_dual_lshlrev_b32 v3, v18, v3 :: v_dual_sub_nc_u32 v5, 30, v5
	s_delay_alu instid0(VALU_DEP_1) | instskip(NEXT) | instid1(VALU_DEP_1)
	v_dual_lshlrev_b32 v2, 24, v2 :: v_dual_bitop2_b32 v3, 3, v3 bitop3:0x40
	v_dual_cndmask_b32 v5, v19, v5, vcc_lo :: v_dual_cndmask_b32 v3, v4, v3, vcc_lo
	s_delay_alu instid0(VALU_DEP_2) | instskip(NEXT) | instid1(VALU_DEP_2)
	v_and_b32_e32 v2, 0x80000000, v2
	v_lshl_add_u32 v4, v5, 23, 0x37800000
	s_delay_alu instid0(VALU_DEP_3) | instskip(NEXT) | instid1(VALU_DEP_1)
	v_lshlrev_b32_e32 v3, 21, v3
	v_or3_b32 v18, v2, v4, v3
.LBB126_3555:
	s_or_b32 exec_lo, exec_lo, s6
	s_mov_b32 s2, 0
	s_branch .LBB126_3561
.LBB126_3556:
	s_mov_b32 s2, -1
                                        ; implicit-def: $vgpr18
	s_branch .LBB126_3567
.LBB126_3557:
	s_or_saveexec_b32 s7, s7
	v_mov_b32_e32 v18, 0x7f800001
	s_xor_b32 exec_lo, exec_lo, s7
	s_cbranch_execz .LBB126_3540
.LBB126_3558:
	v_cmp_ne_u16_e32 vcc_lo, 0, v2
	v_mov_b32_e32 v18, 0
	s_and_not1_b32 s6, s6, exec_lo
	s_and_b32 s8, vcc_lo, exec_lo
	s_delay_alu instid0(SALU_CYCLE_1)
	s_or_b32 s6, s6, s8
	s_or_b32 exec_lo, exec_lo, s7
	s_and_saveexec_b32 s7, s6
	s_cbranch_execnz .LBB126_3541
	s_branch .LBB126_3542
.LBB126_3559:
	s_mov_b32 s2, -1
                                        ; implicit-def: $vgpr18
	s_branch .LBB126_3564
.LBB126_3560:
	s_mov_b32 s2, -1
                                        ; implicit-def: $vgpr18
.LBB126_3561:
	s_delay_alu instid0(SALU_CYCLE_1)
	s_and_b32 vcc_lo, exec_lo, s2
	s_cbranch_vccz .LBB126_3563
; %bb.3562:
	global_load_u8 v2, v[0:1], off
	s_wait_loadcnt 0x0
	v_lshlrev_b32_e32 v2, 24, v2
	s_delay_alu instid0(VALU_DEP_1) | instskip(NEXT) | instid1(VALU_DEP_1)
	v_and_b32_e32 v3, 0x7f000000, v2
	v_clz_i32_u32_e32 v4, v3
	v_cmp_ne_u32_e32 vcc_lo, 0, v3
	v_add_nc_u32_e32 v18, 0x1000000, v3
	s_delay_alu instid0(VALU_DEP_3) | instskip(NEXT) | instid1(VALU_DEP_1)
	v_min_u32_e32 v4, 32, v4
	v_sub_nc_u32_e64 v4, v4, 4 clamp
	s_delay_alu instid0(VALU_DEP_1) | instskip(NEXT) | instid1(VALU_DEP_1)
	v_dual_lshlrev_b32 v5, v4, v3 :: v_dual_lshlrev_b32 v4, 23, v4
	v_lshrrev_b32_e32 v5, 4, v5
	s_delay_alu instid0(VALU_DEP_1) | instskip(NEXT) | instid1(VALU_DEP_1)
	v_dual_sub_nc_u32 v4, v5, v4 :: v_dual_ashrrev_i32 v5, 8, v18
	v_add_nc_u32_e32 v4, 0x3c000000, v4
	s_delay_alu instid0(VALU_DEP_1) | instskip(NEXT) | instid1(VALU_DEP_1)
	v_and_or_b32 v4, 0x7f800000, v5, v4
	v_cndmask_b32_e32 v3, 0, v4, vcc_lo
	s_delay_alu instid0(VALU_DEP_1)
	v_and_or_b32 v18, 0x80000000, v2, v3
.LBB126_3563:
	s_mov_b32 s2, 0
.LBB126_3564:
	s_delay_alu instid0(SALU_CYCLE_1)
	s_and_not1_b32 vcc_lo, exec_lo, s2
	s_cbranch_vccnz .LBB126_3566
; %bb.3565:
	global_load_u8 v2, v[0:1], off
	s_wait_loadcnt 0x0
	v_lshlrev_b32_e32 v3, 25, v2
	v_lshlrev_b16 v2, 8, v2
	s_delay_alu instid0(VALU_DEP_1) | instskip(SKIP_1) | instid1(VALU_DEP_2)
	v_and_or_b32 v5, 0x7f00, v2, 0.5
	v_bfe_i32 v2, v2, 0, 16
	v_dual_add_f32 v5, -0.5, v5 :: v_dual_lshrrev_b32 v4, 4, v3
	v_cmp_gt_u32_e32 vcc_lo, 0x8000000, v3
	s_delay_alu instid0(VALU_DEP_2) | instskip(NEXT) | instid1(VALU_DEP_1)
	v_or_b32_e32 v4, 0x70000000, v4
	v_mul_f32_e32 v4, 0x7800000, v4
	s_delay_alu instid0(VALU_DEP_1) | instskip(NEXT) | instid1(VALU_DEP_1)
	v_cndmask_b32_e32 v3, v4, v5, vcc_lo
	v_and_or_b32 v18, 0x80000000, v2, v3
.LBB126_3566:
	s_mov_b32 s2, 0
	s_mov_b32 s6, -1
.LBB126_3567:
	s_and_not1_b32 vcc_lo, exec_lo, s2
	s_mov_b32 s2, 0
	s_cbranch_vccnz .LBB126_3578
; %bb.3568:
	s_cmp_gt_i32 s0, 14
	s_cbranch_scc0 .LBB126_3571
; %bb.3569:
	s_cmp_eq_u32 s0, 15
	s_cbranch_scc0 .LBB126_3574
; %bb.3570:
	global_load_u16 v2, v[0:1], off
	s_mov_b32 s1, 0
	s_mov_b32 s6, -1
	s_wait_loadcnt 0x0
	v_lshlrev_b32_e32 v18, 16, v2
	s_branch .LBB126_3576
.LBB126_3571:
	s_mov_b32 s2, -1
	s_branch .LBB126_3575
.LBB126_3572:
	s_or_saveexec_b32 s6, s6
	v_mov_b32_e32 v18, 0x7f800001
	s_xor_b32 exec_lo, exec_lo, s6
	s_cbranch_execz .LBB126_3553
.LBB126_3573:
	v_cmp_ne_u16_e32 vcc_lo, 0, v2
	v_mov_b32_e32 v18, 0
	s_and_not1_b32 s2, s2, exec_lo
	s_and_b32 s7, vcc_lo, exec_lo
	s_delay_alu instid0(SALU_CYCLE_1)
	s_or_b32 s2, s2, s7
	s_or_b32 exec_lo, exec_lo, s6
	s_and_saveexec_b32 s6, s2
	s_cbranch_execnz .LBB126_3554
	s_branch .LBB126_3555
.LBB126_3574:
	s_mov_b32 s1, -1
.LBB126_3575:
                                        ; implicit-def: $vgpr18
.LBB126_3576:
	s_and_b32 vcc_lo, exec_lo, s2
	s_mov_b32 s2, 0
	s_cbranch_vccz .LBB126_3578
; %bb.3577:
	s_cmp_lg_u32 s0, 11
	s_mov_b32 s2, -1
	s_cselect_b32 s1, -1, 0
.LBB126_3578:
	s_delay_alu instid0(SALU_CYCLE_1)
	s_and_b32 vcc_lo, exec_lo, s1
	s_cbranch_vccnz .LBB126_4111
; %bb.3579:
	s_and_not1_b32 vcc_lo, exec_lo, s2
	s_cbranch_vccnz .LBB126_3581
.LBB126_3580:
	global_load_u8 v2, v[0:1], off
	s_mov_b32 s6, -1
	s_wait_loadcnt 0x0
	v_cmp_ne_u16_e32 vcc_lo, 0, v2
	v_cndmask_b32_e64 v18, 0, 1.0, vcc_lo
.LBB126_3581:
	s_mov_b32 s1, 0
.LBB126_3582:
	s_delay_alu instid0(SALU_CYCLE_1)
	s_and_b32 vcc_lo, exec_lo, s1
	s_cbranch_vccz .LBB126_3631
; %bb.3583:
	s_cmp_lt_i32 s0, 5
	s_cbranch_scc1 .LBB126_3588
; %bb.3584:
	s_cmp_lt_i32 s0, 8
	s_cbranch_scc1 .LBB126_3589
	;; [unrolled: 3-line block ×3, first 2 shown]
; %bb.3586:
	s_cmp_gt_i32 s0, 9
	s_cbranch_scc0 .LBB126_3591
; %bb.3587:
	global_load_b64 v[2:3], v[0:1], off
	s_mov_b32 s1, 0
	s_wait_loadcnt 0x0
	v_cvt_f32_f64_e32 v18, v[2:3]
	s_branch .LBB126_3592
.LBB126_3588:
	s_mov_b32 s1, -1
                                        ; implicit-def: $vgpr18
	s_branch .LBB126_3610
.LBB126_3589:
	s_mov_b32 s1, -1
                                        ; implicit-def: $vgpr18
	s_branch .LBB126_3598
.LBB126_3590:
	s_mov_b32 s1, -1
                                        ; implicit-def: $vgpr18
	s_branch .LBB126_3595
.LBB126_3591:
	s_mov_b32 s1, -1
                                        ; implicit-def: $vgpr18
.LBB126_3592:
	s_delay_alu instid0(SALU_CYCLE_1)
	s_and_not1_b32 vcc_lo, exec_lo, s1
	s_cbranch_vccnz .LBB126_3594
; %bb.3593:
	global_load_b32 v18, v[0:1], off
.LBB126_3594:
	s_mov_b32 s1, 0
.LBB126_3595:
	s_delay_alu instid0(SALU_CYCLE_1)
	s_and_not1_b32 vcc_lo, exec_lo, s1
	s_cbranch_vccnz .LBB126_3597
; %bb.3596:
	global_load_b32 v2, v[0:1], off
	s_wait_loadcnt 0x0
	v_cvt_f32_f16_e32 v18, v2
.LBB126_3597:
	s_mov_b32 s1, 0
.LBB126_3598:
	s_delay_alu instid0(SALU_CYCLE_1)
	s_and_not1_b32 vcc_lo, exec_lo, s1
	s_cbranch_vccnz .LBB126_3609
; %bb.3599:
	s_cmp_lt_i32 s0, 6
	s_cbranch_scc1 .LBB126_3602
; %bb.3600:
	s_cmp_gt_i32 s0, 6
	s_cbranch_scc0 .LBB126_3603
; %bb.3601:
	global_load_b64 v[2:3], v[0:1], off
	s_mov_b32 s1, 0
	s_wait_loadcnt 0x0
	v_cvt_f32_f64_e32 v18, v[2:3]
	s_branch .LBB126_3604
.LBB126_3602:
	s_mov_b32 s1, -1
                                        ; implicit-def: $vgpr18
	s_branch .LBB126_3607
.LBB126_3603:
	s_mov_b32 s1, -1
                                        ; implicit-def: $vgpr18
.LBB126_3604:
	s_delay_alu instid0(SALU_CYCLE_1)
	s_and_not1_b32 vcc_lo, exec_lo, s1
	s_cbranch_vccnz .LBB126_3606
; %bb.3605:
	s_wait_loadcnt 0x0
	global_load_b32 v18, v[0:1], off
.LBB126_3606:
	s_mov_b32 s1, 0
.LBB126_3607:
	s_delay_alu instid0(SALU_CYCLE_1)
	s_and_not1_b32 vcc_lo, exec_lo, s1
	s_cbranch_vccnz .LBB126_3609
; %bb.3608:
	global_load_u16 v2, v[0:1], off
	s_wait_loadcnt 0x0
	v_cvt_f32_f16_e32 v18, v2
.LBB126_3609:
	s_mov_b32 s1, 0
.LBB126_3610:
	s_delay_alu instid0(SALU_CYCLE_1)
	s_and_not1_b32 vcc_lo, exec_lo, s1
	s_cbranch_vccnz .LBB126_3630
; %bb.3611:
	s_cmp_lt_i32 s0, 2
	s_cbranch_scc1 .LBB126_3615
; %bb.3612:
	s_cmp_lt_i32 s0, 3
	s_cbranch_scc1 .LBB126_3616
; %bb.3613:
	s_cmp_gt_i32 s0, 3
	s_cbranch_scc0 .LBB126_3617
; %bb.3614:
	global_load_b64 v[2:3], v[0:1], off
	s_mov_b32 s1, 0
	s_wait_loadcnt 0x0
	v_xor_b32_e32 v4, v2, v3
	v_cls_i32_e32 v5, v3
	s_delay_alu instid0(VALU_DEP_2) | instskip(NEXT) | instid1(VALU_DEP_1)
	v_ashrrev_i32_e32 v4, 31, v4
	v_add_nc_u32_e32 v4, 32, v4
	s_delay_alu instid0(VALU_DEP_1) | instskip(NEXT) | instid1(VALU_DEP_1)
	v_add_min_u32_e64 v4, v5, -1, v4
	v_lshlrev_b64_e32 v[2:3], v4, v[2:3]
	s_delay_alu instid0(VALU_DEP_1) | instskip(NEXT) | instid1(VALU_DEP_1)
	v_min_u32_e32 v2, 1, v2
	v_dual_sub_nc_u32 v3, 32, v4 :: v_dual_bitop2_b32 v2, v3, v2 bitop3:0x54
	s_delay_alu instid0(VALU_DEP_1) | instskip(NEXT) | instid1(VALU_DEP_1)
	v_cvt_f32_i32_e32 v2, v2
	v_ldexp_f32 v18, v2, v3
	s_branch .LBB126_3618
.LBB126_3615:
	s_mov_b32 s1, -1
                                        ; implicit-def: $vgpr18
	s_branch .LBB126_3624
.LBB126_3616:
	s_mov_b32 s1, -1
                                        ; implicit-def: $vgpr18
	s_branch .LBB126_3621
.LBB126_3617:
	s_mov_b32 s1, -1
                                        ; implicit-def: $vgpr18
.LBB126_3618:
	s_delay_alu instid0(SALU_CYCLE_1)
	s_and_not1_b32 vcc_lo, exec_lo, s1
	s_cbranch_vccnz .LBB126_3620
; %bb.3619:
	global_load_b32 v2, v[0:1], off
	s_wait_loadcnt 0x0
	v_cvt_f32_i32_e32 v18, v2
.LBB126_3620:
	s_mov_b32 s1, 0
.LBB126_3621:
	s_delay_alu instid0(SALU_CYCLE_1)
	s_and_not1_b32 vcc_lo, exec_lo, s1
	s_cbranch_vccnz .LBB126_3623
; %bb.3622:
	global_load_i16 v2, v[0:1], off
	s_wait_loadcnt 0x0
	v_cvt_f32_i32_e32 v18, v2
.LBB126_3623:
	s_mov_b32 s1, 0
.LBB126_3624:
	s_delay_alu instid0(SALU_CYCLE_1)
	s_and_not1_b32 vcc_lo, exec_lo, s1
	s_cbranch_vccnz .LBB126_3630
; %bb.3625:
	s_cmp_gt_i32 s0, 0
	s_mov_b32 s0, 0
	s_cbranch_scc0 .LBB126_3627
; %bb.3626:
	global_load_i8 v2, v[0:1], off
	s_wait_loadcnt 0x0
	v_cvt_f32_i32_e32 v18, v2
	s_branch .LBB126_3628
.LBB126_3627:
	s_mov_b32 s0, -1
                                        ; implicit-def: $vgpr18
.LBB126_3628:
	s_delay_alu instid0(SALU_CYCLE_1)
	s_and_not1_b32 vcc_lo, exec_lo, s0
	s_cbranch_vccnz .LBB126_3630
; %bb.3629:
	global_load_u8 v0, v[0:1], off
	s_wait_loadcnt 0x0
	v_cvt_f32_ubyte0_e32 v18, v0
.LBB126_3630:
	s_mov_b32 s6, -1
.LBB126_3631:
	s_delay_alu instid0(SALU_CYCLE_1)
	s_and_not1_b32 vcc_lo, exec_lo, s6
	s_cbranch_vccnz .LBB126_4065
; %bb.3632:
	s_wait_xcnt 0x0
	v_mul_lo_u32 v0, s12, v8
	s_wait_loadcnt 0x0
	v_mul_f32_e32 v2, s17, v10
	s_and_b32 s22, s18, 0xff
	s_delay_alu instid0(SALU_CYCLE_1) | instskip(NEXT) | instid1(VALU_DEP_2)
	s_cmp_lt_i32 s22, 11
	v_ashrrev_i32_e32 v1, 31, v0
	s_delay_alu instid0(VALU_DEP_2) | instskip(NEXT) | instid1(VALU_DEP_2)
	v_mul_f32_e32 v4, v2, v12
	v_add_nc_u64_e32 v[2:3], s[4:5], v[0:1]
	s_delay_alu instid0(VALU_DEP_2)
	v_fmac_f32_e32 v4, s16, v9
	s_cbranch_scc1 .LBB126_3710
; %bb.3633:
	s_and_b32 s1, 0xffff, s22
	s_mov_b32 s7, -1
	s_mov_b32 s2, 0
	s_cmp_gt_i32 s1, 25
	s_mov_b32 s6, 0
	s_mov_b32 s0, 0
	s_cbranch_scc0 .LBB126_3666
; %bb.3634:
	s_cmp_gt_i32 s1, 28
	s_cbranch_scc0 .LBB126_3649
; %bb.3635:
	s_cmp_gt_i32 s1, 43
	;; [unrolled: 3-line block ×3, first 2 shown]
	s_cbranch_scc0 .LBB126_3639
; %bb.3637:
	s_mov_b32 s0, -1
	s_mov_b32 s7, 0
	s_cmp_eq_u32 s1, 46
	s_cbranch_scc0 .LBB126_3639
; %bb.3638:
	v_bfe_u32 v1, v4, 16, 1
	v_cmp_o_f32_e32 vcc_lo, v4, v4
	s_mov_b32 s0, 0
	s_mov_b32 s6, -1
	s_delay_alu instid0(VALU_DEP_2) | instskip(NEXT) | instid1(VALU_DEP_1)
	v_add3_u32 v1, v4, v1, 0x7fff
	v_lshrrev_b32_e32 v1, 16, v1
	s_delay_alu instid0(VALU_DEP_1)
	v_cndmask_b32_e32 v1, 0x7fc0, v1, vcc_lo
	global_store_b32 v[2:3], v1, off
.LBB126_3639:
	s_and_b32 vcc_lo, exec_lo, s7
	s_cbranch_vccz .LBB126_3644
; %bb.3640:
	s_cmp_eq_u32 s1, 44
	s_mov_b32 s0, -1
	s_cbranch_scc0 .LBB126_3644
; %bb.3641:
	v_bfe_u32 v5, v4, 23, 8
	s_wait_xcnt 0x0
	v_mov_b32_e32 v1, 0xff
	s_mov_b32 s6, exec_lo
	s_delay_alu instid0(VALU_DEP_2)
	v_cmpx_ne_u32_e32 0xff, v5
	s_cbranch_execz .LBB126_3643
; %bb.3642:
	v_and_b32_e32 v1, 0x400000, v4
	v_and_or_b32 v5, 0x3fffff, v4, v5
	s_delay_alu instid0(VALU_DEP_2) | instskip(NEXT) | instid1(VALU_DEP_2)
	v_cmp_ne_u32_e32 vcc_lo, 0, v1
	v_cmp_ne_u32_e64 s0, 0, v5
	v_lshrrev_b32_e32 v1, 23, v4
	s_and_b32 s0, vcc_lo, s0
	s_delay_alu instid0(SALU_CYCLE_1) | instskip(NEXT) | instid1(VALU_DEP_1)
	v_cndmask_b32_e64 v5, 0, 1, s0
	v_add_nc_u32_e32 v1, v1, v5
.LBB126_3643:
	s_or_b32 exec_lo, exec_lo, s6
	s_mov_b32 s0, 0
	s_mov_b32 s6, -1
	global_store_b8 v[2:3], v1, off
.LBB126_3644:
	s_mov_b32 s7, 0
.LBB126_3645:
	s_delay_alu instid0(SALU_CYCLE_1)
	s_and_b32 vcc_lo, exec_lo, s7
	s_cbranch_vccz .LBB126_3648
; %bb.3646:
	s_cmp_eq_u32 s1, 29
	s_mov_b32 s0, -1
	s_cbranch_scc0 .LBB126_3648
; %bb.3647:
	s_wait_xcnt 0x0
	v_trunc_f32_e32 v1, v4
	s_mov_b32 s0, 0
	s_mov_b32 s6, -1
	s_delay_alu instid0(VALU_DEP_1) | instskip(NEXT) | instid1(VALU_DEP_1)
	v_mul_f32_e32 v5, 0x2f800000, v1
	v_floor_f32_e32 v5, v5
	s_delay_alu instid0(VALU_DEP_1) | instskip(SKIP_1) | instid1(VALU_DEP_2)
	v_fmamk_f32 v1, v5, 0xcf800000, v1
	v_cvt_u32_f32_e32 v9, v5
	v_cvt_u32_f32_e32 v8, v1
	global_store_b64 v[2:3], v[8:9], off
.LBB126_3648:
	s_mov_b32 s7, 0
.LBB126_3649:
	s_delay_alu instid0(SALU_CYCLE_1)
	s_and_b32 vcc_lo, exec_lo, s7
	s_cbranch_vccz .LBB126_3665
; %bb.3650:
	s_cmp_lt_i32 s1, 27
	s_mov_b32 s6, -1
	s_cbranch_scc1 .LBB126_3656
; %bb.3651:
	s_wait_xcnt 0x0
	v_cvt_u32_f32_e32 v1, v4
	s_cmp_gt_i32 s1, 27
	s_cbranch_scc0 .LBB126_3653
; %bb.3652:
	s_mov_b32 s6, 0
	global_store_b32 v[2:3], v1, off
.LBB126_3653:
	s_and_not1_b32 vcc_lo, exec_lo, s6
	s_cbranch_vccnz .LBB126_3655
; %bb.3654:
	global_store_b16 v[2:3], v1, off
.LBB126_3655:
	s_mov_b32 s6, 0
.LBB126_3656:
	s_delay_alu instid0(SALU_CYCLE_1)
	s_and_not1_b32 vcc_lo, exec_lo, s6
	s_cbranch_vccnz .LBB126_3664
; %bb.3657:
	s_wait_xcnt 0x0
	v_and_b32_e32 v1, 0x7fffffff, v4
	v_mov_b32_e32 v5, 0x80
	s_mov_b32 s6, exec_lo
	s_delay_alu instid0(VALU_DEP_2)
	v_cmpx_gt_u32_e32 0x43800000, v1
	s_cbranch_execz .LBB126_3663
; %bb.3658:
	v_cmp_lt_u32_e32 vcc_lo, 0x3bffffff, v1
	s_mov_b32 s7, 0
                                        ; implicit-def: $vgpr1
	s_and_saveexec_b32 s8, vcc_lo
	s_delay_alu instid0(SALU_CYCLE_1)
	s_xor_b32 s8, exec_lo, s8
	s_cbranch_execz .LBB126_4112
; %bb.3659:
	v_bfe_u32 v1, v4, 20, 1
	s_mov_b32 s7, exec_lo
	s_delay_alu instid0(VALU_DEP_1) | instskip(NEXT) | instid1(VALU_DEP_1)
	v_add3_u32 v1, v4, v1, 0x487ffff
	v_lshrrev_b32_e32 v1, 20, v1
	s_and_not1_saveexec_b32 s8, s8
	s_cbranch_execnz .LBB126_4113
.LBB126_3660:
	s_or_b32 exec_lo, exec_lo, s8
	v_mov_b32_e32 v5, 0
	s_and_saveexec_b32 s8, s7
.LBB126_3661:
	v_lshrrev_b32_e32 v5, 24, v4
	s_delay_alu instid0(VALU_DEP_1)
	v_and_or_b32 v5, 0x80, v5, v1
.LBB126_3662:
	s_or_b32 exec_lo, exec_lo, s8
.LBB126_3663:
	s_delay_alu instid0(SALU_CYCLE_1)
	s_or_b32 exec_lo, exec_lo, s6
	global_store_b8 v[2:3], v5, off
.LBB126_3664:
	s_mov_b32 s6, -1
.LBB126_3665:
	s_mov_b32 s7, 0
.LBB126_3666:
	s_delay_alu instid0(SALU_CYCLE_1)
	s_and_b32 vcc_lo, exec_lo, s7
	s_cbranch_vccz .LBB126_3706
; %bb.3667:
	s_cmp_gt_i32 s1, 22
	s_mov_b32 s2, -1
	s_cbranch_scc0 .LBB126_3699
; %bb.3668:
	s_cmp_lt_i32 s1, 24
	s_cbranch_scc1 .LBB126_3688
; %bb.3669:
	s_cmp_gt_i32 s1, 24
	s_cbranch_scc0 .LBB126_3677
; %bb.3670:
	s_wait_xcnt 0x0
	v_and_b32_e32 v1, 0x7fffffff, v4
	v_mov_b32_e32 v5, 0x80
	s_mov_b32 s2, exec_lo
	s_delay_alu instid0(VALU_DEP_2)
	v_cmpx_gt_u32_e32 0x47800000, v1
	s_cbranch_execz .LBB126_3676
; %bb.3671:
	v_cmp_lt_u32_e32 vcc_lo, 0x37ffffff, v1
	s_mov_b32 s6, 0
                                        ; implicit-def: $vgpr1
	s_and_saveexec_b32 s7, vcc_lo
	s_delay_alu instid0(SALU_CYCLE_1)
	s_xor_b32 s7, exec_lo, s7
	s_cbranch_execz .LBB126_4115
; %bb.3672:
	v_bfe_u32 v1, v4, 21, 1
	s_mov_b32 s6, exec_lo
	s_delay_alu instid0(VALU_DEP_1) | instskip(NEXT) | instid1(VALU_DEP_1)
	v_add3_u32 v1, v4, v1, 0x88fffff
	v_lshrrev_b32_e32 v1, 21, v1
	s_and_not1_saveexec_b32 s7, s7
	s_cbranch_execnz .LBB126_4116
.LBB126_3673:
	s_or_b32 exec_lo, exec_lo, s7
	v_mov_b32_e32 v5, 0
	s_and_saveexec_b32 s7, s6
.LBB126_3674:
	v_lshrrev_b32_e32 v5, 24, v4
	s_delay_alu instid0(VALU_DEP_1)
	v_and_or_b32 v5, 0x80, v5, v1
.LBB126_3675:
	s_or_b32 exec_lo, exec_lo, s7
.LBB126_3676:
	s_delay_alu instid0(SALU_CYCLE_1)
	s_or_b32 exec_lo, exec_lo, s2
	s_mov_b32 s2, 0
	global_store_b8 v[2:3], v5, off
.LBB126_3677:
	s_and_b32 vcc_lo, exec_lo, s2
	s_cbranch_vccz .LBB126_3687
; %bb.3678:
	s_wait_xcnt 0x0
	v_and_b32_e32 v5, 0x7fffffff, v4
	s_mov_b32 s2, exec_lo
                                        ; implicit-def: $vgpr1
	s_delay_alu instid0(VALU_DEP_1)
	v_cmpx_gt_u32_e32 0x43f00000, v5
	s_xor_b32 s2, exec_lo, s2
	s_cbranch_execz .LBB126_3684
; %bb.3679:
	s_mov_b32 s6, exec_lo
                                        ; implicit-def: $vgpr1
	v_cmpx_lt_u32_e32 0x3c7fffff, v5
	s_xor_b32 s6, exec_lo, s6
; %bb.3680:
	v_bfe_u32 v1, v4, 20, 1
	s_delay_alu instid0(VALU_DEP_1) | instskip(NEXT) | instid1(VALU_DEP_1)
	v_add3_u32 v1, v4, v1, 0x407ffff
	v_and_b32_e32 v5, 0xff00000, v1
	v_lshrrev_b32_e32 v1, 20, v1
	s_delay_alu instid0(VALU_DEP_2) | instskip(NEXT) | instid1(VALU_DEP_2)
	v_cmp_ne_u32_e32 vcc_lo, 0x7f00000, v5
	v_cndmask_b32_e32 v1, 0x7e, v1, vcc_lo
; %bb.3681:
	s_and_not1_saveexec_b32 s6, s6
; %bb.3682:
	v_add_f32_e64 v1, 0x46800000, |v4|
; %bb.3683:
	s_or_b32 exec_lo, exec_lo, s6
                                        ; implicit-def: $vgpr5
.LBB126_3684:
	s_and_not1_saveexec_b32 s2, s2
; %bb.3685:
	v_mov_b32_e32 v1, 0x7f
	v_cmp_lt_u32_e32 vcc_lo, 0x7f800000, v5
	s_delay_alu instid0(VALU_DEP_2)
	v_cndmask_b32_e32 v1, 0x7e, v1, vcc_lo
; %bb.3686:
	s_or_b32 exec_lo, exec_lo, s2
	v_lshrrev_b32_e32 v5, 24, v4
	s_delay_alu instid0(VALU_DEP_1)
	v_and_or_b32 v1, 0x80, v5, v1
	global_store_b8 v[2:3], v1, off
.LBB126_3687:
	s_mov_b32 s2, 0
.LBB126_3688:
	s_delay_alu instid0(SALU_CYCLE_1)
	s_and_not1_b32 vcc_lo, exec_lo, s2
	s_cbranch_vccnz .LBB126_3698
; %bb.3689:
	s_wait_xcnt 0x0
	v_and_b32_e32 v5, 0x7fffffff, v4
	s_mov_b32 s2, exec_lo
                                        ; implicit-def: $vgpr1
	s_delay_alu instid0(VALU_DEP_1)
	v_cmpx_gt_u32_e32 0x47800000, v5
	s_xor_b32 s2, exec_lo, s2
	s_cbranch_execz .LBB126_3695
; %bb.3690:
	s_mov_b32 s6, exec_lo
                                        ; implicit-def: $vgpr1
	v_cmpx_lt_u32_e32 0x387fffff, v5
	s_xor_b32 s6, exec_lo, s6
; %bb.3691:
	v_bfe_u32 v1, v4, 21, 1
	s_delay_alu instid0(VALU_DEP_1) | instskip(NEXT) | instid1(VALU_DEP_1)
	v_add3_u32 v1, v4, v1, 0x80fffff
	v_lshrrev_b32_e32 v1, 21, v1
; %bb.3692:
	s_and_not1_saveexec_b32 s6, s6
; %bb.3693:
	v_add_f32_e64 v1, 0x43000000, |v4|
; %bb.3694:
	s_or_b32 exec_lo, exec_lo, s6
                                        ; implicit-def: $vgpr5
.LBB126_3695:
	s_and_not1_saveexec_b32 s2, s2
; %bb.3696:
	v_mov_b32_e32 v1, 0x7f
	v_cmp_lt_u32_e32 vcc_lo, 0x7f800000, v5
	s_delay_alu instid0(VALU_DEP_2)
	v_cndmask_b32_e32 v1, 0x7c, v1, vcc_lo
; %bb.3697:
	s_or_b32 exec_lo, exec_lo, s2
	v_lshrrev_b32_e32 v5, 24, v4
	s_delay_alu instid0(VALU_DEP_1)
	v_and_or_b32 v1, 0x80, v5, v1
	global_store_b8 v[2:3], v1, off
.LBB126_3698:
	s_mov_b32 s2, 0
	s_mov_b32 s6, -1
.LBB126_3699:
	s_and_not1_b32 vcc_lo, exec_lo, s2
	s_mov_b32 s2, 0
	s_cbranch_vccnz .LBB126_3706
; %bb.3700:
	s_cmp_gt_i32 s1, 14
	s_mov_b32 s2, -1
	s_cbranch_scc0 .LBB126_3704
; %bb.3701:
	s_cmp_eq_u32 s1, 15
	s_mov_b32 s0, -1
	s_cbranch_scc0 .LBB126_3703
; %bb.3702:
	s_wait_xcnt 0x0
	v_bfe_u32 v1, v4, 16, 1
	v_cmp_o_f32_e32 vcc_lo, v4, v4
	s_mov_b32 s0, 0
	s_mov_b32 s6, -1
	s_delay_alu instid0(VALU_DEP_2) | instskip(NEXT) | instid1(VALU_DEP_1)
	v_add3_u32 v1, v4, v1, 0x7fff
	v_lshrrev_b32_e32 v1, 16, v1
	s_delay_alu instid0(VALU_DEP_1)
	v_cndmask_b32_e32 v1, 0x7fc0, v1, vcc_lo
	global_store_b16 v[2:3], v1, off
.LBB126_3703:
	s_mov_b32 s2, 0
.LBB126_3704:
	s_delay_alu instid0(SALU_CYCLE_1)
	s_and_b32 vcc_lo, exec_lo, s2
	s_mov_b32 s2, 0
	s_cbranch_vccz .LBB126_3706
; %bb.3705:
	s_cmp_lg_u32 s1, 11
	s_mov_b32 s2, -1
	s_cselect_b32 s0, -1, 0
.LBB126_3706:
	s_delay_alu instid0(SALU_CYCLE_1)
	s_and_b32 vcc_lo, exec_lo, s0
	s_cbranch_vccnz .LBB126_4114
; %bb.3707:
	s_and_not1_b32 vcc_lo, exec_lo, s2
	s_cbranch_vccnz .LBB126_3709
.LBB126_3708:
	v_cmp_neq_f32_e32 vcc_lo, 0, v4
	s_mov_b32 s6, -1
	s_wait_xcnt 0x0
	v_cndmask_b32_e64 v1, 0, 1, vcc_lo
	global_store_b8 v[2:3], v1, off
.LBB126_3709:
	s_mov_b32 s0, 0
	s_branch .LBB126_3711
.LBB126_3710:
	s_mov_b32 s0, -1
	s_mov_b32 s6, 0
.LBB126_3711:
	s_and_b32 vcc_lo, exec_lo, s0
	s_cbranch_vccz .LBB126_3750
; %bb.3712:
	s_and_b32 s0, 0xffff, s22
	s_mov_b32 s1, -1
	s_cmp_lt_i32 s0, 5
	s_cbranch_scc1 .LBB126_3733
; %bb.3713:
	s_cmp_lt_i32 s0, 8
	s_cbranch_scc1 .LBB126_3723
; %bb.3714:
	;; [unrolled: 3-line block ×3, first 2 shown]
	s_cmp_gt_i32 s0, 9
	s_cbranch_scc0 .LBB126_3717
; %bb.3716:
	v_cvt_f64_f32_e32 v[20:21], v4
	v_mov_b32_e32 v22, 0
	s_mov_b32 s1, 0
	s_delay_alu instid0(VALU_DEP_1)
	v_mov_b32_e32 v23, v22
	global_store_b128 v[2:3], v[20:23], off
.LBB126_3717:
	s_and_not1_b32 vcc_lo, exec_lo, s1
	s_cbranch_vccnz .LBB126_3719
; %bb.3718:
	s_wait_xcnt 0x0
	v_mov_b32_e32 v5, 0
	global_store_b64 v[2:3], v[4:5], off
.LBB126_3719:
	s_mov_b32 s1, 0
.LBB126_3720:
	s_delay_alu instid0(SALU_CYCLE_1)
	s_and_not1_b32 vcc_lo, exec_lo, s1
	s_cbranch_vccnz .LBB126_3722
; %bb.3721:
	s_wait_xcnt 0x0
	v_cvt_f16_f32_e32 v1, v4
	s_delay_alu instid0(VALU_DEP_1)
	v_and_b32_e32 v1, 0xffff, v1
	global_store_b32 v[2:3], v1, off
.LBB126_3722:
	s_mov_b32 s1, 0
.LBB126_3723:
	s_delay_alu instid0(SALU_CYCLE_1)
	s_and_not1_b32 vcc_lo, exec_lo, s1
	s_cbranch_vccnz .LBB126_3732
; %bb.3724:
	s_cmp_lt_i32 s0, 6
	s_mov_b32 s1, -1
	s_cbranch_scc1 .LBB126_3730
; %bb.3725:
	s_cmp_gt_i32 s0, 6
	s_cbranch_scc0 .LBB126_3727
; %bb.3726:
	s_wait_xcnt 0x0
	v_cvt_f64_f32_e32 v[8:9], v4
	s_mov_b32 s1, 0
	global_store_b64 v[2:3], v[8:9], off
.LBB126_3727:
	s_and_not1_b32 vcc_lo, exec_lo, s1
	s_cbranch_vccnz .LBB126_3729
; %bb.3728:
	global_store_b32 v[2:3], v4, off
.LBB126_3729:
	s_mov_b32 s1, 0
.LBB126_3730:
	s_delay_alu instid0(SALU_CYCLE_1)
	s_and_not1_b32 vcc_lo, exec_lo, s1
	s_cbranch_vccnz .LBB126_3732
; %bb.3731:
	s_wait_xcnt 0x0
	v_cvt_f16_f32_e32 v1, v4
	global_store_b16 v[2:3], v1, off
.LBB126_3732:
	s_mov_b32 s1, 0
.LBB126_3733:
	s_delay_alu instid0(SALU_CYCLE_1)
	s_and_not1_b32 vcc_lo, exec_lo, s1
	s_cbranch_vccnz .LBB126_3749
; %bb.3734:
	s_cmp_lt_i32 s0, 2
	s_mov_b32 s1, -1
	s_cbranch_scc1 .LBB126_3744
; %bb.3735:
	s_cmp_lt_i32 s0, 3
	s_cbranch_scc1 .LBB126_3741
; %bb.3736:
	s_cmp_gt_i32 s0, 3
	s_cbranch_scc0 .LBB126_3738
; %bb.3737:
	s_wait_xcnt 0x0
	v_trunc_f32_e32 v1, v4
	s_mov_b32 s1, 0
	s_delay_alu instid0(VALU_DEP_1) | instskip(SKIP_1) | instid1(VALU_DEP_2)
	v_mul_f32_e64 v5, 0x2f800000, |v1|
	v_ashrrev_i32_e32 v8, 31, v1
	v_floor_f32_e32 v5, v5
	s_delay_alu instid0(VALU_DEP_1) | instskip(SKIP_1) | instid1(VALU_DEP_2)
	v_fma_f32 v9, 0xcf800000, v5, |v1|
	v_cvt_u32_f32_e32 v1, v5
	v_cvt_u32_f32_e32 v5, v9
	s_delay_alu instid0(VALU_DEP_2) | instskip(NEXT) | instid1(VALU_DEP_2)
	v_dual_mov_b32 v9, v8 :: v_dual_bitop2_b32 v21, v1, v8 bitop3:0x14
	v_xor_b32_e32 v20, v5, v8
	s_delay_alu instid0(VALU_DEP_1)
	v_sub_nc_u64_e32 v[8:9], v[20:21], v[8:9]
	global_store_b64 v[2:3], v[8:9], off
.LBB126_3738:
	s_and_not1_b32 vcc_lo, exec_lo, s1
	s_cbranch_vccnz .LBB126_3740
; %bb.3739:
	s_wait_xcnt 0x0
	v_cvt_i32_f32_e32 v1, v4
	global_store_b32 v[2:3], v1, off
.LBB126_3740:
	s_mov_b32 s1, 0
.LBB126_3741:
	s_delay_alu instid0(SALU_CYCLE_1)
	s_and_not1_b32 vcc_lo, exec_lo, s1
	s_cbranch_vccnz .LBB126_3743
; %bb.3742:
	s_wait_xcnt 0x0
	v_cvt_i32_f32_e32 v1, v4
	global_store_b16 v[2:3], v1, off
.LBB126_3743:
	s_mov_b32 s1, 0
.LBB126_3744:
	s_delay_alu instid0(SALU_CYCLE_1)
	s_and_not1_b32 vcc_lo, exec_lo, s1
	s_cbranch_vccnz .LBB126_3749
; %bb.3745:
	s_cmp_gt_i32 s0, 0
	s_mov_b32 s0, -1
	s_cbranch_scc0 .LBB126_3747
; %bb.3746:
	s_wait_xcnt 0x0
	v_cvt_i32_f32_e32 v1, v4
	s_mov_b32 s0, 0
	global_store_b8 v[2:3], v1, off
.LBB126_3747:
	s_and_not1_b32 vcc_lo, exec_lo, s0
	s_cbranch_vccnz .LBB126_3749
; %bb.3748:
	s_wait_xcnt 0x0
	v_trunc_f32_e32 v1, v4
	s_delay_alu instid0(VALU_DEP_1) | instskip(NEXT) | instid1(VALU_DEP_1)
	v_mul_f32_e64 v4, 0x2f800000, |v1|
	v_floor_f32_e32 v4, v4
	s_delay_alu instid0(VALU_DEP_1) | instskip(SKIP_1) | instid1(VALU_DEP_2)
	v_fma_f32 v4, 0xcf800000, v4, |v1|
	v_ashrrev_i32_e32 v1, 31, v1
	v_cvt_u32_f32_e32 v4, v4
	s_delay_alu instid0(VALU_DEP_1) | instskip(NEXT) | instid1(VALU_DEP_1)
	v_xor_b32_e32 v4, v4, v1
	v_sub_nc_u32_e32 v1, v4, v1
	global_store_b8 v[2:3], v1, off
.LBB126_3749:
	s_mov_b32 s6, -1
.LBB126_3750:
	s_delay_alu instid0(SALU_CYCLE_1)
	s_and_not1_b32 vcc_lo, exec_lo, s6
	s_cbranch_vccnz .LBB126_4065
; %bb.3751:
	s_lshl_b32 s1, s12, 7
	s_cmp_lt_i32 s22, 11
	s_wait_xcnt 0x0
	v_dual_add_nc_u32 v0, s1, v0 :: v_dual_mul_f32 v2, s17, v13
	s_delay_alu instid0(VALU_DEP_1) | instskip(NEXT) | instid1(VALU_DEP_1)
	v_dual_mul_f32 v4, v2, v15 :: v_dual_ashrrev_i32 v1, 31, v0
	v_add_nc_u64_e32 v[2:3], s[4:5], v[0:1]
	s_delay_alu instid0(VALU_DEP_2)
	v_fmac_f32_e32 v4, s16, v11
	s_cbranch_scc1 .LBB126_3829
; %bb.3752:
	s_and_b32 s2, 0xffff, s22
	s_mov_b32 s8, -1
	s_mov_b32 s6, 0
	s_cmp_gt_i32 s2, 25
	s_mov_b32 s7, 0
	s_mov_b32 s0, 0
	s_cbranch_scc0 .LBB126_3785
; %bb.3753:
	s_cmp_gt_i32 s2, 28
	s_cbranch_scc0 .LBB126_3768
; %bb.3754:
	s_cmp_gt_i32 s2, 43
	;; [unrolled: 3-line block ×3, first 2 shown]
	s_cbranch_scc0 .LBB126_3758
; %bb.3756:
	s_mov_b32 s0, -1
	s_mov_b32 s8, 0
	s_cmp_eq_u32 s2, 46
	s_cbranch_scc0 .LBB126_3758
; %bb.3757:
	v_bfe_u32 v1, v4, 16, 1
	v_cmp_o_f32_e32 vcc_lo, v4, v4
	s_mov_b32 s0, 0
	s_mov_b32 s7, -1
	s_delay_alu instid0(VALU_DEP_2) | instskip(NEXT) | instid1(VALU_DEP_1)
	v_add3_u32 v1, v4, v1, 0x7fff
	v_lshrrev_b32_e32 v1, 16, v1
	s_delay_alu instid0(VALU_DEP_1)
	v_cndmask_b32_e32 v1, 0x7fc0, v1, vcc_lo
	global_store_b32 v[2:3], v1, off
.LBB126_3758:
	s_and_b32 vcc_lo, exec_lo, s8
	s_cbranch_vccz .LBB126_3763
; %bb.3759:
	s_cmp_eq_u32 s2, 44
	s_mov_b32 s0, -1
	s_cbranch_scc0 .LBB126_3763
; %bb.3760:
	v_bfe_u32 v5, v4, 23, 8
	s_wait_xcnt 0x0
	v_mov_b32_e32 v1, 0xff
	s_mov_b32 s7, exec_lo
	s_delay_alu instid0(VALU_DEP_2)
	v_cmpx_ne_u32_e32 0xff, v5
	s_cbranch_execz .LBB126_3762
; %bb.3761:
	v_and_b32_e32 v1, 0x400000, v4
	v_and_or_b32 v5, 0x3fffff, v4, v5
	s_delay_alu instid0(VALU_DEP_2) | instskip(NEXT) | instid1(VALU_DEP_2)
	v_cmp_ne_u32_e32 vcc_lo, 0, v1
	v_cmp_ne_u32_e64 s0, 0, v5
	v_lshrrev_b32_e32 v1, 23, v4
	s_and_b32 s0, vcc_lo, s0
	s_delay_alu instid0(SALU_CYCLE_1) | instskip(NEXT) | instid1(VALU_DEP_1)
	v_cndmask_b32_e64 v5, 0, 1, s0
	v_add_nc_u32_e32 v1, v1, v5
.LBB126_3762:
	s_or_b32 exec_lo, exec_lo, s7
	s_mov_b32 s0, 0
	s_mov_b32 s7, -1
	global_store_b8 v[2:3], v1, off
.LBB126_3763:
	s_mov_b32 s8, 0
.LBB126_3764:
	s_delay_alu instid0(SALU_CYCLE_1)
	s_and_b32 vcc_lo, exec_lo, s8
	s_cbranch_vccz .LBB126_3767
; %bb.3765:
	s_cmp_eq_u32 s2, 29
	s_mov_b32 s0, -1
	s_cbranch_scc0 .LBB126_3767
; %bb.3766:
	s_wait_xcnt 0x0
	v_trunc_f32_e32 v1, v4
	s_mov_b32 s0, 0
	s_mov_b32 s7, -1
	s_delay_alu instid0(VALU_DEP_1) | instskip(NEXT) | instid1(VALU_DEP_1)
	v_mul_f32_e32 v5, 0x2f800000, v1
	v_floor_f32_e32 v5, v5
	s_delay_alu instid0(VALU_DEP_1) | instskip(SKIP_1) | instid1(VALU_DEP_2)
	v_fmamk_f32 v1, v5, 0xcf800000, v1
	v_cvt_u32_f32_e32 v9, v5
	v_cvt_u32_f32_e32 v8, v1
	global_store_b64 v[2:3], v[8:9], off
.LBB126_3767:
	s_mov_b32 s8, 0
.LBB126_3768:
	s_delay_alu instid0(SALU_CYCLE_1)
	s_and_b32 vcc_lo, exec_lo, s8
	s_cbranch_vccz .LBB126_3784
; %bb.3769:
	s_cmp_lt_i32 s2, 27
	s_mov_b32 s7, -1
	s_cbranch_scc1 .LBB126_3775
; %bb.3770:
	s_wait_xcnt 0x0
	v_cvt_u32_f32_e32 v1, v4
	s_cmp_gt_i32 s2, 27
	s_cbranch_scc0 .LBB126_3772
; %bb.3771:
	s_mov_b32 s7, 0
	global_store_b32 v[2:3], v1, off
.LBB126_3772:
	s_and_not1_b32 vcc_lo, exec_lo, s7
	s_cbranch_vccnz .LBB126_3774
; %bb.3773:
	global_store_b16 v[2:3], v1, off
.LBB126_3774:
	s_mov_b32 s7, 0
.LBB126_3775:
	s_delay_alu instid0(SALU_CYCLE_1)
	s_and_not1_b32 vcc_lo, exec_lo, s7
	s_cbranch_vccnz .LBB126_3783
; %bb.3776:
	s_wait_xcnt 0x0
	v_and_b32_e32 v1, 0x7fffffff, v4
	v_mov_b32_e32 v5, 0x80
	s_mov_b32 s7, exec_lo
	s_delay_alu instid0(VALU_DEP_2)
	v_cmpx_gt_u32_e32 0x43800000, v1
	s_cbranch_execz .LBB126_3782
; %bb.3777:
	v_cmp_lt_u32_e32 vcc_lo, 0x3bffffff, v1
	s_mov_b32 s8, 0
                                        ; implicit-def: $vgpr1
	s_and_saveexec_b32 s9, vcc_lo
	s_delay_alu instid0(SALU_CYCLE_1)
	s_xor_b32 s9, exec_lo, s9
	s_cbranch_execz .LBB126_4117
; %bb.3778:
	v_bfe_u32 v1, v4, 20, 1
	s_mov_b32 s8, exec_lo
	s_delay_alu instid0(VALU_DEP_1) | instskip(NEXT) | instid1(VALU_DEP_1)
	v_add3_u32 v1, v4, v1, 0x487ffff
	v_lshrrev_b32_e32 v1, 20, v1
	s_and_not1_saveexec_b32 s9, s9
	s_cbranch_execnz .LBB126_4118
.LBB126_3779:
	s_or_b32 exec_lo, exec_lo, s9
	v_mov_b32_e32 v5, 0
	s_and_saveexec_b32 s9, s8
.LBB126_3780:
	v_lshrrev_b32_e32 v5, 24, v4
	s_delay_alu instid0(VALU_DEP_1)
	v_and_or_b32 v5, 0x80, v5, v1
.LBB126_3781:
	s_or_b32 exec_lo, exec_lo, s9
.LBB126_3782:
	s_delay_alu instid0(SALU_CYCLE_1)
	s_or_b32 exec_lo, exec_lo, s7
	global_store_b8 v[2:3], v5, off
.LBB126_3783:
	s_mov_b32 s7, -1
.LBB126_3784:
	s_mov_b32 s8, 0
.LBB126_3785:
	s_delay_alu instid0(SALU_CYCLE_1)
	s_and_b32 vcc_lo, exec_lo, s8
	s_cbranch_vccz .LBB126_3825
; %bb.3786:
	s_cmp_gt_i32 s2, 22
	s_mov_b32 s6, -1
	s_cbranch_scc0 .LBB126_3818
; %bb.3787:
	s_cmp_lt_i32 s2, 24
	s_cbranch_scc1 .LBB126_3807
; %bb.3788:
	s_cmp_gt_i32 s2, 24
	s_cbranch_scc0 .LBB126_3796
; %bb.3789:
	s_wait_xcnt 0x0
	v_and_b32_e32 v1, 0x7fffffff, v4
	v_mov_b32_e32 v5, 0x80
	s_mov_b32 s6, exec_lo
	s_delay_alu instid0(VALU_DEP_2)
	v_cmpx_gt_u32_e32 0x47800000, v1
	s_cbranch_execz .LBB126_3795
; %bb.3790:
	v_cmp_lt_u32_e32 vcc_lo, 0x37ffffff, v1
	s_mov_b32 s7, 0
                                        ; implicit-def: $vgpr1
	s_and_saveexec_b32 s8, vcc_lo
	s_delay_alu instid0(SALU_CYCLE_1)
	s_xor_b32 s8, exec_lo, s8
	s_cbranch_execz .LBB126_4120
; %bb.3791:
	v_bfe_u32 v1, v4, 21, 1
	s_mov_b32 s7, exec_lo
	s_delay_alu instid0(VALU_DEP_1) | instskip(NEXT) | instid1(VALU_DEP_1)
	v_add3_u32 v1, v4, v1, 0x88fffff
	v_lshrrev_b32_e32 v1, 21, v1
	s_and_not1_saveexec_b32 s8, s8
	s_cbranch_execnz .LBB126_4121
.LBB126_3792:
	s_or_b32 exec_lo, exec_lo, s8
	v_mov_b32_e32 v5, 0
	s_and_saveexec_b32 s8, s7
.LBB126_3793:
	v_lshrrev_b32_e32 v5, 24, v4
	s_delay_alu instid0(VALU_DEP_1)
	v_and_or_b32 v5, 0x80, v5, v1
.LBB126_3794:
	s_or_b32 exec_lo, exec_lo, s8
.LBB126_3795:
	s_delay_alu instid0(SALU_CYCLE_1)
	s_or_b32 exec_lo, exec_lo, s6
	s_mov_b32 s6, 0
	global_store_b8 v[2:3], v5, off
.LBB126_3796:
	s_and_b32 vcc_lo, exec_lo, s6
	s_cbranch_vccz .LBB126_3806
; %bb.3797:
	s_wait_xcnt 0x0
	v_and_b32_e32 v5, 0x7fffffff, v4
	s_mov_b32 s6, exec_lo
                                        ; implicit-def: $vgpr1
	s_delay_alu instid0(VALU_DEP_1)
	v_cmpx_gt_u32_e32 0x43f00000, v5
	s_xor_b32 s6, exec_lo, s6
	s_cbranch_execz .LBB126_3803
; %bb.3798:
	s_mov_b32 s7, exec_lo
                                        ; implicit-def: $vgpr1
	v_cmpx_lt_u32_e32 0x3c7fffff, v5
	s_xor_b32 s7, exec_lo, s7
; %bb.3799:
	v_bfe_u32 v1, v4, 20, 1
	s_delay_alu instid0(VALU_DEP_1) | instskip(NEXT) | instid1(VALU_DEP_1)
	v_add3_u32 v1, v4, v1, 0x407ffff
	v_and_b32_e32 v5, 0xff00000, v1
	v_lshrrev_b32_e32 v1, 20, v1
	s_delay_alu instid0(VALU_DEP_2) | instskip(NEXT) | instid1(VALU_DEP_2)
	v_cmp_ne_u32_e32 vcc_lo, 0x7f00000, v5
	v_cndmask_b32_e32 v1, 0x7e, v1, vcc_lo
; %bb.3800:
	s_and_not1_saveexec_b32 s7, s7
; %bb.3801:
	v_add_f32_e64 v1, 0x46800000, |v4|
; %bb.3802:
	s_or_b32 exec_lo, exec_lo, s7
                                        ; implicit-def: $vgpr5
.LBB126_3803:
	s_and_not1_saveexec_b32 s6, s6
; %bb.3804:
	v_mov_b32_e32 v1, 0x7f
	v_cmp_lt_u32_e32 vcc_lo, 0x7f800000, v5
	s_delay_alu instid0(VALU_DEP_2)
	v_cndmask_b32_e32 v1, 0x7e, v1, vcc_lo
; %bb.3805:
	s_or_b32 exec_lo, exec_lo, s6
	v_lshrrev_b32_e32 v5, 24, v4
	s_delay_alu instid0(VALU_DEP_1)
	v_and_or_b32 v1, 0x80, v5, v1
	global_store_b8 v[2:3], v1, off
.LBB126_3806:
	s_mov_b32 s6, 0
.LBB126_3807:
	s_delay_alu instid0(SALU_CYCLE_1)
	s_and_not1_b32 vcc_lo, exec_lo, s6
	s_cbranch_vccnz .LBB126_3817
; %bb.3808:
	s_wait_xcnt 0x0
	v_and_b32_e32 v5, 0x7fffffff, v4
	s_mov_b32 s6, exec_lo
                                        ; implicit-def: $vgpr1
	s_delay_alu instid0(VALU_DEP_1)
	v_cmpx_gt_u32_e32 0x47800000, v5
	s_xor_b32 s6, exec_lo, s6
	s_cbranch_execz .LBB126_3814
; %bb.3809:
	s_mov_b32 s7, exec_lo
                                        ; implicit-def: $vgpr1
	v_cmpx_lt_u32_e32 0x387fffff, v5
	s_xor_b32 s7, exec_lo, s7
; %bb.3810:
	v_bfe_u32 v1, v4, 21, 1
	s_delay_alu instid0(VALU_DEP_1) | instskip(NEXT) | instid1(VALU_DEP_1)
	v_add3_u32 v1, v4, v1, 0x80fffff
	v_lshrrev_b32_e32 v1, 21, v1
; %bb.3811:
	s_and_not1_saveexec_b32 s7, s7
; %bb.3812:
	v_add_f32_e64 v1, 0x43000000, |v4|
; %bb.3813:
	s_or_b32 exec_lo, exec_lo, s7
                                        ; implicit-def: $vgpr5
.LBB126_3814:
	s_and_not1_saveexec_b32 s6, s6
; %bb.3815:
	v_mov_b32_e32 v1, 0x7f
	v_cmp_lt_u32_e32 vcc_lo, 0x7f800000, v5
	s_delay_alu instid0(VALU_DEP_2)
	v_cndmask_b32_e32 v1, 0x7c, v1, vcc_lo
; %bb.3816:
	s_or_b32 exec_lo, exec_lo, s6
	v_lshrrev_b32_e32 v5, 24, v4
	s_delay_alu instid0(VALU_DEP_1)
	v_and_or_b32 v1, 0x80, v5, v1
	global_store_b8 v[2:3], v1, off
.LBB126_3817:
	s_mov_b32 s6, 0
	s_mov_b32 s7, -1
.LBB126_3818:
	s_and_not1_b32 vcc_lo, exec_lo, s6
	s_mov_b32 s6, 0
	s_cbranch_vccnz .LBB126_3825
; %bb.3819:
	s_cmp_gt_i32 s2, 14
	s_mov_b32 s6, -1
	s_cbranch_scc0 .LBB126_3823
; %bb.3820:
	s_cmp_eq_u32 s2, 15
	s_mov_b32 s0, -1
	s_cbranch_scc0 .LBB126_3822
; %bb.3821:
	s_wait_xcnt 0x0
	v_bfe_u32 v1, v4, 16, 1
	v_cmp_o_f32_e32 vcc_lo, v4, v4
	s_mov_b32 s0, 0
	s_mov_b32 s7, -1
	s_delay_alu instid0(VALU_DEP_2) | instskip(NEXT) | instid1(VALU_DEP_1)
	v_add3_u32 v1, v4, v1, 0x7fff
	v_lshrrev_b32_e32 v1, 16, v1
	s_delay_alu instid0(VALU_DEP_1)
	v_cndmask_b32_e32 v1, 0x7fc0, v1, vcc_lo
	global_store_b16 v[2:3], v1, off
.LBB126_3822:
	s_mov_b32 s6, 0
.LBB126_3823:
	s_delay_alu instid0(SALU_CYCLE_1)
	s_and_b32 vcc_lo, exec_lo, s6
	s_mov_b32 s6, 0
	s_cbranch_vccz .LBB126_3825
; %bb.3824:
	s_cmp_lg_u32 s2, 11
	s_mov_b32 s6, -1
	s_cselect_b32 s0, -1, 0
.LBB126_3825:
	s_delay_alu instid0(SALU_CYCLE_1)
	s_and_b32 vcc_lo, exec_lo, s0
	s_cbranch_vccnz .LBB126_4119
; %bb.3826:
	s_and_not1_b32 vcc_lo, exec_lo, s6
	s_cbranch_vccnz .LBB126_3828
.LBB126_3827:
	v_cmp_neq_f32_e32 vcc_lo, 0, v4
	s_mov_b32 s7, -1
	s_wait_xcnt 0x0
	v_cndmask_b32_e64 v1, 0, 1, vcc_lo
	global_store_b8 v[2:3], v1, off
.LBB126_3828:
	s_mov_b32 s0, 0
	s_branch .LBB126_3830
.LBB126_3829:
	s_mov_b32 s0, -1
	s_mov_b32 s7, 0
.LBB126_3830:
	s_and_b32 vcc_lo, exec_lo, s0
	s_cbranch_vccz .LBB126_3869
; %bb.3831:
	s_and_b32 s0, 0xffff, s22
	s_mov_b32 s2, -1
	s_cmp_lt_i32 s0, 5
	s_cbranch_scc1 .LBB126_3852
; %bb.3832:
	s_cmp_lt_i32 s0, 8
	s_cbranch_scc1 .LBB126_3842
; %bb.3833:
	;; [unrolled: 3-line block ×3, first 2 shown]
	s_cmp_gt_i32 s0, 9
	s_cbranch_scc0 .LBB126_3836
; %bb.3835:
	s_wait_xcnt 0x0
	v_cvt_f64_f32_e32 v[8:9], v4
	v_mov_b32_e32 v10, 0
	s_mov_b32 s2, 0
	s_delay_alu instid0(VALU_DEP_1)
	v_mov_b32_e32 v11, v10
	global_store_b128 v[2:3], v[8:11], off
.LBB126_3836:
	s_and_not1_b32 vcc_lo, exec_lo, s2
	s_cbranch_vccnz .LBB126_3838
; %bb.3837:
	s_wait_xcnt 0x0
	v_mov_b32_e32 v5, 0
	global_store_b64 v[2:3], v[4:5], off
.LBB126_3838:
	s_mov_b32 s2, 0
.LBB126_3839:
	s_delay_alu instid0(SALU_CYCLE_1)
	s_and_not1_b32 vcc_lo, exec_lo, s2
	s_cbranch_vccnz .LBB126_3841
; %bb.3840:
	s_wait_xcnt 0x0
	v_cvt_f16_f32_e32 v1, v4
	s_delay_alu instid0(VALU_DEP_1)
	v_and_b32_e32 v1, 0xffff, v1
	global_store_b32 v[2:3], v1, off
.LBB126_3841:
	s_mov_b32 s2, 0
.LBB126_3842:
	s_delay_alu instid0(SALU_CYCLE_1)
	s_and_not1_b32 vcc_lo, exec_lo, s2
	s_cbranch_vccnz .LBB126_3851
; %bb.3843:
	s_cmp_lt_i32 s0, 6
	s_mov_b32 s2, -1
	s_cbranch_scc1 .LBB126_3849
; %bb.3844:
	s_cmp_gt_i32 s0, 6
	s_cbranch_scc0 .LBB126_3846
; %bb.3845:
	s_wait_xcnt 0x0
	v_cvt_f64_f32_e32 v[8:9], v4
	s_mov_b32 s2, 0
	global_store_b64 v[2:3], v[8:9], off
.LBB126_3846:
	s_and_not1_b32 vcc_lo, exec_lo, s2
	s_cbranch_vccnz .LBB126_3848
; %bb.3847:
	global_store_b32 v[2:3], v4, off
.LBB126_3848:
	s_mov_b32 s2, 0
.LBB126_3849:
	s_delay_alu instid0(SALU_CYCLE_1)
	s_and_not1_b32 vcc_lo, exec_lo, s2
	s_cbranch_vccnz .LBB126_3851
; %bb.3850:
	s_wait_xcnt 0x0
	v_cvt_f16_f32_e32 v1, v4
	global_store_b16 v[2:3], v1, off
.LBB126_3851:
	s_mov_b32 s2, 0
.LBB126_3852:
	s_delay_alu instid0(SALU_CYCLE_1)
	s_and_not1_b32 vcc_lo, exec_lo, s2
	s_cbranch_vccnz .LBB126_3868
; %bb.3853:
	s_cmp_lt_i32 s0, 2
	s_mov_b32 s2, -1
	s_cbranch_scc1 .LBB126_3863
; %bb.3854:
	s_cmp_lt_i32 s0, 3
	s_cbranch_scc1 .LBB126_3860
; %bb.3855:
	s_cmp_gt_i32 s0, 3
	s_cbranch_scc0 .LBB126_3857
; %bb.3856:
	s_wait_xcnt 0x0
	v_trunc_f32_e32 v1, v4
	s_mov_b32 s2, 0
	s_delay_alu instid0(VALU_DEP_1) | instskip(SKIP_1) | instid1(VALU_DEP_2)
	v_mul_f32_e64 v5, 0x2f800000, |v1|
	v_ashrrev_i32_e32 v8, 31, v1
	v_floor_f32_e32 v5, v5
	s_delay_alu instid0(VALU_DEP_1) | instskip(SKIP_1) | instid1(VALU_DEP_2)
	v_fma_f32 v9, 0xcf800000, v5, |v1|
	v_cvt_u32_f32_e32 v1, v5
	v_cvt_u32_f32_e32 v5, v9
	s_delay_alu instid0(VALU_DEP_2) | instskip(NEXT) | instid1(VALU_DEP_2)
	v_dual_mov_b32 v9, v8 :: v_dual_bitop2_b32 v11, v1, v8 bitop3:0x14
	v_xor_b32_e32 v10, v5, v8
	s_delay_alu instid0(VALU_DEP_1)
	v_sub_nc_u64_e32 v[8:9], v[10:11], v[8:9]
	global_store_b64 v[2:3], v[8:9], off
.LBB126_3857:
	s_and_not1_b32 vcc_lo, exec_lo, s2
	s_cbranch_vccnz .LBB126_3859
; %bb.3858:
	s_wait_xcnt 0x0
	v_cvt_i32_f32_e32 v1, v4
	global_store_b32 v[2:3], v1, off
.LBB126_3859:
	s_mov_b32 s2, 0
.LBB126_3860:
	s_delay_alu instid0(SALU_CYCLE_1)
	s_and_not1_b32 vcc_lo, exec_lo, s2
	s_cbranch_vccnz .LBB126_3862
; %bb.3861:
	s_wait_xcnt 0x0
	v_cvt_i32_f32_e32 v1, v4
	global_store_b16 v[2:3], v1, off
.LBB126_3862:
	s_mov_b32 s2, 0
.LBB126_3863:
	s_delay_alu instid0(SALU_CYCLE_1)
	s_and_not1_b32 vcc_lo, exec_lo, s2
	s_cbranch_vccnz .LBB126_3868
; %bb.3864:
	s_cmp_gt_i32 s0, 0
	s_mov_b32 s0, -1
	s_cbranch_scc0 .LBB126_3866
; %bb.3865:
	s_wait_xcnt 0x0
	v_cvt_i32_f32_e32 v1, v4
	s_mov_b32 s0, 0
	global_store_b8 v[2:3], v1, off
.LBB126_3866:
	s_and_not1_b32 vcc_lo, exec_lo, s0
	s_cbranch_vccnz .LBB126_3868
; %bb.3867:
	s_wait_xcnt 0x0
	v_trunc_f32_e32 v1, v4
	s_delay_alu instid0(VALU_DEP_1) | instskip(NEXT) | instid1(VALU_DEP_1)
	v_mul_f32_e64 v4, 0x2f800000, |v1|
	v_floor_f32_e32 v4, v4
	s_delay_alu instid0(VALU_DEP_1) | instskip(SKIP_1) | instid1(VALU_DEP_2)
	v_fma_f32 v4, 0xcf800000, v4, |v1|
	v_ashrrev_i32_e32 v1, 31, v1
	v_cvt_u32_f32_e32 v4, v4
	s_delay_alu instid0(VALU_DEP_1) | instskip(NEXT) | instid1(VALU_DEP_1)
	v_xor_b32_e32 v4, v4, v1
	v_sub_nc_u32_e32 v1, v4, v1
	global_store_b8 v[2:3], v1, off
.LBB126_3868:
	s_mov_b32 s7, -1
.LBB126_3869:
	s_delay_alu instid0(SALU_CYCLE_1)
	s_and_not1_b32 vcc_lo, exec_lo, s7
	s_cbranch_vccnz .LBB126_4065
; %bb.3870:
	s_wait_xcnt 0x0
	v_mul_f32_e32 v2, s17, v16
	v_add_nc_u32_e32 v0, s1, v0
	s_cmp_lt_i32 s22, 11
	s_delay_alu instid0(VALU_DEP_1) | instskip(NEXT) | instid1(VALU_DEP_1)
	v_dual_mul_f32 v4, v2, v17 :: v_dual_ashrrev_i32 v1, 31, v0
	v_fmac_f32_e32 v4, s16, v14
	s_delay_alu instid0(VALU_DEP_2)
	v_add_nc_u64_e32 v[2:3], s[4:5], v[0:1]
	s_cbranch_scc1 .LBB126_3948
; %bb.3871:
	s_and_b32 s2, 0xffff, s22
	s_mov_b32 s8, -1
	s_mov_b32 s6, 0
	s_cmp_gt_i32 s2, 25
	s_mov_b32 s7, 0
	s_mov_b32 s0, 0
	s_cbranch_scc0 .LBB126_3904
; %bb.3872:
	s_cmp_gt_i32 s2, 28
	s_cbranch_scc0 .LBB126_3887
; %bb.3873:
	s_cmp_gt_i32 s2, 43
	;; [unrolled: 3-line block ×3, first 2 shown]
	s_cbranch_scc0 .LBB126_3877
; %bb.3875:
	s_mov_b32 s0, -1
	s_mov_b32 s8, 0
	s_cmp_eq_u32 s2, 46
	s_cbranch_scc0 .LBB126_3877
; %bb.3876:
	v_bfe_u32 v1, v4, 16, 1
	v_cmp_o_f32_e32 vcc_lo, v4, v4
	s_mov_b32 s0, 0
	s_mov_b32 s7, -1
	s_delay_alu instid0(VALU_DEP_2) | instskip(NEXT) | instid1(VALU_DEP_1)
	v_add3_u32 v1, v4, v1, 0x7fff
	v_lshrrev_b32_e32 v1, 16, v1
	s_delay_alu instid0(VALU_DEP_1)
	v_cndmask_b32_e32 v1, 0x7fc0, v1, vcc_lo
	global_store_b32 v[2:3], v1, off
.LBB126_3877:
	s_and_b32 vcc_lo, exec_lo, s8
	s_cbranch_vccz .LBB126_3882
; %bb.3878:
	s_cmp_eq_u32 s2, 44
	s_mov_b32 s0, -1
	s_cbranch_scc0 .LBB126_3882
; %bb.3879:
	v_bfe_u32 v5, v4, 23, 8
	s_wait_xcnt 0x0
	v_mov_b32_e32 v1, 0xff
	s_mov_b32 s7, exec_lo
	s_delay_alu instid0(VALU_DEP_2)
	v_cmpx_ne_u32_e32 0xff, v5
	s_cbranch_execz .LBB126_3881
; %bb.3880:
	v_and_b32_e32 v1, 0x400000, v4
	v_and_or_b32 v5, 0x3fffff, v4, v5
	s_delay_alu instid0(VALU_DEP_2) | instskip(NEXT) | instid1(VALU_DEP_2)
	v_cmp_ne_u32_e32 vcc_lo, 0, v1
	v_cmp_ne_u32_e64 s0, 0, v5
	v_lshrrev_b32_e32 v1, 23, v4
	s_and_b32 s0, vcc_lo, s0
	s_delay_alu instid0(SALU_CYCLE_1) | instskip(NEXT) | instid1(VALU_DEP_1)
	v_cndmask_b32_e64 v5, 0, 1, s0
	v_add_nc_u32_e32 v1, v1, v5
.LBB126_3881:
	s_or_b32 exec_lo, exec_lo, s7
	s_mov_b32 s0, 0
	s_mov_b32 s7, -1
	global_store_b8 v[2:3], v1, off
.LBB126_3882:
	s_mov_b32 s8, 0
.LBB126_3883:
	s_delay_alu instid0(SALU_CYCLE_1)
	s_and_b32 vcc_lo, exec_lo, s8
	s_cbranch_vccz .LBB126_3886
; %bb.3884:
	s_cmp_eq_u32 s2, 29
	s_mov_b32 s0, -1
	s_cbranch_scc0 .LBB126_3886
; %bb.3885:
	s_wait_xcnt 0x0
	v_trunc_f32_e32 v1, v4
	s_mov_b32 s0, 0
	s_mov_b32 s7, -1
	s_delay_alu instid0(VALU_DEP_1) | instskip(NEXT) | instid1(VALU_DEP_1)
	v_mul_f32_e32 v5, 0x2f800000, v1
	v_floor_f32_e32 v5, v5
	s_delay_alu instid0(VALU_DEP_1) | instskip(SKIP_1) | instid1(VALU_DEP_2)
	v_fmamk_f32 v1, v5, 0xcf800000, v1
	v_cvt_u32_f32_e32 v9, v5
	v_cvt_u32_f32_e32 v8, v1
	global_store_b64 v[2:3], v[8:9], off
.LBB126_3886:
	s_mov_b32 s8, 0
.LBB126_3887:
	s_delay_alu instid0(SALU_CYCLE_1)
	s_and_b32 vcc_lo, exec_lo, s8
	s_cbranch_vccz .LBB126_3903
; %bb.3888:
	s_cmp_lt_i32 s2, 27
	s_mov_b32 s7, -1
	s_cbranch_scc1 .LBB126_3894
; %bb.3889:
	s_wait_xcnt 0x0
	v_cvt_u32_f32_e32 v1, v4
	s_cmp_gt_i32 s2, 27
	s_cbranch_scc0 .LBB126_3891
; %bb.3890:
	s_mov_b32 s7, 0
	global_store_b32 v[2:3], v1, off
.LBB126_3891:
	s_and_not1_b32 vcc_lo, exec_lo, s7
	s_cbranch_vccnz .LBB126_3893
; %bb.3892:
	global_store_b16 v[2:3], v1, off
.LBB126_3893:
	s_mov_b32 s7, 0
.LBB126_3894:
	s_delay_alu instid0(SALU_CYCLE_1)
	s_and_not1_b32 vcc_lo, exec_lo, s7
	s_cbranch_vccnz .LBB126_3902
; %bb.3895:
	s_wait_xcnt 0x0
	v_and_b32_e32 v1, 0x7fffffff, v4
	v_mov_b32_e32 v5, 0x80
	s_mov_b32 s7, exec_lo
	s_delay_alu instid0(VALU_DEP_2)
	v_cmpx_gt_u32_e32 0x43800000, v1
	s_cbranch_execz .LBB126_3901
; %bb.3896:
	v_cmp_lt_u32_e32 vcc_lo, 0x3bffffff, v1
	s_mov_b32 s8, 0
                                        ; implicit-def: $vgpr1
	s_and_saveexec_b32 s9, vcc_lo
	s_delay_alu instid0(SALU_CYCLE_1)
	s_xor_b32 s9, exec_lo, s9
	s_cbranch_execz .LBB126_4122
; %bb.3897:
	v_bfe_u32 v1, v4, 20, 1
	s_mov_b32 s8, exec_lo
	s_delay_alu instid0(VALU_DEP_1) | instskip(NEXT) | instid1(VALU_DEP_1)
	v_add3_u32 v1, v4, v1, 0x487ffff
	v_lshrrev_b32_e32 v1, 20, v1
	s_and_not1_saveexec_b32 s9, s9
	s_cbranch_execnz .LBB126_4123
.LBB126_3898:
	s_or_b32 exec_lo, exec_lo, s9
	v_mov_b32_e32 v5, 0
	s_and_saveexec_b32 s9, s8
.LBB126_3899:
	v_lshrrev_b32_e32 v5, 24, v4
	s_delay_alu instid0(VALU_DEP_1)
	v_and_or_b32 v5, 0x80, v5, v1
.LBB126_3900:
	s_or_b32 exec_lo, exec_lo, s9
.LBB126_3901:
	s_delay_alu instid0(SALU_CYCLE_1)
	s_or_b32 exec_lo, exec_lo, s7
	global_store_b8 v[2:3], v5, off
.LBB126_3902:
	s_mov_b32 s7, -1
.LBB126_3903:
	s_mov_b32 s8, 0
.LBB126_3904:
	s_delay_alu instid0(SALU_CYCLE_1)
	s_and_b32 vcc_lo, exec_lo, s8
	s_cbranch_vccz .LBB126_3944
; %bb.3905:
	s_cmp_gt_i32 s2, 22
	s_mov_b32 s6, -1
	s_cbranch_scc0 .LBB126_3937
; %bb.3906:
	s_cmp_lt_i32 s2, 24
	s_cbranch_scc1 .LBB126_3926
; %bb.3907:
	s_cmp_gt_i32 s2, 24
	s_cbranch_scc0 .LBB126_3915
; %bb.3908:
	s_wait_xcnt 0x0
	v_and_b32_e32 v1, 0x7fffffff, v4
	v_mov_b32_e32 v5, 0x80
	s_mov_b32 s6, exec_lo
	s_delay_alu instid0(VALU_DEP_2)
	v_cmpx_gt_u32_e32 0x47800000, v1
	s_cbranch_execz .LBB126_3914
; %bb.3909:
	v_cmp_lt_u32_e32 vcc_lo, 0x37ffffff, v1
	s_mov_b32 s7, 0
                                        ; implicit-def: $vgpr1
	s_and_saveexec_b32 s8, vcc_lo
	s_delay_alu instid0(SALU_CYCLE_1)
	s_xor_b32 s8, exec_lo, s8
	s_cbranch_execz .LBB126_4125
; %bb.3910:
	v_bfe_u32 v1, v4, 21, 1
	s_mov_b32 s7, exec_lo
	s_delay_alu instid0(VALU_DEP_1) | instskip(NEXT) | instid1(VALU_DEP_1)
	v_add3_u32 v1, v4, v1, 0x88fffff
	v_lshrrev_b32_e32 v1, 21, v1
	s_and_not1_saveexec_b32 s8, s8
	s_cbranch_execnz .LBB126_4126
.LBB126_3911:
	s_or_b32 exec_lo, exec_lo, s8
	v_mov_b32_e32 v5, 0
	s_and_saveexec_b32 s8, s7
.LBB126_3912:
	v_lshrrev_b32_e32 v5, 24, v4
	s_delay_alu instid0(VALU_DEP_1)
	v_and_or_b32 v5, 0x80, v5, v1
.LBB126_3913:
	s_or_b32 exec_lo, exec_lo, s8
.LBB126_3914:
	s_delay_alu instid0(SALU_CYCLE_1)
	s_or_b32 exec_lo, exec_lo, s6
	s_mov_b32 s6, 0
	global_store_b8 v[2:3], v5, off
.LBB126_3915:
	s_and_b32 vcc_lo, exec_lo, s6
	s_cbranch_vccz .LBB126_3925
; %bb.3916:
	s_wait_xcnt 0x0
	v_and_b32_e32 v5, 0x7fffffff, v4
	s_mov_b32 s6, exec_lo
                                        ; implicit-def: $vgpr1
	s_delay_alu instid0(VALU_DEP_1)
	v_cmpx_gt_u32_e32 0x43f00000, v5
	s_xor_b32 s6, exec_lo, s6
	s_cbranch_execz .LBB126_3922
; %bb.3917:
	s_mov_b32 s7, exec_lo
                                        ; implicit-def: $vgpr1
	v_cmpx_lt_u32_e32 0x3c7fffff, v5
	s_xor_b32 s7, exec_lo, s7
; %bb.3918:
	v_bfe_u32 v1, v4, 20, 1
	s_delay_alu instid0(VALU_DEP_1) | instskip(NEXT) | instid1(VALU_DEP_1)
	v_add3_u32 v1, v4, v1, 0x407ffff
	v_and_b32_e32 v5, 0xff00000, v1
	v_lshrrev_b32_e32 v1, 20, v1
	s_delay_alu instid0(VALU_DEP_2) | instskip(NEXT) | instid1(VALU_DEP_2)
	v_cmp_ne_u32_e32 vcc_lo, 0x7f00000, v5
	v_cndmask_b32_e32 v1, 0x7e, v1, vcc_lo
; %bb.3919:
	s_and_not1_saveexec_b32 s7, s7
; %bb.3920:
	v_add_f32_e64 v1, 0x46800000, |v4|
; %bb.3921:
	s_or_b32 exec_lo, exec_lo, s7
                                        ; implicit-def: $vgpr5
.LBB126_3922:
	s_and_not1_saveexec_b32 s6, s6
; %bb.3923:
	v_mov_b32_e32 v1, 0x7f
	v_cmp_lt_u32_e32 vcc_lo, 0x7f800000, v5
	s_delay_alu instid0(VALU_DEP_2)
	v_cndmask_b32_e32 v1, 0x7e, v1, vcc_lo
; %bb.3924:
	s_or_b32 exec_lo, exec_lo, s6
	v_lshrrev_b32_e32 v5, 24, v4
	s_delay_alu instid0(VALU_DEP_1)
	v_and_or_b32 v1, 0x80, v5, v1
	global_store_b8 v[2:3], v1, off
.LBB126_3925:
	s_mov_b32 s6, 0
.LBB126_3926:
	s_delay_alu instid0(SALU_CYCLE_1)
	s_and_not1_b32 vcc_lo, exec_lo, s6
	s_cbranch_vccnz .LBB126_3936
; %bb.3927:
	s_wait_xcnt 0x0
	v_and_b32_e32 v5, 0x7fffffff, v4
	s_mov_b32 s6, exec_lo
                                        ; implicit-def: $vgpr1
	s_delay_alu instid0(VALU_DEP_1)
	v_cmpx_gt_u32_e32 0x47800000, v5
	s_xor_b32 s6, exec_lo, s6
	s_cbranch_execz .LBB126_3933
; %bb.3928:
	s_mov_b32 s7, exec_lo
                                        ; implicit-def: $vgpr1
	v_cmpx_lt_u32_e32 0x387fffff, v5
	s_xor_b32 s7, exec_lo, s7
; %bb.3929:
	v_bfe_u32 v1, v4, 21, 1
	s_delay_alu instid0(VALU_DEP_1) | instskip(NEXT) | instid1(VALU_DEP_1)
	v_add3_u32 v1, v4, v1, 0x80fffff
	v_lshrrev_b32_e32 v1, 21, v1
; %bb.3930:
	s_and_not1_saveexec_b32 s7, s7
; %bb.3931:
	v_add_f32_e64 v1, 0x43000000, |v4|
; %bb.3932:
	s_or_b32 exec_lo, exec_lo, s7
                                        ; implicit-def: $vgpr5
.LBB126_3933:
	s_and_not1_saveexec_b32 s6, s6
; %bb.3934:
	v_mov_b32_e32 v1, 0x7f
	v_cmp_lt_u32_e32 vcc_lo, 0x7f800000, v5
	s_delay_alu instid0(VALU_DEP_2)
	v_cndmask_b32_e32 v1, 0x7c, v1, vcc_lo
; %bb.3935:
	s_or_b32 exec_lo, exec_lo, s6
	v_lshrrev_b32_e32 v5, 24, v4
	s_delay_alu instid0(VALU_DEP_1)
	v_and_or_b32 v1, 0x80, v5, v1
	global_store_b8 v[2:3], v1, off
.LBB126_3936:
	s_mov_b32 s6, 0
	s_mov_b32 s7, -1
.LBB126_3937:
	s_and_not1_b32 vcc_lo, exec_lo, s6
	s_mov_b32 s6, 0
	s_cbranch_vccnz .LBB126_3944
; %bb.3938:
	s_cmp_gt_i32 s2, 14
	s_mov_b32 s6, -1
	s_cbranch_scc0 .LBB126_3942
; %bb.3939:
	s_cmp_eq_u32 s2, 15
	s_mov_b32 s0, -1
	s_cbranch_scc0 .LBB126_3941
; %bb.3940:
	s_wait_xcnt 0x0
	v_bfe_u32 v1, v4, 16, 1
	v_cmp_o_f32_e32 vcc_lo, v4, v4
	s_mov_b32 s0, 0
	s_mov_b32 s7, -1
	s_delay_alu instid0(VALU_DEP_2) | instskip(NEXT) | instid1(VALU_DEP_1)
	v_add3_u32 v1, v4, v1, 0x7fff
	v_lshrrev_b32_e32 v1, 16, v1
	s_delay_alu instid0(VALU_DEP_1)
	v_cndmask_b32_e32 v1, 0x7fc0, v1, vcc_lo
	global_store_b16 v[2:3], v1, off
.LBB126_3941:
	s_mov_b32 s6, 0
.LBB126_3942:
	s_delay_alu instid0(SALU_CYCLE_1)
	s_and_b32 vcc_lo, exec_lo, s6
	s_mov_b32 s6, 0
	s_cbranch_vccz .LBB126_3944
; %bb.3943:
	s_cmp_lg_u32 s2, 11
	s_mov_b32 s6, -1
	s_cselect_b32 s0, -1, 0
.LBB126_3944:
	s_delay_alu instid0(SALU_CYCLE_1)
	s_and_b32 vcc_lo, exec_lo, s0
	s_cbranch_vccnz .LBB126_4124
; %bb.3945:
	s_and_not1_b32 vcc_lo, exec_lo, s6
	s_cbranch_vccnz .LBB126_3947
.LBB126_3946:
	v_cmp_neq_f32_e32 vcc_lo, 0, v4
	s_mov_b32 s7, -1
	s_wait_xcnt 0x0
	v_cndmask_b32_e64 v1, 0, 1, vcc_lo
	global_store_b8 v[2:3], v1, off
.LBB126_3947:
	s_mov_b32 s0, 0
	s_branch .LBB126_3949
.LBB126_3948:
	s_mov_b32 s0, -1
	s_mov_b32 s7, 0
.LBB126_3949:
	s_and_b32 vcc_lo, exec_lo, s0
	s_cbranch_vccz .LBB126_3988
; %bb.3950:
	s_and_b32 s0, 0xffff, s22
	s_mov_b32 s2, -1
	s_cmp_lt_i32 s0, 5
	s_cbranch_scc1 .LBB126_3971
; %bb.3951:
	s_cmp_lt_i32 s0, 8
	s_cbranch_scc1 .LBB126_3961
; %bb.3952:
	;; [unrolled: 3-line block ×3, first 2 shown]
	s_cmp_gt_i32 s0, 9
	s_cbranch_scc0 .LBB126_3955
; %bb.3954:
	s_wait_xcnt 0x0
	v_cvt_f64_f32_e32 v[8:9], v4
	v_mov_b32_e32 v10, 0
	s_mov_b32 s2, 0
	s_delay_alu instid0(VALU_DEP_1)
	v_mov_b32_e32 v11, v10
	global_store_b128 v[2:3], v[8:11], off
.LBB126_3955:
	s_and_not1_b32 vcc_lo, exec_lo, s2
	s_cbranch_vccnz .LBB126_3957
; %bb.3956:
	s_wait_xcnt 0x0
	v_mov_b32_e32 v5, 0
	global_store_b64 v[2:3], v[4:5], off
.LBB126_3957:
	s_mov_b32 s2, 0
.LBB126_3958:
	s_delay_alu instid0(SALU_CYCLE_1)
	s_and_not1_b32 vcc_lo, exec_lo, s2
	s_cbranch_vccnz .LBB126_3960
; %bb.3959:
	s_wait_xcnt 0x0
	v_cvt_f16_f32_e32 v1, v4
	s_delay_alu instid0(VALU_DEP_1)
	v_and_b32_e32 v1, 0xffff, v1
	global_store_b32 v[2:3], v1, off
.LBB126_3960:
	s_mov_b32 s2, 0
.LBB126_3961:
	s_delay_alu instid0(SALU_CYCLE_1)
	s_and_not1_b32 vcc_lo, exec_lo, s2
	s_cbranch_vccnz .LBB126_3970
; %bb.3962:
	s_cmp_lt_i32 s0, 6
	s_mov_b32 s2, -1
	s_cbranch_scc1 .LBB126_3968
; %bb.3963:
	s_cmp_gt_i32 s0, 6
	s_cbranch_scc0 .LBB126_3965
; %bb.3964:
	s_wait_xcnt 0x0
	v_cvt_f64_f32_e32 v[8:9], v4
	s_mov_b32 s2, 0
	global_store_b64 v[2:3], v[8:9], off
.LBB126_3965:
	s_and_not1_b32 vcc_lo, exec_lo, s2
	s_cbranch_vccnz .LBB126_3967
; %bb.3966:
	global_store_b32 v[2:3], v4, off
.LBB126_3967:
	s_mov_b32 s2, 0
.LBB126_3968:
	s_delay_alu instid0(SALU_CYCLE_1)
	s_and_not1_b32 vcc_lo, exec_lo, s2
	s_cbranch_vccnz .LBB126_3970
; %bb.3969:
	s_wait_xcnt 0x0
	v_cvt_f16_f32_e32 v1, v4
	global_store_b16 v[2:3], v1, off
.LBB126_3970:
	s_mov_b32 s2, 0
.LBB126_3971:
	s_delay_alu instid0(SALU_CYCLE_1)
	s_and_not1_b32 vcc_lo, exec_lo, s2
	s_cbranch_vccnz .LBB126_3987
; %bb.3972:
	s_cmp_lt_i32 s0, 2
	s_mov_b32 s2, -1
	s_cbranch_scc1 .LBB126_3982
; %bb.3973:
	s_cmp_lt_i32 s0, 3
	s_cbranch_scc1 .LBB126_3979
; %bb.3974:
	s_cmp_gt_i32 s0, 3
	s_cbranch_scc0 .LBB126_3976
; %bb.3975:
	s_wait_xcnt 0x0
	v_trunc_f32_e32 v1, v4
	s_mov_b32 s2, 0
	s_delay_alu instid0(VALU_DEP_1) | instskip(SKIP_1) | instid1(VALU_DEP_2)
	v_mul_f32_e64 v5, 0x2f800000, |v1|
	v_ashrrev_i32_e32 v8, 31, v1
	v_floor_f32_e32 v5, v5
	s_delay_alu instid0(VALU_DEP_1) | instskip(SKIP_1) | instid1(VALU_DEP_2)
	v_fma_f32 v9, 0xcf800000, v5, |v1|
	v_cvt_u32_f32_e32 v1, v5
	v_cvt_u32_f32_e32 v5, v9
	s_delay_alu instid0(VALU_DEP_2) | instskip(NEXT) | instid1(VALU_DEP_2)
	v_dual_mov_b32 v9, v8 :: v_dual_bitop2_b32 v11, v1, v8 bitop3:0x14
	v_xor_b32_e32 v10, v5, v8
	s_delay_alu instid0(VALU_DEP_1)
	v_sub_nc_u64_e32 v[8:9], v[10:11], v[8:9]
	global_store_b64 v[2:3], v[8:9], off
.LBB126_3976:
	s_and_not1_b32 vcc_lo, exec_lo, s2
	s_cbranch_vccnz .LBB126_3978
; %bb.3977:
	s_wait_xcnt 0x0
	v_cvt_i32_f32_e32 v1, v4
	global_store_b32 v[2:3], v1, off
.LBB126_3978:
	s_mov_b32 s2, 0
.LBB126_3979:
	s_delay_alu instid0(SALU_CYCLE_1)
	s_and_not1_b32 vcc_lo, exec_lo, s2
	s_cbranch_vccnz .LBB126_3981
; %bb.3980:
	s_wait_xcnt 0x0
	v_cvt_i32_f32_e32 v1, v4
	global_store_b16 v[2:3], v1, off
.LBB126_3981:
	s_mov_b32 s2, 0
.LBB126_3982:
	s_delay_alu instid0(SALU_CYCLE_1)
	s_and_not1_b32 vcc_lo, exec_lo, s2
	s_cbranch_vccnz .LBB126_3987
; %bb.3983:
	s_cmp_gt_i32 s0, 0
	s_mov_b32 s0, -1
	s_cbranch_scc0 .LBB126_3985
; %bb.3984:
	s_wait_xcnt 0x0
	v_cvt_i32_f32_e32 v1, v4
	s_mov_b32 s0, 0
	global_store_b8 v[2:3], v1, off
.LBB126_3985:
	s_and_not1_b32 vcc_lo, exec_lo, s0
	s_cbranch_vccnz .LBB126_3987
; %bb.3986:
	s_wait_xcnt 0x0
	v_trunc_f32_e32 v1, v4
	s_delay_alu instid0(VALU_DEP_1) | instskip(NEXT) | instid1(VALU_DEP_1)
	v_mul_f32_e64 v4, 0x2f800000, |v1|
	v_floor_f32_e32 v4, v4
	s_delay_alu instid0(VALU_DEP_1) | instskip(SKIP_1) | instid1(VALU_DEP_2)
	v_fma_f32 v4, 0xcf800000, v4, |v1|
	v_ashrrev_i32_e32 v1, 31, v1
	v_cvt_u32_f32_e32 v4, v4
	s_delay_alu instid0(VALU_DEP_1) | instskip(NEXT) | instid1(VALU_DEP_1)
	v_xor_b32_e32 v4, v4, v1
	v_sub_nc_u32_e32 v1, v4, v1
	global_store_b8 v[2:3], v1, off
.LBB126_3987:
	s_mov_b32 s7, -1
.LBB126_3988:
	s_delay_alu instid0(SALU_CYCLE_1)
	s_and_not1_b32 vcc_lo, exec_lo, s7
	s_cbranch_vccnz .LBB126_4065
; %bb.3989:
	s_wait_xcnt 0x0
	v_dual_add_nc_u32 v0, s1, v0 :: v_dual_mul_f32 v2, s17, v7
	s_cmp_lt_i32 s22, 11
	s_delay_alu instid0(VALU_DEP_1) | instskip(NEXT) | instid1(VALU_DEP_1)
	v_dual_mul_f32 v2, v2, v18 :: v_dual_ashrrev_i32 v1, 31, v0
	v_add_nc_u64_e32 v[0:1], s[4:5], v[0:1]
	s_delay_alu instid0(VALU_DEP_2)
	v_fmac_f32_e32 v2, s16, v6
	s_cbranch_scc1 .LBB126_4110
; %bb.3990:
	s_and_b32 s2, 0xffff, s22
	s_mov_b32 s4, -1
	s_mov_b32 s1, 0
	s_cmp_gt_i32 s2, 25
	s_mov_b32 s0, 0
	s_cbranch_scc0 .LBB126_4023
; %bb.3991:
	s_cmp_gt_i32 s2, 28
	s_cbranch_scc0 .LBB126_4007
; %bb.3992:
	s_cmp_gt_i32 s2, 43
	;; [unrolled: 3-line block ×3, first 2 shown]
	s_cbranch_scc0 .LBB126_3997
; %bb.3994:
	s_cmp_eq_u32 s2, 46
	s_mov_b32 s0, -1
	s_cbranch_scc0 .LBB126_3996
; %bb.3995:
	v_bfe_u32 v3, v2, 16, 1
	v_cmp_o_f32_e32 vcc_lo, v2, v2
	s_mov_b32 s0, 0
	s_delay_alu instid0(VALU_DEP_2) | instskip(NEXT) | instid1(VALU_DEP_1)
	v_add3_u32 v3, v2, v3, 0x7fff
	v_lshrrev_b32_e32 v3, 16, v3
	s_delay_alu instid0(VALU_DEP_1)
	v_cndmask_b32_e32 v3, 0x7fc0, v3, vcc_lo
	global_store_b32 v[0:1], v3, off
.LBB126_3996:
	s_mov_b32 s4, 0
.LBB126_3997:
	s_delay_alu instid0(SALU_CYCLE_1)
	s_and_b32 vcc_lo, exec_lo, s4
	s_cbranch_vccz .LBB126_4002
; %bb.3998:
	s_cmp_eq_u32 s2, 44
	s_mov_b32 s0, -1
	s_cbranch_scc0 .LBB126_4002
; %bb.3999:
	v_bfe_u32 v4, v2, 23, 8
	s_wait_xcnt 0x0
	v_mov_b32_e32 v3, 0xff
	s_mov_b32 s4, exec_lo
	s_delay_alu instid0(VALU_DEP_2)
	v_cmpx_ne_u32_e32 0xff, v4
	s_cbranch_execz .LBB126_4001
; %bb.4000:
	v_and_b32_e32 v3, 0x400000, v2
	v_and_or_b32 v4, 0x3fffff, v2, v4
	s_delay_alu instid0(VALU_DEP_2) | instskip(NEXT) | instid1(VALU_DEP_2)
	v_cmp_ne_u32_e32 vcc_lo, 0, v3
	v_cmp_ne_u32_e64 s0, 0, v4
	v_lshrrev_b32_e32 v3, 23, v2
	s_and_b32 s0, vcc_lo, s0
	s_delay_alu instid0(SALU_CYCLE_1) | instskip(NEXT) | instid1(VALU_DEP_1)
	v_cndmask_b32_e64 v4, 0, 1, s0
	v_add_nc_u32_e32 v3, v3, v4
.LBB126_4001:
	s_or_b32 exec_lo, exec_lo, s4
	s_mov_b32 s0, 0
	global_store_b8 v[0:1], v3, off
.LBB126_4002:
	s_mov_b32 s4, 0
.LBB126_4003:
	s_delay_alu instid0(SALU_CYCLE_1)
	s_and_b32 vcc_lo, exec_lo, s4
	s_cbranch_vccz .LBB126_4006
; %bb.4004:
	s_cmp_eq_u32 s2, 29
	s_mov_b32 s0, -1
	s_cbranch_scc0 .LBB126_4006
; %bb.4005:
	s_wait_xcnt 0x0
	v_trunc_f32_e32 v3, v2
	s_mov_b32 s0, 0
	s_delay_alu instid0(VALU_DEP_1) | instskip(NEXT) | instid1(VALU_DEP_1)
	v_mul_f32_e32 v4, 0x2f800000, v3
	v_floor_f32_e32 v4, v4
	s_delay_alu instid0(VALU_DEP_1) | instskip(SKIP_1) | instid1(VALU_DEP_2)
	v_fmamk_f32 v3, v4, 0xcf800000, v3
	v_cvt_u32_f32_e32 v5, v4
	v_cvt_u32_f32_e32 v4, v3
	global_store_b64 v[0:1], v[4:5], off
.LBB126_4006:
	s_mov_b32 s4, 0
.LBB126_4007:
	s_delay_alu instid0(SALU_CYCLE_1)
	s_and_b32 vcc_lo, exec_lo, s4
	s_cbranch_vccz .LBB126_4022
; %bb.4008:
	s_cmp_lt_i32 s2, 27
	s_mov_b32 s4, -1
	s_cbranch_scc1 .LBB126_4014
; %bb.4009:
	s_wait_xcnt 0x0
	v_cvt_u32_f32_e32 v3, v2
	s_cmp_gt_i32 s2, 27
	s_cbranch_scc0 .LBB126_4011
; %bb.4010:
	s_mov_b32 s4, 0
	global_store_b32 v[0:1], v3, off
.LBB126_4011:
	s_and_not1_b32 vcc_lo, exec_lo, s4
	s_cbranch_vccnz .LBB126_4013
; %bb.4012:
	global_store_b16 v[0:1], v3, off
.LBB126_4013:
	s_mov_b32 s4, 0
.LBB126_4014:
	s_delay_alu instid0(SALU_CYCLE_1)
	s_and_not1_b32 vcc_lo, exec_lo, s4
	s_cbranch_vccnz .LBB126_4022
; %bb.4015:
	s_wait_xcnt 0x0
	v_and_b32_e32 v3, 0x7fffffff, v2
	v_mov_b32_e32 v4, 0x80
	s_mov_b32 s4, exec_lo
	s_delay_alu instid0(VALU_DEP_2)
	v_cmpx_gt_u32_e32 0x43800000, v3
	s_cbranch_execz .LBB126_4021
; %bb.4016:
	v_cmp_lt_u32_e32 vcc_lo, 0x3bffffff, v3
	s_mov_b32 s5, 0
                                        ; implicit-def: $vgpr3
	s_and_saveexec_b32 s6, vcc_lo
	s_delay_alu instid0(SALU_CYCLE_1)
	s_xor_b32 s6, exec_lo, s6
	s_cbranch_execz .LBB126_4127
; %bb.4017:
	v_bfe_u32 v3, v2, 20, 1
	s_mov_b32 s5, exec_lo
	s_delay_alu instid0(VALU_DEP_1) | instskip(NEXT) | instid1(VALU_DEP_1)
	v_add3_u32 v3, v2, v3, 0x487ffff
	v_lshrrev_b32_e32 v3, 20, v3
	s_and_not1_saveexec_b32 s6, s6
	s_cbranch_execnz .LBB126_4128
.LBB126_4018:
	s_or_b32 exec_lo, exec_lo, s6
	v_mov_b32_e32 v4, 0
	s_and_saveexec_b32 s6, s5
.LBB126_4019:
	v_lshrrev_b32_e32 v4, 24, v2
	s_delay_alu instid0(VALU_DEP_1)
	v_and_or_b32 v4, 0x80, v4, v3
.LBB126_4020:
	s_or_b32 exec_lo, exec_lo, s6
.LBB126_4021:
	s_delay_alu instid0(SALU_CYCLE_1)
	s_or_b32 exec_lo, exec_lo, s4
	global_store_b8 v[0:1], v4, off
.LBB126_4022:
	s_mov_b32 s4, 0
.LBB126_4023:
	s_delay_alu instid0(SALU_CYCLE_1)
	s_and_b32 vcc_lo, exec_lo, s4
	s_cbranch_vccz .LBB126_4063
; %bb.4024:
	s_cmp_gt_i32 s2, 22
	s_mov_b32 s1, -1
	s_cbranch_scc0 .LBB126_4056
; %bb.4025:
	s_cmp_lt_i32 s2, 24
	s_cbranch_scc1 .LBB126_4045
; %bb.4026:
	s_cmp_gt_i32 s2, 24
	s_cbranch_scc0 .LBB126_4034
; %bb.4027:
	s_wait_xcnt 0x0
	v_and_b32_e32 v3, 0x7fffffff, v2
	v_mov_b32_e32 v4, 0x80
	s_mov_b32 s1, exec_lo
	s_delay_alu instid0(VALU_DEP_2)
	v_cmpx_gt_u32_e32 0x47800000, v3
	s_cbranch_execz .LBB126_4033
; %bb.4028:
	v_cmp_lt_u32_e32 vcc_lo, 0x37ffffff, v3
	s_mov_b32 s4, 0
                                        ; implicit-def: $vgpr3
	s_and_saveexec_b32 s5, vcc_lo
	s_delay_alu instid0(SALU_CYCLE_1)
	s_xor_b32 s5, exec_lo, s5
	s_cbranch_execz .LBB126_4130
; %bb.4029:
	v_bfe_u32 v3, v2, 21, 1
	s_mov_b32 s4, exec_lo
	s_delay_alu instid0(VALU_DEP_1) | instskip(NEXT) | instid1(VALU_DEP_1)
	v_add3_u32 v3, v2, v3, 0x88fffff
	v_lshrrev_b32_e32 v3, 21, v3
	s_and_not1_saveexec_b32 s5, s5
	s_cbranch_execnz .LBB126_4131
.LBB126_4030:
	s_or_b32 exec_lo, exec_lo, s5
	v_mov_b32_e32 v4, 0
	s_and_saveexec_b32 s5, s4
.LBB126_4031:
	v_lshrrev_b32_e32 v4, 24, v2
	s_delay_alu instid0(VALU_DEP_1)
	v_and_or_b32 v4, 0x80, v4, v3
.LBB126_4032:
	s_or_b32 exec_lo, exec_lo, s5
.LBB126_4033:
	s_delay_alu instid0(SALU_CYCLE_1)
	s_or_b32 exec_lo, exec_lo, s1
	s_mov_b32 s1, 0
	global_store_b8 v[0:1], v4, off
.LBB126_4034:
	s_and_b32 vcc_lo, exec_lo, s1
	s_cbranch_vccz .LBB126_4044
; %bb.4035:
	s_wait_xcnt 0x0
	v_and_b32_e32 v4, 0x7fffffff, v2
	s_mov_b32 s1, exec_lo
                                        ; implicit-def: $vgpr3
	s_delay_alu instid0(VALU_DEP_1)
	v_cmpx_gt_u32_e32 0x43f00000, v4
	s_xor_b32 s1, exec_lo, s1
	s_cbranch_execz .LBB126_4041
; %bb.4036:
	s_mov_b32 s4, exec_lo
                                        ; implicit-def: $vgpr3
	v_cmpx_lt_u32_e32 0x3c7fffff, v4
	s_xor_b32 s4, exec_lo, s4
; %bb.4037:
	v_bfe_u32 v3, v2, 20, 1
	s_delay_alu instid0(VALU_DEP_1) | instskip(NEXT) | instid1(VALU_DEP_1)
	v_add3_u32 v3, v2, v3, 0x407ffff
	v_and_b32_e32 v4, 0xff00000, v3
	v_lshrrev_b32_e32 v3, 20, v3
	s_delay_alu instid0(VALU_DEP_2) | instskip(NEXT) | instid1(VALU_DEP_2)
	v_cmp_ne_u32_e32 vcc_lo, 0x7f00000, v4
	v_cndmask_b32_e32 v3, 0x7e, v3, vcc_lo
; %bb.4038:
	s_and_not1_saveexec_b32 s4, s4
; %bb.4039:
	v_add_f32_e64 v3, 0x46800000, |v2|
; %bb.4040:
	s_or_b32 exec_lo, exec_lo, s4
                                        ; implicit-def: $vgpr4
.LBB126_4041:
	s_and_not1_saveexec_b32 s1, s1
; %bb.4042:
	v_mov_b32_e32 v3, 0x7f
	v_cmp_lt_u32_e32 vcc_lo, 0x7f800000, v4
	s_delay_alu instid0(VALU_DEP_2)
	v_cndmask_b32_e32 v3, 0x7e, v3, vcc_lo
; %bb.4043:
	s_or_b32 exec_lo, exec_lo, s1
	v_lshrrev_b32_e32 v4, 24, v2
	s_delay_alu instid0(VALU_DEP_1)
	v_and_or_b32 v3, 0x80, v4, v3
	global_store_b8 v[0:1], v3, off
.LBB126_4044:
	s_mov_b32 s1, 0
.LBB126_4045:
	s_delay_alu instid0(SALU_CYCLE_1)
	s_and_not1_b32 vcc_lo, exec_lo, s1
	s_cbranch_vccnz .LBB126_4055
; %bb.4046:
	s_wait_xcnt 0x0
	v_and_b32_e32 v4, 0x7fffffff, v2
	s_mov_b32 s1, exec_lo
                                        ; implicit-def: $vgpr3
	s_delay_alu instid0(VALU_DEP_1)
	v_cmpx_gt_u32_e32 0x47800000, v4
	s_xor_b32 s1, exec_lo, s1
	s_cbranch_execz .LBB126_4052
; %bb.4047:
	s_mov_b32 s4, exec_lo
                                        ; implicit-def: $vgpr3
	v_cmpx_lt_u32_e32 0x387fffff, v4
	s_xor_b32 s4, exec_lo, s4
; %bb.4048:
	v_bfe_u32 v3, v2, 21, 1
	s_delay_alu instid0(VALU_DEP_1) | instskip(NEXT) | instid1(VALU_DEP_1)
	v_add3_u32 v3, v2, v3, 0x80fffff
	v_lshrrev_b32_e32 v3, 21, v3
; %bb.4049:
	s_and_not1_saveexec_b32 s4, s4
; %bb.4050:
	v_add_f32_e64 v3, 0x43000000, |v2|
; %bb.4051:
	s_or_b32 exec_lo, exec_lo, s4
                                        ; implicit-def: $vgpr4
.LBB126_4052:
	s_and_not1_saveexec_b32 s1, s1
; %bb.4053:
	v_mov_b32_e32 v3, 0x7f
	v_cmp_lt_u32_e32 vcc_lo, 0x7f800000, v4
	s_delay_alu instid0(VALU_DEP_2)
	v_cndmask_b32_e32 v3, 0x7c, v3, vcc_lo
; %bb.4054:
	s_or_b32 exec_lo, exec_lo, s1
	v_lshrrev_b32_e32 v4, 24, v2
	s_delay_alu instid0(VALU_DEP_1)
	v_and_or_b32 v3, 0x80, v4, v3
	global_store_b8 v[0:1], v3, off
.LBB126_4055:
	s_mov_b32 s1, 0
.LBB126_4056:
	s_delay_alu instid0(SALU_CYCLE_1)
	s_and_not1_b32 vcc_lo, exec_lo, s1
	s_mov_b32 s1, 0
	s_cbranch_vccnz .LBB126_4063
; %bb.4057:
	s_cmp_gt_i32 s2, 14
	s_mov_b32 s1, -1
	s_cbranch_scc0 .LBB126_4061
; %bb.4058:
	s_cmp_eq_u32 s2, 15
	s_mov_b32 s0, -1
	s_cbranch_scc0 .LBB126_4060
; %bb.4059:
	s_wait_xcnt 0x0
	v_bfe_u32 v3, v2, 16, 1
	v_cmp_o_f32_e32 vcc_lo, v2, v2
	s_mov_b32 s0, 0
	s_delay_alu instid0(VALU_DEP_2) | instskip(NEXT) | instid1(VALU_DEP_1)
	v_add3_u32 v3, v2, v3, 0x7fff
	v_lshrrev_b32_e32 v3, 16, v3
	s_delay_alu instid0(VALU_DEP_1)
	v_cndmask_b32_e32 v3, 0x7fc0, v3, vcc_lo
	global_store_b16 v[0:1], v3, off
.LBB126_4060:
	s_mov_b32 s1, 0
.LBB126_4061:
	s_delay_alu instid0(SALU_CYCLE_1)
	s_and_b32 vcc_lo, exec_lo, s1
	s_mov_b32 s1, 0
	s_cbranch_vccz .LBB126_4063
; %bb.4062:
	s_cmp_lg_u32 s2, 11
	s_mov_b32 s1, -1
	s_cselect_b32 s0, -1, 0
.LBB126_4063:
	s_delay_alu instid0(SALU_CYCLE_1)
	s_and_b32 vcc_lo, exec_lo, s0
	s_cbranch_vccnz .LBB126_4129
.LBB126_4064:
	s_mov_b32 s0, 0
	s_branch .LBB126_4066
.LBB126_4065:
	s_mov_b32 s0, 0
	s_mov_b32 s1, 0
                                        ; implicit-def: $sgpr22
                                        ; implicit-def: $vgpr0_vgpr1
                                        ; implicit-def: $vgpr2
.LBB126_4066:
	s_and_not1_b32 s2, s21, exec_lo
	s_and_b32 s4, s3, exec_lo
	s_and_b32 s0, s0, exec_lo
	;; [unrolled: 1-line block ×3, first 2 shown]
	s_or_b32 s21, s2, s4
.LBB126_4067:
	s_wait_xcnt 0x0
	s_or_b32 exec_lo, exec_lo, s20
	s_and_saveexec_b32 s1, s21
	s_cbranch_execz .LBB126_4070
; %bb.4068:
	; divergent unreachable
	s_or_b32 exec_lo, exec_lo, s1
	s_and_saveexec_b32 s1, s3
	s_delay_alu instid0(SALU_CYCLE_1)
	s_xor_b32 s1, exec_lo, s1
	s_cbranch_execnz .LBB126_4071
.LBB126_4069:
	s_or_b32 exec_lo, exec_lo, s1
	s_and_saveexec_b32 s1, s0
	s_cbranch_execnz .LBB126_4072
	s_branch .LBB126_4109
.LBB126_4070:
	s_or_b32 exec_lo, exec_lo, s1
	s_and_saveexec_b32 s1, s3
	s_delay_alu instid0(SALU_CYCLE_1)
	s_xor_b32 s1, exec_lo, s1
	s_cbranch_execz .LBB126_4069
.LBB126_4071:
	s_wait_loadcnt 0x0
	v_cmp_neq_f32_e32 vcc_lo, 0, v2
	v_cndmask_b32_e64 v3, 0, 1, vcc_lo
	global_store_b8 v[0:1], v3, off
	s_wait_xcnt 0x0
	s_or_b32 exec_lo, exec_lo, s1
	s_and_saveexec_b32 s1, s0
	s_cbranch_execz .LBB126_4109
.LBB126_4072:
	s_sext_i32_i16 s1, s22
	s_mov_b32 s0, -1
	s_cmp_lt_i32 s1, 5
	s_cbranch_scc1 .LBB126_4093
; %bb.4073:
	s_cmp_lt_i32 s1, 8
	s_cbranch_scc1 .LBB126_4083
; %bb.4074:
	;; [unrolled: 3-line block ×3, first 2 shown]
	s_cmp_gt_i32 s1, 9
	s_cbranch_scc0 .LBB126_4077
; %bb.4076:
	s_wait_loadcnt 0x0
	v_cvt_f64_f32_e32 v[4:5], v2
	v_mov_b32_e32 v6, 0
	s_mov_b32 s0, 0
	s_delay_alu instid0(VALU_DEP_1)
	v_mov_b32_e32 v7, v6
	global_store_b128 v[0:1], v[4:7], off
.LBB126_4077:
	s_and_not1_b32 vcc_lo, exec_lo, s0
	s_cbranch_vccnz .LBB126_4079
; %bb.4078:
	s_wait_loadcnt 0x0
	v_mov_b32_e32 v3, 0
	global_store_b64 v[0:1], v[2:3], off
.LBB126_4079:
	s_mov_b32 s0, 0
.LBB126_4080:
	s_delay_alu instid0(SALU_CYCLE_1)
	s_and_not1_b32 vcc_lo, exec_lo, s0
	s_cbranch_vccnz .LBB126_4082
; %bb.4081:
	s_wait_loadcnt 0x0
	v_cvt_f16_f32_e32 v3, v2
	s_delay_alu instid0(VALU_DEP_1)
	v_and_b32_e32 v3, 0xffff, v3
	global_store_b32 v[0:1], v3, off
.LBB126_4082:
	s_mov_b32 s0, 0
.LBB126_4083:
	s_delay_alu instid0(SALU_CYCLE_1)
	s_and_not1_b32 vcc_lo, exec_lo, s0
	s_cbranch_vccnz .LBB126_4092
; %bb.4084:
	s_sext_i32_i16 s1, s22
	s_mov_b32 s0, -1
	s_cmp_lt_i32 s1, 6
	s_cbranch_scc1 .LBB126_4090
; %bb.4085:
	s_cmp_gt_i32 s1, 6
	s_cbranch_scc0 .LBB126_4087
; %bb.4086:
	s_wait_loadcnt 0x0
	v_cvt_f64_f32_e32 v[4:5], v2
	s_mov_b32 s0, 0
	global_store_b64 v[0:1], v[4:5], off
.LBB126_4087:
	s_and_not1_b32 vcc_lo, exec_lo, s0
	s_cbranch_vccnz .LBB126_4089
; %bb.4088:
	s_wait_loadcnt 0x0
	global_store_b32 v[0:1], v2, off
.LBB126_4089:
	s_mov_b32 s0, 0
.LBB126_4090:
	s_delay_alu instid0(SALU_CYCLE_1)
	s_and_not1_b32 vcc_lo, exec_lo, s0
	s_cbranch_vccnz .LBB126_4092
; %bb.4091:
	s_wait_loadcnt 0x0
	v_cvt_f16_f32_e32 v3, v2
	global_store_b16 v[0:1], v3, off
.LBB126_4092:
	s_mov_b32 s0, 0
.LBB126_4093:
	s_delay_alu instid0(SALU_CYCLE_1)
	s_and_not1_b32 vcc_lo, exec_lo, s0
	s_cbranch_vccnz .LBB126_4109
; %bb.4094:
	s_sext_i32_i16 s1, s22
	s_mov_b32 s0, -1
	s_cmp_lt_i32 s1, 2
	s_cbranch_scc1 .LBB126_4104
; %bb.4095:
	s_cmp_lt_i32 s1, 3
	s_cbranch_scc1 .LBB126_4101
; %bb.4096:
	s_cmp_gt_i32 s1, 3
	s_cbranch_scc0 .LBB126_4098
; %bb.4097:
	s_wait_loadcnt 0x0
	v_trunc_f32_e32 v3, v2
	s_mov_b32 s0, 0
	s_delay_alu instid0(VALU_DEP_1) | instskip(NEXT) | instid1(VALU_DEP_1)
	v_mul_f32_e64 v4, 0x2f800000, |v3|
	v_floor_f32_e32 v5, v4
	v_ashrrev_i32_e32 v4, 31, v3
	s_delay_alu instid0(VALU_DEP_2) | instskip(SKIP_1) | instid1(VALU_DEP_3)
	v_fma_f32 v6, 0xcf800000, v5, |v3|
	v_cvt_u32_f32_e32 v3, v5
	v_mov_b32_e32 v5, v4
	s_delay_alu instid0(VALU_DEP_3) | instskip(NEXT) | instid1(VALU_DEP_3)
	v_cvt_u32_f32_e32 v6, v6
	v_xor_b32_e32 v7, v3, v4
	s_delay_alu instid0(VALU_DEP_2) | instskip(NEXT) | instid1(VALU_DEP_1)
	v_xor_b32_e32 v6, v6, v4
	v_sub_nc_u64_e32 v[4:5], v[6:7], v[4:5]
	global_store_b64 v[0:1], v[4:5], off
.LBB126_4098:
	s_and_not1_b32 vcc_lo, exec_lo, s0
	s_cbranch_vccnz .LBB126_4100
; %bb.4099:
	s_wait_loadcnt 0x0
	v_cvt_i32_f32_e32 v3, v2
	global_store_b32 v[0:1], v3, off
.LBB126_4100:
	s_mov_b32 s0, 0
.LBB126_4101:
	s_delay_alu instid0(SALU_CYCLE_1)
	s_and_not1_b32 vcc_lo, exec_lo, s0
	s_cbranch_vccnz .LBB126_4103
; %bb.4102:
	s_wait_loadcnt 0x0
	v_cvt_i32_f32_e32 v3, v2
	global_store_b16 v[0:1], v3, off
.LBB126_4103:
	s_mov_b32 s0, 0
.LBB126_4104:
	s_delay_alu instid0(SALU_CYCLE_1)
	s_and_not1_b32 vcc_lo, exec_lo, s0
	s_cbranch_vccnz .LBB126_4109
; %bb.4105:
	s_sext_i32_i16 s0, s22
	s_delay_alu instid0(SALU_CYCLE_1)
	s_cmp_gt_i32 s0, 0
	s_mov_b32 s0, -1
	s_cbranch_scc0 .LBB126_4107
; %bb.4106:
	s_wait_loadcnt 0x0
	v_cvt_i32_f32_e32 v3, v2
	s_mov_b32 s0, 0
	global_store_b8 v[0:1], v3, off
.LBB126_4107:
	s_and_not1_b32 vcc_lo, exec_lo, s0
	s_cbranch_vccnz .LBB126_4109
; %bb.4108:
	s_wait_loadcnt 0x0
	v_trunc_f32_e32 v2, v2
	s_delay_alu instid0(VALU_DEP_1) | instskip(NEXT) | instid1(VALU_DEP_1)
	v_mul_f32_e64 v3, 0x2f800000, |v2|
	v_floor_f32_e32 v3, v3
	s_delay_alu instid0(VALU_DEP_1) | instskip(SKIP_1) | instid1(VALU_DEP_2)
	v_fma_f32 v3, 0xcf800000, v3, |v2|
	v_ashrrev_i32_e32 v2, 31, v2
	v_cvt_u32_f32_e32 v3, v3
	s_delay_alu instid0(VALU_DEP_1) | instskip(NEXT) | instid1(VALU_DEP_1)
	v_xor_b32_e32 v3, v3, v2
	v_sub_nc_u32_e32 v2, v3, v2
	global_store_b8 v[0:1], v2, off
	s_endpgm
.LBB126_4109:
	s_endpgm
.LBB126_4110:
	s_mov_b32 s1, 0
	s_mov_b32 s0, -1
	s_branch .LBB126_4066
.LBB126_4111:
	s_or_b32 s3, s3, exec_lo
	s_trap 2
	s_cbranch_execz .LBB126_3580
	s_branch .LBB126_3581
.LBB126_4112:
	s_and_not1_saveexec_b32 s8, s8
	s_cbranch_execz .LBB126_3660
.LBB126_4113:
	v_add_f32_e64 v1, 0x46000000, |v4|
	s_and_not1_b32 s7, s7, exec_lo
	s_delay_alu instid0(VALU_DEP_1) | instskip(NEXT) | instid1(VALU_DEP_1)
	v_and_b32_e32 v1, 0xff, v1
	v_cmp_ne_u32_e32 vcc_lo, 0, v1
	s_and_b32 s9, vcc_lo, exec_lo
	s_delay_alu instid0(SALU_CYCLE_1)
	s_or_b32 s7, s7, s9
	s_or_b32 exec_lo, exec_lo, s8
	v_mov_b32_e32 v5, 0
	s_and_saveexec_b32 s8, s7
	s_cbranch_execnz .LBB126_3661
	s_branch .LBB126_3662
.LBB126_4114:
	s_or_b32 s3, s3, exec_lo
	s_trap 2
	s_cbranch_execz .LBB126_3708
	s_branch .LBB126_3709
.LBB126_4115:
	s_and_not1_saveexec_b32 s7, s7
	s_cbranch_execz .LBB126_3673
.LBB126_4116:
	v_add_f32_e64 v1, 0x42800000, |v4|
	s_and_not1_b32 s6, s6, exec_lo
	s_delay_alu instid0(VALU_DEP_1) | instskip(NEXT) | instid1(VALU_DEP_1)
	v_and_b32_e32 v1, 0xff, v1
	v_cmp_ne_u32_e32 vcc_lo, 0, v1
	s_and_b32 s8, vcc_lo, exec_lo
	s_delay_alu instid0(SALU_CYCLE_1)
	s_or_b32 s6, s6, s8
	s_or_b32 exec_lo, exec_lo, s7
	v_mov_b32_e32 v5, 0
	s_and_saveexec_b32 s7, s6
	s_cbranch_execnz .LBB126_3674
	s_branch .LBB126_3675
.LBB126_4117:
	s_and_not1_saveexec_b32 s9, s9
	s_cbranch_execz .LBB126_3779
.LBB126_4118:
	v_add_f32_e64 v1, 0x46000000, |v4|
	s_and_not1_b32 s8, s8, exec_lo
	s_delay_alu instid0(VALU_DEP_1) | instskip(NEXT) | instid1(VALU_DEP_1)
	v_and_b32_e32 v1, 0xff, v1
	v_cmp_ne_u32_e32 vcc_lo, 0, v1
	s_and_b32 s10, vcc_lo, exec_lo
	s_delay_alu instid0(SALU_CYCLE_1)
	s_or_b32 s8, s8, s10
	s_or_b32 exec_lo, exec_lo, s9
	v_mov_b32_e32 v5, 0
	s_and_saveexec_b32 s9, s8
	s_cbranch_execnz .LBB126_3780
	s_branch .LBB126_3781
.LBB126_4119:
	s_or_b32 s3, s3, exec_lo
	s_trap 2
	s_cbranch_execz .LBB126_3827
	s_branch .LBB126_3828
.LBB126_4120:
	s_and_not1_saveexec_b32 s8, s8
	s_cbranch_execz .LBB126_3792
.LBB126_4121:
	v_add_f32_e64 v1, 0x42800000, |v4|
	s_and_not1_b32 s7, s7, exec_lo
	s_delay_alu instid0(VALU_DEP_1) | instskip(NEXT) | instid1(VALU_DEP_1)
	v_and_b32_e32 v1, 0xff, v1
	v_cmp_ne_u32_e32 vcc_lo, 0, v1
	s_and_b32 s9, vcc_lo, exec_lo
	s_delay_alu instid0(SALU_CYCLE_1)
	s_or_b32 s7, s7, s9
	s_or_b32 exec_lo, exec_lo, s8
	v_mov_b32_e32 v5, 0
	s_and_saveexec_b32 s8, s7
	s_cbranch_execnz .LBB126_3793
	s_branch .LBB126_3794
.LBB126_4122:
	s_and_not1_saveexec_b32 s9, s9
	s_cbranch_execz .LBB126_3898
.LBB126_4123:
	v_add_f32_e64 v1, 0x46000000, |v4|
	s_and_not1_b32 s8, s8, exec_lo
	s_delay_alu instid0(VALU_DEP_1) | instskip(NEXT) | instid1(VALU_DEP_1)
	v_and_b32_e32 v1, 0xff, v1
	v_cmp_ne_u32_e32 vcc_lo, 0, v1
	s_and_b32 s10, vcc_lo, exec_lo
	s_delay_alu instid0(SALU_CYCLE_1)
	s_or_b32 s8, s8, s10
	s_or_b32 exec_lo, exec_lo, s9
	v_mov_b32_e32 v5, 0
	s_and_saveexec_b32 s9, s8
	s_cbranch_execnz .LBB126_3899
	s_branch .LBB126_3900
.LBB126_4124:
	s_or_b32 s3, s3, exec_lo
	s_trap 2
	s_cbranch_execz .LBB126_3946
	s_branch .LBB126_3947
.LBB126_4125:
	s_and_not1_saveexec_b32 s8, s8
	s_cbranch_execz .LBB126_3911
.LBB126_4126:
	v_add_f32_e64 v1, 0x42800000, |v4|
	s_and_not1_b32 s7, s7, exec_lo
	s_delay_alu instid0(VALU_DEP_1) | instskip(NEXT) | instid1(VALU_DEP_1)
	v_and_b32_e32 v1, 0xff, v1
	v_cmp_ne_u32_e32 vcc_lo, 0, v1
	s_and_b32 s9, vcc_lo, exec_lo
	s_delay_alu instid0(SALU_CYCLE_1)
	s_or_b32 s7, s7, s9
	s_or_b32 exec_lo, exec_lo, s8
	v_mov_b32_e32 v5, 0
	s_and_saveexec_b32 s8, s7
	s_cbranch_execnz .LBB126_3912
	s_branch .LBB126_3913
.LBB126_4127:
	s_and_not1_saveexec_b32 s6, s6
	s_cbranch_execz .LBB126_4018
.LBB126_4128:
	v_add_f32_e64 v3, 0x46000000, |v2|
	s_and_not1_b32 s5, s5, exec_lo
	s_delay_alu instid0(VALU_DEP_1) | instskip(NEXT) | instid1(VALU_DEP_1)
	v_and_b32_e32 v3, 0xff, v3
	v_cmp_ne_u32_e32 vcc_lo, 0, v3
	s_and_b32 s7, vcc_lo, exec_lo
	s_delay_alu instid0(SALU_CYCLE_1)
	s_or_b32 s5, s5, s7
	s_or_b32 exec_lo, exec_lo, s6
	v_mov_b32_e32 v4, 0
	s_and_saveexec_b32 s6, s5
	s_cbranch_execnz .LBB126_4019
	s_branch .LBB126_4020
.LBB126_4129:
	s_mov_b32 s1, 0
	s_or_b32 s3, s3, exec_lo
	s_trap 2
	s_branch .LBB126_4064
.LBB126_4130:
	s_and_not1_saveexec_b32 s5, s5
	s_cbranch_execz .LBB126_4030
.LBB126_4131:
	v_add_f32_e64 v3, 0x42800000, |v2|
	s_and_not1_b32 s4, s4, exec_lo
	s_delay_alu instid0(VALU_DEP_1) | instskip(NEXT) | instid1(VALU_DEP_1)
	v_and_b32_e32 v3, 0xff, v3
	v_cmp_ne_u32_e32 vcc_lo, 0, v3
	s_and_b32 s6, vcc_lo, exec_lo
	s_delay_alu instid0(SALU_CYCLE_1)
	s_or_b32 s4, s4, s6
	s_or_b32 exec_lo, exec_lo, s5
	v_mov_b32_e32 v4, 0
	s_and_saveexec_b32 s5, s4
	s_cbranch_execnz .LBB126_4031
	s_branch .LBB126_4032
	.section	.rodata,"a",@progbits
	.p2align	6, 0x0
	.amdhsa_kernel _ZN2at6native32elementwise_kernel_manual_unrollILi128ELi4EZNS0_15gpu_kernel_implIZZZNS0_12_GLOBAL__N_116addr_kernel_cudaERNS_14TensorIteratorERKN3c106ScalarES9_ENKUlvE_clEvENKUlvE5_clEvEUlfffE0_EEvRNS_18TensorIteratorBaseERKT_EUlibE_EEviT1_
		.amdhsa_group_segment_fixed_size 0
		.amdhsa_private_segment_fixed_size 0
		.amdhsa_kernarg_size 72
		.amdhsa_user_sgpr_count 2
		.amdhsa_user_sgpr_dispatch_ptr 0
		.amdhsa_user_sgpr_queue_ptr 0
		.amdhsa_user_sgpr_kernarg_segment_ptr 1
		.amdhsa_user_sgpr_dispatch_id 0
		.amdhsa_user_sgpr_kernarg_preload_length 0
		.amdhsa_user_sgpr_kernarg_preload_offset 0
		.amdhsa_user_sgpr_private_segment_size 0
		.amdhsa_wavefront_size32 1
		.amdhsa_uses_dynamic_stack 0
		.amdhsa_enable_private_segment 0
		.amdhsa_system_sgpr_workgroup_id_x 1
		.amdhsa_system_sgpr_workgroup_id_y 0
		.amdhsa_system_sgpr_workgroup_id_z 0
		.amdhsa_system_sgpr_workgroup_info 0
		.amdhsa_system_vgpr_workitem_id 0
		.amdhsa_next_free_vgpr 24
		.amdhsa_next_free_sgpr 44
		.amdhsa_named_barrier_count 0
		.amdhsa_reserve_vcc 1
		.amdhsa_float_round_mode_32 0
		.amdhsa_float_round_mode_16_64 0
		.amdhsa_float_denorm_mode_32 3
		.amdhsa_float_denorm_mode_16_64 3
		.amdhsa_fp16_overflow 0
		.amdhsa_memory_ordered 1
		.amdhsa_forward_progress 1
		.amdhsa_inst_pref_size 255
		.amdhsa_round_robin_scheduling 0
		.amdhsa_exception_fp_ieee_invalid_op 0
		.amdhsa_exception_fp_denorm_src 0
		.amdhsa_exception_fp_ieee_div_zero 0
		.amdhsa_exception_fp_ieee_overflow 0
		.amdhsa_exception_fp_ieee_underflow 0
		.amdhsa_exception_fp_ieee_inexact 0
		.amdhsa_exception_int_div_zero 0
	.end_amdhsa_kernel
	.section	.text._ZN2at6native32elementwise_kernel_manual_unrollILi128ELi4EZNS0_15gpu_kernel_implIZZZNS0_12_GLOBAL__N_116addr_kernel_cudaERNS_14TensorIteratorERKN3c106ScalarES9_ENKUlvE_clEvENKUlvE5_clEvEUlfffE0_EEvRNS_18TensorIteratorBaseERKT_EUlibE_EEviT1_,"axG",@progbits,_ZN2at6native32elementwise_kernel_manual_unrollILi128ELi4EZNS0_15gpu_kernel_implIZZZNS0_12_GLOBAL__N_116addr_kernel_cudaERNS_14TensorIteratorERKN3c106ScalarES9_ENKUlvE_clEvENKUlvE5_clEvEUlfffE0_EEvRNS_18TensorIteratorBaseERKT_EUlibE_EEviT1_,comdat
.Lfunc_end126:
	.size	_ZN2at6native32elementwise_kernel_manual_unrollILi128ELi4EZNS0_15gpu_kernel_implIZZZNS0_12_GLOBAL__N_116addr_kernel_cudaERNS_14TensorIteratorERKN3c106ScalarES9_ENKUlvE_clEvENKUlvE5_clEvEUlfffE0_EEvRNS_18TensorIteratorBaseERKT_EUlibE_EEviT1_, .Lfunc_end126-_ZN2at6native32elementwise_kernel_manual_unrollILi128ELi4EZNS0_15gpu_kernel_implIZZZNS0_12_GLOBAL__N_116addr_kernel_cudaERNS_14TensorIteratorERKN3c106ScalarES9_ENKUlvE_clEvENKUlvE5_clEvEUlfffE0_EEvRNS_18TensorIteratorBaseERKT_EUlibE_EEviT1_
                                        ; -- End function
	.set _ZN2at6native32elementwise_kernel_manual_unrollILi128ELi4EZNS0_15gpu_kernel_implIZZZNS0_12_GLOBAL__N_116addr_kernel_cudaERNS_14TensorIteratorERKN3c106ScalarES9_ENKUlvE_clEvENKUlvE5_clEvEUlfffE0_EEvRNS_18TensorIteratorBaseERKT_EUlibE_EEviT1_.num_vgpr, 24
	.set _ZN2at6native32elementwise_kernel_manual_unrollILi128ELi4EZNS0_15gpu_kernel_implIZZZNS0_12_GLOBAL__N_116addr_kernel_cudaERNS_14TensorIteratorERKN3c106ScalarES9_ENKUlvE_clEvENKUlvE5_clEvEUlfffE0_EEvRNS_18TensorIteratorBaseERKT_EUlibE_EEviT1_.num_agpr, 0
	.set _ZN2at6native32elementwise_kernel_manual_unrollILi128ELi4EZNS0_15gpu_kernel_implIZZZNS0_12_GLOBAL__N_116addr_kernel_cudaERNS_14TensorIteratorERKN3c106ScalarES9_ENKUlvE_clEvENKUlvE5_clEvEUlfffE0_EEvRNS_18TensorIteratorBaseERKT_EUlibE_EEviT1_.numbered_sgpr, 44
	.set _ZN2at6native32elementwise_kernel_manual_unrollILi128ELi4EZNS0_15gpu_kernel_implIZZZNS0_12_GLOBAL__N_116addr_kernel_cudaERNS_14TensorIteratorERKN3c106ScalarES9_ENKUlvE_clEvENKUlvE5_clEvEUlfffE0_EEvRNS_18TensorIteratorBaseERKT_EUlibE_EEviT1_.num_named_barrier, 0
	.set _ZN2at6native32elementwise_kernel_manual_unrollILi128ELi4EZNS0_15gpu_kernel_implIZZZNS0_12_GLOBAL__N_116addr_kernel_cudaERNS_14TensorIteratorERKN3c106ScalarES9_ENKUlvE_clEvENKUlvE5_clEvEUlfffE0_EEvRNS_18TensorIteratorBaseERKT_EUlibE_EEviT1_.private_seg_size, 0
	.set _ZN2at6native32elementwise_kernel_manual_unrollILi128ELi4EZNS0_15gpu_kernel_implIZZZNS0_12_GLOBAL__N_116addr_kernel_cudaERNS_14TensorIteratorERKN3c106ScalarES9_ENKUlvE_clEvENKUlvE5_clEvEUlfffE0_EEvRNS_18TensorIteratorBaseERKT_EUlibE_EEviT1_.uses_vcc, 1
	.set _ZN2at6native32elementwise_kernel_manual_unrollILi128ELi4EZNS0_15gpu_kernel_implIZZZNS0_12_GLOBAL__N_116addr_kernel_cudaERNS_14TensorIteratorERKN3c106ScalarES9_ENKUlvE_clEvENKUlvE5_clEvEUlfffE0_EEvRNS_18TensorIteratorBaseERKT_EUlibE_EEviT1_.uses_flat_scratch, 0
	.set _ZN2at6native32elementwise_kernel_manual_unrollILi128ELi4EZNS0_15gpu_kernel_implIZZZNS0_12_GLOBAL__N_116addr_kernel_cudaERNS_14TensorIteratorERKN3c106ScalarES9_ENKUlvE_clEvENKUlvE5_clEvEUlfffE0_EEvRNS_18TensorIteratorBaseERKT_EUlibE_EEviT1_.has_dyn_sized_stack, 0
	.set _ZN2at6native32elementwise_kernel_manual_unrollILi128ELi4EZNS0_15gpu_kernel_implIZZZNS0_12_GLOBAL__N_116addr_kernel_cudaERNS_14TensorIteratorERKN3c106ScalarES9_ENKUlvE_clEvENKUlvE5_clEvEUlfffE0_EEvRNS_18TensorIteratorBaseERKT_EUlibE_EEviT1_.has_recursion, 0
	.set _ZN2at6native32elementwise_kernel_manual_unrollILi128ELi4EZNS0_15gpu_kernel_implIZZZNS0_12_GLOBAL__N_116addr_kernel_cudaERNS_14TensorIteratorERKN3c106ScalarES9_ENKUlvE_clEvENKUlvE5_clEvEUlfffE0_EEvRNS_18TensorIteratorBaseERKT_EUlibE_EEviT1_.has_indirect_call, 0
	.section	.AMDGPU.csdata,"",@progbits
; Kernel info:
; codeLenInByte = 74420
; TotalNumSgprs: 46
; NumVgprs: 24
; ScratchSize: 0
; MemoryBound: 1
; FloatMode: 240
; IeeeMode: 1
; LDSByteSize: 0 bytes/workgroup (compile time only)
; SGPRBlocks: 0
; VGPRBlocks: 1
; NumSGPRsForWavesPerEU: 46
; NumVGPRsForWavesPerEU: 24
; NamedBarCnt: 0
; Occupancy: 16
; WaveLimiterHint : 0
; COMPUTE_PGM_RSRC2:SCRATCH_EN: 0
; COMPUTE_PGM_RSRC2:USER_SGPR: 2
; COMPUTE_PGM_RSRC2:TRAP_HANDLER: 0
; COMPUTE_PGM_RSRC2:TGID_X_EN: 1
; COMPUTE_PGM_RSRC2:TGID_Y_EN: 0
; COMPUTE_PGM_RSRC2:TGID_Z_EN: 0
; COMPUTE_PGM_RSRC2:TIDIG_COMP_CNT: 0
	.section	.text._ZN2at6native32elementwise_kernel_manual_unrollILi128ELi4EZNS0_15gpu_kernel_implIZZZNS0_12_GLOBAL__N_116addr_kernel_cudaERNS_14TensorIteratorERKN3c106ScalarES9_ENKUlvE_clEvENKUlvE5_clEvEUlfffE0_EEvRNS_18TensorIteratorBaseERKT_EUlibE0_EEviT1_,"axG",@progbits,_ZN2at6native32elementwise_kernel_manual_unrollILi128ELi4EZNS0_15gpu_kernel_implIZZZNS0_12_GLOBAL__N_116addr_kernel_cudaERNS_14TensorIteratorERKN3c106ScalarES9_ENKUlvE_clEvENKUlvE5_clEvEUlfffE0_EEvRNS_18TensorIteratorBaseERKT_EUlibE0_EEviT1_,comdat
	.globl	_ZN2at6native32elementwise_kernel_manual_unrollILi128ELi4EZNS0_15gpu_kernel_implIZZZNS0_12_GLOBAL__N_116addr_kernel_cudaERNS_14TensorIteratorERKN3c106ScalarES9_ENKUlvE_clEvENKUlvE5_clEvEUlfffE0_EEvRNS_18TensorIteratorBaseERKT_EUlibE0_EEviT1_ ; -- Begin function _ZN2at6native32elementwise_kernel_manual_unrollILi128ELi4EZNS0_15gpu_kernel_implIZZZNS0_12_GLOBAL__N_116addr_kernel_cudaERNS_14TensorIteratorERKN3c106ScalarES9_ENKUlvE_clEvENKUlvE5_clEvEUlfffE0_EEvRNS_18TensorIteratorBaseERKT_EUlibE0_EEviT1_
	.p2align	8
	.type	_ZN2at6native32elementwise_kernel_manual_unrollILi128ELi4EZNS0_15gpu_kernel_implIZZZNS0_12_GLOBAL__N_116addr_kernel_cudaERNS_14TensorIteratorERKN3c106ScalarES9_ENKUlvE_clEvENKUlvE5_clEvEUlfffE0_EEvRNS_18TensorIteratorBaseERKT_EUlibE0_EEviT1_,@function
_ZN2at6native32elementwise_kernel_manual_unrollILi128ELi4EZNS0_15gpu_kernel_implIZZZNS0_12_GLOBAL__N_116addr_kernel_cudaERNS_14TensorIteratorERKN3c106ScalarES9_ENKUlvE_clEvENKUlvE5_clEvEUlfffE0_EEvRNS_18TensorIteratorBaseERKT_EUlibE0_EEviT1_: ; @_ZN2at6native32elementwise_kernel_manual_unrollILi128ELi4EZNS0_15gpu_kernel_implIZZZNS0_12_GLOBAL__N_116addr_kernel_cudaERNS_14TensorIteratorERKN3c106ScalarES9_ENKUlvE_clEvENKUlvE5_clEvEUlfffE0_EEvRNS_18TensorIteratorBaseERKT_EUlibE0_EEviT1_
; %bb.0:
	s_clause 0x1
	s_load_b32 s27, s[0:1], 0x8
	s_load_b32 s46, s[0:1], 0x0
	s_bfe_u32 s2, ttmp6, 0x4000c
	s_and_b32 s3, ttmp6, 15
	s_add_co_i32 s2, s2, 1
	s_getreg_b32 s4, hwreg(HW_REG_IB_STS2, 6, 4)
	s_mul_i32 s2, ttmp9, s2
	s_mov_b32 s38, 0
	s_add_co_i32 s3, s3, s2
	s_cmp_eq_u32 s4, 0
	s_mov_b32 s35, -1
	s_cselect_b32 s2, ttmp9, s3
	s_mov_b32 s11, 0
	v_lshl_or_b32 v0, s2, 9, v0
	s_add_nc_u64 s[2:3], s[0:1], 8
	s_wait_xcnt 0x0
	s_mov_b32 s0, exec_lo
	s_delay_alu instid0(VALU_DEP_1) | instskip(SKIP_2) | instid1(SALU_CYCLE_1)
	v_or_b32_e32 v1, 0x180, v0
	s_wait_kmcnt 0x0
	s_add_co_i32 s33, s27, -1
	s_cmp_gt_u32 s33, 1
	s_cselect_b32 s39, -1, 0
	v_cmpx_le_i32_e64 s46, v1
	s_xor_b32 s40, exec_lo, s0
	s_cbranch_execz .LBB127_2109
; %bb.1:
	s_clause 0x4
	s_load_b128 s[20:23], s[2:3], 0x4
	s_load_b64 s[0:1], s[2:3], 0x14
	s_load_b96 s[24:26], s[2:3], 0x1e8
	s_load_b256 s[12:19], s[2:3], 0xc4
	s_load_b256 s[4:11], s[2:3], 0x1c8
	s_cmp_lg_u32 s27, 0
	s_mov_b32 s29, 0
	s_cselect_b32 s47, -1, 0
	s_min_u32 s44, s33, 15
	s_cmp_gt_u32 s27, 1
	s_mov_b32 s31, s29
	s_mov_b32 s50, s29
	;; [unrolled: 1-line block ×4, first 2 shown]
	s_cselect_b32 s43, -1, 0
	s_mov_b32 s45, s29
	s_mov_b32 s51, exec_lo
	s_wait_kmcnt 0x0
	s_mov_b32 s28, s21
	s_mov_b32 s30, s0
	s_lshr_b32 s41, s26, 16
	s_lshr_b32 s42, s26, 8
	;; [unrolled: 1-line block ×3, first 2 shown]
	v_cmpx_gt_i32_e64 s46, v0
	s_cbranch_execz .LBB127_523
; %bb.2:
	s_and_not1_b32 vcc_lo, exec_lo, s39
	s_cbranch_vccnz .LBB127_8
; %bb.3:
	s_and_not1_b32 vcc_lo, exec_lo, s47
	s_cbranch_vccnz .LBB127_9
; %bb.4:
	v_dual_mov_b32 v6, 0 :: v_dual_mov_b32 v1, v0
	v_dual_mov_b32 v4, 0 :: v_dual_mov_b32 v2, 0
	v_mov_b32_e32 v8, 0
	s_add_co_i32 s0, s44, 1
	s_mov_b64 s[34:35], 0xffffffffffffffe0
	s_and_b32 s0, s0, 30
	s_add_nc_u64 s[34:35], s[2:3], s[34:35]
	s_mov_b64 s[36:37], s[2:3]
.LBB127_5:                              ; =>This Inner Loop Header: Depth=1
	s_clause 0x1
	s_load_b128 s[60:63], s[36:37], 0x4
	s_load_b64 s[48:49], s[36:37], 0x14
	s_load_b256 s[52:59], s[34:35], 0xe4
	s_add_co_i32 s0, s0, -2
	s_wait_xcnt 0x0
	s_add_nc_u64 s[36:37], s[36:37], 24
	s_cmp_lg_u32 s0, 0
	s_add_nc_u64 s[34:35], s[34:35], 32
	s_wait_kmcnt 0x0
	v_mul_hi_u32 v3, s61, v1
	s_delay_alu instid0(VALU_DEP_1) | instskip(NEXT) | instid1(VALU_DEP_1)
	v_add_nc_u32_e32 v3, v1, v3
	v_lshrrev_b32_e32 v3, s62, v3
	s_delay_alu instid0(VALU_DEP_1) | instskip(SKIP_1) | instid1(VALU_DEP_1)
	v_mul_hi_u32 v5, s48, v3
	v_mul_lo_u32 v7, v3, s60
	v_dual_add_nc_u32 v5, v3, v5 :: v_dual_sub_nc_u32 v7, v1, v7
	s_delay_alu instid0(VALU_DEP_1) | instskip(NEXT) | instid1(VALU_DEP_2)
	v_lshrrev_b32_e32 v1, s49, v5
	v_mad_u32 v8, v7, s53, v8
	v_mad_u32 v2, v7, s52, v2
	;; [unrolled: 1-line block ×4, first 2 shown]
	v_mul_lo_u32 v5, v1, s63
	s_delay_alu instid0(VALU_DEP_1) | instskip(NEXT) | instid1(VALU_DEP_1)
	v_sub_nc_u32_e32 v3, v3, v5
	v_mad_u32 v8, v3, s57, v8
	v_mad_u32 v2, v3, s56, v2
	;; [unrolled: 1-line block ×4, first 2 shown]
	s_cbranch_scc1 .LBB127_5
; %bb.6:
	s_bitcmp1_b32 s44, 0
	s_cselect_b32 s0, -1, 0
	s_delay_alu instid0(SALU_CYCLE_1)
	s_and_b32 vcc_lo, exec_lo, s0
	s_cbranch_vccnz .LBB127_10
; %bb.7:
	s_load_b96 s[48:50], s[36:37], 0x4
	s_load_b128 s[52:55], s[34:35], 0xe4
	s_wait_kmcnt 0x0
	v_mul_hi_u32 v3, s49, v1
	s_delay_alu instid0(VALU_DEP_1) | instskip(NEXT) | instid1(VALU_DEP_1)
	v_add_nc_u32_e32 v3, v1, v3
	v_lshrrev_b32_e32 v3, s50, v3
	s_delay_alu instid0(VALU_DEP_1) | instskip(NEXT) | instid1(VALU_DEP_1)
	v_mul_lo_u32 v3, v3, s48
	v_sub_nc_u32_e32 v1, v1, v3
	s_delay_alu instid0(VALU_DEP_1)
	v_mad_u32 v2, v1, s52, v2
	v_mad_u32 v8, v1, s53, v8
	;; [unrolled: 1-line block ×4, first 2 shown]
	s_cbranch_execz .LBB127_11
	s_branch .LBB127_13
.LBB127_8:
                                        ; implicit-def: $vgpr8
                                        ; implicit-def: $vgpr2
                                        ; implicit-def: $vgpr4
                                        ; implicit-def: $vgpr6
	s_branch .LBB127_11
.LBB127_9:
	v_dual_mov_b32 v8, 0 :: v_dual_mov_b32 v2, 0
	v_dual_mov_b32 v4, 0 :: v_dual_mov_b32 v6, 0
.LBB127_10:
	s_cbranch_execnz .LBB127_13
.LBB127_11:
	v_mov_b32_e32 v1, 0
	s_and_not1_b32 vcc_lo, exec_lo, s43
	s_delay_alu instid0(VALU_DEP_1) | instskip(NEXT) | instid1(VALU_DEP_1)
	v_mul_u64_e32 v[2:3], s[28:29], v[0:1]
	v_add_nc_u32_e32 v2, v0, v3
	s_delay_alu instid0(VALU_DEP_1) | instskip(NEXT) | instid1(VALU_DEP_1)
	v_lshrrev_b32_e32 v10, s22, v2
	v_mul_lo_u32 v2, v10, s20
	s_delay_alu instid0(VALU_DEP_1) | instskip(NEXT) | instid1(VALU_DEP_1)
	v_sub_nc_u32_e32 v3, v0, v2
	v_mul_lo_u32 v8, v3, s13
	v_mul_lo_u32 v2, v3, s12
	;; [unrolled: 1-line block ×4, first 2 shown]
	s_cbranch_vccnz .LBB127_13
; %bb.12:
	v_mov_b32_e32 v11, v1
	s_delay_alu instid0(VALU_DEP_1) | instskip(NEXT) | instid1(VALU_DEP_1)
	v_mul_u64_e32 v[12:13], s[30:31], v[10:11]
	v_add_nc_u32_e32 v1, v10, v13
	s_delay_alu instid0(VALU_DEP_1) | instskip(NEXT) | instid1(VALU_DEP_1)
	v_lshrrev_b32_e32 v1, s1, v1
	v_mul_lo_u32 v1, v1, s23
	s_delay_alu instid0(VALU_DEP_1) | instskip(NEXT) | instid1(VALU_DEP_1)
	v_sub_nc_u32_e32 v1, v10, v1
	v_mad_u32 v2, v1, s16, v2
	v_mad_u32 v8, v1, s17, v8
	;; [unrolled: 1-line block ×4, first 2 shown]
.LBB127_13:
	v_mov_b32_e32 v9, 0
	s_and_b32 s0, s42, 0xff
	s_delay_alu instid0(SALU_CYCLE_1) | instskip(NEXT) | instid1(VALU_DEP_1)
	s_cmp_lt_i32 s0, 11
	v_add_nc_u64_e32 v[8:9], s[6:7], v[8:9]
	s_cbranch_scc1 .LBB127_20
; %bb.14:
	s_and_b32 s35, 0xffff, s0
	s_delay_alu instid0(SALU_CYCLE_1)
	s_cmp_gt_i32 s35, 25
	s_cbranch_scc0 .LBB127_29
; %bb.15:
	s_cmp_gt_i32 s35, 28
	s_cbranch_scc0 .LBB127_39
; %bb.16:
	;; [unrolled: 3-line block ×4, first 2 shown]
	s_cmp_eq_u32 s35, 46
	s_mov_b32 s37, 0
	s_cbranch_scc0 .LBB127_48
; %bb.19:
	global_load_b32 v1, v[8:9], off
	s_mov_b32 s36, -1
	s_mov_b32 s34, 0
	s_wait_loadcnt 0x0
	v_lshlrev_b32_e32 v1, 16, v1
	s_branch .LBB127_50
.LBB127_20:
	s_mov_b32 s34, 0
	s_mov_b32 s36, 0
                                        ; implicit-def: $vgpr1
	s_cbranch_execnz .LBB127_116
.LBB127_21:
	s_and_not1_b32 vcc_lo, exec_lo, s36
	s_cbranch_vccnz .LBB127_163
.LBB127_22:
	v_mov_b32_e32 v7, 0
	s_and_b32 s0, s41, 0xff
	s_delay_alu instid0(SALU_CYCLE_1) | instskip(NEXT) | instid1(VALU_DEP_1)
	s_cmp_lt_i32 s0, 11
	v_add_nc_u64_e32 v[6:7], s[8:9], v[6:7]
	s_cbranch_scc1 .LBB127_30
; %bb.23:
	s_and_b32 s36, 0xffff, s0
	s_delay_alu instid0(SALU_CYCLE_1)
	s_cmp_gt_i32 s36, 25
	s_cbranch_scc0 .LBB127_40
; %bb.24:
	s_cmp_gt_i32 s36, 28
	s_cbranch_scc0 .LBB127_43
; %bb.25:
	;; [unrolled: 3-line block ×4, first 2 shown]
	s_cmp_eq_u32 s36, 46
	s_mov_b32 s45, 0
	s_cbranch_scc0 .LBB127_164
; %bb.28:
	global_load_b32 v3, v[6:7], off
	s_mov_b32 s37, -1
	s_mov_b32 s35, 0
	s_wait_loadcnt 0x0
	v_lshlrev_b32_e32 v3, 16, v3
	s_branch .LBB127_166
.LBB127_29:
	s_mov_b32 s34, 0
	s_mov_b32 s36, 0
                                        ; implicit-def: $vgpr1
	s_cbranch_execnz .LBB127_81
	s_branch .LBB127_115
.LBB127_30:
	s_mov_b32 s35, 0
	s_mov_b32 s37, 0
                                        ; implicit-def: $vgpr3
	s_cbranch_execnz .LBB127_232
.LBB127_31:
	s_and_not1_b32 vcc_lo, exec_lo, s37
	s_cbranch_vccnz .LBB127_280
.LBB127_32:
	v_mov_b32_e32 v5, 0
	s_and_b32 s0, 0xffff, s21
	s_delay_alu instid0(SALU_CYCLE_1) | instskip(NEXT) | instid1(VALU_DEP_1)
	s_cmp_lt_i32 s0, 11
	v_add_nc_u64_e32 v[4:5], s[10:11], v[4:5]
	s_cbranch_scc1 .LBB127_41
; %bb.33:
	s_cmp_gt_i32 s0, 25
	s_cbranch_scc0 .LBB127_44
; %bb.34:
	s_cmp_gt_i32 s0, 28
	s_cbranch_scc0 .LBB127_47
	;; [unrolled: 3-line block ×4, first 2 shown]
; %bb.37:
	s_cmp_eq_u32 s0, 46
	s_mov_b32 s45, 0
	s_cbranch_scc0 .LBB127_281
; %bb.38:
	global_load_b32 v6, v[4:5], off
	s_mov_b32 s37, -1
	s_mov_b32 s36, 0
	s_wait_loadcnt 0x0
	v_lshlrev_b32_e32 v6, 16, v6
	s_branch .LBB127_283
.LBB127_39:
	s_mov_b32 s37, -1
	s_mov_b32 s34, 0
	s_mov_b32 s36, 0
                                        ; implicit-def: $vgpr1
	s_branch .LBB127_62
.LBB127_40:
	s_mov_b32 s45, -1
	s_mov_b32 s35, 0
	s_mov_b32 s37, 0
                                        ; implicit-def: $vgpr3
	s_branch .LBB127_196
.LBB127_41:
	s_mov_b32 s45, -1
	s_mov_b32 s36, 0
	s_mov_b32 s37, 0
                                        ; implicit-def: $vgpr6
	s_branch .LBB127_348
.LBB127_42:
	s_mov_b32 s37, -1
	s_mov_b32 s34, 0
	s_mov_b32 s36, 0
                                        ; implicit-def: $vgpr1
	s_branch .LBB127_57
.LBB127_43:
	s_mov_b32 s45, -1
	s_mov_b32 s35, 0
	s_mov_b32 s37, 0
                                        ; implicit-def: $vgpr3
	s_branch .LBB127_177
.LBB127_44:
	s_mov_b32 s45, -1
	s_mov_b32 s36, 0
	s_mov_b32 s37, 0
                                        ; implicit-def: $vgpr6
	s_branch .LBB127_312
.LBB127_45:
	s_mov_b32 s37, -1
	s_mov_b32 s34, 0
	s_branch .LBB127_49
.LBB127_46:
	s_mov_b32 s45, -1
	s_mov_b32 s35, 0
	s_mov_b32 s37, 0
                                        ; implicit-def: $vgpr3
	s_branch .LBB127_172
.LBB127_47:
	s_mov_b32 s45, -1
	s_mov_b32 s36, 0
	s_mov_b32 s37, 0
                                        ; implicit-def: $vgpr6
	s_branch .LBB127_293
.LBB127_48:
	s_mov_b32 s34, -1
.LBB127_49:
	s_mov_b32 s36, 0
                                        ; implicit-def: $vgpr1
.LBB127_50:
	s_and_b32 vcc_lo, exec_lo, s37
	s_cbranch_vccz .LBB127_56
; %bb.51:
	s_cmp_eq_u32 s35, 44
	s_cbranch_scc0 .LBB127_55
; %bb.52:
	global_load_u8 v1, v[8:9], off
	s_mov_b32 s34, 0
	s_mov_b32 s36, -1
	s_wait_loadcnt 0x0
	v_lshlrev_b32_e32 v3, 23, v1
	v_cmp_ne_u32_e32 vcc_lo, 0xff, v1
	s_delay_alu instid0(VALU_DEP_2) | instskip(SKIP_1) | instid1(VALU_DEP_2)
	v_cndmask_b32_e32 v3, 0x7f800001, v3, vcc_lo
	v_cmp_ne_u32_e32 vcc_lo, 0, v1
	v_cndmask_b32_e32 v1, 0x400000, v3, vcc_lo
	s_branch .LBB127_56
.LBB127_53:
	s_mov_b32 s45, -1
	s_mov_b32 s35, 0
	s_branch .LBB127_165
.LBB127_54:
	s_mov_b32 s45, -1
	s_mov_b32 s36, 0
	s_mov_b32 s37, 0
                                        ; implicit-def: $vgpr6
	s_branch .LBB127_288
.LBB127_55:
	s_mov_b32 s34, -1
                                        ; implicit-def: $vgpr1
.LBB127_56:
	s_mov_b32 s37, 0
.LBB127_57:
	s_delay_alu instid0(SALU_CYCLE_1)
	s_and_b32 vcc_lo, exec_lo, s37
	s_cbranch_vccz .LBB127_61
; %bb.58:
	s_cmp_eq_u32 s35, 29
	s_cbranch_scc0 .LBB127_60
; %bb.59:
	global_load_b64 v[10:11], v[8:9], off
	s_mov_b32 s36, -1
	s_mov_b32 s34, 0
	s_mov_b32 s37, 0
	s_wait_loadcnt 0x0
	v_clz_i32_u32_e32 v1, v11
	s_delay_alu instid0(VALU_DEP_1) | instskip(NEXT) | instid1(VALU_DEP_1)
	v_min_u32_e32 v1, 32, v1
	v_lshlrev_b64_e32 v[10:11], v1, v[10:11]
	v_sub_nc_u32_e32 v1, 32, v1
	s_delay_alu instid0(VALU_DEP_2) | instskip(NEXT) | instid1(VALU_DEP_1)
	v_min_u32_e32 v3, 1, v10
	v_or_b32_e32 v3, v11, v3
	s_delay_alu instid0(VALU_DEP_1) | instskip(NEXT) | instid1(VALU_DEP_1)
	v_cvt_f32_u32_e32 v3, v3
	v_ldexp_f32 v1, v3, v1
	s_branch .LBB127_62
.LBB127_60:
	s_mov_b32 s34, -1
                                        ; implicit-def: $vgpr1
.LBB127_61:
	s_mov_b32 s37, 0
.LBB127_62:
	s_delay_alu instid0(SALU_CYCLE_1)
	s_and_b32 vcc_lo, exec_lo, s37
	s_cbranch_vccz .LBB127_80
; %bb.63:
	s_cmp_lt_i32 s35, 27
	s_cbranch_scc1 .LBB127_66
; %bb.64:
	s_cmp_gt_i32 s35, 27
	s_cbranch_scc0 .LBB127_67
; %bb.65:
	global_load_b32 v1, v[8:9], off
	s_mov_b32 s36, 0
	s_wait_loadcnt 0x0
	v_cvt_f32_u32_e32 v1, v1
	s_branch .LBB127_68
.LBB127_66:
	s_mov_b32 s36, -1
                                        ; implicit-def: $vgpr1
	s_branch .LBB127_71
.LBB127_67:
	s_mov_b32 s36, -1
                                        ; implicit-def: $vgpr1
.LBB127_68:
	s_delay_alu instid0(SALU_CYCLE_1)
	s_and_not1_b32 vcc_lo, exec_lo, s36
	s_cbranch_vccnz .LBB127_70
; %bb.69:
	global_load_u16 v1, v[8:9], off
	s_wait_loadcnt 0x0
	v_cvt_f32_u32_e32 v1, v1
.LBB127_70:
	s_mov_b32 s36, 0
.LBB127_71:
	s_delay_alu instid0(SALU_CYCLE_1)
	s_and_not1_b32 vcc_lo, exec_lo, s36
	s_cbranch_vccnz .LBB127_79
; %bb.72:
	global_load_u8 v3, v[8:9], off
	s_mov_b32 s36, 0
	s_mov_b32 s37, exec_lo
	s_wait_loadcnt 0x0
	v_cmpx_lt_i16_e32 0x7f, v3
	s_xor_b32 s37, exec_lo, s37
	s_cbranch_execz .LBB127_92
; %bb.73:
	s_mov_b32 s36, -1
	s_mov_b32 s45, exec_lo
	v_cmpx_eq_u16_e32 0x80, v3
; %bb.74:
	s_xor_b32 s36, exec_lo, -1
; %bb.75:
	s_or_b32 exec_lo, exec_lo, s45
	s_delay_alu instid0(SALU_CYCLE_1)
	s_and_b32 s36, s36, exec_lo
	s_or_saveexec_b32 s37, s37
	v_mov_b32_e32 v1, 0x7f800001
	s_xor_b32 exec_lo, exec_lo, s37
	s_cbranch_execnz .LBB127_93
.LBB127_76:
	s_or_b32 exec_lo, exec_lo, s37
	s_and_saveexec_b32 s37, s36
	s_cbranch_execz .LBB127_78
.LBB127_77:
	v_and_b32_e32 v1, 0xffff, v3
	s_delay_alu instid0(VALU_DEP_1) | instskip(SKIP_1) | instid1(VALU_DEP_2)
	v_and_b32_e32 v5, 7, v1
	v_bfe_u32 v11, v1, 3, 4
	v_clz_i32_u32_e32 v7, v5
	s_delay_alu instid0(VALU_DEP_2) | instskip(NEXT) | instid1(VALU_DEP_2)
	v_cmp_eq_u32_e32 vcc_lo, 0, v11
	v_min_u32_e32 v7, 32, v7
	s_delay_alu instid0(VALU_DEP_1) | instskip(NEXT) | instid1(VALU_DEP_1)
	v_subrev_nc_u32_e32 v10, 28, v7
	v_dual_lshlrev_b32 v1, v10, v1 :: v_dual_sub_nc_u32 v7, 29, v7
	s_delay_alu instid0(VALU_DEP_1) | instskip(NEXT) | instid1(VALU_DEP_1)
	v_dual_lshlrev_b32 v3, 24, v3 :: v_dual_bitop2_b32 v1, 7, v1 bitop3:0x40
	v_dual_cndmask_b32 v1, v5, v1, vcc_lo :: v_dual_cndmask_b32 v7, v11, v7, vcc_lo
	s_delay_alu instid0(VALU_DEP_2) | instskip(NEXT) | instid1(VALU_DEP_2)
	v_and_b32_e32 v3, 0x80000000, v3
	v_lshlrev_b32_e32 v1, 20, v1
	s_delay_alu instid0(VALU_DEP_3) | instskip(NEXT) | instid1(VALU_DEP_1)
	v_lshl_add_u32 v5, v7, 23, 0x3b800000
	v_or3_b32 v1, v3, v5, v1
.LBB127_78:
	s_or_b32 exec_lo, exec_lo, s37
.LBB127_79:
	s_mov_b32 s36, -1
.LBB127_80:
	s_branch .LBB127_115
.LBB127_81:
	s_cmp_gt_i32 s35, 22
	s_cbranch_scc0 .LBB127_91
; %bb.82:
	s_cmp_lt_i32 s35, 24
	s_cbranch_scc1 .LBB127_94
; %bb.83:
	s_cmp_gt_i32 s35, 24
	s_cbranch_scc0 .LBB127_95
; %bb.84:
	global_load_u8 v3, v[8:9], off
	s_mov_b32 s36, 0
	s_mov_b32 s37, exec_lo
	s_wait_loadcnt 0x0
	v_cmpx_lt_i16_e32 0x7f, v3
	s_xor_b32 s37, exec_lo, s37
	s_cbranch_execz .LBB127_107
; %bb.85:
	s_mov_b32 s36, -1
	s_mov_b32 s45, exec_lo
	v_cmpx_eq_u16_e32 0x80, v3
; %bb.86:
	s_xor_b32 s36, exec_lo, -1
; %bb.87:
	s_or_b32 exec_lo, exec_lo, s45
	s_delay_alu instid0(SALU_CYCLE_1)
	s_and_b32 s36, s36, exec_lo
	s_or_saveexec_b32 s37, s37
	v_mov_b32_e32 v1, 0x7f800001
	s_xor_b32 exec_lo, exec_lo, s37
	s_cbranch_execnz .LBB127_108
.LBB127_88:
	s_or_b32 exec_lo, exec_lo, s37
	s_and_saveexec_b32 s37, s36
	s_cbranch_execz .LBB127_90
.LBB127_89:
	v_and_b32_e32 v1, 0xffff, v3
	s_delay_alu instid0(VALU_DEP_1) | instskip(SKIP_1) | instid1(VALU_DEP_2)
	v_and_b32_e32 v5, 3, v1
	v_bfe_u32 v11, v1, 2, 5
	v_clz_i32_u32_e32 v7, v5
	s_delay_alu instid0(VALU_DEP_2) | instskip(NEXT) | instid1(VALU_DEP_2)
	v_cmp_eq_u32_e32 vcc_lo, 0, v11
	v_min_u32_e32 v7, 32, v7
	s_delay_alu instid0(VALU_DEP_1) | instskip(NEXT) | instid1(VALU_DEP_1)
	v_subrev_nc_u32_e32 v10, 29, v7
	v_dual_lshlrev_b32 v1, v10, v1 :: v_dual_sub_nc_u32 v7, 30, v7
	s_delay_alu instid0(VALU_DEP_1) | instskip(NEXT) | instid1(VALU_DEP_1)
	v_dual_lshlrev_b32 v3, 24, v3 :: v_dual_bitop2_b32 v1, 3, v1 bitop3:0x40
	v_dual_cndmask_b32 v1, v5, v1, vcc_lo :: v_dual_cndmask_b32 v7, v11, v7, vcc_lo
	s_delay_alu instid0(VALU_DEP_2) | instskip(NEXT) | instid1(VALU_DEP_2)
	v_and_b32_e32 v3, 0x80000000, v3
	v_lshlrev_b32_e32 v1, 21, v1
	s_delay_alu instid0(VALU_DEP_3) | instskip(NEXT) | instid1(VALU_DEP_1)
	v_lshl_add_u32 v5, v7, 23, 0x37800000
	v_or3_b32 v1, v3, v5, v1
.LBB127_90:
	s_or_b32 exec_lo, exec_lo, s37
	s_mov_b32 s36, 0
	s_branch .LBB127_96
.LBB127_91:
	s_mov_b32 s37, -1
                                        ; implicit-def: $vgpr1
	s_branch .LBB127_102
.LBB127_92:
	s_or_saveexec_b32 s37, s37
	v_mov_b32_e32 v1, 0x7f800001
	s_xor_b32 exec_lo, exec_lo, s37
	s_cbranch_execz .LBB127_76
.LBB127_93:
	v_cmp_ne_u16_e32 vcc_lo, 0, v3
	v_mov_b32_e32 v1, 0
	s_and_not1_b32 s36, s36, exec_lo
	s_and_b32 s45, vcc_lo, exec_lo
	s_delay_alu instid0(SALU_CYCLE_1)
	s_or_b32 s36, s36, s45
	s_or_b32 exec_lo, exec_lo, s37
	s_and_saveexec_b32 s37, s36
	s_cbranch_execnz .LBB127_77
	s_branch .LBB127_78
.LBB127_94:
	s_mov_b32 s36, -1
                                        ; implicit-def: $vgpr1
	s_branch .LBB127_99
.LBB127_95:
	s_mov_b32 s36, -1
                                        ; implicit-def: $vgpr1
.LBB127_96:
	s_delay_alu instid0(SALU_CYCLE_1)
	s_and_b32 vcc_lo, exec_lo, s36
	s_cbranch_vccz .LBB127_98
; %bb.97:
	global_load_u8 v1, v[8:9], off
	s_wait_loadcnt 0x0
	v_lshlrev_b32_e32 v1, 24, v1
	s_delay_alu instid0(VALU_DEP_1) | instskip(NEXT) | instid1(VALU_DEP_1)
	v_and_b32_e32 v3, 0x7f000000, v1
	v_clz_i32_u32_e32 v5, v3
	v_cmp_ne_u32_e32 vcc_lo, 0, v3
	v_add_nc_u32_e32 v10, 0x1000000, v3
	s_delay_alu instid0(VALU_DEP_3) | instskip(NEXT) | instid1(VALU_DEP_1)
	v_min_u32_e32 v5, 32, v5
	v_sub_nc_u32_e64 v5, v5, 4 clamp
	s_delay_alu instid0(VALU_DEP_1) | instskip(NEXT) | instid1(VALU_DEP_1)
	v_dual_lshlrev_b32 v7, v5, v3 :: v_dual_lshlrev_b32 v5, 23, v5
	v_lshrrev_b32_e32 v7, 4, v7
	s_delay_alu instid0(VALU_DEP_1) | instskip(NEXT) | instid1(VALU_DEP_1)
	v_dual_sub_nc_u32 v5, v7, v5 :: v_dual_ashrrev_i32 v7, 8, v10
	v_add_nc_u32_e32 v5, 0x3c000000, v5
	s_delay_alu instid0(VALU_DEP_1) | instskip(NEXT) | instid1(VALU_DEP_1)
	v_and_or_b32 v5, 0x7f800000, v7, v5
	v_cndmask_b32_e32 v3, 0, v5, vcc_lo
	s_delay_alu instid0(VALU_DEP_1)
	v_and_or_b32 v1, 0x80000000, v1, v3
.LBB127_98:
	s_mov_b32 s36, 0
.LBB127_99:
	s_delay_alu instid0(SALU_CYCLE_1)
	s_and_not1_b32 vcc_lo, exec_lo, s36
	s_cbranch_vccnz .LBB127_101
; %bb.100:
	global_load_u8 v1, v[8:9], off
	s_wait_loadcnt 0x0
	v_lshlrev_b32_e32 v3, 25, v1
	v_lshlrev_b16 v1, 8, v1
	s_delay_alu instid0(VALU_DEP_1) | instskip(SKIP_1) | instid1(VALU_DEP_2)
	v_and_or_b32 v7, 0x7f00, v1, 0.5
	v_bfe_i32 v1, v1, 0, 16
	v_add_f32_e32 v7, -0.5, v7
	v_lshrrev_b32_e32 v5, 4, v3
	v_cmp_gt_u32_e32 vcc_lo, 0x8000000, v3
	s_delay_alu instid0(VALU_DEP_2) | instskip(NEXT) | instid1(VALU_DEP_1)
	v_or_b32_e32 v5, 0x70000000, v5
	v_mul_f32_e32 v5, 0x7800000, v5
	s_delay_alu instid0(VALU_DEP_1) | instskip(NEXT) | instid1(VALU_DEP_1)
	v_cndmask_b32_e32 v3, v5, v7, vcc_lo
	v_and_or_b32 v1, 0x80000000, v1, v3
.LBB127_101:
	s_mov_b32 s37, 0
	s_mov_b32 s36, -1
.LBB127_102:
	s_and_not1_b32 vcc_lo, exec_lo, s37
	s_cbranch_vccnz .LBB127_115
; %bb.103:
	s_cmp_gt_i32 s35, 14
	s_cbranch_scc0 .LBB127_106
; %bb.104:
	s_cmp_eq_u32 s35, 15
	s_cbranch_scc0 .LBB127_109
; %bb.105:
	global_load_u16 v1, v[8:9], off
	s_mov_b32 s36, -1
	s_mov_b32 s34, 0
	s_wait_loadcnt 0x0
	v_lshlrev_b32_e32 v1, 16, v1
	s_branch .LBB127_110
.LBB127_106:
	s_mov_b32 s37, -1
                                        ; implicit-def: $vgpr1
	s_branch .LBB127_111
.LBB127_107:
	s_or_saveexec_b32 s37, s37
	v_mov_b32_e32 v1, 0x7f800001
	s_xor_b32 exec_lo, exec_lo, s37
	s_cbranch_execz .LBB127_88
.LBB127_108:
	v_cmp_ne_u16_e32 vcc_lo, 0, v3
	v_mov_b32_e32 v1, 0
	s_and_not1_b32 s36, s36, exec_lo
	s_and_b32 s45, vcc_lo, exec_lo
	s_delay_alu instid0(SALU_CYCLE_1)
	s_or_b32 s36, s36, s45
	s_or_b32 exec_lo, exec_lo, s37
	s_and_saveexec_b32 s37, s36
	s_cbranch_execnz .LBB127_89
	s_branch .LBB127_90
.LBB127_109:
	s_mov_b32 s34, -1
                                        ; implicit-def: $vgpr1
.LBB127_110:
	s_mov_b32 s37, 0
.LBB127_111:
	s_delay_alu instid0(SALU_CYCLE_1)
	s_and_b32 vcc_lo, exec_lo, s37
	s_cbranch_vccz .LBB127_115
; %bb.112:
	s_cmp_eq_u32 s35, 11
	s_cbranch_scc0 .LBB127_114
; %bb.113:
	global_load_u8 v1, v[8:9], off
	s_mov_b32 s34, 0
	s_mov_b32 s36, -1
	s_wait_loadcnt 0x0
	v_cmp_ne_u16_e32 vcc_lo, 0, v1
	v_cndmask_b32_e64 v1, 0, 1.0, vcc_lo
	s_branch .LBB127_115
.LBB127_114:
	s_mov_b32 s34, -1
                                        ; implicit-def: $vgpr1
.LBB127_115:
	s_branch .LBB127_21
.LBB127_116:
	s_and_b32 s0, 0xffff, s0
	s_delay_alu instid0(SALU_CYCLE_1)
	s_cmp_lt_i32 s0, 5
	s_cbranch_scc1 .LBB127_121
; %bb.117:
	s_cmp_lt_i32 s0, 8
	s_cbranch_scc1 .LBB127_122
; %bb.118:
	;; [unrolled: 3-line block ×3, first 2 shown]
	s_cmp_gt_i32 s0, 9
	s_cbranch_scc0 .LBB127_124
; %bb.120:
	global_load_b64 v[10:11], v[8:9], off
	s_mov_b32 s35, 0
	s_wait_loadcnt 0x0
	v_cvt_f32_f64_e32 v1, v[10:11]
	s_branch .LBB127_125
.LBB127_121:
                                        ; implicit-def: $vgpr1
	s_branch .LBB127_143
.LBB127_122:
	s_mov_b32 s35, -1
                                        ; implicit-def: $vgpr1
	s_branch .LBB127_131
.LBB127_123:
	s_mov_b32 s35, -1
                                        ; implicit-def: $vgpr1
	s_branch .LBB127_128
.LBB127_124:
	s_mov_b32 s35, -1
                                        ; implicit-def: $vgpr1
.LBB127_125:
	s_delay_alu instid0(SALU_CYCLE_1)
	s_and_not1_b32 vcc_lo, exec_lo, s35
	s_cbranch_vccnz .LBB127_127
; %bb.126:
	global_load_b32 v1, v[8:9], off
.LBB127_127:
	s_mov_b32 s35, 0
.LBB127_128:
	s_delay_alu instid0(SALU_CYCLE_1)
	s_and_not1_b32 vcc_lo, exec_lo, s35
	s_cbranch_vccnz .LBB127_130
; %bb.129:
	s_wait_loadcnt 0x0
	global_load_b32 v1, v[8:9], off
	s_wait_loadcnt 0x0
	v_cvt_f32_f16_e32 v1, v1
.LBB127_130:
	s_mov_b32 s35, 0
.LBB127_131:
	s_delay_alu instid0(SALU_CYCLE_1)
	s_and_not1_b32 vcc_lo, exec_lo, s35
	s_cbranch_vccnz .LBB127_142
; %bb.132:
	s_cmp_lt_i32 s0, 6
	s_cbranch_scc1 .LBB127_135
; %bb.133:
	s_cmp_gt_i32 s0, 6
	s_cbranch_scc0 .LBB127_136
; %bb.134:
	global_load_b64 v[10:11], v[8:9], off
	s_mov_b32 s35, 0
	s_wait_loadcnt 0x0
	v_cvt_f32_f64_e32 v1, v[10:11]
	s_branch .LBB127_137
.LBB127_135:
	s_mov_b32 s35, -1
                                        ; implicit-def: $vgpr1
	s_branch .LBB127_140
.LBB127_136:
	s_mov_b32 s35, -1
                                        ; implicit-def: $vgpr1
.LBB127_137:
	s_delay_alu instid0(SALU_CYCLE_1)
	s_and_not1_b32 vcc_lo, exec_lo, s35
	s_cbranch_vccnz .LBB127_139
; %bb.138:
	s_wait_loadcnt 0x0
	global_load_b32 v1, v[8:9], off
.LBB127_139:
	s_mov_b32 s35, 0
.LBB127_140:
	s_delay_alu instid0(SALU_CYCLE_1)
	s_and_not1_b32 vcc_lo, exec_lo, s35
	s_cbranch_vccnz .LBB127_142
; %bb.141:
	s_wait_loadcnt 0x0
	global_load_u16 v1, v[8:9], off
	s_wait_loadcnt 0x0
	v_cvt_f32_f16_e32 v1, v1
.LBB127_142:
	s_cbranch_execnz .LBB127_162
.LBB127_143:
	s_cmp_lt_i32 s0, 2
	s_cbranch_scc1 .LBB127_147
; %bb.144:
	s_cmp_lt_i32 s0, 3
	s_cbranch_scc1 .LBB127_148
; %bb.145:
	s_cmp_gt_i32 s0, 3
	s_cbranch_scc0 .LBB127_149
; %bb.146:
	global_load_b64 v[10:11], v[8:9], off
	s_mov_b32 s35, 0
	s_wait_loadcnt 0x0
	v_xor_b32_e32 v1, v10, v11
	v_cls_i32_e32 v3, v11
	s_delay_alu instid0(VALU_DEP_2) | instskip(NEXT) | instid1(VALU_DEP_1)
	v_ashrrev_i32_e32 v1, 31, v1
	v_add_nc_u32_e32 v1, 32, v1
	s_delay_alu instid0(VALU_DEP_1) | instskip(NEXT) | instid1(VALU_DEP_1)
	v_add_min_u32_e64 v1, v3, -1, v1
	v_lshlrev_b64_e32 v[10:11], v1, v[10:11]
	v_sub_nc_u32_e32 v1, 32, v1
	s_delay_alu instid0(VALU_DEP_2) | instskip(NEXT) | instid1(VALU_DEP_1)
	v_min_u32_e32 v3, 1, v10
	v_or_b32_e32 v3, v11, v3
	s_delay_alu instid0(VALU_DEP_1) | instskip(NEXT) | instid1(VALU_DEP_1)
	v_cvt_f32_i32_e32 v3, v3
	v_ldexp_f32 v1, v3, v1
	s_branch .LBB127_150
.LBB127_147:
	s_mov_b32 s35, -1
                                        ; implicit-def: $vgpr1
	s_branch .LBB127_156
.LBB127_148:
	s_mov_b32 s35, -1
                                        ; implicit-def: $vgpr1
	s_branch .LBB127_153
.LBB127_149:
	s_mov_b32 s35, -1
                                        ; implicit-def: $vgpr1
.LBB127_150:
	s_delay_alu instid0(SALU_CYCLE_1)
	s_and_not1_b32 vcc_lo, exec_lo, s35
	s_cbranch_vccnz .LBB127_152
; %bb.151:
	s_wait_loadcnt 0x0
	global_load_b32 v1, v[8:9], off
	s_wait_loadcnt 0x0
	v_cvt_f32_i32_e32 v1, v1
.LBB127_152:
	s_mov_b32 s35, 0
.LBB127_153:
	s_delay_alu instid0(SALU_CYCLE_1)
	s_and_not1_b32 vcc_lo, exec_lo, s35
	s_cbranch_vccnz .LBB127_155
; %bb.154:
	s_wait_loadcnt 0x0
	global_load_i16 v1, v[8:9], off
	s_wait_loadcnt 0x0
	v_cvt_f32_i32_e32 v1, v1
.LBB127_155:
	s_mov_b32 s35, 0
.LBB127_156:
	s_delay_alu instid0(SALU_CYCLE_1)
	s_and_not1_b32 vcc_lo, exec_lo, s35
	s_cbranch_vccnz .LBB127_162
; %bb.157:
	s_cmp_gt_i32 s0, 0
	s_mov_b32 s0, 0
	s_cbranch_scc0 .LBB127_159
; %bb.158:
	s_wait_loadcnt 0x0
	global_load_i8 v1, v[8:9], off
	s_wait_loadcnt 0x0
	v_cvt_f32_i32_e32 v1, v1
	s_branch .LBB127_160
.LBB127_159:
	s_mov_b32 s0, -1
                                        ; implicit-def: $vgpr1
.LBB127_160:
	s_delay_alu instid0(SALU_CYCLE_1)
	s_and_not1_b32 vcc_lo, exec_lo, s0
	s_cbranch_vccnz .LBB127_162
; %bb.161:
	s_wait_loadcnt 0x0
	global_load_u8 v1, v[8:9], off
	s_wait_loadcnt 0x0
	v_cvt_f32_ubyte0_e32 v1, v1
.LBB127_162:
	s_branch .LBB127_22
.LBB127_163:
	s_mov_b32 s0, 0
	s_mov_b32 s36, 0
	s_mov_b32 s35, 0
	s_branch .LBB127_521
.LBB127_164:
	s_mov_b32 s35, -1
.LBB127_165:
	s_mov_b32 s37, 0
                                        ; implicit-def: $vgpr3
.LBB127_166:
	s_and_b32 vcc_lo, exec_lo, s45
	s_cbranch_vccz .LBB127_171
; %bb.167:
	s_cmp_eq_u32 s36, 44
	s_cbranch_scc0 .LBB127_170
; %bb.168:
	global_load_u8 v3, v[6:7], off
	s_mov_b32 s35, 0
	s_mov_b32 s37, -1
	s_wait_loadcnt 0x0
	v_lshlrev_b32_e32 v5, 23, v3
	v_cmp_ne_u32_e32 vcc_lo, 0xff, v3
	s_delay_alu instid0(VALU_DEP_2) | instskip(SKIP_1) | instid1(VALU_DEP_2)
	v_cndmask_b32_e32 v5, 0x7f800001, v5, vcc_lo
	v_cmp_ne_u32_e32 vcc_lo, 0, v3
	v_cndmask_b32_e32 v3, 0x400000, v5, vcc_lo
	s_branch .LBB127_171
.LBB127_169:
	s_mov_b32 s45, -1
	s_mov_b32 s36, 0
	s_branch .LBB127_282
.LBB127_170:
	s_mov_b32 s35, -1
                                        ; implicit-def: $vgpr3
.LBB127_171:
	s_mov_b32 s45, 0
.LBB127_172:
	s_delay_alu instid0(SALU_CYCLE_1)
	s_and_b32 vcc_lo, exec_lo, s45
	s_cbranch_vccz .LBB127_176
; %bb.173:
	s_cmp_eq_u32 s36, 29
	s_cbranch_scc0 .LBB127_175
; %bb.174:
	global_load_b64 v[8:9], v[6:7], off
	s_mov_b32 s37, -1
	s_mov_b32 s35, 0
	s_mov_b32 s45, 0
	s_wait_loadcnt 0x0
	v_clz_i32_u32_e32 v3, v9
	s_delay_alu instid0(VALU_DEP_1) | instskip(NEXT) | instid1(VALU_DEP_1)
	v_min_u32_e32 v3, 32, v3
	v_lshlrev_b64_e32 v[8:9], v3, v[8:9]
	v_sub_nc_u32_e32 v3, 32, v3
	s_delay_alu instid0(VALU_DEP_2) | instskip(NEXT) | instid1(VALU_DEP_1)
	v_min_u32_e32 v5, 1, v8
	v_or_b32_e32 v5, v9, v5
	s_delay_alu instid0(VALU_DEP_1) | instskip(NEXT) | instid1(VALU_DEP_1)
	v_cvt_f32_u32_e32 v5, v5
	v_ldexp_f32 v3, v5, v3
	s_branch .LBB127_177
.LBB127_175:
	s_mov_b32 s35, -1
                                        ; implicit-def: $vgpr3
.LBB127_176:
	s_mov_b32 s45, 0
.LBB127_177:
	s_delay_alu instid0(SALU_CYCLE_1)
	s_and_b32 vcc_lo, exec_lo, s45
	s_cbranch_vccz .LBB127_195
; %bb.178:
	s_cmp_lt_i32 s36, 27
	s_cbranch_scc1 .LBB127_181
; %bb.179:
	s_cmp_gt_i32 s36, 27
	s_cbranch_scc0 .LBB127_182
; %bb.180:
	global_load_b32 v3, v[6:7], off
	s_mov_b32 s37, 0
	s_wait_loadcnt 0x0
	v_cvt_f32_u32_e32 v3, v3
	s_branch .LBB127_183
.LBB127_181:
	s_mov_b32 s37, -1
                                        ; implicit-def: $vgpr3
	s_branch .LBB127_186
.LBB127_182:
	s_mov_b32 s37, -1
                                        ; implicit-def: $vgpr3
.LBB127_183:
	s_delay_alu instid0(SALU_CYCLE_1)
	s_and_not1_b32 vcc_lo, exec_lo, s37
	s_cbranch_vccnz .LBB127_185
; %bb.184:
	global_load_u16 v3, v[6:7], off
	s_wait_loadcnt 0x0
	v_cvt_f32_u32_e32 v3, v3
.LBB127_185:
	s_mov_b32 s37, 0
.LBB127_186:
	s_delay_alu instid0(SALU_CYCLE_1)
	s_and_not1_b32 vcc_lo, exec_lo, s37
	s_cbranch_vccnz .LBB127_194
; %bb.187:
	global_load_u8 v5, v[6:7], off
	s_mov_b32 s37, 0
	s_mov_b32 s45, exec_lo
	s_wait_loadcnt 0x0
	v_cmpx_lt_i16_e32 0x7f, v5
	s_xor_b32 s45, exec_lo, s45
	s_cbranch_execz .LBB127_208
; %bb.188:
	s_mov_b32 s37, -1
	s_mov_b32 s48, exec_lo
	v_cmpx_eq_u16_e32 0x80, v5
; %bb.189:
	s_xor_b32 s37, exec_lo, -1
; %bb.190:
	s_or_b32 exec_lo, exec_lo, s48
	s_delay_alu instid0(SALU_CYCLE_1)
	s_and_b32 s37, s37, exec_lo
	s_or_saveexec_b32 s45, s45
	v_mov_b32_e32 v3, 0x7f800001
	s_xor_b32 exec_lo, exec_lo, s45
	s_cbranch_execnz .LBB127_209
.LBB127_191:
	s_or_b32 exec_lo, exec_lo, s45
	s_and_saveexec_b32 s45, s37
	s_cbranch_execz .LBB127_193
.LBB127_192:
	v_and_b32_e32 v3, 0xffff, v5
	s_delay_alu instid0(VALU_DEP_1) | instskip(SKIP_1) | instid1(VALU_DEP_2)
	v_and_b32_e32 v8, 7, v3
	v_bfe_u32 v11, v3, 3, 4
	v_clz_i32_u32_e32 v9, v8
	s_delay_alu instid0(VALU_DEP_2) | instskip(NEXT) | instid1(VALU_DEP_2)
	v_cmp_eq_u32_e32 vcc_lo, 0, v11
	v_min_u32_e32 v9, 32, v9
	s_delay_alu instid0(VALU_DEP_1) | instskip(NEXT) | instid1(VALU_DEP_1)
	v_subrev_nc_u32_e32 v10, 28, v9
	v_dual_lshlrev_b32 v3, v10, v3 :: v_dual_sub_nc_u32 v9, 29, v9
	s_delay_alu instid0(VALU_DEP_1) | instskip(NEXT) | instid1(VALU_DEP_1)
	v_dual_lshlrev_b32 v5, 24, v5 :: v_dual_bitop2_b32 v3, 7, v3 bitop3:0x40
	v_dual_cndmask_b32 v3, v8, v3, vcc_lo :: v_dual_cndmask_b32 v9, v11, v9, vcc_lo
	s_delay_alu instid0(VALU_DEP_2) | instskip(NEXT) | instid1(VALU_DEP_2)
	v_and_b32_e32 v5, 0x80000000, v5
	v_lshlrev_b32_e32 v3, 20, v3
	s_delay_alu instid0(VALU_DEP_3) | instskip(NEXT) | instid1(VALU_DEP_1)
	v_lshl_add_u32 v8, v9, 23, 0x3b800000
	v_or3_b32 v3, v5, v8, v3
.LBB127_193:
	s_or_b32 exec_lo, exec_lo, s45
.LBB127_194:
	s_mov_b32 s37, -1
.LBB127_195:
	s_mov_b32 s45, 0
.LBB127_196:
	s_delay_alu instid0(SALU_CYCLE_1)
	s_and_b32 vcc_lo, exec_lo, s45
	s_cbranch_vccz .LBB127_231
; %bb.197:
	s_cmp_gt_i32 s36, 22
	s_cbranch_scc0 .LBB127_207
; %bb.198:
	s_cmp_lt_i32 s36, 24
	s_cbranch_scc1 .LBB127_210
; %bb.199:
	s_cmp_gt_i32 s36, 24
	s_cbranch_scc0 .LBB127_211
; %bb.200:
	global_load_u8 v5, v[6:7], off
	s_mov_b32 s37, 0
	s_mov_b32 s45, exec_lo
	s_wait_loadcnt 0x0
	v_cmpx_lt_i16_e32 0x7f, v5
	s_xor_b32 s45, exec_lo, s45
	s_cbranch_execz .LBB127_223
; %bb.201:
	s_mov_b32 s37, -1
	s_mov_b32 s48, exec_lo
	v_cmpx_eq_u16_e32 0x80, v5
; %bb.202:
	s_xor_b32 s37, exec_lo, -1
; %bb.203:
	s_or_b32 exec_lo, exec_lo, s48
	s_delay_alu instid0(SALU_CYCLE_1)
	s_and_b32 s37, s37, exec_lo
	s_or_saveexec_b32 s45, s45
	v_mov_b32_e32 v3, 0x7f800001
	s_xor_b32 exec_lo, exec_lo, s45
	s_cbranch_execnz .LBB127_224
.LBB127_204:
	s_or_b32 exec_lo, exec_lo, s45
	s_and_saveexec_b32 s45, s37
	s_cbranch_execz .LBB127_206
.LBB127_205:
	v_and_b32_e32 v3, 0xffff, v5
	s_delay_alu instid0(VALU_DEP_1) | instskip(SKIP_1) | instid1(VALU_DEP_2)
	v_and_b32_e32 v8, 3, v3
	v_bfe_u32 v11, v3, 2, 5
	v_clz_i32_u32_e32 v9, v8
	s_delay_alu instid0(VALU_DEP_2) | instskip(NEXT) | instid1(VALU_DEP_2)
	v_cmp_eq_u32_e32 vcc_lo, 0, v11
	v_min_u32_e32 v9, 32, v9
	s_delay_alu instid0(VALU_DEP_1) | instskip(NEXT) | instid1(VALU_DEP_1)
	v_subrev_nc_u32_e32 v10, 29, v9
	v_dual_lshlrev_b32 v3, v10, v3 :: v_dual_sub_nc_u32 v9, 30, v9
	s_delay_alu instid0(VALU_DEP_1) | instskip(NEXT) | instid1(VALU_DEP_1)
	v_dual_lshlrev_b32 v5, 24, v5 :: v_dual_bitop2_b32 v3, 3, v3 bitop3:0x40
	v_dual_cndmask_b32 v3, v8, v3, vcc_lo :: v_dual_cndmask_b32 v9, v11, v9, vcc_lo
	s_delay_alu instid0(VALU_DEP_2) | instskip(NEXT) | instid1(VALU_DEP_2)
	v_and_b32_e32 v5, 0x80000000, v5
	v_lshlrev_b32_e32 v3, 21, v3
	s_delay_alu instid0(VALU_DEP_3) | instskip(NEXT) | instid1(VALU_DEP_1)
	v_lshl_add_u32 v8, v9, 23, 0x37800000
	v_or3_b32 v3, v5, v8, v3
.LBB127_206:
	s_or_b32 exec_lo, exec_lo, s45
	s_mov_b32 s37, 0
	s_branch .LBB127_212
.LBB127_207:
	s_mov_b32 s45, -1
                                        ; implicit-def: $vgpr3
	s_branch .LBB127_218
.LBB127_208:
	s_or_saveexec_b32 s45, s45
	v_mov_b32_e32 v3, 0x7f800001
	s_xor_b32 exec_lo, exec_lo, s45
	s_cbranch_execz .LBB127_191
.LBB127_209:
	v_cmp_ne_u16_e32 vcc_lo, 0, v5
	v_mov_b32_e32 v3, 0
	s_and_not1_b32 s37, s37, exec_lo
	s_and_b32 s48, vcc_lo, exec_lo
	s_delay_alu instid0(SALU_CYCLE_1)
	s_or_b32 s37, s37, s48
	s_or_b32 exec_lo, exec_lo, s45
	s_and_saveexec_b32 s45, s37
	s_cbranch_execnz .LBB127_192
	s_branch .LBB127_193
.LBB127_210:
	s_mov_b32 s37, -1
                                        ; implicit-def: $vgpr3
	s_branch .LBB127_215
.LBB127_211:
	s_mov_b32 s37, -1
                                        ; implicit-def: $vgpr3
.LBB127_212:
	s_delay_alu instid0(SALU_CYCLE_1)
	s_and_b32 vcc_lo, exec_lo, s37
	s_cbranch_vccz .LBB127_214
; %bb.213:
	global_load_u8 v3, v[6:7], off
	s_wait_loadcnt 0x0
	v_lshlrev_b32_e32 v3, 24, v3
	s_delay_alu instid0(VALU_DEP_1) | instskip(NEXT) | instid1(VALU_DEP_1)
	v_and_b32_e32 v5, 0x7f000000, v3
	v_clz_i32_u32_e32 v8, v5
	v_cmp_ne_u32_e32 vcc_lo, 0, v5
	v_add_nc_u32_e32 v10, 0x1000000, v5
	s_delay_alu instid0(VALU_DEP_3) | instskip(NEXT) | instid1(VALU_DEP_1)
	v_min_u32_e32 v8, 32, v8
	v_sub_nc_u32_e64 v8, v8, 4 clamp
	s_delay_alu instid0(VALU_DEP_1) | instskip(NEXT) | instid1(VALU_DEP_1)
	v_dual_lshlrev_b32 v9, v8, v5 :: v_dual_lshlrev_b32 v8, 23, v8
	v_lshrrev_b32_e32 v9, 4, v9
	s_delay_alu instid0(VALU_DEP_1) | instskip(NEXT) | instid1(VALU_DEP_1)
	v_dual_sub_nc_u32 v8, v9, v8 :: v_dual_ashrrev_i32 v9, 8, v10
	v_add_nc_u32_e32 v8, 0x3c000000, v8
	s_delay_alu instid0(VALU_DEP_1) | instskip(NEXT) | instid1(VALU_DEP_1)
	v_and_or_b32 v8, 0x7f800000, v9, v8
	v_cndmask_b32_e32 v5, 0, v8, vcc_lo
	s_delay_alu instid0(VALU_DEP_1)
	v_and_or_b32 v3, 0x80000000, v3, v5
.LBB127_214:
	s_mov_b32 s37, 0
.LBB127_215:
	s_delay_alu instid0(SALU_CYCLE_1)
	s_and_not1_b32 vcc_lo, exec_lo, s37
	s_cbranch_vccnz .LBB127_217
; %bb.216:
	global_load_u8 v3, v[6:7], off
	s_wait_loadcnt 0x0
	v_lshlrev_b32_e32 v5, 25, v3
	v_lshlrev_b16 v3, 8, v3
	s_delay_alu instid0(VALU_DEP_1) | instskip(SKIP_1) | instid1(VALU_DEP_2)
	v_and_or_b32 v9, 0x7f00, v3, 0.5
	v_bfe_i32 v3, v3, 0, 16
	v_add_f32_e32 v9, -0.5, v9
	v_lshrrev_b32_e32 v8, 4, v5
	v_cmp_gt_u32_e32 vcc_lo, 0x8000000, v5
	s_delay_alu instid0(VALU_DEP_2) | instskip(NEXT) | instid1(VALU_DEP_1)
	v_or_b32_e32 v8, 0x70000000, v8
	v_mul_f32_e32 v8, 0x7800000, v8
	s_delay_alu instid0(VALU_DEP_1) | instskip(NEXT) | instid1(VALU_DEP_1)
	v_cndmask_b32_e32 v5, v8, v9, vcc_lo
	v_and_or_b32 v3, 0x80000000, v3, v5
.LBB127_217:
	s_mov_b32 s45, 0
	s_mov_b32 s37, -1
.LBB127_218:
	s_and_not1_b32 vcc_lo, exec_lo, s45
	s_cbranch_vccnz .LBB127_231
; %bb.219:
	s_cmp_gt_i32 s36, 14
	s_cbranch_scc0 .LBB127_222
; %bb.220:
	s_cmp_eq_u32 s36, 15
	s_cbranch_scc0 .LBB127_225
; %bb.221:
	global_load_u16 v3, v[6:7], off
	s_mov_b32 s37, -1
	s_mov_b32 s35, 0
	s_wait_loadcnt 0x0
	v_lshlrev_b32_e32 v3, 16, v3
	s_branch .LBB127_226
.LBB127_222:
	s_mov_b32 s45, -1
                                        ; implicit-def: $vgpr3
	s_branch .LBB127_227
.LBB127_223:
	s_or_saveexec_b32 s45, s45
	v_mov_b32_e32 v3, 0x7f800001
	s_xor_b32 exec_lo, exec_lo, s45
	s_cbranch_execz .LBB127_204
.LBB127_224:
	v_cmp_ne_u16_e32 vcc_lo, 0, v5
	v_mov_b32_e32 v3, 0
	s_and_not1_b32 s37, s37, exec_lo
	s_and_b32 s48, vcc_lo, exec_lo
	s_delay_alu instid0(SALU_CYCLE_1)
	s_or_b32 s37, s37, s48
	s_or_b32 exec_lo, exec_lo, s45
	s_and_saveexec_b32 s45, s37
	s_cbranch_execnz .LBB127_205
	s_branch .LBB127_206
.LBB127_225:
	s_mov_b32 s35, -1
                                        ; implicit-def: $vgpr3
.LBB127_226:
	s_mov_b32 s45, 0
.LBB127_227:
	s_delay_alu instid0(SALU_CYCLE_1)
	s_and_b32 vcc_lo, exec_lo, s45
	s_cbranch_vccz .LBB127_231
; %bb.228:
	s_cmp_eq_u32 s36, 11
	s_cbranch_scc0 .LBB127_230
; %bb.229:
	global_load_u8 v3, v[6:7], off
	s_mov_b32 s35, 0
	s_mov_b32 s37, -1
	s_wait_loadcnt 0x0
	v_cmp_ne_u16_e32 vcc_lo, 0, v3
	v_cndmask_b32_e64 v3, 0, 1.0, vcc_lo
	s_branch .LBB127_231
.LBB127_230:
	s_mov_b32 s35, -1
                                        ; implicit-def: $vgpr3
.LBB127_231:
	s_branch .LBB127_31
.LBB127_232:
	s_and_b32 s0, 0xffff, s0
	s_delay_alu instid0(SALU_CYCLE_1)
	s_cmp_lt_i32 s0, 5
	s_cbranch_scc1 .LBB127_237
; %bb.233:
	s_cmp_lt_i32 s0, 8
	s_cbranch_scc1 .LBB127_238
; %bb.234:
	;; [unrolled: 3-line block ×3, first 2 shown]
	s_cmp_gt_i32 s0, 9
	s_cbranch_scc0 .LBB127_240
; %bb.236:
	global_load_b64 v[8:9], v[6:7], off
	s_mov_b32 s36, 0
	s_wait_loadcnt 0x0
	v_cvt_f32_f64_e32 v3, v[8:9]
	s_branch .LBB127_241
.LBB127_237:
	s_mov_b32 s36, -1
                                        ; implicit-def: $vgpr3
	s_branch .LBB127_259
.LBB127_238:
	s_mov_b32 s36, -1
                                        ; implicit-def: $vgpr3
	s_branch .LBB127_247
.LBB127_239:
	s_mov_b32 s36, -1
                                        ; implicit-def: $vgpr3
	s_branch .LBB127_244
.LBB127_240:
	s_mov_b32 s36, -1
                                        ; implicit-def: $vgpr3
.LBB127_241:
	s_delay_alu instid0(SALU_CYCLE_1)
	s_and_not1_b32 vcc_lo, exec_lo, s36
	s_cbranch_vccnz .LBB127_243
; %bb.242:
	global_load_b32 v3, v[6:7], off
.LBB127_243:
	s_mov_b32 s36, 0
.LBB127_244:
	s_delay_alu instid0(SALU_CYCLE_1)
	s_and_not1_b32 vcc_lo, exec_lo, s36
	s_cbranch_vccnz .LBB127_246
; %bb.245:
	s_wait_loadcnt 0x0
	global_load_b32 v3, v[6:7], off
	s_wait_loadcnt 0x0
	v_cvt_f32_f16_e32 v3, v3
.LBB127_246:
	s_mov_b32 s36, 0
.LBB127_247:
	s_delay_alu instid0(SALU_CYCLE_1)
	s_and_not1_b32 vcc_lo, exec_lo, s36
	s_cbranch_vccnz .LBB127_258
; %bb.248:
	s_cmp_lt_i32 s0, 6
	s_cbranch_scc1 .LBB127_251
; %bb.249:
	s_cmp_gt_i32 s0, 6
	s_cbranch_scc0 .LBB127_252
; %bb.250:
	global_load_b64 v[8:9], v[6:7], off
	s_mov_b32 s36, 0
	s_wait_loadcnt 0x0
	v_cvt_f32_f64_e32 v3, v[8:9]
	s_branch .LBB127_253
.LBB127_251:
	s_mov_b32 s36, -1
                                        ; implicit-def: $vgpr3
	s_branch .LBB127_256
.LBB127_252:
	s_mov_b32 s36, -1
                                        ; implicit-def: $vgpr3
.LBB127_253:
	s_delay_alu instid0(SALU_CYCLE_1)
	s_and_not1_b32 vcc_lo, exec_lo, s36
	s_cbranch_vccnz .LBB127_255
; %bb.254:
	s_wait_loadcnt 0x0
	global_load_b32 v3, v[6:7], off
.LBB127_255:
	s_mov_b32 s36, 0
.LBB127_256:
	s_delay_alu instid0(SALU_CYCLE_1)
	s_and_not1_b32 vcc_lo, exec_lo, s36
	s_cbranch_vccnz .LBB127_258
; %bb.257:
	s_wait_loadcnt 0x0
	global_load_u16 v3, v[6:7], off
	s_wait_loadcnt 0x0
	v_cvt_f32_f16_e32 v3, v3
.LBB127_258:
	s_mov_b32 s36, 0
.LBB127_259:
	s_delay_alu instid0(SALU_CYCLE_1)
	s_and_not1_b32 vcc_lo, exec_lo, s36
	s_cbranch_vccnz .LBB127_279
; %bb.260:
	s_cmp_lt_i32 s0, 2
	s_cbranch_scc1 .LBB127_264
; %bb.261:
	s_cmp_lt_i32 s0, 3
	s_cbranch_scc1 .LBB127_265
; %bb.262:
	s_cmp_gt_i32 s0, 3
	s_cbranch_scc0 .LBB127_266
; %bb.263:
	global_load_b64 v[8:9], v[6:7], off
	s_mov_b32 s36, 0
	s_wait_loadcnt 0x0
	v_xor_b32_e32 v3, v8, v9
	v_cls_i32_e32 v5, v9
	s_delay_alu instid0(VALU_DEP_2) | instskip(NEXT) | instid1(VALU_DEP_1)
	v_ashrrev_i32_e32 v3, 31, v3
	v_add_nc_u32_e32 v3, 32, v3
	s_delay_alu instid0(VALU_DEP_1) | instskip(NEXT) | instid1(VALU_DEP_1)
	v_add_min_u32_e64 v3, v5, -1, v3
	v_lshlrev_b64_e32 v[8:9], v3, v[8:9]
	v_sub_nc_u32_e32 v3, 32, v3
	s_delay_alu instid0(VALU_DEP_2) | instskip(NEXT) | instid1(VALU_DEP_1)
	v_min_u32_e32 v5, 1, v8
	v_or_b32_e32 v5, v9, v5
	s_delay_alu instid0(VALU_DEP_1) | instskip(NEXT) | instid1(VALU_DEP_1)
	v_cvt_f32_i32_e32 v5, v5
	v_ldexp_f32 v3, v5, v3
	s_branch .LBB127_267
.LBB127_264:
	s_mov_b32 s36, -1
                                        ; implicit-def: $vgpr3
	s_branch .LBB127_273
.LBB127_265:
	s_mov_b32 s36, -1
                                        ; implicit-def: $vgpr3
	s_branch .LBB127_270
.LBB127_266:
	s_mov_b32 s36, -1
                                        ; implicit-def: $vgpr3
.LBB127_267:
	s_delay_alu instid0(SALU_CYCLE_1)
	s_and_not1_b32 vcc_lo, exec_lo, s36
	s_cbranch_vccnz .LBB127_269
; %bb.268:
	s_wait_loadcnt 0x0
	global_load_b32 v3, v[6:7], off
	s_wait_loadcnt 0x0
	v_cvt_f32_i32_e32 v3, v3
.LBB127_269:
	s_mov_b32 s36, 0
.LBB127_270:
	s_delay_alu instid0(SALU_CYCLE_1)
	s_and_not1_b32 vcc_lo, exec_lo, s36
	s_cbranch_vccnz .LBB127_272
; %bb.271:
	s_wait_loadcnt 0x0
	global_load_i16 v3, v[6:7], off
	s_wait_loadcnt 0x0
	v_cvt_f32_i32_e32 v3, v3
.LBB127_272:
	s_mov_b32 s36, 0
.LBB127_273:
	s_delay_alu instid0(SALU_CYCLE_1)
	s_and_not1_b32 vcc_lo, exec_lo, s36
	s_cbranch_vccnz .LBB127_279
; %bb.274:
	s_cmp_gt_i32 s0, 0
	s_mov_b32 s0, 0
	s_cbranch_scc0 .LBB127_276
; %bb.275:
	s_wait_loadcnt 0x0
	global_load_i8 v3, v[6:7], off
	s_wait_loadcnt 0x0
	v_cvt_f32_i32_e32 v3, v3
	s_branch .LBB127_277
.LBB127_276:
	s_mov_b32 s0, -1
                                        ; implicit-def: $vgpr3
.LBB127_277:
	s_delay_alu instid0(SALU_CYCLE_1)
	s_and_not1_b32 vcc_lo, exec_lo, s0
	s_cbranch_vccnz .LBB127_279
; %bb.278:
	s_wait_loadcnt 0x0
	global_load_u8 v3, v[6:7], off
	s_wait_loadcnt 0x0
	v_cvt_f32_ubyte0_e32 v3, v3
.LBB127_279:
	s_branch .LBB127_32
.LBB127_280:
	s_mov_b32 s0, 0
	s_mov_b32 s36, 0
	s_branch .LBB127_521
.LBB127_281:
	s_mov_b32 s36, -1
.LBB127_282:
	s_mov_b32 s37, 0
                                        ; implicit-def: $vgpr6
.LBB127_283:
	s_and_b32 vcc_lo, exec_lo, s45
	s_cbranch_vccz .LBB127_287
; %bb.284:
	s_cmp_eq_u32 s0, 44
	s_cbranch_scc0 .LBB127_286
; %bb.285:
	global_load_u8 v6, v[4:5], off
	s_mov_b32 s36, 0
	s_mov_b32 s37, -1
	s_wait_loadcnt 0x0
	v_lshlrev_b32_e32 v7, 23, v6
	v_cmp_ne_u32_e32 vcc_lo, 0xff, v6
	s_delay_alu instid0(VALU_DEP_2) | instskip(SKIP_1) | instid1(VALU_DEP_2)
	v_cndmask_b32_e32 v7, 0x7f800001, v7, vcc_lo
	v_cmp_ne_u32_e32 vcc_lo, 0, v6
	v_cndmask_b32_e32 v6, 0x400000, v7, vcc_lo
	s_branch .LBB127_287
.LBB127_286:
	s_mov_b32 s36, -1
                                        ; implicit-def: $vgpr6
.LBB127_287:
	s_mov_b32 s45, 0
.LBB127_288:
	s_delay_alu instid0(SALU_CYCLE_1)
	s_and_b32 vcc_lo, exec_lo, s45
	s_cbranch_vccz .LBB127_292
; %bb.289:
	s_cmp_eq_u32 s0, 29
	s_cbranch_scc0 .LBB127_291
; %bb.290:
	global_load_b64 v[6:7], v[4:5], off
	s_mov_b32 s37, -1
	s_mov_b32 s36, 0
	s_mov_b32 s45, 0
	s_wait_loadcnt 0x0
	v_clz_i32_u32_e32 v8, v7
	s_delay_alu instid0(VALU_DEP_1) | instskip(NEXT) | instid1(VALU_DEP_1)
	v_min_u32_e32 v8, 32, v8
	v_lshlrev_b64_e32 v[6:7], v8, v[6:7]
	s_delay_alu instid0(VALU_DEP_1) | instskip(NEXT) | instid1(VALU_DEP_1)
	v_min_u32_e32 v6, 1, v6
	v_dual_sub_nc_u32 v7, 32, v8 :: v_dual_bitop2_b32 v6, v7, v6 bitop3:0x54
	s_delay_alu instid0(VALU_DEP_1) | instskip(NEXT) | instid1(VALU_DEP_1)
	v_cvt_f32_u32_e32 v6, v6
	v_ldexp_f32 v6, v6, v7
	s_branch .LBB127_293
.LBB127_291:
	s_mov_b32 s36, -1
                                        ; implicit-def: $vgpr6
.LBB127_292:
	s_mov_b32 s45, 0
.LBB127_293:
	s_delay_alu instid0(SALU_CYCLE_1)
	s_and_b32 vcc_lo, exec_lo, s45
	s_cbranch_vccz .LBB127_311
; %bb.294:
	s_cmp_lt_i32 s0, 27
	s_cbranch_scc1 .LBB127_297
; %bb.295:
	s_cmp_gt_i32 s0, 27
	s_cbranch_scc0 .LBB127_298
; %bb.296:
	global_load_b32 v6, v[4:5], off
	s_mov_b32 s37, 0
	s_wait_loadcnt 0x0
	v_cvt_f32_u32_e32 v6, v6
	s_branch .LBB127_299
.LBB127_297:
	s_mov_b32 s37, -1
                                        ; implicit-def: $vgpr6
	s_branch .LBB127_302
.LBB127_298:
	s_mov_b32 s37, -1
                                        ; implicit-def: $vgpr6
.LBB127_299:
	s_delay_alu instid0(SALU_CYCLE_1)
	s_and_not1_b32 vcc_lo, exec_lo, s37
	s_cbranch_vccnz .LBB127_301
; %bb.300:
	global_load_u16 v6, v[4:5], off
	s_wait_loadcnt 0x0
	v_cvt_f32_u32_e32 v6, v6
.LBB127_301:
	s_mov_b32 s37, 0
.LBB127_302:
	s_delay_alu instid0(SALU_CYCLE_1)
	s_and_not1_b32 vcc_lo, exec_lo, s37
	s_cbranch_vccnz .LBB127_310
; %bb.303:
	global_load_u8 v7, v[4:5], off
	s_mov_b32 s37, 0
	s_mov_b32 s45, exec_lo
	s_wait_loadcnt 0x0
	v_cmpx_lt_i16_e32 0x7f, v7
	s_xor_b32 s45, exec_lo, s45
	s_cbranch_execz .LBB127_324
; %bb.304:
	s_mov_b32 s37, -1
	s_mov_b32 s48, exec_lo
	v_cmpx_eq_u16_e32 0x80, v7
; %bb.305:
	s_xor_b32 s37, exec_lo, -1
; %bb.306:
	s_or_b32 exec_lo, exec_lo, s48
	s_delay_alu instid0(SALU_CYCLE_1)
	s_and_b32 s37, s37, exec_lo
	s_or_saveexec_b32 s45, s45
	v_mov_b32_e32 v6, 0x7f800001
	s_xor_b32 exec_lo, exec_lo, s45
	s_cbranch_execnz .LBB127_325
.LBB127_307:
	s_or_b32 exec_lo, exec_lo, s45
	s_and_saveexec_b32 s45, s37
	s_cbranch_execz .LBB127_309
.LBB127_308:
	v_and_b32_e32 v6, 0xffff, v7
	s_delay_alu instid0(VALU_DEP_1) | instskip(SKIP_1) | instid1(VALU_DEP_2)
	v_and_b32_e32 v8, 7, v6
	v_bfe_u32 v11, v6, 3, 4
	v_clz_i32_u32_e32 v9, v8
	s_delay_alu instid0(VALU_DEP_2) | instskip(NEXT) | instid1(VALU_DEP_2)
	v_cmp_eq_u32_e32 vcc_lo, 0, v11
	v_min_u32_e32 v9, 32, v9
	s_delay_alu instid0(VALU_DEP_1) | instskip(NEXT) | instid1(VALU_DEP_1)
	v_subrev_nc_u32_e32 v10, 28, v9
	v_dual_lshlrev_b32 v6, v10, v6 :: v_dual_sub_nc_u32 v9, 29, v9
	s_delay_alu instid0(VALU_DEP_1) | instskip(NEXT) | instid1(VALU_DEP_1)
	v_dual_lshlrev_b32 v7, 24, v7 :: v_dual_bitop2_b32 v6, 7, v6 bitop3:0x40
	v_dual_cndmask_b32 v9, v11, v9 :: v_dual_cndmask_b32 v6, v8, v6
	s_delay_alu instid0(VALU_DEP_2) | instskip(NEXT) | instid1(VALU_DEP_2)
	v_and_b32_e32 v7, 0x80000000, v7
	v_lshl_add_u32 v8, v9, 23, 0x3b800000
	s_delay_alu instid0(VALU_DEP_3) | instskip(NEXT) | instid1(VALU_DEP_1)
	v_lshlrev_b32_e32 v6, 20, v6
	v_or3_b32 v6, v7, v8, v6
.LBB127_309:
	s_or_b32 exec_lo, exec_lo, s45
.LBB127_310:
	s_mov_b32 s37, -1
.LBB127_311:
	s_mov_b32 s45, 0
.LBB127_312:
	s_delay_alu instid0(SALU_CYCLE_1)
	s_and_b32 vcc_lo, exec_lo, s45
	s_cbranch_vccz .LBB127_347
; %bb.313:
	s_cmp_gt_i32 s0, 22
	s_cbranch_scc0 .LBB127_323
; %bb.314:
	s_cmp_lt_i32 s0, 24
	s_cbranch_scc1 .LBB127_326
; %bb.315:
	s_cmp_gt_i32 s0, 24
	s_cbranch_scc0 .LBB127_327
; %bb.316:
	global_load_u8 v7, v[4:5], off
	s_mov_b32 s37, 0
	s_mov_b32 s45, exec_lo
	s_wait_loadcnt 0x0
	v_cmpx_lt_i16_e32 0x7f, v7
	s_xor_b32 s45, exec_lo, s45
	s_cbranch_execz .LBB127_339
; %bb.317:
	s_mov_b32 s37, -1
	s_mov_b32 s48, exec_lo
	v_cmpx_eq_u16_e32 0x80, v7
; %bb.318:
	s_xor_b32 s37, exec_lo, -1
; %bb.319:
	s_or_b32 exec_lo, exec_lo, s48
	s_delay_alu instid0(SALU_CYCLE_1)
	s_and_b32 s37, s37, exec_lo
	s_or_saveexec_b32 s45, s45
	v_mov_b32_e32 v6, 0x7f800001
	s_xor_b32 exec_lo, exec_lo, s45
	s_cbranch_execnz .LBB127_340
.LBB127_320:
	s_or_b32 exec_lo, exec_lo, s45
	s_and_saveexec_b32 s45, s37
	s_cbranch_execz .LBB127_322
.LBB127_321:
	v_and_b32_e32 v6, 0xffff, v7
	s_delay_alu instid0(VALU_DEP_1) | instskip(SKIP_1) | instid1(VALU_DEP_2)
	v_and_b32_e32 v8, 3, v6
	v_bfe_u32 v11, v6, 2, 5
	v_clz_i32_u32_e32 v9, v8
	s_delay_alu instid0(VALU_DEP_2) | instskip(NEXT) | instid1(VALU_DEP_2)
	v_cmp_eq_u32_e32 vcc_lo, 0, v11
	v_min_u32_e32 v9, 32, v9
	s_delay_alu instid0(VALU_DEP_1) | instskip(NEXT) | instid1(VALU_DEP_1)
	v_subrev_nc_u32_e32 v10, 29, v9
	v_dual_lshlrev_b32 v6, v10, v6 :: v_dual_sub_nc_u32 v9, 30, v9
	s_delay_alu instid0(VALU_DEP_1) | instskip(NEXT) | instid1(VALU_DEP_1)
	v_dual_lshlrev_b32 v7, 24, v7 :: v_dual_bitop2_b32 v6, 3, v6 bitop3:0x40
	v_dual_cndmask_b32 v9, v11, v9 :: v_dual_cndmask_b32 v6, v8, v6
	s_delay_alu instid0(VALU_DEP_2) | instskip(NEXT) | instid1(VALU_DEP_2)
	v_and_b32_e32 v7, 0x80000000, v7
	v_lshl_add_u32 v8, v9, 23, 0x37800000
	s_delay_alu instid0(VALU_DEP_3) | instskip(NEXT) | instid1(VALU_DEP_1)
	v_lshlrev_b32_e32 v6, 21, v6
	v_or3_b32 v6, v7, v8, v6
.LBB127_322:
	s_or_b32 exec_lo, exec_lo, s45
	s_mov_b32 s37, 0
	s_branch .LBB127_328
.LBB127_323:
	s_mov_b32 s45, -1
                                        ; implicit-def: $vgpr6
	s_branch .LBB127_334
.LBB127_324:
	s_or_saveexec_b32 s45, s45
	v_mov_b32_e32 v6, 0x7f800001
	s_xor_b32 exec_lo, exec_lo, s45
	s_cbranch_execz .LBB127_307
.LBB127_325:
	v_cmp_ne_u16_e32 vcc_lo, 0, v7
	v_mov_b32_e32 v6, 0
	s_and_not1_b32 s37, s37, exec_lo
	s_and_b32 s48, vcc_lo, exec_lo
	s_delay_alu instid0(SALU_CYCLE_1)
	s_or_b32 s37, s37, s48
	s_or_b32 exec_lo, exec_lo, s45
	s_and_saveexec_b32 s45, s37
	s_cbranch_execnz .LBB127_308
	s_branch .LBB127_309
.LBB127_326:
	s_mov_b32 s37, -1
                                        ; implicit-def: $vgpr6
	s_branch .LBB127_331
.LBB127_327:
	s_mov_b32 s37, -1
                                        ; implicit-def: $vgpr6
.LBB127_328:
	s_delay_alu instid0(SALU_CYCLE_1)
	s_and_b32 vcc_lo, exec_lo, s37
	s_cbranch_vccz .LBB127_330
; %bb.329:
	global_load_u8 v6, v[4:5], off
	s_wait_loadcnt 0x0
	v_lshlrev_b32_e32 v6, 24, v6
	s_delay_alu instid0(VALU_DEP_1) | instskip(NEXT) | instid1(VALU_DEP_1)
	v_and_b32_e32 v7, 0x7f000000, v6
	v_clz_i32_u32_e32 v8, v7
	v_cmp_ne_u32_e32 vcc_lo, 0, v7
	v_add_nc_u32_e32 v10, 0x1000000, v7
	s_delay_alu instid0(VALU_DEP_3) | instskip(NEXT) | instid1(VALU_DEP_1)
	v_min_u32_e32 v8, 32, v8
	v_sub_nc_u32_e64 v8, v8, 4 clamp
	s_delay_alu instid0(VALU_DEP_1) | instskip(NEXT) | instid1(VALU_DEP_1)
	v_dual_lshlrev_b32 v9, v8, v7 :: v_dual_lshlrev_b32 v8, 23, v8
	v_lshrrev_b32_e32 v9, 4, v9
	s_delay_alu instid0(VALU_DEP_1) | instskip(NEXT) | instid1(VALU_DEP_1)
	v_dual_sub_nc_u32 v8, v9, v8 :: v_dual_ashrrev_i32 v9, 8, v10
	v_add_nc_u32_e32 v8, 0x3c000000, v8
	s_delay_alu instid0(VALU_DEP_1) | instskip(NEXT) | instid1(VALU_DEP_1)
	v_and_or_b32 v8, 0x7f800000, v9, v8
	v_cndmask_b32_e32 v7, 0, v8, vcc_lo
	s_delay_alu instid0(VALU_DEP_1)
	v_and_or_b32 v6, 0x80000000, v6, v7
.LBB127_330:
	s_mov_b32 s37, 0
.LBB127_331:
	s_delay_alu instid0(SALU_CYCLE_1)
	s_and_not1_b32 vcc_lo, exec_lo, s37
	s_cbranch_vccnz .LBB127_333
; %bb.332:
	global_load_u8 v6, v[4:5], off
	s_wait_loadcnt 0x0
	v_lshlrev_b32_e32 v7, 25, v6
	v_lshlrev_b16 v6, 8, v6
	s_delay_alu instid0(VALU_DEP_1) | instskip(SKIP_1) | instid1(VALU_DEP_2)
	v_and_or_b32 v9, 0x7f00, v6, 0.5
	v_bfe_i32 v6, v6, 0, 16
	v_dual_add_f32 v9, -0.5, v9 :: v_dual_lshrrev_b32 v8, 4, v7
	v_cmp_gt_u32_e32 vcc_lo, 0x8000000, v7
	s_delay_alu instid0(VALU_DEP_2) | instskip(NEXT) | instid1(VALU_DEP_1)
	v_or_b32_e32 v8, 0x70000000, v8
	v_mul_f32_e32 v8, 0x7800000, v8
	s_delay_alu instid0(VALU_DEP_1) | instskip(NEXT) | instid1(VALU_DEP_1)
	v_cndmask_b32_e32 v7, v8, v9, vcc_lo
	v_and_or_b32 v6, 0x80000000, v6, v7
.LBB127_333:
	s_mov_b32 s45, 0
	s_mov_b32 s37, -1
.LBB127_334:
	s_and_not1_b32 vcc_lo, exec_lo, s45
	s_cbranch_vccnz .LBB127_347
; %bb.335:
	s_cmp_gt_i32 s0, 14
	s_cbranch_scc0 .LBB127_338
; %bb.336:
	s_cmp_eq_u32 s0, 15
	s_cbranch_scc0 .LBB127_341
; %bb.337:
	global_load_u16 v6, v[4:5], off
	s_mov_b32 s37, -1
	s_mov_b32 s36, 0
	s_wait_loadcnt 0x0
	v_lshlrev_b32_e32 v6, 16, v6
	s_branch .LBB127_342
.LBB127_338:
	s_mov_b32 s45, -1
                                        ; implicit-def: $vgpr6
	s_branch .LBB127_343
.LBB127_339:
	s_or_saveexec_b32 s45, s45
	v_mov_b32_e32 v6, 0x7f800001
	s_xor_b32 exec_lo, exec_lo, s45
	s_cbranch_execz .LBB127_320
.LBB127_340:
	v_cmp_ne_u16_e32 vcc_lo, 0, v7
	v_mov_b32_e32 v6, 0
	s_and_not1_b32 s37, s37, exec_lo
	s_and_b32 s48, vcc_lo, exec_lo
	s_delay_alu instid0(SALU_CYCLE_1)
	s_or_b32 s37, s37, s48
	s_or_b32 exec_lo, exec_lo, s45
	s_and_saveexec_b32 s45, s37
	s_cbranch_execnz .LBB127_321
	s_branch .LBB127_322
.LBB127_341:
	s_mov_b32 s36, -1
                                        ; implicit-def: $vgpr6
.LBB127_342:
	s_mov_b32 s45, 0
.LBB127_343:
	s_delay_alu instid0(SALU_CYCLE_1)
	s_and_b32 vcc_lo, exec_lo, s45
	s_cbranch_vccz .LBB127_347
; %bb.344:
	s_cmp_eq_u32 s0, 11
	s_cbranch_scc0 .LBB127_346
; %bb.345:
	global_load_u8 v6, v[4:5], off
	s_mov_b32 s36, 0
	s_mov_b32 s37, -1
	s_wait_loadcnt 0x0
	v_cmp_ne_u16_e32 vcc_lo, 0, v6
	v_cndmask_b32_e64 v6, 0, 1.0, vcc_lo
	s_branch .LBB127_347
.LBB127_346:
	s_mov_b32 s36, -1
                                        ; implicit-def: $vgpr6
.LBB127_347:
	s_mov_b32 s45, 0
.LBB127_348:
	s_delay_alu instid0(SALU_CYCLE_1)
	s_and_b32 vcc_lo, exec_lo, s45
	s_cbranch_vccz .LBB127_397
; %bb.349:
	s_cmp_lt_i32 s0, 5
	s_cbranch_scc1 .LBB127_354
; %bb.350:
	s_cmp_lt_i32 s0, 8
	s_cbranch_scc1 .LBB127_355
	;; [unrolled: 3-line block ×3, first 2 shown]
; %bb.352:
	s_cmp_gt_i32 s0, 9
	s_cbranch_scc0 .LBB127_357
; %bb.353:
	global_load_b64 v[6:7], v[4:5], off
	s_mov_b32 s37, 0
	s_wait_loadcnt 0x0
	v_cvt_f32_f64_e32 v6, v[6:7]
	s_branch .LBB127_358
.LBB127_354:
	s_mov_b32 s37, -1
                                        ; implicit-def: $vgpr6
	s_branch .LBB127_376
.LBB127_355:
	s_mov_b32 s37, -1
                                        ; implicit-def: $vgpr6
	s_branch .LBB127_364
.LBB127_356:
	s_mov_b32 s37, -1
                                        ; implicit-def: $vgpr6
	s_branch .LBB127_361
.LBB127_357:
	s_mov_b32 s37, -1
                                        ; implicit-def: $vgpr6
.LBB127_358:
	s_delay_alu instid0(SALU_CYCLE_1)
	s_and_not1_b32 vcc_lo, exec_lo, s37
	s_cbranch_vccnz .LBB127_360
; %bb.359:
	global_load_b32 v6, v[4:5], off
.LBB127_360:
	s_mov_b32 s37, 0
.LBB127_361:
	s_delay_alu instid0(SALU_CYCLE_1)
	s_and_not1_b32 vcc_lo, exec_lo, s37
	s_cbranch_vccnz .LBB127_363
; %bb.362:
	s_wait_loadcnt 0x0
	global_load_b32 v6, v[4:5], off
	s_wait_loadcnt 0x0
	v_cvt_f32_f16_e32 v6, v6
.LBB127_363:
	s_mov_b32 s37, 0
.LBB127_364:
	s_delay_alu instid0(SALU_CYCLE_1)
	s_and_not1_b32 vcc_lo, exec_lo, s37
	s_cbranch_vccnz .LBB127_375
; %bb.365:
	s_cmp_lt_i32 s0, 6
	s_cbranch_scc1 .LBB127_368
; %bb.366:
	s_cmp_gt_i32 s0, 6
	s_cbranch_scc0 .LBB127_369
; %bb.367:
	s_wait_loadcnt 0x0
	global_load_b64 v[6:7], v[4:5], off
	s_mov_b32 s37, 0
	s_wait_loadcnt 0x0
	v_cvt_f32_f64_e32 v6, v[6:7]
	s_branch .LBB127_370
.LBB127_368:
	s_mov_b32 s37, -1
                                        ; implicit-def: $vgpr6
	s_branch .LBB127_373
.LBB127_369:
	s_mov_b32 s37, -1
                                        ; implicit-def: $vgpr6
.LBB127_370:
	s_delay_alu instid0(SALU_CYCLE_1)
	s_and_not1_b32 vcc_lo, exec_lo, s37
	s_cbranch_vccnz .LBB127_372
; %bb.371:
	s_wait_loadcnt 0x0
	global_load_b32 v6, v[4:5], off
.LBB127_372:
	s_mov_b32 s37, 0
.LBB127_373:
	s_delay_alu instid0(SALU_CYCLE_1)
	s_and_not1_b32 vcc_lo, exec_lo, s37
	s_cbranch_vccnz .LBB127_375
; %bb.374:
	s_wait_loadcnt 0x0
	global_load_u16 v6, v[4:5], off
	s_wait_loadcnt 0x0
	v_cvt_f32_f16_e32 v6, v6
.LBB127_375:
	s_mov_b32 s37, 0
.LBB127_376:
	s_delay_alu instid0(SALU_CYCLE_1)
	s_and_not1_b32 vcc_lo, exec_lo, s37
	s_cbranch_vccnz .LBB127_396
; %bb.377:
	s_cmp_lt_i32 s0, 2
	s_cbranch_scc1 .LBB127_381
; %bb.378:
	s_cmp_lt_i32 s0, 3
	s_cbranch_scc1 .LBB127_382
; %bb.379:
	s_cmp_gt_i32 s0, 3
	s_cbranch_scc0 .LBB127_383
; %bb.380:
	s_wait_loadcnt 0x0
	global_load_b64 v[6:7], v[4:5], off
	s_mov_b32 s37, 0
	s_wait_loadcnt 0x0
	v_xor_b32_e32 v8, v6, v7
	v_cls_i32_e32 v9, v7
	s_delay_alu instid0(VALU_DEP_2) | instskip(NEXT) | instid1(VALU_DEP_1)
	v_ashrrev_i32_e32 v8, 31, v8
	v_add_nc_u32_e32 v8, 32, v8
	s_delay_alu instid0(VALU_DEP_1) | instskip(NEXT) | instid1(VALU_DEP_1)
	v_add_min_u32_e64 v8, v9, -1, v8
	v_lshlrev_b64_e32 v[6:7], v8, v[6:7]
	s_delay_alu instid0(VALU_DEP_1) | instskip(NEXT) | instid1(VALU_DEP_1)
	v_min_u32_e32 v6, 1, v6
	v_dual_sub_nc_u32 v7, 32, v8 :: v_dual_bitop2_b32 v6, v7, v6 bitop3:0x54
	s_delay_alu instid0(VALU_DEP_1) | instskip(NEXT) | instid1(VALU_DEP_1)
	v_cvt_f32_i32_e32 v6, v6
	v_ldexp_f32 v6, v6, v7
	s_branch .LBB127_384
.LBB127_381:
	s_mov_b32 s37, -1
                                        ; implicit-def: $vgpr6
	s_branch .LBB127_390
.LBB127_382:
	s_mov_b32 s37, -1
                                        ; implicit-def: $vgpr6
	s_branch .LBB127_387
.LBB127_383:
	s_mov_b32 s37, -1
                                        ; implicit-def: $vgpr6
.LBB127_384:
	s_delay_alu instid0(SALU_CYCLE_1)
	s_and_not1_b32 vcc_lo, exec_lo, s37
	s_cbranch_vccnz .LBB127_386
; %bb.385:
	s_wait_loadcnt 0x0
	global_load_b32 v6, v[4:5], off
	s_wait_loadcnt 0x0
	v_cvt_f32_i32_e32 v6, v6
.LBB127_386:
	s_mov_b32 s37, 0
.LBB127_387:
	s_delay_alu instid0(SALU_CYCLE_1)
	s_and_not1_b32 vcc_lo, exec_lo, s37
	s_cbranch_vccnz .LBB127_389
; %bb.388:
	s_wait_loadcnt 0x0
	global_load_i16 v6, v[4:5], off
	s_wait_loadcnt 0x0
	v_cvt_f32_i32_e32 v6, v6
.LBB127_389:
	s_mov_b32 s37, 0
.LBB127_390:
	s_delay_alu instid0(SALU_CYCLE_1)
	s_and_not1_b32 vcc_lo, exec_lo, s37
	s_cbranch_vccnz .LBB127_396
; %bb.391:
	s_cmp_gt_i32 s0, 0
	s_mov_b32 s0, 0
	s_cbranch_scc0 .LBB127_393
; %bb.392:
	s_wait_loadcnt 0x0
	global_load_i8 v6, v[4:5], off
	s_wait_loadcnt 0x0
	v_cvt_f32_i32_e32 v6, v6
	s_branch .LBB127_394
.LBB127_393:
	s_mov_b32 s0, -1
                                        ; implicit-def: $vgpr6
.LBB127_394:
	s_delay_alu instid0(SALU_CYCLE_1)
	s_and_not1_b32 vcc_lo, exec_lo, s0
	s_cbranch_vccnz .LBB127_396
; %bb.395:
	global_load_u8 v4, v[4:5], off
	s_wait_loadcnt 0x0
	v_cvt_f32_ubyte0_e32 v6, v4
.LBB127_396:
	s_mov_b32 s37, -1
.LBB127_397:
	s_delay_alu instid0(SALU_CYCLE_1)
	s_and_not1_b32 vcc_lo, exec_lo, s37
	s_cbranch_vccnz .LBB127_405
; %bb.398:
	s_wait_loadcnt 0x0
	s_delay_alu instid0(VALU_DEP_3) | instskip(SKIP_1) | instid1(SALU_CYCLE_1)
	v_dual_mul_f32 v4, s25, v3 :: v_dual_mov_b32 v3, 0
	s_and_b32 s37, s26, 0xff
	s_cmp_lt_i32 s37, 11
	s_delay_alu instid0(VALU_DEP_1) | instskip(NEXT) | instid1(VALU_DEP_2)
	v_mul_f32_e32 v4, v4, v6
	v_add_nc_u64_e32 v[2:3], s[4:5], v[2:3]
	s_delay_alu instid0(VALU_DEP_2)
	v_fmac_f32_e32 v4, s24, v1
	s_cbranch_scc1 .LBB127_406
; %bb.399:
	s_and_b32 s45, 0xffff, s37
	s_delay_alu instid0(SALU_CYCLE_1)
	s_cmp_gt_i32 s45, 25
	s_cbranch_scc0 .LBB127_407
; %bb.400:
	s_cmp_gt_i32 s45, 28
	s_cbranch_scc0 .LBB127_408
; %bb.401:
	;; [unrolled: 3-line block ×4, first 2 shown]
	s_mov_b32 s49, 0
	s_mov_b32 s0, -1
	s_cmp_eq_u32 s45, 46
	s_mov_b32 s48, 0
	s_cbranch_scc0 .LBB127_411
; %bb.404:
	v_bfe_u32 v1, v4, 16, 1
	v_cmp_o_f32_e32 vcc_lo, v4, v4
	s_mov_b32 s48, -1
	s_mov_b32 s0, 0
	s_delay_alu instid0(VALU_DEP_2) | instskip(NEXT) | instid1(VALU_DEP_1)
	v_add3_u32 v1, v4, v1, 0x7fff
	v_lshrrev_b32_e32 v1, 16, v1
	s_delay_alu instid0(VALU_DEP_1)
	v_cndmask_b32_e32 v1, 0x7fc0, v1, vcc_lo
	global_store_b32 v[2:3], v1, off
	s_branch .LBB127_411
.LBB127_405:
	s_mov_b32 s0, 0
	s_branch .LBB127_521
.LBB127_406:
	s_mov_b32 s45, -1
	s_mov_b32 s0, 0
	s_mov_b32 s48, 0
	s_branch .LBB127_480
.LBB127_407:
	s_mov_b32 s49, -1
	s_mov_b32 s0, 0
	s_mov_b32 s48, 0
	s_branch .LBB127_438
.LBB127_408:
	s_mov_b32 s49, -1
	s_mov_b32 s0, 0
	s_mov_b32 s48, 0
	s_branch .LBB127_421
.LBB127_409:
	s_mov_b32 s49, -1
	s_mov_b32 s0, 0
	s_mov_b32 s48, 0
	s_branch .LBB127_417
.LBB127_410:
	s_mov_b32 s49, -1
	s_mov_b32 s0, 0
	s_mov_b32 s48, 0
.LBB127_411:
	s_and_b32 vcc_lo, exec_lo, s49
	s_cbranch_vccz .LBB127_416
; %bb.412:
	s_cmp_eq_u32 s45, 44
	s_mov_b32 s0, -1
	s_cbranch_scc0 .LBB127_416
; %bb.413:
	v_bfe_u32 v5, v4, 23, 8
	s_wait_xcnt 0x0
	v_mov_b32_e32 v1, 0xff
	s_mov_b32 s48, exec_lo
	s_delay_alu instid0(VALU_DEP_2)
	v_cmpx_ne_u32_e32 0xff, v5
	s_cbranch_execz .LBB127_415
; %bb.414:
	v_and_b32_e32 v1, 0x400000, v4
	v_and_or_b32 v5, 0x3fffff, v4, v5
	s_delay_alu instid0(VALU_DEP_2) | instskip(NEXT) | instid1(VALU_DEP_2)
	v_cmp_ne_u32_e32 vcc_lo, 0, v1
	v_cmp_ne_u32_e64 s0, 0, v5
	v_lshrrev_b32_e32 v1, 23, v4
	s_and_b32 s0, vcc_lo, s0
	s_delay_alu instid0(SALU_CYCLE_1) | instskip(NEXT) | instid1(VALU_DEP_1)
	v_cndmask_b32_e64 v5, 0, 1, s0
	v_add_nc_u32_e32 v1, v1, v5
.LBB127_415:
	s_or_b32 exec_lo, exec_lo, s48
	s_mov_b32 s48, -1
	s_mov_b32 s0, 0
	global_store_b8 v[2:3], v1, off
.LBB127_416:
	s_mov_b32 s49, 0
.LBB127_417:
	s_delay_alu instid0(SALU_CYCLE_1)
	s_and_b32 vcc_lo, exec_lo, s49
	s_cbranch_vccz .LBB127_420
; %bb.418:
	s_cmp_eq_u32 s45, 29
	s_mov_b32 s0, -1
	s_cbranch_scc0 .LBB127_420
; %bb.419:
	s_wait_xcnt 0x0
	v_trunc_f32_e32 v1, v4
	s_mov_b32 s48, -1
	s_mov_b32 s0, 0
	s_mov_b32 s49, 0
	s_delay_alu instid0(VALU_DEP_1) | instskip(NEXT) | instid1(VALU_DEP_1)
	v_mul_f32_e32 v5, 0x2f800000, v1
	v_floor_f32_e32 v5, v5
	s_delay_alu instid0(VALU_DEP_1) | instskip(SKIP_1) | instid1(VALU_DEP_2)
	v_fmamk_f32 v1, v5, 0xcf800000, v1
	v_cvt_u32_f32_e32 v7, v5
	v_cvt_u32_f32_e32 v6, v1
	global_store_b64 v[2:3], v[6:7], off
	s_branch .LBB127_421
.LBB127_420:
	s_mov_b32 s49, 0
.LBB127_421:
	s_delay_alu instid0(SALU_CYCLE_1)
	s_and_b32 vcc_lo, exec_lo, s49
	s_cbranch_vccz .LBB127_437
; %bb.422:
	s_cmp_lt_i32 s45, 27
	s_mov_b32 s48, -1
	s_cbranch_scc1 .LBB127_428
; %bb.423:
	s_wait_xcnt 0x0
	v_cvt_u32_f32_e32 v1, v4
	s_cmp_gt_i32 s45, 27
	s_cbranch_scc0 .LBB127_425
; %bb.424:
	s_mov_b32 s48, 0
	global_store_b32 v[2:3], v1, off
.LBB127_425:
	s_and_not1_b32 vcc_lo, exec_lo, s48
	s_cbranch_vccnz .LBB127_427
; %bb.426:
	global_store_b16 v[2:3], v1, off
.LBB127_427:
	s_mov_b32 s48, 0
.LBB127_428:
	s_delay_alu instid0(SALU_CYCLE_1)
	s_and_not1_b32 vcc_lo, exec_lo, s48
	s_cbranch_vccnz .LBB127_436
; %bb.429:
	s_wait_xcnt 0x0
	v_and_b32_e32 v1, 0x7fffffff, v4
	v_mov_b32_e32 v5, 0x80
	s_mov_b32 s48, exec_lo
	s_delay_alu instid0(VALU_DEP_2)
	v_cmpx_gt_u32_e32 0x43800000, v1
	s_cbranch_execz .LBB127_435
; %bb.430:
	v_cmp_lt_u32_e32 vcc_lo, 0x3bffffff, v1
	s_mov_b32 s49, 0
                                        ; implicit-def: $vgpr1
	s_and_saveexec_b32 s50, vcc_lo
	s_delay_alu instid0(SALU_CYCLE_1)
	s_xor_b32 s50, exec_lo, s50
	s_cbranch_execz .LBB127_680
; %bb.431:
	v_bfe_u32 v1, v4, 20, 1
	s_mov_b32 s49, exec_lo
	s_delay_alu instid0(VALU_DEP_1) | instskip(NEXT) | instid1(VALU_DEP_1)
	v_add3_u32 v1, v4, v1, 0x487ffff
	v_lshrrev_b32_e32 v1, 20, v1
	s_and_not1_saveexec_b32 s50, s50
	s_cbranch_execnz .LBB127_681
.LBB127_432:
	s_or_b32 exec_lo, exec_lo, s50
	v_mov_b32_e32 v5, 0
	s_and_saveexec_b32 s50, s49
.LBB127_433:
	v_lshrrev_b32_e32 v5, 24, v4
	s_delay_alu instid0(VALU_DEP_1)
	v_and_or_b32 v5, 0x80, v5, v1
.LBB127_434:
	s_or_b32 exec_lo, exec_lo, s50
.LBB127_435:
	s_delay_alu instid0(SALU_CYCLE_1)
	s_or_b32 exec_lo, exec_lo, s48
	global_store_b8 v[2:3], v5, off
.LBB127_436:
	s_mov_b32 s48, -1
.LBB127_437:
	s_mov_b32 s49, 0
.LBB127_438:
	s_delay_alu instid0(SALU_CYCLE_1)
	s_and_b32 vcc_lo, exec_lo, s49
	s_cbranch_vccz .LBB127_479
; %bb.439:
	s_cmp_gt_i32 s45, 22
	s_mov_b32 s49, -1
	s_cbranch_scc0 .LBB127_471
; %bb.440:
	s_cmp_lt_i32 s45, 24
	s_mov_b32 s48, -1
	s_cbranch_scc1 .LBB127_460
; %bb.441:
	s_cmp_gt_i32 s45, 24
	s_cbranch_scc0 .LBB127_449
; %bb.442:
	s_wait_xcnt 0x0
	v_and_b32_e32 v1, 0x7fffffff, v4
	v_mov_b32_e32 v5, 0x80
	s_mov_b32 s48, exec_lo
	s_delay_alu instid0(VALU_DEP_2)
	v_cmpx_gt_u32_e32 0x47800000, v1
	s_cbranch_execz .LBB127_448
; %bb.443:
	v_cmp_lt_u32_e32 vcc_lo, 0x37ffffff, v1
	s_mov_b32 s49, 0
                                        ; implicit-def: $vgpr1
	s_and_saveexec_b32 s50, vcc_lo
	s_delay_alu instid0(SALU_CYCLE_1)
	s_xor_b32 s50, exec_lo, s50
	s_cbranch_execz .LBB127_812
; %bb.444:
	v_bfe_u32 v1, v4, 21, 1
	s_mov_b32 s49, exec_lo
	s_delay_alu instid0(VALU_DEP_1) | instskip(NEXT) | instid1(VALU_DEP_1)
	v_add3_u32 v1, v4, v1, 0x88fffff
	v_lshrrev_b32_e32 v1, 21, v1
	s_and_not1_saveexec_b32 s50, s50
	s_cbranch_execnz .LBB127_813
.LBB127_445:
	s_or_b32 exec_lo, exec_lo, s50
	v_mov_b32_e32 v5, 0
	s_and_saveexec_b32 s50, s49
.LBB127_446:
	v_lshrrev_b32_e32 v5, 24, v4
	s_delay_alu instid0(VALU_DEP_1)
	v_and_or_b32 v5, 0x80, v5, v1
.LBB127_447:
	s_or_b32 exec_lo, exec_lo, s50
.LBB127_448:
	s_delay_alu instid0(SALU_CYCLE_1)
	s_or_b32 exec_lo, exec_lo, s48
	s_mov_b32 s48, 0
	global_store_b8 v[2:3], v5, off
.LBB127_449:
	s_and_b32 vcc_lo, exec_lo, s48
	s_cbranch_vccz .LBB127_459
; %bb.450:
	s_wait_xcnt 0x0
	v_and_b32_e32 v5, 0x7fffffff, v4
	s_mov_b32 s48, exec_lo
                                        ; implicit-def: $vgpr1
	s_delay_alu instid0(VALU_DEP_1)
	v_cmpx_gt_u32_e32 0x43f00000, v5
	s_xor_b32 s48, exec_lo, s48
	s_cbranch_execz .LBB127_456
; %bb.451:
	s_mov_b32 s49, exec_lo
                                        ; implicit-def: $vgpr1
	v_cmpx_lt_u32_e32 0x3c7fffff, v5
	s_xor_b32 s49, exec_lo, s49
; %bb.452:
	v_bfe_u32 v1, v4, 20, 1
	s_delay_alu instid0(VALU_DEP_1) | instskip(NEXT) | instid1(VALU_DEP_1)
	v_add3_u32 v1, v4, v1, 0x407ffff
	v_and_b32_e32 v5, 0xff00000, v1
	v_lshrrev_b32_e32 v1, 20, v1
	s_delay_alu instid0(VALU_DEP_2) | instskip(NEXT) | instid1(VALU_DEP_2)
	v_cmp_ne_u32_e32 vcc_lo, 0x7f00000, v5
	v_cndmask_b32_e32 v1, 0x7e, v1, vcc_lo
; %bb.453:
	s_and_not1_saveexec_b32 s49, s49
; %bb.454:
	v_add_f32_e64 v1, 0x46800000, |v4|
; %bb.455:
	s_or_b32 exec_lo, exec_lo, s49
                                        ; implicit-def: $vgpr5
.LBB127_456:
	s_and_not1_saveexec_b32 s48, s48
; %bb.457:
	v_mov_b32_e32 v1, 0x7f
	v_cmp_lt_u32_e32 vcc_lo, 0x7f800000, v5
	s_delay_alu instid0(VALU_DEP_2)
	v_cndmask_b32_e32 v1, 0x7e, v1, vcc_lo
; %bb.458:
	s_or_b32 exec_lo, exec_lo, s48
	v_lshrrev_b32_e32 v5, 24, v4
	s_delay_alu instid0(VALU_DEP_1)
	v_and_or_b32 v1, 0x80, v5, v1
	global_store_b8 v[2:3], v1, off
.LBB127_459:
	s_mov_b32 s48, 0
.LBB127_460:
	s_delay_alu instid0(SALU_CYCLE_1)
	s_and_not1_b32 vcc_lo, exec_lo, s48
	s_cbranch_vccnz .LBB127_470
; %bb.461:
	s_wait_xcnt 0x0
	v_and_b32_e32 v5, 0x7fffffff, v4
	s_mov_b32 s48, exec_lo
                                        ; implicit-def: $vgpr1
	s_delay_alu instid0(VALU_DEP_1)
	v_cmpx_gt_u32_e32 0x47800000, v5
	s_xor_b32 s48, exec_lo, s48
	s_cbranch_execz .LBB127_467
; %bb.462:
	s_mov_b32 s49, exec_lo
                                        ; implicit-def: $vgpr1
	v_cmpx_lt_u32_e32 0x387fffff, v5
	s_xor_b32 s49, exec_lo, s49
; %bb.463:
	v_bfe_u32 v1, v4, 21, 1
	s_delay_alu instid0(VALU_DEP_1) | instskip(NEXT) | instid1(VALU_DEP_1)
	v_add3_u32 v1, v4, v1, 0x80fffff
	v_lshrrev_b32_e32 v1, 21, v1
; %bb.464:
	s_and_not1_saveexec_b32 s49, s49
; %bb.465:
	v_add_f32_e64 v1, 0x43000000, |v4|
; %bb.466:
	s_or_b32 exec_lo, exec_lo, s49
                                        ; implicit-def: $vgpr5
.LBB127_467:
	s_and_not1_saveexec_b32 s48, s48
; %bb.468:
	v_mov_b32_e32 v1, 0x7f
	v_cmp_lt_u32_e32 vcc_lo, 0x7f800000, v5
	s_delay_alu instid0(VALU_DEP_2)
	v_cndmask_b32_e32 v1, 0x7c, v1, vcc_lo
; %bb.469:
	s_or_b32 exec_lo, exec_lo, s48
	v_lshrrev_b32_e32 v5, 24, v4
	s_delay_alu instid0(VALU_DEP_1)
	v_and_or_b32 v1, 0x80, v5, v1
	global_store_b8 v[2:3], v1, off
.LBB127_470:
	s_mov_b32 s49, 0
	s_mov_b32 s48, -1
.LBB127_471:
	s_and_not1_b32 vcc_lo, exec_lo, s49
	s_cbranch_vccnz .LBB127_479
; %bb.472:
	s_cmp_gt_i32 s45, 14
	s_mov_b32 s49, -1
	s_cbranch_scc0 .LBB127_476
; %bb.473:
	s_cmp_eq_u32 s45, 15
	s_mov_b32 s0, -1
	s_cbranch_scc0 .LBB127_475
; %bb.474:
	s_wait_xcnt 0x0
	v_bfe_u32 v1, v4, 16, 1
	v_cmp_o_f32_e32 vcc_lo, v4, v4
	s_mov_b32 s48, -1
	s_mov_b32 s0, 0
	s_delay_alu instid0(VALU_DEP_2) | instskip(NEXT) | instid1(VALU_DEP_1)
	v_add3_u32 v1, v4, v1, 0x7fff
	v_lshrrev_b32_e32 v1, 16, v1
	s_delay_alu instid0(VALU_DEP_1)
	v_cndmask_b32_e32 v1, 0x7fc0, v1, vcc_lo
	global_store_b16 v[2:3], v1, off
.LBB127_475:
	s_mov_b32 s49, 0
.LBB127_476:
	s_delay_alu instid0(SALU_CYCLE_1)
	s_and_b32 vcc_lo, exec_lo, s49
	s_cbranch_vccz .LBB127_479
; %bb.477:
	s_cmp_eq_u32 s45, 11
	s_mov_b32 s0, -1
	s_cbranch_scc0 .LBB127_479
; %bb.478:
	v_cmp_neq_f32_e32 vcc_lo, 0, v4
	s_mov_b32 s0, 0
	s_mov_b32 s48, -1
	s_wait_xcnt 0x0
	v_cndmask_b32_e64 v1, 0, 1, vcc_lo
	global_store_b8 v[2:3], v1, off
.LBB127_479:
	s_mov_b32 s45, 0
.LBB127_480:
	s_delay_alu instid0(SALU_CYCLE_1)
	s_and_b32 vcc_lo, exec_lo, s45
	s_cbranch_vccz .LBB127_519
; %bb.481:
	s_and_b32 s37, 0xffff, s37
	s_mov_b32 s45, -1
	s_cmp_lt_i32 s37, 5
	s_cbranch_scc1 .LBB127_502
; %bb.482:
	s_cmp_lt_i32 s37, 8
	s_cbranch_scc1 .LBB127_492
; %bb.483:
	;; [unrolled: 3-line block ×3, first 2 shown]
	s_cmp_gt_i32 s37, 9
	s_cbranch_scc0 .LBB127_486
; %bb.485:
	s_wait_xcnt 0x0
	v_cvt_f64_f32_e32 v[6:7], v4
	v_mov_b32_e32 v8, 0
	s_mov_b32 s45, 0
	s_delay_alu instid0(VALU_DEP_1)
	v_mov_b32_e32 v9, v8
	global_store_b128 v[2:3], v[6:9], off
.LBB127_486:
	s_and_not1_b32 vcc_lo, exec_lo, s45
	s_cbranch_vccnz .LBB127_488
; %bb.487:
	s_wait_xcnt 0x0
	v_mov_b32_e32 v5, 0
	global_store_b64 v[2:3], v[4:5], off
.LBB127_488:
	s_mov_b32 s45, 0
.LBB127_489:
	s_delay_alu instid0(SALU_CYCLE_1)
	s_and_not1_b32 vcc_lo, exec_lo, s45
	s_cbranch_vccnz .LBB127_491
; %bb.490:
	s_wait_xcnt 0x0
	v_cvt_f16_f32_e32 v1, v4
	s_delay_alu instid0(VALU_DEP_1)
	v_and_b32_e32 v1, 0xffff, v1
	global_store_b32 v[2:3], v1, off
.LBB127_491:
	s_mov_b32 s45, 0
.LBB127_492:
	s_delay_alu instid0(SALU_CYCLE_1)
	s_and_not1_b32 vcc_lo, exec_lo, s45
	s_cbranch_vccnz .LBB127_501
; %bb.493:
	s_cmp_lt_i32 s37, 6
	s_mov_b32 s45, -1
	s_cbranch_scc1 .LBB127_499
; %bb.494:
	s_cmp_gt_i32 s37, 6
	s_cbranch_scc0 .LBB127_496
; %bb.495:
	s_wait_xcnt 0x0
	v_cvt_f64_f32_e32 v[6:7], v4
	s_mov_b32 s45, 0
	global_store_b64 v[2:3], v[6:7], off
.LBB127_496:
	s_and_not1_b32 vcc_lo, exec_lo, s45
	s_cbranch_vccnz .LBB127_498
; %bb.497:
	global_store_b32 v[2:3], v4, off
.LBB127_498:
	s_mov_b32 s45, 0
.LBB127_499:
	s_delay_alu instid0(SALU_CYCLE_1)
	s_and_not1_b32 vcc_lo, exec_lo, s45
	s_cbranch_vccnz .LBB127_501
; %bb.500:
	s_wait_xcnt 0x0
	v_cvt_f16_f32_e32 v1, v4
	global_store_b16 v[2:3], v1, off
.LBB127_501:
	s_mov_b32 s45, 0
.LBB127_502:
	s_delay_alu instid0(SALU_CYCLE_1)
	s_and_not1_b32 vcc_lo, exec_lo, s45
	s_cbranch_vccnz .LBB127_518
; %bb.503:
	s_cmp_lt_i32 s37, 2
	s_mov_b32 s45, -1
	s_cbranch_scc1 .LBB127_513
; %bb.504:
	s_cmp_lt_i32 s37, 3
	s_cbranch_scc1 .LBB127_510
; %bb.505:
	s_cmp_gt_i32 s37, 3
	s_cbranch_scc0 .LBB127_507
; %bb.506:
	s_wait_xcnt 0x0
	v_trunc_f32_e32 v1, v4
	s_mov_b32 s45, 0
	s_delay_alu instid0(VALU_DEP_1) | instskip(SKIP_1) | instid1(VALU_DEP_2)
	v_mul_f32_e64 v5, 0x2f800000, |v1|
	v_ashrrev_i32_e32 v6, 31, v1
	v_floor_f32_e32 v5, v5
	s_delay_alu instid0(VALU_DEP_1) | instskip(SKIP_1) | instid1(VALU_DEP_2)
	v_fma_f32 v7, 0xcf800000, v5, |v1|
	v_cvt_u32_f32_e32 v1, v5
	v_cvt_u32_f32_e32 v5, v7
	s_delay_alu instid0(VALU_DEP_2) | instskip(NEXT) | instid1(VALU_DEP_2)
	v_dual_mov_b32 v7, v6 :: v_dual_bitop2_b32 v9, v1, v6 bitop3:0x14
	v_xor_b32_e32 v8, v5, v6
	s_delay_alu instid0(VALU_DEP_1)
	v_sub_nc_u64_e32 v[6:7], v[8:9], v[6:7]
	global_store_b64 v[2:3], v[6:7], off
.LBB127_507:
	s_and_not1_b32 vcc_lo, exec_lo, s45
	s_cbranch_vccnz .LBB127_509
; %bb.508:
	s_wait_xcnt 0x0
	v_cvt_i32_f32_e32 v1, v4
	global_store_b32 v[2:3], v1, off
.LBB127_509:
	s_mov_b32 s45, 0
.LBB127_510:
	s_delay_alu instid0(SALU_CYCLE_1)
	s_and_not1_b32 vcc_lo, exec_lo, s45
	s_cbranch_vccnz .LBB127_512
; %bb.511:
	s_wait_xcnt 0x0
	v_cvt_i32_f32_e32 v1, v4
	global_store_b16 v[2:3], v1, off
.LBB127_512:
	s_mov_b32 s45, 0
.LBB127_513:
	s_delay_alu instid0(SALU_CYCLE_1)
	s_and_not1_b32 vcc_lo, exec_lo, s45
	s_cbranch_vccnz .LBB127_518
; %bb.514:
	s_cmp_gt_i32 s37, 0
	s_mov_b32 s37, -1
	s_cbranch_scc0 .LBB127_516
; %bb.515:
	s_wait_xcnt 0x0
	v_cvt_i32_f32_e32 v1, v4
	s_mov_b32 s37, 0
	global_store_b8 v[2:3], v1, off
.LBB127_516:
	s_and_not1_b32 vcc_lo, exec_lo, s37
	s_cbranch_vccnz .LBB127_518
; %bb.517:
	s_wait_xcnt 0x0
	v_trunc_f32_e32 v1, v4
	s_delay_alu instid0(VALU_DEP_1) | instskip(NEXT) | instid1(VALU_DEP_1)
	v_mul_f32_e64 v4, 0x2f800000, |v1|
	v_floor_f32_e32 v4, v4
	s_delay_alu instid0(VALU_DEP_1) | instskip(SKIP_1) | instid1(VALU_DEP_2)
	v_fma_f32 v4, 0xcf800000, v4, |v1|
	v_ashrrev_i32_e32 v1, 31, v1
	v_cvt_u32_f32_e32 v4, v4
	s_delay_alu instid0(VALU_DEP_1) | instskip(NEXT) | instid1(VALU_DEP_1)
	v_xor_b32_e32 v4, v4, v1
	v_sub_nc_u32_e32 v1, v4, v1
	global_store_b8 v[2:3], v1, off
.LBB127_518:
	s_mov_b32 s48, -1
.LBB127_519:
	s_delay_alu instid0(SALU_CYCLE_1)
	s_and_not1_b32 vcc_lo, exec_lo, s48
	s_cbranch_vccnz .LBB127_521
; %bb.520:
	v_add_nc_u32_e32 v0, 0x80, v0
	s_mov_b32 s37, -1
	s_branch .LBB127_522
.LBB127_521:
	s_mov_b32 s37, 0
                                        ; implicit-def: $vgpr0
.LBB127_522:
	s_and_b32 s45, s0, exec_lo
	s_and_b32 s48, s36, exec_lo
	;; [unrolled: 1-line block ×4, first 2 shown]
	s_or_not1_b32 s35, s37, exec_lo
.LBB127_523:
	s_wait_xcnt 0x0
	s_or_b32 exec_lo, exec_lo, s51
	s_mov_b32 s36, 0
	s_mov_b32 s34, 0
                                        ; implicit-def: $sgpr0
                                        ; implicit-def: $vgpr8_vgpr9
                                        ; implicit-def: $vgpr2
                                        ; implicit-def: $vgpr4
                                        ; implicit-def: $vgpr6
                                        ; implicit-def: $vgpr10
	s_and_saveexec_b32 s51, s35
	s_cbranch_execz .LBB127_531
; %bb.524:
	s_mov_b32 s37, -1
	s_mov_b32 s52, s50
	s_mov_b32 s55, s49
	;; [unrolled: 1-line block ×4, first 2 shown]
	s_mov_b32 s56, exec_lo
	v_cmpx_gt_i32_e64 s46, v0
	s_cbranch_execz .LBB127_1057
; %bb.525:
	s_and_not1_b32 vcc_lo, exec_lo, s39
	s_cbranch_vccnz .LBB127_534
; %bb.526:
	s_and_not1_b32 vcc_lo, exec_lo, s47
	s_cbranch_vccnz .LBB127_535
; %bb.527:
	s_wait_loadcnt 0x0
	v_dual_mov_b32 v6, 0 :: v_dual_mov_b32 v1, v0
	v_dual_mov_b32 v4, 0 :: v_dual_mov_b32 v2, 0
	v_mov_b32_e32 v8, 0
	s_add_co_i32 s0, s44, 1
	s_mov_b64 s[34:35], 0xffffffffffffffe0
	s_and_b32 s0, s0, 30
	s_add_nc_u64 s[34:35], s[2:3], s[34:35]
	s_mov_b64 s[36:37], s[2:3]
.LBB127_528:                            ; =>This Inner Loop Header: Depth=1
	s_clause 0x1
	s_load_b128 s[52:55], s[36:37], 0x4
	s_load_b64 s[58:59], s[36:37], 0x14
	s_load_b256 s[60:67], s[34:35], 0xe4
	s_add_co_i32 s0, s0, -2
	s_wait_xcnt 0x0
	s_add_nc_u64 s[36:37], s[36:37], 24
	s_cmp_eq_u32 s0, 0
	s_add_nc_u64 s[34:35], s[34:35], 32
	s_wait_kmcnt 0x0
	v_mul_hi_u32 v3, s53, v1
	s_delay_alu instid0(VALU_DEP_1) | instskip(NEXT) | instid1(VALU_DEP_1)
	v_add_nc_u32_e32 v3, v1, v3
	v_lshrrev_b32_e32 v3, s54, v3
	s_delay_alu instid0(VALU_DEP_1) | instskip(SKIP_1) | instid1(VALU_DEP_1)
	v_mul_hi_u32 v5, s58, v3
	v_mul_lo_u32 v7, v3, s52
	v_dual_add_nc_u32 v5, v3, v5 :: v_dual_sub_nc_u32 v7, v1, v7
	s_delay_alu instid0(VALU_DEP_1) | instskip(NEXT) | instid1(VALU_DEP_2)
	v_lshrrev_b32_e32 v1, s59, v5
	v_mad_u32 v8, v7, s61, v8
	v_mad_u32 v2, v7, s60, v2
	;; [unrolled: 1-line block ×4, first 2 shown]
	v_mul_lo_u32 v5, v1, s55
	s_delay_alu instid0(VALU_DEP_1) | instskip(NEXT) | instid1(VALU_DEP_1)
	v_sub_nc_u32_e32 v3, v3, v5
	v_mad_u32 v8, v3, s65, v8
	v_mad_u32 v2, v3, s64, v2
	;; [unrolled: 1-line block ×4, first 2 shown]
	s_cbranch_scc0 .LBB127_528
; %bb.529:
	s_bitcmp1_b32 s44, 0
	s_cselect_b32 s0, -1, 0
	s_delay_alu instid0(SALU_CYCLE_1)
	s_and_b32 vcc_lo, exec_lo, s0
	s_cbranch_vccnz .LBB127_536
; %bb.530:
	s_load_b96 s[60:62], s[36:37], 0x4
	s_load_b128 s[52:55], s[34:35], 0xe4
	s_wait_kmcnt 0x0
	v_mul_hi_u32 v3, s61, v1
	s_delay_alu instid0(VALU_DEP_1) | instskip(NEXT) | instid1(VALU_DEP_1)
	v_add_nc_u32_e32 v3, v1, v3
	v_lshrrev_b32_e32 v3, s62, v3
	s_delay_alu instid0(VALU_DEP_1) | instskip(NEXT) | instid1(VALU_DEP_1)
	v_mul_lo_u32 v3, v3, s60
	v_sub_nc_u32_e32 v1, v1, v3
	s_delay_alu instid0(VALU_DEP_1)
	v_mad_u32 v2, v1, s52, v2
	v_mad_u32 v8, v1, s53, v8
	;; [unrolled: 1-line block ×4, first 2 shown]
	s_branch .LBB127_536
.LBB127_531:
	s_or_b32 exec_lo, exec_lo, s51
	s_mov_b32 s1, 0
	s_and_saveexec_b32 s6, s50
	s_cbranch_execnz .LBB127_1685
.LBB127_532:
	s_or_b32 exec_lo, exec_lo, s6
	s_and_saveexec_b32 s6, s29
	s_delay_alu instid0(SALU_CYCLE_1)
	s_xor_b32 s6, exec_lo, s6
	s_cbranch_execz .LBB127_1686
.LBB127_533:
	global_load_u8 v0, v[8:9], off
	s_or_b32 s34, s34, exec_lo
	s_wait_loadcnt 0x0
	v_cmp_ne_u16_e32 vcc_lo, 0, v0
	v_cndmask_b32_e64 v10, 0, 1.0, vcc_lo
	s_wait_xcnt 0x0
	s_or_b32 exec_lo, exec_lo, s6
	s_and_saveexec_b32 s6, s36
	s_cbranch_execz .LBB127_1732
	s_branch .LBB127_1687
.LBB127_534:
                                        ; implicit-def: $vgpr8
                                        ; implicit-def: $vgpr2
                                        ; implicit-def: $vgpr4
                                        ; implicit-def: $vgpr6
	s_branch .LBB127_537
.LBB127_535:
	v_dual_mov_b32 v8, 0 :: v_dual_mov_b32 v2, 0
	s_wait_loadcnt 0x0
	v_dual_mov_b32 v4, 0 :: v_dual_mov_b32 v6, 0
.LBB127_536:
	s_cbranch_execnz .LBB127_539
.LBB127_537:
	s_wait_loadcnt 0x0
	v_mov_b32_e32 v1, 0
	s_and_not1_b32 vcc_lo, exec_lo, s43
	s_delay_alu instid0(VALU_DEP_1) | instskip(NEXT) | instid1(VALU_DEP_1)
	v_mul_u64_e32 v[2:3], s[28:29], v[0:1]
	v_add_nc_u32_e32 v2, v0, v3
	s_delay_alu instid0(VALU_DEP_1) | instskip(NEXT) | instid1(VALU_DEP_1)
	v_lshrrev_b32_e32 v10, s22, v2
	v_mul_lo_u32 v2, v10, s20
	s_delay_alu instid0(VALU_DEP_1) | instskip(NEXT) | instid1(VALU_DEP_1)
	v_sub_nc_u32_e32 v3, v0, v2
	v_mul_lo_u32 v8, v3, s13
	v_mul_lo_u32 v2, v3, s12
	;; [unrolled: 1-line block ×4, first 2 shown]
	s_cbranch_vccnz .LBB127_539
; %bb.538:
	v_mov_b32_e32 v11, v1
	s_delay_alu instid0(VALU_DEP_1) | instskip(NEXT) | instid1(VALU_DEP_1)
	v_mul_u64_e32 v[12:13], s[30:31], v[10:11]
	v_add_nc_u32_e32 v1, v10, v13
	s_delay_alu instid0(VALU_DEP_1) | instskip(NEXT) | instid1(VALU_DEP_1)
	v_lshrrev_b32_e32 v1, s1, v1
	v_mul_lo_u32 v1, v1, s23
	s_delay_alu instid0(VALU_DEP_1) | instskip(NEXT) | instid1(VALU_DEP_1)
	v_sub_nc_u32_e32 v1, v10, v1
	v_mad_u32 v2, v1, s16, v2
	v_mad_u32 v8, v1, s17, v8
	v_mad_u32 v6, v1, s18, v6
	v_mad_u32 v4, v1, s19, v4
.LBB127_539:
	v_mov_b32_e32 v9, 0
	s_and_b32 s0, s42, 0xff
	s_delay_alu instid0(SALU_CYCLE_1) | instskip(NEXT) | instid1(VALU_DEP_1)
	s_cmp_lt_i32 s0, 11
	v_add_nc_u64_e32 v[8:9], s[6:7], v[8:9]
	s_cbranch_scc1 .LBB127_546
; %bb.540:
	s_and_b32 s35, 0xffff, s0
	s_delay_alu instid0(SALU_CYCLE_1)
	s_cmp_gt_i32 s35, 25
	s_cbranch_scc0 .LBB127_555
; %bb.541:
	s_cmp_gt_i32 s35, 28
	s_cbranch_scc0 .LBB127_557
; %bb.542:
	;; [unrolled: 3-line block ×4, first 2 shown]
	s_cmp_eq_u32 s35, 46
	s_mov_b32 s37, 0
	s_cbranch_scc0 .LBB127_563
; %bb.545:
	s_wait_loadcnt 0x0
	global_load_b32 v1, v[8:9], off
	s_mov_b32 s36, -1
	s_mov_b32 s34, 0
	s_wait_loadcnt 0x0
	v_lshlrev_b32_e32 v1, 16, v1
	s_branch .LBB127_565
.LBB127_546:
	s_mov_b32 s36, 0
	s_mov_b32 s34, s50
                                        ; implicit-def: $vgpr1
	s_cbranch_execnz .LBB127_631
.LBB127_547:
	s_and_not1_b32 vcc_lo, exec_lo, s36
	s_cbranch_vccnz .LBB127_679
.LBB127_548:
	v_mov_b32_e32 v7, 0
	s_and_b32 s0, s41, 0xff
	s_delay_alu instid0(SALU_CYCLE_1) | instskip(SKIP_1) | instid1(VALU_DEP_1)
	s_cmp_lt_i32 s0, 11
	s_wait_loadcnt 0x0
	v_add_nc_u64_e32 v[6:7], s[8:9], v[6:7]
	s_cbranch_scc1 .LBB127_556
; %bb.549:
	s_and_b32 s36, 0xffff, s0
	s_delay_alu instid0(SALU_CYCLE_1)
	s_cmp_gt_i32 s36, 25
	s_cbranch_scc0 .LBB127_558
; %bb.550:
	s_cmp_gt_i32 s36, 28
	s_cbranch_scc0 .LBB127_560
; %bb.551:
	;; [unrolled: 3-line block ×4, first 2 shown]
	s_cmp_eq_u32 s36, 46
	s_mov_b32 s52, 0
	s_cbranch_scc0 .LBB127_682
; %bb.554:
	global_load_b32 v3, v[6:7], off
	s_mov_b32 s37, -1
	s_mov_b32 s35, 0
	s_wait_loadcnt 0x0
	v_lshlrev_b32_e32 v3, 16, v3
	s_branch .LBB127_684
.LBB127_555:
	s_mov_b32 s37, -1
	s_mov_b32 s36, 0
	s_mov_b32 s34, s50
                                        ; implicit-def: $vgpr1
	s_branch .LBB127_595
.LBB127_556:
	s_mov_b32 s36, -1
	s_mov_b32 s37, 0
	s_mov_b32 s35, s49
                                        ; implicit-def: $vgpr3
	s_branch .LBB127_749
.LBB127_557:
	s_mov_b32 s37, -1
	s_mov_b32 s36, 0
	s_mov_b32 s34, s50
                                        ; implicit-def: $vgpr1
	s_branch .LBB127_576
.LBB127_558:
	s_mov_b32 s52, -1
	s_mov_b32 s37, 0
	s_mov_b32 s35, s49
                                        ; implicit-def: $vgpr3
	s_branch .LBB127_713
.LBB127_559:
	s_mov_b32 s37, -1
	s_mov_b32 s36, 0
	s_mov_b32 s34, s50
                                        ; implicit-def: $vgpr1
	s_branch .LBB127_571
.LBB127_560:
	s_mov_b32 s52, -1
	s_mov_b32 s37, 0
	s_mov_b32 s35, s49
                                        ; implicit-def: $vgpr3
	s_branch .LBB127_694
.LBB127_561:
	s_mov_b32 s37, -1
	s_mov_b32 s36, 0
	s_mov_b32 s34, s50
	s_branch .LBB127_564
.LBB127_562:
	s_mov_b32 s52, -1
	s_mov_b32 s37, 0
	s_mov_b32 s35, s49
                                        ; implicit-def: $vgpr3
	s_branch .LBB127_689
.LBB127_563:
	s_mov_b32 s34, -1
	s_mov_b32 s36, 0
.LBB127_564:
                                        ; implicit-def: $vgpr1
.LBB127_565:
	s_and_b32 vcc_lo, exec_lo, s37
	s_cbranch_vccz .LBB127_570
; %bb.566:
	s_cmp_eq_u32 s35, 44
	s_cbranch_scc0 .LBB127_569
; %bb.567:
	s_wait_loadcnt 0x0
	global_load_u8 v1, v[8:9], off
	s_mov_b32 s34, 0
	s_mov_b32 s36, -1
	s_wait_loadcnt 0x0
	v_lshlrev_b32_e32 v3, 23, v1
	v_cmp_ne_u32_e32 vcc_lo, 0xff, v1
	s_delay_alu instid0(VALU_DEP_2) | instskip(SKIP_1) | instid1(VALU_DEP_2)
	v_cndmask_b32_e32 v3, 0x7f800001, v3, vcc_lo
	v_cmp_ne_u32_e32 vcc_lo, 0, v1
	v_cndmask_b32_e32 v1, 0x400000, v3, vcc_lo
	s_branch .LBB127_570
.LBB127_568:
	s_mov_b32 s52, -1
	s_mov_b32 s37, 0
	s_mov_b32 s35, s49
	s_branch .LBB127_683
.LBB127_569:
	s_mov_b32 s34, -1
                                        ; implicit-def: $vgpr1
.LBB127_570:
	s_mov_b32 s37, 0
.LBB127_571:
	s_delay_alu instid0(SALU_CYCLE_1)
	s_and_b32 vcc_lo, exec_lo, s37
	s_cbranch_vccz .LBB127_575
; %bb.572:
	s_cmp_eq_u32 s35, 29
	s_cbranch_scc0 .LBB127_574
; %bb.573:
	global_load_b64 v[10:11], v[8:9], off
	s_mov_b32 s36, -1
	s_mov_b32 s34, 0
	s_mov_b32 s37, 0
	s_wait_loadcnt 0x0
	v_clz_i32_u32_e32 v1, v11
	s_delay_alu instid0(VALU_DEP_1) | instskip(NEXT) | instid1(VALU_DEP_1)
	v_min_u32_e32 v1, 32, v1
	v_lshlrev_b64_e32 v[10:11], v1, v[10:11]
	v_sub_nc_u32_e32 v1, 32, v1
	s_delay_alu instid0(VALU_DEP_2) | instskip(NEXT) | instid1(VALU_DEP_1)
	v_min_u32_e32 v3, 1, v10
	v_or_b32_e32 v3, v11, v3
	s_delay_alu instid0(VALU_DEP_1) | instskip(NEXT) | instid1(VALU_DEP_1)
	v_cvt_f32_u32_e32 v3, v3
	v_ldexp_f32 v1, v3, v1
	s_branch .LBB127_576
.LBB127_574:
	s_mov_b32 s34, -1
                                        ; implicit-def: $vgpr1
.LBB127_575:
	s_mov_b32 s37, 0
.LBB127_576:
	s_delay_alu instid0(SALU_CYCLE_1)
	s_and_b32 vcc_lo, exec_lo, s37
	s_cbranch_vccz .LBB127_594
; %bb.577:
	s_cmp_lt_i32 s35, 27
	s_cbranch_scc1 .LBB127_580
; %bb.578:
	s_cmp_gt_i32 s35, 27
	s_cbranch_scc0 .LBB127_581
; %bb.579:
	s_wait_loadcnt 0x0
	global_load_b32 v1, v[8:9], off
	s_mov_b32 s36, 0
	s_wait_loadcnt 0x0
	v_cvt_f32_u32_e32 v1, v1
	s_branch .LBB127_582
.LBB127_580:
	s_mov_b32 s36, -1
                                        ; implicit-def: $vgpr1
	s_branch .LBB127_585
.LBB127_581:
	s_mov_b32 s36, -1
                                        ; implicit-def: $vgpr1
.LBB127_582:
	s_delay_alu instid0(SALU_CYCLE_1)
	s_and_not1_b32 vcc_lo, exec_lo, s36
	s_cbranch_vccnz .LBB127_584
; %bb.583:
	s_wait_loadcnt 0x0
	global_load_u16 v1, v[8:9], off
	s_wait_loadcnt 0x0
	v_cvt_f32_u32_e32 v1, v1
.LBB127_584:
	s_mov_b32 s36, 0
.LBB127_585:
	s_delay_alu instid0(SALU_CYCLE_1)
	s_and_not1_b32 vcc_lo, exec_lo, s36
	s_cbranch_vccnz .LBB127_593
; %bb.586:
	s_wait_loadcnt 0x0
	global_load_u8 v3, v[8:9], off
	s_mov_b32 s36, 0
	s_mov_b32 s37, exec_lo
	s_wait_loadcnt 0x0
	v_cmpx_lt_i16_e32 0x7f, v3
	s_xor_b32 s37, exec_lo, s37
	s_cbranch_execz .LBB127_607
; %bb.587:
	s_mov_b32 s36, -1
	s_mov_b32 s52, exec_lo
	v_cmpx_eq_u16_e32 0x80, v3
; %bb.588:
	s_xor_b32 s36, exec_lo, -1
; %bb.589:
	s_or_b32 exec_lo, exec_lo, s52
	s_delay_alu instid0(SALU_CYCLE_1)
	s_and_b32 s36, s36, exec_lo
	s_or_saveexec_b32 s37, s37
	v_mov_b32_e32 v1, 0x7f800001
	s_xor_b32 exec_lo, exec_lo, s37
	s_cbranch_execnz .LBB127_608
.LBB127_590:
	s_or_b32 exec_lo, exec_lo, s37
	s_and_saveexec_b32 s37, s36
	s_cbranch_execz .LBB127_592
.LBB127_591:
	v_and_b32_e32 v1, 0xffff, v3
	s_delay_alu instid0(VALU_DEP_1) | instskip(SKIP_1) | instid1(VALU_DEP_2)
	v_and_b32_e32 v5, 7, v1
	v_bfe_u32 v11, v1, 3, 4
	v_clz_i32_u32_e32 v7, v5
	s_delay_alu instid0(VALU_DEP_2) | instskip(NEXT) | instid1(VALU_DEP_2)
	v_cmp_eq_u32_e32 vcc_lo, 0, v11
	v_min_u32_e32 v7, 32, v7
	s_delay_alu instid0(VALU_DEP_1) | instskip(NEXT) | instid1(VALU_DEP_1)
	v_subrev_nc_u32_e32 v10, 28, v7
	v_dual_lshlrev_b32 v1, v10, v1 :: v_dual_sub_nc_u32 v7, 29, v7
	s_delay_alu instid0(VALU_DEP_1) | instskip(NEXT) | instid1(VALU_DEP_1)
	v_dual_lshlrev_b32 v3, 24, v3 :: v_dual_bitop2_b32 v1, 7, v1 bitop3:0x40
	v_dual_cndmask_b32 v1, v5, v1, vcc_lo :: v_dual_cndmask_b32 v7, v11, v7, vcc_lo
	s_delay_alu instid0(VALU_DEP_2) | instskip(NEXT) | instid1(VALU_DEP_2)
	v_and_b32_e32 v3, 0x80000000, v3
	v_lshlrev_b32_e32 v1, 20, v1
	s_delay_alu instid0(VALU_DEP_3) | instskip(NEXT) | instid1(VALU_DEP_1)
	v_lshl_add_u32 v5, v7, 23, 0x3b800000
	v_or3_b32 v1, v3, v5, v1
.LBB127_592:
	s_or_b32 exec_lo, exec_lo, s37
.LBB127_593:
	s_mov_b32 s36, -1
.LBB127_594:
	s_mov_b32 s37, 0
.LBB127_595:
	s_delay_alu instid0(SALU_CYCLE_1)
	s_and_b32 vcc_lo, exec_lo, s37
	s_cbranch_vccz .LBB127_630
; %bb.596:
	s_cmp_gt_i32 s35, 22
	s_cbranch_scc0 .LBB127_606
; %bb.597:
	s_cmp_lt_i32 s35, 24
	s_cbranch_scc1 .LBB127_609
; %bb.598:
	s_cmp_gt_i32 s35, 24
	s_cbranch_scc0 .LBB127_610
; %bb.599:
	s_wait_loadcnt 0x0
	global_load_u8 v3, v[8:9], off
	s_mov_b32 s36, 0
	s_mov_b32 s37, exec_lo
	s_wait_loadcnt 0x0
	v_cmpx_lt_i16_e32 0x7f, v3
	s_xor_b32 s37, exec_lo, s37
	s_cbranch_execz .LBB127_622
; %bb.600:
	s_mov_b32 s36, -1
	s_mov_b32 s52, exec_lo
	v_cmpx_eq_u16_e32 0x80, v3
; %bb.601:
	s_xor_b32 s36, exec_lo, -1
; %bb.602:
	s_or_b32 exec_lo, exec_lo, s52
	s_delay_alu instid0(SALU_CYCLE_1)
	s_and_b32 s36, s36, exec_lo
	s_or_saveexec_b32 s37, s37
	v_mov_b32_e32 v1, 0x7f800001
	s_xor_b32 exec_lo, exec_lo, s37
	s_cbranch_execnz .LBB127_623
.LBB127_603:
	s_or_b32 exec_lo, exec_lo, s37
	s_and_saveexec_b32 s37, s36
	s_cbranch_execz .LBB127_605
.LBB127_604:
	v_and_b32_e32 v1, 0xffff, v3
	s_delay_alu instid0(VALU_DEP_1) | instskip(SKIP_1) | instid1(VALU_DEP_2)
	v_and_b32_e32 v5, 3, v1
	v_bfe_u32 v11, v1, 2, 5
	v_clz_i32_u32_e32 v7, v5
	s_delay_alu instid0(VALU_DEP_2) | instskip(NEXT) | instid1(VALU_DEP_2)
	v_cmp_eq_u32_e32 vcc_lo, 0, v11
	v_min_u32_e32 v7, 32, v7
	s_delay_alu instid0(VALU_DEP_1) | instskip(NEXT) | instid1(VALU_DEP_1)
	v_subrev_nc_u32_e32 v10, 29, v7
	v_dual_lshlrev_b32 v1, v10, v1 :: v_dual_sub_nc_u32 v7, 30, v7
	s_delay_alu instid0(VALU_DEP_1) | instskip(NEXT) | instid1(VALU_DEP_1)
	v_dual_lshlrev_b32 v3, 24, v3 :: v_dual_bitop2_b32 v1, 3, v1 bitop3:0x40
	v_dual_cndmask_b32 v1, v5, v1, vcc_lo :: v_dual_cndmask_b32 v7, v11, v7, vcc_lo
	s_delay_alu instid0(VALU_DEP_2) | instskip(NEXT) | instid1(VALU_DEP_2)
	v_and_b32_e32 v3, 0x80000000, v3
	v_lshlrev_b32_e32 v1, 21, v1
	s_delay_alu instid0(VALU_DEP_3) | instskip(NEXT) | instid1(VALU_DEP_1)
	v_lshl_add_u32 v5, v7, 23, 0x37800000
	v_or3_b32 v1, v3, v5, v1
.LBB127_605:
	s_or_b32 exec_lo, exec_lo, s37
	s_mov_b32 s36, 0
	s_branch .LBB127_611
.LBB127_606:
	s_mov_b32 s37, -1
                                        ; implicit-def: $vgpr1
	s_branch .LBB127_617
.LBB127_607:
	s_or_saveexec_b32 s37, s37
	v_mov_b32_e32 v1, 0x7f800001
	s_xor_b32 exec_lo, exec_lo, s37
	s_cbranch_execz .LBB127_590
.LBB127_608:
	v_cmp_ne_u16_e32 vcc_lo, 0, v3
	v_mov_b32_e32 v1, 0
	s_and_not1_b32 s36, s36, exec_lo
	s_and_b32 s52, vcc_lo, exec_lo
	s_delay_alu instid0(SALU_CYCLE_1)
	s_or_b32 s36, s36, s52
	s_or_b32 exec_lo, exec_lo, s37
	s_and_saveexec_b32 s37, s36
	s_cbranch_execnz .LBB127_591
	s_branch .LBB127_592
.LBB127_609:
	s_mov_b32 s36, -1
                                        ; implicit-def: $vgpr1
	s_branch .LBB127_614
.LBB127_610:
	s_mov_b32 s36, -1
                                        ; implicit-def: $vgpr1
.LBB127_611:
	s_delay_alu instid0(SALU_CYCLE_1)
	s_and_b32 vcc_lo, exec_lo, s36
	s_cbranch_vccz .LBB127_613
; %bb.612:
	s_wait_loadcnt 0x0
	global_load_u8 v1, v[8:9], off
	s_wait_loadcnt 0x0
	v_lshlrev_b32_e32 v1, 24, v1
	s_delay_alu instid0(VALU_DEP_1) | instskip(NEXT) | instid1(VALU_DEP_1)
	v_and_b32_e32 v3, 0x7f000000, v1
	v_clz_i32_u32_e32 v5, v3
	v_cmp_ne_u32_e32 vcc_lo, 0, v3
	v_add_nc_u32_e32 v10, 0x1000000, v3
	s_delay_alu instid0(VALU_DEP_3) | instskip(NEXT) | instid1(VALU_DEP_1)
	v_min_u32_e32 v5, 32, v5
	v_sub_nc_u32_e64 v5, v5, 4 clamp
	s_delay_alu instid0(VALU_DEP_1) | instskip(NEXT) | instid1(VALU_DEP_1)
	v_dual_lshlrev_b32 v7, v5, v3 :: v_dual_lshlrev_b32 v5, 23, v5
	v_lshrrev_b32_e32 v7, 4, v7
	s_delay_alu instid0(VALU_DEP_1) | instskip(NEXT) | instid1(VALU_DEP_1)
	v_dual_sub_nc_u32 v5, v7, v5 :: v_dual_ashrrev_i32 v7, 8, v10
	v_add_nc_u32_e32 v5, 0x3c000000, v5
	s_delay_alu instid0(VALU_DEP_1) | instskip(NEXT) | instid1(VALU_DEP_1)
	v_and_or_b32 v5, 0x7f800000, v7, v5
	v_cndmask_b32_e32 v3, 0, v5, vcc_lo
	s_delay_alu instid0(VALU_DEP_1)
	v_and_or_b32 v1, 0x80000000, v1, v3
.LBB127_613:
	s_mov_b32 s36, 0
.LBB127_614:
	s_delay_alu instid0(SALU_CYCLE_1)
	s_and_not1_b32 vcc_lo, exec_lo, s36
	s_cbranch_vccnz .LBB127_616
; %bb.615:
	s_wait_loadcnt 0x0
	global_load_u8 v1, v[8:9], off
	s_wait_loadcnt 0x0
	v_lshlrev_b32_e32 v3, 25, v1
	v_lshlrev_b16 v1, 8, v1
	s_delay_alu instid0(VALU_DEP_1) | instskip(SKIP_1) | instid1(VALU_DEP_2)
	v_and_or_b32 v7, 0x7f00, v1, 0.5
	v_bfe_i32 v1, v1, 0, 16
	v_add_f32_e32 v7, -0.5, v7
	v_lshrrev_b32_e32 v5, 4, v3
	v_cmp_gt_u32_e32 vcc_lo, 0x8000000, v3
	s_delay_alu instid0(VALU_DEP_2) | instskip(NEXT) | instid1(VALU_DEP_1)
	v_or_b32_e32 v5, 0x70000000, v5
	v_mul_f32_e32 v5, 0x7800000, v5
	s_delay_alu instid0(VALU_DEP_1) | instskip(NEXT) | instid1(VALU_DEP_1)
	v_cndmask_b32_e32 v3, v5, v7, vcc_lo
	v_and_or_b32 v1, 0x80000000, v1, v3
.LBB127_616:
	s_mov_b32 s37, 0
	s_mov_b32 s36, -1
.LBB127_617:
	s_and_not1_b32 vcc_lo, exec_lo, s37
	s_cbranch_vccnz .LBB127_630
; %bb.618:
	s_cmp_gt_i32 s35, 14
	s_cbranch_scc0 .LBB127_621
; %bb.619:
	s_cmp_eq_u32 s35, 15
	s_cbranch_scc0 .LBB127_624
; %bb.620:
	s_wait_loadcnt 0x0
	global_load_u16 v1, v[8:9], off
	s_mov_b32 s36, -1
	s_mov_b32 s34, 0
	s_wait_loadcnt 0x0
	v_lshlrev_b32_e32 v1, 16, v1
	s_branch .LBB127_625
.LBB127_621:
	s_mov_b32 s37, -1
                                        ; implicit-def: $vgpr1
	s_branch .LBB127_626
.LBB127_622:
	s_or_saveexec_b32 s37, s37
	v_mov_b32_e32 v1, 0x7f800001
	s_xor_b32 exec_lo, exec_lo, s37
	s_cbranch_execz .LBB127_603
.LBB127_623:
	v_cmp_ne_u16_e32 vcc_lo, 0, v3
	v_mov_b32_e32 v1, 0
	s_and_not1_b32 s36, s36, exec_lo
	s_and_b32 s52, vcc_lo, exec_lo
	s_delay_alu instid0(SALU_CYCLE_1)
	s_or_b32 s36, s36, s52
	s_or_b32 exec_lo, exec_lo, s37
	s_and_saveexec_b32 s37, s36
	s_cbranch_execnz .LBB127_604
	s_branch .LBB127_605
.LBB127_624:
	s_mov_b32 s34, -1
                                        ; implicit-def: $vgpr1
.LBB127_625:
	s_mov_b32 s37, 0
.LBB127_626:
	s_delay_alu instid0(SALU_CYCLE_1)
	s_and_b32 vcc_lo, exec_lo, s37
	s_cbranch_vccz .LBB127_630
; %bb.627:
	s_cmp_eq_u32 s35, 11
	s_cbranch_scc0 .LBB127_629
; %bb.628:
	s_wait_loadcnt 0x0
	global_load_u8 v1, v[8:9], off
	s_mov_b32 s34, 0
	s_mov_b32 s36, -1
	s_wait_loadcnt 0x0
	v_cmp_ne_u16_e32 vcc_lo, 0, v1
	v_cndmask_b32_e64 v1, 0, 1.0, vcc_lo
	s_branch .LBB127_630
.LBB127_629:
	s_mov_b32 s34, -1
                                        ; implicit-def: $vgpr1
.LBB127_630:
	s_branch .LBB127_547
.LBB127_631:
	s_and_b32 s0, 0xffff, s0
	s_delay_alu instid0(SALU_CYCLE_1)
	s_cmp_lt_i32 s0, 5
	s_cbranch_scc1 .LBB127_636
; %bb.632:
	s_cmp_lt_i32 s0, 8
	s_cbranch_scc1 .LBB127_637
; %bb.633:
	;; [unrolled: 3-line block ×3, first 2 shown]
	s_cmp_gt_i32 s0, 9
	s_cbranch_scc0 .LBB127_639
; %bb.635:
	global_load_b64 v[10:11], v[8:9], off
	s_mov_b32 s35, 0
	s_wait_loadcnt 0x0
	v_cvt_f32_f64_e32 v1, v[10:11]
	s_branch .LBB127_640
.LBB127_636:
	s_mov_b32 s35, -1
                                        ; implicit-def: $vgpr1
	s_branch .LBB127_658
.LBB127_637:
	s_mov_b32 s35, -1
                                        ; implicit-def: $vgpr1
	s_branch .LBB127_646
.LBB127_638:
	s_mov_b32 s35, -1
                                        ; implicit-def: $vgpr1
	s_branch .LBB127_643
.LBB127_639:
	s_mov_b32 s35, -1
                                        ; implicit-def: $vgpr1
.LBB127_640:
	s_delay_alu instid0(SALU_CYCLE_1)
	s_and_not1_b32 vcc_lo, exec_lo, s35
	s_cbranch_vccnz .LBB127_642
; %bb.641:
	s_wait_loadcnt 0x0
	global_load_b32 v1, v[8:9], off
.LBB127_642:
	s_mov_b32 s35, 0
.LBB127_643:
	s_delay_alu instid0(SALU_CYCLE_1)
	s_and_not1_b32 vcc_lo, exec_lo, s35
	s_cbranch_vccnz .LBB127_645
; %bb.644:
	s_wait_loadcnt 0x0
	global_load_b32 v1, v[8:9], off
	s_wait_loadcnt 0x0
	v_cvt_f32_f16_e32 v1, v1
.LBB127_645:
	s_mov_b32 s35, 0
.LBB127_646:
	s_delay_alu instid0(SALU_CYCLE_1)
	s_and_not1_b32 vcc_lo, exec_lo, s35
	s_cbranch_vccnz .LBB127_657
; %bb.647:
	s_cmp_lt_i32 s0, 6
	s_cbranch_scc1 .LBB127_650
; %bb.648:
	s_cmp_gt_i32 s0, 6
	s_cbranch_scc0 .LBB127_651
; %bb.649:
	global_load_b64 v[10:11], v[8:9], off
	s_mov_b32 s35, 0
	s_wait_loadcnt 0x0
	v_cvt_f32_f64_e32 v1, v[10:11]
	s_branch .LBB127_652
.LBB127_650:
	s_mov_b32 s35, -1
                                        ; implicit-def: $vgpr1
	s_branch .LBB127_655
.LBB127_651:
	s_mov_b32 s35, -1
                                        ; implicit-def: $vgpr1
.LBB127_652:
	s_delay_alu instid0(SALU_CYCLE_1)
	s_and_not1_b32 vcc_lo, exec_lo, s35
	s_cbranch_vccnz .LBB127_654
; %bb.653:
	s_wait_loadcnt 0x0
	global_load_b32 v1, v[8:9], off
.LBB127_654:
	s_mov_b32 s35, 0
.LBB127_655:
	s_delay_alu instid0(SALU_CYCLE_1)
	s_and_not1_b32 vcc_lo, exec_lo, s35
	s_cbranch_vccnz .LBB127_657
; %bb.656:
	s_wait_loadcnt 0x0
	global_load_u16 v1, v[8:9], off
	s_wait_loadcnt 0x0
	v_cvt_f32_f16_e32 v1, v1
.LBB127_657:
	s_mov_b32 s35, 0
.LBB127_658:
	s_delay_alu instid0(SALU_CYCLE_1)
	s_and_not1_b32 vcc_lo, exec_lo, s35
	s_cbranch_vccnz .LBB127_678
; %bb.659:
	s_cmp_lt_i32 s0, 2
	s_cbranch_scc1 .LBB127_663
; %bb.660:
	s_cmp_lt_i32 s0, 3
	s_cbranch_scc1 .LBB127_664
; %bb.661:
	s_cmp_gt_i32 s0, 3
	s_cbranch_scc0 .LBB127_665
; %bb.662:
	global_load_b64 v[10:11], v[8:9], off
	s_mov_b32 s35, 0
	s_wait_loadcnt 0x0
	v_xor_b32_e32 v1, v10, v11
	v_cls_i32_e32 v3, v11
	s_delay_alu instid0(VALU_DEP_2) | instskip(NEXT) | instid1(VALU_DEP_1)
	v_ashrrev_i32_e32 v1, 31, v1
	v_add_nc_u32_e32 v1, 32, v1
	s_delay_alu instid0(VALU_DEP_1) | instskip(NEXT) | instid1(VALU_DEP_1)
	v_add_min_u32_e64 v1, v3, -1, v1
	v_lshlrev_b64_e32 v[10:11], v1, v[10:11]
	v_sub_nc_u32_e32 v1, 32, v1
	s_delay_alu instid0(VALU_DEP_2) | instskip(NEXT) | instid1(VALU_DEP_1)
	v_min_u32_e32 v3, 1, v10
	v_or_b32_e32 v3, v11, v3
	s_delay_alu instid0(VALU_DEP_1) | instskip(NEXT) | instid1(VALU_DEP_1)
	v_cvt_f32_i32_e32 v3, v3
	v_ldexp_f32 v1, v3, v1
	s_branch .LBB127_666
.LBB127_663:
	s_mov_b32 s35, -1
                                        ; implicit-def: $vgpr1
	s_branch .LBB127_672
.LBB127_664:
	s_mov_b32 s35, -1
                                        ; implicit-def: $vgpr1
	s_branch .LBB127_669
.LBB127_665:
	s_mov_b32 s35, -1
                                        ; implicit-def: $vgpr1
.LBB127_666:
	s_delay_alu instid0(SALU_CYCLE_1)
	s_and_not1_b32 vcc_lo, exec_lo, s35
	s_cbranch_vccnz .LBB127_668
; %bb.667:
	s_wait_loadcnt 0x0
	global_load_b32 v1, v[8:9], off
	s_wait_loadcnt 0x0
	v_cvt_f32_i32_e32 v1, v1
.LBB127_668:
	s_mov_b32 s35, 0
.LBB127_669:
	s_delay_alu instid0(SALU_CYCLE_1)
	s_and_not1_b32 vcc_lo, exec_lo, s35
	s_cbranch_vccnz .LBB127_671
; %bb.670:
	s_wait_loadcnt 0x0
	global_load_i16 v1, v[8:9], off
	s_wait_loadcnt 0x0
	v_cvt_f32_i32_e32 v1, v1
.LBB127_671:
	s_mov_b32 s35, 0
.LBB127_672:
	s_delay_alu instid0(SALU_CYCLE_1)
	s_and_not1_b32 vcc_lo, exec_lo, s35
	s_cbranch_vccnz .LBB127_678
; %bb.673:
	s_cmp_gt_i32 s0, 0
	s_mov_b32 s0, 0
	s_cbranch_scc0 .LBB127_675
; %bb.674:
	s_wait_loadcnt 0x0
	global_load_i8 v1, v[8:9], off
	s_wait_loadcnt 0x0
	v_cvt_f32_i32_e32 v1, v1
	s_branch .LBB127_676
.LBB127_675:
	s_mov_b32 s0, -1
                                        ; implicit-def: $vgpr1
.LBB127_676:
	s_delay_alu instid0(SALU_CYCLE_1)
	s_and_not1_b32 vcc_lo, exec_lo, s0
	s_cbranch_vccnz .LBB127_678
; %bb.677:
	s_wait_loadcnt 0x0
	global_load_u8 v1, v[8:9], off
	s_wait_loadcnt 0x0
	v_cvt_f32_ubyte0_e32 v1, v1
.LBB127_678:
	s_branch .LBB127_548
.LBB127_679:
	s_mov_b32 s37, 0
	s_mov_b32 s0, s45
	;; [unrolled: 1-line block ×4, first 2 shown]
	s_branch .LBB127_1055
.LBB127_680:
	s_and_not1_saveexec_b32 s50, s50
	s_cbranch_execz .LBB127_432
.LBB127_681:
	v_add_f32_e64 v1, 0x46000000, |v4|
	s_and_not1_b32 s49, s49, exec_lo
	s_delay_alu instid0(VALU_DEP_1) | instskip(NEXT) | instid1(VALU_DEP_1)
	v_and_b32_e32 v1, 0xff, v1
	v_cmp_ne_u32_e32 vcc_lo, 0, v1
	s_and_b32 s52, vcc_lo, exec_lo
	s_delay_alu instid0(SALU_CYCLE_1)
	s_or_b32 s49, s49, s52
	s_or_b32 exec_lo, exec_lo, s50
	v_mov_b32_e32 v5, 0
	s_and_saveexec_b32 s50, s49
	s_cbranch_execnz .LBB127_433
	s_branch .LBB127_434
.LBB127_682:
	s_mov_b32 s35, -1
	s_mov_b32 s37, 0
.LBB127_683:
                                        ; implicit-def: $vgpr3
.LBB127_684:
	s_and_b32 vcc_lo, exec_lo, s52
	s_cbranch_vccz .LBB127_688
; %bb.685:
	s_cmp_eq_u32 s36, 44
	s_cbranch_scc0 .LBB127_687
; %bb.686:
	global_load_u8 v3, v[6:7], off
	s_mov_b32 s35, 0
	s_mov_b32 s37, -1
	s_wait_loadcnt 0x0
	v_lshlrev_b32_e32 v5, 23, v3
	v_cmp_ne_u32_e32 vcc_lo, 0xff, v3
	s_delay_alu instid0(VALU_DEP_2) | instskip(SKIP_1) | instid1(VALU_DEP_2)
	v_cndmask_b32_e32 v5, 0x7f800001, v5, vcc_lo
	v_cmp_ne_u32_e32 vcc_lo, 0, v3
	v_cndmask_b32_e32 v3, 0x400000, v5, vcc_lo
	s_branch .LBB127_688
.LBB127_687:
	s_mov_b32 s35, -1
                                        ; implicit-def: $vgpr3
.LBB127_688:
	s_mov_b32 s52, 0
.LBB127_689:
	s_delay_alu instid0(SALU_CYCLE_1)
	s_and_b32 vcc_lo, exec_lo, s52
	s_cbranch_vccz .LBB127_693
; %bb.690:
	s_cmp_eq_u32 s36, 29
	s_cbranch_scc0 .LBB127_692
; %bb.691:
	global_load_b64 v[8:9], v[6:7], off
	s_mov_b32 s37, -1
	s_mov_b32 s35, 0
	s_mov_b32 s52, 0
	s_wait_loadcnt 0x0
	v_clz_i32_u32_e32 v3, v9
	s_delay_alu instid0(VALU_DEP_1) | instskip(NEXT) | instid1(VALU_DEP_1)
	v_min_u32_e32 v3, 32, v3
	v_lshlrev_b64_e32 v[8:9], v3, v[8:9]
	v_sub_nc_u32_e32 v3, 32, v3
	s_delay_alu instid0(VALU_DEP_2) | instskip(NEXT) | instid1(VALU_DEP_1)
	v_min_u32_e32 v5, 1, v8
	v_or_b32_e32 v5, v9, v5
	s_delay_alu instid0(VALU_DEP_1) | instskip(NEXT) | instid1(VALU_DEP_1)
	v_cvt_f32_u32_e32 v5, v5
	v_ldexp_f32 v3, v5, v3
	s_branch .LBB127_694
.LBB127_692:
	s_mov_b32 s35, -1
                                        ; implicit-def: $vgpr3
.LBB127_693:
	s_mov_b32 s52, 0
.LBB127_694:
	s_delay_alu instid0(SALU_CYCLE_1)
	s_and_b32 vcc_lo, exec_lo, s52
	s_cbranch_vccz .LBB127_712
; %bb.695:
	s_cmp_lt_i32 s36, 27
	s_cbranch_scc1 .LBB127_698
; %bb.696:
	s_cmp_gt_i32 s36, 27
	s_cbranch_scc0 .LBB127_699
; %bb.697:
	global_load_b32 v3, v[6:7], off
	s_mov_b32 s37, 0
	s_wait_loadcnt 0x0
	v_cvt_f32_u32_e32 v3, v3
	s_branch .LBB127_700
.LBB127_698:
	s_mov_b32 s37, -1
                                        ; implicit-def: $vgpr3
	s_branch .LBB127_703
.LBB127_699:
	s_mov_b32 s37, -1
                                        ; implicit-def: $vgpr3
.LBB127_700:
	s_delay_alu instid0(SALU_CYCLE_1)
	s_and_not1_b32 vcc_lo, exec_lo, s37
	s_cbranch_vccnz .LBB127_702
; %bb.701:
	global_load_u16 v3, v[6:7], off
	s_wait_loadcnt 0x0
	v_cvt_f32_u32_e32 v3, v3
.LBB127_702:
	s_mov_b32 s37, 0
.LBB127_703:
	s_delay_alu instid0(SALU_CYCLE_1)
	s_and_not1_b32 vcc_lo, exec_lo, s37
	s_cbranch_vccnz .LBB127_711
; %bb.704:
	global_load_u8 v5, v[6:7], off
	s_mov_b32 s37, 0
	s_mov_b32 s52, exec_lo
	s_wait_loadcnt 0x0
	v_cmpx_lt_i16_e32 0x7f, v5
	s_xor_b32 s52, exec_lo, s52
	s_cbranch_execz .LBB127_725
; %bb.705:
	s_mov_b32 s37, -1
	s_mov_b32 s53, exec_lo
	v_cmpx_eq_u16_e32 0x80, v5
; %bb.706:
	s_xor_b32 s37, exec_lo, -1
; %bb.707:
	s_or_b32 exec_lo, exec_lo, s53
	s_delay_alu instid0(SALU_CYCLE_1)
	s_and_b32 s37, s37, exec_lo
	s_or_saveexec_b32 s52, s52
	v_mov_b32_e32 v3, 0x7f800001
	s_xor_b32 exec_lo, exec_lo, s52
	s_cbranch_execnz .LBB127_726
.LBB127_708:
	s_or_b32 exec_lo, exec_lo, s52
	s_and_saveexec_b32 s52, s37
	s_cbranch_execz .LBB127_710
.LBB127_709:
	v_and_b32_e32 v3, 0xffff, v5
	s_delay_alu instid0(VALU_DEP_1) | instskip(SKIP_1) | instid1(VALU_DEP_2)
	v_and_b32_e32 v8, 7, v3
	v_bfe_u32 v11, v3, 3, 4
	v_clz_i32_u32_e32 v9, v8
	s_delay_alu instid0(VALU_DEP_2) | instskip(NEXT) | instid1(VALU_DEP_2)
	v_cmp_eq_u32_e32 vcc_lo, 0, v11
	v_min_u32_e32 v9, 32, v9
	s_delay_alu instid0(VALU_DEP_1) | instskip(NEXT) | instid1(VALU_DEP_1)
	v_subrev_nc_u32_e32 v10, 28, v9
	v_dual_lshlrev_b32 v3, v10, v3 :: v_dual_sub_nc_u32 v9, 29, v9
	s_delay_alu instid0(VALU_DEP_1) | instskip(NEXT) | instid1(VALU_DEP_1)
	v_dual_lshlrev_b32 v5, 24, v5 :: v_dual_bitop2_b32 v3, 7, v3 bitop3:0x40
	v_dual_cndmask_b32 v3, v8, v3, vcc_lo :: v_dual_cndmask_b32 v9, v11, v9, vcc_lo
	s_delay_alu instid0(VALU_DEP_2) | instskip(NEXT) | instid1(VALU_DEP_2)
	v_and_b32_e32 v5, 0x80000000, v5
	v_lshlrev_b32_e32 v3, 20, v3
	s_delay_alu instid0(VALU_DEP_3) | instskip(NEXT) | instid1(VALU_DEP_1)
	v_lshl_add_u32 v8, v9, 23, 0x3b800000
	v_or3_b32 v3, v5, v8, v3
.LBB127_710:
	s_or_b32 exec_lo, exec_lo, s52
.LBB127_711:
	s_mov_b32 s37, -1
.LBB127_712:
	s_mov_b32 s52, 0
.LBB127_713:
	s_delay_alu instid0(SALU_CYCLE_1)
	s_and_b32 vcc_lo, exec_lo, s52
	s_cbranch_vccz .LBB127_748
; %bb.714:
	s_cmp_gt_i32 s36, 22
	s_cbranch_scc0 .LBB127_724
; %bb.715:
	s_cmp_lt_i32 s36, 24
	s_cbranch_scc1 .LBB127_727
; %bb.716:
	s_cmp_gt_i32 s36, 24
	s_cbranch_scc0 .LBB127_728
; %bb.717:
	global_load_u8 v5, v[6:7], off
	s_mov_b32 s37, 0
	s_mov_b32 s52, exec_lo
	s_wait_loadcnt 0x0
	v_cmpx_lt_i16_e32 0x7f, v5
	s_xor_b32 s52, exec_lo, s52
	s_cbranch_execz .LBB127_740
; %bb.718:
	s_mov_b32 s37, -1
	s_mov_b32 s53, exec_lo
	v_cmpx_eq_u16_e32 0x80, v5
; %bb.719:
	s_xor_b32 s37, exec_lo, -1
; %bb.720:
	s_or_b32 exec_lo, exec_lo, s53
	s_delay_alu instid0(SALU_CYCLE_1)
	s_and_b32 s37, s37, exec_lo
	s_or_saveexec_b32 s52, s52
	v_mov_b32_e32 v3, 0x7f800001
	s_xor_b32 exec_lo, exec_lo, s52
	s_cbranch_execnz .LBB127_741
.LBB127_721:
	s_or_b32 exec_lo, exec_lo, s52
	s_and_saveexec_b32 s52, s37
	s_cbranch_execz .LBB127_723
.LBB127_722:
	v_and_b32_e32 v3, 0xffff, v5
	s_delay_alu instid0(VALU_DEP_1) | instskip(SKIP_1) | instid1(VALU_DEP_2)
	v_and_b32_e32 v8, 3, v3
	v_bfe_u32 v11, v3, 2, 5
	v_clz_i32_u32_e32 v9, v8
	s_delay_alu instid0(VALU_DEP_2) | instskip(NEXT) | instid1(VALU_DEP_2)
	v_cmp_eq_u32_e32 vcc_lo, 0, v11
	v_min_u32_e32 v9, 32, v9
	s_delay_alu instid0(VALU_DEP_1) | instskip(NEXT) | instid1(VALU_DEP_1)
	v_subrev_nc_u32_e32 v10, 29, v9
	v_dual_lshlrev_b32 v3, v10, v3 :: v_dual_sub_nc_u32 v9, 30, v9
	s_delay_alu instid0(VALU_DEP_1) | instskip(NEXT) | instid1(VALU_DEP_1)
	v_dual_lshlrev_b32 v5, 24, v5 :: v_dual_bitop2_b32 v3, 3, v3 bitop3:0x40
	v_dual_cndmask_b32 v3, v8, v3, vcc_lo :: v_dual_cndmask_b32 v9, v11, v9, vcc_lo
	s_delay_alu instid0(VALU_DEP_2) | instskip(NEXT) | instid1(VALU_DEP_2)
	v_and_b32_e32 v5, 0x80000000, v5
	v_lshlrev_b32_e32 v3, 21, v3
	s_delay_alu instid0(VALU_DEP_3) | instskip(NEXT) | instid1(VALU_DEP_1)
	v_lshl_add_u32 v8, v9, 23, 0x37800000
	v_or3_b32 v3, v5, v8, v3
.LBB127_723:
	s_or_b32 exec_lo, exec_lo, s52
	s_mov_b32 s37, 0
	s_branch .LBB127_729
.LBB127_724:
	s_mov_b32 s52, -1
                                        ; implicit-def: $vgpr3
	s_branch .LBB127_735
.LBB127_725:
	s_or_saveexec_b32 s52, s52
	v_mov_b32_e32 v3, 0x7f800001
	s_xor_b32 exec_lo, exec_lo, s52
	s_cbranch_execz .LBB127_708
.LBB127_726:
	v_cmp_ne_u16_e32 vcc_lo, 0, v5
	v_mov_b32_e32 v3, 0
	s_and_not1_b32 s37, s37, exec_lo
	s_and_b32 s53, vcc_lo, exec_lo
	s_delay_alu instid0(SALU_CYCLE_1)
	s_or_b32 s37, s37, s53
	s_or_b32 exec_lo, exec_lo, s52
	s_and_saveexec_b32 s52, s37
	s_cbranch_execnz .LBB127_709
	s_branch .LBB127_710
.LBB127_727:
	s_mov_b32 s37, -1
                                        ; implicit-def: $vgpr3
	s_branch .LBB127_732
.LBB127_728:
	s_mov_b32 s37, -1
                                        ; implicit-def: $vgpr3
.LBB127_729:
	s_delay_alu instid0(SALU_CYCLE_1)
	s_and_b32 vcc_lo, exec_lo, s37
	s_cbranch_vccz .LBB127_731
; %bb.730:
	global_load_u8 v3, v[6:7], off
	s_wait_loadcnt 0x0
	v_lshlrev_b32_e32 v3, 24, v3
	s_delay_alu instid0(VALU_DEP_1) | instskip(SKIP_1) | instid1(VALU_DEP_1)
	v_and_b32_e32 v5, 0x7f000000, v3
	s_wait_xcnt 0x1
	v_clz_i32_u32_e32 v8, v5
	v_cmp_ne_u32_e32 vcc_lo, 0, v5
	v_add_nc_u32_e32 v10, 0x1000000, v5
	s_delay_alu instid0(VALU_DEP_3) | instskip(NEXT) | instid1(VALU_DEP_1)
	v_min_u32_e32 v8, 32, v8
	v_sub_nc_u32_e64 v8, v8, 4 clamp
	s_delay_alu instid0(VALU_DEP_1) | instskip(NEXT) | instid1(VALU_DEP_1)
	v_dual_lshlrev_b32 v9, v8, v5 :: v_dual_lshlrev_b32 v8, 23, v8
	v_lshrrev_b32_e32 v9, 4, v9
	s_delay_alu instid0(VALU_DEP_1) | instskip(NEXT) | instid1(VALU_DEP_1)
	v_dual_sub_nc_u32 v8, v9, v8 :: v_dual_ashrrev_i32 v9, 8, v10
	v_add_nc_u32_e32 v8, 0x3c000000, v8
	s_delay_alu instid0(VALU_DEP_1) | instskip(NEXT) | instid1(VALU_DEP_1)
	v_and_or_b32 v8, 0x7f800000, v9, v8
	v_cndmask_b32_e32 v5, 0, v8, vcc_lo
	s_delay_alu instid0(VALU_DEP_1)
	v_and_or_b32 v3, 0x80000000, v3, v5
.LBB127_731:
	s_mov_b32 s37, 0
.LBB127_732:
	s_delay_alu instid0(SALU_CYCLE_1)
	s_and_not1_b32 vcc_lo, exec_lo, s37
	s_cbranch_vccnz .LBB127_734
; %bb.733:
	global_load_u8 v3, v[6:7], off
	s_wait_loadcnt 0x0
	v_lshlrev_b32_e32 v5, 25, v3
	v_lshlrev_b16 v3, 8, v3
	s_wait_xcnt 0x1
	s_delay_alu instid0(VALU_DEP_1) | instskip(SKIP_1) | instid1(VALU_DEP_2)
	v_and_or_b32 v9, 0x7f00, v3, 0.5
	v_bfe_i32 v3, v3, 0, 16
	v_add_f32_e32 v9, -0.5, v9
	v_lshrrev_b32_e32 v8, 4, v5
	v_cmp_gt_u32_e32 vcc_lo, 0x8000000, v5
	s_delay_alu instid0(VALU_DEP_2) | instskip(NEXT) | instid1(VALU_DEP_1)
	v_or_b32_e32 v8, 0x70000000, v8
	v_mul_f32_e32 v8, 0x7800000, v8
	s_delay_alu instid0(VALU_DEP_1) | instskip(NEXT) | instid1(VALU_DEP_1)
	v_cndmask_b32_e32 v5, v8, v9, vcc_lo
	v_and_or_b32 v3, 0x80000000, v3, v5
.LBB127_734:
	s_mov_b32 s52, 0
	s_mov_b32 s37, -1
.LBB127_735:
	s_and_not1_b32 vcc_lo, exec_lo, s52
	s_cbranch_vccnz .LBB127_748
; %bb.736:
	s_cmp_gt_i32 s36, 14
	s_cbranch_scc0 .LBB127_739
; %bb.737:
	s_cmp_eq_u32 s36, 15
	s_cbranch_scc0 .LBB127_742
; %bb.738:
	global_load_u16 v3, v[6:7], off
	s_mov_b32 s37, -1
	s_mov_b32 s35, 0
	s_wait_loadcnt 0x0
	v_lshlrev_b32_e32 v3, 16, v3
	s_branch .LBB127_743
.LBB127_739:
	s_mov_b32 s52, -1
                                        ; implicit-def: $vgpr3
	s_branch .LBB127_744
.LBB127_740:
	s_or_saveexec_b32 s52, s52
	v_mov_b32_e32 v3, 0x7f800001
	s_xor_b32 exec_lo, exec_lo, s52
	s_cbranch_execz .LBB127_721
.LBB127_741:
	v_cmp_ne_u16_e32 vcc_lo, 0, v5
	v_mov_b32_e32 v3, 0
	s_and_not1_b32 s37, s37, exec_lo
	s_and_b32 s53, vcc_lo, exec_lo
	s_delay_alu instid0(SALU_CYCLE_1)
	s_or_b32 s37, s37, s53
	s_or_b32 exec_lo, exec_lo, s52
	s_and_saveexec_b32 s52, s37
	s_cbranch_execnz .LBB127_722
	s_branch .LBB127_723
.LBB127_742:
	s_mov_b32 s35, -1
                                        ; implicit-def: $vgpr3
.LBB127_743:
	s_mov_b32 s52, 0
.LBB127_744:
	s_delay_alu instid0(SALU_CYCLE_1)
	s_and_b32 vcc_lo, exec_lo, s52
	s_cbranch_vccz .LBB127_748
; %bb.745:
	s_cmp_eq_u32 s36, 11
	s_cbranch_scc0 .LBB127_747
; %bb.746:
	global_load_u8 v3, v[6:7], off
	s_mov_b32 s35, 0
	s_mov_b32 s37, -1
	s_wait_loadcnt 0x0
	v_cmp_ne_u16_e32 vcc_lo, 0, v3
	v_cndmask_b32_e64 v3, 0, 1.0, vcc_lo
	s_branch .LBB127_748
.LBB127_747:
	s_mov_b32 s35, -1
                                        ; implicit-def: $vgpr3
.LBB127_748:
	s_mov_b32 s36, 0
.LBB127_749:
	s_delay_alu instid0(SALU_CYCLE_1)
	s_and_b32 vcc_lo, exec_lo, s36
	s_cbranch_vccz .LBB127_798
; %bb.750:
	s_and_b32 s0, 0xffff, s0
	s_delay_alu instid0(SALU_CYCLE_1)
	s_cmp_lt_i32 s0, 5
	s_cbranch_scc1 .LBB127_755
; %bb.751:
	s_cmp_lt_i32 s0, 8
	s_cbranch_scc1 .LBB127_756
; %bb.752:
	;; [unrolled: 3-line block ×3, first 2 shown]
	s_cmp_gt_i32 s0, 9
	s_cbranch_scc0 .LBB127_758
; %bb.754:
	global_load_b64 v[8:9], v[6:7], off
	s_mov_b32 s36, 0
	s_wait_loadcnt 0x0
	v_cvt_f32_f64_e32 v3, v[8:9]
	s_branch .LBB127_759
.LBB127_755:
	s_mov_b32 s36, -1
                                        ; implicit-def: $vgpr3
	s_branch .LBB127_777
.LBB127_756:
	s_mov_b32 s36, -1
                                        ; implicit-def: $vgpr3
	s_branch .LBB127_765
.LBB127_757:
	s_mov_b32 s36, -1
                                        ; implicit-def: $vgpr3
	s_branch .LBB127_762
.LBB127_758:
	s_mov_b32 s36, -1
                                        ; implicit-def: $vgpr3
.LBB127_759:
	s_delay_alu instid0(SALU_CYCLE_1)
	s_and_not1_b32 vcc_lo, exec_lo, s36
	s_cbranch_vccnz .LBB127_761
; %bb.760:
	global_load_b32 v3, v[6:7], off
.LBB127_761:
	s_mov_b32 s36, 0
.LBB127_762:
	s_delay_alu instid0(SALU_CYCLE_1)
	s_and_not1_b32 vcc_lo, exec_lo, s36
	s_cbranch_vccnz .LBB127_764
; %bb.763:
	s_wait_loadcnt 0x0
	global_load_b32 v3, v[6:7], off
	s_wait_loadcnt 0x0
	v_cvt_f32_f16_e32 v3, v3
.LBB127_764:
	s_mov_b32 s36, 0
.LBB127_765:
	s_delay_alu instid0(SALU_CYCLE_1)
	s_and_not1_b32 vcc_lo, exec_lo, s36
	s_cbranch_vccnz .LBB127_776
; %bb.766:
	s_cmp_lt_i32 s0, 6
	s_cbranch_scc1 .LBB127_769
; %bb.767:
	s_cmp_gt_i32 s0, 6
	s_cbranch_scc0 .LBB127_770
; %bb.768:
	global_load_b64 v[8:9], v[6:7], off
	s_mov_b32 s36, 0
	s_wait_loadcnt 0x0
	v_cvt_f32_f64_e32 v3, v[8:9]
	s_branch .LBB127_771
.LBB127_769:
	s_mov_b32 s36, -1
                                        ; implicit-def: $vgpr3
	s_branch .LBB127_774
.LBB127_770:
	s_mov_b32 s36, -1
                                        ; implicit-def: $vgpr3
.LBB127_771:
	s_delay_alu instid0(SALU_CYCLE_1)
	s_and_not1_b32 vcc_lo, exec_lo, s36
	s_cbranch_vccnz .LBB127_773
; %bb.772:
	s_wait_loadcnt 0x0
	global_load_b32 v3, v[6:7], off
.LBB127_773:
	s_mov_b32 s36, 0
.LBB127_774:
	s_delay_alu instid0(SALU_CYCLE_1)
	s_and_not1_b32 vcc_lo, exec_lo, s36
	s_cbranch_vccnz .LBB127_776
; %bb.775:
	s_wait_loadcnt 0x0
	global_load_u16 v3, v[6:7], off
	s_wait_loadcnt 0x0
	v_cvt_f32_f16_e32 v3, v3
.LBB127_776:
	s_mov_b32 s36, 0
.LBB127_777:
	s_delay_alu instid0(SALU_CYCLE_1)
	s_and_not1_b32 vcc_lo, exec_lo, s36
	s_cbranch_vccnz .LBB127_797
; %bb.778:
	s_cmp_lt_i32 s0, 2
	s_cbranch_scc1 .LBB127_782
; %bb.779:
	s_cmp_lt_i32 s0, 3
	s_cbranch_scc1 .LBB127_783
; %bb.780:
	s_cmp_gt_i32 s0, 3
	s_cbranch_scc0 .LBB127_784
; %bb.781:
	global_load_b64 v[8:9], v[6:7], off
	s_mov_b32 s36, 0
	s_wait_loadcnt 0x0
	v_xor_b32_e32 v3, v8, v9
	v_cls_i32_e32 v5, v9
	s_delay_alu instid0(VALU_DEP_2) | instskip(NEXT) | instid1(VALU_DEP_1)
	v_ashrrev_i32_e32 v3, 31, v3
	v_add_nc_u32_e32 v3, 32, v3
	s_delay_alu instid0(VALU_DEP_1) | instskip(NEXT) | instid1(VALU_DEP_1)
	v_add_min_u32_e64 v3, v5, -1, v3
	v_lshlrev_b64_e32 v[8:9], v3, v[8:9]
	v_sub_nc_u32_e32 v3, 32, v3
	s_delay_alu instid0(VALU_DEP_2) | instskip(NEXT) | instid1(VALU_DEP_1)
	v_min_u32_e32 v5, 1, v8
	v_or_b32_e32 v5, v9, v5
	s_delay_alu instid0(VALU_DEP_1) | instskip(NEXT) | instid1(VALU_DEP_1)
	v_cvt_f32_i32_e32 v5, v5
	v_ldexp_f32 v3, v5, v3
	s_branch .LBB127_785
.LBB127_782:
	s_mov_b32 s36, -1
                                        ; implicit-def: $vgpr3
	s_branch .LBB127_791
.LBB127_783:
	s_mov_b32 s36, -1
                                        ; implicit-def: $vgpr3
	s_branch .LBB127_788
.LBB127_784:
	s_mov_b32 s36, -1
                                        ; implicit-def: $vgpr3
.LBB127_785:
	s_delay_alu instid0(SALU_CYCLE_1)
	s_and_not1_b32 vcc_lo, exec_lo, s36
	s_cbranch_vccnz .LBB127_787
; %bb.786:
	s_wait_loadcnt 0x0
	global_load_b32 v3, v[6:7], off
	s_wait_loadcnt 0x0
	v_cvt_f32_i32_e32 v3, v3
.LBB127_787:
	s_mov_b32 s36, 0
.LBB127_788:
	s_delay_alu instid0(SALU_CYCLE_1)
	s_and_not1_b32 vcc_lo, exec_lo, s36
	s_cbranch_vccnz .LBB127_790
; %bb.789:
	s_wait_loadcnt 0x0
	global_load_i16 v3, v[6:7], off
	s_wait_loadcnt 0x0
	v_cvt_f32_i32_e32 v3, v3
.LBB127_790:
	s_mov_b32 s36, 0
.LBB127_791:
	s_delay_alu instid0(SALU_CYCLE_1)
	s_and_not1_b32 vcc_lo, exec_lo, s36
	s_cbranch_vccnz .LBB127_797
; %bb.792:
	s_cmp_gt_i32 s0, 0
	s_mov_b32 s0, 0
	s_cbranch_scc0 .LBB127_794
; %bb.793:
	s_wait_loadcnt 0x0
	global_load_i8 v3, v[6:7], off
	s_wait_loadcnt 0x0
	v_cvt_f32_i32_e32 v3, v3
	s_branch .LBB127_795
.LBB127_794:
	s_mov_b32 s0, -1
                                        ; implicit-def: $vgpr3
.LBB127_795:
	s_delay_alu instid0(SALU_CYCLE_1)
	s_and_not1_b32 vcc_lo, exec_lo, s0
	s_cbranch_vccnz .LBB127_797
; %bb.796:
	s_wait_loadcnt 0x0
	global_load_u8 v3, v[6:7], off
	s_wait_loadcnt 0x0
	v_cvt_f32_ubyte0_e32 v3, v3
.LBB127_797:
	s_mov_b32 s37, -1
.LBB127_798:
	s_delay_alu instid0(SALU_CYCLE_1)
	s_and_not1_b32 vcc_lo, exec_lo, s37
	s_cbranch_vccnz .LBB127_806
; %bb.799:
	v_mov_b32_e32 v5, 0
	s_and_b32 s0, 0xffff, s21
	s_delay_alu instid0(SALU_CYCLE_1) | instskip(NEXT) | instid1(VALU_DEP_1)
	s_cmp_lt_i32 s0, 11
	v_add_nc_u64_e32 v[4:5], s[10:11], v[4:5]
	s_cbranch_scc1 .LBB127_807
; %bb.800:
	s_cmp_gt_i32 s0, 25
	s_cbranch_scc0 .LBB127_808
; %bb.801:
	s_cmp_gt_i32 s0, 28
	s_cbranch_scc0 .LBB127_809
	;; [unrolled: 3-line block ×4, first 2 shown]
; %bb.804:
	s_cmp_eq_u32 s0, 46
	s_mov_b32 s52, 0
	s_cbranch_scc0 .LBB127_814
; %bb.805:
	global_load_b32 v6, v[4:5], off
	s_mov_b32 s37, -1
	s_mov_b32 s36, 0
	s_wait_loadcnt 0x0
	v_lshlrev_b32_e32 v6, 16, v6
	s_branch .LBB127_816
.LBB127_806:
	s_mov_b32 s37, 0
	s_mov_b32 s0, s45
	;; [unrolled: 1-line block ×3, first 2 shown]
	s_branch .LBB127_1055
.LBB127_807:
	s_mov_b32 s52, -1
	s_mov_b32 s37, 0
	s_mov_b32 s36, s48
                                        ; implicit-def: $vgpr6
	s_branch .LBB127_881
.LBB127_808:
	s_mov_b32 s52, -1
	s_mov_b32 s37, 0
	s_mov_b32 s36, s48
                                        ; implicit-def: $vgpr6
	s_branch .LBB127_845
.LBB127_809:
	s_mov_b32 s52, -1
	s_mov_b32 s37, 0
	s_mov_b32 s36, s48
                                        ; implicit-def: $vgpr6
	s_branch .LBB127_826
.LBB127_810:
	s_mov_b32 s52, -1
	s_mov_b32 s37, 0
	s_mov_b32 s36, s48
                                        ; implicit-def: $vgpr6
	s_branch .LBB127_821
.LBB127_811:
	s_mov_b32 s52, -1
	s_mov_b32 s37, 0
	s_mov_b32 s36, s48
	s_branch .LBB127_815
.LBB127_812:
	s_and_not1_saveexec_b32 s50, s50
	s_cbranch_execz .LBB127_445
.LBB127_813:
	v_add_f32_e64 v1, 0x42800000, |v4|
	s_and_not1_b32 s49, s49, exec_lo
	s_delay_alu instid0(VALU_DEP_1) | instskip(NEXT) | instid1(VALU_DEP_1)
	v_and_b32_e32 v1, 0xff, v1
	v_cmp_ne_u32_e32 vcc_lo, 0, v1
	s_and_b32 s52, vcc_lo, exec_lo
	s_delay_alu instid0(SALU_CYCLE_1)
	s_or_b32 s49, s49, s52
	s_or_b32 exec_lo, exec_lo, s50
	v_mov_b32_e32 v5, 0
	s_and_saveexec_b32 s50, s49
	s_cbranch_execnz .LBB127_446
	s_branch .LBB127_447
.LBB127_814:
	s_mov_b32 s36, -1
	s_mov_b32 s37, 0
.LBB127_815:
                                        ; implicit-def: $vgpr6
.LBB127_816:
	s_and_b32 vcc_lo, exec_lo, s52
	s_cbranch_vccz .LBB127_820
; %bb.817:
	s_cmp_eq_u32 s0, 44
	s_cbranch_scc0 .LBB127_819
; %bb.818:
	global_load_u8 v6, v[4:5], off
	s_mov_b32 s36, 0
	s_mov_b32 s37, -1
	s_wait_loadcnt 0x0
	v_lshlrev_b32_e32 v7, 23, v6
	v_cmp_ne_u32_e32 vcc_lo, 0xff, v6
	s_delay_alu instid0(VALU_DEP_2) | instskip(SKIP_1) | instid1(VALU_DEP_2)
	v_cndmask_b32_e32 v7, 0x7f800001, v7, vcc_lo
	v_cmp_ne_u32_e32 vcc_lo, 0, v6
	v_cndmask_b32_e32 v6, 0x400000, v7, vcc_lo
	s_branch .LBB127_820
.LBB127_819:
	s_mov_b32 s36, -1
                                        ; implicit-def: $vgpr6
.LBB127_820:
	s_mov_b32 s52, 0
.LBB127_821:
	s_delay_alu instid0(SALU_CYCLE_1)
	s_and_b32 vcc_lo, exec_lo, s52
	s_cbranch_vccz .LBB127_825
; %bb.822:
	s_cmp_eq_u32 s0, 29
	s_cbranch_scc0 .LBB127_824
; %bb.823:
	global_load_b64 v[6:7], v[4:5], off
	s_mov_b32 s37, -1
	s_mov_b32 s36, 0
	s_mov_b32 s52, 0
	s_wait_loadcnt 0x0
	v_clz_i32_u32_e32 v8, v7
	s_delay_alu instid0(VALU_DEP_1) | instskip(NEXT) | instid1(VALU_DEP_1)
	v_min_u32_e32 v8, 32, v8
	v_lshlrev_b64_e32 v[6:7], v8, v[6:7]
	s_delay_alu instid0(VALU_DEP_1) | instskip(NEXT) | instid1(VALU_DEP_1)
	v_min_u32_e32 v6, 1, v6
	v_dual_sub_nc_u32 v7, 32, v8 :: v_dual_bitop2_b32 v6, v7, v6 bitop3:0x54
	s_delay_alu instid0(VALU_DEP_1) | instskip(NEXT) | instid1(VALU_DEP_1)
	v_cvt_f32_u32_e32 v6, v6
	v_ldexp_f32 v6, v6, v7
	s_branch .LBB127_826
.LBB127_824:
	s_mov_b32 s36, -1
                                        ; implicit-def: $vgpr6
.LBB127_825:
	s_mov_b32 s52, 0
.LBB127_826:
	s_delay_alu instid0(SALU_CYCLE_1)
	s_and_b32 vcc_lo, exec_lo, s52
	s_cbranch_vccz .LBB127_844
; %bb.827:
	s_cmp_lt_i32 s0, 27
	s_cbranch_scc1 .LBB127_830
; %bb.828:
	s_cmp_gt_i32 s0, 27
	s_cbranch_scc0 .LBB127_831
; %bb.829:
	global_load_b32 v6, v[4:5], off
	s_mov_b32 s37, 0
	s_wait_loadcnt 0x0
	v_cvt_f32_u32_e32 v6, v6
	s_branch .LBB127_832
.LBB127_830:
	s_mov_b32 s37, -1
                                        ; implicit-def: $vgpr6
	s_branch .LBB127_835
.LBB127_831:
	s_mov_b32 s37, -1
                                        ; implicit-def: $vgpr6
.LBB127_832:
	s_delay_alu instid0(SALU_CYCLE_1)
	s_and_not1_b32 vcc_lo, exec_lo, s37
	s_cbranch_vccnz .LBB127_834
; %bb.833:
	global_load_u16 v6, v[4:5], off
	s_wait_loadcnt 0x0
	v_cvt_f32_u32_e32 v6, v6
.LBB127_834:
	s_mov_b32 s37, 0
.LBB127_835:
	s_delay_alu instid0(SALU_CYCLE_1)
	s_and_not1_b32 vcc_lo, exec_lo, s37
	s_cbranch_vccnz .LBB127_843
; %bb.836:
	global_load_u8 v7, v[4:5], off
	s_mov_b32 s37, 0
	s_mov_b32 s52, exec_lo
	s_wait_loadcnt 0x0
	v_cmpx_lt_i16_e32 0x7f, v7
	s_xor_b32 s52, exec_lo, s52
	s_cbranch_execz .LBB127_857
; %bb.837:
	s_mov_b32 s37, -1
	s_mov_b32 s53, exec_lo
	v_cmpx_eq_u16_e32 0x80, v7
; %bb.838:
	s_xor_b32 s37, exec_lo, -1
; %bb.839:
	s_or_b32 exec_lo, exec_lo, s53
	s_delay_alu instid0(SALU_CYCLE_1)
	s_and_b32 s37, s37, exec_lo
	s_or_saveexec_b32 s52, s52
	v_mov_b32_e32 v6, 0x7f800001
	s_xor_b32 exec_lo, exec_lo, s52
	s_cbranch_execnz .LBB127_858
.LBB127_840:
	s_or_b32 exec_lo, exec_lo, s52
	s_and_saveexec_b32 s52, s37
	s_cbranch_execz .LBB127_842
.LBB127_841:
	v_and_b32_e32 v6, 0xffff, v7
	s_delay_alu instid0(VALU_DEP_1) | instskip(SKIP_1) | instid1(VALU_DEP_2)
	v_and_b32_e32 v8, 7, v6
	v_bfe_u32 v11, v6, 3, 4
	v_clz_i32_u32_e32 v9, v8
	s_delay_alu instid0(VALU_DEP_2) | instskip(NEXT) | instid1(VALU_DEP_2)
	v_cmp_eq_u32_e32 vcc_lo, 0, v11
	v_min_u32_e32 v9, 32, v9
	s_delay_alu instid0(VALU_DEP_1) | instskip(NEXT) | instid1(VALU_DEP_1)
	v_subrev_nc_u32_e32 v10, 28, v9
	v_dual_lshlrev_b32 v6, v10, v6 :: v_dual_sub_nc_u32 v9, 29, v9
	s_delay_alu instid0(VALU_DEP_1) | instskip(NEXT) | instid1(VALU_DEP_1)
	v_dual_lshlrev_b32 v7, 24, v7 :: v_dual_bitop2_b32 v6, 7, v6 bitop3:0x40
	v_dual_cndmask_b32 v9, v11, v9 :: v_dual_cndmask_b32 v6, v8, v6
	s_delay_alu instid0(VALU_DEP_2) | instskip(NEXT) | instid1(VALU_DEP_2)
	v_and_b32_e32 v7, 0x80000000, v7
	v_lshl_add_u32 v8, v9, 23, 0x3b800000
	s_delay_alu instid0(VALU_DEP_3) | instskip(NEXT) | instid1(VALU_DEP_1)
	v_lshlrev_b32_e32 v6, 20, v6
	v_or3_b32 v6, v7, v8, v6
.LBB127_842:
	s_or_b32 exec_lo, exec_lo, s52
.LBB127_843:
	s_mov_b32 s37, -1
.LBB127_844:
	s_mov_b32 s52, 0
.LBB127_845:
	s_delay_alu instid0(SALU_CYCLE_1)
	s_and_b32 vcc_lo, exec_lo, s52
	s_cbranch_vccz .LBB127_880
; %bb.846:
	s_cmp_gt_i32 s0, 22
	s_cbranch_scc0 .LBB127_856
; %bb.847:
	s_cmp_lt_i32 s0, 24
	s_cbranch_scc1 .LBB127_859
; %bb.848:
	s_cmp_gt_i32 s0, 24
	s_cbranch_scc0 .LBB127_860
; %bb.849:
	global_load_u8 v7, v[4:5], off
	s_mov_b32 s37, 0
	s_mov_b32 s52, exec_lo
	s_wait_loadcnt 0x0
	v_cmpx_lt_i16_e32 0x7f, v7
	s_xor_b32 s52, exec_lo, s52
	s_cbranch_execz .LBB127_872
; %bb.850:
	s_mov_b32 s37, -1
	s_mov_b32 s53, exec_lo
	v_cmpx_eq_u16_e32 0x80, v7
; %bb.851:
	s_xor_b32 s37, exec_lo, -1
; %bb.852:
	s_or_b32 exec_lo, exec_lo, s53
	s_delay_alu instid0(SALU_CYCLE_1)
	s_and_b32 s37, s37, exec_lo
	s_or_saveexec_b32 s52, s52
	v_mov_b32_e32 v6, 0x7f800001
	s_xor_b32 exec_lo, exec_lo, s52
	s_cbranch_execnz .LBB127_873
.LBB127_853:
	s_or_b32 exec_lo, exec_lo, s52
	s_and_saveexec_b32 s52, s37
	s_cbranch_execz .LBB127_855
.LBB127_854:
	v_and_b32_e32 v6, 0xffff, v7
	s_delay_alu instid0(VALU_DEP_1) | instskip(SKIP_1) | instid1(VALU_DEP_2)
	v_and_b32_e32 v8, 3, v6
	v_bfe_u32 v11, v6, 2, 5
	v_clz_i32_u32_e32 v9, v8
	s_delay_alu instid0(VALU_DEP_2) | instskip(NEXT) | instid1(VALU_DEP_2)
	v_cmp_eq_u32_e32 vcc_lo, 0, v11
	v_min_u32_e32 v9, 32, v9
	s_delay_alu instid0(VALU_DEP_1) | instskip(NEXT) | instid1(VALU_DEP_1)
	v_subrev_nc_u32_e32 v10, 29, v9
	v_dual_lshlrev_b32 v6, v10, v6 :: v_dual_sub_nc_u32 v9, 30, v9
	s_delay_alu instid0(VALU_DEP_1) | instskip(NEXT) | instid1(VALU_DEP_1)
	v_dual_lshlrev_b32 v7, 24, v7 :: v_dual_bitop2_b32 v6, 3, v6 bitop3:0x40
	v_dual_cndmask_b32 v9, v11, v9 :: v_dual_cndmask_b32 v6, v8, v6
	s_delay_alu instid0(VALU_DEP_2) | instskip(NEXT) | instid1(VALU_DEP_2)
	v_and_b32_e32 v7, 0x80000000, v7
	v_lshl_add_u32 v8, v9, 23, 0x37800000
	s_delay_alu instid0(VALU_DEP_3) | instskip(NEXT) | instid1(VALU_DEP_1)
	v_lshlrev_b32_e32 v6, 21, v6
	v_or3_b32 v6, v7, v8, v6
.LBB127_855:
	s_or_b32 exec_lo, exec_lo, s52
	s_mov_b32 s37, 0
	s_branch .LBB127_861
.LBB127_856:
	s_mov_b32 s52, -1
                                        ; implicit-def: $vgpr6
	s_branch .LBB127_867
.LBB127_857:
	s_or_saveexec_b32 s52, s52
	v_mov_b32_e32 v6, 0x7f800001
	s_xor_b32 exec_lo, exec_lo, s52
	s_cbranch_execz .LBB127_840
.LBB127_858:
	v_cmp_ne_u16_e32 vcc_lo, 0, v7
	v_mov_b32_e32 v6, 0
	s_and_not1_b32 s37, s37, exec_lo
	s_and_b32 s53, vcc_lo, exec_lo
	s_delay_alu instid0(SALU_CYCLE_1)
	s_or_b32 s37, s37, s53
	s_or_b32 exec_lo, exec_lo, s52
	s_and_saveexec_b32 s52, s37
	s_cbranch_execnz .LBB127_841
	s_branch .LBB127_842
.LBB127_859:
	s_mov_b32 s37, -1
                                        ; implicit-def: $vgpr6
	s_branch .LBB127_864
.LBB127_860:
	s_mov_b32 s37, -1
                                        ; implicit-def: $vgpr6
.LBB127_861:
	s_delay_alu instid0(SALU_CYCLE_1)
	s_and_b32 vcc_lo, exec_lo, s37
	s_cbranch_vccz .LBB127_863
; %bb.862:
	global_load_u8 v6, v[4:5], off
	s_wait_loadcnt 0x0
	v_lshlrev_b32_e32 v6, 24, v6
	s_delay_alu instid0(VALU_DEP_1) | instskip(NEXT) | instid1(VALU_DEP_1)
	v_and_b32_e32 v7, 0x7f000000, v6
	v_clz_i32_u32_e32 v8, v7
	v_cmp_ne_u32_e32 vcc_lo, 0, v7
	v_add_nc_u32_e32 v10, 0x1000000, v7
	s_delay_alu instid0(VALU_DEP_3) | instskip(NEXT) | instid1(VALU_DEP_1)
	v_min_u32_e32 v8, 32, v8
	v_sub_nc_u32_e64 v8, v8, 4 clamp
	s_delay_alu instid0(VALU_DEP_1) | instskip(NEXT) | instid1(VALU_DEP_1)
	v_dual_lshlrev_b32 v9, v8, v7 :: v_dual_lshlrev_b32 v8, 23, v8
	v_lshrrev_b32_e32 v9, 4, v9
	s_delay_alu instid0(VALU_DEP_1) | instskip(NEXT) | instid1(VALU_DEP_1)
	v_dual_sub_nc_u32 v8, v9, v8 :: v_dual_ashrrev_i32 v9, 8, v10
	v_add_nc_u32_e32 v8, 0x3c000000, v8
	s_delay_alu instid0(VALU_DEP_1) | instskip(NEXT) | instid1(VALU_DEP_1)
	v_and_or_b32 v8, 0x7f800000, v9, v8
	v_cndmask_b32_e32 v7, 0, v8, vcc_lo
	s_delay_alu instid0(VALU_DEP_1)
	v_and_or_b32 v6, 0x80000000, v6, v7
.LBB127_863:
	s_mov_b32 s37, 0
.LBB127_864:
	s_delay_alu instid0(SALU_CYCLE_1)
	s_and_not1_b32 vcc_lo, exec_lo, s37
	s_cbranch_vccnz .LBB127_866
; %bb.865:
	global_load_u8 v6, v[4:5], off
	s_wait_loadcnt 0x0
	v_lshlrev_b32_e32 v7, 25, v6
	v_lshlrev_b16 v6, 8, v6
	s_delay_alu instid0(VALU_DEP_1) | instskip(SKIP_1) | instid1(VALU_DEP_2)
	v_and_or_b32 v9, 0x7f00, v6, 0.5
	v_bfe_i32 v6, v6, 0, 16
	v_dual_add_f32 v9, -0.5, v9 :: v_dual_lshrrev_b32 v8, 4, v7
	v_cmp_gt_u32_e32 vcc_lo, 0x8000000, v7
	s_delay_alu instid0(VALU_DEP_2) | instskip(NEXT) | instid1(VALU_DEP_1)
	v_or_b32_e32 v8, 0x70000000, v8
	v_mul_f32_e32 v8, 0x7800000, v8
	s_delay_alu instid0(VALU_DEP_1) | instskip(NEXT) | instid1(VALU_DEP_1)
	v_cndmask_b32_e32 v7, v8, v9, vcc_lo
	v_and_or_b32 v6, 0x80000000, v6, v7
.LBB127_866:
	s_mov_b32 s52, 0
	s_mov_b32 s37, -1
.LBB127_867:
	s_and_not1_b32 vcc_lo, exec_lo, s52
	s_cbranch_vccnz .LBB127_880
; %bb.868:
	s_cmp_gt_i32 s0, 14
	s_cbranch_scc0 .LBB127_871
; %bb.869:
	s_cmp_eq_u32 s0, 15
	s_cbranch_scc0 .LBB127_874
; %bb.870:
	global_load_u16 v6, v[4:5], off
	s_mov_b32 s37, -1
	s_mov_b32 s36, 0
	s_wait_loadcnt 0x0
	v_lshlrev_b32_e32 v6, 16, v6
	s_branch .LBB127_875
.LBB127_871:
	s_mov_b32 s52, -1
                                        ; implicit-def: $vgpr6
	s_branch .LBB127_876
.LBB127_872:
	s_or_saveexec_b32 s52, s52
	v_mov_b32_e32 v6, 0x7f800001
	s_xor_b32 exec_lo, exec_lo, s52
	s_cbranch_execz .LBB127_853
.LBB127_873:
	v_cmp_ne_u16_e32 vcc_lo, 0, v7
	v_mov_b32_e32 v6, 0
	s_and_not1_b32 s37, s37, exec_lo
	s_and_b32 s53, vcc_lo, exec_lo
	s_delay_alu instid0(SALU_CYCLE_1)
	s_or_b32 s37, s37, s53
	s_or_b32 exec_lo, exec_lo, s52
	s_and_saveexec_b32 s52, s37
	s_cbranch_execnz .LBB127_854
	s_branch .LBB127_855
.LBB127_874:
	s_mov_b32 s36, -1
                                        ; implicit-def: $vgpr6
.LBB127_875:
	s_mov_b32 s52, 0
.LBB127_876:
	s_delay_alu instid0(SALU_CYCLE_1)
	s_and_b32 vcc_lo, exec_lo, s52
	s_cbranch_vccz .LBB127_880
; %bb.877:
	s_cmp_eq_u32 s0, 11
	s_cbranch_scc0 .LBB127_879
; %bb.878:
	global_load_u8 v6, v[4:5], off
	s_mov_b32 s36, 0
	s_mov_b32 s37, -1
	s_wait_loadcnt 0x0
	v_cmp_ne_u16_e32 vcc_lo, 0, v6
	v_cndmask_b32_e64 v6, 0, 1.0, vcc_lo
	s_branch .LBB127_880
.LBB127_879:
	s_mov_b32 s36, -1
                                        ; implicit-def: $vgpr6
.LBB127_880:
	s_mov_b32 s52, 0
.LBB127_881:
	s_delay_alu instid0(SALU_CYCLE_1)
	s_and_b32 vcc_lo, exec_lo, s52
	s_cbranch_vccz .LBB127_930
; %bb.882:
	s_cmp_lt_i32 s0, 5
	s_cbranch_scc1 .LBB127_887
; %bb.883:
	s_cmp_lt_i32 s0, 8
	s_cbranch_scc1 .LBB127_888
	;; [unrolled: 3-line block ×3, first 2 shown]
; %bb.885:
	s_cmp_gt_i32 s0, 9
	s_cbranch_scc0 .LBB127_890
; %bb.886:
	global_load_b64 v[6:7], v[4:5], off
	s_mov_b32 s37, 0
	s_wait_loadcnt 0x0
	v_cvt_f32_f64_e32 v6, v[6:7]
	s_branch .LBB127_891
.LBB127_887:
	s_mov_b32 s37, -1
                                        ; implicit-def: $vgpr6
	s_branch .LBB127_909
.LBB127_888:
	s_mov_b32 s37, -1
                                        ; implicit-def: $vgpr6
	s_branch .LBB127_897
.LBB127_889:
	s_mov_b32 s37, -1
                                        ; implicit-def: $vgpr6
	s_branch .LBB127_894
.LBB127_890:
	s_mov_b32 s37, -1
                                        ; implicit-def: $vgpr6
.LBB127_891:
	s_delay_alu instid0(SALU_CYCLE_1)
	s_and_not1_b32 vcc_lo, exec_lo, s37
	s_cbranch_vccnz .LBB127_893
; %bb.892:
	global_load_b32 v6, v[4:5], off
.LBB127_893:
	s_mov_b32 s37, 0
.LBB127_894:
	s_delay_alu instid0(SALU_CYCLE_1)
	s_and_not1_b32 vcc_lo, exec_lo, s37
	s_cbranch_vccnz .LBB127_896
; %bb.895:
	s_wait_loadcnt 0x0
	global_load_b32 v6, v[4:5], off
	s_wait_loadcnt 0x0
	v_cvt_f32_f16_e32 v6, v6
.LBB127_896:
	s_mov_b32 s37, 0
.LBB127_897:
	s_delay_alu instid0(SALU_CYCLE_1)
	s_and_not1_b32 vcc_lo, exec_lo, s37
	s_cbranch_vccnz .LBB127_908
; %bb.898:
	s_cmp_lt_i32 s0, 6
	s_cbranch_scc1 .LBB127_901
; %bb.899:
	s_cmp_gt_i32 s0, 6
	s_cbranch_scc0 .LBB127_902
; %bb.900:
	s_wait_loadcnt 0x0
	global_load_b64 v[6:7], v[4:5], off
	s_mov_b32 s37, 0
	s_wait_loadcnt 0x0
	v_cvt_f32_f64_e32 v6, v[6:7]
	s_branch .LBB127_903
.LBB127_901:
	s_mov_b32 s37, -1
                                        ; implicit-def: $vgpr6
	s_branch .LBB127_906
.LBB127_902:
	s_mov_b32 s37, -1
                                        ; implicit-def: $vgpr6
.LBB127_903:
	s_delay_alu instid0(SALU_CYCLE_1)
	s_and_not1_b32 vcc_lo, exec_lo, s37
	s_cbranch_vccnz .LBB127_905
; %bb.904:
	s_wait_loadcnt 0x0
	global_load_b32 v6, v[4:5], off
.LBB127_905:
	s_mov_b32 s37, 0
.LBB127_906:
	s_delay_alu instid0(SALU_CYCLE_1)
	s_and_not1_b32 vcc_lo, exec_lo, s37
	s_cbranch_vccnz .LBB127_908
; %bb.907:
	s_wait_loadcnt 0x0
	global_load_u16 v6, v[4:5], off
	s_wait_loadcnt 0x0
	v_cvt_f32_f16_e32 v6, v6
.LBB127_908:
	s_mov_b32 s37, 0
.LBB127_909:
	s_delay_alu instid0(SALU_CYCLE_1)
	s_and_not1_b32 vcc_lo, exec_lo, s37
	s_cbranch_vccnz .LBB127_929
; %bb.910:
	s_cmp_lt_i32 s0, 2
	s_cbranch_scc1 .LBB127_914
; %bb.911:
	s_cmp_lt_i32 s0, 3
	s_cbranch_scc1 .LBB127_915
; %bb.912:
	s_cmp_gt_i32 s0, 3
	s_cbranch_scc0 .LBB127_916
; %bb.913:
	s_wait_loadcnt 0x0
	global_load_b64 v[6:7], v[4:5], off
	s_mov_b32 s37, 0
	s_wait_loadcnt 0x0
	v_xor_b32_e32 v8, v6, v7
	v_cls_i32_e32 v9, v7
	s_delay_alu instid0(VALU_DEP_2) | instskip(NEXT) | instid1(VALU_DEP_1)
	v_ashrrev_i32_e32 v8, 31, v8
	v_add_nc_u32_e32 v8, 32, v8
	s_delay_alu instid0(VALU_DEP_1) | instskip(NEXT) | instid1(VALU_DEP_1)
	v_add_min_u32_e64 v8, v9, -1, v8
	v_lshlrev_b64_e32 v[6:7], v8, v[6:7]
	s_delay_alu instid0(VALU_DEP_1) | instskip(NEXT) | instid1(VALU_DEP_1)
	v_min_u32_e32 v6, 1, v6
	v_dual_sub_nc_u32 v7, 32, v8 :: v_dual_bitop2_b32 v6, v7, v6 bitop3:0x54
	s_delay_alu instid0(VALU_DEP_1) | instskip(NEXT) | instid1(VALU_DEP_1)
	v_cvt_f32_i32_e32 v6, v6
	v_ldexp_f32 v6, v6, v7
	s_branch .LBB127_917
.LBB127_914:
	s_mov_b32 s37, -1
                                        ; implicit-def: $vgpr6
	s_branch .LBB127_923
.LBB127_915:
	s_mov_b32 s37, -1
                                        ; implicit-def: $vgpr6
	s_branch .LBB127_920
.LBB127_916:
	s_mov_b32 s37, -1
                                        ; implicit-def: $vgpr6
.LBB127_917:
	s_delay_alu instid0(SALU_CYCLE_1)
	s_and_not1_b32 vcc_lo, exec_lo, s37
	s_cbranch_vccnz .LBB127_919
; %bb.918:
	s_wait_loadcnt 0x0
	global_load_b32 v6, v[4:5], off
	s_wait_loadcnt 0x0
	v_cvt_f32_i32_e32 v6, v6
.LBB127_919:
	s_mov_b32 s37, 0
.LBB127_920:
	s_delay_alu instid0(SALU_CYCLE_1)
	s_and_not1_b32 vcc_lo, exec_lo, s37
	s_cbranch_vccnz .LBB127_922
; %bb.921:
	s_wait_loadcnt 0x0
	global_load_i16 v6, v[4:5], off
	s_wait_loadcnt 0x0
	v_cvt_f32_i32_e32 v6, v6
.LBB127_922:
	s_mov_b32 s37, 0
.LBB127_923:
	s_delay_alu instid0(SALU_CYCLE_1)
	s_and_not1_b32 vcc_lo, exec_lo, s37
	s_cbranch_vccnz .LBB127_929
; %bb.924:
	s_cmp_gt_i32 s0, 0
	s_mov_b32 s0, 0
	s_cbranch_scc0 .LBB127_926
; %bb.925:
	s_wait_loadcnt 0x0
	global_load_i8 v6, v[4:5], off
	s_wait_loadcnt 0x0
	v_cvt_f32_i32_e32 v6, v6
	s_branch .LBB127_927
.LBB127_926:
	s_mov_b32 s0, -1
                                        ; implicit-def: $vgpr6
.LBB127_927:
	s_delay_alu instid0(SALU_CYCLE_1)
	s_and_not1_b32 vcc_lo, exec_lo, s0
	s_cbranch_vccnz .LBB127_929
; %bb.928:
	global_load_u8 v4, v[4:5], off
	s_wait_loadcnt 0x0
	v_cvt_f32_ubyte0_e32 v6, v4
.LBB127_929:
	s_mov_b32 s37, -1
.LBB127_930:
	s_delay_alu instid0(SALU_CYCLE_1)
	s_and_not1_b32 vcc_lo, exec_lo, s37
	s_cbranch_vccnz .LBB127_938
; %bb.931:
	s_wait_loadcnt 0x0
	s_delay_alu instid0(VALU_DEP_3) | instskip(SKIP_1) | instid1(SALU_CYCLE_1)
	v_dual_mul_f32 v4, s25, v3 :: v_dual_mov_b32 v3, 0
	s_and_b32 s37, s26, 0xff
	s_cmp_lt_i32 s37, 11
	s_delay_alu instid0(VALU_DEP_1) | instskip(NEXT) | instid1(VALU_DEP_2)
	v_mul_f32_e32 v4, v4, v6
	v_add_nc_u64_e32 v[2:3], s[4:5], v[2:3]
	s_delay_alu instid0(VALU_DEP_2)
	v_fmac_f32_e32 v4, s24, v1
	s_cbranch_scc1 .LBB127_939
; %bb.932:
	s_and_b32 s52, 0xffff, s37
	s_delay_alu instid0(SALU_CYCLE_1)
	s_cmp_gt_i32 s52, 25
	s_cbranch_scc0 .LBB127_940
; %bb.933:
	s_cmp_gt_i32 s52, 28
	s_cbranch_scc0 .LBB127_941
; %bb.934:
	;; [unrolled: 3-line block ×4, first 2 shown]
	s_mov_b32 s54, 0
	s_mov_b32 s0, -1
	s_cmp_eq_u32 s52, 46
	s_mov_b32 s53, 0
	s_cbranch_scc0 .LBB127_944
; %bb.937:
	v_bfe_u32 v1, v4, 16, 1
	v_cmp_o_f32_e32 vcc_lo, v4, v4
	s_mov_b32 s53, -1
	s_mov_b32 s0, 0
	s_delay_alu instid0(VALU_DEP_2) | instskip(NEXT) | instid1(VALU_DEP_1)
	v_add3_u32 v1, v4, v1, 0x7fff
	v_lshrrev_b32_e32 v1, 16, v1
	s_delay_alu instid0(VALU_DEP_1)
	v_cndmask_b32_e32 v1, 0x7fc0, v1, vcc_lo
	global_store_b32 v[2:3], v1, off
	s_branch .LBB127_944
.LBB127_938:
	s_mov_b32 s37, 0
	s_mov_b32 s0, s45
	s_branch .LBB127_1055
.LBB127_939:
	s_mov_b32 s52, -1
	s_mov_b32 s53, 0
	s_mov_b32 s0, s45
	s_branch .LBB127_1013
.LBB127_940:
	s_mov_b32 s54, -1
	s_mov_b32 s53, 0
	s_mov_b32 s0, s45
	s_branch .LBB127_971
.LBB127_941:
	s_mov_b32 s54, -1
	s_mov_b32 s53, 0
	s_mov_b32 s0, s45
	s_branch .LBB127_954
.LBB127_942:
	s_mov_b32 s54, -1
	s_mov_b32 s53, 0
	s_mov_b32 s0, s45
	s_branch .LBB127_950
.LBB127_943:
	s_mov_b32 s54, -1
	s_mov_b32 s53, 0
	s_mov_b32 s0, s45
.LBB127_944:
	s_and_b32 vcc_lo, exec_lo, s54
	s_cbranch_vccz .LBB127_949
; %bb.945:
	s_cmp_eq_u32 s52, 44
	s_mov_b32 s0, -1
	s_cbranch_scc0 .LBB127_949
; %bb.946:
	v_bfe_u32 v5, v4, 23, 8
	s_wait_xcnt 0x0
	v_mov_b32_e32 v1, 0xff
	s_mov_b32 s53, exec_lo
	s_delay_alu instid0(VALU_DEP_2)
	v_cmpx_ne_u32_e32 0xff, v5
	s_cbranch_execz .LBB127_948
; %bb.947:
	v_and_b32_e32 v1, 0x400000, v4
	v_and_or_b32 v5, 0x3fffff, v4, v5
	s_delay_alu instid0(VALU_DEP_2) | instskip(NEXT) | instid1(VALU_DEP_2)
	v_cmp_ne_u32_e32 vcc_lo, 0, v1
	v_cmp_ne_u32_e64 s0, 0, v5
	v_lshrrev_b32_e32 v1, 23, v4
	s_and_b32 s0, vcc_lo, s0
	s_delay_alu instid0(SALU_CYCLE_1) | instskip(NEXT) | instid1(VALU_DEP_1)
	v_cndmask_b32_e64 v5, 0, 1, s0
	v_add_nc_u32_e32 v1, v1, v5
.LBB127_948:
	s_or_b32 exec_lo, exec_lo, s53
	s_mov_b32 s53, -1
	s_mov_b32 s0, 0
	global_store_b8 v[2:3], v1, off
.LBB127_949:
	s_mov_b32 s54, 0
.LBB127_950:
	s_delay_alu instid0(SALU_CYCLE_1)
	s_and_b32 vcc_lo, exec_lo, s54
	s_cbranch_vccz .LBB127_953
; %bb.951:
	s_cmp_eq_u32 s52, 29
	s_mov_b32 s0, -1
	s_cbranch_scc0 .LBB127_953
; %bb.952:
	s_wait_xcnt 0x0
	v_trunc_f32_e32 v1, v4
	s_mov_b32 s53, -1
	s_mov_b32 s0, 0
	s_mov_b32 s54, 0
	s_delay_alu instid0(VALU_DEP_1) | instskip(NEXT) | instid1(VALU_DEP_1)
	v_mul_f32_e32 v5, 0x2f800000, v1
	v_floor_f32_e32 v5, v5
	s_delay_alu instid0(VALU_DEP_1) | instskip(SKIP_1) | instid1(VALU_DEP_2)
	v_fmamk_f32 v1, v5, 0xcf800000, v1
	v_cvt_u32_f32_e32 v7, v5
	v_cvt_u32_f32_e32 v6, v1
	global_store_b64 v[2:3], v[6:7], off
	s_branch .LBB127_954
.LBB127_953:
	s_mov_b32 s54, 0
.LBB127_954:
	s_delay_alu instid0(SALU_CYCLE_1)
	s_and_b32 vcc_lo, exec_lo, s54
	s_cbranch_vccz .LBB127_970
; %bb.955:
	s_cmp_lt_i32 s52, 27
	s_mov_b32 s53, -1
	s_cbranch_scc1 .LBB127_961
; %bb.956:
	s_cmp_gt_i32 s52, 27
	s_cbranch_scc0 .LBB127_958
; %bb.957:
	s_wait_xcnt 0x0
	v_cvt_u32_f32_e32 v1, v4
	s_mov_b32 s53, 0
	global_store_b32 v[2:3], v1, off
.LBB127_958:
	s_and_not1_b32 vcc_lo, exec_lo, s53
	s_cbranch_vccnz .LBB127_960
; %bb.959:
	s_wait_xcnt 0x0
	v_cvt_u32_f32_e32 v1, v4
	global_store_b16 v[2:3], v1, off
.LBB127_960:
	s_mov_b32 s53, 0
.LBB127_961:
	s_delay_alu instid0(SALU_CYCLE_1)
	s_and_not1_b32 vcc_lo, exec_lo, s53
	s_cbranch_vccnz .LBB127_969
; %bb.962:
	s_wait_xcnt 0x0
	v_and_b32_e32 v1, 0x7fffffff, v4
	v_mov_b32_e32 v5, 0x80
	s_mov_b32 s53, exec_lo
	s_delay_alu instid0(VALU_DEP_2)
	v_cmpx_gt_u32_e32 0x43800000, v1
	s_cbranch_execz .LBB127_968
; %bb.963:
	v_cmp_lt_u32_e32 vcc_lo, 0x3bffffff, v1
	s_mov_b32 s54, 0
                                        ; implicit-def: $vgpr1
	s_and_saveexec_b32 s55, vcc_lo
	s_delay_alu instid0(SALU_CYCLE_1)
	s_xor_b32 s55, exec_lo, s55
	s_cbranch_execz .LBB127_1213
; %bb.964:
	v_bfe_u32 v1, v4, 20, 1
	s_mov_b32 s54, exec_lo
	s_delay_alu instid0(VALU_DEP_1) | instskip(NEXT) | instid1(VALU_DEP_1)
	v_add3_u32 v1, v4, v1, 0x487ffff
	v_lshrrev_b32_e32 v1, 20, v1
	s_and_not1_saveexec_b32 s55, s55
	s_cbranch_execnz .LBB127_1214
.LBB127_965:
	s_or_b32 exec_lo, exec_lo, s55
	v_mov_b32_e32 v5, 0
	s_and_saveexec_b32 s55, s54
.LBB127_966:
	v_lshrrev_b32_e32 v5, 24, v4
	s_delay_alu instid0(VALU_DEP_1)
	v_and_or_b32 v5, 0x80, v5, v1
.LBB127_967:
	s_or_b32 exec_lo, exec_lo, s55
.LBB127_968:
	s_delay_alu instid0(SALU_CYCLE_1)
	s_or_b32 exec_lo, exec_lo, s53
	global_store_b8 v[2:3], v5, off
.LBB127_969:
	s_mov_b32 s53, -1
.LBB127_970:
	s_mov_b32 s54, 0
.LBB127_971:
	s_delay_alu instid0(SALU_CYCLE_1)
	s_and_b32 vcc_lo, exec_lo, s54
	s_cbranch_vccz .LBB127_1012
; %bb.972:
	s_cmp_gt_i32 s52, 22
	s_mov_b32 s54, -1
	s_cbranch_scc0 .LBB127_1004
; %bb.973:
	s_cmp_lt_i32 s52, 24
	s_mov_b32 s53, -1
	s_cbranch_scc1 .LBB127_993
; %bb.974:
	s_cmp_gt_i32 s52, 24
	s_cbranch_scc0 .LBB127_982
; %bb.975:
	s_wait_xcnt 0x0
	v_and_b32_e32 v1, 0x7fffffff, v4
	v_mov_b32_e32 v5, 0x80
	s_mov_b32 s53, exec_lo
	s_delay_alu instid0(VALU_DEP_2)
	v_cmpx_gt_u32_e32 0x47800000, v1
	s_cbranch_execz .LBB127_981
; %bb.976:
	v_cmp_lt_u32_e32 vcc_lo, 0x37ffffff, v1
	s_mov_b32 s54, 0
                                        ; implicit-def: $vgpr1
	s_and_saveexec_b32 s55, vcc_lo
	s_delay_alu instid0(SALU_CYCLE_1)
	s_xor_b32 s55, exec_lo, s55
	s_cbranch_execz .LBB127_1345
; %bb.977:
	v_bfe_u32 v1, v4, 21, 1
	s_mov_b32 s54, exec_lo
	s_delay_alu instid0(VALU_DEP_1) | instskip(NEXT) | instid1(VALU_DEP_1)
	v_add3_u32 v1, v4, v1, 0x88fffff
	v_lshrrev_b32_e32 v1, 21, v1
	s_and_not1_saveexec_b32 s55, s55
	s_cbranch_execnz .LBB127_1346
.LBB127_978:
	s_or_b32 exec_lo, exec_lo, s55
	v_mov_b32_e32 v5, 0
	s_and_saveexec_b32 s55, s54
.LBB127_979:
	v_lshrrev_b32_e32 v5, 24, v4
	s_delay_alu instid0(VALU_DEP_1)
	v_and_or_b32 v5, 0x80, v5, v1
.LBB127_980:
	s_or_b32 exec_lo, exec_lo, s55
.LBB127_981:
	s_delay_alu instid0(SALU_CYCLE_1)
	s_or_b32 exec_lo, exec_lo, s53
	s_mov_b32 s53, 0
	global_store_b8 v[2:3], v5, off
.LBB127_982:
	s_and_b32 vcc_lo, exec_lo, s53
	s_cbranch_vccz .LBB127_992
; %bb.983:
	s_wait_xcnt 0x0
	v_and_b32_e32 v5, 0x7fffffff, v4
	s_mov_b32 s53, exec_lo
                                        ; implicit-def: $vgpr1
	s_delay_alu instid0(VALU_DEP_1)
	v_cmpx_gt_u32_e32 0x43f00000, v5
	s_xor_b32 s53, exec_lo, s53
	s_cbranch_execz .LBB127_989
; %bb.984:
	s_mov_b32 s54, exec_lo
                                        ; implicit-def: $vgpr1
	v_cmpx_lt_u32_e32 0x3c7fffff, v5
	s_xor_b32 s54, exec_lo, s54
; %bb.985:
	v_bfe_u32 v1, v4, 20, 1
	s_delay_alu instid0(VALU_DEP_1) | instskip(NEXT) | instid1(VALU_DEP_1)
	v_add3_u32 v1, v4, v1, 0x407ffff
	v_and_b32_e32 v5, 0xff00000, v1
	v_lshrrev_b32_e32 v1, 20, v1
	s_delay_alu instid0(VALU_DEP_2) | instskip(NEXT) | instid1(VALU_DEP_2)
	v_cmp_ne_u32_e32 vcc_lo, 0x7f00000, v5
	v_cndmask_b32_e32 v1, 0x7e, v1, vcc_lo
; %bb.986:
	s_and_not1_saveexec_b32 s54, s54
; %bb.987:
	v_add_f32_e64 v1, 0x46800000, |v4|
; %bb.988:
	s_or_b32 exec_lo, exec_lo, s54
                                        ; implicit-def: $vgpr5
.LBB127_989:
	s_and_not1_saveexec_b32 s53, s53
; %bb.990:
	v_mov_b32_e32 v1, 0x7f
	v_cmp_lt_u32_e32 vcc_lo, 0x7f800000, v5
	s_delay_alu instid0(VALU_DEP_2)
	v_cndmask_b32_e32 v1, 0x7e, v1, vcc_lo
; %bb.991:
	s_or_b32 exec_lo, exec_lo, s53
	v_lshrrev_b32_e32 v5, 24, v4
	s_delay_alu instid0(VALU_DEP_1)
	v_and_or_b32 v1, 0x80, v5, v1
	global_store_b8 v[2:3], v1, off
.LBB127_992:
	s_mov_b32 s53, 0
.LBB127_993:
	s_delay_alu instid0(SALU_CYCLE_1)
	s_and_not1_b32 vcc_lo, exec_lo, s53
	s_cbranch_vccnz .LBB127_1003
; %bb.994:
	s_wait_xcnt 0x0
	v_and_b32_e32 v5, 0x7fffffff, v4
	s_mov_b32 s53, exec_lo
                                        ; implicit-def: $vgpr1
	s_delay_alu instid0(VALU_DEP_1)
	v_cmpx_gt_u32_e32 0x47800000, v5
	s_xor_b32 s53, exec_lo, s53
	s_cbranch_execz .LBB127_1000
; %bb.995:
	s_mov_b32 s54, exec_lo
                                        ; implicit-def: $vgpr1
	v_cmpx_lt_u32_e32 0x387fffff, v5
	s_xor_b32 s54, exec_lo, s54
; %bb.996:
	v_bfe_u32 v1, v4, 21, 1
	s_delay_alu instid0(VALU_DEP_1) | instskip(NEXT) | instid1(VALU_DEP_1)
	v_add3_u32 v1, v4, v1, 0x80fffff
	v_lshrrev_b32_e32 v1, 21, v1
; %bb.997:
	s_and_not1_saveexec_b32 s54, s54
; %bb.998:
	v_add_f32_e64 v1, 0x43000000, |v4|
; %bb.999:
	s_or_b32 exec_lo, exec_lo, s54
                                        ; implicit-def: $vgpr5
.LBB127_1000:
	s_and_not1_saveexec_b32 s53, s53
; %bb.1001:
	v_mov_b32_e32 v1, 0x7f
	v_cmp_lt_u32_e32 vcc_lo, 0x7f800000, v5
	s_delay_alu instid0(VALU_DEP_2)
	v_cndmask_b32_e32 v1, 0x7c, v1, vcc_lo
; %bb.1002:
	s_or_b32 exec_lo, exec_lo, s53
	v_lshrrev_b32_e32 v5, 24, v4
	s_delay_alu instid0(VALU_DEP_1)
	v_and_or_b32 v1, 0x80, v5, v1
	global_store_b8 v[2:3], v1, off
.LBB127_1003:
	s_mov_b32 s54, 0
	s_mov_b32 s53, -1
.LBB127_1004:
	s_and_not1_b32 vcc_lo, exec_lo, s54
	s_cbranch_vccnz .LBB127_1012
; %bb.1005:
	s_cmp_gt_i32 s52, 14
	s_mov_b32 s54, -1
	s_cbranch_scc0 .LBB127_1009
; %bb.1006:
	s_cmp_eq_u32 s52, 15
	s_mov_b32 s0, -1
	s_cbranch_scc0 .LBB127_1008
; %bb.1007:
	s_wait_xcnt 0x0
	v_bfe_u32 v1, v4, 16, 1
	v_cmp_o_f32_e32 vcc_lo, v4, v4
	s_mov_b32 s53, -1
	s_mov_b32 s0, 0
	s_delay_alu instid0(VALU_DEP_2) | instskip(NEXT) | instid1(VALU_DEP_1)
	v_add3_u32 v1, v4, v1, 0x7fff
	v_lshrrev_b32_e32 v1, 16, v1
	s_delay_alu instid0(VALU_DEP_1)
	v_cndmask_b32_e32 v1, 0x7fc0, v1, vcc_lo
	global_store_b16 v[2:3], v1, off
.LBB127_1008:
	s_mov_b32 s54, 0
.LBB127_1009:
	s_delay_alu instid0(SALU_CYCLE_1)
	s_and_b32 vcc_lo, exec_lo, s54
	s_cbranch_vccz .LBB127_1012
; %bb.1010:
	s_cmp_eq_u32 s52, 11
	s_mov_b32 s0, -1
	s_cbranch_scc0 .LBB127_1012
; %bb.1011:
	v_cmp_neq_f32_e32 vcc_lo, 0, v4
	s_mov_b32 s0, 0
	s_mov_b32 s53, -1
	s_wait_xcnt 0x0
	v_cndmask_b32_e64 v1, 0, 1, vcc_lo
	global_store_b8 v[2:3], v1, off
.LBB127_1012:
	s_mov_b32 s52, 0
.LBB127_1013:
	s_delay_alu instid0(SALU_CYCLE_1)
	s_and_b32 vcc_lo, exec_lo, s52
	s_cbranch_vccz .LBB127_1052
; %bb.1014:
	s_and_b32 s37, 0xffff, s37
	s_mov_b32 s52, -1
	s_cmp_lt_i32 s37, 5
	s_cbranch_scc1 .LBB127_1035
; %bb.1015:
	s_cmp_lt_i32 s37, 8
	s_cbranch_scc1 .LBB127_1025
; %bb.1016:
	;; [unrolled: 3-line block ×3, first 2 shown]
	s_cmp_gt_i32 s37, 9
	s_cbranch_scc0 .LBB127_1019
; %bb.1018:
	s_wait_xcnt 0x0
	v_cvt_f64_f32_e32 v[6:7], v4
	v_mov_b32_e32 v8, 0
	s_mov_b32 s52, 0
	s_delay_alu instid0(VALU_DEP_1)
	v_mov_b32_e32 v9, v8
	global_store_b128 v[2:3], v[6:9], off
.LBB127_1019:
	s_and_not1_b32 vcc_lo, exec_lo, s52
	s_cbranch_vccnz .LBB127_1021
; %bb.1020:
	s_wait_xcnt 0x0
	v_mov_b32_e32 v5, 0
	global_store_b64 v[2:3], v[4:5], off
.LBB127_1021:
	s_mov_b32 s52, 0
.LBB127_1022:
	s_delay_alu instid0(SALU_CYCLE_1)
	s_and_not1_b32 vcc_lo, exec_lo, s52
	s_cbranch_vccnz .LBB127_1024
; %bb.1023:
	s_wait_xcnt 0x0
	v_cvt_f16_f32_e32 v1, v4
	s_delay_alu instid0(VALU_DEP_1)
	v_and_b32_e32 v1, 0xffff, v1
	global_store_b32 v[2:3], v1, off
.LBB127_1024:
	s_mov_b32 s52, 0
.LBB127_1025:
	s_delay_alu instid0(SALU_CYCLE_1)
	s_and_not1_b32 vcc_lo, exec_lo, s52
	s_cbranch_vccnz .LBB127_1034
; %bb.1026:
	s_cmp_lt_i32 s37, 6
	s_mov_b32 s52, -1
	s_cbranch_scc1 .LBB127_1032
; %bb.1027:
	s_cmp_gt_i32 s37, 6
	s_cbranch_scc0 .LBB127_1029
; %bb.1028:
	s_wait_xcnt 0x0
	v_cvt_f64_f32_e32 v[6:7], v4
	s_mov_b32 s52, 0
	global_store_b64 v[2:3], v[6:7], off
.LBB127_1029:
	s_and_not1_b32 vcc_lo, exec_lo, s52
	s_cbranch_vccnz .LBB127_1031
; %bb.1030:
	global_store_b32 v[2:3], v4, off
.LBB127_1031:
	s_mov_b32 s52, 0
.LBB127_1032:
	s_delay_alu instid0(SALU_CYCLE_1)
	s_and_not1_b32 vcc_lo, exec_lo, s52
	s_cbranch_vccnz .LBB127_1034
; %bb.1033:
	s_wait_xcnt 0x0
	v_cvt_f16_f32_e32 v1, v4
	global_store_b16 v[2:3], v1, off
.LBB127_1034:
	s_mov_b32 s52, 0
.LBB127_1035:
	s_delay_alu instid0(SALU_CYCLE_1)
	s_and_not1_b32 vcc_lo, exec_lo, s52
	s_cbranch_vccnz .LBB127_1051
; %bb.1036:
	s_cmp_lt_i32 s37, 2
	s_mov_b32 s52, -1
	s_cbranch_scc1 .LBB127_1046
; %bb.1037:
	s_cmp_lt_i32 s37, 3
	s_cbranch_scc1 .LBB127_1043
; %bb.1038:
	s_cmp_gt_i32 s37, 3
	s_cbranch_scc0 .LBB127_1040
; %bb.1039:
	s_wait_xcnt 0x0
	v_trunc_f32_e32 v1, v4
	s_mov_b32 s52, 0
	s_delay_alu instid0(VALU_DEP_1) | instskip(SKIP_1) | instid1(VALU_DEP_2)
	v_mul_f32_e64 v5, 0x2f800000, |v1|
	v_ashrrev_i32_e32 v6, 31, v1
	v_floor_f32_e32 v5, v5
	s_delay_alu instid0(VALU_DEP_1) | instskip(SKIP_1) | instid1(VALU_DEP_2)
	v_fma_f32 v7, 0xcf800000, v5, |v1|
	v_cvt_u32_f32_e32 v1, v5
	v_cvt_u32_f32_e32 v5, v7
	s_delay_alu instid0(VALU_DEP_2) | instskip(NEXT) | instid1(VALU_DEP_2)
	v_dual_mov_b32 v7, v6 :: v_dual_bitop2_b32 v9, v1, v6 bitop3:0x14
	v_xor_b32_e32 v8, v5, v6
	s_delay_alu instid0(VALU_DEP_1)
	v_sub_nc_u64_e32 v[6:7], v[8:9], v[6:7]
	global_store_b64 v[2:3], v[6:7], off
.LBB127_1040:
	s_and_not1_b32 vcc_lo, exec_lo, s52
	s_cbranch_vccnz .LBB127_1042
; %bb.1041:
	s_wait_xcnt 0x0
	v_cvt_i32_f32_e32 v1, v4
	global_store_b32 v[2:3], v1, off
.LBB127_1042:
	s_mov_b32 s52, 0
.LBB127_1043:
	s_delay_alu instid0(SALU_CYCLE_1)
	s_and_not1_b32 vcc_lo, exec_lo, s52
	s_cbranch_vccnz .LBB127_1045
; %bb.1044:
	s_wait_xcnt 0x0
	v_cvt_i32_f32_e32 v1, v4
	global_store_b16 v[2:3], v1, off
.LBB127_1045:
	s_mov_b32 s52, 0
.LBB127_1046:
	s_delay_alu instid0(SALU_CYCLE_1)
	s_and_not1_b32 vcc_lo, exec_lo, s52
	s_cbranch_vccnz .LBB127_1051
; %bb.1047:
	s_cmp_gt_i32 s37, 0
	s_mov_b32 s37, -1
	s_cbranch_scc0 .LBB127_1049
; %bb.1048:
	s_wait_xcnt 0x0
	v_cvt_i32_f32_e32 v1, v4
	s_mov_b32 s37, 0
	global_store_b8 v[2:3], v1, off
.LBB127_1049:
	s_and_not1_b32 vcc_lo, exec_lo, s37
	s_cbranch_vccnz .LBB127_1051
; %bb.1050:
	s_wait_xcnt 0x0
	v_trunc_f32_e32 v1, v4
	s_delay_alu instid0(VALU_DEP_1) | instskip(NEXT) | instid1(VALU_DEP_1)
	v_mul_f32_e64 v4, 0x2f800000, |v1|
	v_floor_f32_e32 v4, v4
	s_delay_alu instid0(VALU_DEP_1) | instskip(SKIP_1) | instid1(VALU_DEP_2)
	v_fma_f32 v4, 0xcf800000, v4, |v1|
	v_ashrrev_i32_e32 v1, 31, v1
	v_cvt_u32_f32_e32 v4, v4
	s_delay_alu instid0(VALU_DEP_1) | instskip(NEXT) | instid1(VALU_DEP_1)
	v_xor_b32_e32 v4, v4, v1
	v_sub_nc_u32_e32 v1, v4, v1
	global_store_b8 v[2:3], v1, off
.LBB127_1051:
	s_mov_b32 s53, -1
.LBB127_1052:
	s_delay_alu instid0(SALU_CYCLE_1)
	s_and_not1_b32 vcc_lo, exec_lo, s53
	s_cbranch_vccnz .LBB127_1054
; %bb.1053:
	v_add_nc_u32_e32 v0, 0x80, v0
	s_mov_b32 s37, -1
	s_branch .LBB127_1056
.LBB127_1054:
	s_mov_b32 s37, 0
.LBB127_1055:
                                        ; implicit-def: $vgpr0
.LBB127_1056:
	s_and_not1_b32 s52, s45, exec_lo
	s_and_b32 s0, s0, exec_lo
	s_and_not1_b32 s54, s48, exec_lo
	s_and_b32 s36, s36, exec_lo
	s_or_b32 s53, s52, s0
	s_or_b32 s54, s54, s36
	s_and_not1_b32 s0, s49, exec_lo
	s_and_b32 s35, s35, exec_lo
	s_and_not1_b32 s36, s50, exec_lo
	s_and_b32 s34, s34, exec_lo
	s_or_b32 s55, s0, s35
	s_or_b32 s52, s36, s34
	s_or_not1_b32 s37, s37, exec_lo
.LBB127_1057:
	s_wait_xcnt 0x0
	s_or_b32 exec_lo, exec_lo, s56
	s_mov_b32 s35, 0
	s_mov_b32 s36, 0
	;; [unrolled: 1-line block ×3, first 2 shown]
                                        ; implicit-def: $sgpr0
                                        ; implicit-def: $vgpr8_vgpr9
                                        ; implicit-def: $vgpr2
                                        ; implicit-def: $vgpr4
                                        ; implicit-def: $vgpr6
                                        ; implicit-def: $vgpr10
	s_and_saveexec_b32 s56, s37
	s_cbranch_execz .LBB127_1684
; %bb.1058:
	s_mov_b32 s37, -1
	s_mov_b32 s58, s52
	s_mov_b32 s60, s55
	;; [unrolled: 1-line block ×4, first 2 shown]
	s_mov_b32 s57, exec_lo
	v_cmpx_gt_i32_e64 s46, v0
	s_cbranch_execz .LBB127_1590
; %bb.1059:
	s_and_not1_b32 vcc_lo, exec_lo, s39
	s_cbranch_vccnz .LBB127_1065
; %bb.1060:
	s_and_not1_b32 vcc_lo, exec_lo, s47
	s_cbranch_vccnz .LBB127_1066
; %bb.1061:
	s_wait_loadcnt 0x0
	v_dual_mov_b32 v6, 0 :: v_dual_mov_b32 v1, v0
	v_dual_mov_b32 v4, 0 :: v_dual_mov_b32 v2, 0
	v_mov_b32_e32 v8, 0
	s_add_co_i32 s0, s44, 1
	s_mov_b64 s[34:35], 0xffffffffffffffe0
	s_and_b32 s0, s0, 30
	s_add_nc_u64 s[34:35], s[2:3], s[34:35]
	s_mov_b64 s[36:37], s[2:3]
.LBB127_1062:                           ; =>This Inner Loop Header: Depth=1
	s_clause 0x1
	s_load_b128 s[68:71], s[36:37], 0x4
	s_load_b64 s[58:59], s[36:37], 0x14
	s_load_b256 s[60:67], s[34:35], 0xe4
	s_add_co_i32 s0, s0, -2
	s_wait_xcnt 0x0
	s_add_nc_u64 s[36:37], s[36:37], 24
	s_cmp_eq_u32 s0, 0
	s_add_nc_u64 s[34:35], s[34:35], 32
	s_wait_kmcnt 0x0
	v_mul_hi_u32 v3, s69, v1
	s_delay_alu instid0(VALU_DEP_1) | instskip(NEXT) | instid1(VALU_DEP_1)
	v_add_nc_u32_e32 v3, v1, v3
	v_lshrrev_b32_e32 v3, s70, v3
	s_delay_alu instid0(VALU_DEP_1) | instskip(SKIP_1) | instid1(VALU_DEP_1)
	v_mul_hi_u32 v5, s58, v3
	v_mul_lo_u32 v7, v3, s68
	v_dual_add_nc_u32 v5, v3, v5 :: v_dual_sub_nc_u32 v7, v1, v7
	s_delay_alu instid0(VALU_DEP_1) | instskip(NEXT) | instid1(VALU_DEP_2)
	v_lshrrev_b32_e32 v1, s59, v5
	v_mad_u32 v8, v7, s61, v8
	v_mad_u32 v2, v7, s60, v2
	;; [unrolled: 1-line block ×4, first 2 shown]
	v_mul_lo_u32 v5, v1, s71
	s_delay_alu instid0(VALU_DEP_1) | instskip(NEXT) | instid1(VALU_DEP_1)
	v_sub_nc_u32_e32 v3, v3, v5
	v_mad_u32 v8, v3, s65, v8
	v_mad_u32 v2, v3, s64, v2
	;; [unrolled: 1-line block ×4, first 2 shown]
	s_cbranch_scc0 .LBB127_1062
; %bb.1063:
	s_bitcmp1_b32 s44, 0
	s_cselect_b32 s0, -1, 0
	s_delay_alu instid0(SALU_CYCLE_1)
	s_and_b32 vcc_lo, exec_lo, s0
	s_cbranch_vccnz .LBB127_1067
; %bb.1064:
	s_load_b96 s[64:66], s[36:37], 0x4
	s_load_b128 s[60:63], s[34:35], 0xe4
	s_wait_kmcnt 0x0
	v_mul_hi_u32 v3, s65, v1
	s_delay_alu instid0(VALU_DEP_1) | instskip(NEXT) | instid1(VALU_DEP_1)
	v_add_nc_u32_e32 v3, v1, v3
	v_lshrrev_b32_e32 v3, s66, v3
	s_delay_alu instid0(VALU_DEP_1) | instskip(NEXT) | instid1(VALU_DEP_1)
	v_mul_lo_u32 v3, v3, s64
	v_sub_nc_u32_e32 v1, v1, v3
	s_delay_alu instid0(VALU_DEP_1)
	v_mad_u32 v2, v1, s60, v2
	v_mad_u32 v8, v1, s61, v8
	;; [unrolled: 1-line block ×4, first 2 shown]
	s_branch .LBB127_1067
.LBB127_1065:
	s_mov_b32 s0, -1
                                        ; implicit-def: $vgpr8
                                        ; implicit-def: $vgpr2
                                        ; implicit-def: $vgpr4
                                        ; implicit-def: $vgpr6
	s_branch .LBB127_1068
.LBB127_1066:
	v_dual_mov_b32 v8, 0 :: v_dual_mov_b32 v2, 0
	s_wait_loadcnt 0x0
	v_dual_mov_b32 v4, 0 :: v_dual_mov_b32 v6, 0
.LBB127_1067:
	s_mov_b32 s0, 0
.LBB127_1068:
	s_delay_alu instid0(SALU_CYCLE_1)
	s_and_not1_b32 vcc_lo, exec_lo, s0
	s_cbranch_vccnz .LBB127_1071
; %bb.1069:
	s_wait_loadcnt 0x0
	v_mov_b32_e32 v1, 0
	s_and_not1_b32 vcc_lo, exec_lo, s43
	s_delay_alu instid0(VALU_DEP_1) | instskip(NEXT) | instid1(VALU_DEP_1)
	v_mul_u64_e32 v[2:3], s[28:29], v[0:1]
	v_add_nc_u32_e32 v2, v0, v3
	s_delay_alu instid0(VALU_DEP_1) | instskip(NEXT) | instid1(VALU_DEP_1)
	v_lshrrev_b32_e32 v10, s22, v2
	v_mul_lo_u32 v2, v10, s20
	s_delay_alu instid0(VALU_DEP_1) | instskip(NEXT) | instid1(VALU_DEP_1)
	v_sub_nc_u32_e32 v3, v0, v2
	v_mul_lo_u32 v8, v3, s13
	v_mul_lo_u32 v2, v3, s12
	v_mul_lo_u32 v4, v3, s15
	v_mul_lo_u32 v6, v3, s14
	s_cbranch_vccnz .LBB127_1071
; %bb.1070:
	v_mov_b32_e32 v11, v1
	s_delay_alu instid0(VALU_DEP_1) | instskip(NEXT) | instid1(VALU_DEP_1)
	v_mul_u64_e32 v[12:13], s[30:31], v[10:11]
	v_add_nc_u32_e32 v1, v10, v13
	s_delay_alu instid0(VALU_DEP_1) | instskip(NEXT) | instid1(VALU_DEP_1)
	v_lshrrev_b32_e32 v1, s1, v1
	v_mul_lo_u32 v1, v1, s23
	s_delay_alu instid0(VALU_DEP_1) | instskip(NEXT) | instid1(VALU_DEP_1)
	v_sub_nc_u32_e32 v1, v10, v1
	v_mad_u32 v2, v1, s16, v2
	v_mad_u32 v8, v1, s17, v8
	;; [unrolled: 1-line block ×4, first 2 shown]
.LBB127_1071:
	v_mov_b32_e32 v9, 0
	s_and_b32 s0, s42, 0xff
	s_delay_alu instid0(SALU_CYCLE_1) | instskip(NEXT) | instid1(VALU_DEP_1)
	s_cmp_lt_i32 s0, 11
	v_add_nc_u64_e32 v[8:9], s[6:7], v[8:9]
	s_cbranch_scc1 .LBB127_1078
; %bb.1072:
	s_and_b32 s35, 0xffff, s0
	s_delay_alu instid0(SALU_CYCLE_1)
	s_cmp_gt_i32 s35, 25
	s_cbranch_scc0 .LBB127_1079
; %bb.1073:
	s_cmp_gt_i32 s35, 28
	s_cbranch_scc0 .LBB127_1080
; %bb.1074:
	;; [unrolled: 3-line block ×4, first 2 shown]
	s_cmp_eq_u32 s35, 46
	s_mov_b32 s37, 0
	s_cbranch_scc0 .LBB127_1083
; %bb.1077:
	s_wait_loadcnt 0x0
	global_load_b32 v1, v[8:9], off
	s_mov_b32 s36, -1
	s_mov_b32 s34, 0
	s_wait_loadcnt 0x0
	v_lshlrev_b32_e32 v1, 16, v1
	s_branch .LBB127_1085
.LBB127_1078:
	s_mov_b32 s35, -1
	s_mov_b32 s36, 0
	s_mov_b32 s34, s52
                                        ; implicit-def: $vgpr1
	s_branch .LBB127_1150
.LBB127_1079:
	s_mov_b32 s37, -1
	s_mov_b32 s36, 0
	s_mov_b32 s34, s52
                                        ; implicit-def: $vgpr1
	s_branch .LBB127_1114
.LBB127_1080:
	s_mov_b32 s37, -1
	s_mov_b32 s36, 0
	s_mov_b32 s34, s52
                                        ; implicit-def: $vgpr1
	s_branch .LBB127_1095
.LBB127_1081:
	s_mov_b32 s37, -1
	s_mov_b32 s36, 0
	s_mov_b32 s34, s52
                                        ; implicit-def: $vgpr1
	s_branch .LBB127_1090
.LBB127_1082:
	s_mov_b32 s37, -1
	s_mov_b32 s36, 0
	s_mov_b32 s34, s52
	s_branch .LBB127_1084
.LBB127_1083:
	s_mov_b32 s34, -1
	s_mov_b32 s36, 0
.LBB127_1084:
                                        ; implicit-def: $vgpr1
.LBB127_1085:
	s_and_b32 vcc_lo, exec_lo, s37
	s_cbranch_vccz .LBB127_1089
; %bb.1086:
	s_cmp_eq_u32 s35, 44
	s_cbranch_scc0 .LBB127_1088
; %bb.1087:
	s_wait_loadcnt 0x0
	global_load_u8 v1, v[8:9], off
	s_mov_b32 s34, 0
	s_mov_b32 s36, -1
	s_wait_loadcnt 0x0
	v_lshlrev_b32_e32 v3, 23, v1
	v_cmp_ne_u32_e32 vcc_lo, 0xff, v1
	s_delay_alu instid0(VALU_DEP_2) | instskip(SKIP_1) | instid1(VALU_DEP_2)
	v_cndmask_b32_e32 v3, 0x7f800001, v3, vcc_lo
	v_cmp_ne_u32_e32 vcc_lo, 0, v1
	v_cndmask_b32_e32 v1, 0x400000, v3, vcc_lo
	s_branch .LBB127_1089
.LBB127_1088:
	s_mov_b32 s34, -1
                                        ; implicit-def: $vgpr1
.LBB127_1089:
	s_mov_b32 s37, 0
.LBB127_1090:
	s_delay_alu instid0(SALU_CYCLE_1)
	s_and_b32 vcc_lo, exec_lo, s37
	s_cbranch_vccz .LBB127_1094
; %bb.1091:
	s_cmp_eq_u32 s35, 29
	s_cbranch_scc0 .LBB127_1093
; %bb.1092:
	global_load_b64 v[10:11], v[8:9], off
	s_mov_b32 s36, -1
	s_mov_b32 s34, 0
	s_mov_b32 s37, 0
	s_wait_loadcnt 0x0
	v_clz_i32_u32_e32 v1, v11
	s_delay_alu instid0(VALU_DEP_1) | instskip(NEXT) | instid1(VALU_DEP_1)
	v_min_u32_e32 v1, 32, v1
	v_lshlrev_b64_e32 v[10:11], v1, v[10:11]
	v_sub_nc_u32_e32 v1, 32, v1
	s_delay_alu instid0(VALU_DEP_2) | instskip(NEXT) | instid1(VALU_DEP_1)
	v_min_u32_e32 v3, 1, v10
	v_or_b32_e32 v3, v11, v3
	s_delay_alu instid0(VALU_DEP_1) | instskip(NEXT) | instid1(VALU_DEP_1)
	v_cvt_f32_u32_e32 v3, v3
	v_ldexp_f32 v1, v3, v1
	s_branch .LBB127_1095
.LBB127_1093:
	s_mov_b32 s34, -1
                                        ; implicit-def: $vgpr1
.LBB127_1094:
	s_mov_b32 s37, 0
.LBB127_1095:
	s_delay_alu instid0(SALU_CYCLE_1)
	s_and_b32 vcc_lo, exec_lo, s37
	s_cbranch_vccz .LBB127_1113
; %bb.1096:
	s_cmp_lt_i32 s35, 27
	s_cbranch_scc1 .LBB127_1099
; %bb.1097:
	s_cmp_gt_i32 s35, 27
	s_cbranch_scc0 .LBB127_1100
; %bb.1098:
	s_wait_loadcnt 0x0
	global_load_b32 v1, v[8:9], off
	s_mov_b32 s36, 0
	s_wait_loadcnt 0x0
	v_cvt_f32_u32_e32 v1, v1
	s_branch .LBB127_1101
.LBB127_1099:
	s_mov_b32 s36, -1
                                        ; implicit-def: $vgpr1
	s_branch .LBB127_1104
.LBB127_1100:
	s_mov_b32 s36, -1
                                        ; implicit-def: $vgpr1
.LBB127_1101:
	s_delay_alu instid0(SALU_CYCLE_1)
	s_and_not1_b32 vcc_lo, exec_lo, s36
	s_cbranch_vccnz .LBB127_1103
; %bb.1102:
	s_wait_loadcnt 0x0
	global_load_u16 v1, v[8:9], off
	s_wait_loadcnt 0x0
	v_cvt_f32_u32_e32 v1, v1
.LBB127_1103:
	s_mov_b32 s36, 0
.LBB127_1104:
	s_delay_alu instid0(SALU_CYCLE_1)
	s_and_not1_b32 vcc_lo, exec_lo, s36
	s_cbranch_vccnz .LBB127_1112
; %bb.1105:
	s_wait_loadcnt 0x0
	global_load_u8 v3, v[8:9], off
	s_mov_b32 s36, 0
	s_mov_b32 s37, exec_lo
	s_wait_loadcnt 0x0
	v_cmpx_lt_i16_e32 0x7f, v3
	s_xor_b32 s37, exec_lo, s37
	s_cbranch_execz .LBB127_1126
; %bb.1106:
	s_mov_b32 s36, -1
	s_mov_b32 s58, exec_lo
	v_cmpx_eq_u16_e32 0x80, v3
; %bb.1107:
	s_xor_b32 s36, exec_lo, -1
; %bb.1108:
	s_or_b32 exec_lo, exec_lo, s58
	s_delay_alu instid0(SALU_CYCLE_1)
	s_and_b32 s36, s36, exec_lo
	s_or_saveexec_b32 s37, s37
	v_mov_b32_e32 v1, 0x7f800001
	s_xor_b32 exec_lo, exec_lo, s37
	s_cbranch_execnz .LBB127_1127
.LBB127_1109:
	s_or_b32 exec_lo, exec_lo, s37
	s_and_saveexec_b32 s37, s36
	s_cbranch_execz .LBB127_1111
.LBB127_1110:
	v_and_b32_e32 v1, 0xffff, v3
	s_delay_alu instid0(VALU_DEP_1) | instskip(SKIP_1) | instid1(VALU_DEP_2)
	v_and_b32_e32 v5, 7, v1
	v_bfe_u32 v11, v1, 3, 4
	v_clz_i32_u32_e32 v7, v5
	s_delay_alu instid0(VALU_DEP_2) | instskip(NEXT) | instid1(VALU_DEP_2)
	v_cmp_eq_u32_e32 vcc_lo, 0, v11
	v_min_u32_e32 v7, 32, v7
	s_delay_alu instid0(VALU_DEP_1) | instskip(NEXT) | instid1(VALU_DEP_1)
	v_subrev_nc_u32_e32 v10, 28, v7
	v_dual_lshlrev_b32 v1, v10, v1 :: v_dual_sub_nc_u32 v7, 29, v7
	s_delay_alu instid0(VALU_DEP_1) | instskip(NEXT) | instid1(VALU_DEP_1)
	v_dual_lshlrev_b32 v3, 24, v3 :: v_dual_bitop2_b32 v1, 7, v1 bitop3:0x40
	v_dual_cndmask_b32 v1, v5, v1, vcc_lo :: v_dual_cndmask_b32 v7, v11, v7, vcc_lo
	s_delay_alu instid0(VALU_DEP_2) | instskip(NEXT) | instid1(VALU_DEP_2)
	v_and_b32_e32 v3, 0x80000000, v3
	v_lshlrev_b32_e32 v1, 20, v1
	s_delay_alu instid0(VALU_DEP_3) | instskip(NEXT) | instid1(VALU_DEP_1)
	v_lshl_add_u32 v5, v7, 23, 0x3b800000
	v_or3_b32 v1, v3, v5, v1
.LBB127_1111:
	s_or_b32 exec_lo, exec_lo, s37
.LBB127_1112:
	s_mov_b32 s36, -1
.LBB127_1113:
	s_mov_b32 s37, 0
.LBB127_1114:
	s_delay_alu instid0(SALU_CYCLE_1)
	s_and_b32 vcc_lo, exec_lo, s37
	s_cbranch_vccz .LBB127_1149
; %bb.1115:
	s_cmp_gt_i32 s35, 22
	s_cbranch_scc0 .LBB127_1125
; %bb.1116:
	s_cmp_lt_i32 s35, 24
	s_cbranch_scc1 .LBB127_1128
; %bb.1117:
	s_cmp_gt_i32 s35, 24
	s_cbranch_scc0 .LBB127_1129
; %bb.1118:
	s_wait_loadcnt 0x0
	global_load_u8 v3, v[8:9], off
	s_mov_b32 s36, 0
	s_mov_b32 s37, exec_lo
	s_wait_loadcnt 0x0
	v_cmpx_lt_i16_e32 0x7f, v3
	s_xor_b32 s37, exec_lo, s37
	s_cbranch_execz .LBB127_1141
; %bb.1119:
	s_mov_b32 s36, -1
	s_mov_b32 s58, exec_lo
	v_cmpx_eq_u16_e32 0x80, v3
; %bb.1120:
	s_xor_b32 s36, exec_lo, -1
; %bb.1121:
	s_or_b32 exec_lo, exec_lo, s58
	s_delay_alu instid0(SALU_CYCLE_1)
	s_and_b32 s36, s36, exec_lo
	s_or_saveexec_b32 s37, s37
	v_mov_b32_e32 v1, 0x7f800001
	s_xor_b32 exec_lo, exec_lo, s37
	s_cbranch_execnz .LBB127_1142
.LBB127_1122:
	s_or_b32 exec_lo, exec_lo, s37
	s_and_saveexec_b32 s37, s36
	s_cbranch_execz .LBB127_1124
.LBB127_1123:
	v_and_b32_e32 v1, 0xffff, v3
	s_delay_alu instid0(VALU_DEP_1) | instskip(SKIP_1) | instid1(VALU_DEP_2)
	v_and_b32_e32 v5, 3, v1
	v_bfe_u32 v11, v1, 2, 5
	v_clz_i32_u32_e32 v7, v5
	s_delay_alu instid0(VALU_DEP_2) | instskip(NEXT) | instid1(VALU_DEP_2)
	v_cmp_eq_u32_e32 vcc_lo, 0, v11
	v_min_u32_e32 v7, 32, v7
	s_delay_alu instid0(VALU_DEP_1) | instskip(NEXT) | instid1(VALU_DEP_1)
	v_subrev_nc_u32_e32 v10, 29, v7
	v_dual_lshlrev_b32 v1, v10, v1 :: v_dual_sub_nc_u32 v7, 30, v7
	s_delay_alu instid0(VALU_DEP_1) | instskip(NEXT) | instid1(VALU_DEP_1)
	v_dual_lshlrev_b32 v3, 24, v3 :: v_dual_bitop2_b32 v1, 3, v1 bitop3:0x40
	v_dual_cndmask_b32 v1, v5, v1, vcc_lo :: v_dual_cndmask_b32 v7, v11, v7, vcc_lo
	s_delay_alu instid0(VALU_DEP_2) | instskip(NEXT) | instid1(VALU_DEP_2)
	v_and_b32_e32 v3, 0x80000000, v3
	v_lshlrev_b32_e32 v1, 21, v1
	s_delay_alu instid0(VALU_DEP_3) | instskip(NEXT) | instid1(VALU_DEP_1)
	v_lshl_add_u32 v5, v7, 23, 0x37800000
	v_or3_b32 v1, v3, v5, v1
.LBB127_1124:
	s_or_b32 exec_lo, exec_lo, s37
	s_mov_b32 s36, 0
	s_branch .LBB127_1130
.LBB127_1125:
	s_mov_b32 s37, -1
                                        ; implicit-def: $vgpr1
	s_branch .LBB127_1136
.LBB127_1126:
	s_or_saveexec_b32 s37, s37
	v_mov_b32_e32 v1, 0x7f800001
	s_xor_b32 exec_lo, exec_lo, s37
	s_cbranch_execz .LBB127_1109
.LBB127_1127:
	v_cmp_ne_u16_e32 vcc_lo, 0, v3
	v_mov_b32_e32 v1, 0
	s_and_not1_b32 s36, s36, exec_lo
	s_and_b32 s58, vcc_lo, exec_lo
	s_delay_alu instid0(SALU_CYCLE_1)
	s_or_b32 s36, s36, s58
	s_or_b32 exec_lo, exec_lo, s37
	s_and_saveexec_b32 s37, s36
	s_cbranch_execnz .LBB127_1110
	s_branch .LBB127_1111
.LBB127_1128:
	s_mov_b32 s36, -1
                                        ; implicit-def: $vgpr1
	s_branch .LBB127_1133
.LBB127_1129:
	s_mov_b32 s36, -1
                                        ; implicit-def: $vgpr1
.LBB127_1130:
	s_delay_alu instid0(SALU_CYCLE_1)
	s_and_b32 vcc_lo, exec_lo, s36
	s_cbranch_vccz .LBB127_1132
; %bb.1131:
	s_wait_loadcnt 0x0
	global_load_u8 v1, v[8:9], off
	s_wait_loadcnt 0x0
	v_lshlrev_b32_e32 v1, 24, v1
	s_delay_alu instid0(VALU_DEP_1) | instskip(NEXT) | instid1(VALU_DEP_1)
	v_and_b32_e32 v3, 0x7f000000, v1
	v_clz_i32_u32_e32 v5, v3
	v_cmp_ne_u32_e32 vcc_lo, 0, v3
	v_add_nc_u32_e32 v10, 0x1000000, v3
	s_delay_alu instid0(VALU_DEP_3) | instskip(NEXT) | instid1(VALU_DEP_1)
	v_min_u32_e32 v5, 32, v5
	v_sub_nc_u32_e64 v5, v5, 4 clamp
	s_delay_alu instid0(VALU_DEP_1) | instskip(NEXT) | instid1(VALU_DEP_1)
	v_dual_lshlrev_b32 v7, v5, v3 :: v_dual_lshlrev_b32 v5, 23, v5
	v_lshrrev_b32_e32 v7, 4, v7
	s_delay_alu instid0(VALU_DEP_1) | instskip(NEXT) | instid1(VALU_DEP_1)
	v_dual_sub_nc_u32 v5, v7, v5 :: v_dual_ashrrev_i32 v7, 8, v10
	v_add_nc_u32_e32 v5, 0x3c000000, v5
	s_delay_alu instid0(VALU_DEP_1) | instskip(NEXT) | instid1(VALU_DEP_1)
	v_and_or_b32 v5, 0x7f800000, v7, v5
	v_cndmask_b32_e32 v3, 0, v5, vcc_lo
	s_delay_alu instid0(VALU_DEP_1)
	v_and_or_b32 v1, 0x80000000, v1, v3
.LBB127_1132:
	s_mov_b32 s36, 0
.LBB127_1133:
	s_delay_alu instid0(SALU_CYCLE_1)
	s_and_not1_b32 vcc_lo, exec_lo, s36
	s_cbranch_vccnz .LBB127_1135
; %bb.1134:
	s_wait_loadcnt 0x0
	global_load_u8 v1, v[8:9], off
	s_wait_loadcnt 0x0
	v_lshlrev_b32_e32 v3, 25, v1
	v_lshlrev_b16 v1, 8, v1
	s_delay_alu instid0(VALU_DEP_1) | instskip(SKIP_1) | instid1(VALU_DEP_2)
	v_and_or_b32 v7, 0x7f00, v1, 0.5
	v_bfe_i32 v1, v1, 0, 16
	v_add_f32_e32 v7, -0.5, v7
	v_lshrrev_b32_e32 v5, 4, v3
	v_cmp_gt_u32_e32 vcc_lo, 0x8000000, v3
	s_delay_alu instid0(VALU_DEP_2) | instskip(NEXT) | instid1(VALU_DEP_1)
	v_or_b32_e32 v5, 0x70000000, v5
	v_mul_f32_e32 v5, 0x7800000, v5
	s_delay_alu instid0(VALU_DEP_1) | instskip(NEXT) | instid1(VALU_DEP_1)
	v_cndmask_b32_e32 v3, v5, v7, vcc_lo
	v_and_or_b32 v1, 0x80000000, v1, v3
.LBB127_1135:
	s_mov_b32 s37, 0
	s_mov_b32 s36, -1
.LBB127_1136:
	s_and_not1_b32 vcc_lo, exec_lo, s37
	s_cbranch_vccnz .LBB127_1149
; %bb.1137:
	s_cmp_gt_i32 s35, 14
	s_cbranch_scc0 .LBB127_1140
; %bb.1138:
	s_cmp_eq_u32 s35, 15
	s_cbranch_scc0 .LBB127_1143
; %bb.1139:
	s_wait_loadcnt 0x0
	global_load_u16 v1, v[8:9], off
	s_mov_b32 s36, -1
	s_mov_b32 s34, 0
	s_wait_loadcnt 0x0
	v_lshlrev_b32_e32 v1, 16, v1
	s_branch .LBB127_1144
.LBB127_1140:
	s_mov_b32 s37, -1
                                        ; implicit-def: $vgpr1
	s_branch .LBB127_1145
.LBB127_1141:
	s_or_saveexec_b32 s37, s37
	v_mov_b32_e32 v1, 0x7f800001
	s_xor_b32 exec_lo, exec_lo, s37
	s_cbranch_execz .LBB127_1122
.LBB127_1142:
	v_cmp_ne_u16_e32 vcc_lo, 0, v3
	v_mov_b32_e32 v1, 0
	s_and_not1_b32 s36, s36, exec_lo
	s_and_b32 s58, vcc_lo, exec_lo
	s_delay_alu instid0(SALU_CYCLE_1)
	s_or_b32 s36, s36, s58
	s_or_b32 exec_lo, exec_lo, s37
	s_and_saveexec_b32 s37, s36
	s_cbranch_execnz .LBB127_1123
	s_branch .LBB127_1124
.LBB127_1143:
	s_mov_b32 s34, -1
                                        ; implicit-def: $vgpr1
.LBB127_1144:
	s_mov_b32 s37, 0
.LBB127_1145:
	s_delay_alu instid0(SALU_CYCLE_1)
	s_and_b32 vcc_lo, exec_lo, s37
	s_cbranch_vccz .LBB127_1149
; %bb.1146:
	s_cmp_eq_u32 s35, 11
	s_cbranch_scc0 .LBB127_1148
; %bb.1147:
	s_wait_loadcnt 0x0
	global_load_u8 v1, v[8:9], off
	s_mov_b32 s34, 0
	s_mov_b32 s36, -1
	s_wait_loadcnt 0x0
	v_cmp_ne_u16_e32 vcc_lo, 0, v1
	v_cndmask_b32_e64 v1, 0, 1.0, vcc_lo
	s_branch .LBB127_1149
.LBB127_1148:
	s_mov_b32 s34, -1
                                        ; implicit-def: $vgpr1
.LBB127_1149:
	s_mov_b32 s35, 0
.LBB127_1150:
	s_delay_alu instid0(SALU_CYCLE_1)
	s_and_b32 vcc_lo, exec_lo, s35
	s_cbranch_vccz .LBB127_1199
; %bb.1151:
	s_and_b32 s0, 0xffff, s0
	s_delay_alu instid0(SALU_CYCLE_1)
	s_cmp_lt_i32 s0, 5
	s_cbranch_scc1 .LBB127_1156
; %bb.1152:
	s_cmp_lt_i32 s0, 8
	s_cbranch_scc1 .LBB127_1157
; %bb.1153:
	;; [unrolled: 3-line block ×3, first 2 shown]
	s_cmp_gt_i32 s0, 9
	s_cbranch_scc0 .LBB127_1159
; %bb.1155:
	global_load_b64 v[10:11], v[8:9], off
	s_mov_b32 s35, 0
	s_wait_loadcnt 0x0
	v_cvt_f32_f64_e32 v1, v[10:11]
	s_branch .LBB127_1160
.LBB127_1156:
	s_mov_b32 s35, -1
                                        ; implicit-def: $vgpr1
	s_branch .LBB127_1178
.LBB127_1157:
	s_mov_b32 s35, -1
                                        ; implicit-def: $vgpr1
	s_branch .LBB127_1166
.LBB127_1158:
	s_mov_b32 s35, -1
                                        ; implicit-def: $vgpr1
	s_branch .LBB127_1163
.LBB127_1159:
	s_mov_b32 s35, -1
                                        ; implicit-def: $vgpr1
.LBB127_1160:
	s_delay_alu instid0(SALU_CYCLE_1)
	s_and_not1_b32 vcc_lo, exec_lo, s35
	s_cbranch_vccnz .LBB127_1162
; %bb.1161:
	s_wait_loadcnt 0x0
	global_load_b32 v1, v[8:9], off
.LBB127_1162:
	s_mov_b32 s35, 0
.LBB127_1163:
	s_delay_alu instid0(SALU_CYCLE_1)
	s_and_not1_b32 vcc_lo, exec_lo, s35
	s_cbranch_vccnz .LBB127_1165
; %bb.1164:
	s_wait_loadcnt 0x0
	global_load_b32 v1, v[8:9], off
	s_wait_loadcnt 0x0
	v_cvt_f32_f16_e32 v1, v1
.LBB127_1165:
	s_mov_b32 s35, 0
.LBB127_1166:
	s_delay_alu instid0(SALU_CYCLE_1)
	s_and_not1_b32 vcc_lo, exec_lo, s35
	s_cbranch_vccnz .LBB127_1177
; %bb.1167:
	s_cmp_lt_i32 s0, 6
	s_cbranch_scc1 .LBB127_1170
; %bb.1168:
	s_cmp_gt_i32 s0, 6
	s_cbranch_scc0 .LBB127_1171
; %bb.1169:
	global_load_b64 v[10:11], v[8:9], off
	s_mov_b32 s35, 0
	s_wait_loadcnt 0x0
	v_cvt_f32_f64_e32 v1, v[10:11]
	s_branch .LBB127_1172
.LBB127_1170:
	s_mov_b32 s35, -1
                                        ; implicit-def: $vgpr1
	s_branch .LBB127_1175
.LBB127_1171:
	s_mov_b32 s35, -1
                                        ; implicit-def: $vgpr1
.LBB127_1172:
	s_delay_alu instid0(SALU_CYCLE_1)
	s_and_not1_b32 vcc_lo, exec_lo, s35
	s_cbranch_vccnz .LBB127_1174
; %bb.1173:
	s_wait_loadcnt 0x0
	global_load_b32 v1, v[8:9], off
.LBB127_1174:
	s_mov_b32 s35, 0
.LBB127_1175:
	s_delay_alu instid0(SALU_CYCLE_1)
	s_and_not1_b32 vcc_lo, exec_lo, s35
	s_cbranch_vccnz .LBB127_1177
; %bb.1176:
	s_wait_loadcnt 0x0
	global_load_u16 v1, v[8:9], off
	s_wait_loadcnt 0x0
	v_cvt_f32_f16_e32 v1, v1
.LBB127_1177:
	s_mov_b32 s35, 0
.LBB127_1178:
	s_delay_alu instid0(SALU_CYCLE_1)
	s_and_not1_b32 vcc_lo, exec_lo, s35
	s_cbranch_vccnz .LBB127_1198
; %bb.1179:
	s_cmp_lt_i32 s0, 2
	s_cbranch_scc1 .LBB127_1183
; %bb.1180:
	s_cmp_lt_i32 s0, 3
	s_cbranch_scc1 .LBB127_1184
; %bb.1181:
	s_cmp_gt_i32 s0, 3
	s_cbranch_scc0 .LBB127_1185
; %bb.1182:
	global_load_b64 v[10:11], v[8:9], off
	s_mov_b32 s35, 0
	s_wait_loadcnt 0x0
	v_xor_b32_e32 v1, v10, v11
	v_cls_i32_e32 v3, v11
	s_delay_alu instid0(VALU_DEP_2) | instskip(NEXT) | instid1(VALU_DEP_1)
	v_ashrrev_i32_e32 v1, 31, v1
	v_add_nc_u32_e32 v1, 32, v1
	s_delay_alu instid0(VALU_DEP_1) | instskip(NEXT) | instid1(VALU_DEP_1)
	v_add_min_u32_e64 v1, v3, -1, v1
	v_lshlrev_b64_e32 v[10:11], v1, v[10:11]
	v_sub_nc_u32_e32 v1, 32, v1
	s_delay_alu instid0(VALU_DEP_2) | instskip(NEXT) | instid1(VALU_DEP_1)
	v_min_u32_e32 v3, 1, v10
	v_or_b32_e32 v3, v11, v3
	s_delay_alu instid0(VALU_DEP_1) | instskip(NEXT) | instid1(VALU_DEP_1)
	v_cvt_f32_i32_e32 v3, v3
	v_ldexp_f32 v1, v3, v1
	s_branch .LBB127_1186
.LBB127_1183:
	s_mov_b32 s35, -1
                                        ; implicit-def: $vgpr1
	s_branch .LBB127_1192
.LBB127_1184:
	s_mov_b32 s35, -1
                                        ; implicit-def: $vgpr1
	s_branch .LBB127_1189
.LBB127_1185:
	s_mov_b32 s35, -1
                                        ; implicit-def: $vgpr1
.LBB127_1186:
	s_delay_alu instid0(SALU_CYCLE_1)
	s_and_not1_b32 vcc_lo, exec_lo, s35
	s_cbranch_vccnz .LBB127_1188
; %bb.1187:
	s_wait_loadcnt 0x0
	global_load_b32 v1, v[8:9], off
	s_wait_loadcnt 0x0
	v_cvt_f32_i32_e32 v1, v1
.LBB127_1188:
	s_mov_b32 s35, 0
.LBB127_1189:
	s_delay_alu instid0(SALU_CYCLE_1)
	s_and_not1_b32 vcc_lo, exec_lo, s35
	s_cbranch_vccnz .LBB127_1191
; %bb.1190:
	s_wait_loadcnt 0x0
	global_load_i16 v1, v[8:9], off
	s_wait_loadcnt 0x0
	v_cvt_f32_i32_e32 v1, v1
.LBB127_1191:
	s_mov_b32 s35, 0
.LBB127_1192:
	s_delay_alu instid0(SALU_CYCLE_1)
	s_and_not1_b32 vcc_lo, exec_lo, s35
	s_cbranch_vccnz .LBB127_1198
; %bb.1193:
	s_cmp_gt_i32 s0, 0
	s_mov_b32 s0, 0
	s_cbranch_scc0 .LBB127_1195
; %bb.1194:
	s_wait_loadcnt 0x0
	global_load_i8 v1, v[8:9], off
	s_wait_loadcnt 0x0
	v_cvt_f32_i32_e32 v1, v1
	s_branch .LBB127_1196
.LBB127_1195:
	s_mov_b32 s0, -1
                                        ; implicit-def: $vgpr1
.LBB127_1196:
	s_delay_alu instid0(SALU_CYCLE_1)
	s_and_not1_b32 vcc_lo, exec_lo, s0
	s_cbranch_vccnz .LBB127_1198
; %bb.1197:
	s_wait_loadcnt 0x0
	global_load_u8 v1, v[8:9], off
	s_wait_loadcnt 0x0
	v_cvt_f32_ubyte0_e32 v1, v1
.LBB127_1198:
	s_mov_b32 s36, -1
.LBB127_1199:
	s_delay_alu instid0(SALU_CYCLE_1)
	s_and_not1_b32 vcc_lo, exec_lo, s36
	s_cbranch_vccnz .LBB127_1207
; %bb.1200:
	v_mov_b32_e32 v7, 0
	s_and_b32 s0, s41, 0xff
	s_delay_alu instid0(SALU_CYCLE_1) | instskip(SKIP_1) | instid1(VALU_DEP_1)
	s_cmp_lt_i32 s0, 11
	s_wait_loadcnt 0x0
	v_add_nc_u64_e32 v[6:7], s[8:9], v[6:7]
	s_cbranch_scc1 .LBB127_1208
; %bb.1201:
	s_and_b32 s36, 0xffff, s0
	s_delay_alu instid0(SALU_CYCLE_1)
	s_cmp_gt_i32 s36, 25
	s_cbranch_scc0 .LBB127_1209
; %bb.1202:
	s_cmp_gt_i32 s36, 28
	s_cbranch_scc0 .LBB127_1210
; %bb.1203:
	;; [unrolled: 3-line block ×4, first 2 shown]
	s_cmp_eq_u32 s36, 46
	s_mov_b32 s58, 0
	s_cbranch_scc0 .LBB127_1215
; %bb.1206:
	global_load_b32 v3, v[6:7], off
	s_mov_b32 s37, -1
	s_mov_b32 s35, 0
	s_wait_loadcnt 0x0
	v_lshlrev_b32_e32 v3, 16, v3
	s_branch .LBB127_1217
.LBB127_1207:
	s_mov_b32 s37, 0
	s_mov_b32 s0, s53
	;; [unrolled: 1-line block ×4, first 2 shown]
	s_branch .LBB127_1588
.LBB127_1208:
	s_mov_b32 s36, -1
	s_mov_b32 s37, 0
	s_mov_b32 s35, s55
                                        ; implicit-def: $vgpr3
	s_branch .LBB127_1282
.LBB127_1209:
	s_mov_b32 s58, -1
	s_mov_b32 s37, 0
	s_mov_b32 s35, s55
                                        ; implicit-def: $vgpr3
	s_branch .LBB127_1246
.LBB127_1210:
	s_mov_b32 s58, -1
	s_mov_b32 s37, 0
	s_mov_b32 s35, s55
                                        ; implicit-def: $vgpr3
	s_branch .LBB127_1227
.LBB127_1211:
	s_mov_b32 s58, -1
	s_mov_b32 s37, 0
	s_mov_b32 s35, s55
                                        ; implicit-def: $vgpr3
	s_branch .LBB127_1222
.LBB127_1212:
	s_mov_b32 s58, -1
	s_mov_b32 s37, 0
	s_mov_b32 s35, s55
	s_branch .LBB127_1216
.LBB127_1213:
	s_and_not1_saveexec_b32 s55, s55
	s_cbranch_execz .LBB127_965
.LBB127_1214:
	v_add_f32_e64 v1, 0x46000000, |v4|
	s_and_not1_b32 s54, s54, exec_lo
	s_delay_alu instid0(VALU_DEP_1) | instskip(NEXT) | instid1(VALU_DEP_1)
	v_and_b32_e32 v1, 0xff, v1
	v_cmp_ne_u32_e32 vcc_lo, 0, v1
	s_and_b32 s57, vcc_lo, exec_lo
	s_delay_alu instid0(SALU_CYCLE_1)
	s_or_b32 s54, s54, s57
	s_or_b32 exec_lo, exec_lo, s55
	v_mov_b32_e32 v5, 0
	s_and_saveexec_b32 s55, s54
	s_cbranch_execnz .LBB127_966
	s_branch .LBB127_967
.LBB127_1215:
	s_mov_b32 s35, -1
	s_mov_b32 s37, 0
.LBB127_1216:
                                        ; implicit-def: $vgpr3
.LBB127_1217:
	s_and_b32 vcc_lo, exec_lo, s58
	s_cbranch_vccz .LBB127_1221
; %bb.1218:
	s_cmp_eq_u32 s36, 44
	s_cbranch_scc0 .LBB127_1220
; %bb.1219:
	global_load_u8 v3, v[6:7], off
	s_mov_b32 s35, 0
	s_mov_b32 s37, -1
	s_wait_loadcnt 0x0
	v_lshlrev_b32_e32 v5, 23, v3
	v_cmp_ne_u32_e32 vcc_lo, 0xff, v3
	s_delay_alu instid0(VALU_DEP_2) | instskip(SKIP_1) | instid1(VALU_DEP_2)
	v_cndmask_b32_e32 v5, 0x7f800001, v5, vcc_lo
	v_cmp_ne_u32_e32 vcc_lo, 0, v3
	v_cndmask_b32_e32 v3, 0x400000, v5, vcc_lo
	s_branch .LBB127_1221
.LBB127_1220:
	s_mov_b32 s35, -1
                                        ; implicit-def: $vgpr3
.LBB127_1221:
	s_mov_b32 s58, 0
.LBB127_1222:
	s_delay_alu instid0(SALU_CYCLE_1)
	s_and_b32 vcc_lo, exec_lo, s58
	s_cbranch_vccz .LBB127_1226
; %bb.1223:
	s_cmp_eq_u32 s36, 29
	s_cbranch_scc0 .LBB127_1225
; %bb.1224:
	global_load_b64 v[8:9], v[6:7], off
	s_mov_b32 s37, -1
	s_mov_b32 s35, 0
	s_mov_b32 s58, 0
	s_wait_loadcnt 0x0
	v_clz_i32_u32_e32 v3, v9
	s_delay_alu instid0(VALU_DEP_1) | instskip(NEXT) | instid1(VALU_DEP_1)
	v_min_u32_e32 v3, 32, v3
	v_lshlrev_b64_e32 v[8:9], v3, v[8:9]
	v_sub_nc_u32_e32 v3, 32, v3
	s_delay_alu instid0(VALU_DEP_2) | instskip(NEXT) | instid1(VALU_DEP_1)
	v_min_u32_e32 v5, 1, v8
	v_or_b32_e32 v5, v9, v5
	s_delay_alu instid0(VALU_DEP_1) | instskip(NEXT) | instid1(VALU_DEP_1)
	v_cvt_f32_u32_e32 v5, v5
	v_ldexp_f32 v3, v5, v3
	s_branch .LBB127_1227
.LBB127_1225:
	s_mov_b32 s35, -1
                                        ; implicit-def: $vgpr3
.LBB127_1226:
	s_mov_b32 s58, 0
.LBB127_1227:
	s_delay_alu instid0(SALU_CYCLE_1)
	s_and_b32 vcc_lo, exec_lo, s58
	s_cbranch_vccz .LBB127_1245
; %bb.1228:
	s_cmp_lt_i32 s36, 27
	s_cbranch_scc1 .LBB127_1231
; %bb.1229:
	s_cmp_gt_i32 s36, 27
	s_cbranch_scc0 .LBB127_1232
; %bb.1230:
	global_load_b32 v3, v[6:7], off
	s_mov_b32 s37, 0
	s_wait_loadcnt 0x0
	v_cvt_f32_u32_e32 v3, v3
	s_branch .LBB127_1233
.LBB127_1231:
	s_mov_b32 s37, -1
                                        ; implicit-def: $vgpr3
	s_branch .LBB127_1236
.LBB127_1232:
	s_mov_b32 s37, -1
                                        ; implicit-def: $vgpr3
.LBB127_1233:
	s_delay_alu instid0(SALU_CYCLE_1)
	s_and_not1_b32 vcc_lo, exec_lo, s37
	s_cbranch_vccnz .LBB127_1235
; %bb.1234:
	global_load_u16 v3, v[6:7], off
	s_wait_loadcnt 0x0
	v_cvt_f32_u32_e32 v3, v3
.LBB127_1235:
	s_mov_b32 s37, 0
.LBB127_1236:
	s_delay_alu instid0(SALU_CYCLE_1)
	s_and_not1_b32 vcc_lo, exec_lo, s37
	s_cbranch_vccnz .LBB127_1244
; %bb.1237:
	global_load_u8 v5, v[6:7], off
	s_mov_b32 s37, 0
	s_mov_b32 s58, exec_lo
	s_wait_loadcnt 0x0
	v_cmpx_lt_i16_e32 0x7f, v5
	s_xor_b32 s58, exec_lo, s58
	s_cbranch_execz .LBB127_1258
; %bb.1238:
	s_mov_b32 s37, -1
	s_mov_b32 s59, exec_lo
	v_cmpx_eq_u16_e32 0x80, v5
; %bb.1239:
	s_xor_b32 s37, exec_lo, -1
; %bb.1240:
	s_or_b32 exec_lo, exec_lo, s59
	s_delay_alu instid0(SALU_CYCLE_1)
	s_and_b32 s37, s37, exec_lo
	s_or_saveexec_b32 s58, s58
	v_mov_b32_e32 v3, 0x7f800001
	s_xor_b32 exec_lo, exec_lo, s58
	s_cbranch_execnz .LBB127_1259
.LBB127_1241:
	s_or_b32 exec_lo, exec_lo, s58
	s_and_saveexec_b32 s58, s37
	s_cbranch_execz .LBB127_1243
.LBB127_1242:
	v_and_b32_e32 v3, 0xffff, v5
	s_delay_alu instid0(VALU_DEP_1) | instskip(SKIP_1) | instid1(VALU_DEP_2)
	v_and_b32_e32 v8, 7, v3
	v_bfe_u32 v11, v3, 3, 4
	v_clz_i32_u32_e32 v9, v8
	s_delay_alu instid0(VALU_DEP_2) | instskip(NEXT) | instid1(VALU_DEP_2)
	v_cmp_eq_u32_e32 vcc_lo, 0, v11
	v_min_u32_e32 v9, 32, v9
	s_delay_alu instid0(VALU_DEP_1) | instskip(NEXT) | instid1(VALU_DEP_1)
	v_subrev_nc_u32_e32 v10, 28, v9
	v_dual_lshlrev_b32 v3, v10, v3 :: v_dual_sub_nc_u32 v9, 29, v9
	s_delay_alu instid0(VALU_DEP_1) | instskip(NEXT) | instid1(VALU_DEP_1)
	v_dual_lshlrev_b32 v5, 24, v5 :: v_dual_bitop2_b32 v3, 7, v3 bitop3:0x40
	v_dual_cndmask_b32 v3, v8, v3, vcc_lo :: v_dual_cndmask_b32 v9, v11, v9, vcc_lo
	s_delay_alu instid0(VALU_DEP_2) | instskip(NEXT) | instid1(VALU_DEP_2)
	v_and_b32_e32 v5, 0x80000000, v5
	v_lshlrev_b32_e32 v3, 20, v3
	s_delay_alu instid0(VALU_DEP_3) | instskip(NEXT) | instid1(VALU_DEP_1)
	v_lshl_add_u32 v8, v9, 23, 0x3b800000
	v_or3_b32 v3, v5, v8, v3
.LBB127_1243:
	s_or_b32 exec_lo, exec_lo, s58
.LBB127_1244:
	s_mov_b32 s37, -1
.LBB127_1245:
	s_mov_b32 s58, 0
.LBB127_1246:
	s_delay_alu instid0(SALU_CYCLE_1)
	s_and_b32 vcc_lo, exec_lo, s58
	s_cbranch_vccz .LBB127_1281
; %bb.1247:
	s_cmp_gt_i32 s36, 22
	s_cbranch_scc0 .LBB127_1257
; %bb.1248:
	s_cmp_lt_i32 s36, 24
	s_cbranch_scc1 .LBB127_1260
; %bb.1249:
	s_cmp_gt_i32 s36, 24
	s_cbranch_scc0 .LBB127_1261
; %bb.1250:
	global_load_u8 v5, v[6:7], off
	s_mov_b32 s37, 0
	s_mov_b32 s58, exec_lo
	s_wait_loadcnt 0x0
	v_cmpx_lt_i16_e32 0x7f, v5
	s_xor_b32 s58, exec_lo, s58
	s_cbranch_execz .LBB127_1273
; %bb.1251:
	s_mov_b32 s37, -1
	s_mov_b32 s59, exec_lo
	v_cmpx_eq_u16_e32 0x80, v5
; %bb.1252:
	s_xor_b32 s37, exec_lo, -1
; %bb.1253:
	s_or_b32 exec_lo, exec_lo, s59
	s_delay_alu instid0(SALU_CYCLE_1)
	s_and_b32 s37, s37, exec_lo
	s_or_saveexec_b32 s58, s58
	v_mov_b32_e32 v3, 0x7f800001
	s_xor_b32 exec_lo, exec_lo, s58
	s_cbranch_execnz .LBB127_1274
.LBB127_1254:
	s_or_b32 exec_lo, exec_lo, s58
	s_and_saveexec_b32 s58, s37
	s_cbranch_execz .LBB127_1256
.LBB127_1255:
	v_and_b32_e32 v3, 0xffff, v5
	s_delay_alu instid0(VALU_DEP_1) | instskip(SKIP_1) | instid1(VALU_DEP_2)
	v_and_b32_e32 v8, 3, v3
	v_bfe_u32 v11, v3, 2, 5
	v_clz_i32_u32_e32 v9, v8
	s_delay_alu instid0(VALU_DEP_2) | instskip(NEXT) | instid1(VALU_DEP_2)
	v_cmp_eq_u32_e32 vcc_lo, 0, v11
	v_min_u32_e32 v9, 32, v9
	s_delay_alu instid0(VALU_DEP_1) | instskip(NEXT) | instid1(VALU_DEP_1)
	v_subrev_nc_u32_e32 v10, 29, v9
	v_dual_lshlrev_b32 v3, v10, v3 :: v_dual_sub_nc_u32 v9, 30, v9
	s_delay_alu instid0(VALU_DEP_1) | instskip(NEXT) | instid1(VALU_DEP_1)
	v_dual_lshlrev_b32 v5, 24, v5 :: v_dual_bitop2_b32 v3, 3, v3 bitop3:0x40
	v_dual_cndmask_b32 v3, v8, v3, vcc_lo :: v_dual_cndmask_b32 v9, v11, v9, vcc_lo
	s_delay_alu instid0(VALU_DEP_2) | instskip(NEXT) | instid1(VALU_DEP_2)
	v_and_b32_e32 v5, 0x80000000, v5
	v_lshlrev_b32_e32 v3, 21, v3
	s_delay_alu instid0(VALU_DEP_3) | instskip(NEXT) | instid1(VALU_DEP_1)
	v_lshl_add_u32 v8, v9, 23, 0x37800000
	v_or3_b32 v3, v5, v8, v3
.LBB127_1256:
	s_or_b32 exec_lo, exec_lo, s58
	s_mov_b32 s37, 0
	s_branch .LBB127_1262
.LBB127_1257:
	s_mov_b32 s58, -1
                                        ; implicit-def: $vgpr3
	s_branch .LBB127_1268
.LBB127_1258:
	s_or_saveexec_b32 s58, s58
	v_mov_b32_e32 v3, 0x7f800001
	s_xor_b32 exec_lo, exec_lo, s58
	s_cbranch_execz .LBB127_1241
.LBB127_1259:
	v_cmp_ne_u16_e32 vcc_lo, 0, v5
	v_mov_b32_e32 v3, 0
	s_and_not1_b32 s37, s37, exec_lo
	s_and_b32 s59, vcc_lo, exec_lo
	s_delay_alu instid0(SALU_CYCLE_1)
	s_or_b32 s37, s37, s59
	s_or_b32 exec_lo, exec_lo, s58
	s_and_saveexec_b32 s58, s37
	s_cbranch_execnz .LBB127_1242
	s_branch .LBB127_1243
.LBB127_1260:
	s_mov_b32 s37, -1
                                        ; implicit-def: $vgpr3
	s_branch .LBB127_1265
.LBB127_1261:
	s_mov_b32 s37, -1
                                        ; implicit-def: $vgpr3
.LBB127_1262:
	s_delay_alu instid0(SALU_CYCLE_1)
	s_and_b32 vcc_lo, exec_lo, s37
	s_cbranch_vccz .LBB127_1264
; %bb.1263:
	global_load_u8 v3, v[6:7], off
	s_wait_loadcnt 0x0
	v_lshlrev_b32_e32 v3, 24, v3
	s_delay_alu instid0(VALU_DEP_1) | instskip(SKIP_1) | instid1(VALU_DEP_1)
	v_and_b32_e32 v5, 0x7f000000, v3
	s_wait_xcnt 0x1
	v_clz_i32_u32_e32 v8, v5
	v_cmp_ne_u32_e32 vcc_lo, 0, v5
	v_add_nc_u32_e32 v10, 0x1000000, v5
	s_delay_alu instid0(VALU_DEP_3) | instskip(NEXT) | instid1(VALU_DEP_1)
	v_min_u32_e32 v8, 32, v8
	v_sub_nc_u32_e64 v8, v8, 4 clamp
	s_delay_alu instid0(VALU_DEP_1) | instskip(NEXT) | instid1(VALU_DEP_1)
	v_dual_lshlrev_b32 v9, v8, v5 :: v_dual_lshlrev_b32 v8, 23, v8
	v_lshrrev_b32_e32 v9, 4, v9
	s_delay_alu instid0(VALU_DEP_1) | instskip(NEXT) | instid1(VALU_DEP_1)
	v_dual_sub_nc_u32 v8, v9, v8 :: v_dual_ashrrev_i32 v9, 8, v10
	v_add_nc_u32_e32 v8, 0x3c000000, v8
	s_delay_alu instid0(VALU_DEP_1) | instskip(NEXT) | instid1(VALU_DEP_1)
	v_and_or_b32 v8, 0x7f800000, v9, v8
	v_cndmask_b32_e32 v5, 0, v8, vcc_lo
	s_delay_alu instid0(VALU_DEP_1)
	v_and_or_b32 v3, 0x80000000, v3, v5
.LBB127_1264:
	s_mov_b32 s37, 0
.LBB127_1265:
	s_delay_alu instid0(SALU_CYCLE_1)
	s_and_not1_b32 vcc_lo, exec_lo, s37
	s_cbranch_vccnz .LBB127_1267
; %bb.1266:
	global_load_u8 v3, v[6:7], off
	s_wait_loadcnt 0x0
	v_lshlrev_b32_e32 v5, 25, v3
	v_lshlrev_b16 v3, 8, v3
	s_wait_xcnt 0x1
	s_delay_alu instid0(VALU_DEP_1) | instskip(SKIP_1) | instid1(VALU_DEP_2)
	v_and_or_b32 v9, 0x7f00, v3, 0.5
	v_bfe_i32 v3, v3, 0, 16
	v_add_f32_e32 v9, -0.5, v9
	v_lshrrev_b32_e32 v8, 4, v5
	v_cmp_gt_u32_e32 vcc_lo, 0x8000000, v5
	s_delay_alu instid0(VALU_DEP_2) | instskip(NEXT) | instid1(VALU_DEP_1)
	v_or_b32_e32 v8, 0x70000000, v8
	v_mul_f32_e32 v8, 0x7800000, v8
	s_delay_alu instid0(VALU_DEP_1) | instskip(NEXT) | instid1(VALU_DEP_1)
	v_cndmask_b32_e32 v5, v8, v9, vcc_lo
	v_and_or_b32 v3, 0x80000000, v3, v5
.LBB127_1267:
	s_mov_b32 s58, 0
	s_mov_b32 s37, -1
.LBB127_1268:
	s_and_not1_b32 vcc_lo, exec_lo, s58
	s_cbranch_vccnz .LBB127_1281
; %bb.1269:
	s_cmp_gt_i32 s36, 14
	s_cbranch_scc0 .LBB127_1272
; %bb.1270:
	s_cmp_eq_u32 s36, 15
	s_cbranch_scc0 .LBB127_1275
; %bb.1271:
	global_load_u16 v3, v[6:7], off
	s_mov_b32 s37, -1
	s_mov_b32 s35, 0
	s_wait_loadcnt 0x0
	v_lshlrev_b32_e32 v3, 16, v3
	s_branch .LBB127_1276
.LBB127_1272:
	s_mov_b32 s58, -1
                                        ; implicit-def: $vgpr3
	s_branch .LBB127_1277
.LBB127_1273:
	s_or_saveexec_b32 s58, s58
	v_mov_b32_e32 v3, 0x7f800001
	s_xor_b32 exec_lo, exec_lo, s58
	s_cbranch_execz .LBB127_1254
.LBB127_1274:
	v_cmp_ne_u16_e32 vcc_lo, 0, v5
	v_mov_b32_e32 v3, 0
	s_and_not1_b32 s37, s37, exec_lo
	s_and_b32 s59, vcc_lo, exec_lo
	s_delay_alu instid0(SALU_CYCLE_1)
	s_or_b32 s37, s37, s59
	s_or_b32 exec_lo, exec_lo, s58
	s_and_saveexec_b32 s58, s37
	s_cbranch_execnz .LBB127_1255
	s_branch .LBB127_1256
.LBB127_1275:
	s_mov_b32 s35, -1
                                        ; implicit-def: $vgpr3
.LBB127_1276:
	s_mov_b32 s58, 0
.LBB127_1277:
	s_delay_alu instid0(SALU_CYCLE_1)
	s_and_b32 vcc_lo, exec_lo, s58
	s_cbranch_vccz .LBB127_1281
; %bb.1278:
	s_cmp_eq_u32 s36, 11
	s_cbranch_scc0 .LBB127_1280
; %bb.1279:
	global_load_u8 v3, v[6:7], off
	s_mov_b32 s35, 0
	s_mov_b32 s37, -1
	s_wait_loadcnt 0x0
	v_cmp_ne_u16_e32 vcc_lo, 0, v3
	v_cndmask_b32_e64 v3, 0, 1.0, vcc_lo
	s_branch .LBB127_1281
.LBB127_1280:
	s_mov_b32 s35, -1
                                        ; implicit-def: $vgpr3
.LBB127_1281:
	s_mov_b32 s36, 0
.LBB127_1282:
	s_delay_alu instid0(SALU_CYCLE_1)
	s_and_b32 vcc_lo, exec_lo, s36
	s_cbranch_vccz .LBB127_1331
; %bb.1283:
	s_and_b32 s0, 0xffff, s0
	s_delay_alu instid0(SALU_CYCLE_1)
	s_cmp_lt_i32 s0, 5
	s_cbranch_scc1 .LBB127_1288
; %bb.1284:
	s_cmp_lt_i32 s0, 8
	s_cbranch_scc1 .LBB127_1289
; %bb.1285:
	;; [unrolled: 3-line block ×3, first 2 shown]
	s_cmp_gt_i32 s0, 9
	s_cbranch_scc0 .LBB127_1291
; %bb.1287:
	global_load_b64 v[8:9], v[6:7], off
	s_mov_b32 s36, 0
	s_wait_loadcnt 0x0
	v_cvt_f32_f64_e32 v3, v[8:9]
	s_branch .LBB127_1292
.LBB127_1288:
	s_mov_b32 s36, -1
                                        ; implicit-def: $vgpr3
	s_branch .LBB127_1310
.LBB127_1289:
	s_mov_b32 s36, -1
                                        ; implicit-def: $vgpr3
	s_branch .LBB127_1298
.LBB127_1290:
	s_mov_b32 s36, -1
                                        ; implicit-def: $vgpr3
	s_branch .LBB127_1295
.LBB127_1291:
	s_mov_b32 s36, -1
                                        ; implicit-def: $vgpr3
.LBB127_1292:
	s_delay_alu instid0(SALU_CYCLE_1)
	s_and_not1_b32 vcc_lo, exec_lo, s36
	s_cbranch_vccnz .LBB127_1294
; %bb.1293:
	global_load_b32 v3, v[6:7], off
.LBB127_1294:
	s_mov_b32 s36, 0
.LBB127_1295:
	s_delay_alu instid0(SALU_CYCLE_1)
	s_and_not1_b32 vcc_lo, exec_lo, s36
	s_cbranch_vccnz .LBB127_1297
; %bb.1296:
	s_wait_loadcnt 0x0
	global_load_b32 v3, v[6:7], off
	s_wait_loadcnt 0x0
	v_cvt_f32_f16_e32 v3, v3
.LBB127_1297:
	s_mov_b32 s36, 0
.LBB127_1298:
	s_delay_alu instid0(SALU_CYCLE_1)
	s_and_not1_b32 vcc_lo, exec_lo, s36
	s_cbranch_vccnz .LBB127_1309
; %bb.1299:
	s_cmp_lt_i32 s0, 6
	s_cbranch_scc1 .LBB127_1302
; %bb.1300:
	s_cmp_gt_i32 s0, 6
	s_cbranch_scc0 .LBB127_1303
; %bb.1301:
	global_load_b64 v[8:9], v[6:7], off
	s_mov_b32 s36, 0
	s_wait_loadcnt 0x0
	v_cvt_f32_f64_e32 v3, v[8:9]
	s_branch .LBB127_1304
.LBB127_1302:
	s_mov_b32 s36, -1
                                        ; implicit-def: $vgpr3
	s_branch .LBB127_1307
.LBB127_1303:
	s_mov_b32 s36, -1
                                        ; implicit-def: $vgpr3
.LBB127_1304:
	s_delay_alu instid0(SALU_CYCLE_1)
	s_and_not1_b32 vcc_lo, exec_lo, s36
	s_cbranch_vccnz .LBB127_1306
; %bb.1305:
	s_wait_loadcnt 0x0
	global_load_b32 v3, v[6:7], off
.LBB127_1306:
	s_mov_b32 s36, 0
.LBB127_1307:
	s_delay_alu instid0(SALU_CYCLE_1)
	s_and_not1_b32 vcc_lo, exec_lo, s36
	s_cbranch_vccnz .LBB127_1309
; %bb.1308:
	s_wait_loadcnt 0x0
	global_load_u16 v3, v[6:7], off
	s_wait_loadcnt 0x0
	v_cvt_f32_f16_e32 v3, v3
.LBB127_1309:
	s_mov_b32 s36, 0
.LBB127_1310:
	s_delay_alu instid0(SALU_CYCLE_1)
	s_and_not1_b32 vcc_lo, exec_lo, s36
	s_cbranch_vccnz .LBB127_1330
; %bb.1311:
	s_cmp_lt_i32 s0, 2
	s_cbranch_scc1 .LBB127_1315
; %bb.1312:
	s_cmp_lt_i32 s0, 3
	s_cbranch_scc1 .LBB127_1316
; %bb.1313:
	s_cmp_gt_i32 s0, 3
	s_cbranch_scc0 .LBB127_1317
; %bb.1314:
	global_load_b64 v[8:9], v[6:7], off
	s_mov_b32 s36, 0
	s_wait_loadcnt 0x0
	v_xor_b32_e32 v3, v8, v9
	v_cls_i32_e32 v5, v9
	s_delay_alu instid0(VALU_DEP_2) | instskip(NEXT) | instid1(VALU_DEP_1)
	v_ashrrev_i32_e32 v3, 31, v3
	v_add_nc_u32_e32 v3, 32, v3
	s_delay_alu instid0(VALU_DEP_1) | instskip(NEXT) | instid1(VALU_DEP_1)
	v_add_min_u32_e64 v3, v5, -1, v3
	v_lshlrev_b64_e32 v[8:9], v3, v[8:9]
	v_sub_nc_u32_e32 v3, 32, v3
	s_delay_alu instid0(VALU_DEP_2) | instskip(NEXT) | instid1(VALU_DEP_1)
	v_min_u32_e32 v5, 1, v8
	v_or_b32_e32 v5, v9, v5
	s_delay_alu instid0(VALU_DEP_1) | instskip(NEXT) | instid1(VALU_DEP_1)
	v_cvt_f32_i32_e32 v5, v5
	v_ldexp_f32 v3, v5, v3
	s_branch .LBB127_1318
.LBB127_1315:
	s_mov_b32 s36, -1
                                        ; implicit-def: $vgpr3
	s_branch .LBB127_1324
.LBB127_1316:
	s_mov_b32 s36, -1
                                        ; implicit-def: $vgpr3
	s_branch .LBB127_1321
.LBB127_1317:
	s_mov_b32 s36, -1
                                        ; implicit-def: $vgpr3
.LBB127_1318:
	s_delay_alu instid0(SALU_CYCLE_1)
	s_and_not1_b32 vcc_lo, exec_lo, s36
	s_cbranch_vccnz .LBB127_1320
; %bb.1319:
	s_wait_loadcnt 0x0
	global_load_b32 v3, v[6:7], off
	s_wait_loadcnt 0x0
	v_cvt_f32_i32_e32 v3, v3
.LBB127_1320:
	s_mov_b32 s36, 0
.LBB127_1321:
	s_delay_alu instid0(SALU_CYCLE_1)
	s_and_not1_b32 vcc_lo, exec_lo, s36
	s_cbranch_vccnz .LBB127_1323
; %bb.1322:
	s_wait_loadcnt 0x0
	global_load_i16 v3, v[6:7], off
	s_wait_loadcnt 0x0
	v_cvt_f32_i32_e32 v3, v3
.LBB127_1323:
	s_mov_b32 s36, 0
.LBB127_1324:
	s_delay_alu instid0(SALU_CYCLE_1)
	s_and_not1_b32 vcc_lo, exec_lo, s36
	s_cbranch_vccnz .LBB127_1330
; %bb.1325:
	s_cmp_gt_i32 s0, 0
	s_mov_b32 s0, 0
	s_cbranch_scc0 .LBB127_1327
; %bb.1326:
	s_wait_loadcnt 0x0
	global_load_i8 v3, v[6:7], off
	s_wait_loadcnt 0x0
	v_cvt_f32_i32_e32 v3, v3
	s_branch .LBB127_1328
.LBB127_1327:
	s_mov_b32 s0, -1
                                        ; implicit-def: $vgpr3
.LBB127_1328:
	s_delay_alu instid0(SALU_CYCLE_1)
	s_and_not1_b32 vcc_lo, exec_lo, s0
	s_cbranch_vccnz .LBB127_1330
; %bb.1329:
	s_wait_loadcnt 0x0
	global_load_u8 v3, v[6:7], off
	s_wait_loadcnt 0x0
	v_cvt_f32_ubyte0_e32 v3, v3
.LBB127_1330:
	s_mov_b32 s37, -1
.LBB127_1331:
	s_delay_alu instid0(SALU_CYCLE_1)
	s_and_not1_b32 vcc_lo, exec_lo, s37
	s_cbranch_vccnz .LBB127_1339
; %bb.1332:
	v_mov_b32_e32 v5, 0
	s_and_b32 s0, 0xffff, s21
	s_delay_alu instid0(SALU_CYCLE_1) | instskip(NEXT) | instid1(VALU_DEP_1)
	s_cmp_lt_i32 s0, 11
	v_add_nc_u64_e32 v[4:5], s[10:11], v[4:5]
	s_cbranch_scc1 .LBB127_1340
; %bb.1333:
	s_cmp_gt_i32 s0, 25
	s_cbranch_scc0 .LBB127_1341
; %bb.1334:
	s_cmp_gt_i32 s0, 28
	s_cbranch_scc0 .LBB127_1342
	;; [unrolled: 3-line block ×4, first 2 shown]
; %bb.1337:
	s_cmp_eq_u32 s0, 46
	s_mov_b32 s58, 0
	s_cbranch_scc0 .LBB127_1347
; %bb.1338:
	global_load_b32 v6, v[4:5], off
	s_mov_b32 s37, -1
	s_mov_b32 s36, 0
	s_wait_loadcnt 0x0
	v_lshlrev_b32_e32 v6, 16, v6
	s_branch .LBB127_1349
.LBB127_1339:
	s_mov_b32 s37, 0
	s_mov_b32 s0, s53
	;; [unrolled: 1-line block ×3, first 2 shown]
	s_branch .LBB127_1588
.LBB127_1340:
	s_mov_b32 s58, -1
	s_mov_b32 s37, 0
	s_mov_b32 s36, s54
                                        ; implicit-def: $vgpr6
	s_branch .LBB127_1414
.LBB127_1341:
	s_mov_b32 s58, -1
	s_mov_b32 s37, 0
	s_mov_b32 s36, s54
                                        ; implicit-def: $vgpr6
	s_branch .LBB127_1378
.LBB127_1342:
	s_mov_b32 s58, -1
	s_mov_b32 s37, 0
	s_mov_b32 s36, s54
                                        ; implicit-def: $vgpr6
	s_branch .LBB127_1359
.LBB127_1343:
	s_mov_b32 s58, -1
	s_mov_b32 s37, 0
	s_mov_b32 s36, s54
                                        ; implicit-def: $vgpr6
	s_branch .LBB127_1354
.LBB127_1344:
	s_mov_b32 s58, -1
	s_mov_b32 s37, 0
	s_mov_b32 s36, s54
	s_branch .LBB127_1348
.LBB127_1345:
	s_and_not1_saveexec_b32 s55, s55
	s_cbranch_execz .LBB127_978
.LBB127_1346:
	v_add_f32_e64 v1, 0x42800000, |v4|
	s_and_not1_b32 s54, s54, exec_lo
	s_delay_alu instid0(VALU_DEP_1) | instskip(NEXT) | instid1(VALU_DEP_1)
	v_and_b32_e32 v1, 0xff, v1
	v_cmp_ne_u32_e32 vcc_lo, 0, v1
	s_and_b32 s57, vcc_lo, exec_lo
	s_delay_alu instid0(SALU_CYCLE_1)
	s_or_b32 s54, s54, s57
	s_or_b32 exec_lo, exec_lo, s55
	v_mov_b32_e32 v5, 0
	s_and_saveexec_b32 s55, s54
	s_cbranch_execnz .LBB127_979
	s_branch .LBB127_980
.LBB127_1347:
	s_mov_b32 s36, -1
	s_mov_b32 s37, 0
.LBB127_1348:
                                        ; implicit-def: $vgpr6
.LBB127_1349:
	s_and_b32 vcc_lo, exec_lo, s58
	s_cbranch_vccz .LBB127_1353
; %bb.1350:
	s_cmp_eq_u32 s0, 44
	s_cbranch_scc0 .LBB127_1352
; %bb.1351:
	global_load_u8 v6, v[4:5], off
	s_mov_b32 s36, 0
	s_mov_b32 s37, -1
	s_wait_loadcnt 0x0
	v_lshlrev_b32_e32 v7, 23, v6
	v_cmp_ne_u32_e32 vcc_lo, 0xff, v6
	s_delay_alu instid0(VALU_DEP_2) | instskip(SKIP_1) | instid1(VALU_DEP_2)
	v_cndmask_b32_e32 v7, 0x7f800001, v7, vcc_lo
	v_cmp_ne_u32_e32 vcc_lo, 0, v6
	v_cndmask_b32_e32 v6, 0x400000, v7, vcc_lo
	s_branch .LBB127_1353
.LBB127_1352:
	s_mov_b32 s36, -1
                                        ; implicit-def: $vgpr6
.LBB127_1353:
	s_mov_b32 s58, 0
.LBB127_1354:
	s_delay_alu instid0(SALU_CYCLE_1)
	s_and_b32 vcc_lo, exec_lo, s58
	s_cbranch_vccz .LBB127_1358
; %bb.1355:
	s_cmp_eq_u32 s0, 29
	s_cbranch_scc0 .LBB127_1357
; %bb.1356:
	global_load_b64 v[6:7], v[4:5], off
	s_mov_b32 s37, -1
	s_mov_b32 s36, 0
	s_mov_b32 s58, 0
	s_wait_loadcnt 0x0
	v_clz_i32_u32_e32 v8, v7
	s_delay_alu instid0(VALU_DEP_1) | instskip(NEXT) | instid1(VALU_DEP_1)
	v_min_u32_e32 v8, 32, v8
	v_lshlrev_b64_e32 v[6:7], v8, v[6:7]
	s_delay_alu instid0(VALU_DEP_1) | instskip(NEXT) | instid1(VALU_DEP_1)
	v_min_u32_e32 v6, 1, v6
	v_dual_sub_nc_u32 v7, 32, v8 :: v_dual_bitop2_b32 v6, v7, v6 bitop3:0x54
	s_delay_alu instid0(VALU_DEP_1) | instskip(NEXT) | instid1(VALU_DEP_1)
	v_cvt_f32_u32_e32 v6, v6
	v_ldexp_f32 v6, v6, v7
	s_branch .LBB127_1359
.LBB127_1357:
	s_mov_b32 s36, -1
                                        ; implicit-def: $vgpr6
.LBB127_1358:
	s_mov_b32 s58, 0
.LBB127_1359:
	s_delay_alu instid0(SALU_CYCLE_1)
	s_and_b32 vcc_lo, exec_lo, s58
	s_cbranch_vccz .LBB127_1377
; %bb.1360:
	s_cmp_lt_i32 s0, 27
	s_cbranch_scc1 .LBB127_1363
; %bb.1361:
	s_cmp_gt_i32 s0, 27
	s_cbranch_scc0 .LBB127_1364
; %bb.1362:
	global_load_b32 v6, v[4:5], off
	s_mov_b32 s37, 0
	s_wait_loadcnt 0x0
	v_cvt_f32_u32_e32 v6, v6
	s_branch .LBB127_1365
.LBB127_1363:
	s_mov_b32 s37, -1
                                        ; implicit-def: $vgpr6
	s_branch .LBB127_1368
.LBB127_1364:
	s_mov_b32 s37, -1
                                        ; implicit-def: $vgpr6
.LBB127_1365:
	s_delay_alu instid0(SALU_CYCLE_1)
	s_and_not1_b32 vcc_lo, exec_lo, s37
	s_cbranch_vccnz .LBB127_1367
; %bb.1366:
	global_load_u16 v6, v[4:5], off
	s_wait_loadcnt 0x0
	v_cvt_f32_u32_e32 v6, v6
.LBB127_1367:
	s_mov_b32 s37, 0
.LBB127_1368:
	s_delay_alu instid0(SALU_CYCLE_1)
	s_and_not1_b32 vcc_lo, exec_lo, s37
	s_cbranch_vccnz .LBB127_1376
; %bb.1369:
	global_load_u8 v7, v[4:5], off
	s_mov_b32 s37, 0
	s_mov_b32 s58, exec_lo
	s_wait_loadcnt 0x0
	v_cmpx_lt_i16_e32 0x7f, v7
	s_xor_b32 s58, exec_lo, s58
	s_cbranch_execz .LBB127_1390
; %bb.1370:
	s_mov_b32 s37, -1
	s_mov_b32 s59, exec_lo
	v_cmpx_eq_u16_e32 0x80, v7
; %bb.1371:
	s_xor_b32 s37, exec_lo, -1
; %bb.1372:
	s_or_b32 exec_lo, exec_lo, s59
	s_delay_alu instid0(SALU_CYCLE_1)
	s_and_b32 s37, s37, exec_lo
	s_or_saveexec_b32 s58, s58
	v_mov_b32_e32 v6, 0x7f800001
	s_xor_b32 exec_lo, exec_lo, s58
	s_cbranch_execnz .LBB127_1391
.LBB127_1373:
	s_or_b32 exec_lo, exec_lo, s58
	s_and_saveexec_b32 s58, s37
	s_cbranch_execz .LBB127_1375
.LBB127_1374:
	v_and_b32_e32 v6, 0xffff, v7
	s_delay_alu instid0(VALU_DEP_1) | instskip(SKIP_1) | instid1(VALU_DEP_2)
	v_and_b32_e32 v8, 7, v6
	v_bfe_u32 v11, v6, 3, 4
	v_clz_i32_u32_e32 v9, v8
	s_delay_alu instid0(VALU_DEP_2) | instskip(NEXT) | instid1(VALU_DEP_2)
	v_cmp_eq_u32_e32 vcc_lo, 0, v11
	v_min_u32_e32 v9, 32, v9
	s_delay_alu instid0(VALU_DEP_1) | instskip(NEXT) | instid1(VALU_DEP_1)
	v_subrev_nc_u32_e32 v10, 28, v9
	v_dual_lshlrev_b32 v6, v10, v6 :: v_dual_sub_nc_u32 v9, 29, v9
	s_delay_alu instid0(VALU_DEP_1) | instskip(NEXT) | instid1(VALU_DEP_1)
	v_dual_lshlrev_b32 v7, 24, v7 :: v_dual_bitop2_b32 v6, 7, v6 bitop3:0x40
	v_dual_cndmask_b32 v9, v11, v9 :: v_dual_cndmask_b32 v6, v8, v6
	s_delay_alu instid0(VALU_DEP_2) | instskip(NEXT) | instid1(VALU_DEP_2)
	v_and_b32_e32 v7, 0x80000000, v7
	v_lshl_add_u32 v8, v9, 23, 0x3b800000
	s_delay_alu instid0(VALU_DEP_3) | instskip(NEXT) | instid1(VALU_DEP_1)
	v_lshlrev_b32_e32 v6, 20, v6
	v_or3_b32 v6, v7, v8, v6
.LBB127_1375:
	s_or_b32 exec_lo, exec_lo, s58
.LBB127_1376:
	s_mov_b32 s37, -1
.LBB127_1377:
	s_mov_b32 s58, 0
.LBB127_1378:
	s_delay_alu instid0(SALU_CYCLE_1)
	s_and_b32 vcc_lo, exec_lo, s58
	s_cbranch_vccz .LBB127_1413
; %bb.1379:
	s_cmp_gt_i32 s0, 22
	s_cbranch_scc0 .LBB127_1389
; %bb.1380:
	s_cmp_lt_i32 s0, 24
	s_cbranch_scc1 .LBB127_1392
; %bb.1381:
	s_cmp_gt_i32 s0, 24
	s_cbranch_scc0 .LBB127_1393
; %bb.1382:
	global_load_u8 v7, v[4:5], off
	s_mov_b32 s37, 0
	s_mov_b32 s58, exec_lo
	s_wait_loadcnt 0x0
	v_cmpx_lt_i16_e32 0x7f, v7
	s_xor_b32 s58, exec_lo, s58
	s_cbranch_execz .LBB127_1405
; %bb.1383:
	s_mov_b32 s37, -1
	s_mov_b32 s59, exec_lo
	v_cmpx_eq_u16_e32 0x80, v7
; %bb.1384:
	s_xor_b32 s37, exec_lo, -1
; %bb.1385:
	s_or_b32 exec_lo, exec_lo, s59
	s_delay_alu instid0(SALU_CYCLE_1)
	s_and_b32 s37, s37, exec_lo
	s_or_saveexec_b32 s58, s58
	v_mov_b32_e32 v6, 0x7f800001
	s_xor_b32 exec_lo, exec_lo, s58
	s_cbranch_execnz .LBB127_1406
.LBB127_1386:
	s_or_b32 exec_lo, exec_lo, s58
	s_and_saveexec_b32 s58, s37
	s_cbranch_execz .LBB127_1388
.LBB127_1387:
	v_and_b32_e32 v6, 0xffff, v7
	s_delay_alu instid0(VALU_DEP_1) | instskip(SKIP_1) | instid1(VALU_DEP_2)
	v_and_b32_e32 v8, 3, v6
	v_bfe_u32 v11, v6, 2, 5
	v_clz_i32_u32_e32 v9, v8
	s_delay_alu instid0(VALU_DEP_2) | instskip(NEXT) | instid1(VALU_DEP_2)
	v_cmp_eq_u32_e32 vcc_lo, 0, v11
	v_min_u32_e32 v9, 32, v9
	s_delay_alu instid0(VALU_DEP_1) | instskip(NEXT) | instid1(VALU_DEP_1)
	v_subrev_nc_u32_e32 v10, 29, v9
	v_dual_lshlrev_b32 v6, v10, v6 :: v_dual_sub_nc_u32 v9, 30, v9
	s_delay_alu instid0(VALU_DEP_1) | instskip(NEXT) | instid1(VALU_DEP_1)
	v_dual_lshlrev_b32 v7, 24, v7 :: v_dual_bitop2_b32 v6, 3, v6 bitop3:0x40
	v_dual_cndmask_b32 v9, v11, v9 :: v_dual_cndmask_b32 v6, v8, v6
	s_delay_alu instid0(VALU_DEP_2) | instskip(NEXT) | instid1(VALU_DEP_2)
	v_and_b32_e32 v7, 0x80000000, v7
	v_lshl_add_u32 v8, v9, 23, 0x37800000
	s_delay_alu instid0(VALU_DEP_3) | instskip(NEXT) | instid1(VALU_DEP_1)
	v_lshlrev_b32_e32 v6, 21, v6
	v_or3_b32 v6, v7, v8, v6
.LBB127_1388:
	s_or_b32 exec_lo, exec_lo, s58
	s_mov_b32 s37, 0
	s_branch .LBB127_1394
.LBB127_1389:
	s_mov_b32 s58, -1
                                        ; implicit-def: $vgpr6
	s_branch .LBB127_1400
.LBB127_1390:
	s_or_saveexec_b32 s58, s58
	v_mov_b32_e32 v6, 0x7f800001
	s_xor_b32 exec_lo, exec_lo, s58
	s_cbranch_execz .LBB127_1373
.LBB127_1391:
	v_cmp_ne_u16_e32 vcc_lo, 0, v7
	v_mov_b32_e32 v6, 0
	s_and_not1_b32 s37, s37, exec_lo
	s_and_b32 s59, vcc_lo, exec_lo
	s_delay_alu instid0(SALU_CYCLE_1)
	s_or_b32 s37, s37, s59
	s_or_b32 exec_lo, exec_lo, s58
	s_and_saveexec_b32 s58, s37
	s_cbranch_execnz .LBB127_1374
	s_branch .LBB127_1375
.LBB127_1392:
	s_mov_b32 s37, -1
                                        ; implicit-def: $vgpr6
	s_branch .LBB127_1397
.LBB127_1393:
	s_mov_b32 s37, -1
                                        ; implicit-def: $vgpr6
.LBB127_1394:
	s_delay_alu instid0(SALU_CYCLE_1)
	s_and_b32 vcc_lo, exec_lo, s37
	s_cbranch_vccz .LBB127_1396
; %bb.1395:
	global_load_u8 v6, v[4:5], off
	s_wait_loadcnt 0x0
	v_lshlrev_b32_e32 v6, 24, v6
	s_delay_alu instid0(VALU_DEP_1) | instskip(NEXT) | instid1(VALU_DEP_1)
	v_and_b32_e32 v7, 0x7f000000, v6
	v_clz_i32_u32_e32 v8, v7
	v_cmp_ne_u32_e32 vcc_lo, 0, v7
	v_add_nc_u32_e32 v10, 0x1000000, v7
	s_delay_alu instid0(VALU_DEP_3) | instskip(NEXT) | instid1(VALU_DEP_1)
	v_min_u32_e32 v8, 32, v8
	v_sub_nc_u32_e64 v8, v8, 4 clamp
	s_delay_alu instid0(VALU_DEP_1) | instskip(NEXT) | instid1(VALU_DEP_1)
	v_dual_lshlrev_b32 v9, v8, v7 :: v_dual_lshlrev_b32 v8, 23, v8
	v_lshrrev_b32_e32 v9, 4, v9
	s_delay_alu instid0(VALU_DEP_1) | instskip(NEXT) | instid1(VALU_DEP_1)
	v_dual_sub_nc_u32 v8, v9, v8 :: v_dual_ashrrev_i32 v9, 8, v10
	v_add_nc_u32_e32 v8, 0x3c000000, v8
	s_delay_alu instid0(VALU_DEP_1) | instskip(NEXT) | instid1(VALU_DEP_1)
	v_and_or_b32 v8, 0x7f800000, v9, v8
	v_cndmask_b32_e32 v7, 0, v8, vcc_lo
	s_delay_alu instid0(VALU_DEP_1)
	v_and_or_b32 v6, 0x80000000, v6, v7
.LBB127_1396:
	s_mov_b32 s37, 0
.LBB127_1397:
	s_delay_alu instid0(SALU_CYCLE_1)
	s_and_not1_b32 vcc_lo, exec_lo, s37
	s_cbranch_vccnz .LBB127_1399
; %bb.1398:
	global_load_u8 v6, v[4:5], off
	s_wait_loadcnt 0x0
	v_lshlrev_b32_e32 v7, 25, v6
	v_lshlrev_b16 v6, 8, v6
	s_delay_alu instid0(VALU_DEP_1) | instskip(SKIP_1) | instid1(VALU_DEP_2)
	v_and_or_b32 v9, 0x7f00, v6, 0.5
	v_bfe_i32 v6, v6, 0, 16
	v_dual_add_f32 v9, -0.5, v9 :: v_dual_lshrrev_b32 v8, 4, v7
	v_cmp_gt_u32_e32 vcc_lo, 0x8000000, v7
	s_delay_alu instid0(VALU_DEP_2) | instskip(NEXT) | instid1(VALU_DEP_1)
	v_or_b32_e32 v8, 0x70000000, v8
	v_mul_f32_e32 v8, 0x7800000, v8
	s_delay_alu instid0(VALU_DEP_1) | instskip(NEXT) | instid1(VALU_DEP_1)
	v_cndmask_b32_e32 v7, v8, v9, vcc_lo
	v_and_or_b32 v6, 0x80000000, v6, v7
.LBB127_1399:
	s_mov_b32 s58, 0
	s_mov_b32 s37, -1
.LBB127_1400:
	s_and_not1_b32 vcc_lo, exec_lo, s58
	s_cbranch_vccnz .LBB127_1413
; %bb.1401:
	s_cmp_gt_i32 s0, 14
	s_cbranch_scc0 .LBB127_1404
; %bb.1402:
	s_cmp_eq_u32 s0, 15
	s_cbranch_scc0 .LBB127_1407
; %bb.1403:
	global_load_u16 v6, v[4:5], off
	s_mov_b32 s37, -1
	s_mov_b32 s36, 0
	s_wait_loadcnt 0x0
	v_lshlrev_b32_e32 v6, 16, v6
	s_branch .LBB127_1408
.LBB127_1404:
	s_mov_b32 s58, -1
                                        ; implicit-def: $vgpr6
	s_branch .LBB127_1409
.LBB127_1405:
	s_or_saveexec_b32 s58, s58
	v_mov_b32_e32 v6, 0x7f800001
	s_xor_b32 exec_lo, exec_lo, s58
	s_cbranch_execz .LBB127_1386
.LBB127_1406:
	v_cmp_ne_u16_e32 vcc_lo, 0, v7
	v_mov_b32_e32 v6, 0
	s_and_not1_b32 s37, s37, exec_lo
	s_and_b32 s59, vcc_lo, exec_lo
	s_delay_alu instid0(SALU_CYCLE_1)
	s_or_b32 s37, s37, s59
	s_or_b32 exec_lo, exec_lo, s58
	s_and_saveexec_b32 s58, s37
	s_cbranch_execnz .LBB127_1387
	s_branch .LBB127_1388
.LBB127_1407:
	s_mov_b32 s36, -1
                                        ; implicit-def: $vgpr6
.LBB127_1408:
	s_mov_b32 s58, 0
.LBB127_1409:
	s_delay_alu instid0(SALU_CYCLE_1)
	s_and_b32 vcc_lo, exec_lo, s58
	s_cbranch_vccz .LBB127_1413
; %bb.1410:
	s_cmp_eq_u32 s0, 11
	s_cbranch_scc0 .LBB127_1412
; %bb.1411:
	global_load_u8 v6, v[4:5], off
	s_mov_b32 s36, 0
	s_mov_b32 s37, -1
	s_wait_loadcnt 0x0
	v_cmp_ne_u16_e32 vcc_lo, 0, v6
	v_cndmask_b32_e64 v6, 0, 1.0, vcc_lo
	s_branch .LBB127_1413
.LBB127_1412:
	s_mov_b32 s36, -1
                                        ; implicit-def: $vgpr6
.LBB127_1413:
	s_mov_b32 s58, 0
.LBB127_1414:
	s_delay_alu instid0(SALU_CYCLE_1)
	s_and_b32 vcc_lo, exec_lo, s58
	s_cbranch_vccz .LBB127_1463
; %bb.1415:
	s_cmp_lt_i32 s0, 5
	s_cbranch_scc1 .LBB127_1420
; %bb.1416:
	s_cmp_lt_i32 s0, 8
	s_cbranch_scc1 .LBB127_1421
	;; [unrolled: 3-line block ×3, first 2 shown]
; %bb.1418:
	s_cmp_gt_i32 s0, 9
	s_cbranch_scc0 .LBB127_1423
; %bb.1419:
	global_load_b64 v[6:7], v[4:5], off
	s_mov_b32 s37, 0
	s_wait_loadcnt 0x0
	v_cvt_f32_f64_e32 v6, v[6:7]
	s_branch .LBB127_1424
.LBB127_1420:
	s_mov_b32 s37, -1
                                        ; implicit-def: $vgpr6
	s_branch .LBB127_1442
.LBB127_1421:
	s_mov_b32 s37, -1
                                        ; implicit-def: $vgpr6
	s_branch .LBB127_1430
.LBB127_1422:
	s_mov_b32 s37, -1
                                        ; implicit-def: $vgpr6
	s_branch .LBB127_1427
.LBB127_1423:
	s_mov_b32 s37, -1
                                        ; implicit-def: $vgpr6
.LBB127_1424:
	s_delay_alu instid0(SALU_CYCLE_1)
	s_and_not1_b32 vcc_lo, exec_lo, s37
	s_cbranch_vccnz .LBB127_1426
; %bb.1425:
	global_load_b32 v6, v[4:5], off
.LBB127_1426:
	s_mov_b32 s37, 0
.LBB127_1427:
	s_delay_alu instid0(SALU_CYCLE_1)
	s_and_not1_b32 vcc_lo, exec_lo, s37
	s_cbranch_vccnz .LBB127_1429
; %bb.1428:
	s_wait_loadcnt 0x0
	global_load_b32 v6, v[4:5], off
	s_wait_loadcnt 0x0
	v_cvt_f32_f16_e32 v6, v6
.LBB127_1429:
	s_mov_b32 s37, 0
.LBB127_1430:
	s_delay_alu instid0(SALU_CYCLE_1)
	s_and_not1_b32 vcc_lo, exec_lo, s37
	s_cbranch_vccnz .LBB127_1441
; %bb.1431:
	s_cmp_lt_i32 s0, 6
	s_cbranch_scc1 .LBB127_1434
; %bb.1432:
	s_cmp_gt_i32 s0, 6
	s_cbranch_scc0 .LBB127_1435
; %bb.1433:
	s_wait_loadcnt 0x0
	global_load_b64 v[6:7], v[4:5], off
	s_mov_b32 s37, 0
	s_wait_loadcnt 0x0
	v_cvt_f32_f64_e32 v6, v[6:7]
	s_branch .LBB127_1436
.LBB127_1434:
	s_mov_b32 s37, -1
                                        ; implicit-def: $vgpr6
	s_branch .LBB127_1439
.LBB127_1435:
	s_mov_b32 s37, -1
                                        ; implicit-def: $vgpr6
.LBB127_1436:
	s_delay_alu instid0(SALU_CYCLE_1)
	s_and_not1_b32 vcc_lo, exec_lo, s37
	s_cbranch_vccnz .LBB127_1438
; %bb.1437:
	s_wait_loadcnt 0x0
	global_load_b32 v6, v[4:5], off
.LBB127_1438:
	s_mov_b32 s37, 0
.LBB127_1439:
	s_delay_alu instid0(SALU_CYCLE_1)
	s_and_not1_b32 vcc_lo, exec_lo, s37
	s_cbranch_vccnz .LBB127_1441
; %bb.1440:
	s_wait_loadcnt 0x0
	global_load_u16 v6, v[4:5], off
	s_wait_loadcnt 0x0
	v_cvt_f32_f16_e32 v6, v6
.LBB127_1441:
	s_mov_b32 s37, 0
.LBB127_1442:
	s_delay_alu instid0(SALU_CYCLE_1)
	s_and_not1_b32 vcc_lo, exec_lo, s37
	s_cbranch_vccnz .LBB127_1462
; %bb.1443:
	s_cmp_lt_i32 s0, 2
	s_cbranch_scc1 .LBB127_1447
; %bb.1444:
	s_cmp_lt_i32 s0, 3
	s_cbranch_scc1 .LBB127_1448
; %bb.1445:
	s_cmp_gt_i32 s0, 3
	s_cbranch_scc0 .LBB127_1449
; %bb.1446:
	s_wait_loadcnt 0x0
	global_load_b64 v[6:7], v[4:5], off
	s_mov_b32 s37, 0
	s_wait_loadcnt 0x0
	v_xor_b32_e32 v8, v6, v7
	v_cls_i32_e32 v9, v7
	s_delay_alu instid0(VALU_DEP_2) | instskip(NEXT) | instid1(VALU_DEP_1)
	v_ashrrev_i32_e32 v8, 31, v8
	v_add_nc_u32_e32 v8, 32, v8
	s_delay_alu instid0(VALU_DEP_1) | instskip(NEXT) | instid1(VALU_DEP_1)
	v_add_min_u32_e64 v8, v9, -1, v8
	v_lshlrev_b64_e32 v[6:7], v8, v[6:7]
	s_delay_alu instid0(VALU_DEP_1) | instskip(NEXT) | instid1(VALU_DEP_1)
	v_min_u32_e32 v6, 1, v6
	v_dual_sub_nc_u32 v7, 32, v8 :: v_dual_bitop2_b32 v6, v7, v6 bitop3:0x54
	s_delay_alu instid0(VALU_DEP_1) | instskip(NEXT) | instid1(VALU_DEP_1)
	v_cvt_f32_i32_e32 v6, v6
	v_ldexp_f32 v6, v6, v7
	s_branch .LBB127_1450
.LBB127_1447:
	s_mov_b32 s37, -1
                                        ; implicit-def: $vgpr6
	s_branch .LBB127_1456
.LBB127_1448:
	s_mov_b32 s37, -1
                                        ; implicit-def: $vgpr6
	s_branch .LBB127_1453
.LBB127_1449:
	s_mov_b32 s37, -1
                                        ; implicit-def: $vgpr6
.LBB127_1450:
	s_delay_alu instid0(SALU_CYCLE_1)
	s_and_not1_b32 vcc_lo, exec_lo, s37
	s_cbranch_vccnz .LBB127_1452
; %bb.1451:
	s_wait_loadcnt 0x0
	global_load_b32 v6, v[4:5], off
	s_wait_loadcnt 0x0
	v_cvt_f32_i32_e32 v6, v6
.LBB127_1452:
	s_mov_b32 s37, 0
.LBB127_1453:
	s_delay_alu instid0(SALU_CYCLE_1)
	s_and_not1_b32 vcc_lo, exec_lo, s37
	s_cbranch_vccnz .LBB127_1455
; %bb.1454:
	s_wait_loadcnt 0x0
	global_load_i16 v6, v[4:5], off
	s_wait_loadcnt 0x0
	v_cvt_f32_i32_e32 v6, v6
.LBB127_1455:
	s_mov_b32 s37, 0
.LBB127_1456:
	s_delay_alu instid0(SALU_CYCLE_1)
	s_and_not1_b32 vcc_lo, exec_lo, s37
	s_cbranch_vccnz .LBB127_1462
; %bb.1457:
	s_cmp_gt_i32 s0, 0
	s_mov_b32 s0, 0
	s_cbranch_scc0 .LBB127_1459
; %bb.1458:
	s_wait_loadcnt 0x0
	global_load_i8 v6, v[4:5], off
	s_wait_loadcnt 0x0
	v_cvt_f32_i32_e32 v6, v6
	s_branch .LBB127_1460
.LBB127_1459:
	s_mov_b32 s0, -1
                                        ; implicit-def: $vgpr6
.LBB127_1460:
	s_delay_alu instid0(SALU_CYCLE_1)
	s_and_not1_b32 vcc_lo, exec_lo, s0
	s_cbranch_vccnz .LBB127_1462
; %bb.1461:
	global_load_u8 v4, v[4:5], off
	s_wait_loadcnt 0x0
	v_cvt_f32_ubyte0_e32 v6, v4
.LBB127_1462:
	s_mov_b32 s37, -1
.LBB127_1463:
	s_delay_alu instid0(SALU_CYCLE_1)
	s_and_not1_b32 vcc_lo, exec_lo, s37
	s_cbranch_vccnz .LBB127_1471
; %bb.1464:
	s_wait_loadcnt 0x0
	s_delay_alu instid0(VALU_DEP_3) | instskip(SKIP_1) | instid1(SALU_CYCLE_1)
	v_dual_mul_f32 v4, s25, v3 :: v_dual_mov_b32 v3, 0
	s_and_b32 s37, s26, 0xff
	s_cmp_lt_i32 s37, 11
	s_delay_alu instid0(VALU_DEP_1) | instskip(NEXT) | instid1(VALU_DEP_2)
	v_mul_f32_e32 v4, v4, v6
	v_add_nc_u64_e32 v[2:3], s[4:5], v[2:3]
	s_delay_alu instid0(VALU_DEP_2)
	v_fmac_f32_e32 v4, s24, v1
	s_cbranch_scc1 .LBB127_1472
; %bb.1465:
	s_and_b32 s58, 0xffff, s37
	s_delay_alu instid0(SALU_CYCLE_1)
	s_cmp_gt_i32 s58, 25
	s_cbranch_scc0 .LBB127_1473
; %bb.1466:
	s_cmp_gt_i32 s58, 28
	s_cbranch_scc0 .LBB127_1474
; %bb.1467:
	;; [unrolled: 3-line block ×4, first 2 shown]
	s_mov_b32 s60, 0
	s_mov_b32 s0, -1
	s_cmp_eq_u32 s58, 46
	s_mov_b32 s59, 0
	s_cbranch_scc0 .LBB127_1477
; %bb.1470:
	v_bfe_u32 v1, v4, 16, 1
	v_cmp_o_f32_e32 vcc_lo, v4, v4
	s_mov_b32 s59, -1
	s_mov_b32 s0, 0
	s_delay_alu instid0(VALU_DEP_2) | instskip(NEXT) | instid1(VALU_DEP_1)
	v_add3_u32 v1, v4, v1, 0x7fff
	v_lshrrev_b32_e32 v1, 16, v1
	s_delay_alu instid0(VALU_DEP_1)
	v_cndmask_b32_e32 v1, 0x7fc0, v1, vcc_lo
	global_store_b32 v[2:3], v1, off
	s_branch .LBB127_1477
.LBB127_1471:
	s_mov_b32 s37, 0
	s_mov_b32 s0, s53
	s_branch .LBB127_1588
.LBB127_1472:
	s_mov_b32 s58, -1
	s_mov_b32 s59, 0
	s_mov_b32 s0, s53
	s_branch .LBB127_1546
.LBB127_1473:
	s_mov_b32 s60, -1
	s_mov_b32 s59, 0
	s_mov_b32 s0, s53
	s_branch .LBB127_1504
.LBB127_1474:
	s_mov_b32 s60, -1
	s_mov_b32 s59, 0
	s_mov_b32 s0, s53
	s_branch .LBB127_1487
.LBB127_1475:
	s_mov_b32 s60, -1
	s_mov_b32 s59, 0
	s_mov_b32 s0, s53
	s_branch .LBB127_1483
.LBB127_1476:
	s_mov_b32 s60, -1
	s_mov_b32 s59, 0
	s_mov_b32 s0, s53
.LBB127_1477:
	s_and_b32 vcc_lo, exec_lo, s60
	s_cbranch_vccz .LBB127_1482
; %bb.1478:
	s_cmp_eq_u32 s58, 44
	s_mov_b32 s0, -1
	s_cbranch_scc0 .LBB127_1482
; %bb.1479:
	v_bfe_u32 v5, v4, 23, 8
	s_wait_xcnt 0x0
	v_mov_b32_e32 v1, 0xff
	s_mov_b32 s59, exec_lo
	s_delay_alu instid0(VALU_DEP_2)
	v_cmpx_ne_u32_e32 0xff, v5
	s_cbranch_execz .LBB127_1481
; %bb.1480:
	v_and_b32_e32 v1, 0x400000, v4
	v_and_or_b32 v5, 0x3fffff, v4, v5
	s_delay_alu instid0(VALU_DEP_2) | instskip(NEXT) | instid1(VALU_DEP_2)
	v_cmp_ne_u32_e32 vcc_lo, 0, v1
	v_cmp_ne_u32_e64 s0, 0, v5
	v_lshrrev_b32_e32 v1, 23, v4
	s_and_b32 s0, vcc_lo, s0
	s_delay_alu instid0(SALU_CYCLE_1) | instskip(NEXT) | instid1(VALU_DEP_1)
	v_cndmask_b32_e64 v5, 0, 1, s0
	v_add_nc_u32_e32 v1, v1, v5
.LBB127_1481:
	s_or_b32 exec_lo, exec_lo, s59
	s_mov_b32 s59, -1
	s_mov_b32 s0, 0
	global_store_b8 v[2:3], v1, off
.LBB127_1482:
	s_mov_b32 s60, 0
.LBB127_1483:
	s_delay_alu instid0(SALU_CYCLE_1)
	s_and_b32 vcc_lo, exec_lo, s60
	s_cbranch_vccz .LBB127_1486
; %bb.1484:
	s_cmp_eq_u32 s58, 29
	s_mov_b32 s0, -1
	s_cbranch_scc0 .LBB127_1486
; %bb.1485:
	s_wait_xcnt 0x0
	v_trunc_f32_e32 v1, v4
	s_mov_b32 s59, -1
	s_mov_b32 s0, 0
	s_mov_b32 s60, 0
	s_delay_alu instid0(VALU_DEP_1) | instskip(NEXT) | instid1(VALU_DEP_1)
	v_mul_f32_e32 v5, 0x2f800000, v1
	v_floor_f32_e32 v5, v5
	s_delay_alu instid0(VALU_DEP_1) | instskip(SKIP_1) | instid1(VALU_DEP_2)
	v_fmamk_f32 v1, v5, 0xcf800000, v1
	v_cvt_u32_f32_e32 v7, v5
	v_cvt_u32_f32_e32 v6, v1
	global_store_b64 v[2:3], v[6:7], off
	s_branch .LBB127_1487
.LBB127_1486:
	s_mov_b32 s60, 0
.LBB127_1487:
	s_delay_alu instid0(SALU_CYCLE_1)
	s_and_b32 vcc_lo, exec_lo, s60
	s_cbranch_vccz .LBB127_1503
; %bb.1488:
	s_cmp_lt_i32 s58, 27
	s_mov_b32 s59, -1
	s_cbranch_scc1 .LBB127_1494
; %bb.1489:
	s_cmp_gt_i32 s58, 27
	s_cbranch_scc0 .LBB127_1491
; %bb.1490:
	s_wait_xcnt 0x0
	v_cvt_u32_f32_e32 v1, v4
	s_mov_b32 s59, 0
	global_store_b32 v[2:3], v1, off
.LBB127_1491:
	s_and_not1_b32 vcc_lo, exec_lo, s59
	s_cbranch_vccnz .LBB127_1493
; %bb.1492:
	s_wait_xcnt 0x0
	v_cvt_u32_f32_e32 v1, v4
	global_store_b16 v[2:3], v1, off
.LBB127_1493:
	s_mov_b32 s59, 0
.LBB127_1494:
	s_delay_alu instid0(SALU_CYCLE_1)
	s_and_not1_b32 vcc_lo, exec_lo, s59
	s_cbranch_vccnz .LBB127_1502
; %bb.1495:
	s_wait_xcnt 0x0
	v_and_b32_e32 v1, 0x7fffffff, v4
	v_mov_b32_e32 v5, 0x80
	s_mov_b32 s59, exec_lo
	s_delay_alu instid0(VALU_DEP_2)
	v_cmpx_gt_u32_e32 0x43800000, v1
	s_cbranch_execz .LBB127_1501
; %bb.1496:
	v_cmp_lt_u32_e32 vcc_lo, 0x3bffffff, v1
	s_mov_b32 s60, 0
                                        ; implicit-def: $vgpr1
	s_and_saveexec_b32 s61, vcc_lo
	s_delay_alu instid0(SALU_CYCLE_1)
	s_xor_b32 s61, exec_lo, s61
	s_cbranch_execz .LBB127_2814
; %bb.1497:
	v_bfe_u32 v1, v4, 20, 1
	s_mov_b32 s60, exec_lo
	s_delay_alu instid0(VALU_DEP_1) | instskip(NEXT) | instid1(VALU_DEP_1)
	v_add3_u32 v1, v4, v1, 0x487ffff
	v_lshrrev_b32_e32 v1, 20, v1
	s_and_not1_saveexec_b32 s61, s61
	s_cbranch_execnz .LBB127_2815
.LBB127_1498:
	s_or_b32 exec_lo, exec_lo, s61
	v_mov_b32_e32 v5, 0
	s_and_saveexec_b32 s61, s60
.LBB127_1499:
	v_lshrrev_b32_e32 v5, 24, v4
	s_delay_alu instid0(VALU_DEP_1)
	v_and_or_b32 v5, 0x80, v5, v1
.LBB127_1500:
	s_or_b32 exec_lo, exec_lo, s61
.LBB127_1501:
	s_delay_alu instid0(SALU_CYCLE_1)
	s_or_b32 exec_lo, exec_lo, s59
	global_store_b8 v[2:3], v5, off
.LBB127_1502:
	s_mov_b32 s59, -1
.LBB127_1503:
	s_mov_b32 s60, 0
.LBB127_1504:
	s_delay_alu instid0(SALU_CYCLE_1)
	s_and_b32 vcc_lo, exec_lo, s60
	s_cbranch_vccz .LBB127_1545
; %bb.1505:
	s_cmp_gt_i32 s58, 22
	s_mov_b32 s60, -1
	s_cbranch_scc0 .LBB127_1537
; %bb.1506:
	s_cmp_lt_i32 s58, 24
	s_mov_b32 s59, -1
	s_cbranch_scc1 .LBB127_1526
; %bb.1507:
	s_cmp_gt_i32 s58, 24
	s_cbranch_scc0 .LBB127_1515
; %bb.1508:
	s_wait_xcnt 0x0
	v_and_b32_e32 v1, 0x7fffffff, v4
	v_mov_b32_e32 v5, 0x80
	s_mov_b32 s59, exec_lo
	s_delay_alu instid0(VALU_DEP_2)
	v_cmpx_gt_u32_e32 0x47800000, v1
	s_cbranch_execz .LBB127_1514
; %bb.1509:
	v_cmp_lt_u32_e32 vcc_lo, 0x37ffffff, v1
	s_mov_b32 s60, 0
                                        ; implicit-def: $vgpr1
	s_and_saveexec_b32 s61, vcc_lo
	s_delay_alu instid0(SALU_CYCLE_1)
	s_xor_b32 s61, exec_lo, s61
	s_cbranch_execz .LBB127_2947
; %bb.1510:
	v_bfe_u32 v1, v4, 21, 1
	s_mov_b32 s60, exec_lo
	s_delay_alu instid0(VALU_DEP_1) | instskip(NEXT) | instid1(VALU_DEP_1)
	v_add3_u32 v1, v4, v1, 0x88fffff
	v_lshrrev_b32_e32 v1, 21, v1
	s_and_not1_saveexec_b32 s61, s61
	s_cbranch_execnz .LBB127_2948
.LBB127_1511:
	s_or_b32 exec_lo, exec_lo, s61
	v_mov_b32_e32 v5, 0
	s_and_saveexec_b32 s61, s60
.LBB127_1512:
	v_lshrrev_b32_e32 v5, 24, v4
	s_delay_alu instid0(VALU_DEP_1)
	v_and_or_b32 v5, 0x80, v5, v1
.LBB127_1513:
	s_or_b32 exec_lo, exec_lo, s61
.LBB127_1514:
	s_delay_alu instid0(SALU_CYCLE_1)
	s_or_b32 exec_lo, exec_lo, s59
	s_mov_b32 s59, 0
	global_store_b8 v[2:3], v5, off
.LBB127_1515:
	s_and_b32 vcc_lo, exec_lo, s59
	s_cbranch_vccz .LBB127_1525
; %bb.1516:
	s_wait_xcnt 0x0
	v_and_b32_e32 v5, 0x7fffffff, v4
	s_mov_b32 s59, exec_lo
                                        ; implicit-def: $vgpr1
	s_delay_alu instid0(VALU_DEP_1)
	v_cmpx_gt_u32_e32 0x43f00000, v5
	s_xor_b32 s59, exec_lo, s59
	s_cbranch_execz .LBB127_1522
; %bb.1517:
	s_mov_b32 s60, exec_lo
                                        ; implicit-def: $vgpr1
	v_cmpx_lt_u32_e32 0x3c7fffff, v5
	s_xor_b32 s60, exec_lo, s60
; %bb.1518:
	v_bfe_u32 v1, v4, 20, 1
	s_delay_alu instid0(VALU_DEP_1) | instskip(NEXT) | instid1(VALU_DEP_1)
	v_add3_u32 v1, v4, v1, 0x407ffff
	v_and_b32_e32 v5, 0xff00000, v1
	v_lshrrev_b32_e32 v1, 20, v1
	s_delay_alu instid0(VALU_DEP_2) | instskip(NEXT) | instid1(VALU_DEP_2)
	v_cmp_ne_u32_e32 vcc_lo, 0x7f00000, v5
	v_cndmask_b32_e32 v1, 0x7e, v1, vcc_lo
; %bb.1519:
	s_and_not1_saveexec_b32 s60, s60
; %bb.1520:
	v_add_f32_e64 v1, 0x46800000, |v4|
; %bb.1521:
	s_or_b32 exec_lo, exec_lo, s60
                                        ; implicit-def: $vgpr5
.LBB127_1522:
	s_and_not1_saveexec_b32 s59, s59
; %bb.1523:
	v_mov_b32_e32 v1, 0x7f
	v_cmp_lt_u32_e32 vcc_lo, 0x7f800000, v5
	s_delay_alu instid0(VALU_DEP_2)
	v_cndmask_b32_e32 v1, 0x7e, v1, vcc_lo
; %bb.1524:
	s_or_b32 exec_lo, exec_lo, s59
	v_lshrrev_b32_e32 v5, 24, v4
	s_delay_alu instid0(VALU_DEP_1)
	v_and_or_b32 v1, 0x80, v5, v1
	global_store_b8 v[2:3], v1, off
.LBB127_1525:
	s_mov_b32 s59, 0
.LBB127_1526:
	s_delay_alu instid0(SALU_CYCLE_1)
	s_and_not1_b32 vcc_lo, exec_lo, s59
	s_cbranch_vccnz .LBB127_1536
; %bb.1527:
	s_wait_xcnt 0x0
	v_and_b32_e32 v5, 0x7fffffff, v4
	s_mov_b32 s59, exec_lo
                                        ; implicit-def: $vgpr1
	s_delay_alu instid0(VALU_DEP_1)
	v_cmpx_gt_u32_e32 0x47800000, v5
	s_xor_b32 s59, exec_lo, s59
	s_cbranch_execz .LBB127_1533
; %bb.1528:
	s_mov_b32 s60, exec_lo
                                        ; implicit-def: $vgpr1
	v_cmpx_lt_u32_e32 0x387fffff, v5
	s_xor_b32 s60, exec_lo, s60
; %bb.1529:
	v_bfe_u32 v1, v4, 21, 1
	s_delay_alu instid0(VALU_DEP_1) | instskip(NEXT) | instid1(VALU_DEP_1)
	v_add3_u32 v1, v4, v1, 0x80fffff
	v_lshrrev_b32_e32 v1, 21, v1
; %bb.1530:
	s_and_not1_saveexec_b32 s60, s60
; %bb.1531:
	v_add_f32_e64 v1, 0x43000000, |v4|
; %bb.1532:
	s_or_b32 exec_lo, exec_lo, s60
                                        ; implicit-def: $vgpr5
.LBB127_1533:
	s_and_not1_saveexec_b32 s59, s59
; %bb.1534:
	v_mov_b32_e32 v1, 0x7f
	v_cmp_lt_u32_e32 vcc_lo, 0x7f800000, v5
	s_delay_alu instid0(VALU_DEP_2)
	v_cndmask_b32_e32 v1, 0x7c, v1, vcc_lo
; %bb.1535:
	s_or_b32 exec_lo, exec_lo, s59
	v_lshrrev_b32_e32 v5, 24, v4
	s_delay_alu instid0(VALU_DEP_1)
	v_and_or_b32 v1, 0x80, v5, v1
	global_store_b8 v[2:3], v1, off
.LBB127_1536:
	s_mov_b32 s60, 0
	s_mov_b32 s59, -1
.LBB127_1537:
	s_and_not1_b32 vcc_lo, exec_lo, s60
	s_cbranch_vccnz .LBB127_1545
; %bb.1538:
	s_cmp_gt_i32 s58, 14
	s_mov_b32 s60, -1
	s_cbranch_scc0 .LBB127_1542
; %bb.1539:
	s_cmp_eq_u32 s58, 15
	s_mov_b32 s0, -1
	s_cbranch_scc0 .LBB127_1541
; %bb.1540:
	s_wait_xcnt 0x0
	v_bfe_u32 v1, v4, 16, 1
	v_cmp_o_f32_e32 vcc_lo, v4, v4
	s_mov_b32 s59, -1
	s_mov_b32 s0, 0
	s_delay_alu instid0(VALU_DEP_2) | instskip(NEXT) | instid1(VALU_DEP_1)
	v_add3_u32 v1, v4, v1, 0x7fff
	v_lshrrev_b32_e32 v1, 16, v1
	s_delay_alu instid0(VALU_DEP_1)
	v_cndmask_b32_e32 v1, 0x7fc0, v1, vcc_lo
	global_store_b16 v[2:3], v1, off
.LBB127_1541:
	s_mov_b32 s60, 0
.LBB127_1542:
	s_delay_alu instid0(SALU_CYCLE_1)
	s_and_b32 vcc_lo, exec_lo, s60
	s_cbranch_vccz .LBB127_1545
; %bb.1543:
	s_cmp_eq_u32 s58, 11
	s_mov_b32 s0, -1
	s_cbranch_scc0 .LBB127_1545
; %bb.1544:
	v_cmp_neq_f32_e32 vcc_lo, 0, v4
	s_mov_b32 s0, 0
	s_mov_b32 s59, -1
	s_wait_xcnt 0x0
	v_cndmask_b32_e64 v1, 0, 1, vcc_lo
	global_store_b8 v[2:3], v1, off
.LBB127_1545:
	s_mov_b32 s58, 0
.LBB127_1546:
	s_delay_alu instid0(SALU_CYCLE_1)
	s_and_b32 vcc_lo, exec_lo, s58
	s_cbranch_vccz .LBB127_1585
; %bb.1547:
	s_and_b32 s37, 0xffff, s37
	s_mov_b32 s58, -1
	s_cmp_lt_i32 s37, 5
	s_cbranch_scc1 .LBB127_1568
; %bb.1548:
	s_cmp_lt_i32 s37, 8
	s_cbranch_scc1 .LBB127_1558
; %bb.1549:
	;; [unrolled: 3-line block ×3, first 2 shown]
	s_cmp_gt_i32 s37, 9
	s_cbranch_scc0 .LBB127_1552
; %bb.1551:
	s_wait_xcnt 0x0
	v_cvt_f64_f32_e32 v[6:7], v4
	v_mov_b32_e32 v8, 0
	s_mov_b32 s58, 0
	s_delay_alu instid0(VALU_DEP_1)
	v_mov_b32_e32 v9, v8
	global_store_b128 v[2:3], v[6:9], off
.LBB127_1552:
	s_and_not1_b32 vcc_lo, exec_lo, s58
	s_cbranch_vccnz .LBB127_1554
; %bb.1553:
	s_wait_xcnt 0x0
	v_mov_b32_e32 v5, 0
	global_store_b64 v[2:3], v[4:5], off
.LBB127_1554:
	s_mov_b32 s58, 0
.LBB127_1555:
	s_delay_alu instid0(SALU_CYCLE_1)
	s_and_not1_b32 vcc_lo, exec_lo, s58
	s_cbranch_vccnz .LBB127_1557
; %bb.1556:
	s_wait_xcnt 0x0
	v_cvt_f16_f32_e32 v1, v4
	s_delay_alu instid0(VALU_DEP_1)
	v_and_b32_e32 v1, 0xffff, v1
	global_store_b32 v[2:3], v1, off
.LBB127_1557:
	s_mov_b32 s58, 0
.LBB127_1558:
	s_delay_alu instid0(SALU_CYCLE_1)
	s_and_not1_b32 vcc_lo, exec_lo, s58
	s_cbranch_vccnz .LBB127_1567
; %bb.1559:
	s_cmp_lt_i32 s37, 6
	s_mov_b32 s58, -1
	s_cbranch_scc1 .LBB127_1565
; %bb.1560:
	s_cmp_gt_i32 s37, 6
	s_cbranch_scc0 .LBB127_1562
; %bb.1561:
	s_wait_xcnt 0x0
	v_cvt_f64_f32_e32 v[6:7], v4
	s_mov_b32 s58, 0
	global_store_b64 v[2:3], v[6:7], off
.LBB127_1562:
	s_and_not1_b32 vcc_lo, exec_lo, s58
	s_cbranch_vccnz .LBB127_1564
; %bb.1563:
	global_store_b32 v[2:3], v4, off
.LBB127_1564:
	s_mov_b32 s58, 0
.LBB127_1565:
	s_delay_alu instid0(SALU_CYCLE_1)
	s_and_not1_b32 vcc_lo, exec_lo, s58
	s_cbranch_vccnz .LBB127_1567
; %bb.1566:
	s_wait_xcnt 0x0
	v_cvt_f16_f32_e32 v1, v4
	global_store_b16 v[2:3], v1, off
.LBB127_1567:
	s_mov_b32 s58, 0
.LBB127_1568:
	s_delay_alu instid0(SALU_CYCLE_1)
	s_and_not1_b32 vcc_lo, exec_lo, s58
	s_cbranch_vccnz .LBB127_1584
; %bb.1569:
	s_cmp_lt_i32 s37, 2
	s_mov_b32 s58, -1
	s_cbranch_scc1 .LBB127_1579
; %bb.1570:
	s_cmp_lt_i32 s37, 3
	s_cbranch_scc1 .LBB127_1576
; %bb.1571:
	s_cmp_gt_i32 s37, 3
	s_cbranch_scc0 .LBB127_1573
; %bb.1572:
	s_wait_xcnt 0x0
	v_trunc_f32_e32 v1, v4
	s_mov_b32 s58, 0
	s_delay_alu instid0(VALU_DEP_1) | instskip(SKIP_1) | instid1(VALU_DEP_2)
	v_mul_f32_e64 v5, 0x2f800000, |v1|
	v_ashrrev_i32_e32 v6, 31, v1
	v_floor_f32_e32 v5, v5
	s_delay_alu instid0(VALU_DEP_1) | instskip(SKIP_1) | instid1(VALU_DEP_2)
	v_fma_f32 v7, 0xcf800000, v5, |v1|
	v_cvt_u32_f32_e32 v1, v5
	v_cvt_u32_f32_e32 v5, v7
	s_delay_alu instid0(VALU_DEP_2) | instskip(NEXT) | instid1(VALU_DEP_2)
	v_dual_mov_b32 v7, v6 :: v_dual_bitop2_b32 v9, v1, v6 bitop3:0x14
	v_xor_b32_e32 v8, v5, v6
	s_delay_alu instid0(VALU_DEP_1)
	v_sub_nc_u64_e32 v[6:7], v[8:9], v[6:7]
	global_store_b64 v[2:3], v[6:7], off
.LBB127_1573:
	s_and_not1_b32 vcc_lo, exec_lo, s58
	s_cbranch_vccnz .LBB127_1575
; %bb.1574:
	s_wait_xcnt 0x0
	v_cvt_i32_f32_e32 v1, v4
	global_store_b32 v[2:3], v1, off
.LBB127_1575:
	s_mov_b32 s58, 0
.LBB127_1576:
	s_delay_alu instid0(SALU_CYCLE_1)
	s_and_not1_b32 vcc_lo, exec_lo, s58
	s_cbranch_vccnz .LBB127_1578
; %bb.1577:
	s_wait_xcnt 0x0
	v_cvt_i32_f32_e32 v1, v4
	global_store_b16 v[2:3], v1, off
.LBB127_1578:
	s_mov_b32 s58, 0
.LBB127_1579:
	s_delay_alu instid0(SALU_CYCLE_1)
	s_and_not1_b32 vcc_lo, exec_lo, s58
	s_cbranch_vccnz .LBB127_1584
; %bb.1580:
	s_cmp_gt_i32 s37, 0
	s_mov_b32 s37, -1
	s_cbranch_scc0 .LBB127_1582
; %bb.1581:
	s_wait_xcnt 0x0
	v_cvt_i32_f32_e32 v1, v4
	s_mov_b32 s37, 0
	global_store_b8 v[2:3], v1, off
.LBB127_1582:
	s_and_not1_b32 vcc_lo, exec_lo, s37
	s_cbranch_vccnz .LBB127_1584
; %bb.1583:
	s_wait_xcnt 0x0
	v_trunc_f32_e32 v1, v4
	s_delay_alu instid0(VALU_DEP_1) | instskip(NEXT) | instid1(VALU_DEP_1)
	v_mul_f32_e64 v4, 0x2f800000, |v1|
	v_floor_f32_e32 v4, v4
	s_delay_alu instid0(VALU_DEP_1) | instskip(SKIP_1) | instid1(VALU_DEP_2)
	v_fma_f32 v4, 0xcf800000, v4, |v1|
	v_ashrrev_i32_e32 v1, 31, v1
	v_cvt_u32_f32_e32 v4, v4
	s_delay_alu instid0(VALU_DEP_1) | instskip(NEXT) | instid1(VALU_DEP_1)
	v_xor_b32_e32 v4, v4, v1
	v_sub_nc_u32_e32 v1, v4, v1
	global_store_b8 v[2:3], v1, off
.LBB127_1584:
	s_mov_b32 s59, -1
.LBB127_1585:
	s_delay_alu instid0(SALU_CYCLE_1)
	s_and_not1_b32 vcc_lo, exec_lo, s59
	s_cbranch_vccnz .LBB127_1587
; %bb.1586:
	v_add_nc_u32_e32 v0, 0x80, v0
	s_mov_b32 s37, -1
	s_branch .LBB127_1589
.LBB127_1587:
	s_mov_b32 s37, 0
.LBB127_1588:
                                        ; implicit-def: $vgpr0
.LBB127_1589:
	s_and_not1_b32 s58, s53, exec_lo
	s_and_b32 s0, s0, exec_lo
	s_and_not1_b32 s59, s54, exec_lo
	s_and_b32 s36, s36, exec_lo
	s_or_b32 s61, s58, s0
	s_or_b32 s59, s59, s36
	s_and_not1_b32 s0, s55, exec_lo
	s_and_b32 s35, s35, exec_lo
	s_and_not1_b32 s36, s52, exec_lo
	s_and_b32 s34, s34, exec_lo
	s_or_b32 s60, s0, s35
	s_or_b32 s58, s36, s34
	s_or_not1_b32 s37, s37, exec_lo
.LBB127_1590:
	s_wait_xcnt 0x0
	s_or_b32 exec_lo, exec_lo, s57
	s_mov_b32 s35, 0
	s_mov_b32 s36, 0
	;; [unrolled: 1-line block ×3, first 2 shown]
                                        ; implicit-def: $sgpr0
                                        ; implicit-def: $vgpr8_vgpr9
                                        ; implicit-def: $vgpr2
                                        ; implicit-def: $vgpr4
                                        ; implicit-def: $vgpr6
                                        ; implicit-def: $vgpr10
	s_and_saveexec_b32 s57, s37
	s_cbranch_execz .LBB127_1683
; %bb.1591:
	v_cmp_gt_i32_e32 vcc_lo, s46, v0
	s_mov_b32 s37, s58
                                        ; implicit-def: $sgpr0
                                        ; implicit-def: $vgpr8_vgpr9
                                        ; implicit-def: $vgpr2
                                        ; implicit-def: $vgpr4
                                        ; implicit-def: $vgpr6
                                        ; implicit-def: $vgpr10
	s_and_saveexec_b32 s46, vcc_lo
	s_cbranch_execz .LBB127_1682
; %bb.1592:
	s_and_not1_b32 vcc_lo, exec_lo, s39
	s_cbranch_vccnz .LBB127_1598
; %bb.1593:
	s_and_not1_b32 vcc_lo, exec_lo, s47
	s_cbranch_vccnz .LBB127_1599
; %bb.1594:
	s_wait_loadcnt 0x0
	v_dual_mov_b32 v6, 0 :: v_dual_mov_b32 v1, v0
	v_dual_mov_b32 v4, 0 :: v_dual_mov_b32 v2, 0
	v_mov_b32_e32 v8, 0
	s_add_co_i32 s0, s44, 1
	s_mov_b64 s[34:35], 0xffffffffffffffe0
	s_and_b32 s0, s0, 30
	s_add_nc_u64 s[34:35], s[2:3], s[34:35]
	s_mov_b64 s[36:37], s[2:3]
.LBB127_1595:                           ; =>This Inner Loop Header: Depth=1
	s_clause 0x1
	s_load_b128 s[72:75], s[36:37], 0x4
	s_load_b64 s[62:63], s[36:37], 0x14
	s_load_b256 s[64:71], s[34:35], 0xe4
	s_add_co_i32 s0, s0, -2
	s_wait_xcnt 0x0
	s_add_nc_u64 s[36:37], s[36:37], 24
	s_cmp_eq_u32 s0, 0
	s_add_nc_u64 s[34:35], s[34:35], 32
	s_wait_kmcnt 0x0
	v_mul_hi_u32 v3, s73, v1
	s_delay_alu instid0(VALU_DEP_1) | instskip(NEXT) | instid1(VALU_DEP_1)
	v_add_nc_u32_e32 v3, v1, v3
	v_lshrrev_b32_e32 v3, s74, v3
	s_delay_alu instid0(VALU_DEP_1) | instskip(SKIP_1) | instid1(VALU_DEP_1)
	v_mul_hi_u32 v5, s62, v3
	v_mul_lo_u32 v7, v3, s72
	v_dual_add_nc_u32 v5, v3, v5 :: v_dual_sub_nc_u32 v7, v1, v7
	s_delay_alu instid0(VALU_DEP_1) | instskip(NEXT) | instid1(VALU_DEP_2)
	v_lshrrev_b32_e32 v1, s63, v5
	v_mad_u32 v8, v7, s65, v8
	v_mad_u32 v2, v7, s64, v2
	;; [unrolled: 1-line block ×4, first 2 shown]
	v_mul_lo_u32 v5, v1, s75
	s_delay_alu instid0(VALU_DEP_1) | instskip(NEXT) | instid1(VALU_DEP_1)
	v_sub_nc_u32_e32 v3, v3, v5
	v_mad_u32 v8, v3, s69, v8
	v_mad_u32 v2, v3, s68, v2
	v_mad_u32 v4, v3, s71, v4
	v_mad_u32 v6, v3, s70, v6
	s_cbranch_scc0 .LBB127_1595
; %bb.1596:
	s_bitcmp1_b32 s44, 0
	s_cselect_b32 s0, -1, 0
	s_delay_alu instid0(SALU_CYCLE_1)
	s_and_b32 vcc_lo, exec_lo, s0
	s_cbranch_vccnz .LBB127_1600
; %bb.1597:
	s_load_b96 s[68:70], s[36:37], 0x4
	s_load_b128 s[64:67], s[34:35], 0xe4
	s_wait_kmcnt 0x0
	v_mul_hi_u32 v3, s69, v1
	s_delay_alu instid0(VALU_DEP_1) | instskip(NEXT) | instid1(VALU_DEP_1)
	v_add_nc_u32_e32 v3, v1, v3
	v_lshrrev_b32_e32 v3, s70, v3
	s_delay_alu instid0(VALU_DEP_1) | instskip(NEXT) | instid1(VALU_DEP_1)
	v_mul_lo_u32 v3, v3, s68
	v_sub_nc_u32_e32 v1, v1, v3
	s_delay_alu instid0(VALU_DEP_1)
	v_mad_u32 v2, v1, s64, v2
	v_mad_u32 v8, v1, s65, v8
	;; [unrolled: 1-line block ×4, first 2 shown]
	s_branch .LBB127_1600
.LBB127_1598:
	s_mov_b32 s0, -1
                                        ; implicit-def: $vgpr8
                                        ; implicit-def: $vgpr2
                                        ; implicit-def: $vgpr4
                                        ; implicit-def: $vgpr6
	s_branch .LBB127_1601
.LBB127_1599:
	v_dual_mov_b32 v8, 0 :: v_dual_mov_b32 v2, 0
	s_wait_loadcnt 0x0
	v_dual_mov_b32 v4, 0 :: v_dual_mov_b32 v6, 0
.LBB127_1600:
	s_mov_b32 s0, 0
.LBB127_1601:
	s_delay_alu instid0(SALU_CYCLE_1)
	s_and_not1_b32 vcc_lo, exec_lo, s0
	s_cbranch_vccnz .LBB127_1604
; %bb.1602:
	s_wait_loadcnt 0x0
	v_mov_b32_e32 v1, 0
	s_and_not1_b32 vcc_lo, exec_lo, s43
	s_delay_alu instid0(VALU_DEP_1) | instskip(NEXT) | instid1(VALU_DEP_1)
	v_mul_u64_e32 v[2:3], s[28:29], v[0:1]
	v_add_nc_u32_e32 v2, v0, v3
	s_delay_alu instid0(VALU_DEP_1) | instskip(NEXT) | instid1(VALU_DEP_1)
	v_lshrrev_b32_e32 v10, s22, v2
	v_mul_lo_u32 v2, v10, s20
	s_delay_alu instid0(VALU_DEP_1) | instskip(NEXT) | instid1(VALU_DEP_1)
	v_sub_nc_u32_e32 v0, v0, v2
	v_mul_lo_u32 v8, v0, s13
	v_mul_lo_u32 v2, v0, s12
	;; [unrolled: 1-line block ×4, first 2 shown]
	s_cbranch_vccnz .LBB127_1604
; %bb.1603:
	v_mov_b32_e32 v11, v1
	s_delay_alu instid0(VALU_DEP_1) | instskip(NEXT) | instid1(VALU_DEP_1)
	v_mul_u64_e32 v[0:1], s[30:31], v[10:11]
	v_add_nc_u32_e32 v0, v10, v1
	s_delay_alu instid0(VALU_DEP_1) | instskip(NEXT) | instid1(VALU_DEP_1)
	v_lshrrev_b32_e32 v0, s1, v0
	v_mul_lo_u32 v0, v0, s23
	s_delay_alu instid0(VALU_DEP_1) | instskip(NEXT) | instid1(VALU_DEP_1)
	v_sub_nc_u32_e32 v0, v10, v0
	v_mad_u32 v2, v0, s16, v2
	v_mad_u32 v8, v0, s17, v8
	;; [unrolled: 1-line block ×4, first 2 shown]
.LBB127_1604:
	v_mov_b32_e32 v9, 0
	s_and_b32 s0, s42, 0xff
	s_delay_alu instid0(SALU_CYCLE_1) | instskip(NEXT) | instid1(VALU_DEP_1)
	s_cmp_lt_i32 s0, 11
	v_add_nc_u64_e32 v[8:9], s[6:7], v[8:9]
	s_cbranch_scc1 .LBB127_1611
; %bb.1605:
	s_and_b32 s1, 0xffff, s0
	s_mov_b32 s7, 0
	s_cmp_gt_i32 s1, 25
	s_cbranch_scc0 .LBB127_1612
; %bb.1606:
	s_cmp_gt_i32 s1, 28
	s_cbranch_scc0 .LBB127_1613
; %bb.1607:
	;; [unrolled: 3-line block ×4, first 2 shown]
	s_cmp_eq_u32 s1, 46
	s_mov_b32 s13, 0
	s_cbranch_scc0 .LBB127_1616
; %bb.1610:
	global_load_b32 v0, v[8:9], off
	s_mov_b32 s6, 0
	s_mov_b32 s12, -1
	s_wait_loadcnt 0x0
	v_lshlrev_b32_e32 v10, 16, v0
	s_branch .LBB127_1618
.LBB127_1611:
	s_mov_b32 s1, -1
	s_mov_b32 s12, 0
	s_mov_b32 s7, 0
	;; [unrolled: 1-line block ×3, first 2 shown]
                                        ; implicit-def: $vgpr10
	s_branch .LBB127_1681
.LBB127_1612:
	s_mov_b32 s13, -1
	s_mov_b32 s12, 0
	s_mov_b32 s6, s58
                                        ; implicit-def: $vgpr10
	s_branch .LBB127_1647
.LBB127_1613:
	s_mov_b32 s13, -1
	s_mov_b32 s12, 0
	s_mov_b32 s6, s58
                                        ; implicit-def: $vgpr10
	s_branch .LBB127_1628
.LBB127_1614:
	s_mov_b32 s13, -1
	s_mov_b32 s12, 0
	s_mov_b32 s6, s58
                                        ; implicit-def: $vgpr10
	s_branch .LBB127_1623
.LBB127_1615:
	s_mov_b32 s13, -1
	s_mov_b32 s12, 0
	s_mov_b32 s6, s58
	s_branch .LBB127_1617
.LBB127_1616:
	s_mov_b32 s6, -1
	s_mov_b32 s12, 0
.LBB127_1617:
                                        ; implicit-def: $vgpr10
.LBB127_1618:
	s_and_b32 vcc_lo, exec_lo, s13
	s_cbranch_vccz .LBB127_1622
; %bb.1619:
	s_cmp_eq_u32 s1, 44
	s_cbranch_scc0 .LBB127_1621
; %bb.1620:
	global_load_u8 v0, v[8:9], off
	s_mov_b32 s6, 0
	s_mov_b32 s12, -1
	s_wait_loadcnt 0x0
	v_lshlrev_b32_e32 v1, 23, v0
	v_cmp_ne_u32_e32 vcc_lo, 0xff, v0
	s_delay_alu instid0(VALU_DEP_2) | instskip(SKIP_1) | instid1(VALU_DEP_2)
	v_cndmask_b32_e32 v1, 0x7f800001, v1, vcc_lo
	v_cmp_ne_u32_e32 vcc_lo, 0, v0
	v_cndmask_b32_e32 v10, 0x400000, v1, vcc_lo
	s_branch .LBB127_1622
.LBB127_1621:
	s_mov_b32 s6, -1
                                        ; implicit-def: $vgpr10
.LBB127_1622:
	s_mov_b32 s13, 0
.LBB127_1623:
	s_delay_alu instid0(SALU_CYCLE_1)
	s_and_b32 vcc_lo, exec_lo, s13
	s_cbranch_vccz .LBB127_1627
; %bb.1624:
	s_cmp_eq_u32 s1, 29
	s_cbranch_scc0 .LBB127_1626
; %bb.1625:
	s_wait_loadcnt 0x0
	global_load_b64 v[0:1], v[8:9], off
	s_mov_b32 s6, 0
	s_mov_b32 s12, -1
	s_mov_b32 s13, 0
	s_wait_loadcnt 0x0
	v_clz_i32_u32_e32 v3, v1
	s_delay_alu instid0(VALU_DEP_1) | instskip(NEXT) | instid1(VALU_DEP_1)
	v_min_u32_e32 v3, 32, v3
	v_lshlrev_b64_e32 v[0:1], v3, v[0:1]
	s_delay_alu instid0(VALU_DEP_1) | instskip(NEXT) | instid1(VALU_DEP_1)
	v_min_u32_e32 v0, 1, v0
	v_dual_sub_nc_u32 v1, 32, v3 :: v_dual_bitop2_b32 v0, v1, v0 bitop3:0x54
	s_delay_alu instid0(VALU_DEP_1) | instskip(NEXT) | instid1(VALU_DEP_1)
	v_cvt_f32_u32_e32 v0, v0
	v_ldexp_f32 v10, v0, v1
	s_branch .LBB127_1628
.LBB127_1626:
	s_mov_b32 s6, -1
                                        ; implicit-def: $vgpr10
.LBB127_1627:
	s_mov_b32 s13, 0
.LBB127_1628:
	s_delay_alu instid0(SALU_CYCLE_1)
	s_and_b32 vcc_lo, exec_lo, s13
	s_cbranch_vccz .LBB127_1646
; %bb.1629:
	s_cmp_lt_i32 s1, 27
	s_cbranch_scc1 .LBB127_1632
; %bb.1630:
	s_cmp_gt_i32 s1, 27
	s_cbranch_scc0 .LBB127_1633
; %bb.1631:
	global_load_b32 v0, v[8:9], off
	s_mov_b32 s12, 0
	s_wait_loadcnt 0x0
	v_cvt_f32_u32_e32 v10, v0
	s_branch .LBB127_1634
.LBB127_1632:
	s_mov_b32 s12, -1
                                        ; implicit-def: $vgpr10
	s_branch .LBB127_1637
.LBB127_1633:
	s_mov_b32 s12, -1
                                        ; implicit-def: $vgpr10
.LBB127_1634:
	s_delay_alu instid0(SALU_CYCLE_1)
	s_and_not1_b32 vcc_lo, exec_lo, s12
	s_cbranch_vccnz .LBB127_1636
; %bb.1635:
	global_load_u16 v0, v[8:9], off
	s_wait_loadcnt 0x0
	v_cvt_f32_u32_e32 v10, v0
.LBB127_1636:
	s_mov_b32 s12, 0
.LBB127_1637:
	s_delay_alu instid0(SALU_CYCLE_1)
	s_and_not1_b32 vcc_lo, exec_lo, s12
	s_cbranch_vccnz .LBB127_1645
; %bb.1638:
	global_load_u8 v0, v[8:9], off
	s_mov_b32 s12, 0
	s_mov_b32 s13, exec_lo
	s_wait_loadcnt 0x0
	v_cmpx_lt_i16_e32 0x7f, v0
	s_xor_b32 s13, exec_lo, s13
	s_cbranch_execz .LBB127_1659
; %bb.1639:
	s_mov_b32 s12, -1
	s_mov_b32 s14, exec_lo
	v_cmpx_eq_u16_e32 0x80, v0
; %bb.1640:
	s_xor_b32 s12, exec_lo, -1
; %bb.1641:
	s_or_b32 exec_lo, exec_lo, s14
	s_delay_alu instid0(SALU_CYCLE_1)
	s_and_b32 s12, s12, exec_lo
	s_or_saveexec_b32 s13, s13
	v_mov_b32_e32 v10, 0x7f800001
	s_xor_b32 exec_lo, exec_lo, s13
	s_cbranch_execnz .LBB127_1660
.LBB127_1642:
	s_or_b32 exec_lo, exec_lo, s13
	s_and_saveexec_b32 s13, s12
	s_cbranch_execz .LBB127_1644
.LBB127_1643:
	v_and_b32_e32 v1, 0xffff, v0
	s_delay_alu instid0(VALU_DEP_1) | instskip(SKIP_1) | instid1(VALU_DEP_2)
	v_dual_lshlrev_b32 v0, 24, v0 :: v_dual_bitop2_b32 v3, 7, v1 bitop3:0x40
	v_bfe_u32 v10, v1, 3, 4
	v_and_b32_e32 v0, 0x80000000, v0
	s_delay_alu instid0(VALU_DEP_3) | instskip(NEXT) | instid1(VALU_DEP_3)
	v_clz_i32_u32_e32 v5, v3
	v_cmp_eq_u32_e32 vcc_lo, 0, v10
	s_delay_alu instid0(VALU_DEP_2) | instskip(NEXT) | instid1(VALU_DEP_1)
	v_min_u32_e32 v5, 32, v5
	v_subrev_nc_u32_e32 v7, 28, v5
	v_sub_nc_u32_e32 v5, 29, v5
	s_delay_alu instid0(VALU_DEP_2) | instskip(NEXT) | instid1(VALU_DEP_2)
	v_lshlrev_b32_e32 v1, v7, v1
	v_cndmask_b32_e32 v5, v10, v5, vcc_lo
	s_delay_alu instid0(VALU_DEP_2) | instskip(NEXT) | instid1(VALU_DEP_1)
	v_and_b32_e32 v1, 7, v1
	v_cndmask_b32_e32 v1, v3, v1, vcc_lo
	s_delay_alu instid0(VALU_DEP_3) | instskip(NEXT) | instid1(VALU_DEP_2)
	v_lshl_add_u32 v3, v5, 23, 0x3b800000
	v_lshlrev_b32_e32 v1, 20, v1
	s_delay_alu instid0(VALU_DEP_1)
	v_or3_b32 v10, v0, v3, v1
.LBB127_1644:
	s_or_b32 exec_lo, exec_lo, s13
.LBB127_1645:
	s_mov_b32 s12, -1
.LBB127_1646:
	s_mov_b32 s13, 0
.LBB127_1647:
	s_delay_alu instid0(SALU_CYCLE_1)
	s_and_b32 vcc_lo, exec_lo, s13
	s_cbranch_vccz .LBB127_1680
; %bb.1648:
	s_cmp_gt_i32 s1, 22
	s_cbranch_scc0 .LBB127_1658
; %bb.1649:
	s_cmp_lt_i32 s1, 24
	s_cbranch_scc1 .LBB127_1661
; %bb.1650:
	s_cmp_gt_i32 s1, 24
	s_cbranch_scc0 .LBB127_1662
; %bb.1651:
	global_load_u8 v0, v[8:9], off
	s_mov_b32 s12, exec_lo
	s_wait_loadcnt 0x0
	v_cmpx_lt_i16_e32 0x7f, v0
	s_xor_b32 s12, exec_lo, s12
	s_cbranch_execz .LBB127_1674
; %bb.1652:
	s_mov_b32 s7, -1
	s_mov_b32 s13, exec_lo
	v_cmpx_eq_u16_e32 0x80, v0
; %bb.1653:
	s_xor_b32 s7, exec_lo, -1
; %bb.1654:
	s_or_b32 exec_lo, exec_lo, s13
	s_delay_alu instid0(SALU_CYCLE_1)
	s_and_b32 s7, s7, exec_lo
	s_or_saveexec_b32 s12, s12
	v_mov_b32_e32 v10, 0x7f800001
	s_xor_b32 exec_lo, exec_lo, s12
	s_cbranch_execnz .LBB127_1675
.LBB127_1655:
	s_or_b32 exec_lo, exec_lo, s12
	s_and_saveexec_b32 s12, s7
	s_cbranch_execz .LBB127_1657
.LBB127_1656:
	v_and_b32_e32 v1, 0xffff, v0
	s_delay_alu instid0(VALU_DEP_1) | instskip(SKIP_1) | instid1(VALU_DEP_2)
	v_dual_lshlrev_b32 v0, 24, v0 :: v_dual_bitop2_b32 v3, 3, v1 bitop3:0x40
	v_bfe_u32 v10, v1, 2, 5
	v_and_b32_e32 v0, 0x80000000, v0
	s_delay_alu instid0(VALU_DEP_3) | instskip(NEXT) | instid1(VALU_DEP_3)
	v_clz_i32_u32_e32 v5, v3
	v_cmp_eq_u32_e32 vcc_lo, 0, v10
	s_delay_alu instid0(VALU_DEP_2) | instskip(NEXT) | instid1(VALU_DEP_1)
	v_min_u32_e32 v5, 32, v5
	v_subrev_nc_u32_e32 v7, 29, v5
	v_sub_nc_u32_e32 v5, 30, v5
	s_delay_alu instid0(VALU_DEP_2) | instskip(NEXT) | instid1(VALU_DEP_2)
	v_lshlrev_b32_e32 v1, v7, v1
	v_cndmask_b32_e32 v5, v10, v5, vcc_lo
	s_delay_alu instid0(VALU_DEP_2) | instskip(NEXT) | instid1(VALU_DEP_1)
	v_and_b32_e32 v1, 3, v1
	v_cndmask_b32_e32 v1, v3, v1, vcc_lo
	s_delay_alu instid0(VALU_DEP_3) | instskip(NEXT) | instid1(VALU_DEP_2)
	v_lshl_add_u32 v3, v5, 23, 0x37800000
	v_lshlrev_b32_e32 v1, 21, v1
	s_delay_alu instid0(VALU_DEP_1)
	v_or3_b32 v10, v0, v3, v1
.LBB127_1657:
	s_or_b32 exec_lo, exec_lo, s12
	s_mov_b32 s7, 0
	s_branch .LBB127_1663
.LBB127_1658:
	s_mov_b32 s7, -1
                                        ; implicit-def: $vgpr10
	s_branch .LBB127_1669
.LBB127_1659:
	s_or_saveexec_b32 s13, s13
	v_mov_b32_e32 v10, 0x7f800001
	s_xor_b32 exec_lo, exec_lo, s13
	s_cbranch_execz .LBB127_1642
.LBB127_1660:
	v_cmp_ne_u16_e32 vcc_lo, 0, v0
	v_mov_b32_e32 v10, 0
	s_and_not1_b32 s12, s12, exec_lo
	s_and_b32 s14, vcc_lo, exec_lo
	s_delay_alu instid0(SALU_CYCLE_1)
	s_or_b32 s12, s12, s14
	s_or_b32 exec_lo, exec_lo, s13
	s_and_saveexec_b32 s13, s12
	s_cbranch_execnz .LBB127_1643
	s_branch .LBB127_1644
.LBB127_1661:
	s_mov_b32 s7, -1
                                        ; implicit-def: $vgpr10
	s_branch .LBB127_1666
.LBB127_1662:
	s_mov_b32 s7, -1
                                        ; implicit-def: $vgpr10
.LBB127_1663:
	s_delay_alu instid0(SALU_CYCLE_1)
	s_and_b32 vcc_lo, exec_lo, s7
	s_cbranch_vccz .LBB127_1665
; %bb.1664:
	global_load_u8 v0, v[8:9], off
	s_wait_loadcnt 0x0
	v_lshlrev_b32_e32 v0, 24, v0
	s_delay_alu instid0(VALU_DEP_1) | instskip(NEXT) | instid1(VALU_DEP_1)
	v_and_b32_e32 v1, 0x7f000000, v0
	v_clz_i32_u32_e32 v3, v1
	v_add_nc_u32_e32 v7, 0x1000000, v1
	v_cmp_ne_u32_e32 vcc_lo, 0, v1
	s_delay_alu instid0(VALU_DEP_3) | instskip(NEXT) | instid1(VALU_DEP_1)
	v_min_u32_e32 v3, 32, v3
	v_sub_nc_u32_e64 v3, v3, 4 clamp
	s_delay_alu instid0(VALU_DEP_1) | instskip(NEXT) | instid1(VALU_DEP_1)
	v_dual_lshlrev_b32 v5, v3, v1 :: v_dual_lshlrev_b32 v3, 23, v3
	v_lshrrev_b32_e32 v5, 4, v5
	s_delay_alu instid0(VALU_DEP_1) | instskip(SKIP_1) | instid1(VALU_DEP_2)
	v_sub_nc_u32_e32 v3, v5, v3
	v_ashrrev_i32_e32 v5, 8, v7
	v_add_nc_u32_e32 v3, 0x3c000000, v3
	s_delay_alu instid0(VALU_DEP_1) | instskip(NEXT) | instid1(VALU_DEP_1)
	v_and_or_b32 v3, 0x7f800000, v5, v3
	v_cndmask_b32_e32 v1, 0, v3, vcc_lo
	s_delay_alu instid0(VALU_DEP_1)
	v_and_or_b32 v10, 0x80000000, v0, v1
.LBB127_1665:
	s_mov_b32 s7, 0
.LBB127_1666:
	s_delay_alu instid0(SALU_CYCLE_1)
	s_and_not1_b32 vcc_lo, exec_lo, s7
	s_cbranch_vccnz .LBB127_1668
; %bb.1667:
	global_load_u8 v0, v[8:9], off
	s_wait_loadcnt 0x0
	v_lshlrev_b32_e32 v1, 25, v0
	v_lshlrev_b16 v0, 8, v0
	s_delay_alu instid0(VALU_DEP_1) | instskip(SKIP_1) | instid1(VALU_DEP_2)
	v_and_or_b32 v5, 0x7f00, v0, 0.5
	v_bfe_i32 v0, v0, 0, 16
	v_add_f32_e32 v5, -0.5, v5
	v_lshrrev_b32_e32 v3, 4, v1
	v_cmp_gt_u32_e32 vcc_lo, 0x8000000, v1
	s_delay_alu instid0(VALU_DEP_2) | instskip(NEXT) | instid1(VALU_DEP_1)
	v_or_b32_e32 v3, 0x70000000, v3
	v_mul_f32_e32 v3, 0x7800000, v3
	s_delay_alu instid0(VALU_DEP_1) | instskip(NEXT) | instid1(VALU_DEP_1)
	v_cndmask_b32_e32 v1, v3, v5, vcc_lo
	v_and_or_b32 v10, 0x80000000, v0, v1
.LBB127_1668:
	s_mov_b32 s7, 0
	s_mov_b32 s12, -1
.LBB127_1669:
	s_and_not1_b32 vcc_lo, exec_lo, s7
	s_mov_b32 s7, 0
	s_cbranch_vccnz .LBB127_1680
; %bb.1670:
	s_cmp_gt_i32 s1, 14
	s_cbranch_scc0 .LBB127_1673
; %bb.1671:
	s_cmp_eq_u32 s1, 15
	s_cbranch_scc0 .LBB127_1676
; %bb.1672:
	global_load_u16 v0, v[8:9], off
	s_mov_b32 s6, 0
	s_mov_b32 s12, -1
	s_wait_loadcnt 0x0
	v_lshlrev_b32_e32 v10, 16, v0
	s_branch .LBB127_1678
.LBB127_1673:
	s_mov_b32 s7, -1
	s_branch .LBB127_1677
.LBB127_1674:
	s_or_saveexec_b32 s12, s12
	v_mov_b32_e32 v10, 0x7f800001
	s_xor_b32 exec_lo, exec_lo, s12
	s_cbranch_execz .LBB127_1655
.LBB127_1675:
	v_cmp_ne_u16_e32 vcc_lo, 0, v0
	v_mov_b32_e32 v10, 0
	s_and_not1_b32 s7, s7, exec_lo
	s_and_b32 s13, vcc_lo, exec_lo
	s_delay_alu instid0(SALU_CYCLE_1)
	s_or_b32 s7, s7, s13
	s_or_b32 exec_lo, exec_lo, s12
	s_and_saveexec_b32 s12, s7
	s_cbranch_execnz .LBB127_1656
	s_branch .LBB127_1657
.LBB127_1676:
	s_mov_b32 s6, -1
.LBB127_1677:
                                        ; implicit-def: $vgpr10
.LBB127_1678:
	s_and_b32 vcc_lo, exec_lo, s7
	s_mov_b32 s7, 0
	s_cbranch_vccz .LBB127_1680
; %bb.1679:
	s_cmp_lg_u32 s1, 11
	s_mov_b32 s7, -1
	s_cselect_b32 s1, -1, 0
	s_and_not1_b32 s6, s6, exec_lo
	s_and_b32 s1, s1, exec_lo
	s_delay_alu instid0(SALU_CYCLE_1)
	s_or_b32 s6, s6, s1
.LBB127_1680:
	s_mov_b32 s1, 0
.LBB127_1681:
	s_delay_alu instid0(SALU_CYCLE_1)
	s_and_b32 s36, s1, exec_lo
	s_and_not1_b32 s1, s58, exec_lo
	s_and_b32 s6, s6, exec_lo
	s_and_b32 s34, s12, exec_lo
	s_and_b32 s35, s7, exec_lo
	s_or_b32 s37, s1, s6
.LBB127_1682:
	s_wait_xcnt 0x0
	s_or_b32 exec_lo, exec_lo, s46
	s_delay_alu instid0(SALU_CYCLE_1)
	s_and_not1_b32 s1, s58, exec_lo
	s_and_b32 s6, s37, exec_lo
	s_and_b32 s34, s34, exec_lo
	;; [unrolled: 1-line block ×4, first 2 shown]
	s_or_b32 s58, s1, s6
.LBB127_1683:
	s_or_b32 exec_lo, exec_lo, s57
	s_delay_alu instid0(SALU_CYCLE_1)
	s_and_not1_b32 s1, s53, exec_lo
	s_and_b32 s6, s61, exec_lo
	s_and_not1_b32 s7, s55, exec_lo
	s_or_b32 s53, s1, s6
	s_and_not1_b32 s1, s54, exec_lo
	s_and_b32 s6, s59, exec_lo
	s_and_b32 s12, s60, exec_lo
	s_or_b32 s54, s1, s6
	s_and_not1_b32 s1, s52, exec_lo
	s_and_b32 s6, s58, exec_lo
	s_or_b32 s55, s7, s12
	s_and_b32 s34, s34, exec_lo
	s_and_b32 s36, s36, exec_lo
	;; [unrolled: 1-line block ×3, first 2 shown]
	s_or_b32 s52, s1, s6
.LBB127_1684:
	s_or_b32 exec_lo, exec_lo, s56
	s_delay_alu instid0(SALU_CYCLE_1)
	s_and_not1_b32 s1, s45, exec_lo
	s_and_b32 s6, s53, exec_lo
	s_and_not1_b32 s7, s49, exec_lo
	s_or_b32 s45, s1, s6
	s_and_not1_b32 s1, s48, exec_lo
	s_and_b32 s6, s54, exec_lo
	s_and_b32 s12, s55, exec_lo
	s_or_b32 s48, s1, s6
	s_and_not1_b32 s1, s50, exec_lo
	s_and_b32 s6, s52, exec_lo
	s_or_b32 s49, s7, s12
	s_and_b32 s34, s34, exec_lo
	s_and_b32 s36, s36, exec_lo
	;; [unrolled: 1-line block ×3, first 2 shown]
	s_or_b32 s50, s1, s6
	s_or_b32 exec_lo, exec_lo, s51
	s_mov_b32 s1, 0
	s_and_saveexec_b32 s6, s50
	s_cbranch_execz .LBB127_532
.LBB127_1685:
	s_mov_b32 s1, exec_lo
	s_and_not1_b32 s29, s29, exec_lo
	s_trap 2
	s_or_b32 exec_lo, exec_lo, s6
	s_and_saveexec_b32 s6, s29
	s_delay_alu instid0(SALU_CYCLE_1)
	s_xor_b32 s6, exec_lo, s6
	s_cbranch_execnz .LBB127_533
.LBB127_1686:
	s_or_b32 exec_lo, exec_lo, s6
	s_and_saveexec_b32 s6, s36
	s_cbranch_execz .LBB127_1732
.LBB127_1687:
	s_sext_i32_i16 s7, s0
	s_delay_alu instid0(SALU_CYCLE_1)
	s_cmp_lt_i32 s7, 5
	s_cbranch_scc1 .LBB127_1692
; %bb.1688:
	s_cmp_lt_i32 s7, 8
	s_cbranch_scc1 .LBB127_1693
; %bb.1689:
	;; [unrolled: 3-line block ×3, first 2 shown]
	s_cmp_gt_i32 s7, 9
	s_cbranch_scc0 .LBB127_1695
; %bb.1691:
	s_wait_loadcnt 0x0
	global_load_b64 v[0:1], v[8:9], off
	s_mov_b32 s7, 0
	s_wait_loadcnt 0x0
	v_cvt_f32_f64_e32 v10, v[0:1]
	s_branch .LBB127_1696
.LBB127_1692:
                                        ; implicit-def: $vgpr10
	s_branch .LBB127_1713
.LBB127_1693:
                                        ; implicit-def: $vgpr10
	s_branch .LBB127_1702
.LBB127_1694:
	s_mov_b32 s7, -1
                                        ; implicit-def: $vgpr10
	s_branch .LBB127_1699
.LBB127_1695:
	s_mov_b32 s7, -1
                                        ; implicit-def: $vgpr10
.LBB127_1696:
	s_delay_alu instid0(SALU_CYCLE_1)
	s_and_not1_b32 vcc_lo, exec_lo, s7
	s_cbranch_vccnz .LBB127_1698
; %bb.1697:
	global_load_b32 v10, v[8:9], off
.LBB127_1698:
	s_mov_b32 s7, 0
.LBB127_1699:
	s_delay_alu instid0(SALU_CYCLE_1)
	s_and_not1_b32 vcc_lo, exec_lo, s7
	s_cbranch_vccnz .LBB127_1701
; %bb.1700:
	global_load_b32 v0, v[8:9], off
	s_wait_loadcnt 0x0
	v_cvt_f32_f16_e32 v10, v0
.LBB127_1701:
	s_cbranch_execnz .LBB127_1712
.LBB127_1702:
	s_sext_i32_i16 s7, s0
	s_delay_alu instid0(SALU_CYCLE_1)
	s_cmp_lt_i32 s7, 6
	s_cbranch_scc1 .LBB127_1705
; %bb.1703:
	s_cmp_gt_i32 s7, 6
	s_cbranch_scc0 .LBB127_1706
; %bb.1704:
	s_wait_loadcnt 0x0
	global_load_b64 v[0:1], v[8:9], off
	s_mov_b32 s7, 0
	s_wait_loadcnt 0x0
	v_cvt_f32_f64_e32 v10, v[0:1]
	s_branch .LBB127_1707
.LBB127_1705:
	s_mov_b32 s7, -1
                                        ; implicit-def: $vgpr10
	s_branch .LBB127_1710
.LBB127_1706:
	s_mov_b32 s7, -1
                                        ; implicit-def: $vgpr10
.LBB127_1707:
	s_delay_alu instid0(SALU_CYCLE_1)
	s_and_not1_b32 vcc_lo, exec_lo, s7
	s_cbranch_vccnz .LBB127_1709
; %bb.1708:
	s_wait_loadcnt 0x0
	global_load_b32 v10, v[8:9], off
.LBB127_1709:
	s_mov_b32 s7, 0
.LBB127_1710:
	s_delay_alu instid0(SALU_CYCLE_1)
	s_and_not1_b32 vcc_lo, exec_lo, s7
	s_cbranch_vccnz .LBB127_1712
; %bb.1711:
	global_load_u16 v0, v[8:9], off
	s_wait_loadcnt 0x0
	v_cvt_f32_f16_e32 v10, v0
.LBB127_1712:
	s_cbranch_execnz .LBB127_1731
.LBB127_1713:
	s_sext_i32_i16 s7, s0
	s_delay_alu instid0(SALU_CYCLE_1)
	s_cmp_lt_i32 s7, 2
	s_cbranch_scc1 .LBB127_1717
; %bb.1714:
	s_cmp_lt_i32 s7, 3
	s_cbranch_scc1 .LBB127_1718
; %bb.1715:
	s_cmp_gt_i32 s7, 3
	s_cbranch_scc0 .LBB127_1719
; %bb.1716:
	s_wait_loadcnt 0x0
	global_load_b64 v[0:1], v[8:9], off
	s_mov_b32 s7, 0
	s_wait_loadcnt 0x0
	v_xor_b32_e32 v3, v0, v1
	v_cls_i32_e32 v5, v1
	s_delay_alu instid0(VALU_DEP_2) | instskip(NEXT) | instid1(VALU_DEP_1)
	v_ashrrev_i32_e32 v3, 31, v3
	v_add_nc_u32_e32 v3, 32, v3
	s_delay_alu instid0(VALU_DEP_1) | instskip(NEXT) | instid1(VALU_DEP_1)
	v_add_min_u32_e64 v3, v5, -1, v3
	v_lshlrev_b64_e32 v[0:1], v3, v[0:1]
	s_delay_alu instid0(VALU_DEP_1) | instskip(NEXT) | instid1(VALU_DEP_1)
	v_min_u32_e32 v0, 1, v0
	v_dual_sub_nc_u32 v1, 32, v3 :: v_dual_bitop2_b32 v0, v1, v0 bitop3:0x54
	s_delay_alu instid0(VALU_DEP_1) | instskip(NEXT) | instid1(VALU_DEP_1)
	v_cvt_f32_i32_e32 v0, v0
	v_ldexp_f32 v10, v0, v1
	s_branch .LBB127_1720
.LBB127_1717:
                                        ; implicit-def: $vgpr10
	s_branch .LBB127_1726
.LBB127_1718:
	s_mov_b32 s7, -1
                                        ; implicit-def: $vgpr10
	s_branch .LBB127_1723
.LBB127_1719:
	s_mov_b32 s7, -1
                                        ; implicit-def: $vgpr10
.LBB127_1720:
	s_delay_alu instid0(SALU_CYCLE_1)
	s_and_not1_b32 vcc_lo, exec_lo, s7
	s_cbranch_vccnz .LBB127_1722
; %bb.1721:
	global_load_b32 v0, v[8:9], off
	s_wait_loadcnt 0x0
	v_cvt_f32_i32_e32 v10, v0
.LBB127_1722:
	s_mov_b32 s7, 0
.LBB127_1723:
	s_delay_alu instid0(SALU_CYCLE_1)
	s_and_not1_b32 vcc_lo, exec_lo, s7
	s_cbranch_vccnz .LBB127_1725
; %bb.1724:
	global_load_i16 v0, v[8:9], off
	s_wait_loadcnt 0x0
	v_cvt_f32_i32_e32 v10, v0
.LBB127_1725:
	s_cbranch_execnz .LBB127_1731
.LBB127_1726:
	s_sext_i32_i16 s0, s0
	s_delay_alu instid0(SALU_CYCLE_1)
	s_cmp_gt_i32 s0, 0
	s_mov_b32 s0, 0
	s_cbranch_scc0 .LBB127_1728
; %bb.1727:
	global_load_i8 v0, v[8:9], off
	s_wait_loadcnt 0x0
	v_cvt_f32_i32_e32 v10, v0
	s_branch .LBB127_1729
.LBB127_1728:
	s_mov_b32 s0, -1
                                        ; implicit-def: $vgpr10
.LBB127_1729:
	s_delay_alu instid0(SALU_CYCLE_1)
	s_and_not1_b32 vcc_lo, exec_lo, s0
	s_cbranch_vccnz .LBB127_1731
; %bb.1730:
	global_load_u8 v0, v[8:9], off
	s_wait_loadcnt 0x0
	v_cvt_f32_ubyte0_e32 v10, v0
.LBB127_1731:
	s_or_b32 s34, s34, exec_lo
.LBB127_1732:
	s_wait_xcnt 0x0
	s_or_b32 exec_lo, exec_lo, s6
	s_mov_b32 s13, 0
	s_mov_b32 s12, 0
	;; [unrolled: 1-line block ×3, first 2 shown]
                                        ; implicit-def: $sgpr0
                                        ; implicit-def: $vgpr0_vgpr1
                                        ; implicit-def: $vgpr3
	s_and_saveexec_b32 s6, s34
	s_cbranch_execz .LBB127_1740
; %bb.1733:
	v_mov_b32_e32 v7, 0
	s_and_b32 s0, s41, 0xff
	s_delay_alu instid0(SALU_CYCLE_1) | instskip(SKIP_1) | instid1(VALU_DEP_1)
	s_cmp_lt_i32 s0, 11
	s_wait_loadcnt 0x0
	v_add_nc_u64_e32 v[0:1], s[8:9], v[6:7]
	s_cbranch_scc1 .LBB127_1743
; %bb.1734:
	s_and_b32 s7, 0xffff, s0
	s_mov_b32 s9, 0
	s_cmp_gt_i32 s7, 25
	s_cbranch_scc0 .LBB127_1744
; %bb.1735:
	s_cmp_gt_i32 s7, 28
	s_cbranch_scc0 .LBB127_1745
; %bb.1736:
	;; [unrolled: 3-line block ×4, first 2 shown]
	s_cmp_eq_u32 s7, 46
	s_cbranch_scc0 .LBB127_1748
; %bb.1739:
	global_load_b32 v3, v[0:1], off
	s_mov_b32 s8, 0
	s_mov_b32 s12, -1
	s_wait_loadcnt 0x0
	v_lshlrev_b32_e32 v3, 16, v3
	s_branch .LBB127_1750
.LBB127_1740:
	s_or_b32 exec_lo, exec_lo, s6
	s_and_saveexec_b32 s6, s49
	s_cbranch_execnz .LBB127_1813
.LBB127_1741:
	s_or_b32 exec_lo, exec_lo, s6
	s_and_saveexec_b32 s6, s13
	s_delay_alu instid0(SALU_CYCLE_1)
	s_xor_b32 s6, exec_lo, s6
	s_cbranch_execz .LBB127_1814
.LBB127_1742:
	s_wait_loadcnt 0x0
	global_load_u8 v3, v[0:1], off
	s_or_b32 s7, s7, exec_lo
	s_wait_loadcnt 0x0
	v_cmp_ne_u16_e32 vcc_lo, 0, v3
	v_cndmask_b32_e64 v3, 0, 1.0, vcc_lo
	s_wait_xcnt 0x0
	s_or_b32 exec_lo, exec_lo, s6
	s_and_saveexec_b32 s6, s12
	s_cbranch_execz .LBB127_1860
	s_branch .LBB127_1815
.LBB127_1743:
	s_mov_b32 s13, -1
	s_mov_b32 s9, 0
	s_mov_b32 s8, s49
                                        ; implicit-def: $vgpr3
	s_branch .LBB127_1812
.LBB127_1744:
	s_mov_b32 s8, s49
                                        ; implicit-def: $vgpr3
	s_cbranch_execnz .LBB127_1779
	s_branch .LBB127_1811
.LBB127_1745:
	s_mov_b32 s13, -1
	s_mov_b32 s8, s49
                                        ; implicit-def: $vgpr3
	s_branch .LBB127_1760
.LBB127_1746:
	s_mov_b32 s13, -1
	s_mov_b32 s8, s49
                                        ; implicit-def: $vgpr3
	s_branch .LBB127_1755
.LBB127_1747:
	s_mov_b32 s13, -1
	s_mov_b32 s8, s49
	s_branch .LBB127_1749
.LBB127_1748:
	s_mov_b32 s8, -1
.LBB127_1749:
                                        ; implicit-def: $vgpr3
.LBB127_1750:
	s_and_b32 vcc_lo, exec_lo, s13
	s_cbranch_vccz .LBB127_1754
; %bb.1751:
	s_cmp_eq_u32 s7, 44
	s_cbranch_scc0 .LBB127_1753
; %bb.1752:
	global_load_u8 v3, v[0:1], off
	s_mov_b32 s8, 0
	s_mov_b32 s12, -1
	s_wait_loadcnt 0x0
	v_lshlrev_b32_e32 v5, 23, v3
	v_cmp_ne_u32_e32 vcc_lo, 0xff, v3
	s_delay_alu instid0(VALU_DEP_2) | instskip(SKIP_1) | instid1(VALU_DEP_2)
	v_cndmask_b32_e32 v5, 0x7f800001, v5, vcc_lo
	v_cmp_ne_u32_e32 vcc_lo, 0, v3
	v_cndmask_b32_e32 v3, 0x400000, v5, vcc_lo
	s_branch .LBB127_1754
.LBB127_1753:
	s_mov_b32 s8, -1
                                        ; implicit-def: $vgpr3
.LBB127_1754:
	s_mov_b32 s13, 0
.LBB127_1755:
	s_delay_alu instid0(SALU_CYCLE_1)
	s_and_b32 vcc_lo, exec_lo, s13
	s_cbranch_vccz .LBB127_1759
; %bb.1756:
	s_cmp_eq_u32 s7, 29
	s_cbranch_scc0 .LBB127_1758
; %bb.1757:
	global_load_b64 v[6:7], v[0:1], off
	s_mov_b32 s8, 0
	s_mov_b32 s12, -1
	s_mov_b32 s13, 0
	s_wait_loadcnt 0x0
	v_clz_i32_u32_e32 v3, v7
	s_delay_alu instid0(VALU_DEP_1) | instskip(NEXT) | instid1(VALU_DEP_1)
	v_min_u32_e32 v3, 32, v3
	v_lshlrev_b64_e32 v[6:7], v3, v[6:7]
	v_sub_nc_u32_e32 v3, 32, v3
	s_delay_alu instid0(VALU_DEP_2) | instskip(NEXT) | instid1(VALU_DEP_1)
	v_min_u32_e32 v5, 1, v6
	v_or_b32_e32 v5, v7, v5
	s_delay_alu instid0(VALU_DEP_1) | instskip(NEXT) | instid1(VALU_DEP_1)
	v_cvt_f32_u32_e32 v5, v5
	v_ldexp_f32 v3, v5, v3
	s_branch .LBB127_1760
.LBB127_1758:
	s_mov_b32 s8, -1
                                        ; implicit-def: $vgpr3
.LBB127_1759:
	s_mov_b32 s13, 0
.LBB127_1760:
	s_delay_alu instid0(SALU_CYCLE_1)
	s_and_b32 vcc_lo, exec_lo, s13
	s_cbranch_vccz .LBB127_1778
; %bb.1761:
	s_cmp_lt_i32 s7, 27
	s_cbranch_scc1 .LBB127_1764
; %bb.1762:
	s_cmp_gt_i32 s7, 27
	s_cbranch_scc0 .LBB127_1765
; %bb.1763:
	global_load_b32 v3, v[0:1], off
	s_mov_b32 s12, 0
	s_wait_loadcnt 0x0
	v_cvt_f32_u32_e32 v3, v3
	s_branch .LBB127_1766
.LBB127_1764:
	s_mov_b32 s12, -1
                                        ; implicit-def: $vgpr3
	s_branch .LBB127_1769
.LBB127_1765:
	s_mov_b32 s12, -1
                                        ; implicit-def: $vgpr3
.LBB127_1766:
	s_delay_alu instid0(SALU_CYCLE_1)
	s_and_not1_b32 vcc_lo, exec_lo, s12
	s_cbranch_vccnz .LBB127_1768
; %bb.1767:
	global_load_u16 v3, v[0:1], off
	s_wait_loadcnt 0x0
	v_cvt_f32_u32_e32 v3, v3
.LBB127_1768:
	s_mov_b32 s12, 0
.LBB127_1769:
	s_delay_alu instid0(SALU_CYCLE_1)
	s_and_not1_b32 vcc_lo, exec_lo, s12
	s_cbranch_vccnz .LBB127_1777
; %bb.1770:
	global_load_u8 v5, v[0:1], off
	s_mov_b32 s12, 0
	s_mov_b32 s13, exec_lo
	s_wait_loadcnt 0x0
	v_cmpx_lt_i16_e32 0x7f, v5
	s_xor_b32 s13, exec_lo, s13
	s_cbranch_execz .LBB127_1790
; %bb.1771:
	s_mov_b32 s12, -1
	s_mov_b32 s14, exec_lo
	v_cmpx_eq_u16_e32 0x80, v5
; %bb.1772:
	s_xor_b32 s12, exec_lo, -1
; %bb.1773:
	s_or_b32 exec_lo, exec_lo, s14
	s_delay_alu instid0(SALU_CYCLE_1)
	s_and_b32 s12, s12, exec_lo
	s_or_saveexec_b32 s13, s13
	v_mov_b32_e32 v3, 0x7f800001
	s_xor_b32 exec_lo, exec_lo, s13
	s_cbranch_execnz .LBB127_1791
.LBB127_1774:
	s_or_b32 exec_lo, exec_lo, s13
	s_and_saveexec_b32 s13, s12
	s_cbranch_execz .LBB127_1776
.LBB127_1775:
	v_and_b32_e32 v3, 0xffff, v5
	s_delay_alu instid0(VALU_DEP_1) | instskip(SKIP_1) | instid1(VALU_DEP_2)
	v_dual_lshlrev_b32 v5, 24, v5 :: v_dual_bitop2_b32 v6, 7, v3 bitop3:0x40
	v_bfe_u32 v9, v3, 3, 4
	v_and_b32_e32 v5, 0x80000000, v5
	s_delay_alu instid0(VALU_DEP_3) | instskip(NEXT) | instid1(VALU_DEP_3)
	v_clz_i32_u32_e32 v7, v6
	v_cmp_eq_u32_e32 vcc_lo, 0, v9
	s_delay_alu instid0(VALU_DEP_2) | instskip(NEXT) | instid1(VALU_DEP_1)
	v_min_u32_e32 v7, 32, v7
	v_subrev_nc_u32_e32 v8, 28, v7
	v_sub_nc_u32_e32 v7, 29, v7
	s_delay_alu instid0(VALU_DEP_2) | instskip(NEXT) | instid1(VALU_DEP_2)
	v_lshlrev_b32_e32 v3, v8, v3
	v_cndmask_b32_e32 v7, v9, v7, vcc_lo
	s_delay_alu instid0(VALU_DEP_2) | instskip(NEXT) | instid1(VALU_DEP_1)
	v_and_b32_e32 v3, 7, v3
	v_cndmask_b32_e32 v3, v6, v3, vcc_lo
	s_delay_alu instid0(VALU_DEP_3) | instskip(NEXT) | instid1(VALU_DEP_2)
	v_lshl_add_u32 v6, v7, 23, 0x3b800000
	v_lshlrev_b32_e32 v3, 20, v3
	s_delay_alu instid0(VALU_DEP_1)
	v_or3_b32 v3, v5, v6, v3
.LBB127_1776:
	s_or_b32 exec_lo, exec_lo, s13
.LBB127_1777:
	s_mov_b32 s12, -1
.LBB127_1778:
	s_branch .LBB127_1811
.LBB127_1779:
	s_cmp_gt_i32 s7, 22
	s_cbranch_scc0 .LBB127_1789
; %bb.1780:
	s_cmp_lt_i32 s7, 24
	s_cbranch_scc1 .LBB127_1792
; %bb.1781:
	s_cmp_gt_i32 s7, 24
	s_cbranch_scc0 .LBB127_1793
; %bb.1782:
	global_load_u8 v5, v[0:1], off
	s_mov_b32 s12, exec_lo
	s_wait_loadcnt 0x0
	v_cmpx_lt_i16_e32 0x7f, v5
	s_xor_b32 s12, exec_lo, s12
	s_cbranch_execz .LBB127_1805
; %bb.1783:
	s_mov_b32 s9, -1
	s_mov_b32 s13, exec_lo
	v_cmpx_eq_u16_e32 0x80, v5
; %bb.1784:
	s_xor_b32 s9, exec_lo, -1
; %bb.1785:
	s_or_b32 exec_lo, exec_lo, s13
	s_delay_alu instid0(SALU_CYCLE_1)
	s_and_b32 s9, s9, exec_lo
	s_or_saveexec_b32 s12, s12
	v_mov_b32_e32 v3, 0x7f800001
	s_xor_b32 exec_lo, exec_lo, s12
	s_cbranch_execnz .LBB127_1806
.LBB127_1786:
	s_or_b32 exec_lo, exec_lo, s12
	s_and_saveexec_b32 s12, s9
	s_cbranch_execz .LBB127_1788
.LBB127_1787:
	v_and_b32_e32 v3, 0xffff, v5
	s_delay_alu instid0(VALU_DEP_1) | instskip(SKIP_1) | instid1(VALU_DEP_2)
	v_dual_lshlrev_b32 v5, 24, v5 :: v_dual_bitop2_b32 v6, 3, v3 bitop3:0x40
	v_bfe_u32 v9, v3, 2, 5
	v_and_b32_e32 v5, 0x80000000, v5
	s_delay_alu instid0(VALU_DEP_3) | instskip(NEXT) | instid1(VALU_DEP_3)
	v_clz_i32_u32_e32 v7, v6
	v_cmp_eq_u32_e32 vcc_lo, 0, v9
	s_delay_alu instid0(VALU_DEP_2) | instskip(NEXT) | instid1(VALU_DEP_1)
	v_min_u32_e32 v7, 32, v7
	v_subrev_nc_u32_e32 v8, 29, v7
	v_sub_nc_u32_e32 v7, 30, v7
	s_delay_alu instid0(VALU_DEP_2) | instskip(NEXT) | instid1(VALU_DEP_2)
	v_lshlrev_b32_e32 v3, v8, v3
	v_cndmask_b32_e32 v7, v9, v7, vcc_lo
	s_delay_alu instid0(VALU_DEP_2) | instskip(NEXT) | instid1(VALU_DEP_1)
	v_and_b32_e32 v3, 3, v3
	v_cndmask_b32_e32 v3, v6, v3, vcc_lo
	s_delay_alu instid0(VALU_DEP_3) | instskip(NEXT) | instid1(VALU_DEP_2)
	v_lshl_add_u32 v6, v7, 23, 0x37800000
	v_lshlrev_b32_e32 v3, 21, v3
	s_delay_alu instid0(VALU_DEP_1)
	v_or3_b32 v3, v5, v6, v3
.LBB127_1788:
	s_or_b32 exec_lo, exec_lo, s12
	s_mov_b32 s9, 0
	s_branch .LBB127_1794
.LBB127_1789:
	s_mov_b32 s9, -1
                                        ; implicit-def: $vgpr3
	s_branch .LBB127_1800
.LBB127_1790:
	s_or_saveexec_b32 s13, s13
	v_mov_b32_e32 v3, 0x7f800001
	s_xor_b32 exec_lo, exec_lo, s13
	s_cbranch_execz .LBB127_1774
.LBB127_1791:
	v_cmp_ne_u16_e32 vcc_lo, 0, v5
	v_mov_b32_e32 v3, 0
	s_and_not1_b32 s12, s12, exec_lo
	s_and_b32 s14, vcc_lo, exec_lo
	s_delay_alu instid0(SALU_CYCLE_1)
	s_or_b32 s12, s12, s14
	s_or_b32 exec_lo, exec_lo, s13
	s_and_saveexec_b32 s13, s12
	s_cbranch_execnz .LBB127_1775
	s_branch .LBB127_1776
.LBB127_1792:
	s_mov_b32 s9, -1
                                        ; implicit-def: $vgpr3
	s_branch .LBB127_1797
.LBB127_1793:
	s_mov_b32 s9, -1
                                        ; implicit-def: $vgpr3
.LBB127_1794:
	s_delay_alu instid0(SALU_CYCLE_1)
	s_and_b32 vcc_lo, exec_lo, s9
	s_cbranch_vccz .LBB127_1796
; %bb.1795:
	global_load_u8 v3, v[0:1], off
	s_wait_loadcnt 0x0
	v_lshlrev_b32_e32 v3, 24, v3
	s_delay_alu instid0(VALU_DEP_1) | instskip(NEXT) | instid1(VALU_DEP_1)
	v_and_b32_e32 v5, 0x7f000000, v3
	v_clz_i32_u32_e32 v6, v5
	v_cmp_ne_u32_e32 vcc_lo, 0, v5
	v_add_nc_u32_e32 v8, 0x1000000, v5
	s_delay_alu instid0(VALU_DEP_3) | instskip(NEXT) | instid1(VALU_DEP_1)
	v_min_u32_e32 v6, 32, v6
	v_sub_nc_u32_e64 v6, v6, 4 clamp
	s_delay_alu instid0(VALU_DEP_1) | instskip(NEXT) | instid1(VALU_DEP_1)
	v_dual_lshlrev_b32 v7, v6, v5 :: v_dual_lshlrev_b32 v6, 23, v6
	v_lshrrev_b32_e32 v7, 4, v7
	s_delay_alu instid0(VALU_DEP_1) | instskip(NEXT) | instid1(VALU_DEP_1)
	v_dual_sub_nc_u32 v6, v7, v6 :: v_dual_ashrrev_i32 v7, 8, v8
	v_add_nc_u32_e32 v6, 0x3c000000, v6
	s_delay_alu instid0(VALU_DEP_1) | instskip(NEXT) | instid1(VALU_DEP_1)
	v_and_or_b32 v6, 0x7f800000, v7, v6
	v_cndmask_b32_e32 v5, 0, v6, vcc_lo
	s_delay_alu instid0(VALU_DEP_1)
	v_and_or_b32 v3, 0x80000000, v3, v5
.LBB127_1796:
	s_mov_b32 s9, 0
.LBB127_1797:
	s_delay_alu instid0(SALU_CYCLE_1)
	s_and_not1_b32 vcc_lo, exec_lo, s9
	s_cbranch_vccnz .LBB127_1799
; %bb.1798:
	global_load_u8 v3, v[0:1], off
	s_wait_loadcnt 0x0
	v_lshlrev_b32_e32 v5, 25, v3
	v_lshlrev_b16 v3, 8, v3
	s_delay_alu instid0(VALU_DEP_1) | instskip(NEXT) | instid1(VALU_DEP_3)
	v_and_or_b32 v7, 0x7f00, v3, 0.5
	v_lshrrev_b32_e32 v6, 4, v5
	v_bfe_i32 v3, v3, 0, 16
	s_delay_alu instid0(VALU_DEP_3) | instskip(NEXT) | instid1(VALU_DEP_3)
	v_add_f32_e32 v7, -0.5, v7
	v_or_b32_e32 v6, 0x70000000, v6
	s_delay_alu instid0(VALU_DEP_1) | instskip(SKIP_1) | instid1(VALU_DEP_2)
	v_mul_f32_e32 v6, 0x7800000, v6
	v_cmp_gt_u32_e32 vcc_lo, 0x8000000, v5
	v_cndmask_b32_e32 v5, v6, v7, vcc_lo
	s_delay_alu instid0(VALU_DEP_1)
	v_and_or_b32 v3, 0x80000000, v3, v5
.LBB127_1799:
	s_mov_b32 s9, 0
	s_mov_b32 s12, -1
.LBB127_1800:
	s_and_not1_b32 vcc_lo, exec_lo, s9
	s_mov_b32 s9, 0
	s_cbranch_vccnz .LBB127_1811
; %bb.1801:
	s_cmp_gt_i32 s7, 14
	s_cbranch_scc0 .LBB127_1804
; %bb.1802:
	s_cmp_eq_u32 s7, 15
	s_cbranch_scc0 .LBB127_1807
; %bb.1803:
	global_load_u16 v3, v[0:1], off
	s_mov_b32 s8, 0
	s_mov_b32 s12, -1
	s_wait_loadcnt 0x0
	v_lshlrev_b32_e32 v3, 16, v3
	s_branch .LBB127_1809
.LBB127_1804:
	s_mov_b32 s9, -1
	s_branch .LBB127_1808
.LBB127_1805:
	s_or_saveexec_b32 s12, s12
	v_mov_b32_e32 v3, 0x7f800001
	s_xor_b32 exec_lo, exec_lo, s12
	s_cbranch_execz .LBB127_1786
.LBB127_1806:
	v_cmp_ne_u16_e32 vcc_lo, 0, v5
	v_mov_b32_e32 v3, 0
	s_and_not1_b32 s9, s9, exec_lo
	s_and_b32 s13, vcc_lo, exec_lo
	s_delay_alu instid0(SALU_CYCLE_1)
	s_or_b32 s9, s9, s13
	s_or_b32 exec_lo, exec_lo, s12
	s_and_saveexec_b32 s12, s9
	s_cbranch_execnz .LBB127_1787
	s_branch .LBB127_1788
.LBB127_1807:
	s_mov_b32 s8, -1
.LBB127_1808:
                                        ; implicit-def: $vgpr3
.LBB127_1809:
	s_and_b32 vcc_lo, exec_lo, s9
	s_mov_b32 s9, 0
	s_cbranch_vccz .LBB127_1811
; %bb.1810:
	s_cmp_lg_u32 s7, 11
	s_mov_b32 s9, -1
	s_cselect_b32 s7, -1, 0
	s_and_not1_b32 s8, s8, exec_lo
	s_and_b32 s7, s7, exec_lo
	s_delay_alu instid0(SALU_CYCLE_1)
	s_or_b32 s8, s8, s7
.LBB127_1811:
	s_mov_b32 s13, 0
.LBB127_1812:
	s_and_not1_b32 s14, s49, exec_lo
	s_and_b32 s8, s8, exec_lo
	s_and_b32 s7, s12, exec_lo
	;; [unrolled: 1-line block ×4, first 2 shown]
	s_or_b32 s49, s14, s8
	s_wait_xcnt 0x0
	s_or_b32 exec_lo, exec_lo, s6
	s_and_saveexec_b32 s6, s49
	s_cbranch_execz .LBB127_1741
.LBB127_1813:
	s_or_b32 s1, s1, exec_lo
	s_and_not1_b32 s13, s13, exec_lo
	s_trap 2
	s_or_b32 exec_lo, exec_lo, s6
	s_and_saveexec_b32 s6, s13
	s_delay_alu instid0(SALU_CYCLE_1)
	s_xor_b32 s6, exec_lo, s6
	s_cbranch_execnz .LBB127_1742
.LBB127_1814:
	s_or_b32 exec_lo, exec_lo, s6
	s_and_saveexec_b32 s6, s12
	s_cbranch_execz .LBB127_1860
.LBB127_1815:
	s_sext_i32_i16 s8, s0
	s_delay_alu instid0(SALU_CYCLE_1)
	s_cmp_lt_i32 s8, 5
	s_cbranch_scc1 .LBB127_1820
; %bb.1816:
	s_cmp_lt_i32 s8, 8
	s_cbranch_scc1 .LBB127_1821
; %bb.1817:
	;; [unrolled: 3-line block ×3, first 2 shown]
	s_cmp_gt_i32 s8, 9
	s_cbranch_scc0 .LBB127_1823
; %bb.1819:
	s_wait_loadcnt 0x0
	global_load_b64 v[6:7], v[0:1], off
	s_mov_b32 s8, 0
	s_wait_loadcnt 0x0
	v_cvt_f32_f64_e32 v3, v[6:7]
	s_branch .LBB127_1824
.LBB127_1820:
                                        ; implicit-def: $vgpr3
	s_branch .LBB127_1841
.LBB127_1821:
                                        ; implicit-def: $vgpr3
	s_branch .LBB127_1830
.LBB127_1822:
	s_mov_b32 s8, -1
                                        ; implicit-def: $vgpr3
	s_branch .LBB127_1827
.LBB127_1823:
	s_mov_b32 s8, -1
                                        ; implicit-def: $vgpr3
.LBB127_1824:
	s_delay_alu instid0(SALU_CYCLE_1)
	s_and_not1_b32 vcc_lo, exec_lo, s8
	s_cbranch_vccnz .LBB127_1826
; %bb.1825:
	s_wait_loadcnt 0x0
	global_load_b32 v3, v[0:1], off
.LBB127_1826:
	s_mov_b32 s8, 0
.LBB127_1827:
	s_delay_alu instid0(SALU_CYCLE_1)
	s_and_not1_b32 vcc_lo, exec_lo, s8
	s_cbranch_vccnz .LBB127_1829
; %bb.1828:
	s_wait_loadcnt 0x0
	global_load_b32 v3, v[0:1], off
	s_wait_loadcnt 0x0
	v_cvt_f32_f16_e32 v3, v3
.LBB127_1829:
	s_cbranch_execnz .LBB127_1840
.LBB127_1830:
	s_sext_i32_i16 s8, s0
	s_delay_alu instid0(SALU_CYCLE_1)
	s_cmp_lt_i32 s8, 6
	s_cbranch_scc1 .LBB127_1833
; %bb.1831:
	s_cmp_gt_i32 s8, 6
	s_cbranch_scc0 .LBB127_1834
; %bb.1832:
	s_wait_loadcnt 0x0
	global_load_b64 v[6:7], v[0:1], off
	s_mov_b32 s8, 0
	s_wait_loadcnt 0x0
	v_cvt_f32_f64_e32 v3, v[6:7]
	s_branch .LBB127_1835
.LBB127_1833:
	s_mov_b32 s8, -1
                                        ; implicit-def: $vgpr3
	s_branch .LBB127_1838
.LBB127_1834:
	s_mov_b32 s8, -1
                                        ; implicit-def: $vgpr3
.LBB127_1835:
	s_delay_alu instid0(SALU_CYCLE_1)
	s_and_not1_b32 vcc_lo, exec_lo, s8
	s_cbranch_vccnz .LBB127_1837
; %bb.1836:
	s_wait_loadcnt 0x0
	global_load_b32 v3, v[0:1], off
.LBB127_1837:
	s_mov_b32 s8, 0
.LBB127_1838:
	s_delay_alu instid0(SALU_CYCLE_1)
	s_and_not1_b32 vcc_lo, exec_lo, s8
	s_cbranch_vccnz .LBB127_1840
; %bb.1839:
	s_wait_loadcnt 0x0
	global_load_u16 v3, v[0:1], off
	s_wait_loadcnt 0x0
	v_cvt_f32_f16_e32 v3, v3
.LBB127_1840:
	s_cbranch_execnz .LBB127_1859
.LBB127_1841:
	s_sext_i32_i16 s8, s0
	s_delay_alu instid0(SALU_CYCLE_1)
	s_cmp_lt_i32 s8, 2
	s_cbranch_scc1 .LBB127_1845
; %bb.1842:
	s_cmp_lt_i32 s8, 3
	s_cbranch_scc1 .LBB127_1846
; %bb.1843:
	s_cmp_gt_i32 s8, 3
	s_cbranch_scc0 .LBB127_1847
; %bb.1844:
	s_wait_loadcnt 0x0
	global_load_b64 v[6:7], v[0:1], off
	s_mov_b32 s8, 0
	s_wait_loadcnt 0x0
	v_xor_b32_e32 v3, v6, v7
	v_cls_i32_e32 v5, v7
	s_delay_alu instid0(VALU_DEP_2) | instskip(NEXT) | instid1(VALU_DEP_1)
	v_ashrrev_i32_e32 v3, 31, v3
	v_add_nc_u32_e32 v3, 32, v3
	s_delay_alu instid0(VALU_DEP_1) | instskip(NEXT) | instid1(VALU_DEP_1)
	v_add_min_u32_e64 v3, v5, -1, v3
	v_lshlrev_b64_e32 v[6:7], v3, v[6:7]
	v_sub_nc_u32_e32 v3, 32, v3
	s_delay_alu instid0(VALU_DEP_2) | instskip(NEXT) | instid1(VALU_DEP_1)
	v_min_u32_e32 v5, 1, v6
	v_or_b32_e32 v5, v7, v5
	s_delay_alu instid0(VALU_DEP_1) | instskip(NEXT) | instid1(VALU_DEP_1)
	v_cvt_f32_i32_e32 v5, v5
	v_ldexp_f32 v3, v5, v3
	s_branch .LBB127_1848
.LBB127_1845:
                                        ; implicit-def: $vgpr3
	s_branch .LBB127_1854
.LBB127_1846:
	s_mov_b32 s8, -1
                                        ; implicit-def: $vgpr3
	s_branch .LBB127_1851
.LBB127_1847:
	s_mov_b32 s8, -1
                                        ; implicit-def: $vgpr3
.LBB127_1848:
	s_delay_alu instid0(SALU_CYCLE_1)
	s_and_not1_b32 vcc_lo, exec_lo, s8
	s_cbranch_vccnz .LBB127_1850
; %bb.1849:
	s_wait_loadcnt 0x0
	global_load_b32 v3, v[0:1], off
	s_wait_loadcnt 0x0
	v_cvt_f32_i32_e32 v3, v3
.LBB127_1850:
	s_mov_b32 s8, 0
.LBB127_1851:
	s_delay_alu instid0(SALU_CYCLE_1)
	s_and_not1_b32 vcc_lo, exec_lo, s8
	s_cbranch_vccnz .LBB127_1853
; %bb.1852:
	s_wait_loadcnt 0x0
	global_load_i16 v3, v[0:1], off
	s_wait_loadcnt 0x0
	v_cvt_f32_i32_e32 v3, v3
.LBB127_1853:
	s_cbranch_execnz .LBB127_1859
.LBB127_1854:
	s_sext_i32_i16 s0, s0
	s_delay_alu instid0(SALU_CYCLE_1)
	s_cmp_gt_i32 s0, 0
	s_mov_b32 s0, 0
	s_cbranch_scc0 .LBB127_1856
; %bb.1855:
	s_wait_loadcnt 0x0
	global_load_i8 v3, v[0:1], off
	s_wait_loadcnt 0x0
	v_cvt_f32_i32_e32 v3, v3
	s_branch .LBB127_1857
.LBB127_1856:
	s_mov_b32 s0, -1
                                        ; implicit-def: $vgpr3
.LBB127_1857:
	s_delay_alu instid0(SALU_CYCLE_1)
	s_and_not1_b32 vcc_lo, exec_lo, s0
	s_cbranch_vccnz .LBB127_1859
; %bb.1858:
	s_wait_loadcnt 0x0
	global_load_u8 v0, v[0:1], off
	s_wait_loadcnt 0x0
	v_cvt_f32_ubyte0_e32 v3, v0
.LBB127_1859:
	s_or_b32 s7, s7, exec_lo
.LBB127_1860:
	s_wait_xcnt 0x0
	s_or_b32 exec_lo, exec_lo, s6
	s_mov_b32 s8, 0
	s_mov_b32 s6, 0
	;; [unrolled: 1-line block ×3, first 2 shown]
                                        ; implicit-def: $vgpr0_vgpr1
                                        ; implicit-def: $vgpr5
	s_and_saveexec_b32 s0, s7
	s_cbranch_execz .LBB127_1868
; %bb.1861:
	v_mov_b32_e32 v5, 0
	s_and_b32 s6, 0xffff, s21
	s_delay_alu instid0(SALU_CYCLE_1) | instskip(SKIP_1) | instid1(VALU_DEP_1)
	s_cmp_lt_i32 s6, 11
	s_wait_loadcnt 0x0
	v_add_nc_u64_e32 v[0:1], s[10:11], v[4:5]
	s_cbranch_scc1 .LBB127_1871
; %bb.1862:
	s_cmp_gt_i32 s6, 25
	s_cbranch_scc0 .LBB127_1872
; %bb.1863:
	s_cmp_gt_i32 s6, 28
	s_cbranch_scc0 .LBB127_1873
	;; [unrolled: 3-line block ×4, first 2 shown]
; %bb.1866:
	s_cmp_eq_u32 s6, 46
	s_mov_b32 s10, 0
	s_cbranch_scc0 .LBB127_1876
; %bb.1867:
	global_load_b32 v4, v[0:1], off
	s_mov_b32 s7, 0
	s_mov_b32 s9, -1
	s_wait_loadcnt 0x0
	v_lshlrev_b32_e32 v5, 16, v4
	s_branch .LBB127_1878
.LBB127_1868:
	s_or_b32 exec_lo, exec_lo, s0
	s_and_saveexec_b32 s0, s48
	s_cbranch_execnz .LBB127_1941
.LBB127_1869:
	s_or_b32 exec_lo, exec_lo, s0
	s_and_saveexec_b32 s0, s8
	s_delay_alu instid0(SALU_CYCLE_1)
	s_xor_b32 s0, exec_lo, s0
	s_cbranch_execz .LBB127_1942
.LBB127_1870:
	s_wait_loadcnt 0x0
	global_load_u8 v4, v[0:1], off
	s_or_b32 s9, s9, exec_lo
	s_wait_loadcnt 0x0
	v_cmp_ne_u16_e32 vcc_lo, 0, v4
	v_cndmask_b32_e64 v5, 0, 1.0, vcc_lo
	s_wait_xcnt 0x0
	s_or_b32 exec_lo, exec_lo, s0
	s_and_saveexec_b32 s0, s6
	s_cbranch_execz .LBB127_1988
	s_branch .LBB127_1943
.LBB127_1871:
	s_mov_b32 s6, -1
	s_mov_b32 s7, s48
                                        ; implicit-def: $vgpr5
	s_branch .LBB127_1940
.LBB127_1872:
	s_mov_b32 s7, s48
                                        ; implicit-def: $vgpr5
	s_cbranch_execnz .LBB127_1907
	s_branch .LBB127_1939
.LBB127_1873:
	s_mov_b32 s10, -1
	s_mov_b32 s7, s48
                                        ; implicit-def: $vgpr5
	s_branch .LBB127_1888
.LBB127_1874:
	s_mov_b32 s10, -1
	s_mov_b32 s7, s48
                                        ; implicit-def: $vgpr5
	s_branch .LBB127_1883
.LBB127_1875:
	s_mov_b32 s10, -1
	s_mov_b32 s7, s48
	s_branch .LBB127_1877
.LBB127_1876:
	s_mov_b32 s7, -1
.LBB127_1877:
                                        ; implicit-def: $vgpr5
.LBB127_1878:
	s_and_b32 vcc_lo, exec_lo, s10
	s_cbranch_vccz .LBB127_1882
; %bb.1879:
	s_cmp_eq_u32 s6, 44
	s_cbranch_scc0 .LBB127_1881
; %bb.1880:
	global_load_u8 v4, v[0:1], off
	s_mov_b32 s7, 0
	s_mov_b32 s9, -1
	s_wait_loadcnt 0x0
	v_lshlrev_b32_e32 v5, 23, v4
	v_cmp_ne_u32_e32 vcc_lo, 0xff, v4
	s_delay_alu instid0(VALU_DEP_2) | instskip(SKIP_1) | instid1(VALU_DEP_2)
	v_cndmask_b32_e32 v5, 0x7f800001, v5, vcc_lo
	v_cmp_ne_u32_e32 vcc_lo, 0, v4
	v_cndmask_b32_e32 v5, 0x400000, v5, vcc_lo
	s_branch .LBB127_1882
.LBB127_1881:
	s_mov_b32 s7, -1
                                        ; implicit-def: $vgpr5
.LBB127_1882:
	s_mov_b32 s10, 0
.LBB127_1883:
	s_delay_alu instid0(SALU_CYCLE_1)
	s_and_b32 vcc_lo, exec_lo, s10
	s_cbranch_vccz .LBB127_1887
; %bb.1884:
	s_cmp_eq_u32 s6, 29
	s_cbranch_scc0 .LBB127_1886
; %bb.1885:
	global_load_b64 v[4:5], v[0:1], off
	s_mov_b32 s7, 0
	s_mov_b32 s9, -1
	s_mov_b32 s10, 0
	s_wait_loadcnt 0x0
	v_clz_i32_u32_e32 v6, v5
	s_delay_alu instid0(VALU_DEP_1) | instskip(NEXT) | instid1(VALU_DEP_1)
	v_min_u32_e32 v6, 32, v6
	v_lshlrev_b64_e32 v[4:5], v6, v[4:5]
	s_delay_alu instid0(VALU_DEP_1) | instskip(NEXT) | instid1(VALU_DEP_1)
	v_min_u32_e32 v4, 1, v4
	v_dual_sub_nc_u32 v5, 32, v6 :: v_dual_bitop2_b32 v4, v5, v4 bitop3:0x54
	s_delay_alu instid0(VALU_DEP_1) | instskip(NEXT) | instid1(VALU_DEP_1)
	v_cvt_f32_u32_e32 v4, v4
	v_ldexp_f32 v5, v4, v5
	s_branch .LBB127_1888
.LBB127_1886:
	s_mov_b32 s7, -1
                                        ; implicit-def: $vgpr5
.LBB127_1887:
	s_mov_b32 s10, 0
.LBB127_1888:
	s_delay_alu instid0(SALU_CYCLE_1)
	s_and_b32 vcc_lo, exec_lo, s10
	s_cbranch_vccz .LBB127_1906
; %bb.1889:
	s_cmp_lt_i32 s6, 27
	s_cbranch_scc1 .LBB127_1892
; %bb.1890:
	s_cmp_gt_i32 s6, 27
	s_cbranch_scc0 .LBB127_1893
; %bb.1891:
	global_load_b32 v4, v[0:1], off
	s_mov_b32 s9, 0
	s_wait_loadcnt 0x0
	v_cvt_f32_u32_e32 v5, v4
	s_branch .LBB127_1894
.LBB127_1892:
	s_mov_b32 s9, -1
                                        ; implicit-def: $vgpr5
	s_branch .LBB127_1897
.LBB127_1893:
	s_mov_b32 s9, -1
                                        ; implicit-def: $vgpr5
.LBB127_1894:
	s_delay_alu instid0(SALU_CYCLE_1)
	s_and_not1_b32 vcc_lo, exec_lo, s9
	s_cbranch_vccnz .LBB127_1896
; %bb.1895:
	global_load_u16 v4, v[0:1], off
	s_wait_loadcnt 0x0
	v_cvt_f32_u32_e32 v5, v4
.LBB127_1896:
	s_mov_b32 s9, 0
.LBB127_1897:
	s_delay_alu instid0(SALU_CYCLE_1)
	s_and_not1_b32 vcc_lo, exec_lo, s9
	s_cbranch_vccnz .LBB127_1905
; %bb.1898:
	global_load_u8 v4, v[0:1], off
	s_mov_b32 s9, 0
	s_mov_b32 s10, exec_lo
	s_wait_loadcnt 0x0
	v_cmpx_lt_i16_e32 0x7f, v4
	s_xor_b32 s10, exec_lo, s10
	s_cbranch_execz .LBB127_1918
; %bb.1899:
	s_mov_b32 s9, -1
	s_mov_b32 s11, exec_lo
	v_cmpx_eq_u16_e32 0x80, v4
; %bb.1900:
	s_xor_b32 s9, exec_lo, -1
; %bb.1901:
	s_or_b32 exec_lo, exec_lo, s11
	s_delay_alu instid0(SALU_CYCLE_1)
	s_and_b32 s9, s9, exec_lo
	s_or_saveexec_b32 s10, s10
	v_mov_b32_e32 v5, 0x7f800001
	s_xor_b32 exec_lo, exec_lo, s10
	s_cbranch_execnz .LBB127_1919
.LBB127_1902:
	s_or_b32 exec_lo, exec_lo, s10
	s_and_saveexec_b32 s10, s9
	s_cbranch_execz .LBB127_1904
.LBB127_1903:
	v_and_b32_e32 v5, 0xffff, v4
	s_delay_alu instid0(VALU_DEP_1) | instskip(SKIP_1) | instid1(VALU_DEP_2)
	v_and_b32_e32 v6, 7, v5
	v_bfe_u32 v9, v5, 3, 4
	v_clz_i32_u32_e32 v7, v6
	s_delay_alu instid0(VALU_DEP_2) | instskip(NEXT) | instid1(VALU_DEP_2)
	v_cmp_eq_u32_e32 vcc_lo, 0, v9
	v_min_u32_e32 v7, 32, v7
	s_delay_alu instid0(VALU_DEP_1) | instskip(NEXT) | instid1(VALU_DEP_1)
	v_subrev_nc_u32_e32 v8, 28, v7
	v_dual_lshlrev_b32 v5, v8, v5 :: v_dual_sub_nc_u32 v7, 29, v7
	s_delay_alu instid0(VALU_DEP_1) | instskip(NEXT) | instid1(VALU_DEP_1)
	v_dual_lshlrev_b32 v4, 24, v4 :: v_dual_bitop2_b32 v5, 7, v5 bitop3:0x40
	v_dual_cndmask_b32 v7, v9, v7, vcc_lo :: v_dual_cndmask_b32 v5, v6, v5, vcc_lo
	s_delay_alu instid0(VALU_DEP_2) | instskip(NEXT) | instid1(VALU_DEP_2)
	v_and_b32_e32 v4, 0x80000000, v4
	v_lshl_add_u32 v6, v7, 23, 0x3b800000
	s_delay_alu instid0(VALU_DEP_3) | instskip(NEXT) | instid1(VALU_DEP_1)
	v_lshlrev_b32_e32 v5, 20, v5
	v_or3_b32 v5, v4, v6, v5
.LBB127_1904:
	s_or_b32 exec_lo, exec_lo, s10
.LBB127_1905:
	s_mov_b32 s9, -1
.LBB127_1906:
	s_branch .LBB127_1939
.LBB127_1907:
	s_cmp_gt_i32 s6, 22
	s_cbranch_scc0 .LBB127_1917
; %bb.1908:
	s_cmp_lt_i32 s6, 24
	s_cbranch_scc1 .LBB127_1920
; %bb.1909:
	s_cmp_gt_i32 s6, 24
	s_cbranch_scc0 .LBB127_1921
; %bb.1910:
	global_load_u8 v4, v[0:1], off
	s_mov_b32 s9, exec_lo
	s_wait_loadcnt 0x0
	v_cmpx_lt_i16_e32 0x7f, v4
	s_xor_b32 s9, exec_lo, s9
	s_cbranch_execz .LBB127_1933
; %bb.1911:
	s_mov_b32 s8, -1
	s_mov_b32 s10, exec_lo
	v_cmpx_eq_u16_e32 0x80, v4
; %bb.1912:
	s_xor_b32 s8, exec_lo, -1
; %bb.1913:
	s_or_b32 exec_lo, exec_lo, s10
	s_delay_alu instid0(SALU_CYCLE_1)
	s_and_b32 s8, s8, exec_lo
	s_or_saveexec_b32 s9, s9
	v_mov_b32_e32 v5, 0x7f800001
	s_xor_b32 exec_lo, exec_lo, s9
	s_cbranch_execnz .LBB127_1934
.LBB127_1914:
	s_or_b32 exec_lo, exec_lo, s9
	s_and_saveexec_b32 s9, s8
	s_cbranch_execz .LBB127_1916
.LBB127_1915:
	v_and_b32_e32 v5, 0xffff, v4
	s_delay_alu instid0(VALU_DEP_1) | instskip(SKIP_1) | instid1(VALU_DEP_2)
	v_and_b32_e32 v6, 3, v5
	v_bfe_u32 v9, v5, 2, 5
	v_clz_i32_u32_e32 v7, v6
	s_delay_alu instid0(VALU_DEP_2) | instskip(NEXT) | instid1(VALU_DEP_2)
	v_cmp_eq_u32_e32 vcc_lo, 0, v9
	v_min_u32_e32 v7, 32, v7
	s_delay_alu instid0(VALU_DEP_1) | instskip(NEXT) | instid1(VALU_DEP_1)
	v_subrev_nc_u32_e32 v8, 29, v7
	v_dual_lshlrev_b32 v5, v8, v5 :: v_dual_sub_nc_u32 v7, 30, v7
	s_delay_alu instid0(VALU_DEP_1) | instskip(NEXT) | instid1(VALU_DEP_1)
	v_dual_lshlrev_b32 v4, 24, v4 :: v_dual_bitop2_b32 v5, 3, v5 bitop3:0x40
	v_dual_cndmask_b32 v7, v9, v7, vcc_lo :: v_dual_cndmask_b32 v5, v6, v5, vcc_lo
	s_delay_alu instid0(VALU_DEP_2) | instskip(NEXT) | instid1(VALU_DEP_2)
	v_and_b32_e32 v4, 0x80000000, v4
	v_lshl_add_u32 v6, v7, 23, 0x37800000
	s_delay_alu instid0(VALU_DEP_3) | instskip(NEXT) | instid1(VALU_DEP_1)
	v_lshlrev_b32_e32 v5, 21, v5
	v_or3_b32 v5, v4, v6, v5
.LBB127_1916:
	s_or_b32 exec_lo, exec_lo, s9
	s_mov_b32 s8, 0
	s_branch .LBB127_1922
.LBB127_1917:
	s_mov_b32 s8, -1
                                        ; implicit-def: $vgpr5
	s_branch .LBB127_1928
.LBB127_1918:
	s_or_saveexec_b32 s10, s10
	v_mov_b32_e32 v5, 0x7f800001
	s_xor_b32 exec_lo, exec_lo, s10
	s_cbranch_execz .LBB127_1902
.LBB127_1919:
	v_cmp_ne_u16_e32 vcc_lo, 0, v4
	v_mov_b32_e32 v5, 0
	s_and_not1_b32 s9, s9, exec_lo
	s_and_b32 s11, vcc_lo, exec_lo
	s_delay_alu instid0(SALU_CYCLE_1)
	s_or_b32 s9, s9, s11
	s_or_b32 exec_lo, exec_lo, s10
	s_and_saveexec_b32 s10, s9
	s_cbranch_execnz .LBB127_1903
	s_branch .LBB127_1904
.LBB127_1920:
	s_mov_b32 s8, -1
                                        ; implicit-def: $vgpr5
	s_branch .LBB127_1925
.LBB127_1921:
	s_mov_b32 s8, -1
                                        ; implicit-def: $vgpr5
.LBB127_1922:
	s_delay_alu instid0(SALU_CYCLE_1)
	s_and_b32 vcc_lo, exec_lo, s8
	s_cbranch_vccz .LBB127_1924
; %bb.1923:
	global_load_u8 v4, v[0:1], off
	s_wait_loadcnt 0x0
	v_lshlrev_b32_e32 v4, 24, v4
	s_delay_alu instid0(VALU_DEP_1) | instskip(NEXT) | instid1(VALU_DEP_1)
	v_and_b32_e32 v5, 0x7f000000, v4
	v_clz_i32_u32_e32 v6, v5
	v_cmp_ne_u32_e32 vcc_lo, 0, v5
	v_add_nc_u32_e32 v8, 0x1000000, v5
	s_delay_alu instid0(VALU_DEP_3) | instskip(NEXT) | instid1(VALU_DEP_1)
	v_min_u32_e32 v6, 32, v6
	v_sub_nc_u32_e64 v6, v6, 4 clamp
	s_delay_alu instid0(VALU_DEP_1) | instskip(NEXT) | instid1(VALU_DEP_1)
	v_dual_lshlrev_b32 v7, v6, v5 :: v_dual_lshlrev_b32 v6, 23, v6
	v_lshrrev_b32_e32 v7, 4, v7
	s_delay_alu instid0(VALU_DEP_1) | instskip(NEXT) | instid1(VALU_DEP_1)
	v_dual_sub_nc_u32 v6, v7, v6 :: v_dual_ashrrev_i32 v7, 8, v8
	v_add_nc_u32_e32 v6, 0x3c000000, v6
	s_delay_alu instid0(VALU_DEP_1) | instskip(NEXT) | instid1(VALU_DEP_1)
	v_and_or_b32 v6, 0x7f800000, v7, v6
	v_cndmask_b32_e32 v5, 0, v6, vcc_lo
	s_delay_alu instid0(VALU_DEP_1)
	v_and_or_b32 v5, 0x80000000, v4, v5
.LBB127_1924:
	s_mov_b32 s8, 0
.LBB127_1925:
	s_delay_alu instid0(SALU_CYCLE_1)
	s_and_not1_b32 vcc_lo, exec_lo, s8
	s_cbranch_vccnz .LBB127_1927
; %bb.1926:
	global_load_u8 v4, v[0:1], off
	s_wait_loadcnt 0x0
	v_lshlrev_b32_e32 v5, 25, v4
	v_lshlrev_b16 v4, 8, v4
	s_delay_alu instid0(VALU_DEP_1) | instskip(SKIP_1) | instid1(VALU_DEP_2)
	v_and_or_b32 v7, 0x7f00, v4, 0.5
	v_bfe_i32 v4, v4, 0, 16
	v_dual_add_f32 v7, -0.5, v7 :: v_dual_lshrrev_b32 v6, 4, v5
	v_cmp_gt_u32_e32 vcc_lo, 0x8000000, v5
	s_delay_alu instid0(VALU_DEP_2) | instskip(NEXT) | instid1(VALU_DEP_1)
	v_or_b32_e32 v6, 0x70000000, v6
	v_mul_f32_e32 v6, 0x7800000, v6
	s_delay_alu instid0(VALU_DEP_1) | instskip(NEXT) | instid1(VALU_DEP_1)
	v_cndmask_b32_e32 v5, v6, v7, vcc_lo
	v_and_or_b32 v5, 0x80000000, v4, v5
.LBB127_1927:
	s_mov_b32 s8, 0
	s_mov_b32 s9, -1
.LBB127_1928:
	s_and_not1_b32 vcc_lo, exec_lo, s8
	s_mov_b32 s8, 0
	s_cbranch_vccnz .LBB127_1939
; %bb.1929:
	s_cmp_gt_i32 s6, 14
	s_cbranch_scc0 .LBB127_1932
; %bb.1930:
	s_cmp_eq_u32 s6, 15
	s_cbranch_scc0 .LBB127_1935
; %bb.1931:
	global_load_u16 v4, v[0:1], off
	s_mov_b32 s7, 0
	s_mov_b32 s9, -1
	s_wait_loadcnt 0x0
	v_lshlrev_b32_e32 v5, 16, v4
	s_branch .LBB127_1937
.LBB127_1932:
	s_mov_b32 s8, -1
	s_branch .LBB127_1936
.LBB127_1933:
	s_or_saveexec_b32 s9, s9
	v_mov_b32_e32 v5, 0x7f800001
	s_xor_b32 exec_lo, exec_lo, s9
	s_cbranch_execz .LBB127_1914
.LBB127_1934:
	v_cmp_ne_u16_e32 vcc_lo, 0, v4
	v_mov_b32_e32 v5, 0
	s_and_not1_b32 s8, s8, exec_lo
	s_and_b32 s10, vcc_lo, exec_lo
	s_delay_alu instid0(SALU_CYCLE_1)
	s_or_b32 s8, s8, s10
	s_or_b32 exec_lo, exec_lo, s9
	s_and_saveexec_b32 s9, s8
	s_cbranch_execnz .LBB127_1915
	s_branch .LBB127_1916
.LBB127_1935:
	s_mov_b32 s7, -1
.LBB127_1936:
                                        ; implicit-def: $vgpr5
.LBB127_1937:
	s_and_b32 vcc_lo, exec_lo, s8
	s_mov_b32 s8, 0
	s_cbranch_vccz .LBB127_1939
; %bb.1938:
	s_cmp_lg_u32 s6, 11
	s_mov_b32 s8, -1
	s_cselect_b32 s6, -1, 0
	s_and_not1_b32 s7, s7, exec_lo
	s_and_b32 s6, s6, exec_lo
	s_delay_alu instid0(SALU_CYCLE_1)
	s_or_b32 s7, s7, s6
.LBB127_1939:
	s_mov_b32 s6, 0
.LBB127_1940:
	s_and_not1_b32 s10, s48, exec_lo
	s_and_b32 s7, s7, exec_lo
	s_and_b32 s9, s9, exec_lo
	;; [unrolled: 1-line block ×4, first 2 shown]
	s_or_b32 s48, s10, s7
	s_wait_xcnt 0x0
	s_or_b32 exec_lo, exec_lo, s0
	s_and_saveexec_b32 s0, s48
	s_cbranch_execz .LBB127_1869
.LBB127_1941:
	s_or_b32 s1, s1, exec_lo
	s_and_not1_b32 s8, s8, exec_lo
	s_trap 2
	s_or_b32 exec_lo, exec_lo, s0
	s_and_saveexec_b32 s0, s8
	s_delay_alu instid0(SALU_CYCLE_1)
	s_xor_b32 s0, exec_lo, s0
	s_cbranch_execnz .LBB127_1870
.LBB127_1942:
	s_or_b32 exec_lo, exec_lo, s0
	s_and_saveexec_b32 s0, s6
	s_cbranch_execz .LBB127_1988
.LBB127_1943:
	s_sext_i32_i16 s6, s21
	s_delay_alu instid0(SALU_CYCLE_1)
	s_cmp_lt_i32 s6, 5
	s_cbranch_scc1 .LBB127_1948
; %bb.1944:
	s_cmp_lt_i32 s6, 8
	s_cbranch_scc1 .LBB127_1949
; %bb.1945:
	;; [unrolled: 3-line block ×3, first 2 shown]
	s_cmp_gt_i32 s6, 9
	s_cbranch_scc0 .LBB127_1951
; %bb.1947:
	s_wait_loadcnt 0x0
	global_load_b64 v[4:5], v[0:1], off
	s_mov_b32 s6, 0
	s_wait_loadcnt 0x0
	v_cvt_f32_f64_e32 v5, v[4:5]
	s_branch .LBB127_1952
.LBB127_1948:
                                        ; implicit-def: $vgpr5
	s_branch .LBB127_1969
.LBB127_1949:
                                        ; implicit-def: $vgpr5
	s_branch .LBB127_1958
.LBB127_1950:
	s_mov_b32 s6, -1
                                        ; implicit-def: $vgpr5
	s_branch .LBB127_1955
.LBB127_1951:
	s_mov_b32 s6, -1
                                        ; implicit-def: $vgpr5
.LBB127_1952:
	s_delay_alu instid0(SALU_CYCLE_1)
	s_and_not1_b32 vcc_lo, exec_lo, s6
	s_cbranch_vccnz .LBB127_1954
; %bb.1953:
	s_wait_loadcnt 0x0
	global_load_b32 v5, v[0:1], off
.LBB127_1954:
	s_mov_b32 s6, 0
.LBB127_1955:
	s_delay_alu instid0(SALU_CYCLE_1)
	s_and_not1_b32 vcc_lo, exec_lo, s6
	s_cbranch_vccnz .LBB127_1957
; %bb.1956:
	s_wait_loadcnt 0x0
	global_load_b32 v4, v[0:1], off
	s_wait_loadcnt 0x0
	v_cvt_f32_f16_e32 v5, v4
.LBB127_1957:
	s_cbranch_execnz .LBB127_1968
.LBB127_1958:
	s_sext_i32_i16 s6, s21
	s_delay_alu instid0(SALU_CYCLE_1)
	s_cmp_lt_i32 s6, 6
	s_cbranch_scc1 .LBB127_1961
; %bb.1959:
	s_cmp_gt_i32 s6, 6
	s_cbranch_scc0 .LBB127_1962
; %bb.1960:
	s_wait_loadcnt 0x0
	global_load_b64 v[4:5], v[0:1], off
	s_mov_b32 s6, 0
	s_wait_loadcnt 0x0
	v_cvt_f32_f64_e32 v5, v[4:5]
	s_branch .LBB127_1963
.LBB127_1961:
	s_mov_b32 s6, -1
                                        ; implicit-def: $vgpr5
	s_branch .LBB127_1966
.LBB127_1962:
	s_mov_b32 s6, -1
                                        ; implicit-def: $vgpr5
.LBB127_1963:
	s_delay_alu instid0(SALU_CYCLE_1)
	s_and_not1_b32 vcc_lo, exec_lo, s6
	s_cbranch_vccnz .LBB127_1965
; %bb.1964:
	s_wait_loadcnt 0x0
	global_load_b32 v5, v[0:1], off
.LBB127_1965:
	s_mov_b32 s6, 0
.LBB127_1966:
	s_delay_alu instid0(SALU_CYCLE_1)
	s_and_not1_b32 vcc_lo, exec_lo, s6
	s_cbranch_vccnz .LBB127_1968
; %bb.1967:
	s_wait_loadcnt 0x0
	global_load_u16 v4, v[0:1], off
	s_wait_loadcnt 0x0
	v_cvt_f32_f16_e32 v5, v4
.LBB127_1968:
	s_cbranch_execnz .LBB127_1987
.LBB127_1969:
	s_sext_i32_i16 s6, s21
	s_delay_alu instid0(SALU_CYCLE_1)
	s_cmp_lt_i32 s6, 2
	s_cbranch_scc1 .LBB127_1973
; %bb.1970:
	s_cmp_lt_i32 s6, 3
	s_cbranch_scc1 .LBB127_1974
; %bb.1971:
	s_cmp_gt_i32 s6, 3
	s_cbranch_scc0 .LBB127_1975
; %bb.1972:
	s_wait_loadcnt 0x0
	global_load_b64 v[4:5], v[0:1], off
	s_mov_b32 s6, 0
	s_wait_loadcnt 0x0
	v_xor_b32_e32 v6, v4, v5
	v_cls_i32_e32 v7, v5
	s_delay_alu instid0(VALU_DEP_2) | instskip(NEXT) | instid1(VALU_DEP_1)
	v_ashrrev_i32_e32 v6, 31, v6
	v_add_nc_u32_e32 v6, 32, v6
	s_delay_alu instid0(VALU_DEP_1) | instskip(NEXT) | instid1(VALU_DEP_1)
	v_add_min_u32_e64 v6, v7, -1, v6
	v_lshlrev_b64_e32 v[4:5], v6, v[4:5]
	s_delay_alu instid0(VALU_DEP_1) | instskip(NEXT) | instid1(VALU_DEP_1)
	v_min_u32_e32 v4, 1, v4
	v_dual_sub_nc_u32 v5, 32, v6 :: v_dual_bitop2_b32 v4, v5, v4 bitop3:0x54
	s_delay_alu instid0(VALU_DEP_1) | instskip(NEXT) | instid1(VALU_DEP_1)
	v_cvt_f32_i32_e32 v4, v4
	v_ldexp_f32 v5, v4, v5
	s_branch .LBB127_1976
.LBB127_1973:
                                        ; implicit-def: $vgpr5
	s_branch .LBB127_1982
.LBB127_1974:
	s_mov_b32 s6, -1
                                        ; implicit-def: $vgpr5
	s_branch .LBB127_1979
.LBB127_1975:
	s_mov_b32 s6, -1
                                        ; implicit-def: $vgpr5
.LBB127_1976:
	s_delay_alu instid0(SALU_CYCLE_1)
	s_and_not1_b32 vcc_lo, exec_lo, s6
	s_cbranch_vccnz .LBB127_1978
; %bb.1977:
	s_wait_loadcnt 0x0
	global_load_b32 v4, v[0:1], off
	s_wait_loadcnt 0x0
	v_cvt_f32_i32_e32 v5, v4
.LBB127_1978:
	s_mov_b32 s6, 0
.LBB127_1979:
	s_delay_alu instid0(SALU_CYCLE_1)
	s_and_not1_b32 vcc_lo, exec_lo, s6
	s_cbranch_vccnz .LBB127_1981
; %bb.1980:
	s_wait_loadcnt 0x0
	global_load_i16 v4, v[0:1], off
	s_wait_loadcnt 0x0
	v_cvt_f32_i32_e32 v5, v4
.LBB127_1981:
	s_cbranch_execnz .LBB127_1987
.LBB127_1982:
	s_sext_i32_i16 s6, s21
	s_delay_alu instid0(SALU_CYCLE_1)
	s_cmp_gt_i32 s6, 0
	s_mov_b32 s6, 0
	s_cbranch_scc0 .LBB127_1984
; %bb.1983:
	s_wait_loadcnt 0x0
	global_load_i8 v4, v[0:1], off
	s_wait_loadcnt 0x0
	v_cvt_f32_i32_e32 v5, v4
	s_branch .LBB127_1985
.LBB127_1984:
	s_mov_b32 s6, -1
                                        ; implicit-def: $vgpr5
.LBB127_1985:
	s_delay_alu instid0(SALU_CYCLE_1)
	s_and_not1_b32 vcc_lo, exec_lo, s6
	s_cbranch_vccnz .LBB127_1987
; %bb.1986:
	s_wait_loadcnt 0x0
	global_load_u8 v0, v[0:1], off
	s_wait_loadcnt 0x0
	v_cvt_f32_ubyte0_e32 v5, v0
.LBB127_1987:
	s_or_b32 s9, s9, exec_lo
.LBB127_1988:
	s_wait_xcnt 0x0
	s_or_b32 exec_lo, exec_lo, s0
	s_mov_b32 s0, 0
	s_mov_b32 s8, 0
                                        ; implicit-def: $sgpr6
                                        ; implicit-def: $vgpr0_vgpr1
                                        ; implicit-def: $vgpr4
	s_and_saveexec_b32 s7, s9
	s_cbranch_execz .LBB127_1996
; %bb.1989:
	s_wait_loadcnt 0x0
	v_dual_mul_f32 v0, s25, v3 :: v_dual_mov_b32 v3, 0
	s_and_b32 s6, s26, 0xff
	s_delay_alu instid0(SALU_CYCLE_1) | instskip(NEXT) | instid1(VALU_DEP_1)
	s_cmp_lt_i32 s6, 11
	v_mul_f32_e32 v4, v0, v5
	s_delay_alu instid0(VALU_DEP_2) | instskip(NEXT) | instid1(VALU_DEP_2)
	v_add_nc_u64_e32 v[0:1], s[4:5], v[2:3]
	v_fmac_f32_e32 v4, s24, v10
	s_cbranch_scc1 .LBB127_1999
; %bb.1990:
	s_and_b32 s4, 0xffff, s6
	s_mov_b32 s5, -1
	s_cmp_gt_i32 s4, 25
	s_mov_b32 s0, s45
	s_cbranch_scc0 .LBB127_2027
; %bb.1991:
	s_cmp_gt_i32 s4, 28
	s_mov_b32 s0, s45
	s_cbranch_scc0 .LBB127_2011
; %bb.1992:
	;; [unrolled: 4-line block ×4, first 2 shown]
	s_cmp_eq_u32 s4, 46
	s_mov_b32 s0, -1
	s_cbranch_scc0 .LBB127_2000
; %bb.1995:
	v_bfe_u32 v2, v4, 16, 1
	v_cmp_o_f32_e32 vcc_lo, v4, v4
	s_mov_b32 s0, 0
	s_mov_b32 s5, 0
	s_delay_alu instid0(VALU_DEP_2) | instskip(NEXT) | instid1(VALU_DEP_1)
	v_add3_u32 v2, v4, v2, 0x7fff
	v_lshrrev_b32_e32 v2, 16, v2
	s_delay_alu instid0(VALU_DEP_1)
	v_cndmask_b32_e32 v2, 0x7fc0, v2, vcc_lo
	global_store_b32 v[0:1], v2, off
	s_branch .LBB127_2001
.LBB127_1996:
	s_or_b32 exec_lo, exec_lo, s7
	s_and_saveexec_b32 s4, s45
	s_cbranch_execnz .LBB127_2069
.LBB127_1997:
	s_or_b32 exec_lo, exec_lo, s4
	s_and_saveexec_b32 s4, s0
	s_delay_alu instid0(SALU_CYCLE_1)
	s_xor_b32 s0, exec_lo, s4
	s_cbranch_execz .LBB127_2070
.LBB127_1998:
	v_cmp_neq_f32_e32 vcc_lo, 0, v4
	v_cndmask_b32_e64 v2, 0, 1, vcc_lo
	s_wait_loadcnt 0x0
	global_store_b8 v[0:1], v2, off
	s_wait_xcnt 0x0
	s_or_b32 exec_lo, exec_lo, s0
	s_and_saveexec_b32 s0, s8
	s_delay_alu instid0(SALU_CYCLE_1)
	s_xor_b32 s0, exec_lo, s0
	s_cbranch_execz .LBB127_2108
	s_branch .LBB127_2071
.LBB127_1999:
	s_mov_b32 s9, 0
	s_mov_b32 s5, -1
	s_mov_b32 s0, s45
	s_branch .LBB127_2068
.LBB127_2000:
	s_mov_b32 s5, 0
.LBB127_2001:
	s_delay_alu instid0(SALU_CYCLE_1)
	s_and_b32 vcc_lo, exec_lo, s5
	s_cbranch_vccz .LBB127_2006
; %bb.2002:
	s_cmp_eq_u32 s4, 44
	s_mov_b32 s0, -1
	s_cbranch_scc0 .LBB127_2006
; %bb.2003:
	v_bfe_u32 v3, v4, 23, 8
	s_wait_xcnt 0x0
	v_mov_b32_e32 v2, 0xff
	s_mov_b32 s5, exec_lo
	s_delay_alu instid0(VALU_DEP_2)
	v_cmpx_ne_u32_e32 0xff, v3
	s_cbranch_execz .LBB127_2005
; %bb.2004:
	v_and_b32_e32 v2, 0x400000, v4
	v_and_or_b32 v3, 0x3fffff, v4, v3
	s_delay_alu instid0(VALU_DEP_2) | instskip(NEXT) | instid1(VALU_DEP_2)
	v_cmp_ne_u32_e32 vcc_lo, 0, v2
	v_cmp_ne_u32_e64 s0, 0, v3
	v_lshrrev_b32_e32 v2, 23, v4
	s_and_b32 s0, vcc_lo, s0
	s_delay_alu instid0(SALU_CYCLE_1) | instskip(NEXT) | instid1(VALU_DEP_1)
	v_cndmask_b32_e64 v3, 0, 1, s0
	v_add_nc_u32_e32 v2, v2, v3
.LBB127_2005:
	s_or_b32 exec_lo, exec_lo, s5
	s_mov_b32 s0, 0
	global_store_b8 v[0:1], v2, off
.LBB127_2006:
	s_mov_b32 s5, 0
.LBB127_2007:
	s_delay_alu instid0(SALU_CYCLE_1)
	s_and_b32 vcc_lo, exec_lo, s5
	s_cbranch_vccz .LBB127_2010
; %bb.2008:
	s_cmp_eq_u32 s4, 29
	s_mov_b32 s0, -1
	s_cbranch_scc0 .LBB127_2010
; %bb.2009:
	s_wait_xcnt 0x0
	v_trunc_f32_e32 v2, v4
	s_mov_b32 s0, 0
	s_mov_b32 s5, 0
	s_delay_alu instid0(VALU_DEP_1) | instskip(NEXT) | instid1(VALU_DEP_1)
	v_mul_f32_e32 v3, 0x2f800000, v2
	v_floor_f32_e32 v3, v3
	s_delay_alu instid0(VALU_DEP_1) | instskip(SKIP_1) | instid1(VALU_DEP_2)
	v_fmamk_f32 v2, v3, 0xcf800000, v2
	v_cvt_u32_f32_e32 v3, v3
	v_cvt_u32_f32_e32 v2, v2
	global_store_b64 v[0:1], v[2:3], off
	s_branch .LBB127_2011
.LBB127_2010:
	s_mov_b32 s5, 0
.LBB127_2011:
	s_delay_alu instid0(SALU_CYCLE_1)
	s_and_b32 vcc_lo, exec_lo, s5
	s_cbranch_vccz .LBB127_2026
; %bb.2012:
	s_cmp_lt_i32 s4, 27
	s_mov_b32 s5, -1
	s_cbranch_scc1 .LBB127_2018
; %bb.2013:
	s_cmp_gt_i32 s4, 27
	s_cbranch_scc0 .LBB127_2015
; %bb.2014:
	s_wait_xcnt 0x0
	v_cvt_u32_f32_e32 v2, v4
	s_mov_b32 s5, 0
	global_store_b32 v[0:1], v2, off
.LBB127_2015:
	s_and_not1_b32 vcc_lo, exec_lo, s5
	s_cbranch_vccnz .LBB127_2017
; %bb.2016:
	s_wait_xcnt 0x0
	v_cvt_u32_f32_e32 v2, v4
	global_store_b16 v[0:1], v2, off
.LBB127_2017:
	s_mov_b32 s5, 0
.LBB127_2018:
	s_delay_alu instid0(SALU_CYCLE_1)
	s_and_not1_b32 vcc_lo, exec_lo, s5
	s_cbranch_vccnz .LBB127_2026
; %bb.2019:
	s_wait_xcnt 0x0
	v_and_b32_e32 v2, 0x7fffffff, v4
	v_mov_b32_e32 v3, 0x80
	s_mov_b32 s5, exec_lo
	s_delay_alu instid0(VALU_DEP_2)
	v_cmpx_gt_u32_e32 0x43800000, v2
	s_cbranch_execz .LBB127_2025
; %bb.2020:
	v_cmp_lt_u32_e32 vcc_lo, 0x3bffffff, v2
                                        ; implicit-def: $vgpr2
	s_and_saveexec_b32 s9, vcc_lo
	s_delay_alu instid0(SALU_CYCLE_1)
	s_xor_b32 s9, exec_lo, s9
	s_cbranch_execz .LBB127_2167
; %bb.2021:
	v_bfe_u32 v2, v4, 20, 1
	s_mov_b32 s8, exec_lo
	s_delay_alu instid0(VALU_DEP_1) | instskip(NEXT) | instid1(VALU_DEP_1)
	v_add3_u32 v2, v4, v2, 0x487ffff
	v_lshrrev_b32_e32 v2, 20, v2
	s_and_not1_saveexec_b32 s9, s9
	s_cbranch_execnz .LBB127_2168
.LBB127_2022:
	s_or_b32 exec_lo, exec_lo, s9
	v_mov_b32_e32 v3, 0
	s_and_saveexec_b32 s9, s8
.LBB127_2023:
	v_lshrrev_b32_e32 v3, 24, v4
	s_delay_alu instid0(VALU_DEP_1)
	v_and_or_b32 v3, 0x80, v3, v2
.LBB127_2024:
	s_or_b32 exec_lo, exec_lo, s9
.LBB127_2025:
	s_delay_alu instid0(SALU_CYCLE_1)
	s_or_b32 exec_lo, exec_lo, s5
	global_store_b8 v[0:1], v3, off
.LBB127_2026:
	s_mov_b32 s5, 0
.LBB127_2027:
	s_delay_alu instid0(SALU_CYCLE_1)
	s_and_b32 vcc_lo, exec_lo, s5
	s_mov_b32 s5, 0
	s_cbranch_vccz .LBB127_2067
; %bb.2028:
	s_cmp_gt_i32 s4, 22
	s_mov_b32 s8, -1
	s_cbranch_scc0 .LBB127_2060
; %bb.2029:
	s_cmp_lt_i32 s4, 24
	s_cbranch_scc1 .LBB127_2049
; %bb.2030:
	s_cmp_gt_i32 s4, 24
	s_cbranch_scc0 .LBB127_2038
; %bb.2031:
	s_wait_xcnt 0x0
	v_and_b32_e32 v2, 0x7fffffff, v4
	v_mov_b32_e32 v3, 0x80
	s_mov_b32 s8, exec_lo
	s_delay_alu instid0(VALU_DEP_2)
	v_cmpx_gt_u32_e32 0x47800000, v2
	s_cbranch_execz .LBB127_2037
; %bb.2032:
	v_cmp_lt_u32_e32 vcc_lo, 0x37ffffff, v2
	s_mov_b32 s9, 0
                                        ; implicit-def: $vgpr2
	s_and_saveexec_b32 s10, vcc_lo
	s_delay_alu instid0(SALU_CYCLE_1)
	s_xor_b32 s10, exec_lo, s10
	s_cbranch_execz .LBB127_2293
; %bb.2033:
	v_bfe_u32 v2, v4, 21, 1
	s_mov_b32 s9, exec_lo
	s_delay_alu instid0(VALU_DEP_1) | instskip(NEXT) | instid1(VALU_DEP_1)
	v_add3_u32 v2, v4, v2, 0x88fffff
	v_lshrrev_b32_e32 v2, 21, v2
	s_and_not1_saveexec_b32 s10, s10
	s_cbranch_execnz .LBB127_2294
.LBB127_2034:
	s_or_b32 exec_lo, exec_lo, s10
	v_mov_b32_e32 v3, 0
	s_and_saveexec_b32 s10, s9
.LBB127_2035:
	v_lshrrev_b32_e32 v3, 24, v4
	s_delay_alu instid0(VALU_DEP_1)
	v_and_or_b32 v3, 0x80, v3, v2
.LBB127_2036:
	s_or_b32 exec_lo, exec_lo, s10
.LBB127_2037:
	s_delay_alu instid0(SALU_CYCLE_1)
	s_or_b32 exec_lo, exec_lo, s8
	s_mov_b32 s8, 0
	global_store_b8 v[0:1], v3, off
.LBB127_2038:
	s_and_b32 vcc_lo, exec_lo, s8
	s_cbranch_vccz .LBB127_2048
; %bb.2039:
	s_wait_xcnt 0x0
	v_and_b32_e32 v3, 0x7fffffff, v4
	s_mov_b32 s8, exec_lo
                                        ; implicit-def: $vgpr2
	s_delay_alu instid0(VALU_DEP_1)
	v_cmpx_gt_u32_e32 0x43f00000, v3
	s_xor_b32 s8, exec_lo, s8
	s_cbranch_execz .LBB127_2045
; %bb.2040:
	s_mov_b32 s9, exec_lo
                                        ; implicit-def: $vgpr2
	v_cmpx_lt_u32_e32 0x3c7fffff, v3
	s_xor_b32 s9, exec_lo, s9
; %bb.2041:
	v_bfe_u32 v2, v4, 20, 1
	s_delay_alu instid0(VALU_DEP_1) | instskip(NEXT) | instid1(VALU_DEP_1)
	v_add3_u32 v2, v4, v2, 0x407ffff
	v_and_b32_e32 v3, 0xff00000, v2
	v_lshrrev_b32_e32 v2, 20, v2
	s_delay_alu instid0(VALU_DEP_2) | instskip(NEXT) | instid1(VALU_DEP_2)
	v_cmp_ne_u32_e32 vcc_lo, 0x7f00000, v3
	v_cndmask_b32_e32 v2, 0x7e, v2, vcc_lo
; %bb.2042:
	s_and_not1_saveexec_b32 s9, s9
; %bb.2043:
	v_add_f32_e64 v2, 0x46800000, |v4|
; %bb.2044:
	s_or_b32 exec_lo, exec_lo, s9
                                        ; implicit-def: $vgpr3
.LBB127_2045:
	s_and_not1_saveexec_b32 s8, s8
; %bb.2046:
	v_mov_b32_e32 v2, 0x7f
	v_cmp_lt_u32_e32 vcc_lo, 0x7f800000, v3
	s_delay_alu instid0(VALU_DEP_2)
	v_cndmask_b32_e32 v2, 0x7e, v2, vcc_lo
; %bb.2047:
	s_or_b32 exec_lo, exec_lo, s8
	v_lshrrev_b32_e32 v3, 24, v4
	s_delay_alu instid0(VALU_DEP_1)
	v_and_or_b32 v2, 0x80, v3, v2
	global_store_b8 v[0:1], v2, off
.LBB127_2048:
	s_mov_b32 s8, 0
.LBB127_2049:
	s_delay_alu instid0(SALU_CYCLE_1)
	s_and_not1_b32 vcc_lo, exec_lo, s8
	s_cbranch_vccnz .LBB127_2059
; %bb.2050:
	s_wait_xcnt 0x0
	v_and_b32_e32 v3, 0x7fffffff, v4
	s_mov_b32 s8, exec_lo
                                        ; implicit-def: $vgpr2
	s_delay_alu instid0(VALU_DEP_1)
	v_cmpx_gt_u32_e32 0x47800000, v3
	s_xor_b32 s8, exec_lo, s8
	s_cbranch_execz .LBB127_2056
; %bb.2051:
	s_mov_b32 s9, exec_lo
                                        ; implicit-def: $vgpr2
	v_cmpx_lt_u32_e32 0x387fffff, v3
	s_xor_b32 s9, exec_lo, s9
; %bb.2052:
	v_bfe_u32 v2, v4, 21, 1
	s_delay_alu instid0(VALU_DEP_1) | instskip(NEXT) | instid1(VALU_DEP_1)
	v_add3_u32 v2, v4, v2, 0x80fffff
	v_lshrrev_b32_e32 v2, 21, v2
; %bb.2053:
	s_and_not1_saveexec_b32 s9, s9
; %bb.2054:
	v_add_f32_e64 v2, 0x43000000, |v4|
; %bb.2055:
	s_or_b32 exec_lo, exec_lo, s9
                                        ; implicit-def: $vgpr3
.LBB127_2056:
	s_and_not1_saveexec_b32 s8, s8
; %bb.2057:
	v_mov_b32_e32 v2, 0x7f
	v_cmp_lt_u32_e32 vcc_lo, 0x7f800000, v3
	s_delay_alu instid0(VALU_DEP_2)
	v_cndmask_b32_e32 v2, 0x7c, v2, vcc_lo
; %bb.2058:
	s_or_b32 exec_lo, exec_lo, s8
	v_lshrrev_b32_e32 v3, 24, v4
	s_delay_alu instid0(VALU_DEP_1)
	v_and_or_b32 v2, 0x80, v3, v2
	global_store_b8 v[0:1], v2, off
.LBB127_2059:
	s_mov_b32 s8, 0
.LBB127_2060:
	s_delay_alu instid0(SALU_CYCLE_1)
	s_and_not1_b32 vcc_lo, exec_lo, s8
	s_mov_b32 s9, 0
	s_cbranch_vccnz .LBB127_2068
; %bb.2061:
	s_cmp_gt_i32 s4, 14
	s_mov_b32 s8, -1
	s_cbranch_scc0 .LBB127_2065
; %bb.2062:
	s_cmp_eq_u32 s4, 15
	s_mov_b32 s0, -1
	s_cbranch_scc0 .LBB127_2064
; %bb.2063:
	s_wait_xcnt 0x0
	v_bfe_u32 v2, v4, 16, 1
	v_cmp_o_f32_e32 vcc_lo, v4, v4
	s_mov_b32 s0, 0
	s_delay_alu instid0(VALU_DEP_2) | instskip(NEXT) | instid1(VALU_DEP_1)
	v_add3_u32 v2, v4, v2, 0x7fff
	v_lshrrev_b32_e32 v2, 16, v2
	s_delay_alu instid0(VALU_DEP_1)
	v_cndmask_b32_e32 v2, 0x7fc0, v2, vcc_lo
	global_store_b16 v[0:1], v2, off
.LBB127_2064:
	s_mov_b32 s8, 0
.LBB127_2065:
	s_delay_alu instid0(SALU_CYCLE_1)
	s_and_b32 vcc_lo, exec_lo, s8
	s_cbranch_vccz .LBB127_2068
; %bb.2066:
	s_cmp_lg_u32 s4, 11
	s_mov_b32 s9, -1
	s_cselect_b32 s4, -1, 0
	s_and_not1_b32 s0, s0, exec_lo
	s_and_b32 s4, s4, exec_lo
	s_delay_alu instid0(SALU_CYCLE_1)
	s_or_b32 s0, s0, s4
	s_branch .LBB127_2068
.LBB127_2067:
	s_mov_b32 s9, 0
.LBB127_2068:
	s_and_b32 s8, s5, exec_lo
	s_and_not1_b32 s4, s45, exec_lo
	s_and_b32 s5, s0, exec_lo
	s_and_b32 s0, s9, exec_lo
	s_or_b32 s45, s4, s5
	s_wait_xcnt 0x0
	s_or_b32 exec_lo, exec_lo, s7
	s_and_saveexec_b32 s4, s45
	s_cbranch_execz .LBB127_1997
.LBB127_2069:
	s_or_b32 s1, s1, exec_lo
	s_and_not1_b32 s0, s0, exec_lo
	s_trap 2
	s_or_b32 exec_lo, exec_lo, s4
	s_and_saveexec_b32 s4, s0
	s_delay_alu instid0(SALU_CYCLE_1)
	s_xor_b32 s0, exec_lo, s4
	s_cbranch_execnz .LBB127_1998
.LBB127_2070:
	s_or_b32 exec_lo, exec_lo, s0
	s_and_saveexec_b32 s0, s8
	s_delay_alu instid0(SALU_CYCLE_1)
	s_xor_b32 s0, exec_lo, s0
	s_cbranch_execz .LBB127_2108
.LBB127_2071:
	s_sext_i32_i16 s5, s6
	s_mov_b32 s4, -1
	s_cmp_lt_i32 s5, 5
	s_cbranch_scc1 .LBB127_2092
; %bb.2072:
	s_cmp_lt_i32 s5, 8
	s_cbranch_scc1 .LBB127_2082
; %bb.2073:
	s_cmp_lt_i32 s5, 9
	s_cbranch_scc1 .LBB127_2079
; %bb.2074:
	s_cmp_gt_i32 s5, 9
	s_cbranch_scc0 .LBB127_2076
; %bb.2075:
	s_wait_loadcnt 0x0
	v_cvt_f64_f32_e32 v[6:7], v4
	v_mov_b32_e32 v8, 0
	s_mov_b32 s4, 0
	s_delay_alu instid0(VALU_DEP_1)
	v_mov_b32_e32 v9, v8
	global_store_b128 v[0:1], v[6:9], off
.LBB127_2076:
	s_and_not1_b32 vcc_lo, exec_lo, s4
	s_cbranch_vccnz .LBB127_2078
; %bb.2077:
	s_wait_loadcnt 0x0
	v_mov_b32_e32 v5, 0
	global_store_b64 v[0:1], v[4:5], off
.LBB127_2078:
	s_mov_b32 s4, 0
.LBB127_2079:
	s_delay_alu instid0(SALU_CYCLE_1)
	s_and_not1_b32 vcc_lo, exec_lo, s4
	s_cbranch_vccnz .LBB127_2081
; %bb.2080:
	v_cvt_f16_f32_e32 v2, v4
	s_delay_alu instid0(VALU_DEP_1)
	v_and_b32_e32 v2, 0xffff, v2
	s_wait_loadcnt 0x0
	global_store_b32 v[0:1], v2, off
.LBB127_2081:
	s_mov_b32 s4, 0
.LBB127_2082:
	s_delay_alu instid0(SALU_CYCLE_1)
	s_and_not1_b32 vcc_lo, exec_lo, s4
	s_cbranch_vccnz .LBB127_2091
; %bb.2083:
	s_sext_i32_i16 s5, s6
	s_mov_b32 s4, -1
	s_cmp_lt_i32 s5, 6
	s_cbranch_scc1 .LBB127_2089
; %bb.2084:
	s_cmp_gt_i32 s5, 6
	s_cbranch_scc0 .LBB127_2086
; %bb.2085:
	s_wait_loadcnt 0x0
	v_cvt_f64_f32_e32 v[2:3], v4
	s_mov_b32 s4, 0
	global_store_b64 v[0:1], v[2:3], off
.LBB127_2086:
	s_and_not1_b32 vcc_lo, exec_lo, s4
	s_cbranch_vccnz .LBB127_2088
; %bb.2087:
	s_wait_loadcnt 0x0
	global_store_b32 v[0:1], v4, off
.LBB127_2088:
	s_mov_b32 s4, 0
.LBB127_2089:
	s_delay_alu instid0(SALU_CYCLE_1)
	s_and_not1_b32 vcc_lo, exec_lo, s4
	s_cbranch_vccnz .LBB127_2091
; %bb.2090:
	s_wait_xcnt 0x0
	v_cvt_f16_f32_e32 v2, v4
	s_wait_loadcnt 0x0
	global_store_b16 v[0:1], v2, off
.LBB127_2091:
	s_mov_b32 s4, 0
.LBB127_2092:
	s_delay_alu instid0(SALU_CYCLE_1)
	s_and_not1_b32 vcc_lo, exec_lo, s4
	s_cbranch_vccnz .LBB127_2108
; %bb.2093:
	s_sext_i32_i16 s5, s6
	s_mov_b32 s4, -1
	s_cmp_lt_i32 s5, 2
	s_cbranch_scc1 .LBB127_2103
; %bb.2094:
	s_cmp_lt_i32 s5, 3
	s_cbranch_scc1 .LBB127_2100
; %bb.2095:
	s_cmp_gt_i32 s5, 3
	s_cbranch_scc0 .LBB127_2097
; %bb.2096:
	s_wait_xcnt 0x0
	v_trunc_f32_e32 v2, v4
	s_mov_b32 s4, 0
	s_wait_loadcnt 0x0
	s_delay_alu instid0(VALU_DEP_1) | instskip(NEXT) | instid1(VALU_DEP_1)
	v_mul_f32_e64 v3, 0x2f800000, |v2|
	v_floor_f32_e32 v3, v3
	s_delay_alu instid0(VALU_DEP_1) | instskip(SKIP_2) | instid1(VALU_DEP_3)
	v_fma_f32 v5, 0xcf800000, v3, |v2|
	v_ashrrev_i32_e32 v2, 31, v2
	v_cvt_u32_f32_e32 v6, v3
	v_cvt_u32_f32_e32 v5, v5
	s_delay_alu instid0(VALU_DEP_3) | instskip(NEXT) | instid1(VALU_DEP_3)
	v_mov_b32_e32 v3, v2
	v_xor_b32_e32 v7, v6, v2
	s_delay_alu instid0(VALU_DEP_3) | instskip(NEXT) | instid1(VALU_DEP_1)
	v_xor_b32_e32 v6, v5, v2
	v_sub_nc_u64_e32 v[2:3], v[6:7], v[2:3]
	global_store_b64 v[0:1], v[2:3], off
.LBB127_2097:
	s_and_not1_b32 vcc_lo, exec_lo, s4
	s_cbranch_vccnz .LBB127_2099
; %bb.2098:
	s_wait_xcnt 0x0
	v_cvt_i32_f32_e32 v2, v4
	s_wait_loadcnt 0x0
	global_store_b32 v[0:1], v2, off
.LBB127_2099:
	s_mov_b32 s4, 0
.LBB127_2100:
	s_delay_alu instid0(SALU_CYCLE_1)
	s_and_not1_b32 vcc_lo, exec_lo, s4
	s_cbranch_vccnz .LBB127_2102
; %bb.2101:
	s_wait_xcnt 0x0
	v_cvt_i32_f32_e32 v2, v4
	s_wait_loadcnt 0x0
	global_store_b16 v[0:1], v2, off
.LBB127_2102:
	s_mov_b32 s4, 0
.LBB127_2103:
	s_delay_alu instid0(SALU_CYCLE_1)
	s_and_not1_b32 vcc_lo, exec_lo, s4
	s_cbranch_vccnz .LBB127_2108
; %bb.2104:
	s_sext_i32_i16 s4, s6
	s_delay_alu instid0(SALU_CYCLE_1)
	s_cmp_gt_i32 s4, 0
	s_mov_b32 s4, -1
	s_cbranch_scc0 .LBB127_2106
; %bb.2105:
	s_wait_xcnt 0x0
	v_cvt_i32_f32_e32 v2, v4
	s_mov_b32 s4, 0
	s_wait_loadcnt 0x0
	global_store_b8 v[0:1], v2, off
.LBB127_2106:
	s_and_not1_b32 vcc_lo, exec_lo, s4
	s_cbranch_vccnz .LBB127_2108
; %bb.2107:
	s_wait_xcnt 0x0
	v_trunc_f32_e32 v2, v4
	s_wait_loadcnt 0x0
	s_delay_alu instid0(VALU_DEP_1) | instskip(NEXT) | instid1(VALU_DEP_1)
	v_mul_f32_e64 v3, 0x2f800000, |v2|
	v_floor_f32_e32 v3, v3
	s_delay_alu instid0(VALU_DEP_1) | instskip(SKIP_1) | instid1(VALU_DEP_2)
	v_fma_f32 v3, 0xcf800000, v3, |v2|
	v_ashrrev_i32_e32 v2, 31, v2
	v_cvt_u32_f32_e32 v3, v3
	s_delay_alu instid0(VALU_DEP_1) | instskip(NEXT) | instid1(VALU_DEP_1)
	v_xor_b32_e32 v3, v3, v2
	v_sub_nc_u32_e32 v2, v3, v2
	global_store_b8 v[0:1], v2, off
.LBB127_2108:
	s_wait_xcnt 0x0
	s_or_b32 exec_lo, exec_lo, s0
	s_delay_alu instid0(SALU_CYCLE_1)
	s_and_b32 s11, s1, exec_lo
                                        ; implicit-def: $vgpr1
                                        ; implicit-def: $vgpr0
.LBB127_2109:
	s_or_saveexec_b32 s12, s40
	s_mov_b32 s0, 0
                                        ; implicit-def: $vgpr2_vgpr3
                                        ; implicit-def: $sgpr1
                                        ; implicit-def: $vgpr4
	s_xor_b32 exec_lo, exec_lo, s12
	s_cbranch_execz .LBB127_4157
; %bb.2110:
	s_wait_loadcnt 0x0
	v_cndmask_b32_e64 v3, 0, 1, s39
	s_and_not1_b32 vcc_lo, exec_lo, s39
	s_cbranch_vccnz .LBB127_2116
; %bb.2111:
	s_cmp_lg_u32 s27, 0
	s_mov_b32 s6, 0
	s_cbranch_scc0 .LBB127_2120
; %bb.2112:
	s_min_u32 s7, s33, 15
	v_dual_mov_b32 v28, 0 :: v_dual_mov_b32 v2, v0
	v_dual_mov_b32 v26, 0 :: v_dual_mov_b32 v6, 0
	v_mov_b32_e32 v30, 0
	s_add_co_i32 s4, s7, 1
	s_mov_b64 s[0:1], 0xffffffffffffffe0
	s_and_b32 s8, s4, 30
	s_add_nc_u64 s[0:1], s[2:3], s[0:1]
	s_mov_b64 s[4:5], s[2:3]
.LBB127_2113:                           ; =>This Inner Loop Header: Depth=1
	s_clause 0x1
	s_load_b128 s[28:31], s[4:5], 0x4
	s_load_b64 s[14:15], s[4:5], 0x14
	s_load_b256 s[16:23], s[0:1], 0xe4
	s_add_co_i32 s8, s8, -2
	s_wait_xcnt 0x0
	s_add_nc_u64 s[4:5], s[4:5], 24
	s_cmp_lg_u32 s8, 0
	s_add_nc_u64 s[0:1], s[0:1], 32
	s_wait_kmcnt 0x0
	v_mul_hi_u32 v4, s29, v2
	s_delay_alu instid0(VALU_DEP_1) | instskip(NEXT) | instid1(VALU_DEP_1)
	v_add_nc_u32_e32 v4, v2, v4
	v_lshrrev_b32_e32 v4, s30, v4
	s_delay_alu instid0(VALU_DEP_1) | instskip(SKIP_1) | instid1(VALU_DEP_1)
	v_mul_hi_u32 v5, s14, v4
	v_mul_lo_u32 v7, v4, s28
	v_dual_add_nc_u32 v5, v4, v5 :: v_dual_sub_nc_u32 v7, v2, v7
	s_delay_alu instid0(VALU_DEP_1) | instskip(NEXT) | instid1(VALU_DEP_2)
	v_lshrrev_b32_e32 v2, s15, v5
	v_mad_u32 v8, v7, s17, v30
	v_mad_u32 v6, v7, s16, v6
	;; [unrolled: 1-line block ×4, first 2 shown]
	v_mul_lo_u32 v5, v2, s31
	s_delay_alu instid0(VALU_DEP_1) | instskip(NEXT) | instid1(VALU_DEP_1)
	v_sub_nc_u32_e32 v4, v4, v5
	v_mad_u32 v30, v4, s21, v8
	v_mad_u32 v6, v4, s20, v6
	;; [unrolled: 1-line block ×4, first 2 shown]
	s_cbranch_scc1 .LBB127_2113
; %bb.2114:
	s_bitcmp1_b32 s7, 0
	s_cselect_b32 s7, -1, 0
	s_delay_alu instid0(SALU_CYCLE_1)
	s_and_b32 vcc_lo, exec_lo, s7
	s_cbranch_vccnz .LBB127_2117
; %bb.2115:
	s_load_b96 s[8:10], s[4:5], 0x4
	s_load_b128 s[16:19], s[0:1], 0xe4
	s_wait_kmcnt 0x0
	v_mul_hi_u32 v4, s9, v2
	s_delay_alu instid0(VALU_DEP_1) | instskip(NEXT) | instid1(VALU_DEP_1)
	v_add_nc_u32_e32 v4, v2, v4
	v_lshrrev_b32_e32 v4, s10, v4
	s_delay_alu instid0(VALU_DEP_1) | instskip(NEXT) | instid1(VALU_DEP_1)
	v_mul_lo_u32 v4, v4, s8
	v_sub_nc_u32_e32 v2, v2, v4
	s_delay_alu instid0(VALU_DEP_1)
	v_mad_u32 v6, v2, s16, v6
	v_mad_u32 v30, v2, s17, v30
	;; [unrolled: 1-line block ×4, first 2 shown]
	s_and_not1_b32 vcc_lo, exec_lo, s6
	s_cbranch_vccz .LBB127_2118
	s_branch .LBB127_2121
.LBB127_2116:
	s_mov_b32 s6, -1
                                        ; implicit-def: $vgpr30
                                        ; implicit-def: $vgpr6
                                        ; implicit-def: $vgpr26
                                        ; implicit-def: $vgpr28
.LBB127_2117:
	s_delay_alu instid0(SALU_CYCLE_1)
	s_and_not1_b32 vcc_lo, exec_lo, s6
	s_cbranch_vccnz .LBB127_2121
.LBB127_2118:
	s_clause 0x1
	s_load_b96 s[8:10], s[2:3], 0x4
	s_load_b128 s[4:7], s[2:3], 0xc4
	s_cmp_lt_u32 s27, 2
	s_wait_kmcnt 0x0
	v_mul_hi_u32 v2, s9, v0
	s_delay_alu instid0(VALU_DEP_1) | instskip(NEXT) | instid1(VALU_DEP_1)
	v_add_nc_u32_e32 v2, v0, v2
	v_lshrrev_b32_e32 v2, s10, v2
	s_delay_alu instid0(VALU_DEP_1) | instskip(NEXT) | instid1(VALU_DEP_1)
	v_mul_lo_u32 v4, v2, s8
	v_sub_nc_u32_e32 v4, v0, v4
	s_delay_alu instid0(VALU_DEP_1)
	v_mul_lo_u32 v30, v4, s5
	v_mul_lo_u32 v6, v4, s4
	;; [unrolled: 1-line block ×4, first 2 shown]
	s_cbranch_scc1 .LBB127_2121
; %bb.2119:
	s_clause 0x1
	s_load_b96 s[8:10], s[2:3], 0x10
	s_load_b128 s[4:7], s[2:3], 0xd4
	s_wait_kmcnt 0x0
	v_mul_hi_u32 v4, s9, v2
	s_delay_alu instid0(VALU_DEP_1) | instskip(NEXT) | instid1(VALU_DEP_1)
	v_add_nc_u32_e32 v4, v2, v4
	v_lshrrev_b32_e32 v4, s10, v4
	s_delay_alu instid0(VALU_DEP_1) | instskip(NEXT) | instid1(VALU_DEP_1)
	v_mul_lo_u32 v4, v4, s8
	v_sub_nc_u32_e32 v2, v2, v4
	s_delay_alu instid0(VALU_DEP_1)
	v_mad_u32 v6, v2, s4, v6
	v_mad_u32 v30, v2, s5, v30
	;; [unrolled: 1-line block ×4, first 2 shown]
	s_branch .LBB127_2121
.LBB127_2120:
	v_dual_mov_b32 v30, 0 :: v_dual_mov_b32 v6, 0
	v_dual_mov_b32 v26, 0 :: v_dual_mov_b32 v28, 0
	s_and_not1_b32 vcc_lo, exec_lo, s6
	s_cbranch_vccz .LBB127_2118
.LBB127_2121:
	v_cmp_ne_u32_e32 vcc_lo, 1, v3
	v_add_nc_u32_e32 v2, 0x80, v0
	s_cbranch_vccnz .LBB127_2127
; %bb.2122:
	s_cmp_lg_u32 s27, 0
	s_mov_b32 s6, 0
	s_cbranch_scc0 .LBB127_2131
; %bb.2123:
	s_min_u32 s7, s33, 15
	v_dual_mov_b32 v22, 0 :: v_dual_mov_b32 v5, v2
	v_dual_mov_b32 v20, 0 :: v_dual_mov_b32 v4, 0
	v_mov_b32_e32 v24, 0
	s_add_co_i32 s4, s7, 1
	s_mov_b64 s[0:1], 0xffffffffffffffe0
	s_and_b32 s8, s4, 30
	s_add_nc_u64 s[0:1], s[2:3], s[0:1]
	s_mov_b64 s[4:5], s[2:3]
.LBB127_2124:                           ; =>This Inner Loop Header: Depth=1
	s_clause 0x1
	s_load_b128 s[28:31], s[4:5], 0x4
	s_load_b64 s[14:15], s[4:5], 0x14
	s_load_b256 s[16:23], s[0:1], 0xe4
	s_add_co_i32 s8, s8, -2
	s_wait_xcnt 0x0
	s_add_nc_u64 s[4:5], s[4:5], 24
	s_cmp_lg_u32 s8, 0
	s_add_nc_u64 s[0:1], s[0:1], 32
	s_wait_kmcnt 0x0
	v_mul_hi_u32 v7, s29, v5
	s_delay_alu instid0(VALU_DEP_1) | instskip(NEXT) | instid1(VALU_DEP_1)
	v_add_nc_u32_e32 v7, v5, v7
	v_lshrrev_b32_e32 v7, s30, v7
	s_delay_alu instid0(VALU_DEP_1) | instskip(SKIP_1) | instid1(VALU_DEP_1)
	v_mul_hi_u32 v8, s14, v7
	v_mul_lo_u32 v9, v7, s28
	v_dual_add_nc_u32 v8, v7, v8 :: v_dual_sub_nc_u32 v9, v5, v9
	s_delay_alu instid0(VALU_DEP_1) | instskip(NEXT) | instid1(VALU_DEP_2)
	v_lshrrev_b32_e32 v5, s15, v8
	v_mad_u32 v10, v9, s17, v24
	v_mad_u32 v4, v9, s16, v4
	;; [unrolled: 1-line block ×4, first 2 shown]
	v_mul_lo_u32 v8, v5, s31
	s_delay_alu instid0(VALU_DEP_1) | instskip(NEXT) | instid1(VALU_DEP_1)
	v_sub_nc_u32_e32 v7, v7, v8
	v_mad_u32 v24, v7, s21, v10
	v_mad_u32 v4, v7, s20, v4
	;; [unrolled: 1-line block ×4, first 2 shown]
	s_cbranch_scc1 .LBB127_2124
; %bb.2125:
	s_bitcmp1_b32 s7, 0
	s_cselect_b32 s7, -1, 0
	s_delay_alu instid0(SALU_CYCLE_1)
	s_and_b32 vcc_lo, exec_lo, s7
	s_cbranch_vccnz .LBB127_2128
; %bb.2126:
	s_load_b96 s[8:10], s[4:5], 0x4
	s_load_b128 s[16:19], s[0:1], 0xe4
	s_wait_kmcnt 0x0
	v_mul_hi_u32 v7, s9, v5
	s_delay_alu instid0(VALU_DEP_1) | instskip(NEXT) | instid1(VALU_DEP_1)
	v_add_nc_u32_e32 v7, v5, v7
	v_lshrrev_b32_e32 v7, s10, v7
	s_delay_alu instid0(VALU_DEP_1) | instskip(NEXT) | instid1(VALU_DEP_1)
	v_mul_lo_u32 v7, v7, s8
	v_sub_nc_u32_e32 v5, v5, v7
	s_delay_alu instid0(VALU_DEP_1)
	v_mad_u32 v4, v5, s16, v4
	v_mad_u32 v24, v5, s17, v24
	;; [unrolled: 1-line block ×4, first 2 shown]
	s_and_not1_b32 vcc_lo, exec_lo, s6
	s_cbranch_vccz .LBB127_2129
	s_branch .LBB127_2132
.LBB127_2127:
	s_mov_b32 s6, -1
                                        ; implicit-def: $vgpr24
                                        ; implicit-def: $vgpr4
                                        ; implicit-def: $vgpr20
                                        ; implicit-def: $vgpr22
.LBB127_2128:
	s_delay_alu instid0(SALU_CYCLE_1)
	s_and_not1_b32 vcc_lo, exec_lo, s6
	s_cbranch_vccnz .LBB127_2132
.LBB127_2129:
	s_clause 0x1
	s_load_b96 s[8:10], s[2:3], 0x4
	s_load_b128 s[4:7], s[2:3], 0xc4
	s_cmp_lt_u32 s27, 2
	s_wait_kmcnt 0x0
	v_mul_hi_u32 v4, s9, v2
	s_delay_alu instid0(VALU_DEP_1) | instskip(NEXT) | instid1(VALU_DEP_1)
	v_add_nc_u32_e32 v4, v2, v4
	v_lshrrev_b32_e32 v5, s10, v4
	s_delay_alu instid0(VALU_DEP_1) | instskip(NEXT) | instid1(VALU_DEP_1)
	v_mul_lo_u32 v4, v5, s8
	v_sub_nc_u32_e32 v2, v2, v4
	s_delay_alu instid0(VALU_DEP_1)
	v_mul_lo_u32 v24, v2, s5
	v_mul_lo_u32 v4, v2, s4
	;; [unrolled: 1-line block ×4, first 2 shown]
	s_cbranch_scc1 .LBB127_2132
; %bb.2130:
	s_clause 0x1
	s_load_b96 s[8:10], s[2:3], 0x10
	s_load_b128 s[4:7], s[2:3], 0xd4
	s_wait_kmcnt 0x0
	v_mul_hi_u32 v2, s9, v5
	s_delay_alu instid0(VALU_DEP_1) | instskip(NEXT) | instid1(VALU_DEP_1)
	v_add_nc_u32_e32 v2, v5, v2
	v_lshrrev_b32_e32 v2, s10, v2
	s_delay_alu instid0(VALU_DEP_1) | instskip(NEXT) | instid1(VALU_DEP_1)
	v_mul_lo_u32 v2, v2, s8
	v_sub_nc_u32_e32 v2, v5, v2
	s_delay_alu instid0(VALU_DEP_1)
	v_mad_u32 v4, v2, s4, v4
	v_mad_u32 v24, v2, s5, v24
	;; [unrolled: 1-line block ×4, first 2 shown]
	s_branch .LBB127_2132
.LBB127_2131:
	v_dual_mov_b32 v24, 0 :: v_dual_mov_b32 v4, 0
	v_dual_mov_b32 v20, 0 :: v_dual_mov_b32 v22, 0
	s_and_not1_b32 vcc_lo, exec_lo, s6
	s_cbranch_vccz .LBB127_2129
.LBB127_2132:
	v_cmp_ne_u32_e32 vcc_lo, 1, v3
	v_add_nc_u32_e32 v0, 0x100, v0
	s_cbranch_vccnz .LBB127_2138
; %bb.2133:
	s_cmp_lg_u32 s27, 0
	s_mov_b32 s6, 0
	s_cbranch_scc0 .LBB127_2142
; %bb.2134:
	s_min_u32 s7, s33, 15
	v_dual_mov_b32 v16, 0 :: v_dual_mov_b32 v5, v0
	v_dual_mov_b32 v14, 0 :: v_dual_mov_b32 v2, 0
	v_mov_b32_e32 v18, 0
	s_add_co_i32 s4, s7, 1
	s_mov_b64 s[0:1], 0xffffffffffffffe0
	s_and_b32 s8, s4, 30
	s_add_nc_u64 s[0:1], s[2:3], s[0:1]
	s_mov_b64 s[4:5], s[2:3]
.LBB127_2135:                           ; =>This Inner Loop Header: Depth=1
	s_clause 0x1
	s_load_b128 s[28:31], s[4:5], 0x4
	s_load_b64 s[14:15], s[4:5], 0x14
	s_load_b256 s[16:23], s[0:1], 0xe4
	s_add_co_i32 s8, s8, -2
	s_wait_xcnt 0x0
	s_add_nc_u64 s[4:5], s[4:5], 24
	s_cmp_lg_u32 s8, 0
	s_add_nc_u64 s[0:1], s[0:1], 32
	s_wait_kmcnt 0x0
	v_mul_hi_u32 v7, s29, v5
	s_delay_alu instid0(VALU_DEP_1) | instskip(NEXT) | instid1(VALU_DEP_1)
	v_add_nc_u32_e32 v7, v5, v7
	v_lshrrev_b32_e32 v7, s30, v7
	s_delay_alu instid0(VALU_DEP_1) | instskip(SKIP_1) | instid1(VALU_DEP_1)
	v_mul_hi_u32 v8, s14, v7
	v_mul_lo_u32 v9, v7, s28
	v_dual_add_nc_u32 v8, v7, v8 :: v_dual_sub_nc_u32 v9, v5, v9
	s_delay_alu instid0(VALU_DEP_1) | instskip(NEXT) | instid1(VALU_DEP_2)
	v_lshrrev_b32_e32 v5, s15, v8
	v_mad_u32 v10, v9, s17, v18
	v_mad_u32 v2, v9, s16, v2
	;; [unrolled: 1-line block ×4, first 2 shown]
	v_mul_lo_u32 v8, v5, s31
	s_delay_alu instid0(VALU_DEP_1) | instskip(NEXT) | instid1(VALU_DEP_1)
	v_sub_nc_u32_e32 v7, v7, v8
	v_mad_u32 v18, v7, s21, v10
	v_mad_u32 v2, v7, s20, v2
	;; [unrolled: 1-line block ×4, first 2 shown]
	s_cbranch_scc1 .LBB127_2135
; %bb.2136:
	s_bitcmp1_b32 s7, 0
	s_cselect_b32 s7, -1, 0
	s_delay_alu instid0(SALU_CYCLE_1)
	s_and_b32 vcc_lo, exec_lo, s7
	s_cbranch_vccnz .LBB127_2139
; %bb.2137:
	s_load_b96 s[8:10], s[4:5], 0x4
	s_load_b128 s[16:19], s[0:1], 0xe4
	s_wait_kmcnt 0x0
	v_mul_hi_u32 v7, s9, v5
	s_delay_alu instid0(VALU_DEP_1) | instskip(NEXT) | instid1(VALU_DEP_1)
	v_add_nc_u32_e32 v7, v5, v7
	v_lshrrev_b32_e32 v7, s10, v7
	s_delay_alu instid0(VALU_DEP_1) | instskip(NEXT) | instid1(VALU_DEP_1)
	v_mul_lo_u32 v7, v7, s8
	v_sub_nc_u32_e32 v5, v5, v7
	s_delay_alu instid0(VALU_DEP_1)
	v_mad_u32 v2, v5, s16, v2
	v_mad_u32 v18, v5, s17, v18
	;; [unrolled: 1-line block ×4, first 2 shown]
	s_and_not1_b32 vcc_lo, exec_lo, s6
	s_cbranch_vccz .LBB127_2140
	s_branch .LBB127_2143
.LBB127_2138:
	s_mov_b32 s6, -1
                                        ; implicit-def: $vgpr18
                                        ; implicit-def: $vgpr2
                                        ; implicit-def: $vgpr14
                                        ; implicit-def: $vgpr16
.LBB127_2139:
	s_delay_alu instid0(SALU_CYCLE_1)
	s_and_not1_b32 vcc_lo, exec_lo, s6
	s_cbranch_vccnz .LBB127_2143
.LBB127_2140:
	s_clause 0x1
	s_load_b96 s[8:10], s[2:3], 0x4
	s_load_b128 s[4:7], s[2:3], 0xc4
	s_cmp_lt_u32 s27, 2
	s_wait_kmcnt 0x0
	v_mul_hi_u32 v2, s9, v0
	s_delay_alu instid0(VALU_DEP_1) | instskip(NEXT) | instid1(VALU_DEP_1)
	v_add_nc_u32_e32 v2, v0, v2
	v_lshrrev_b32_e32 v5, s10, v2
	s_delay_alu instid0(VALU_DEP_1) | instskip(NEXT) | instid1(VALU_DEP_1)
	v_mul_lo_u32 v2, v5, s8
	v_sub_nc_u32_e32 v0, v0, v2
	s_delay_alu instid0(VALU_DEP_1)
	v_mul_lo_u32 v18, v0, s5
	v_mul_lo_u32 v2, v0, s4
	;; [unrolled: 1-line block ×4, first 2 shown]
	s_cbranch_scc1 .LBB127_2143
; %bb.2141:
	s_clause 0x1
	s_load_b96 s[8:10], s[2:3], 0x10
	s_load_b128 s[4:7], s[2:3], 0xd4
	s_wait_kmcnt 0x0
	v_mul_hi_u32 v0, s9, v5
	s_delay_alu instid0(VALU_DEP_1) | instskip(NEXT) | instid1(VALU_DEP_1)
	v_add_nc_u32_e32 v0, v5, v0
	v_lshrrev_b32_e32 v0, s10, v0
	s_delay_alu instid0(VALU_DEP_1) | instskip(NEXT) | instid1(VALU_DEP_1)
	v_mul_lo_u32 v0, v0, s8
	v_sub_nc_u32_e32 v0, v5, v0
	s_delay_alu instid0(VALU_DEP_1)
	v_mad_u32 v2, v0, s4, v2
	v_mad_u32 v18, v0, s5, v18
	;; [unrolled: 1-line block ×4, first 2 shown]
	s_branch .LBB127_2143
.LBB127_2142:
	v_dual_mov_b32 v18, 0 :: v_dual_mov_b32 v2, 0
	v_dual_mov_b32 v14, 0 :: v_dual_mov_b32 v16, 0
	s_and_not1_b32 vcc_lo, exec_lo, s6
	s_cbranch_vccz .LBB127_2140
.LBB127_2143:
	v_cmp_ne_u32_e32 vcc_lo, 1, v3
	s_cbranch_vccnz .LBB127_2149
; %bb.2144:
	s_cmp_lg_u32 s27, 0
	s_mov_b32 s6, 0
	s_cbranch_scc0 .LBB127_2153
; %bb.2145:
	s_min_u32 s7, s33, 15
	v_dual_mov_b32 v10, 0 :: v_dual_mov_b32 v3, v1
	v_dual_mov_b32 v8, 0 :: v_dual_mov_b32 v0, 0
	v_mov_b32_e32 v12, 0
	s_add_co_i32 s4, s7, 1
	s_mov_b64 s[0:1], 0xffffffffffffffe0
	s_and_b32 s8, s4, 30
	s_add_nc_u64 s[0:1], s[2:3], s[0:1]
	s_mov_b64 s[4:5], s[2:3]
.LBB127_2146:                           ; =>This Inner Loop Header: Depth=1
	s_clause 0x1
	s_load_b128 s[28:31], s[4:5], 0x4
	s_load_b64 s[14:15], s[4:5], 0x14
	s_load_b256 s[16:23], s[0:1], 0xe4
	s_add_co_i32 s8, s8, -2
	s_wait_xcnt 0x0
	s_add_nc_u64 s[4:5], s[4:5], 24
	s_cmp_lg_u32 s8, 0
	s_add_nc_u64 s[0:1], s[0:1], 32
	s_wait_kmcnt 0x0
	v_mul_hi_u32 v5, s29, v3
	s_delay_alu instid0(VALU_DEP_1) | instskip(NEXT) | instid1(VALU_DEP_1)
	v_add_nc_u32_e32 v5, v3, v5
	v_lshrrev_b32_e32 v5, s30, v5
	s_delay_alu instid0(VALU_DEP_1) | instskip(SKIP_1) | instid1(VALU_DEP_1)
	v_mul_hi_u32 v7, s14, v5
	v_mul_lo_u32 v9, v5, s28
	v_dual_add_nc_u32 v7, v5, v7 :: v_dual_sub_nc_u32 v9, v3, v9
	s_delay_alu instid0(VALU_DEP_1) | instskip(NEXT) | instid1(VALU_DEP_2)
	v_lshrrev_b32_e32 v3, s15, v7
	v_mad_u32 v11, v9, s17, v12
	v_mad_u32 v0, v9, s16, v0
	;; [unrolled: 1-line block ×4, first 2 shown]
	v_mul_lo_u32 v7, v3, s31
	s_delay_alu instid0(VALU_DEP_1) | instskip(NEXT) | instid1(VALU_DEP_1)
	v_sub_nc_u32_e32 v5, v5, v7
	v_mad_u32 v12, v5, s21, v11
	v_mad_u32 v0, v5, s20, v0
	v_mad_u32 v8, v5, s23, v8
	v_mad_u32 v10, v5, s22, v9
	s_cbranch_scc1 .LBB127_2146
; %bb.2147:
	s_bitcmp1_b32 s7, 0
	s_cselect_b32 s7, -1, 0
	s_delay_alu instid0(SALU_CYCLE_1)
	s_and_b32 vcc_lo, exec_lo, s7
	s_cbranch_vccnz .LBB127_2150
; %bb.2148:
	s_load_b96 s[8:10], s[4:5], 0x4
	s_load_b128 s[16:19], s[0:1], 0xe4
	s_wait_kmcnt 0x0
	v_mul_hi_u32 v5, s9, v3
	s_delay_alu instid0(VALU_DEP_1) | instskip(NEXT) | instid1(VALU_DEP_1)
	v_add_nc_u32_e32 v5, v3, v5
	v_lshrrev_b32_e32 v5, s10, v5
	s_delay_alu instid0(VALU_DEP_1) | instskip(NEXT) | instid1(VALU_DEP_1)
	v_mul_lo_u32 v5, v5, s8
	v_sub_nc_u32_e32 v3, v3, v5
	s_delay_alu instid0(VALU_DEP_1)
	v_mad_u32 v0, v3, s16, v0
	v_mad_u32 v12, v3, s17, v12
	;; [unrolled: 1-line block ×4, first 2 shown]
	s_and_not1_b32 vcc_lo, exec_lo, s6
	s_cbranch_vccz .LBB127_2151
	s_branch .LBB127_2154
.LBB127_2149:
	s_mov_b32 s6, -1
                                        ; implicit-def: $vgpr12
                                        ; implicit-def: $vgpr0
                                        ; implicit-def: $vgpr8
                                        ; implicit-def: $vgpr10
.LBB127_2150:
	s_delay_alu instid0(SALU_CYCLE_1)
	s_and_not1_b32 vcc_lo, exec_lo, s6
	s_cbranch_vccnz .LBB127_2154
.LBB127_2151:
	s_clause 0x1
	s_load_b96 s[8:10], s[2:3], 0x4
	s_load_b128 s[4:7], s[2:3], 0xc4
	s_cmp_lt_u32 s27, 2
	s_wait_kmcnt 0x0
	v_mul_hi_u32 v0, s9, v1
	s_delay_alu instid0(VALU_DEP_1) | instskip(NEXT) | instid1(VALU_DEP_1)
	v_add_nc_u32_e32 v0, v1, v0
	v_lshrrev_b32_e32 v3, s10, v0
	s_delay_alu instid0(VALU_DEP_1) | instskip(NEXT) | instid1(VALU_DEP_1)
	v_mul_lo_u32 v0, v3, s8
	v_sub_nc_u32_e32 v1, v1, v0
	s_delay_alu instid0(VALU_DEP_1)
	v_mul_lo_u32 v12, v1, s5
	v_mul_lo_u32 v0, v1, s4
	v_mul_lo_u32 v8, v1, s7
	v_mul_lo_u32 v10, v1, s6
	s_cbranch_scc1 .LBB127_2154
; %bb.2152:
	s_clause 0x1
	s_load_b96 s[8:10], s[2:3], 0x10
	s_load_b128 s[4:7], s[2:3], 0xd4
	s_wait_kmcnt 0x0
	v_mul_hi_u32 v1, s9, v3
	s_delay_alu instid0(VALU_DEP_1) | instskip(NEXT) | instid1(VALU_DEP_1)
	v_add_nc_u32_e32 v1, v3, v1
	v_lshrrev_b32_e32 v1, s10, v1
	s_delay_alu instid0(VALU_DEP_1) | instskip(NEXT) | instid1(VALU_DEP_1)
	v_mul_lo_u32 v1, v1, s8
	v_sub_nc_u32_e32 v1, v3, v1
	s_delay_alu instid0(VALU_DEP_1)
	v_mad_u32 v0, v1, s4, v0
	v_mad_u32 v12, v1, s5, v12
	v_mad_u32 v10, v1, s6, v10
	v_mad_u32 v8, v1, s7, v8
	s_branch .LBB127_2154
.LBB127_2153:
	v_dual_mov_b32 v12, 0 :: v_dual_mov_b32 v0, 0
	v_dual_mov_b32 v8, 0 :: v_dual_mov_b32 v10, 0
	s_and_not1_b32 vcc_lo, exec_lo, s6
	s_cbranch_vccz .LBB127_2151
.LBB127_2154:
	v_mov_b32_e32 v31, 0
	s_load_b128 s[4:7], s[2:3], 0x1c8
	global_load_u8 v1, v31, s[2:3] offset:497
	s_wait_kmcnt 0x0
	v_add_nc_u64_e32 v[30:31], s[6:7], v[30:31]
	s_wait_loadcnt 0x0
	v_and_b32_e32 v3, 0xffff, v1
	v_readfirstlane_b32 s10, v1
	s_delay_alu instid0(VALU_DEP_2)
	v_cmp_gt_i32_e32 vcc_lo, 11, v3
	s_cbranch_vccnz .LBB127_2161
; %bb.2155:
	s_and_b32 s0, 0xffff, s10
	s_mov_b32 s8, 0
	s_cmp_gt_i32 s0, 25
	s_cbranch_scc0 .LBB127_2163
; %bb.2156:
	s_cmp_gt_i32 s0, 28
	s_cbranch_scc0 .LBB127_2164
; %bb.2157:
	;; [unrolled: 3-line block ×4, first 2 shown]
	s_cmp_eq_u32 s0, 46
	s_mov_b32 s13, 0
	s_cbranch_scc0 .LBB127_2169
; %bb.2160:
	global_load_b32 v1, v[30:31], off
	s_mov_b32 s1, 0
	s_mov_b32 s9, -1
	s_wait_loadcnt 0x0
	v_lshlrev_b32_e32 v1, 16, v1
	s_branch .LBB127_2171
.LBB127_2161:
	s_mov_b32 s9, 0
	s_mov_b32 s13, s11
                                        ; implicit-def: $vgpr1
	s_cbranch_execnz .LBB127_2234
.LBB127_2162:
	s_and_not1_b32 vcc_lo, exec_lo, s9
	s_cbranch_vccz .LBB127_2279
	s_branch .LBB127_4155
.LBB127_2163:
	s_mov_b32 s9, 0
	s_mov_b32 s1, 0
                                        ; implicit-def: $vgpr1
	s_cbranch_execnz .LBB127_2199
	s_branch .LBB127_2230
.LBB127_2164:
	s_mov_b32 s13, -1
	s_mov_b32 s9, 0
	s_mov_b32 s1, 0
                                        ; implicit-def: $vgpr1
	s_branch .LBB127_2180
.LBB127_2165:
	s_mov_b32 s9, 0
	s_mov_b32 s1, 0
                                        ; implicit-def: $vgpr1
	s_cbranch_execnz .LBB127_2176
	s_branch .LBB127_2179
.LBB127_2166:
	s_mov_b32 s13, -1
	s_mov_b32 s9, 0
	s_mov_b32 s1, 0
	s_branch .LBB127_2170
.LBB127_2167:
	s_and_not1_saveexec_b32 s9, s9
	s_cbranch_execz .LBB127_2022
.LBB127_2168:
	v_add_f32_e64 v2, 0x46000000, |v4|
	s_and_not1_b32 s8, s8, exec_lo
	s_delay_alu instid0(VALU_DEP_1) | instskip(NEXT) | instid1(VALU_DEP_1)
	v_and_b32_e32 v2, 0xff, v2
	v_cmp_ne_u32_e32 vcc_lo, 0, v2
	s_and_b32 s10, vcc_lo, exec_lo
	s_delay_alu instid0(SALU_CYCLE_1)
	s_or_b32 s8, s8, s10
	s_or_b32 exec_lo, exec_lo, s9
	v_mov_b32_e32 v3, 0
	s_and_saveexec_b32 s9, s8
	s_cbranch_execnz .LBB127_2023
	s_branch .LBB127_2024
.LBB127_2169:
	s_mov_b32 s1, -1
	s_mov_b32 s9, 0
.LBB127_2170:
                                        ; implicit-def: $vgpr1
.LBB127_2171:
	s_and_b32 vcc_lo, exec_lo, s13
	s_cbranch_vccz .LBB127_2174
; %bb.2172:
	s_cmp_eq_u32 s0, 44
	s_cbranch_scc0 .LBB127_2175
; %bb.2173:
	global_load_u8 v1, v[30:31], off
	s_mov_b32 s1, 0
	s_mov_b32 s9, -1
	s_wait_loadcnt 0x0
	v_lshlrev_b32_e32 v3, 23, v1
	v_cmp_ne_u32_e32 vcc_lo, 0xff, v1
	s_delay_alu instid0(VALU_DEP_2) | instskip(SKIP_1) | instid1(VALU_DEP_2)
	v_cndmask_b32_e32 v3, 0x7f800001, v3, vcc_lo
	v_cmp_ne_u32_e32 vcc_lo, 0, v1
	v_cndmask_b32_e32 v1, 0x400000, v3, vcc_lo
.LBB127_2174:
	s_branch .LBB127_2179
.LBB127_2175:
	s_mov_b32 s1, -1
                                        ; implicit-def: $vgpr1
	s_branch .LBB127_2179
.LBB127_2176:
	s_cmp_eq_u32 s0, 29
	s_cbranch_scc0 .LBB127_2178
; %bb.2177:
	global_load_b64 v[32:33], v[30:31], off
	s_mov_b32 s1, 0
	s_mov_b32 s9, -1
	s_mov_b32 s13, 0
	s_wait_loadcnt 0x0
	v_clz_i32_u32_e32 v1, v33
	s_delay_alu instid0(VALU_DEP_1) | instskip(NEXT) | instid1(VALU_DEP_1)
	v_min_u32_e32 v1, 32, v1
	v_lshlrev_b64_e32 v[32:33], v1, v[32:33]
	v_sub_nc_u32_e32 v1, 32, v1
	s_delay_alu instid0(VALU_DEP_2) | instskip(NEXT) | instid1(VALU_DEP_1)
	v_min_u32_e32 v3, 1, v32
	v_or_b32_e32 v3, v33, v3
	s_delay_alu instid0(VALU_DEP_1) | instskip(NEXT) | instid1(VALU_DEP_1)
	v_cvt_f32_u32_e32 v3, v3
	v_ldexp_f32 v1, v3, v1
	s_branch .LBB127_2180
.LBB127_2178:
	s_mov_b32 s1, -1
                                        ; implicit-def: $vgpr1
.LBB127_2179:
	s_mov_b32 s13, 0
.LBB127_2180:
	s_delay_alu instid0(SALU_CYCLE_1)
	s_and_b32 vcc_lo, exec_lo, s13
	s_cbranch_vccz .LBB127_2198
; %bb.2181:
	s_cmp_lt_i32 s0, 27
	s_cbranch_scc1 .LBB127_2184
; %bb.2182:
	s_cmp_gt_i32 s0, 27
	s_cbranch_scc0 .LBB127_2185
; %bb.2183:
	global_load_b32 v1, v[30:31], off
	s_mov_b32 s9, 0
	s_wait_loadcnt 0x0
	v_cvt_f32_u32_e32 v1, v1
	s_branch .LBB127_2186
.LBB127_2184:
	s_mov_b32 s9, -1
                                        ; implicit-def: $vgpr1
	s_branch .LBB127_2189
.LBB127_2185:
	s_mov_b32 s9, -1
                                        ; implicit-def: $vgpr1
.LBB127_2186:
	s_delay_alu instid0(SALU_CYCLE_1)
	s_and_not1_b32 vcc_lo, exec_lo, s9
	s_cbranch_vccnz .LBB127_2188
; %bb.2187:
	global_load_u16 v1, v[30:31], off
	s_wait_loadcnt 0x0
	v_cvt_f32_u32_e32 v1, v1
.LBB127_2188:
	s_mov_b32 s9, 0
.LBB127_2189:
	s_delay_alu instid0(SALU_CYCLE_1)
	s_and_not1_b32 vcc_lo, exec_lo, s9
	s_cbranch_vccnz .LBB127_2197
; %bb.2190:
	global_load_u8 v3, v[30:31], off
	s_mov_b32 s9, 0
	s_mov_b32 s13, exec_lo
	s_wait_loadcnt 0x0
	v_cmpx_lt_i16_e32 0x7f, v3
	s_xor_b32 s13, exec_lo, s13
	s_cbranch_execz .LBB127_2210
; %bb.2191:
	s_mov_b32 s9, -1
	s_mov_b32 s14, exec_lo
	v_cmpx_eq_u16_e32 0x80, v3
; %bb.2192:
	s_xor_b32 s9, exec_lo, -1
; %bb.2193:
	s_or_b32 exec_lo, exec_lo, s14
	s_delay_alu instid0(SALU_CYCLE_1)
	s_and_b32 s9, s9, exec_lo
	s_or_saveexec_b32 s13, s13
	v_mov_b32_e32 v1, 0x7f800001
	s_xor_b32 exec_lo, exec_lo, s13
	s_cbranch_execnz .LBB127_2211
.LBB127_2194:
	s_or_b32 exec_lo, exec_lo, s13
	s_and_saveexec_b32 s13, s9
	s_cbranch_execz .LBB127_2196
.LBB127_2195:
	v_and_b32_e32 v1, 0xffff, v3
	s_delay_alu instid0(VALU_DEP_1) | instskip(SKIP_1) | instid1(VALU_DEP_2)
	v_and_b32_e32 v5, 7, v1
	v_bfe_u32 v11, v1, 3, 4
	v_clz_i32_u32_e32 v7, v5
	s_delay_alu instid0(VALU_DEP_2) | instskip(NEXT) | instid1(VALU_DEP_2)
	v_cmp_eq_u32_e32 vcc_lo, 0, v11
	v_min_u32_e32 v7, 32, v7
	s_delay_alu instid0(VALU_DEP_1) | instskip(NEXT) | instid1(VALU_DEP_1)
	v_subrev_nc_u32_e32 v9, 28, v7
	v_dual_lshlrev_b32 v1, v9, v1 :: v_dual_sub_nc_u32 v7, 29, v7
	s_delay_alu instid0(VALU_DEP_1) | instskip(NEXT) | instid1(VALU_DEP_1)
	v_dual_lshlrev_b32 v3, 24, v3 :: v_dual_bitop2_b32 v1, 7, v1 bitop3:0x40
	v_dual_cndmask_b32 v1, v5, v1, vcc_lo :: v_dual_cndmask_b32 v7, v11, v7, vcc_lo
	s_delay_alu instid0(VALU_DEP_2) | instskip(NEXT) | instid1(VALU_DEP_2)
	v_and_b32_e32 v3, 0x80000000, v3
	v_lshlrev_b32_e32 v1, 20, v1
	s_delay_alu instid0(VALU_DEP_3) | instskip(NEXT) | instid1(VALU_DEP_1)
	v_lshl_add_u32 v5, v7, 23, 0x3b800000
	v_or3_b32 v1, v3, v5, v1
.LBB127_2196:
	s_or_b32 exec_lo, exec_lo, s13
.LBB127_2197:
	s_mov_b32 s9, -1
.LBB127_2198:
	s_branch .LBB127_2230
.LBB127_2199:
	s_cmp_gt_i32 s0, 22
	s_cbranch_scc0 .LBB127_2209
; %bb.2200:
	s_cmp_lt_i32 s0, 24
	s_cbranch_scc1 .LBB127_2212
; %bb.2201:
	s_cmp_gt_i32 s0, 24
	s_cbranch_scc0 .LBB127_2213
; %bb.2202:
	global_load_u8 v3, v[30:31], off
	s_mov_b32 s9, exec_lo
	s_wait_loadcnt 0x0
	v_cmpx_lt_i16_e32 0x7f, v3
	s_xor_b32 s9, exec_lo, s9
	s_cbranch_execz .LBB127_2224
; %bb.2203:
	s_mov_b32 s8, -1
	s_mov_b32 s13, exec_lo
	v_cmpx_eq_u16_e32 0x80, v3
; %bb.2204:
	s_xor_b32 s8, exec_lo, -1
; %bb.2205:
	s_or_b32 exec_lo, exec_lo, s13
	s_delay_alu instid0(SALU_CYCLE_1)
	s_and_b32 s8, s8, exec_lo
	s_or_saveexec_b32 s9, s9
	v_mov_b32_e32 v1, 0x7f800001
	s_xor_b32 exec_lo, exec_lo, s9
	s_cbranch_execnz .LBB127_2225
.LBB127_2206:
	s_or_b32 exec_lo, exec_lo, s9
	s_and_saveexec_b32 s9, s8
	s_cbranch_execz .LBB127_2208
.LBB127_2207:
	v_and_b32_e32 v1, 0xffff, v3
	s_delay_alu instid0(VALU_DEP_1) | instskip(SKIP_1) | instid1(VALU_DEP_2)
	v_and_b32_e32 v5, 3, v1
	v_bfe_u32 v11, v1, 2, 5
	v_clz_i32_u32_e32 v7, v5
	s_delay_alu instid0(VALU_DEP_2) | instskip(NEXT) | instid1(VALU_DEP_2)
	v_cmp_eq_u32_e32 vcc_lo, 0, v11
	v_min_u32_e32 v7, 32, v7
	s_delay_alu instid0(VALU_DEP_1) | instskip(NEXT) | instid1(VALU_DEP_1)
	v_subrev_nc_u32_e32 v9, 29, v7
	v_dual_lshlrev_b32 v1, v9, v1 :: v_dual_sub_nc_u32 v7, 30, v7
	s_delay_alu instid0(VALU_DEP_1) | instskip(NEXT) | instid1(VALU_DEP_1)
	v_dual_lshlrev_b32 v3, 24, v3 :: v_dual_bitop2_b32 v1, 3, v1 bitop3:0x40
	v_dual_cndmask_b32 v1, v5, v1, vcc_lo :: v_dual_cndmask_b32 v7, v11, v7, vcc_lo
	s_delay_alu instid0(VALU_DEP_2) | instskip(NEXT) | instid1(VALU_DEP_2)
	v_and_b32_e32 v3, 0x80000000, v3
	v_lshlrev_b32_e32 v1, 21, v1
	s_delay_alu instid0(VALU_DEP_3) | instskip(NEXT) | instid1(VALU_DEP_1)
	v_lshl_add_u32 v5, v7, 23, 0x37800000
	v_or3_b32 v1, v3, v5, v1
.LBB127_2208:
	s_or_b32 exec_lo, exec_lo, s9
	s_mov_b32 s8, 0
	s_branch .LBB127_2214
.LBB127_2209:
                                        ; implicit-def: $vgpr1
	s_mov_b32 s8, 0
	s_branch .LBB127_2220
.LBB127_2210:
	s_or_saveexec_b32 s13, s13
	v_mov_b32_e32 v1, 0x7f800001
	s_xor_b32 exec_lo, exec_lo, s13
	s_cbranch_execz .LBB127_2194
.LBB127_2211:
	v_cmp_ne_u16_e32 vcc_lo, 0, v3
	v_mov_b32_e32 v1, 0
	s_and_not1_b32 s9, s9, exec_lo
	s_and_b32 s14, vcc_lo, exec_lo
	s_delay_alu instid0(SALU_CYCLE_1)
	s_or_b32 s9, s9, s14
	s_or_b32 exec_lo, exec_lo, s13
	s_and_saveexec_b32 s13, s9
	s_cbranch_execnz .LBB127_2195
	s_branch .LBB127_2196
.LBB127_2212:
	s_mov_b32 s8, -1
                                        ; implicit-def: $vgpr1
	s_branch .LBB127_2217
.LBB127_2213:
	s_mov_b32 s8, -1
                                        ; implicit-def: $vgpr1
.LBB127_2214:
	s_delay_alu instid0(SALU_CYCLE_1)
	s_and_b32 vcc_lo, exec_lo, s8
	s_cbranch_vccz .LBB127_2216
; %bb.2215:
	global_load_u8 v1, v[30:31], off
	s_wait_loadcnt 0x0
	v_lshlrev_b32_e32 v1, 24, v1
	s_delay_alu instid0(VALU_DEP_1) | instskip(NEXT) | instid1(VALU_DEP_1)
	v_and_b32_e32 v3, 0x7f000000, v1
	v_clz_i32_u32_e32 v5, v3
	v_add_nc_u32_e32 v9, 0x1000000, v3
	v_cmp_ne_u32_e32 vcc_lo, 0, v3
	s_delay_alu instid0(VALU_DEP_3) | instskip(NEXT) | instid1(VALU_DEP_1)
	v_min_u32_e32 v5, 32, v5
	v_sub_nc_u32_e64 v5, v5, 4 clamp
	s_delay_alu instid0(VALU_DEP_1) | instskip(NEXT) | instid1(VALU_DEP_1)
	v_dual_lshlrev_b32 v7, v5, v3 :: v_dual_lshlrev_b32 v5, 23, v5
	v_lshrrev_b32_e32 v7, 4, v7
	s_delay_alu instid0(VALU_DEP_1) | instskip(SKIP_1) | instid1(VALU_DEP_2)
	v_sub_nc_u32_e32 v5, v7, v5
	v_ashrrev_i32_e32 v7, 8, v9
	v_add_nc_u32_e32 v5, 0x3c000000, v5
	s_delay_alu instid0(VALU_DEP_1) | instskip(NEXT) | instid1(VALU_DEP_1)
	v_and_or_b32 v5, 0x7f800000, v7, v5
	v_cndmask_b32_e32 v3, 0, v5, vcc_lo
	s_delay_alu instid0(VALU_DEP_1)
	v_and_or_b32 v1, 0x80000000, v1, v3
.LBB127_2216:
	s_mov_b32 s8, 0
.LBB127_2217:
	s_delay_alu instid0(SALU_CYCLE_1)
	s_and_not1_b32 vcc_lo, exec_lo, s8
	s_cbranch_vccnz .LBB127_2219
; %bb.2218:
	global_load_u8 v1, v[30:31], off
	s_wait_loadcnt 0x0
	v_lshlrev_b32_e32 v3, 25, v1
	v_lshlrev_b16 v1, 8, v1
	s_delay_alu instid0(VALU_DEP_1) | instskip(SKIP_1) | instid1(VALU_DEP_2)
	v_and_or_b32 v7, 0x7f00, v1, 0.5
	v_bfe_i32 v1, v1, 0, 16
	v_add_f32_e32 v7, -0.5, v7
	v_lshrrev_b32_e32 v5, 4, v3
	v_cmp_gt_u32_e32 vcc_lo, 0x8000000, v3
	s_delay_alu instid0(VALU_DEP_2) | instskip(NEXT) | instid1(VALU_DEP_1)
	v_or_b32_e32 v5, 0x70000000, v5
	v_mul_f32_e32 v5, 0x7800000, v5
	s_delay_alu instid0(VALU_DEP_1) | instskip(NEXT) | instid1(VALU_DEP_1)
	v_cndmask_b32_e32 v3, v5, v7, vcc_lo
	v_and_or_b32 v1, 0x80000000, v1, v3
.LBB127_2219:
	s_mov_b32 s9, -1
	s_mov_b32 s8, 0
	s_cbranch_execnz .LBB127_2230
.LBB127_2220:
	s_cmp_gt_i32 s0, 14
	s_cbranch_scc0 .LBB127_2223
; %bb.2221:
	s_cmp_eq_u32 s0, 15
	s_cbranch_scc0 .LBB127_2226
; %bb.2222:
	global_load_u16 v1, v[30:31], off
	s_mov_b32 s1, 0
	s_mov_b32 s9, -1
	s_wait_loadcnt 0x0
	v_lshlrev_b32_e32 v1, 16, v1
	s_branch .LBB127_2228
.LBB127_2223:
	s_mov_b32 s8, -1
	s_branch .LBB127_2227
.LBB127_2224:
	s_or_saveexec_b32 s9, s9
	v_mov_b32_e32 v1, 0x7f800001
	s_xor_b32 exec_lo, exec_lo, s9
	s_cbranch_execz .LBB127_2206
.LBB127_2225:
	v_cmp_ne_u16_e32 vcc_lo, 0, v3
	v_mov_b32_e32 v1, 0
	s_and_not1_b32 s8, s8, exec_lo
	s_and_b32 s13, vcc_lo, exec_lo
	s_delay_alu instid0(SALU_CYCLE_1)
	s_or_b32 s8, s8, s13
	s_or_b32 exec_lo, exec_lo, s9
	s_and_saveexec_b32 s9, s8
	s_cbranch_execnz .LBB127_2207
	s_branch .LBB127_2208
.LBB127_2226:
	s_mov_b32 s1, -1
.LBB127_2227:
                                        ; implicit-def: $vgpr1
.LBB127_2228:
	s_and_b32 vcc_lo, exec_lo, s8
	s_mov_b32 s8, 0
	s_cbranch_vccz .LBB127_2230
; %bb.2229:
	s_cmp_lg_u32 s0, 11
	s_mov_b32 s8, -1
	s_cselect_b32 s1, -1, 0
.LBB127_2230:
	s_delay_alu instid0(SALU_CYCLE_1)
	s_and_b32 vcc_lo, exec_lo, s1
	s_mov_b32 s13, s11
	s_cbranch_vccnz .LBB127_2291
; %bb.2231:
	s_and_not1_b32 vcc_lo, exec_lo, s8
	s_cbranch_vccnz .LBB127_2233
.LBB127_2232:
	global_load_u8 v1, v[30:31], off
	s_mov_b32 s9, -1
	s_wait_loadcnt 0x0
	v_cmp_ne_u16_e32 vcc_lo, 0, v1
	v_cndmask_b32_e64 v1, 0, 1.0, vcc_lo
.LBB127_2233:
	s_branch .LBB127_2162
.LBB127_2234:
	s_and_b32 s0, 0xffff, s10
	s_delay_alu instid0(SALU_CYCLE_1)
	s_cmp_lt_i32 s0, 5
	s_cbranch_scc1 .LBB127_2239
; %bb.2235:
	s_cmp_lt_i32 s0, 8
	s_cbranch_scc1 .LBB127_2240
; %bb.2236:
	;; [unrolled: 3-line block ×3, first 2 shown]
	s_cmp_gt_i32 s0, 9
	s_cbranch_scc0 .LBB127_2242
; %bb.2238:
	global_load_b64 v[32:33], v[30:31], off
	s_mov_b32 s1, 0
	s_wait_loadcnt 0x0
	v_cvt_f32_f64_e32 v1, v[32:33]
	s_branch .LBB127_2243
.LBB127_2239:
                                        ; implicit-def: $vgpr1
	s_branch .LBB127_2260
.LBB127_2240:
                                        ; implicit-def: $vgpr1
	s_branch .LBB127_2249
.LBB127_2241:
	s_mov_b32 s1, -1
                                        ; implicit-def: $vgpr1
	s_branch .LBB127_2246
.LBB127_2242:
	s_mov_b32 s1, -1
                                        ; implicit-def: $vgpr1
.LBB127_2243:
	s_delay_alu instid0(SALU_CYCLE_1)
	s_and_not1_b32 vcc_lo, exec_lo, s1
	s_cbranch_vccnz .LBB127_2245
; %bb.2244:
	global_load_b32 v1, v[30:31], off
.LBB127_2245:
	s_mov_b32 s1, 0
.LBB127_2246:
	s_delay_alu instid0(SALU_CYCLE_1)
	s_and_not1_b32 vcc_lo, exec_lo, s1
	s_cbranch_vccnz .LBB127_2248
; %bb.2247:
	s_wait_loadcnt 0x0
	global_load_b32 v1, v[30:31], off
	s_wait_loadcnt 0x0
	v_cvt_f32_f16_e32 v1, v1
.LBB127_2248:
	s_cbranch_execnz .LBB127_2259
.LBB127_2249:
	s_cmp_lt_i32 s0, 6
	s_cbranch_scc1 .LBB127_2252
; %bb.2250:
	s_cmp_gt_i32 s0, 6
	s_cbranch_scc0 .LBB127_2253
; %bb.2251:
	global_load_b64 v[32:33], v[30:31], off
	s_mov_b32 s1, 0
	s_wait_loadcnt 0x0
	v_cvt_f32_f64_e32 v1, v[32:33]
	s_branch .LBB127_2254
.LBB127_2252:
	s_mov_b32 s1, -1
                                        ; implicit-def: $vgpr1
	s_branch .LBB127_2257
.LBB127_2253:
	s_mov_b32 s1, -1
                                        ; implicit-def: $vgpr1
.LBB127_2254:
	s_delay_alu instid0(SALU_CYCLE_1)
	s_and_not1_b32 vcc_lo, exec_lo, s1
	s_cbranch_vccnz .LBB127_2256
; %bb.2255:
	s_wait_loadcnt 0x0
	global_load_b32 v1, v[30:31], off
.LBB127_2256:
	s_mov_b32 s1, 0
.LBB127_2257:
	s_delay_alu instid0(SALU_CYCLE_1)
	s_and_not1_b32 vcc_lo, exec_lo, s1
	s_cbranch_vccnz .LBB127_2259
; %bb.2258:
	s_wait_loadcnt 0x0
	global_load_u16 v1, v[30:31], off
	s_wait_loadcnt 0x0
	v_cvt_f32_f16_e32 v1, v1
.LBB127_2259:
	s_cbranch_execnz .LBB127_2278
.LBB127_2260:
	s_cmp_lt_i32 s0, 2
	s_cbranch_scc1 .LBB127_2264
; %bb.2261:
	s_cmp_lt_i32 s0, 3
	s_cbranch_scc1 .LBB127_2265
; %bb.2262:
	s_cmp_gt_i32 s0, 3
	s_cbranch_scc0 .LBB127_2266
; %bb.2263:
	global_load_b64 v[32:33], v[30:31], off
	s_mov_b32 s1, 0
	s_wait_loadcnt 0x0
	v_xor_b32_e32 v1, v32, v33
	v_cls_i32_e32 v3, v33
	s_delay_alu instid0(VALU_DEP_2) | instskip(NEXT) | instid1(VALU_DEP_1)
	v_ashrrev_i32_e32 v1, 31, v1
	v_add_nc_u32_e32 v1, 32, v1
	s_delay_alu instid0(VALU_DEP_1) | instskip(NEXT) | instid1(VALU_DEP_1)
	v_add_min_u32_e64 v1, v3, -1, v1
	v_lshlrev_b64_e32 v[32:33], v1, v[32:33]
	v_sub_nc_u32_e32 v1, 32, v1
	s_delay_alu instid0(VALU_DEP_2) | instskip(NEXT) | instid1(VALU_DEP_1)
	v_min_u32_e32 v3, 1, v32
	v_or_b32_e32 v3, v33, v3
	s_delay_alu instid0(VALU_DEP_1) | instskip(NEXT) | instid1(VALU_DEP_1)
	v_cvt_f32_i32_e32 v3, v3
	v_ldexp_f32 v1, v3, v1
	s_branch .LBB127_2267
.LBB127_2264:
                                        ; implicit-def: $vgpr1
	s_branch .LBB127_2273
.LBB127_2265:
	s_mov_b32 s1, -1
                                        ; implicit-def: $vgpr1
	s_branch .LBB127_2270
.LBB127_2266:
	s_mov_b32 s1, -1
                                        ; implicit-def: $vgpr1
.LBB127_2267:
	s_delay_alu instid0(SALU_CYCLE_1)
	s_and_not1_b32 vcc_lo, exec_lo, s1
	s_cbranch_vccnz .LBB127_2269
; %bb.2268:
	s_wait_loadcnt 0x0
	global_load_b32 v1, v[30:31], off
	s_wait_loadcnt 0x0
	v_cvt_f32_i32_e32 v1, v1
.LBB127_2269:
	s_mov_b32 s1, 0
.LBB127_2270:
	s_delay_alu instid0(SALU_CYCLE_1)
	s_and_not1_b32 vcc_lo, exec_lo, s1
	s_cbranch_vccnz .LBB127_2272
; %bb.2271:
	s_wait_loadcnt 0x0
	global_load_i16 v1, v[30:31], off
	s_wait_loadcnt 0x0
	v_cvt_f32_i32_e32 v1, v1
.LBB127_2272:
	s_cbranch_execnz .LBB127_2278
.LBB127_2273:
	s_cmp_gt_i32 s0, 0
	s_mov_b32 s0, 0
	s_cbranch_scc0 .LBB127_2275
; %bb.2274:
	s_wait_loadcnt 0x0
	global_load_i8 v1, v[30:31], off
	s_wait_loadcnt 0x0
	v_cvt_f32_i32_e32 v1, v1
	s_branch .LBB127_2276
.LBB127_2275:
	s_mov_b32 s0, -1
                                        ; implicit-def: $vgpr1
.LBB127_2276:
	s_delay_alu instid0(SALU_CYCLE_1)
	s_and_not1_b32 vcc_lo, exec_lo, s0
	s_cbranch_vccnz .LBB127_2278
; %bb.2277:
	s_wait_loadcnt 0x0
	global_load_u8 v1, v[30:31], off
	s_wait_loadcnt 0x0
	v_cvt_f32_ubyte0_e32 v1, v1
.LBB127_2278:
.LBB127_2279:
	v_mov_b32_e32 v29, 0
	s_load_b64 s[0:1], s[2:3], 0x1d8
	global_load_u8 v3, v29, s[2:3] offset:498
	s_wait_kmcnt 0x0
	v_add_nc_u64_e32 v[28:29], s[0:1], v[28:29]
	s_wait_loadcnt 0x0
	v_and_b32_e32 v5, 0xffff, v3
	v_readfirstlane_b32 s14, v3
	s_delay_alu instid0(VALU_DEP_2)
	v_cmp_gt_i32_e32 vcc_lo, 11, v5
	s_cbranch_vccnz .LBB127_2286
; %bb.2280:
	s_and_b32 s8, 0xffff, s14
	s_mov_b32 s15, 0
	s_cmp_gt_i32 s8, 25
	s_cbranch_scc0 .LBB127_2288
; %bb.2281:
	s_cmp_gt_i32 s8, 28
	s_cbranch_scc0 .LBB127_2289
; %bb.2282:
	;; [unrolled: 3-line block ×4, first 2 shown]
	s_cmp_eq_u32 s8, 46
	s_mov_b32 s17, 0
	s_cbranch_scc0 .LBB127_2295
; %bb.2285:
	global_load_b32 v3, v[28:29], off
	s_mov_b32 s9, 0
	s_mov_b32 s16, -1
	s_wait_loadcnt 0x0
	v_lshlrev_b32_e32 v3, 16, v3
	s_branch .LBB127_2297
.LBB127_2286:
	s_mov_b32 s16, 0
                                        ; implicit-def: $vgpr3
	s_cbranch_execnz .LBB127_2362
.LBB127_2287:
	s_and_not1_b32 vcc_lo, exec_lo, s16
	s_cbranch_vccnz .LBB127_4155
	s_branch .LBB127_2409
.LBB127_2288:
	s_mov_b32 s16, 0
	s_mov_b32 s9, 0
                                        ; implicit-def: $vgpr3
	s_cbranch_execnz .LBB127_2326
	s_branch .LBB127_2358
.LBB127_2289:
	s_mov_b32 s17, -1
	s_mov_b32 s16, 0
	s_mov_b32 s9, 0
                                        ; implicit-def: $vgpr3
	s_branch .LBB127_2307
.LBB127_2290:
	s_mov_b32 s17, -1
	s_mov_b32 s16, 0
	s_mov_b32 s9, 0
                                        ; implicit-def: $vgpr3
	s_branch .LBB127_2302
.LBB127_2291:
	s_or_b32 s13, s11, exec_lo
	s_trap 2
	s_cbranch_execz .LBB127_2232
	s_branch .LBB127_2233
.LBB127_2292:
	s_mov_b32 s17, -1
	s_mov_b32 s16, 0
	s_mov_b32 s9, 0
	s_branch .LBB127_2296
.LBB127_2293:
	s_and_not1_saveexec_b32 s10, s10
	s_cbranch_execz .LBB127_2034
.LBB127_2294:
	v_add_f32_e64 v2, 0x42800000, |v4|
	s_and_not1_b32 s9, s9, exec_lo
	s_delay_alu instid0(VALU_DEP_1) | instskip(NEXT) | instid1(VALU_DEP_1)
	v_and_b32_e32 v2, 0xff, v2
	v_cmp_ne_u32_e32 vcc_lo, 0, v2
	s_and_b32 s11, vcc_lo, exec_lo
	s_delay_alu instid0(SALU_CYCLE_1)
	s_or_b32 s9, s9, s11
	s_or_b32 exec_lo, exec_lo, s10
	v_mov_b32_e32 v3, 0
	s_and_saveexec_b32 s10, s9
	s_cbranch_execnz .LBB127_2035
	s_branch .LBB127_2036
.LBB127_2295:
	s_mov_b32 s9, -1
	s_mov_b32 s16, 0
.LBB127_2296:
                                        ; implicit-def: $vgpr3
.LBB127_2297:
	s_and_b32 vcc_lo, exec_lo, s17
	s_cbranch_vccz .LBB127_2301
; %bb.2298:
	s_cmp_eq_u32 s8, 44
	s_cbranch_scc0 .LBB127_2300
; %bb.2299:
	global_load_u8 v3, v[28:29], off
	s_mov_b32 s9, 0
	s_mov_b32 s16, -1
	s_wait_loadcnt 0x0
	v_lshlrev_b32_e32 v5, 23, v3
	v_cmp_ne_u32_e32 vcc_lo, 0xff, v3
	s_delay_alu instid0(VALU_DEP_2) | instskip(SKIP_1) | instid1(VALU_DEP_2)
	v_cndmask_b32_e32 v5, 0x7f800001, v5, vcc_lo
	v_cmp_ne_u32_e32 vcc_lo, 0, v3
	v_cndmask_b32_e32 v3, 0x400000, v5, vcc_lo
	s_branch .LBB127_2301
.LBB127_2300:
	s_mov_b32 s9, -1
                                        ; implicit-def: $vgpr3
.LBB127_2301:
	s_mov_b32 s17, 0
.LBB127_2302:
	s_delay_alu instid0(SALU_CYCLE_1)
	s_and_b32 vcc_lo, exec_lo, s17
	s_cbranch_vccz .LBB127_2306
; %bb.2303:
	s_cmp_eq_u32 s8, 29
	s_cbranch_scc0 .LBB127_2305
; %bb.2304:
	global_load_b64 v[30:31], v[28:29], off
	s_mov_b32 s9, 0
	s_mov_b32 s16, -1
	s_mov_b32 s17, 0
	s_wait_loadcnt 0x0
	v_clz_i32_u32_e32 v3, v31
	s_delay_alu instid0(VALU_DEP_1) | instskip(NEXT) | instid1(VALU_DEP_1)
	v_min_u32_e32 v3, 32, v3
	v_lshlrev_b64_e32 v[30:31], v3, v[30:31]
	v_sub_nc_u32_e32 v3, 32, v3
	s_delay_alu instid0(VALU_DEP_2) | instskip(NEXT) | instid1(VALU_DEP_1)
	v_min_u32_e32 v5, 1, v30
	v_or_b32_e32 v5, v31, v5
	s_delay_alu instid0(VALU_DEP_1) | instskip(NEXT) | instid1(VALU_DEP_1)
	v_cvt_f32_u32_e32 v5, v5
	v_ldexp_f32 v3, v5, v3
	s_branch .LBB127_2307
.LBB127_2305:
	s_mov_b32 s9, -1
                                        ; implicit-def: $vgpr3
.LBB127_2306:
	s_mov_b32 s17, 0
.LBB127_2307:
	s_delay_alu instid0(SALU_CYCLE_1)
	s_and_b32 vcc_lo, exec_lo, s17
	s_cbranch_vccz .LBB127_2325
; %bb.2308:
	s_cmp_lt_i32 s8, 27
	s_cbranch_scc1 .LBB127_2311
; %bb.2309:
	s_cmp_gt_i32 s8, 27
	s_cbranch_scc0 .LBB127_2312
; %bb.2310:
	global_load_b32 v3, v[28:29], off
	s_mov_b32 s16, 0
	s_wait_loadcnt 0x0
	v_cvt_f32_u32_e32 v3, v3
	s_branch .LBB127_2313
.LBB127_2311:
	s_mov_b32 s16, -1
                                        ; implicit-def: $vgpr3
	s_branch .LBB127_2316
.LBB127_2312:
	s_mov_b32 s16, -1
                                        ; implicit-def: $vgpr3
.LBB127_2313:
	s_delay_alu instid0(SALU_CYCLE_1)
	s_and_not1_b32 vcc_lo, exec_lo, s16
	s_cbranch_vccnz .LBB127_2315
; %bb.2314:
	global_load_u16 v3, v[28:29], off
	s_wait_loadcnt 0x0
	v_cvt_f32_u32_e32 v3, v3
.LBB127_2315:
	s_mov_b32 s16, 0
.LBB127_2316:
	s_delay_alu instid0(SALU_CYCLE_1)
	s_and_not1_b32 vcc_lo, exec_lo, s16
	s_cbranch_vccnz .LBB127_2324
; %bb.2317:
	global_load_u8 v5, v[28:29], off
	s_mov_b32 s16, 0
	s_mov_b32 s17, exec_lo
	s_wait_loadcnt 0x0
	v_cmpx_lt_i16_e32 0x7f, v5
	s_xor_b32 s17, exec_lo, s17
	s_cbranch_execz .LBB127_2337
; %bb.2318:
	s_mov_b32 s16, -1
	s_mov_b32 s18, exec_lo
	v_cmpx_eq_u16_e32 0x80, v5
; %bb.2319:
	s_xor_b32 s16, exec_lo, -1
; %bb.2320:
	s_or_b32 exec_lo, exec_lo, s18
	s_delay_alu instid0(SALU_CYCLE_1)
	s_and_b32 s16, s16, exec_lo
	s_or_saveexec_b32 s17, s17
	v_mov_b32_e32 v3, 0x7f800001
	s_xor_b32 exec_lo, exec_lo, s17
	s_cbranch_execnz .LBB127_2338
.LBB127_2321:
	s_or_b32 exec_lo, exec_lo, s17
	s_and_saveexec_b32 s17, s16
	s_cbranch_execz .LBB127_2323
.LBB127_2322:
	v_and_b32_e32 v3, 0xffff, v5
	s_delay_alu instid0(VALU_DEP_1) | instskip(SKIP_1) | instid1(VALU_DEP_2)
	v_and_b32_e32 v7, 7, v3
	v_bfe_u32 v13, v3, 3, 4
	v_clz_i32_u32_e32 v9, v7
	s_delay_alu instid0(VALU_DEP_2) | instskip(NEXT) | instid1(VALU_DEP_2)
	v_cmp_eq_u32_e32 vcc_lo, 0, v13
	v_min_u32_e32 v9, 32, v9
	s_delay_alu instid0(VALU_DEP_1) | instskip(NEXT) | instid1(VALU_DEP_1)
	v_subrev_nc_u32_e32 v11, 28, v9
	v_dual_lshlrev_b32 v3, v11, v3 :: v_dual_sub_nc_u32 v9, 29, v9
	s_delay_alu instid0(VALU_DEP_1) | instskip(NEXT) | instid1(VALU_DEP_1)
	v_dual_lshlrev_b32 v5, 24, v5 :: v_dual_bitop2_b32 v3, 7, v3 bitop3:0x40
	v_dual_cndmask_b32 v3, v7, v3, vcc_lo :: v_dual_cndmask_b32 v9, v13, v9, vcc_lo
	s_delay_alu instid0(VALU_DEP_2) | instskip(NEXT) | instid1(VALU_DEP_2)
	v_and_b32_e32 v5, 0x80000000, v5
	v_lshlrev_b32_e32 v3, 20, v3
	s_delay_alu instid0(VALU_DEP_3) | instskip(NEXT) | instid1(VALU_DEP_1)
	v_lshl_add_u32 v7, v9, 23, 0x3b800000
	v_or3_b32 v3, v5, v7, v3
.LBB127_2323:
	s_or_b32 exec_lo, exec_lo, s17
.LBB127_2324:
	s_mov_b32 s16, -1
.LBB127_2325:
	s_branch .LBB127_2358
.LBB127_2326:
	s_cmp_gt_i32 s8, 22
	s_cbranch_scc0 .LBB127_2336
; %bb.2327:
	s_cmp_lt_i32 s8, 24
	s_cbranch_scc1 .LBB127_2339
; %bb.2328:
	s_cmp_gt_i32 s8, 24
	s_cbranch_scc0 .LBB127_2340
; %bb.2329:
	global_load_u8 v5, v[28:29], off
	s_mov_b32 s16, exec_lo
	s_wait_loadcnt 0x0
	v_cmpx_lt_i16_e32 0x7f, v5
	s_xor_b32 s16, exec_lo, s16
	s_cbranch_execz .LBB127_2352
; %bb.2330:
	s_mov_b32 s15, -1
	s_mov_b32 s17, exec_lo
	v_cmpx_eq_u16_e32 0x80, v5
; %bb.2331:
	s_xor_b32 s15, exec_lo, -1
; %bb.2332:
	s_or_b32 exec_lo, exec_lo, s17
	s_delay_alu instid0(SALU_CYCLE_1)
	s_and_b32 s15, s15, exec_lo
	s_or_saveexec_b32 s16, s16
	v_mov_b32_e32 v3, 0x7f800001
	s_xor_b32 exec_lo, exec_lo, s16
	s_cbranch_execnz .LBB127_2353
.LBB127_2333:
	s_or_b32 exec_lo, exec_lo, s16
	s_and_saveexec_b32 s16, s15
	s_cbranch_execz .LBB127_2335
.LBB127_2334:
	v_and_b32_e32 v3, 0xffff, v5
	s_delay_alu instid0(VALU_DEP_1) | instskip(SKIP_1) | instid1(VALU_DEP_2)
	v_and_b32_e32 v7, 3, v3
	v_bfe_u32 v13, v3, 2, 5
	v_clz_i32_u32_e32 v9, v7
	s_delay_alu instid0(VALU_DEP_2) | instskip(NEXT) | instid1(VALU_DEP_2)
	v_cmp_eq_u32_e32 vcc_lo, 0, v13
	v_min_u32_e32 v9, 32, v9
	s_delay_alu instid0(VALU_DEP_1) | instskip(NEXT) | instid1(VALU_DEP_1)
	v_subrev_nc_u32_e32 v11, 29, v9
	v_dual_lshlrev_b32 v3, v11, v3 :: v_dual_sub_nc_u32 v9, 30, v9
	s_delay_alu instid0(VALU_DEP_1) | instskip(NEXT) | instid1(VALU_DEP_1)
	v_dual_lshlrev_b32 v5, 24, v5 :: v_dual_bitop2_b32 v3, 3, v3 bitop3:0x40
	v_dual_cndmask_b32 v3, v7, v3, vcc_lo :: v_dual_cndmask_b32 v9, v13, v9, vcc_lo
	s_delay_alu instid0(VALU_DEP_2) | instskip(NEXT) | instid1(VALU_DEP_2)
	v_and_b32_e32 v5, 0x80000000, v5
	v_lshlrev_b32_e32 v3, 21, v3
	s_delay_alu instid0(VALU_DEP_3) | instskip(NEXT) | instid1(VALU_DEP_1)
	v_lshl_add_u32 v7, v9, 23, 0x37800000
	v_or3_b32 v3, v5, v7, v3
.LBB127_2335:
	s_or_b32 exec_lo, exec_lo, s16
	s_mov_b32 s15, 0
	s_branch .LBB127_2341
.LBB127_2336:
	s_mov_b32 s15, -1
                                        ; implicit-def: $vgpr3
	s_branch .LBB127_2347
.LBB127_2337:
	s_or_saveexec_b32 s17, s17
	v_mov_b32_e32 v3, 0x7f800001
	s_xor_b32 exec_lo, exec_lo, s17
	s_cbranch_execz .LBB127_2321
.LBB127_2338:
	v_cmp_ne_u16_e32 vcc_lo, 0, v5
	v_mov_b32_e32 v3, 0
	s_and_not1_b32 s16, s16, exec_lo
	s_and_b32 s18, vcc_lo, exec_lo
	s_delay_alu instid0(SALU_CYCLE_1)
	s_or_b32 s16, s16, s18
	s_or_b32 exec_lo, exec_lo, s17
	s_and_saveexec_b32 s17, s16
	s_cbranch_execnz .LBB127_2322
	s_branch .LBB127_2323
.LBB127_2339:
	s_mov_b32 s15, -1
                                        ; implicit-def: $vgpr3
	s_branch .LBB127_2344
.LBB127_2340:
	s_mov_b32 s15, -1
                                        ; implicit-def: $vgpr3
.LBB127_2341:
	s_delay_alu instid0(SALU_CYCLE_1)
	s_and_b32 vcc_lo, exec_lo, s15
	s_cbranch_vccz .LBB127_2343
; %bb.2342:
	global_load_u8 v3, v[28:29], off
	s_wait_loadcnt 0x0
	v_lshlrev_b32_e32 v3, 24, v3
	s_delay_alu instid0(VALU_DEP_1) | instskip(NEXT) | instid1(VALU_DEP_1)
	v_and_b32_e32 v5, 0x7f000000, v3
	v_clz_i32_u32_e32 v7, v5
	v_add_nc_u32_e32 v11, 0x1000000, v5
	v_cmp_ne_u32_e32 vcc_lo, 0, v5
	s_delay_alu instid0(VALU_DEP_3) | instskip(NEXT) | instid1(VALU_DEP_1)
	v_min_u32_e32 v7, 32, v7
	v_sub_nc_u32_e64 v7, v7, 4 clamp
	s_delay_alu instid0(VALU_DEP_1) | instskip(NEXT) | instid1(VALU_DEP_1)
	v_dual_lshlrev_b32 v9, v7, v5 :: v_dual_lshlrev_b32 v7, 23, v7
	v_lshrrev_b32_e32 v9, 4, v9
	s_delay_alu instid0(VALU_DEP_1) | instskip(SKIP_1) | instid1(VALU_DEP_2)
	v_sub_nc_u32_e32 v7, v9, v7
	v_ashrrev_i32_e32 v9, 8, v11
	v_add_nc_u32_e32 v7, 0x3c000000, v7
	s_delay_alu instid0(VALU_DEP_1) | instskip(NEXT) | instid1(VALU_DEP_1)
	v_and_or_b32 v7, 0x7f800000, v9, v7
	v_cndmask_b32_e32 v5, 0, v7, vcc_lo
	s_delay_alu instid0(VALU_DEP_1)
	v_and_or_b32 v3, 0x80000000, v3, v5
.LBB127_2343:
	s_mov_b32 s15, 0
.LBB127_2344:
	s_delay_alu instid0(SALU_CYCLE_1)
	s_and_not1_b32 vcc_lo, exec_lo, s15
	s_cbranch_vccnz .LBB127_2346
; %bb.2345:
	global_load_u8 v3, v[28:29], off
	s_wait_loadcnt 0x0
	v_lshlrev_b32_e32 v5, 25, v3
	v_lshlrev_b16 v3, 8, v3
	s_delay_alu instid0(VALU_DEP_1) | instskip(SKIP_1) | instid1(VALU_DEP_2)
	v_and_or_b32 v9, 0x7f00, v3, 0.5
	v_bfe_i32 v3, v3, 0, 16
	v_add_f32_e32 v9, -0.5, v9
	v_lshrrev_b32_e32 v7, 4, v5
	v_cmp_gt_u32_e32 vcc_lo, 0x8000000, v5
	s_delay_alu instid0(VALU_DEP_2) | instskip(NEXT) | instid1(VALU_DEP_1)
	v_or_b32_e32 v7, 0x70000000, v7
	v_mul_f32_e32 v7, 0x7800000, v7
	s_delay_alu instid0(VALU_DEP_1) | instskip(NEXT) | instid1(VALU_DEP_1)
	v_cndmask_b32_e32 v5, v7, v9, vcc_lo
	v_and_or_b32 v3, 0x80000000, v3, v5
.LBB127_2346:
	s_mov_b32 s15, 0
	s_mov_b32 s16, -1
.LBB127_2347:
	s_and_not1_b32 vcc_lo, exec_lo, s15
	s_mov_b32 s15, 0
	s_cbranch_vccnz .LBB127_2358
; %bb.2348:
	s_cmp_gt_i32 s8, 14
	s_cbranch_scc0 .LBB127_2351
; %bb.2349:
	s_cmp_eq_u32 s8, 15
	s_cbranch_scc0 .LBB127_2354
; %bb.2350:
	global_load_u16 v3, v[28:29], off
	s_mov_b32 s9, 0
	s_mov_b32 s16, -1
	s_wait_loadcnt 0x0
	v_lshlrev_b32_e32 v3, 16, v3
	s_branch .LBB127_2356
.LBB127_2351:
	s_mov_b32 s15, -1
	s_branch .LBB127_2355
.LBB127_2352:
	s_or_saveexec_b32 s16, s16
	v_mov_b32_e32 v3, 0x7f800001
	s_xor_b32 exec_lo, exec_lo, s16
	s_cbranch_execz .LBB127_2333
.LBB127_2353:
	v_cmp_ne_u16_e32 vcc_lo, 0, v5
	v_mov_b32_e32 v3, 0
	s_and_not1_b32 s15, s15, exec_lo
	s_and_b32 s17, vcc_lo, exec_lo
	s_delay_alu instid0(SALU_CYCLE_1)
	s_or_b32 s15, s15, s17
	s_or_b32 exec_lo, exec_lo, s16
	s_and_saveexec_b32 s16, s15
	s_cbranch_execnz .LBB127_2334
	s_branch .LBB127_2335
.LBB127_2354:
	s_mov_b32 s9, -1
.LBB127_2355:
                                        ; implicit-def: $vgpr3
.LBB127_2356:
	s_and_b32 vcc_lo, exec_lo, s15
	s_mov_b32 s15, 0
	s_cbranch_vccz .LBB127_2358
; %bb.2357:
	s_cmp_lg_u32 s8, 11
	s_mov_b32 s15, -1
	s_cselect_b32 s9, -1, 0
.LBB127_2358:
	s_delay_alu instid0(SALU_CYCLE_1)
	s_and_b32 vcc_lo, exec_lo, s9
	s_cbranch_vccnz .LBB127_2421
; %bb.2359:
	s_and_not1_b32 vcc_lo, exec_lo, s15
	s_cbranch_vccnz .LBB127_2361
.LBB127_2360:
	global_load_u8 v3, v[28:29], off
	s_mov_b32 s16, -1
	s_wait_loadcnt 0x0
	v_cmp_ne_u16_e32 vcc_lo, 0, v3
	v_cndmask_b32_e64 v3, 0, 1.0, vcc_lo
.LBB127_2361:
	s_branch .LBB127_2287
.LBB127_2362:
	s_and_b32 s8, 0xffff, s14
	s_delay_alu instid0(SALU_CYCLE_1)
	s_cmp_lt_i32 s8, 5
	s_cbranch_scc1 .LBB127_2367
; %bb.2363:
	s_cmp_lt_i32 s8, 8
	s_cbranch_scc1 .LBB127_2368
; %bb.2364:
	;; [unrolled: 3-line block ×3, first 2 shown]
	s_cmp_gt_i32 s8, 9
	s_cbranch_scc0 .LBB127_2370
; %bb.2366:
	global_load_b64 v[30:31], v[28:29], off
	s_mov_b32 s9, 0
	s_wait_loadcnt 0x0
	v_cvt_f32_f64_e32 v3, v[30:31]
	s_branch .LBB127_2371
.LBB127_2367:
                                        ; implicit-def: $vgpr3
	s_branch .LBB127_2389
.LBB127_2368:
	s_mov_b32 s9, -1
                                        ; implicit-def: $vgpr3
	s_branch .LBB127_2377
.LBB127_2369:
	s_mov_b32 s9, -1
                                        ; implicit-def: $vgpr3
	s_branch .LBB127_2374
.LBB127_2370:
	s_mov_b32 s9, -1
                                        ; implicit-def: $vgpr3
.LBB127_2371:
	s_delay_alu instid0(SALU_CYCLE_1)
	s_and_not1_b32 vcc_lo, exec_lo, s9
	s_cbranch_vccnz .LBB127_2373
; %bb.2372:
	global_load_b32 v3, v[28:29], off
.LBB127_2373:
	s_mov_b32 s9, 0
.LBB127_2374:
	s_delay_alu instid0(SALU_CYCLE_1)
	s_and_not1_b32 vcc_lo, exec_lo, s9
	s_cbranch_vccnz .LBB127_2376
; %bb.2375:
	s_wait_loadcnt 0x0
	global_load_b32 v3, v[28:29], off
	s_wait_loadcnt 0x0
	v_cvt_f32_f16_e32 v3, v3
.LBB127_2376:
	s_mov_b32 s9, 0
.LBB127_2377:
	s_delay_alu instid0(SALU_CYCLE_1)
	s_and_not1_b32 vcc_lo, exec_lo, s9
	s_cbranch_vccnz .LBB127_2388
; %bb.2378:
	s_cmp_lt_i32 s8, 6
	s_cbranch_scc1 .LBB127_2381
; %bb.2379:
	s_cmp_gt_i32 s8, 6
	s_cbranch_scc0 .LBB127_2382
; %bb.2380:
	global_load_b64 v[30:31], v[28:29], off
	s_mov_b32 s9, 0
	s_wait_loadcnt 0x0
	v_cvt_f32_f64_e32 v3, v[30:31]
	s_branch .LBB127_2383
.LBB127_2381:
	s_mov_b32 s9, -1
                                        ; implicit-def: $vgpr3
	s_branch .LBB127_2386
.LBB127_2382:
	s_mov_b32 s9, -1
                                        ; implicit-def: $vgpr3
.LBB127_2383:
	s_delay_alu instid0(SALU_CYCLE_1)
	s_and_not1_b32 vcc_lo, exec_lo, s9
	s_cbranch_vccnz .LBB127_2385
; %bb.2384:
	s_wait_loadcnt 0x0
	global_load_b32 v3, v[28:29], off
.LBB127_2385:
	s_mov_b32 s9, 0
.LBB127_2386:
	s_delay_alu instid0(SALU_CYCLE_1)
	s_and_not1_b32 vcc_lo, exec_lo, s9
	s_cbranch_vccnz .LBB127_2388
; %bb.2387:
	s_wait_loadcnt 0x0
	global_load_u16 v3, v[28:29], off
	s_wait_loadcnt 0x0
	v_cvt_f32_f16_e32 v3, v3
.LBB127_2388:
	s_cbranch_execnz .LBB127_2408
.LBB127_2389:
	s_cmp_lt_i32 s8, 2
	s_cbranch_scc1 .LBB127_2393
; %bb.2390:
	s_cmp_lt_i32 s8, 3
	s_cbranch_scc1 .LBB127_2394
; %bb.2391:
	s_cmp_gt_i32 s8, 3
	s_cbranch_scc0 .LBB127_2395
; %bb.2392:
	global_load_b64 v[30:31], v[28:29], off
	s_mov_b32 s9, 0
	s_wait_loadcnt 0x0
	v_xor_b32_e32 v3, v30, v31
	v_cls_i32_e32 v5, v31
	s_delay_alu instid0(VALU_DEP_2) | instskip(NEXT) | instid1(VALU_DEP_1)
	v_ashrrev_i32_e32 v3, 31, v3
	v_add_nc_u32_e32 v3, 32, v3
	s_delay_alu instid0(VALU_DEP_1) | instskip(NEXT) | instid1(VALU_DEP_1)
	v_add_min_u32_e64 v3, v5, -1, v3
	v_lshlrev_b64_e32 v[30:31], v3, v[30:31]
	v_sub_nc_u32_e32 v3, 32, v3
	s_delay_alu instid0(VALU_DEP_2) | instskip(NEXT) | instid1(VALU_DEP_1)
	v_min_u32_e32 v5, 1, v30
	v_or_b32_e32 v5, v31, v5
	s_delay_alu instid0(VALU_DEP_1) | instskip(NEXT) | instid1(VALU_DEP_1)
	v_cvt_f32_i32_e32 v5, v5
	v_ldexp_f32 v3, v5, v3
	s_branch .LBB127_2396
.LBB127_2393:
	s_mov_b32 s9, -1
                                        ; implicit-def: $vgpr3
	s_branch .LBB127_2402
.LBB127_2394:
	s_mov_b32 s9, -1
                                        ; implicit-def: $vgpr3
	s_branch .LBB127_2399
.LBB127_2395:
	s_mov_b32 s9, -1
                                        ; implicit-def: $vgpr3
.LBB127_2396:
	s_delay_alu instid0(SALU_CYCLE_1)
	s_and_not1_b32 vcc_lo, exec_lo, s9
	s_cbranch_vccnz .LBB127_2398
; %bb.2397:
	s_wait_loadcnt 0x0
	global_load_b32 v3, v[28:29], off
	s_wait_loadcnt 0x0
	v_cvt_f32_i32_e32 v3, v3
.LBB127_2398:
	s_mov_b32 s9, 0
.LBB127_2399:
	s_delay_alu instid0(SALU_CYCLE_1)
	s_and_not1_b32 vcc_lo, exec_lo, s9
	s_cbranch_vccnz .LBB127_2401
; %bb.2400:
	s_wait_loadcnt 0x0
	global_load_i16 v3, v[28:29], off
	s_wait_loadcnt 0x0
	v_cvt_f32_i32_e32 v3, v3
.LBB127_2401:
	s_mov_b32 s9, 0
.LBB127_2402:
	s_delay_alu instid0(SALU_CYCLE_1)
	s_and_not1_b32 vcc_lo, exec_lo, s9
	s_cbranch_vccnz .LBB127_2408
; %bb.2403:
	s_cmp_gt_i32 s8, 0
	s_mov_b32 s8, 0
	s_cbranch_scc0 .LBB127_2405
; %bb.2404:
	s_wait_loadcnt 0x0
	global_load_i8 v3, v[28:29], off
	s_wait_loadcnt 0x0
	v_cvt_f32_i32_e32 v3, v3
	s_branch .LBB127_2406
.LBB127_2405:
	s_mov_b32 s8, -1
                                        ; implicit-def: $vgpr3
.LBB127_2406:
	s_delay_alu instid0(SALU_CYCLE_1)
	s_and_not1_b32 vcc_lo, exec_lo, s8
	s_cbranch_vccnz .LBB127_2408
; %bb.2407:
	s_wait_loadcnt 0x0
	global_load_u8 v3, v[28:29], off
	s_wait_loadcnt 0x0
	v_cvt_f32_ubyte0_e32 v3, v3
.LBB127_2408:
.LBB127_2409:
	v_mov_b32_e32 v27, 0
	s_load_b64 s[8:9], s[2:3], 0x1e0
	global_load_u8 v5, v27, s[2:3] offset:499
	s_wait_kmcnt 0x0
	v_add_nc_u64_e32 v[26:27], s[8:9], v[26:27]
	s_wait_loadcnt 0x0
	v_and_b32_e32 v7, 0xffff, v5
	v_readfirstlane_b32 s15, v5
	s_delay_alu instid0(VALU_DEP_2)
	v_cmp_gt_i32_e32 vcc_lo, 11, v7
	s_cbranch_vccnz .LBB127_2416
; %bb.2410:
	s_and_b32 s16, 0xffff, s15
	s_mov_b32 s18, 0
	s_cmp_gt_i32 s16, 25
	s_cbranch_scc0 .LBB127_2418
; %bb.2411:
	s_cmp_gt_i32 s16, 28
	s_cbranch_scc0 .LBB127_2419
; %bb.2412:
	;; [unrolled: 3-line block ×4, first 2 shown]
	s_cmp_eq_u32 s16, 46
	s_mov_b32 s20, 0
	s_cbranch_scc0 .LBB127_2423
; %bb.2415:
	global_load_b32 v5, v[26:27], off
	s_mov_b32 s17, 0
	s_mov_b32 s19, -1
	s_wait_loadcnt 0x0
	v_lshlrev_b32_e32 v5, 16, v5
	s_branch .LBB127_2425
.LBB127_2416:
	s_mov_b32 s19, 0
                                        ; implicit-def: $vgpr5
	s_cbranch_execnz .LBB127_2491
.LBB127_2417:
	s_and_not1_b32 vcc_lo, exec_lo, s19
	s_cbranch_vccnz .LBB127_4155
	s_branch .LBB127_2539
.LBB127_2418:
	s_mov_b32 s20, -1
	s_mov_b32 s19, 0
	s_mov_b32 s17, 0
                                        ; implicit-def: $vgpr5
	s_branch .LBB127_2454
.LBB127_2419:
	s_mov_b32 s20, -1
	s_mov_b32 s19, 0
	s_mov_b32 s17, 0
                                        ; implicit-def: $vgpr5
	s_branch .LBB127_2435
.LBB127_2420:
	s_mov_b32 s20, -1
	s_mov_b32 s19, 0
	s_mov_b32 s17, 0
                                        ; implicit-def: $vgpr5
	s_branch .LBB127_2430
.LBB127_2421:
	s_or_b32 s13, s13, exec_lo
	s_trap 2
	s_cbranch_execz .LBB127_2360
	s_branch .LBB127_2361
.LBB127_2422:
	s_mov_b32 s20, -1
	s_mov_b32 s19, 0
	s_mov_b32 s17, 0
	s_branch .LBB127_2424
.LBB127_2423:
	s_mov_b32 s17, -1
	s_mov_b32 s19, 0
.LBB127_2424:
                                        ; implicit-def: $vgpr5
.LBB127_2425:
	s_and_b32 vcc_lo, exec_lo, s20
	s_cbranch_vccz .LBB127_2429
; %bb.2426:
	s_cmp_eq_u32 s16, 44
	s_cbranch_scc0 .LBB127_2428
; %bb.2427:
	global_load_u8 v5, v[26:27], off
	s_mov_b32 s17, 0
	s_mov_b32 s19, -1
	s_wait_loadcnt 0x0
	v_lshlrev_b32_e32 v7, 23, v5
	v_cmp_ne_u32_e32 vcc_lo, 0xff, v5
	s_delay_alu instid0(VALU_DEP_2) | instskip(SKIP_1) | instid1(VALU_DEP_2)
	v_cndmask_b32_e32 v7, 0x7f800001, v7, vcc_lo
	v_cmp_ne_u32_e32 vcc_lo, 0, v5
	v_cndmask_b32_e32 v5, 0x400000, v7, vcc_lo
	s_branch .LBB127_2429
.LBB127_2428:
	s_mov_b32 s17, -1
                                        ; implicit-def: $vgpr5
.LBB127_2429:
	s_mov_b32 s20, 0
.LBB127_2430:
	s_delay_alu instid0(SALU_CYCLE_1)
	s_and_b32 vcc_lo, exec_lo, s20
	s_cbranch_vccz .LBB127_2434
; %bb.2431:
	s_cmp_eq_u32 s16, 29
	s_cbranch_scc0 .LBB127_2433
; %bb.2432:
	global_load_b64 v[28:29], v[26:27], off
	s_mov_b32 s17, 0
	s_mov_b32 s19, -1
	s_mov_b32 s20, 0
	s_wait_loadcnt 0x0
	v_clz_i32_u32_e32 v5, v29
	s_delay_alu instid0(VALU_DEP_1) | instskip(NEXT) | instid1(VALU_DEP_1)
	v_min_u32_e32 v5, 32, v5
	v_lshlrev_b64_e32 v[28:29], v5, v[28:29]
	v_sub_nc_u32_e32 v5, 32, v5
	s_delay_alu instid0(VALU_DEP_2) | instskip(NEXT) | instid1(VALU_DEP_1)
	v_min_u32_e32 v7, 1, v28
	v_or_b32_e32 v7, v29, v7
	s_delay_alu instid0(VALU_DEP_1) | instskip(NEXT) | instid1(VALU_DEP_1)
	v_cvt_f32_u32_e32 v7, v7
	v_ldexp_f32 v5, v7, v5
	s_branch .LBB127_2435
.LBB127_2433:
	s_mov_b32 s17, -1
                                        ; implicit-def: $vgpr5
.LBB127_2434:
	s_mov_b32 s20, 0
.LBB127_2435:
	s_delay_alu instid0(SALU_CYCLE_1)
	s_and_b32 vcc_lo, exec_lo, s20
	s_cbranch_vccz .LBB127_2453
; %bb.2436:
	s_cmp_lt_i32 s16, 27
	s_cbranch_scc1 .LBB127_2439
; %bb.2437:
	s_cmp_gt_i32 s16, 27
	s_cbranch_scc0 .LBB127_2440
; %bb.2438:
	global_load_b32 v5, v[26:27], off
	s_mov_b32 s19, 0
	s_wait_loadcnt 0x0
	v_cvt_f32_u32_e32 v5, v5
	s_branch .LBB127_2441
.LBB127_2439:
	s_mov_b32 s19, -1
                                        ; implicit-def: $vgpr5
	s_branch .LBB127_2444
.LBB127_2440:
	s_mov_b32 s19, -1
                                        ; implicit-def: $vgpr5
.LBB127_2441:
	s_delay_alu instid0(SALU_CYCLE_1)
	s_and_not1_b32 vcc_lo, exec_lo, s19
	s_cbranch_vccnz .LBB127_2443
; %bb.2442:
	global_load_u16 v5, v[26:27], off
	s_wait_loadcnt 0x0
	v_cvt_f32_u32_e32 v5, v5
.LBB127_2443:
	s_mov_b32 s19, 0
.LBB127_2444:
	s_delay_alu instid0(SALU_CYCLE_1)
	s_and_not1_b32 vcc_lo, exec_lo, s19
	s_cbranch_vccnz .LBB127_2452
; %bb.2445:
	global_load_u8 v7, v[26:27], off
	s_mov_b32 s19, 0
	s_mov_b32 s20, exec_lo
	s_wait_loadcnt 0x0
	v_cmpx_lt_i16_e32 0x7f, v7
	s_xor_b32 s20, exec_lo, s20
	s_cbranch_execz .LBB127_2466
; %bb.2446:
	s_mov_b32 s19, -1
	s_mov_b32 s21, exec_lo
	v_cmpx_eq_u16_e32 0x80, v7
; %bb.2447:
	s_xor_b32 s19, exec_lo, -1
; %bb.2448:
	s_or_b32 exec_lo, exec_lo, s21
	s_delay_alu instid0(SALU_CYCLE_1)
	s_and_b32 s19, s19, exec_lo
	s_or_saveexec_b32 s20, s20
	v_mov_b32_e32 v5, 0x7f800001
	s_xor_b32 exec_lo, exec_lo, s20
	s_cbranch_execnz .LBB127_2467
.LBB127_2449:
	s_or_b32 exec_lo, exec_lo, s20
	s_and_saveexec_b32 s20, s19
	s_cbranch_execz .LBB127_2451
.LBB127_2450:
	v_and_b32_e32 v5, 0xffff, v7
	s_delay_alu instid0(VALU_DEP_1) | instskip(SKIP_1) | instid1(VALU_DEP_2)
	v_and_b32_e32 v9, 7, v5
	v_bfe_u32 v15, v5, 3, 4
	v_clz_i32_u32_e32 v11, v9
	s_delay_alu instid0(VALU_DEP_2) | instskip(NEXT) | instid1(VALU_DEP_2)
	v_cmp_eq_u32_e32 vcc_lo, 0, v15
	v_min_u32_e32 v11, 32, v11
	s_delay_alu instid0(VALU_DEP_1) | instskip(NEXT) | instid1(VALU_DEP_1)
	v_subrev_nc_u32_e32 v13, 28, v11
	v_dual_lshlrev_b32 v5, v13, v5 :: v_dual_sub_nc_u32 v11, 29, v11
	s_delay_alu instid0(VALU_DEP_1) | instskip(NEXT) | instid1(VALU_DEP_1)
	v_dual_lshlrev_b32 v7, 24, v7 :: v_dual_bitop2_b32 v5, 7, v5 bitop3:0x40
	v_dual_cndmask_b32 v5, v9, v5, vcc_lo :: v_dual_cndmask_b32 v11, v15, v11, vcc_lo
	s_delay_alu instid0(VALU_DEP_2) | instskip(NEXT) | instid1(VALU_DEP_2)
	v_and_b32_e32 v7, 0x80000000, v7
	v_lshlrev_b32_e32 v5, 20, v5
	s_delay_alu instid0(VALU_DEP_3) | instskip(NEXT) | instid1(VALU_DEP_1)
	v_lshl_add_u32 v9, v11, 23, 0x3b800000
	v_or3_b32 v5, v7, v9, v5
.LBB127_2451:
	s_or_b32 exec_lo, exec_lo, s20
.LBB127_2452:
	s_mov_b32 s19, -1
.LBB127_2453:
	s_mov_b32 s20, 0
.LBB127_2454:
	s_delay_alu instid0(SALU_CYCLE_1)
	s_and_b32 vcc_lo, exec_lo, s20
	s_cbranch_vccz .LBB127_2487
; %bb.2455:
	s_cmp_gt_i32 s16, 22
	s_cbranch_scc0 .LBB127_2465
; %bb.2456:
	s_cmp_lt_i32 s16, 24
	s_cbranch_scc1 .LBB127_2468
; %bb.2457:
	s_cmp_gt_i32 s16, 24
	s_cbranch_scc0 .LBB127_2469
; %bb.2458:
	global_load_u8 v7, v[26:27], off
	s_mov_b32 s19, exec_lo
	s_wait_loadcnt 0x0
	v_cmpx_lt_i16_e32 0x7f, v7
	s_xor_b32 s19, exec_lo, s19
	s_cbranch_execz .LBB127_2481
; %bb.2459:
	s_mov_b32 s18, -1
	s_mov_b32 s20, exec_lo
	v_cmpx_eq_u16_e32 0x80, v7
; %bb.2460:
	s_xor_b32 s18, exec_lo, -1
; %bb.2461:
	s_or_b32 exec_lo, exec_lo, s20
	s_delay_alu instid0(SALU_CYCLE_1)
	s_and_b32 s18, s18, exec_lo
	s_or_saveexec_b32 s19, s19
	v_mov_b32_e32 v5, 0x7f800001
	s_xor_b32 exec_lo, exec_lo, s19
	s_cbranch_execnz .LBB127_2482
.LBB127_2462:
	s_or_b32 exec_lo, exec_lo, s19
	s_and_saveexec_b32 s19, s18
	s_cbranch_execz .LBB127_2464
.LBB127_2463:
	v_and_b32_e32 v5, 0xffff, v7
	s_delay_alu instid0(VALU_DEP_1) | instskip(SKIP_1) | instid1(VALU_DEP_2)
	v_and_b32_e32 v9, 3, v5
	v_bfe_u32 v15, v5, 2, 5
	v_clz_i32_u32_e32 v11, v9
	s_delay_alu instid0(VALU_DEP_2) | instskip(NEXT) | instid1(VALU_DEP_2)
	v_cmp_eq_u32_e32 vcc_lo, 0, v15
	v_min_u32_e32 v11, 32, v11
	s_delay_alu instid0(VALU_DEP_1) | instskip(NEXT) | instid1(VALU_DEP_1)
	v_subrev_nc_u32_e32 v13, 29, v11
	v_dual_lshlrev_b32 v5, v13, v5 :: v_dual_sub_nc_u32 v11, 30, v11
	s_delay_alu instid0(VALU_DEP_1) | instskip(NEXT) | instid1(VALU_DEP_1)
	v_dual_lshlrev_b32 v7, 24, v7 :: v_dual_bitop2_b32 v5, 3, v5 bitop3:0x40
	v_dual_cndmask_b32 v5, v9, v5, vcc_lo :: v_dual_cndmask_b32 v11, v15, v11, vcc_lo
	s_delay_alu instid0(VALU_DEP_2) | instskip(NEXT) | instid1(VALU_DEP_2)
	v_and_b32_e32 v7, 0x80000000, v7
	v_lshlrev_b32_e32 v5, 21, v5
	s_delay_alu instid0(VALU_DEP_3) | instskip(NEXT) | instid1(VALU_DEP_1)
	v_lshl_add_u32 v9, v11, 23, 0x37800000
	v_or3_b32 v5, v7, v9, v5
.LBB127_2464:
	s_or_b32 exec_lo, exec_lo, s19
	s_mov_b32 s18, 0
	s_branch .LBB127_2470
.LBB127_2465:
	s_mov_b32 s18, -1
                                        ; implicit-def: $vgpr5
	s_branch .LBB127_2476
.LBB127_2466:
	s_or_saveexec_b32 s20, s20
	v_mov_b32_e32 v5, 0x7f800001
	s_xor_b32 exec_lo, exec_lo, s20
	s_cbranch_execz .LBB127_2449
.LBB127_2467:
	v_cmp_ne_u16_e32 vcc_lo, 0, v7
	v_mov_b32_e32 v5, 0
	s_and_not1_b32 s19, s19, exec_lo
	s_and_b32 s21, vcc_lo, exec_lo
	s_delay_alu instid0(SALU_CYCLE_1)
	s_or_b32 s19, s19, s21
	s_or_b32 exec_lo, exec_lo, s20
	s_and_saveexec_b32 s20, s19
	s_cbranch_execnz .LBB127_2450
	s_branch .LBB127_2451
.LBB127_2468:
	s_mov_b32 s18, -1
                                        ; implicit-def: $vgpr5
	s_branch .LBB127_2473
.LBB127_2469:
	s_mov_b32 s18, -1
                                        ; implicit-def: $vgpr5
.LBB127_2470:
	s_delay_alu instid0(SALU_CYCLE_1)
	s_and_b32 vcc_lo, exec_lo, s18
	s_cbranch_vccz .LBB127_2472
; %bb.2471:
	global_load_u8 v5, v[26:27], off
	s_wait_loadcnt 0x0
	v_lshlrev_b32_e32 v5, 24, v5
	s_delay_alu instid0(VALU_DEP_1) | instskip(NEXT) | instid1(VALU_DEP_1)
	v_and_b32_e32 v7, 0x7f000000, v5
	v_clz_i32_u32_e32 v9, v7
	v_add_nc_u32_e32 v13, 0x1000000, v7
	v_cmp_ne_u32_e32 vcc_lo, 0, v7
	s_delay_alu instid0(VALU_DEP_3) | instskip(NEXT) | instid1(VALU_DEP_1)
	v_min_u32_e32 v9, 32, v9
	v_sub_nc_u32_e64 v9, v9, 4 clamp
	s_delay_alu instid0(VALU_DEP_1) | instskip(NEXT) | instid1(VALU_DEP_1)
	v_dual_lshlrev_b32 v11, v9, v7 :: v_dual_lshlrev_b32 v9, 23, v9
	v_lshrrev_b32_e32 v11, 4, v11
	s_delay_alu instid0(VALU_DEP_1) | instskip(SKIP_1) | instid1(VALU_DEP_2)
	v_sub_nc_u32_e32 v9, v11, v9
	v_ashrrev_i32_e32 v11, 8, v13
	v_add_nc_u32_e32 v9, 0x3c000000, v9
	s_delay_alu instid0(VALU_DEP_1) | instskip(NEXT) | instid1(VALU_DEP_1)
	v_and_or_b32 v9, 0x7f800000, v11, v9
	v_cndmask_b32_e32 v7, 0, v9, vcc_lo
	s_delay_alu instid0(VALU_DEP_1)
	v_and_or_b32 v5, 0x80000000, v5, v7
.LBB127_2472:
	s_mov_b32 s18, 0
.LBB127_2473:
	s_delay_alu instid0(SALU_CYCLE_1)
	s_and_not1_b32 vcc_lo, exec_lo, s18
	s_cbranch_vccnz .LBB127_2475
; %bb.2474:
	global_load_u8 v5, v[26:27], off
	s_wait_loadcnt 0x0
	v_lshlrev_b32_e32 v7, 25, v5
	v_lshlrev_b16 v5, 8, v5
	s_delay_alu instid0(VALU_DEP_1) | instskip(SKIP_1) | instid1(VALU_DEP_2)
	v_and_or_b32 v11, 0x7f00, v5, 0.5
	v_bfe_i32 v5, v5, 0, 16
	v_add_f32_e32 v11, -0.5, v11
	v_lshrrev_b32_e32 v9, 4, v7
	v_cmp_gt_u32_e32 vcc_lo, 0x8000000, v7
	s_delay_alu instid0(VALU_DEP_2) | instskip(NEXT) | instid1(VALU_DEP_1)
	v_or_b32_e32 v9, 0x70000000, v9
	v_mul_f32_e32 v9, 0x7800000, v9
	s_delay_alu instid0(VALU_DEP_1) | instskip(NEXT) | instid1(VALU_DEP_1)
	v_cndmask_b32_e32 v7, v9, v11, vcc_lo
	v_and_or_b32 v5, 0x80000000, v5, v7
.LBB127_2475:
	s_mov_b32 s18, 0
	s_mov_b32 s19, -1
.LBB127_2476:
	s_and_not1_b32 vcc_lo, exec_lo, s18
	s_mov_b32 s18, 0
	s_cbranch_vccnz .LBB127_2487
; %bb.2477:
	s_cmp_gt_i32 s16, 14
	s_cbranch_scc0 .LBB127_2480
; %bb.2478:
	s_cmp_eq_u32 s16, 15
	s_cbranch_scc0 .LBB127_2483
; %bb.2479:
	global_load_u16 v5, v[26:27], off
	s_mov_b32 s17, 0
	s_mov_b32 s19, -1
	s_wait_loadcnt 0x0
	v_lshlrev_b32_e32 v5, 16, v5
	s_branch .LBB127_2485
.LBB127_2480:
	s_mov_b32 s18, -1
	s_branch .LBB127_2484
.LBB127_2481:
	s_or_saveexec_b32 s19, s19
	v_mov_b32_e32 v5, 0x7f800001
	s_xor_b32 exec_lo, exec_lo, s19
	s_cbranch_execz .LBB127_2462
.LBB127_2482:
	v_cmp_ne_u16_e32 vcc_lo, 0, v7
	v_mov_b32_e32 v5, 0
	s_and_not1_b32 s18, s18, exec_lo
	s_and_b32 s20, vcc_lo, exec_lo
	s_delay_alu instid0(SALU_CYCLE_1)
	s_or_b32 s18, s18, s20
	s_or_b32 exec_lo, exec_lo, s19
	s_and_saveexec_b32 s19, s18
	s_cbranch_execnz .LBB127_2463
	s_branch .LBB127_2464
.LBB127_2483:
	s_mov_b32 s17, -1
.LBB127_2484:
                                        ; implicit-def: $vgpr5
.LBB127_2485:
	s_and_b32 vcc_lo, exec_lo, s18
	s_mov_b32 s18, 0
	s_cbranch_vccz .LBB127_2487
; %bb.2486:
	s_cmp_lg_u32 s16, 11
	s_mov_b32 s18, -1
	s_cselect_b32 s17, -1, 0
.LBB127_2487:
	s_delay_alu instid0(SALU_CYCLE_1)
	s_and_b32 vcc_lo, exec_lo, s17
	s_cbranch_vccnz .LBB127_2550
; %bb.2488:
	s_and_not1_b32 vcc_lo, exec_lo, s18
	s_cbranch_vccnz .LBB127_2490
.LBB127_2489:
	global_load_u8 v5, v[26:27], off
	s_mov_b32 s19, -1
	s_wait_loadcnt 0x0
	v_cmp_ne_u16_e32 vcc_lo, 0, v5
	v_cndmask_b32_e64 v5, 0, 1.0, vcc_lo
.LBB127_2490:
	s_branch .LBB127_2417
.LBB127_2491:
	s_and_b32 s16, 0xffff, s15
	s_delay_alu instid0(SALU_CYCLE_1)
	s_cmp_lt_i32 s16, 5
	s_cbranch_scc1 .LBB127_2496
; %bb.2492:
	s_cmp_lt_i32 s16, 8
	s_cbranch_scc1 .LBB127_2497
; %bb.2493:
	;; [unrolled: 3-line block ×3, first 2 shown]
	s_cmp_gt_i32 s16, 9
	s_cbranch_scc0 .LBB127_2499
; %bb.2495:
	global_load_b64 v[28:29], v[26:27], off
	s_mov_b32 s17, 0
	s_wait_loadcnt 0x0
	v_cvt_f32_f64_e32 v5, v[28:29]
	s_branch .LBB127_2500
.LBB127_2496:
	s_mov_b32 s17, -1
                                        ; implicit-def: $vgpr5
	s_branch .LBB127_2518
.LBB127_2497:
	s_mov_b32 s17, -1
                                        ; implicit-def: $vgpr5
	s_branch .LBB127_2506
.LBB127_2498:
	s_mov_b32 s17, -1
                                        ; implicit-def: $vgpr5
	s_branch .LBB127_2503
.LBB127_2499:
	s_mov_b32 s17, -1
                                        ; implicit-def: $vgpr5
.LBB127_2500:
	s_delay_alu instid0(SALU_CYCLE_1)
	s_and_not1_b32 vcc_lo, exec_lo, s17
	s_cbranch_vccnz .LBB127_2502
; %bb.2501:
	global_load_b32 v5, v[26:27], off
.LBB127_2502:
	s_mov_b32 s17, 0
.LBB127_2503:
	s_delay_alu instid0(SALU_CYCLE_1)
	s_and_not1_b32 vcc_lo, exec_lo, s17
	s_cbranch_vccnz .LBB127_2505
; %bb.2504:
	s_wait_loadcnt 0x0
	global_load_b32 v5, v[26:27], off
	s_wait_loadcnt 0x0
	v_cvt_f32_f16_e32 v5, v5
.LBB127_2505:
	s_mov_b32 s17, 0
.LBB127_2506:
	s_delay_alu instid0(SALU_CYCLE_1)
	s_and_not1_b32 vcc_lo, exec_lo, s17
	s_cbranch_vccnz .LBB127_2517
; %bb.2507:
	s_cmp_lt_i32 s16, 6
	s_cbranch_scc1 .LBB127_2510
; %bb.2508:
	s_cmp_gt_i32 s16, 6
	s_cbranch_scc0 .LBB127_2511
; %bb.2509:
	global_load_b64 v[28:29], v[26:27], off
	s_mov_b32 s17, 0
	s_wait_loadcnt 0x0
	v_cvt_f32_f64_e32 v5, v[28:29]
	s_branch .LBB127_2512
.LBB127_2510:
	s_mov_b32 s17, -1
                                        ; implicit-def: $vgpr5
	s_branch .LBB127_2515
.LBB127_2511:
	s_mov_b32 s17, -1
                                        ; implicit-def: $vgpr5
.LBB127_2512:
	s_delay_alu instid0(SALU_CYCLE_1)
	s_and_not1_b32 vcc_lo, exec_lo, s17
	s_cbranch_vccnz .LBB127_2514
; %bb.2513:
	s_wait_loadcnt 0x0
	global_load_b32 v5, v[26:27], off
.LBB127_2514:
	s_mov_b32 s17, 0
.LBB127_2515:
	s_delay_alu instid0(SALU_CYCLE_1)
	s_and_not1_b32 vcc_lo, exec_lo, s17
	s_cbranch_vccnz .LBB127_2517
; %bb.2516:
	s_wait_loadcnt 0x0
	global_load_u16 v5, v[26:27], off
	s_wait_loadcnt 0x0
	v_cvt_f32_f16_e32 v5, v5
.LBB127_2517:
	s_mov_b32 s17, 0
.LBB127_2518:
	s_delay_alu instid0(SALU_CYCLE_1)
	s_and_not1_b32 vcc_lo, exec_lo, s17
	s_cbranch_vccnz .LBB127_2538
; %bb.2519:
	s_cmp_lt_i32 s16, 2
	s_cbranch_scc1 .LBB127_2523
; %bb.2520:
	s_cmp_lt_i32 s16, 3
	s_cbranch_scc1 .LBB127_2524
; %bb.2521:
	s_cmp_gt_i32 s16, 3
	s_cbranch_scc0 .LBB127_2525
; %bb.2522:
	global_load_b64 v[28:29], v[26:27], off
	s_mov_b32 s17, 0
	s_wait_loadcnt 0x0
	v_xor_b32_e32 v5, v28, v29
	v_cls_i32_e32 v7, v29
	s_delay_alu instid0(VALU_DEP_2) | instskip(NEXT) | instid1(VALU_DEP_1)
	v_ashrrev_i32_e32 v5, 31, v5
	v_add_nc_u32_e32 v5, 32, v5
	s_delay_alu instid0(VALU_DEP_1) | instskip(NEXT) | instid1(VALU_DEP_1)
	v_add_min_u32_e64 v5, v7, -1, v5
	v_lshlrev_b64_e32 v[28:29], v5, v[28:29]
	v_sub_nc_u32_e32 v5, 32, v5
	s_delay_alu instid0(VALU_DEP_2) | instskip(NEXT) | instid1(VALU_DEP_1)
	v_min_u32_e32 v7, 1, v28
	v_or_b32_e32 v7, v29, v7
	s_delay_alu instid0(VALU_DEP_1) | instskip(NEXT) | instid1(VALU_DEP_1)
	v_cvt_f32_i32_e32 v7, v7
	v_ldexp_f32 v5, v7, v5
	s_branch .LBB127_2526
.LBB127_2523:
	s_mov_b32 s17, -1
                                        ; implicit-def: $vgpr5
	s_branch .LBB127_2532
.LBB127_2524:
	s_mov_b32 s17, -1
                                        ; implicit-def: $vgpr5
	s_branch .LBB127_2529
.LBB127_2525:
	s_mov_b32 s17, -1
                                        ; implicit-def: $vgpr5
.LBB127_2526:
	s_delay_alu instid0(SALU_CYCLE_1)
	s_and_not1_b32 vcc_lo, exec_lo, s17
	s_cbranch_vccnz .LBB127_2528
; %bb.2527:
	s_wait_loadcnt 0x0
	global_load_b32 v5, v[26:27], off
	s_wait_loadcnt 0x0
	v_cvt_f32_i32_e32 v5, v5
.LBB127_2528:
	s_mov_b32 s17, 0
.LBB127_2529:
	s_delay_alu instid0(SALU_CYCLE_1)
	s_and_not1_b32 vcc_lo, exec_lo, s17
	s_cbranch_vccnz .LBB127_2531
; %bb.2530:
	s_wait_loadcnt 0x0
	global_load_i16 v5, v[26:27], off
	s_wait_loadcnt 0x0
	v_cvt_f32_i32_e32 v5, v5
.LBB127_2531:
	s_mov_b32 s17, 0
.LBB127_2532:
	s_delay_alu instid0(SALU_CYCLE_1)
	s_and_not1_b32 vcc_lo, exec_lo, s17
	s_cbranch_vccnz .LBB127_2538
; %bb.2533:
	s_cmp_gt_i32 s16, 0
	s_mov_b32 s16, 0
	s_cbranch_scc0 .LBB127_2535
; %bb.2534:
	s_wait_loadcnt 0x0
	global_load_i8 v5, v[26:27], off
	s_wait_loadcnt 0x0
	v_cvt_f32_i32_e32 v5, v5
	s_branch .LBB127_2536
.LBB127_2535:
	s_mov_b32 s16, -1
                                        ; implicit-def: $vgpr5
.LBB127_2536:
	s_delay_alu instid0(SALU_CYCLE_1)
	s_and_not1_b32 vcc_lo, exec_lo, s16
	s_cbranch_vccnz .LBB127_2538
; %bb.2537:
	s_wait_loadcnt 0x0
	global_load_u8 v5, v[26:27], off
	s_wait_loadcnt 0x0
	v_cvt_f32_ubyte0_e32 v5, v5
.LBB127_2538:
.LBB127_2539:
	v_mov_b32_e32 v25, 0
	s_and_b32 s10, 0xffff, s10
	s_delay_alu instid0(SALU_CYCLE_1) | instskip(NEXT) | instid1(VALU_DEP_1)
	s_cmp_lt_i32 s10, 11
	v_add_nc_u64_e32 v[24:25], s[6:7], v[24:25]
	s_cbranch_scc1 .LBB127_2546
; %bb.2540:
	s_cmp_gt_i32 s10, 25
	s_mov_b32 s17, 0
	s_cbranch_scc0 .LBB127_2547
; %bb.2541:
	s_cmp_gt_i32 s10, 28
	s_cbranch_scc0 .LBB127_2548
; %bb.2542:
	s_cmp_gt_i32 s10, 43
	s_cbranch_scc0 .LBB127_2549
; %bb.2543:
	s_cmp_gt_i32 s10, 45
	s_cbranch_scc0 .LBB127_2551
; %bb.2544:
	s_cmp_eq_u32 s10, 46
	s_mov_b32 s19, 0
	s_cbranch_scc0 .LBB127_2552
; %bb.2545:
	global_load_b32 v7, v[24:25], off
	s_mov_b32 s16, 0
	s_mov_b32 s18, -1
	s_wait_loadcnt 0x0
	s_wait_xcnt 0x1
	v_lshlrev_b32_e32 v26, 16, v7
	s_branch .LBB127_2554
.LBB127_2546:
	s_mov_b32 s16, -1
	s_mov_b32 s18, 0
                                        ; implicit-def: $vgpr26
	s_branch .LBB127_2620
.LBB127_2547:
	s_mov_b32 s19, -1
	s_mov_b32 s18, 0
	s_mov_b32 s16, 0
                                        ; implicit-def: $vgpr26
	s_branch .LBB127_2583
.LBB127_2548:
	s_mov_b32 s19, -1
	s_mov_b32 s18, 0
	s_mov_b32 s16, 0
                                        ; implicit-def: $vgpr26
	s_branch .LBB127_2564
.LBB127_2549:
	s_mov_b32 s19, -1
	s_mov_b32 s18, 0
	s_mov_b32 s16, 0
                                        ; implicit-def: $vgpr26
	s_branch .LBB127_2559
.LBB127_2550:
	s_or_b32 s13, s13, exec_lo
	s_trap 2
	s_cbranch_execz .LBB127_2489
	s_branch .LBB127_2490
.LBB127_2551:
	s_mov_b32 s19, -1
	s_mov_b32 s18, 0
	s_mov_b32 s16, 0
	s_branch .LBB127_2553
.LBB127_2552:
	s_mov_b32 s16, -1
	s_mov_b32 s18, 0
.LBB127_2553:
                                        ; implicit-def: $vgpr26
.LBB127_2554:
	s_and_b32 vcc_lo, exec_lo, s19
	s_cbranch_vccz .LBB127_2558
; %bb.2555:
	s_cmp_eq_u32 s10, 44
	s_cbranch_scc0 .LBB127_2557
; %bb.2556:
	global_load_u8 v7, v[24:25], off
	s_mov_b32 s16, 0
	s_mov_b32 s18, -1
	s_wait_loadcnt 0x0
	v_lshlrev_b32_e32 v9, 23, v7
	v_cmp_ne_u32_e32 vcc_lo, 0xff, v7
	s_delay_alu instid0(VALU_DEP_2) | instskip(SKIP_2) | instid1(VALU_DEP_2)
	v_cndmask_b32_e32 v9, 0x7f800001, v9, vcc_lo
	v_cmp_ne_u32_e32 vcc_lo, 0, v7
	s_wait_xcnt 0x1
	v_cndmask_b32_e32 v26, 0x400000, v9, vcc_lo
	s_branch .LBB127_2558
.LBB127_2557:
	s_mov_b32 s16, -1
                                        ; implicit-def: $vgpr26
.LBB127_2558:
	s_mov_b32 s19, 0
.LBB127_2559:
	s_delay_alu instid0(SALU_CYCLE_1)
	s_and_b32 vcc_lo, exec_lo, s19
	s_cbranch_vccz .LBB127_2563
; %bb.2560:
	s_cmp_eq_u32 s10, 29
	s_cbranch_scc0 .LBB127_2562
; %bb.2561:
	global_load_b64 v[26:27], v[24:25], off
	s_mov_b32 s16, 0
	s_mov_b32 s18, -1
	s_mov_b32 s19, 0
	s_wait_loadcnt 0x0
	v_clz_i32_u32_e32 v7, v27
	s_delay_alu instid0(VALU_DEP_1) | instskip(NEXT) | instid1(VALU_DEP_1)
	v_min_u32_e32 v7, 32, v7
	v_lshlrev_b64_e32 v[26:27], v7, v[26:27]
	v_sub_nc_u32_e32 v7, 32, v7
	s_delay_alu instid0(VALU_DEP_2) | instskip(NEXT) | instid1(VALU_DEP_1)
	v_min_u32_e32 v9, 1, v26
	v_or_b32_e32 v9, v27, v9
	s_delay_alu instid0(VALU_DEP_1) | instskip(NEXT) | instid1(VALU_DEP_1)
	v_cvt_f32_u32_e32 v9, v9
	v_ldexp_f32 v26, v9, v7
	s_branch .LBB127_2564
.LBB127_2562:
	s_mov_b32 s16, -1
                                        ; implicit-def: $vgpr26
.LBB127_2563:
	s_mov_b32 s19, 0
.LBB127_2564:
	s_delay_alu instid0(SALU_CYCLE_1)
	s_and_b32 vcc_lo, exec_lo, s19
	s_cbranch_vccz .LBB127_2582
; %bb.2565:
	s_cmp_lt_i32 s10, 27
	s_cbranch_scc1 .LBB127_2568
; %bb.2566:
	s_cmp_gt_i32 s10, 27
	s_cbranch_scc0 .LBB127_2569
; %bb.2567:
	global_load_b32 v7, v[24:25], off
	s_mov_b32 s18, 0
	s_wait_loadcnt 0x0
	s_wait_xcnt 0x1
	v_cvt_f32_u32_e32 v26, v7
	s_branch .LBB127_2570
.LBB127_2568:
	s_mov_b32 s18, -1
                                        ; implicit-def: $vgpr26
	s_branch .LBB127_2573
.LBB127_2569:
	s_mov_b32 s18, -1
                                        ; implicit-def: $vgpr26
.LBB127_2570:
	s_delay_alu instid0(SALU_CYCLE_1)
	s_and_not1_b32 vcc_lo, exec_lo, s18
	s_cbranch_vccnz .LBB127_2572
; %bb.2571:
	global_load_u16 v7, v[24:25], off
	s_wait_loadcnt 0x0
	s_wait_xcnt 0x1
	v_cvt_f32_u32_e32 v26, v7
.LBB127_2572:
	s_mov_b32 s18, 0
.LBB127_2573:
	s_delay_alu instid0(SALU_CYCLE_1)
	s_and_not1_b32 vcc_lo, exec_lo, s18
	s_cbranch_vccnz .LBB127_2581
; %bb.2574:
	global_load_u8 v7, v[24:25], off
	s_mov_b32 s18, 0
	s_mov_b32 s19, exec_lo
	s_wait_loadcnt 0x0
	v_cmpx_lt_i16_e32 0x7f, v7
	s_xor_b32 s19, exec_lo, s19
	s_cbranch_execz .LBB127_2595
; %bb.2575:
	s_mov_b32 s18, -1
	s_mov_b32 s20, exec_lo
	v_cmpx_eq_u16_e32 0x80, v7
; %bb.2576:
	s_xor_b32 s18, exec_lo, -1
; %bb.2577:
	s_or_b32 exec_lo, exec_lo, s20
	s_delay_alu instid0(SALU_CYCLE_1)
	s_and_b32 s18, s18, exec_lo
	s_or_saveexec_b32 s19, s19
	v_mov_b32_e32 v26, 0x7f800001
	s_xor_b32 exec_lo, exec_lo, s19
	s_cbranch_execnz .LBB127_2596
.LBB127_2578:
	s_or_b32 exec_lo, exec_lo, s19
	s_and_saveexec_b32 s19, s18
	s_cbranch_execz .LBB127_2580
.LBB127_2579:
	v_and_b32_e32 v9, 0xffff, v7
	s_delay_alu instid0(VALU_DEP_1) | instskip(SKIP_1) | instid1(VALU_DEP_2)
	v_dual_lshlrev_b32 v7, 24, v7 :: v_dual_bitop2_b32 v11, 7, v9 bitop3:0x40
	v_bfe_u32 v17, v9, 3, 4
	v_and_b32_e32 v7, 0x80000000, v7
	s_delay_alu instid0(VALU_DEP_3) | instskip(NEXT) | instid1(VALU_DEP_3)
	v_clz_i32_u32_e32 v13, v11
	v_cmp_eq_u32_e32 vcc_lo, 0, v17
	s_delay_alu instid0(VALU_DEP_2) | instskip(NEXT) | instid1(VALU_DEP_1)
	v_min_u32_e32 v13, 32, v13
	v_subrev_nc_u32_e32 v15, 28, v13
	v_sub_nc_u32_e32 v13, 29, v13
	s_delay_alu instid0(VALU_DEP_2) | instskip(NEXT) | instid1(VALU_DEP_2)
	v_lshlrev_b32_e32 v9, v15, v9
	v_cndmask_b32_e32 v13, v17, v13, vcc_lo
	s_delay_alu instid0(VALU_DEP_2) | instskip(NEXT) | instid1(VALU_DEP_1)
	v_and_b32_e32 v9, 7, v9
	v_cndmask_b32_e32 v9, v11, v9, vcc_lo
	s_delay_alu instid0(VALU_DEP_3) | instskip(NEXT) | instid1(VALU_DEP_2)
	v_lshl_add_u32 v11, v13, 23, 0x3b800000
	v_lshlrev_b32_e32 v9, 20, v9
	s_delay_alu instid0(VALU_DEP_1)
	v_or3_b32 v26, v7, v11, v9
.LBB127_2580:
	s_or_b32 exec_lo, exec_lo, s19
.LBB127_2581:
	s_mov_b32 s18, -1
.LBB127_2582:
	s_mov_b32 s19, 0
.LBB127_2583:
	s_delay_alu instid0(SALU_CYCLE_1)
	s_and_b32 vcc_lo, exec_lo, s19
	s_cbranch_vccz .LBB127_2616
; %bb.2584:
	s_cmp_gt_i32 s10, 22
	s_cbranch_scc0 .LBB127_2594
; %bb.2585:
	s_cmp_lt_i32 s10, 24
	s_cbranch_scc1 .LBB127_2597
; %bb.2586:
	s_cmp_gt_i32 s10, 24
	s_cbranch_scc0 .LBB127_2598
; %bb.2587:
	global_load_u8 v7, v[24:25], off
	s_mov_b32 s18, exec_lo
	s_wait_loadcnt 0x0
	v_cmpx_lt_i16_e32 0x7f, v7
	s_xor_b32 s18, exec_lo, s18
	s_cbranch_execz .LBB127_2610
; %bb.2588:
	s_mov_b32 s17, -1
	s_mov_b32 s19, exec_lo
	v_cmpx_eq_u16_e32 0x80, v7
; %bb.2589:
	s_xor_b32 s17, exec_lo, -1
; %bb.2590:
	s_or_b32 exec_lo, exec_lo, s19
	s_delay_alu instid0(SALU_CYCLE_1)
	s_and_b32 s17, s17, exec_lo
	s_or_saveexec_b32 s18, s18
	v_mov_b32_e32 v26, 0x7f800001
	s_xor_b32 exec_lo, exec_lo, s18
	s_cbranch_execnz .LBB127_2611
.LBB127_2591:
	s_or_b32 exec_lo, exec_lo, s18
	s_and_saveexec_b32 s18, s17
	s_cbranch_execz .LBB127_2593
.LBB127_2592:
	v_and_b32_e32 v9, 0xffff, v7
	s_delay_alu instid0(VALU_DEP_1) | instskip(SKIP_1) | instid1(VALU_DEP_2)
	v_dual_lshlrev_b32 v7, 24, v7 :: v_dual_bitop2_b32 v11, 3, v9 bitop3:0x40
	v_bfe_u32 v17, v9, 2, 5
	v_and_b32_e32 v7, 0x80000000, v7
	s_delay_alu instid0(VALU_DEP_3) | instskip(NEXT) | instid1(VALU_DEP_3)
	v_clz_i32_u32_e32 v13, v11
	v_cmp_eq_u32_e32 vcc_lo, 0, v17
	s_delay_alu instid0(VALU_DEP_2) | instskip(NEXT) | instid1(VALU_DEP_1)
	v_min_u32_e32 v13, 32, v13
	v_subrev_nc_u32_e32 v15, 29, v13
	v_sub_nc_u32_e32 v13, 30, v13
	s_delay_alu instid0(VALU_DEP_2) | instskip(NEXT) | instid1(VALU_DEP_2)
	v_lshlrev_b32_e32 v9, v15, v9
	v_cndmask_b32_e32 v13, v17, v13, vcc_lo
	s_delay_alu instid0(VALU_DEP_2) | instskip(NEXT) | instid1(VALU_DEP_1)
	v_and_b32_e32 v9, 3, v9
	v_cndmask_b32_e32 v9, v11, v9, vcc_lo
	s_delay_alu instid0(VALU_DEP_3) | instskip(NEXT) | instid1(VALU_DEP_2)
	v_lshl_add_u32 v11, v13, 23, 0x37800000
	v_lshlrev_b32_e32 v9, 21, v9
	s_delay_alu instid0(VALU_DEP_1)
	v_or3_b32 v26, v7, v11, v9
.LBB127_2593:
	s_or_b32 exec_lo, exec_lo, s18
	s_mov_b32 s17, 0
	s_branch .LBB127_2599
.LBB127_2594:
	s_mov_b32 s17, -1
                                        ; implicit-def: $vgpr26
	s_branch .LBB127_2605
.LBB127_2595:
	s_or_saveexec_b32 s19, s19
	v_mov_b32_e32 v26, 0x7f800001
	s_xor_b32 exec_lo, exec_lo, s19
	s_cbranch_execz .LBB127_2578
.LBB127_2596:
	v_cmp_ne_u16_e32 vcc_lo, 0, v7
	v_mov_b32_e32 v26, 0
	s_and_not1_b32 s18, s18, exec_lo
	s_and_b32 s20, vcc_lo, exec_lo
	s_delay_alu instid0(SALU_CYCLE_1)
	s_or_b32 s18, s18, s20
	s_or_b32 exec_lo, exec_lo, s19
	s_and_saveexec_b32 s19, s18
	s_cbranch_execnz .LBB127_2579
	s_branch .LBB127_2580
.LBB127_2597:
	s_mov_b32 s17, -1
                                        ; implicit-def: $vgpr26
	s_branch .LBB127_2602
.LBB127_2598:
	s_mov_b32 s17, -1
                                        ; implicit-def: $vgpr26
.LBB127_2599:
	s_delay_alu instid0(SALU_CYCLE_1)
	s_and_b32 vcc_lo, exec_lo, s17
	s_cbranch_vccz .LBB127_2601
; %bb.2600:
	global_load_u8 v7, v[24:25], off
	s_wait_loadcnt 0x0
	v_lshlrev_b32_e32 v7, 24, v7
	s_delay_alu instid0(VALU_DEP_1) | instskip(NEXT) | instid1(VALU_DEP_1)
	v_and_b32_e32 v9, 0x7f000000, v7
	v_clz_i32_u32_e32 v11, v9
	v_add_nc_u32_e32 v15, 0x1000000, v9
	v_cmp_ne_u32_e32 vcc_lo, 0, v9
	s_delay_alu instid0(VALU_DEP_3) | instskip(NEXT) | instid1(VALU_DEP_1)
	v_min_u32_e32 v11, 32, v11
	v_sub_nc_u32_e64 v11, v11, 4 clamp
	s_delay_alu instid0(VALU_DEP_1) | instskip(NEXT) | instid1(VALU_DEP_1)
	v_dual_lshlrev_b32 v13, v11, v9 :: v_dual_lshlrev_b32 v11, 23, v11
	v_lshrrev_b32_e32 v13, 4, v13
	s_delay_alu instid0(VALU_DEP_1) | instskip(SKIP_1) | instid1(VALU_DEP_2)
	v_sub_nc_u32_e32 v11, v13, v11
	v_ashrrev_i32_e32 v13, 8, v15
	v_add_nc_u32_e32 v11, 0x3c000000, v11
	s_delay_alu instid0(VALU_DEP_1) | instskip(NEXT) | instid1(VALU_DEP_1)
	v_and_or_b32 v11, 0x7f800000, v13, v11
	v_cndmask_b32_e32 v9, 0, v11, vcc_lo
	s_wait_xcnt 0x1
	s_delay_alu instid0(VALU_DEP_1)
	v_and_or_b32 v26, 0x80000000, v7, v9
.LBB127_2601:
	s_mov_b32 s17, 0
.LBB127_2602:
	s_delay_alu instid0(SALU_CYCLE_1)
	s_and_not1_b32 vcc_lo, exec_lo, s17
	s_cbranch_vccnz .LBB127_2604
; %bb.2603:
	global_load_u8 v7, v[24:25], off
	s_wait_loadcnt 0x0
	v_lshlrev_b32_e32 v9, 25, v7
	v_lshlrev_b16 v7, 8, v7
	s_delay_alu instid0(VALU_DEP_1) | instskip(SKIP_1) | instid1(VALU_DEP_2)
	v_and_or_b32 v13, 0x7f00, v7, 0.5
	v_bfe_i32 v7, v7, 0, 16
	v_add_f32_e32 v13, -0.5, v13
	v_lshrrev_b32_e32 v11, 4, v9
	v_cmp_gt_u32_e32 vcc_lo, 0x8000000, v9
	s_delay_alu instid0(VALU_DEP_2) | instskip(NEXT) | instid1(VALU_DEP_1)
	v_or_b32_e32 v11, 0x70000000, v11
	v_mul_f32_e32 v11, 0x7800000, v11
	s_delay_alu instid0(VALU_DEP_1) | instskip(SKIP_1) | instid1(VALU_DEP_1)
	v_cndmask_b32_e32 v9, v11, v13, vcc_lo
	s_wait_xcnt 0x1
	v_and_or_b32 v26, 0x80000000, v7, v9
.LBB127_2604:
	s_mov_b32 s17, 0
	s_mov_b32 s18, -1
.LBB127_2605:
	s_and_not1_b32 vcc_lo, exec_lo, s17
	s_mov_b32 s17, 0
	s_cbranch_vccnz .LBB127_2616
; %bb.2606:
	s_cmp_gt_i32 s10, 14
	s_cbranch_scc0 .LBB127_2609
; %bb.2607:
	s_cmp_eq_u32 s10, 15
	s_cbranch_scc0 .LBB127_2612
; %bb.2608:
	global_load_u16 v7, v[24:25], off
	s_mov_b32 s16, 0
	s_mov_b32 s18, -1
	s_wait_loadcnt 0x0
	s_wait_xcnt 0x1
	v_lshlrev_b32_e32 v26, 16, v7
	s_branch .LBB127_2614
.LBB127_2609:
	s_mov_b32 s17, -1
	s_branch .LBB127_2613
.LBB127_2610:
	s_or_saveexec_b32 s18, s18
	v_mov_b32_e32 v26, 0x7f800001
	s_xor_b32 exec_lo, exec_lo, s18
	s_cbranch_execz .LBB127_2591
.LBB127_2611:
	v_cmp_ne_u16_e32 vcc_lo, 0, v7
	v_mov_b32_e32 v26, 0
	s_and_not1_b32 s17, s17, exec_lo
	s_and_b32 s19, vcc_lo, exec_lo
	s_delay_alu instid0(SALU_CYCLE_1)
	s_or_b32 s17, s17, s19
	s_or_b32 exec_lo, exec_lo, s18
	s_and_saveexec_b32 s18, s17
	s_cbranch_execnz .LBB127_2592
	s_branch .LBB127_2593
.LBB127_2612:
	s_mov_b32 s16, -1
.LBB127_2613:
                                        ; implicit-def: $vgpr26
.LBB127_2614:
	s_and_b32 vcc_lo, exec_lo, s17
	s_mov_b32 s17, 0
	s_cbranch_vccz .LBB127_2616
; %bb.2615:
	s_cmp_lg_u32 s10, 11
	s_mov_b32 s17, -1
	s_cselect_b32 s16, -1, 0
.LBB127_2616:
	s_delay_alu instid0(SALU_CYCLE_1)
	s_and_b32 vcc_lo, exec_lo, s16
	s_cbranch_vccnz .LBB127_2681
; %bb.2617:
	s_and_not1_b32 vcc_lo, exec_lo, s17
	s_cbranch_vccnz .LBB127_2619
.LBB127_2618:
	global_load_u8 v7, v[24:25], off
	s_mov_b32 s18, -1
	s_wait_loadcnt 0x0
	v_cmp_ne_u16_e32 vcc_lo, 0, v7
	s_wait_xcnt 0x1
	v_cndmask_b32_e64 v26, 0, 1.0, vcc_lo
.LBB127_2619:
	s_mov_b32 s16, 0
.LBB127_2620:
	s_delay_alu instid0(SALU_CYCLE_1)
	s_and_b32 vcc_lo, exec_lo, s16
	s_cbranch_vccz .LBB127_2669
; %bb.2621:
	s_cmp_lt_i32 s10, 5
	s_cbranch_scc1 .LBB127_2626
; %bb.2622:
	s_cmp_lt_i32 s10, 8
	s_cbranch_scc1 .LBB127_2627
	;; [unrolled: 3-line block ×3, first 2 shown]
; %bb.2624:
	s_cmp_gt_i32 s10, 9
	s_cbranch_scc0 .LBB127_2629
; %bb.2625:
	global_load_b64 v[26:27], v[24:25], off
	s_mov_b32 s16, 0
	s_wait_loadcnt 0x0
	v_cvt_f32_f64_e32 v26, v[26:27]
	s_branch .LBB127_2630
.LBB127_2626:
	s_mov_b32 s16, -1
                                        ; implicit-def: $vgpr26
	s_branch .LBB127_2648
.LBB127_2627:
	s_mov_b32 s16, -1
                                        ; implicit-def: $vgpr26
	s_branch .LBB127_2636
.LBB127_2628:
	s_mov_b32 s16, -1
                                        ; implicit-def: $vgpr26
	s_branch .LBB127_2633
.LBB127_2629:
	s_mov_b32 s16, -1
                                        ; implicit-def: $vgpr26
.LBB127_2630:
	s_delay_alu instid0(SALU_CYCLE_1)
	s_and_not1_b32 vcc_lo, exec_lo, s16
	s_cbranch_vccnz .LBB127_2632
; %bb.2631:
	global_load_b32 v26, v[24:25], off
.LBB127_2632:
	s_mov_b32 s16, 0
.LBB127_2633:
	s_delay_alu instid0(SALU_CYCLE_1)
	s_and_not1_b32 vcc_lo, exec_lo, s16
	s_cbranch_vccnz .LBB127_2635
; %bb.2634:
	global_load_b32 v7, v[24:25], off
	s_wait_loadcnt 0x0
	s_wait_xcnt 0x1
	v_cvt_f32_f16_e32 v26, v7
.LBB127_2635:
	s_mov_b32 s16, 0
.LBB127_2636:
	s_delay_alu instid0(SALU_CYCLE_1)
	s_and_not1_b32 vcc_lo, exec_lo, s16
	s_cbranch_vccnz .LBB127_2647
; %bb.2637:
	s_cmp_lt_i32 s10, 6
	s_cbranch_scc1 .LBB127_2640
; %bb.2638:
	s_cmp_gt_i32 s10, 6
	s_cbranch_scc0 .LBB127_2641
; %bb.2639:
	s_wait_loadcnt 0x0
	global_load_b64 v[26:27], v[24:25], off
	s_mov_b32 s16, 0
	s_wait_loadcnt 0x0
	v_cvt_f32_f64_e32 v26, v[26:27]
	s_branch .LBB127_2642
.LBB127_2640:
	s_mov_b32 s16, -1
                                        ; implicit-def: $vgpr26
	s_branch .LBB127_2645
.LBB127_2641:
	s_mov_b32 s16, -1
                                        ; implicit-def: $vgpr26
.LBB127_2642:
	s_delay_alu instid0(SALU_CYCLE_1)
	s_and_not1_b32 vcc_lo, exec_lo, s16
	s_cbranch_vccnz .LBB127_2644
; %bb.2643:
	s_wait_loadcnt 0x0
	global_load_b32 v26, v[24:25], off
.LBB127_2644:
	s_mov_b32 s16, 0
.LBB127_2645:
	s_delay_alu instid0(SALU_CYCLE_1)
	s_and_not1_b32 vcc_lo, exec_lo, s16
	s_cbranch_vccnz .LBB127_2647
; %bb.2646:
	global_load_u16 v7, v[24:25], off
	s_wait_loadcnt 0x0
	s_wait_xcnt 0x1
	v_cvt_f32_f16_e32 v26, v7
.LBB127_2647:
	s_mov_b32 s16, 0
.LBB127_2648:
	s_delay_alu instid0(SALU_CYCLE_1)
	s_and_not1_b32 vcc_lo, exec_lo, s16
	s_cbranch_vccnz .LBB127_2668
; %bb.2649:
	s_cmp_lt_i32 s10, 2
	s_cbranch_scc1 .LBB127_2653
; %bb.2650:
	s_cmp_lt_i32 s10, 3
	s_cbranch_scc1 .LBB127_2654
; %bb.2651:
	s_cmp_gt_i32 s10, 3
	s_cbranch_scc0 .LBB127_2655
; %bb.2652:
	s_wait_loadcnt 0x0
	global_load_b64 v[26:27], v[24:25], off
	s_mov_b32 s16, 0
	s_wait_loadcnt 0x0
	v_xor_b32_e32 v7, v26, v27
	v_cls_i32_e32 v9, v27
	s_delay_alu instid0(VALU_DEP_2) | instskip(NEXT) | instid1(VALU_DEP_1)
	v_ashrrev_i32_e32 v7, 31, v7
	v_add_nc_u32_e32 v7, 32, v7
	s_delay_alu instid0(VALU_DEP_1) | instskip(NEXT) | instid1(VALU_DEP_1)
	v_add_min_u32_e64 v7, v9, -1, v7
	v_lshlrev_b64_e32 v[26:27], v7, v[26:27]
	v_sub_nc_u32_e32 v7, 32, v7
	s_delay_alu instid0(VALU_DEP_2) | instskip(NEXT) | instid1(VALU_DEP_1)
	v_min_u32_e32 v9, 1, v26
	v_or_b32_e32 v9, v27, v9
	s_delay_alu instid0(VALU_DEP_1) | instskip(NEXT) | instid1(VALU_DEP_1)
	v_cvt_f32_i32_e32 v9, v9
	v_ldexp_f32 v26, v9, v7
	s_branch .LBB127_2656
.LBB127_2653:
	s_mov_b32 s16, -1
                                        ; implicit-def: $vgpr26
	s_branch .LBB127_2662
.LBB127_2654:
	s_mov_b32 s16, -1
                                        ; implicit-def: $vgpr26
	s_branch .LBB127_2659
.LBB127_2655:
	s_mov_b32 s16, -1
                                        ; implicit-def: $vgpr26
.LBB127_2656:
	s_delay_alu instid0(SALU_CYCLE_1)
	s_and_not1_b32 vcc_lo, exec_lo, s16
	s_cbranch_vccnz .LBB127_2658
; %bb.2657:
	global_load_b32 v7, v[24:25], off
	s_wait_loadcnt 0x0
	s_wait_xcnt 0x1
	v_cvt_f32_i32_e32 v26, v7
.LBB127_2658:
	s_mov_b32 s16, 0
.LBB127_2659:
	s_delay_alu instid0(SALU_CYCLE_1)
	s_and_not1_b32 vcc_lo, exec_lo, s16
	s_cbranch_vccnz .LBB127_2661
; %bb.2660:
	global_load_i16 v7, v[24:25], off
	s_wait_loadcnt 0x0
	s_wait_xcnt 0x1
	v_cvt_f32_i32_e32 v26, v7
.LBB127_2661:
	s_mov_b32 s16, 0
.LBB127_2662:
	s_delay_alu instid0(SALU_CYCLE_1)
	s_and_not1_b32 vcc_lo, exec_lo, s16
	s_cbranch_vccnz .LBB127_2668
; %bb.2663:
	s_cmp_gt_i32 s10, 0
	s_mov_b32 s16, 0
	s_cbranch_scc0 .LBB127_2665
; %bb.2664:
	global_load_i8 v7, v[24:25], off
	s_wait_loadcnt 0x0
	s_wait_xcnt 0x1
	v_cvt_f32_i32_e32 v26, v7
	s_branch .LBB127_2666
.LBB127_2665:
	s_mov_b32 s16, -1
                                        ; implicit-def: $vgpr26
.LBB127_2666:
	s_delay_alu instid0(SALU_CYCLE_1)
	s_and_not1_b32 vcc_lo, exec_lo, s16
	s_cbranch_vccnz .LBB127_2668
; %bb.2667:
	global_load_u8 v7, v[24:25], off
	s_wait_loadcnt 0x0
	s_wait_xcnt 0x1
	v_cvt_f32_ubyte0_e32 v26, v7
.LBB127_2668:
	s_mov_b32 s18, -1
.LBB127_2669:
	s_delay_alu instid0(SALU_CYCLE_1)
	s_and_not1_b32 vcc_lo, exec_lo, s18
	s_cbranch_vccnz .LBB127_4155
; %bb.2670:
	v_mov_b32_e32 v23, 0
	s_and_b32 s14, 0xffff, s14
	s_delay_alu instid0(SALU_CYCLE_1) | instskip(NEXT) | instid1(VALU_DEP_1)
	s_cmp_lt_i32 s14, 11
	v_add_nc_u64_e32 v[22:23], s[0:1], v[22:23]
	s_cbranch_scc1 .LBB127_2677
; %bb.2671:
	s_cmp_gt_i32 s14, 25
	s_mov_b32 s17, 0
	s_cbranch_scc0 .LBB127_2678
; %bb.2672:
	s_cmp_gt_i32 s14, 28
	s_cbranch_scc0 .LBB127_2679
; %bb.2673:
	s_cmp_gt_i32 s14, 43
	;; [unrolled: 3-line block ×3, first 2 shown]
	s_cbranch_scc0 .LBB127_2682
; %bb.2675:
	s_cmp_eq_u32 s14, 46
	s_mov_b32 s19, 0
	s_cbranch_scc0 .LBB127_2683
; %bb.2676:
	global_load_b32 v7, v[22:23], off
	s_mov_b32 s16, 0
	s_mov_b32 s18, -1
	s_wait_loadcnt 0x0
	s_wait_xcnt 0x1
	v_lshlrev_b32_e32 v24, 16, v7
	s_branch .LBB127_2685
.LBB127_2677:
	s_mov_b32 s16, -1
	s_mov_b32 s18, 0
                                        ; implicit-def: $vgpr24
	s_branch .LBB127_2751
.LBB127_2678:
	s_mov_b32 s19, -1
	s_mov_b32 s18, 0
	s_mov_b32 s16, 0
                                        ; implicit-def: $vgpr24
	s_branch .LBB127_2714
.LBB127_2679:
	s_mov_b32 s19, -1
	s_mov_b32 s18, 0
	s_mov_b32 s16, 0
                                        ; implicit-def: $vgpr24
	s_branch .LBB127_2695
.LBB127_2680:
	s_mov_b32 s19, -1
	s_mov_b32 s18, 0
	s_mov_b32 s16, 0
                                        ; implicit-def: $vgpr24
	s_branch .LBB127_2690
.LBB127_2681:
	s_or_b32 s13, s13, exec_lo
	s_trap 2
	s_cbranch_execz .LBB127_2618
	s_branch .LBB127_2619
.LBB127_2682:
	s_mov_b32 s19, -1
	s_mov_b32 s18, 0
	s_mov_b32 s16, 0
	s_branch .LBB127_2684
.LBB127_2683:
	s_mov_b32 s16, -1
	s_mov_b32 s18, 0
.LBB127_2684:
                                        ; implicit-def: $vgpr24
.LBB127_2685:
	s_and_b32 vcc_lo, exec_lo, s19
	s_cbranch_vccz .LBB127_2689
; %bb.2686:
	s_cmp_eq_u32 s14, 44
	s_cbranch_scc0 .LBB127_2688
; %bb.2687:
	global_load_u8 v7, v[22:23], off
	s_mov_b32 s16, 0
	s_mov_b32 s18, -1
	s_wait_loadcnt 0x0
	v_lshlrev_b32_e32 v9, 23, v7
	v_cmp_ne_u32_e32 vcc_lo, 0xff, v7
	s_delay_alu instid0(VALU_DEP_2) | instskip(SKIP_2) | instid1(VALU_DEP_2)
	v_cndmask_b32_e32 v9, 0x7f800001, v9, vcc_lo
	v_cmp_ne_u32_e32 vcc_lo, 0, v7
	s_wait_xcnt 0x1
	v_cndmask_b32_e32 v24, 0x400000, v9, vcc_lo
	s_branch .LBB127_2689
.LBB127_2688:
	s_mov_b32 s16, -1
                                        ; implicit-def: $vgpr24
.LBB127_2689:
	s_mov_b32 s19, 0
.LBB127_2690:
	s_delay_alu instid0(SALU_CYCLE_1)
	s_and_b32 vcc_lo, exec_lo, s19
	s_cbranch_vccz .LBB127_2694
; %bb.2691:
	s_cmp_eq_u32 s14, 29
	s_cbranch_scc0 .LBB127_2693
; %bb.2692:
	global_load_b64 v[24:25], v[22:23], off
	s_mov_b32 s16, 0
	s_mov_b32 s18, -1
	s_mov_b32 s19, 0
	s_wait_loadcnt 0x0
	v_clz_i32_u32_e32 v7, v25
	s_delay_alu instid0(VALU_DEP_1) | instskip(NEXT) | instid1(VALU_DEP_1)
	v_min_u32_e32 v7, 32, v7
	v_lshlrev_b64_e32 v[24:25], v7, v[24:25]
	v_sub_nc_u32_e32 v7, 32, v7
	s_delay_alu instid0(VALU_DEP_2) | instskip(NEXT) | instid1(VALU_DEP_1)
	v_min_u32_e32 v9, 1, v24
	v_or_b32_e32 v9, v25, v9
	s_delay_alu instid0(VALU_DEP_1) | instskip(NEXT) | instid1(VALU_DEP_1)
	v_cvt_f32_u32_e32 v9, v9
	v_ldexp_f32 v24, v9, v7
	s_branch .LBB127_2695
.LBB127_2693:
	s_mov_b32 s16, -1
                                        ; implicit-def: $vgpr24
.LBB127_2694:
	s_mov_b32 s19, 0
.LBB127_2695:
	s_delay_alu instid0(SALU_CYCLE_1)
	s_and_b32 vcc_lo, exec_lo, s19
	s_cbranch_vccz .LBB127_2713
; %bb.2696:
	s_cmp_lt_i32 s14, 27
	s_cbranch_scc1 .LBB127_2699
; %bb.2697:
	s_cmp_gt_i32 s14, 27
	s_cbranch_scc0 .LBB127_2700
; %bb.2698:
	global_load_b32 v7, v[22:23], off
	s_mov_b32 s18, 0
	s_wait_loadcnt 0x0
	s_wait_xcnt 0x1
	v_cvt_f32_u32_e32 v24, v7
	s_branch .LBB127_2701
.LBB127_2699:
	s_mov_b32 s18, -1
                                        ; implicit-def: $vgpr24
	s_branch .LBB127_2704
.LBB127_2700:
	s_mov_b32 s18, -1
                                        ; implicit-def: $vgpr24
.LBB127_2701:
	s_delay_alu instid0(SALU_CYCLE_1)
	s_and_not1_b32 vcc_lo, exec_lo, s18
	s_cbranch_vccnz .LBB127_2703
; %bb.2702:
	global_load_u16 v7, v[22:23], off
	s_wait_loadcnt 0x0
	s_wait_xcnt 0x1
	v_cvt_f32_u32_e32 v24, v7
.LBB127_2703:
	s_mov_b32 s18, 0
.LBB127_2704:
	s_delay_alu instid0(SALU_CYCLE_1)
	s_and_not1_b32 vcc_lo, exec_lo, s18
	s_cbranch_vccnz .LBB127_2712
; %bb.2705:
	global_load_u8 v7, v[22:23], off
	s_mov_b32 s18, 0
	s_mov_b32 s19, exec_lo
	s_wait_loadcnt 0x0
	v_cmpx_lt_i16_e32 0x7f, v7
	s_xor_b32 s19, exec_lo, s19
	s_cbranch_execz .LBB127_2726
; %bb.2706:
	s_mov_b32 s18, -1
	s_mov_b32 s20, exec_lo
	v_cmpx_eq_u16_e32 0x80, v7
; %bb.2707:
	s_xor_b32 s18, exec_lo, -1
; %bb.2708:
	s_or_b32 exec_lo, exec_lo, s20
	s_delay_alu instid0(SALU_CYCLE_1)
	s_and_b32 s18, s18, exec_lo
	s_or_saveexec_b32 s19, s19
	v_mov_b32_e32 v24, 0x7f800001
	s_xor_b32 exec_lo, exec_lo, s19
	s_cbranch_execnz .LBB127_2727
.LBB127_2709:
	s_or_b32 exec_lo, exec_lo, s19
	s_and_saveexec_b32 s19, s18
	s_cbranch_execz .LBB127_2711
.LBB127_2710:
	v_and_b32_e32 v9, 0xffff, v7
	s_delay_alu instid0(VALU_DEP_1) | instskip(SKIP_1) | instid1(VALU_DEP_2)
	v_dual_lshlrev_b32 v7, 24, v7 :: v_dual_bitop2_b32 v11, 7, v9 bitop3:0x40
	v_bfe_u32 v17, v9, 3, 4
	v_and_b32_e32 v7, 0x80000000, v7
	s_delay_alu instid0(VALU_DEP_3) | instskip(NEXT) | instid1(VALU_DEP_3)
	v_clz_i32_u32_e32 v13, v11
	v_cmp_eq_u32_e32 vcc_lo, 0, v17
	s_delay_alu instid0(VALU_DEP_2) | instskip(NEXT) | instid1(VALU_DEP_1)
	v_min_u32_e32 v13, 32, v13
	v_subrev_nc_u32_e32 v15, 28, v13
	v_sub_nc_u32_e32 v13, 29, v13
	s_delay_alu instid0(VALU_DEP_2) | instskip(NEXT) | instid1(VALU_DEP_2)
	v_lshlrev_b32_e32 v9, v15, v9
	v_cndmask_b32_e32 v13, v17, v13, vcc_lo
	s_delay_alu instid0(VALU_DEP_2) | instskip(NEXT) | instid1(VALU_DEP_1)
	v_and_b32_e32 v9, 7, v9
	v_cndmask_b32_e32 v9, v11, v9, vcc_lo
	s_delay_alu instid0(VALU_DEP_3) | instskip(NEXT) | instid1(VALU_DEP_2)
	v_lshl_add_u32 v11, v13, 23, 0x3b800000
	v_lshlrev_b32_e32 v9, 20, v9
	s_delay_alu instid0(VALU_DEP_1)
	v_or3_b32 v24, v7, v11, v9
.LBB127_2711:
	s_or_b32 exec_lo, exec_lo, s19
.LBB127_2712:
	s_mov_b32 s18, -1
.LBB127_2713:
	s_mov_b32 s19, 0
.LBB127_2714:
	s_delay_alu instid0(SALU_CYCLE_1)
	s_and_b32 vcc_lo, exec_lo, s19
	s_cbranch_vccz .LBB127_2747
; %bb.2715:
	s_cmp_gt_i32 s14, 22
	s_cbranch_scc0 .LBB127_2725
; %bb.2716:
	s_cmp_lt_i32 s14, 24
	s_cbranch_scc1 .LBB127_2728
; %bb.2717:
	s_cmp_gt_i32 s14, 24
	s_cbranch_scc0 .LBB127_2729
; %bb.2718:
	global_load_u8 v7, v[22:23], off
	s_mov_b32 s18, exec_lo
	s_wait_loadcnt 0x0
	v_cmpx_lt_i16_e32 0x7f, v7
	s_xor_b32 s18, exec_lo, s18
	s_cbranch_execz .LBB127_2741
; %bb.2719:
	s_mov_b32 s17, -1
	s_mov_b32 s19, exec_lo
	v_cmpx_eq_u16_e32 0x80, v7
; %bb.2720:
	s_xor_b32 s17, exec_lo, -1
; %bb.2721:
	s_or_b32 exec_lo, exec_lo, s19
	s_delay_alu instid0(SALU_CYCLE_1)
	s_and_b32 s17, s17, exec_lo
	s_or_saveexec_b32 s18, s18
	v_mov_b32_e32 v24, 0x7f800001
	s_xor_b32 exec_lo, exec_lo, s18
	s_cbranch_execnz .LBB127_2742
.LBB127_2722:
	s_or_b32 exec_lo, exec_lo, s18
	s_and_saveexec_b32 s18, s17
	s_cbranch_execz .LBB127_2724
.LBB127_2723:
	v_and_b32_e32 v9, 0xffff, v7
	s_delay_alu instid0(VALU_DEP_1) | instskip(SKIP_1) | instid1(VALU_DEP_2)
	v_dual_lshlrev_b32 v7, 24, v7 :: v_dual_bitop2_b32 v11, 3, v9 bitop3:0x40
	v_bfe_u32 v17, v9, 2, 5
	v_and_b32_e32 v7, 0x80000000, v7
	s_delay_alu instid0(VALU_DEP_3) | instskip(NEXT) | instid1(VALU_DEP_3)
	v_clz_i32_u32_e32 v13, v11
	v_cmp_eq_u32_e32 vcc_lo, 0, v17
	s_delay_alu instid0(VALU_DEP_2) | instskip(NEXT) | instid1(VALU_DEP_1)
	v_min_u32_e32 v13, 32, v13
	v_subrev_nc_u32_e32 v15, 29, v13
	v_sub_nc_u32_e32 v13, 30, v13
	s_delay_alu instid0(VALU_DEP_2) | instskip(NEXT) | instid1(VALU_DEP_2)
	v_lshlrev_b32_e32 v9, v15, v9
	v_cndmask_b32_e32 v13, v17, v13, vcc_lo
	s_delay_alu instid0(VALU_DEP_2) | instskip(NEXT) | instid1(VALU_DEP_1)
	v_and_b32_e32 v9, 3, v9
	v_cndmask_b32_e32 v9, v11, v9, vcc_lo
	s_delay_alu instid0(VALU_DEP_3) | instskip(NEXT) | instid1(VALU_DEP_2)
	v_lshl_add_u32 v11, v13, 23, 0x37800000
	v_lshlrev_b32_e32 v9, 21, v9
	s_delay_alu instid0(VALU_DEP_1)
	v_or3_b32 v24, v7, v11, v9
.LBB127_2724:
	s_or_b32 exec_lo, exec_lo, s18
	s_mov_b32 s17, 0
	s_branch .LBB127_2730
.LBB127_2725:
	s_mov_b32 s17, -1
                                        ; implicit-def: $vgpr24
	s_branch .LBB127_2736
.LBB127_2726:
	s_or_saveexec_b32 s19, s19
	v_mov_b32_e32 v24, 0x7f800001
	s_xor_b32 exec_lo, exec_lo, s19
	s_cbranch_execz .LBB127_2709
.LBB127_2727:
	v_cmp_ne_u16_e32 vcc_lo, 0, v7
	v_mov_b32_e32 v24, 0
	s_and_not1_b32 s18, s18, exec_lo
	s_and_b32 s20, vcc_lo, exec_lo
	s_delay_alu instid0(SALU_CYCLE_1)
	s_or_b32 s18, s18, s20
	s_or_b32 exec_lo, exec_lo, s19
	s_and_saveexec_b32 s19, s18
	s_cbranch_execnz .LBB127_2710
	s_branch .LBB127_2711
.LBB127_2728:
	s_mov_b32 s17, -1
                                        ; implicit-def: $vgpr24
	s_branch .LBB127_2733
.LBB127_2729:
	s_mov_b32 s17, -1
                                        ; implicit-def: $vgpr24
.LBB127_2730:
	s_delay_alu instid0(SALU_CYCLE_1)
	s_and_b32 vcc_lo, exec_lo, s17
	s_cbranch_vccz .LBB127_2732
; %bb.2731:
	global_load_u8 v7, v[22:23], off
	s_wait_loadcnt 0x0
	v_lshlrev_b32_e32 v7, 24, v7
	s_delay_alu instid0(VALU_DEP_1) | instskip(NEXT) | instid1(VALU_DEP_1)
	v_and_b32_e32 v9, 0x7f000000, v7
	v_clz_i32_u32_e32 v11, v9
	v_add_nc_u32_e32 v15, 0x1000000, v9
	v_cmp_ne_u32_e32 vcc_lo, 0, v9
	s_delay_alu instid0(VALU_DEP_3) | instskip(NEXT) | instid1(VALU_DEP_1)
	v_min_u32_e32 v11, 32, v11
	v_sub_nc_u32_e64 v11, v11, 4 clamp
	s_delay_alu instid0(VALU_DEP_1) | instskip(NEXT) | instid1(VALU_DEP_1)
	v_dual_lshlrev_b32 v13, v11, v9 :: v_dual_lshlrev_b32 v11, 23, v11
	v_lshrrev_b32_e32 v13, 4, v13
	s_delay_alu instid0(VALU_DEP_1) | instskip(SKIP_1) | instid1(VALU_DEP_2)
	v_sub_nc_u32_e32 v11, v13, v11
	v_ashrrev_i32_e32 v13, 8, v15
	v_add_nc_u32_e32 v11, 0x3c000000, v11
	s_delay_alu instid0(VALU_DEP_1) | instskip(NEXT) | instid1(VALU_DEP_1)
	v_and_or_b32 v11, 0x7f800000, v13, v11
	v_cndmask_b32_e32 v9, 0, v11, vcc_lo
	s_wait_xcnt 0x1
	s_delay_alu instid0(VALU_DEP_1)
	v_and_or_b32 v24, 0x80000000, v7, v9
.LBB127_2732:
	s_mov_b32 s17, 0
.LBB127_2733:
	s_delay_alu instid0(SALU_CYCLE_1)
	s_and_not1_b32 vcc_lo, exec_lo, s17
	s_cbranch_vccnz .LBB127_2735
; %bb.2734:
	global_load_u8 v7, v[22:23], off
	s_wait_loadcnt 0x0
	v_lshlrev_b32_e32 v9, 25, v7
	v_lshlrev_b16 v7, 8, v7
	s_delay_alu instid0(VALU_DEP_1) | instskip(SKIP_1) | instid1(VALU_DEP_2)
	v_and_or_b32 v13, 0x7f00, v7, 0.5
	v_bfe_i32 v7, v7, 0, 16
	v_add_f32_e32 v13, -0.5, v13
	v_lshrrev_b32_e32 v11, 4, v9
	v_cmp_gt_u32_e32 vcc_lo, 0x8000000, v9
	s_delay_alu instid0(VALU_DEP_2) | instskip(NEXT) | instid1(VALU_DEP_1)
	v_or_b32_e32 v11, 0x70000000, v11
	v_mul_f32_e32 v11, 0x7800000, v11
	s_delay_alu instid0(VALU_DEP_1) | instskip(SKIP_1) | instid1(VALU_DEP_1)
	v_cndmask_b32_e32 v9, v11, v13, vcc_lo
	s_wait_xcnt 0x1
	v_and_or_b32 v24, 0x80000000, v7, v9
.LBB127_2735:
	s_mov_b32 s17, 0
	s_mov_b32 s18, -1
.LBB127_2736:
	s_and_not1_b32 vcc_lo, exec_lo, s17
	s_mov_b32 s17, 0
	s_cbranch_vccnz .LBB127_2747
; %bb.2737:
	s_cmp_gt_i32 s14, 14
	s_cbranch_scc0 .LBB127_2740
; %bb.2738:
	s_cmp_eq_u32 s14, 15
	s_cbranch_scc0 .LBB127_2743
; %bb.2739:
	global_load_u16 v7, v[22:23], off
	s_mov_b32 s16, 0
	s_mov_b32 s18, -1
	s_wait_loadcnt 0x0
	s_wait_xcnt 0x1
	v_lshlrev_b32_e32 v24, 16, v7
	s_branch .LBB127_2745
.LBB127_2740:
	s_mov_b32 s17, -1
	s_branch .LBB127_2744
.LBB127_2741:
	s_or_saveexec_b32 s18, s18
	v_mov_b32_e32 v24, 0x7f800001
	s_xor_b32 exec_lo, exec_lo, s18
	s_cbranch_execz .LBB127_2722
.LBB127_2742:
	v_cmp_ne_u16_e32 vcc_lo, 0, v7
	v_mov_b32_e32 v24, 0
	s_and_not1_b32 s17, s17, exec_lo
	s_and_b32 s19, vcc_lo, exec_lo
	s_delay_alu instid0(SALU_CYCLE_1)
	s_or_b32 s17, s17, s19
	s_or_b32 exec_lo, exec_lo, s18
	s_and_saveexec_b32 s18, s17
	s_cbranch_execnz .LBB127_2723
	s_branch .LBB127_2724
.LBB127_2743:
	s_mov_b32 s16, -1
.LBB127_2744:
                                        ; implicit-def: $vgpr24
.LBB127_2745:
	s_and_b32 vcc_lo, exec_lo, s17
	s_mov_b32 s17, 0
	s_cbranch_vccz .LBB127_2747
; %bb.2746:
	s_cmp_lg_u32 s14, 11
	s_mov_b32 s17, -1
	s_cselect_b32 s16, -1, 0
.LBB127_2747:
	s_delay_alu instid0(SALU_CYCLE_1)
	s_and_b32 vcc_lo, exec_lo, s16
	s_cbranch_vccnz .LBB127_2812
; %bb.2748:
	s_and_not1_b32 vcc_lo, exec_lo, s17
	s_cbranch_vccnz .LBB127_2750
.LBB127_2749:
	global_load_u8 v7, v[22:23], off
	s_mov_b32 s18, -1
	s_wait_loadcnt 0x0
	v_cmp_ne_u16_e32 vcc_lo, 0, v7
	s_wait_xcnt 0x1
	v_cndmask_b32_e64 v24, 0, 1.0, vcc_lo
.LBB127_2750:
	s_mov_b32 s16, 0
.LBB127_2751:
	s_delay_alu instid0(SALU_CYCLE_1)
	s_and_b32 vcc_lo, exec_lo, s16
	s_cbranch_vccz .LBB127_2800
; %bb.2752:
	s_cmp_lt_i32 s14, 5
	s_cbranch_scc1 .LBB127_2757
; %bb.2753:
	s_cmp_lt_i32 s14, 8
	s_cbranch_scc1 .LBB127_2758
	;; [unrolled: 3-line block ×3, first 2 shown]
; %bb.2755:
	s_cmp_gt_i32 s14, 9
	s_cbranch_scc0 .LBB127_2760
; %bb.2756:
	global_load_b64 v[24:25], v[22:23], off
	s_mov_b32 s16, 0
	s_wait_loadcnt 0x0
	v_cvt_f32_f64_e32 v24, v[24:25]
	s_branch .LBB127_2761
.LBB127_2757:
	s_mov_b32 s16, -1
                                        ; implicit-def: $vgpr24
	s_branch .LBB127_2779
.LBB127_2758:
	s_mov_b32 s16, -1
                                        ; implicit-def: $vgpr24
	s_branch .LBB127_2767
.LBB127_2759:
	s_mov_b32 s16, -1
                                        ; implicit-def: $vgpr24
	s_branch .LBB127_2764
.LBB127_2760:
	s_mov_b32 s16, -1
                                        ; implicit-def: $vgpr24
.LBB127_2761:
	s_delay_alu instid0(SALU_CYCLE_1)
	s_and_not1_b32 vcc_lo, exec_lo, s16
	s_cbranch_vccnz .LBB127_2763
; %bb.2762:
	global_load_b32 v24, v[22:23], off
.LBB127_2763:
	s_mov_b32 s16, 0
.LBB127_2764:
	s_delay_alu instid0(SALU_CYCLE_1)
	s_and_not1_b32 vcc_lo, exec_lo, s16
	s_cbranch_vccnz .LBB127_2766
; %bb.2765:
	global_load_b32 v7, v[22:23], off
	s_wait_loadcnt 0x0
	s_wait_xcnt 0x1
	v_cvt_f32_f16_e32 v24, v7
.LBB127_2766:
	s_mov_b32 s16, 0
.LBB127_2767:
	s_delay_alu instid0(SALU_CYCLE_1)
	s_and_not1_b32 vcc_lo, exec_lo, s16
	s_cbranch_vccnz .LBB127_2778
; %bb.2768:
	s_cmp_lt_i32 s14, 6
	s_cbranch_scc1 .LBB127_2771
; %bb.2769:
	s_cmp_gt_i32 s14, 6
	s_cbranch_scc0 .LBB127_2772
; %bb.2770:
	s_wait_loadcnt 0x0
	global_load_b64 v[24:25], v[22:23], off
	s_mov_b32 s16, 0
	s_wait_loadcnt 0x0
	v_cvt_f32_f64_e32 v24, v[24:25]
	s_branch .LBB127_2773
.LBB127_2771:
	s_mov_b32 s16, -1
                                        ; implicit-def: $vgpr24
	s_branch .LBB127_2776
.LBB127_2772:
	s_mov_b32 s16, -1
                                        ; implicit-def: $vgpr24
.LBB127_2773:
	s_delay_alu instid0(SALU_CYCLE_1)
	s_and_not1_b32 vcc_lo, exec_lo, s16
	s_cbranch_vccnz .LBB127_2775
; %bb.2774:
	s_wait_loadcnt 0x0
	global_load_b32 v24, v[22:23], off
.LBB127_2775:
	s_mov_b32 s16, 0
.LBB127_2776:
	s_delay_alu instid0(SALU_CYCLE_1)
	s_and_not1_b32 vcc_lo, exec_lo, s16
	s_cbranch_vccnz .LBB127_2778
; %bb.2777:
	global_load_u16 v7, v[22:23], off
	s_wait_loadcnt 0x0
	s_wait_xcnt 0x1
	v_cvt_f32_f16_e32 v24, v7
.LBB127_2778:
	s_mov_b32 s16, 0
.LBB127_2779:
	s_delay_alu instid0(SALU_CYCLE_1)
	s_and_not1_b32 vcc_lo, exec_lo, s16
	s_cbranch_vccnz .LBB127_2799
; %bb.2780:
	s_cmp_lt_i32 s14, 2
	s_cbranch_scc1 .LBB127_2784
; %bb.2781:
	s_cmp_lt_i32 s14, 3
	s_cbranch_scc1 .LBB127_2785
; %bb.2782:
	s_cmp_gt_i32 s14, 3
	s_cbranch_scc0 .LBB127_2786
; %bb.2783:
	s_wait_loadcnt 0x0
	global_load_b64 v[24:25], v[22:23], off
	s_mov_b32 s16, 0
	s_wait_loadcnt 0x0
	v_xor_b32_e32 v7, v24, v25
	v_cls_i32_e32 v9, v25
	s_delay_alu instid0(VALU_DEP_2) | instskip(NEXT) | instid1(VALU_DEP_1)
	v_ashrrev_i32_e32 v7, 31, v7
	v_add_nc_u32_e32 v7, 32, v7
	s_delay_alu instid0(VALU_DEP_1) | instskip(NEXT) | instid1(VALU_DEP_1)
	v_add_min_u32_e64 v7, v9, -1, v7
	v_lshlrev_b64_e32 v[24:25], v7, v[24:25]
	v_sub_nc_u32_e32 v7, 32, v7
	s_delay_alu instid0(VALU_DEP_2) | instskip(NEXT) | instid1(VALU_DEP_1)
	v_min_u32_e32 v9, 1, v24
	v_or_b32_e32 v9, v25, v9
	s_delay_alu instid0(VALU_DEP_1) | instskip(NEXT) | instid1(VALU_DEP_1)
	v_cvt_f32_i32_e32 v9, v9
	v_ldexp_f32 v24, v9, v7
	s_branch .LBB127_2787
.LBB127_2784:
	s_mov_b32 s16, -1
                                        ; implicit-def: $vgpr24
	s_branch .LBB127_2793
.LBB127_2785:
	s_mov_b32 s16, -1
                                        ; implicit-def: $vgpr24
	s_branch .LBB127_2790
.LBB127_2786:
	s_mov_b32 s16, -1
                                        ; implicit-def: $vgpr24
.LBB127_2787:
	s_delay_alu instid0(SALU_CYCLE_1)
	s_and_not1_b32 vcc_lo, exec_lo, s16
	s_cbranch_vccnz .LBB127_2789
; %bb.2788:
	global_load_b32 v7, v[22:23], off
	s_wait_loadcnt 0x0
	s_wait_xcnt 0x1
	v_cvt_f32_i32_e32 v24, v7
.LBB127_2789:
	s_mov_b32 s16, 0
.LBB127_2790:
	s_delay_alu instid0(SALU_CYCLE_1)
	s_and_not1_b32 vcc_lo, exec_lo, s16
	s_cbranch_vccnz .LBB127_2792
; %bb.2791:
	global_load_i16 v7, v[22:23], off
	s_wait_loadcnt 0x0
	s_wait_xcnt 0x1
	v_cvt_f32_i32_e32 v24, v7
.LBB127_2792:
	s_mov_b32 s16, 0
.LBB127_2793:
	s_delay_alu instid0(SALU_CYCLE_1)
	s_and_not1_b32 vcc_lo, exec_lo, s16
	s_cbranch_vccnz .LBB127_2799
; %bb.2794:
	s_cmp_gt_i32 s14, 0
	s_mov_b32 s16, 0
	s_cbranch_scc0 .LBB127_2796
; %bb.2795:
	global_load_i8 v7, v[22:23], off
	s_wait_loadcnt 0x0
	s_wait_xcnt 0x1
	v_cvt_f32_i32_e32 v24, v7
	s_branch .LBB127_2797
.LBB127_2796:
	s_mov_b32 s16, -1
                                        ; implicit-def: $vgpr24
.LBB127_2797:
	s_delay_alu instid0(SALU_CYCLE_1)
	s_and_not1_b32 vcc_lo, exec_lo, s16
	s_cbranch_vccnz .LBB127_2799
; %bb.2798:
	global_load_u8 v7, v[22:23], off
	s_wait_loadcnt 0x0
	s_wait_xcnt 0x1
	v_cvt_f32_ubyte0_e32 v24, v7
.LBB127_2799:
	s_mov_b32 s18, -1
.LBB127_2800:
	s_delay_alu instid0(SALU_CYCLE_1)
	s_and_not1_b32 vcc_lo, exec_lo, s18
	s_cbranch_vccnz .LBB127_4155
; %bb.2801:
	v_mov_b32_e32 v21, 0
	s_and_b32 s15, 0xffff, s15
	s_delay_alu instid0(SALU_CYCLE_1) | instskip(NEXT) | instid1(VALU_DEP_1)
	s_cmp_lt_i32 s15, 11
	v_add_nc_u64_e32 v[20:21], s[8:9], v[20:21]
	s_cbranch_scc1 .LBB127_2808
; %bb.2802:
	s_cmp_gt_i32 s15, 25
	s_mov_b32 s17, 0
	s_cbranch_scc0 .LBB127_2809
; %bb.2803:
	s_cmp_gt_i32 s15, 28
	s_cbranch_scc0 .LBB127_2810
; %bb.2804:
	s_cmp_gt_i32 s15, 43
	;; [unrolled: 3-line block ×3, first 2 shown]
	s_cbranch_scc0 .LBB127_2813
; %bb.2806:
	s_cmp_eq_u32 s15, 46
	s_mov_b32 s19, 0
	s_cbranch_scc0 .LBB127_2816
; %bb.2807:
	global_load_b32 v7, v[20:21], off
	s_mov_b32 s16, 0
	s_mov_b32 s18, -1
	s_wait_loadcnt 0x0
	s_wait_xcnt 0x1
	v_lshlrev_b32_e32 v22, 16, v7
	s_branch .LBB127_2818
.LBB127_2808:
	s_mov_b32 s16, -1
	s_mov_b32 s18, 0
                                        ; implicit-def: $vgpr22
	s_branch .LBB127_2884
.LBB127_2809:
	s_mov_b32 s19, -1
	s_mov_b32 s18, 0
	s_mov_b32 s16, 0
                                        ; implicit-def: $vgpr22
	s_branch .LBB127_2847
.LBB127_2810:
	s_mov_b32 s19, -1
	s_mov_b32 s18, 0
	s_mov_b32 s16, 0
                                        ; implicit-def: $vgpr22
	s_branch .LBB127_2828
.LBB127_2811:
	s_mov_b32 s19, -1
	s_mov_b32 s18, 0
	s_mov_b32 s16, 0
                                        ; implicit-def: $vgpr22
	s_branch .LBB127_2823
.LBB127_2812:
	s_or_b32 s13, s13, exec_lo
	s_trap 2
	s_cbranch_execz .LBB127_2749
	s_branch .LBB127_2750
.LBB127_2813:
	s_mov_b32 s19, -1
	s_mov_b32 s18, 0
	s_mov_b32 s16, 0
	s_branch .LBB127_2817
.LBB127_2814:
	s_and_not1_saveexec_b32 s61, s61
	s_cbranch_execz .LBB127_1498
.LBB127_2815:
	v_add_f32_e64 v1, 0x46000000, |v4|
	s_and_not1_b32 s60, s60, exec_lo
	s_delay_alu instid0(VALU_DEP_1) | instskip(NEXT) | instid1(VALU_DEP_1)
	v_and_b32_e32 v1, 0xff, v1
	v_cmp_ne_u32_e32 vcc_lo, 0, v1
	s_and_b32 s62, vcc_lo, exec_lo
	s_delay_alu instid0(SALU_CYCLE_1)
	s_or_b32 s60, s60, s62
	s_or_b32 exec_lo, exec_lo, s61
	v_mov_b32_e32 v5, 0
	s_and_saveexec_b32 s61, s60
	s_cbranch_execnz .LBB127_1499
	s_branch .LBB127_1500
.LBB127_2816:
	s_mov_b32 s16, -1
	s_mov_b32 s18, 0
.LBB127_2817:
                                        ; implicit-def: $vgpr22
.LBB127_2818:
	s_and_b32 vcc_lo, exec_lo, s19
	s_cbranch_vccz .LBB127_2822
; %bb.2819:
	s_cmp_eq_u32 s15, 44
	s_cbranch_scc0 .LBB127_2821
; %bb.2820:
	global_load_u8 v7, v[20:21], off
	s_mov_b32 s16, 0
	s_mov_b32 s18, -1
	s_wait_loadcnt 0x0
	v_lshlrev_b32_e32 v9, 23, v7
	v_cmp_ne_u32_e32 vcc_lo, 0xff, v7
	s_delay_alu instid0(VALU_DEP_2) | instskip(SKIP_2) | instid1(VALU_DEP_2)
	v_cndmask_b32_e32 v9, 0x7f800001, v9, vcc_lo
	v_cmp_ne_u32_e32 vcc_lo, 0, v7
	s_wait_xcnt 0x1
	v_cndmask_b32_e32 v22, 0x400000, v9, vcc_lo
	s_branch .LBB127_2822
.LBB127_2821:
	s_mov_b32 s16, -1
                                        ; implicit-def: $vgpr22
.LBB127_2822:
	s_mov_b32 s19, 0
.LBB127_2823:
	s_delay_alu instid0(SALU_CYCLE_1)
	s_and_b32 vcc_lo, exec_lo, s19
	s_cbranch_vccz .LBB127_2827
; %bb.2824:
	s_cmp_eq_u32 s15, 29
	s_cbranch_scc0 .LBB127_2826
; %bb.2825:
	global_load_b64 v[22:23], v[20:21], off
	s_mov_b32 s16, 0
	s_mov_b32 s18, -1
	s_mov_b32 s19, 0
	s_wait_loadcnt 0x0
	v_clz_i32_u32_e32 v7, v23
	s_delay_alu instid0(VALU_DEP_1) | instskip(NEXT) | instid1(VALU_DEP_1)
	v_min_u32_e32 v7, 32, v7
	v_lshlrev_b64_e32 v[22:23], v7, v[22:23]
	v_sub_nc_u32_e32 v7, 32, v7
	s_delay_alu instid0(VALU_DEP_2) | instskip(NEXT) | instid1(VALU_DEP_1)
	v_min_u32_e32 v9, 1, v22
	v_or_b32_e32 v9, v23, v9
	s_delay_alu instid0(VALU_DEP_1) | instskip(NEXT) | instid1(VALU_DEP_1)
	v_cvt_f32_u32_e32 v9, v9
	v_ldexp_f32 v22, v9, v7
	s_branch .LBB127_2828
.LBB127_2826:
	s_mov_b32 s16, -1
                                        ; implicit-def: $vgpr22
.LBB127_2827:
	s_mov_b32 s19, 0
.LBB127_2828:
	s_delay_alu instid0(SALU_CYCLE_1)
	s_and_b32 vcc_lo, exec_lo, s19
	s_cbranch_vccz .LBB127_2846
; %bb.2829:
	s_cmp_lt_i32 s15, 27
	s_cbranch_scc1 .LBB127_2832
; %bb.2830:
	s_cmp_gt_i32 s15, 27
	s_cbranch_scc0 .LBB127_2833
; %bb.2831:
	global_load_b32 v7, v[20:21], off
	s_mov_b32 s18, 0
	s_wait_loadcnt 0x0
	s_wait_xcnt 0x1
	v_cvt_f32_u32_e32 v22, v7
	s_branch .LBB127_2834
.LBB127_2832:
	s_mov_b32 s18, -1
                                        ; implicit-def: $vgpr22
	s_branch .LBB127_2837
.LBB127_2833:
	s_mov_b32 s18, -1
                                        ; implicit-def: $vgpr22
.LBB127_2834:
	s_delay_alu instid0(SALU_CYCLE_1)
	s_and_not1_b32 vcc_lo, exec_lo, s18
	s_cbranch_vccnz .LBB127_2836
; %bb.2835:
	global_load_u16 v7, v[20:21], off
	s_wait_loadcnt 0x0
	s_wait_xcnt 0x1
	v_cvt_f32_u32_e32 v22, v7
.LBB127_2836:
	s_mov_b32 s18, 0
.LBB127_2837:
	s_delay_alu instid0(SALU_CYCLE_1)
	s_and_not1_b32 vcc_lo, exec_lo, s18
	s_cbranch_vccnz .LBB127_2845
; %bb.2838:
	global_load_u8 v7, v[20:21], off
	s_mov_b32 s18, 0
	s_mov_b32 s19, exec_lo
	s_wait_loadcnt 0x0
	v_cmpx_lt_i16_e32 0x7f, v7
	s_xor_b32 s19, exec_lo, s19
	s_cbranch_execz .LBB127_2859
; %bb.2839:
	s_mov_b32 s18, -1
	s_mov_b32 s20, exec_lo
	v_cmpx_eq_u16_e32 0x80, v7
; %bb.2840:
	s_xor_b32 s18, exec_lo, -1
; %bb.2841:
	s_or_b32 exec_lo, exec_lo, s20
	s_delay_alu instid0(SALU_CYCLE_1)
	s_and_b32 s18, s18, exec_lo
	s_or_saveexec_b32 s19, s19
	v_mov_b32_e32 v22, 0x7f800001
	s_xor_b32 exec_lo, exec_lo, s19
	s_cbranch_execnz .LBB127_2860
.LBB127_2842:
	s_or_b32 exec_lo, exec_lo, s19
	s_and_saveexec_b32 s19, s18
	s_cbranch_execz .LBB127_2844
.LBB127_2843:
	v_and_b32_e32 v9, 0xffff, v7
	s_delay_alu instid0(VALU_DEP_1) | instskip(SKIP_1) | instid1(VALU_DEP_2)
	v_dual_lshlrev_b32 v7, 24, v7 :: v_dual_bitop2_b32 v11, 7, v9 bitop3:0x40
	v_bfe_u32 v17, v9, 3, 4
	v_and_b32_e32 v7, 0x80000000, v7
	s_delay_alu instid0(VALU_DEP_3) | instskip(NEXT) | instid1(VALU_DEP_3)
	v_clz_i32_u32_e32 v13, v11
	v_cmp_eq_u32_e32 vcc_lo, 0, v17
	s_delay_alu instid0(VALU_DEP_2) | instskip(NEXT) | instid1(VALU_DEP_1)
	v_min_u32_e32 v13, 32, v13
	v_subrev_nc_u32_e32 v15, 28, v13
	v_sub_nc_u32_e32 v13, 29, v13
	s_delay_alu instid0(VALU_DEP_2) | instskip(NEXT) | instid1(VALU_DEP_2)
	v_lshlrev_b32_e32 v9, v15, v9
	v_cndmask_b32_e32 v13, v17, v13, vcc_lo
	s_delay_alu instid0(VALU_DEP_2) | instskip(NEXT) | instid1(VALU_DEP_1)
	v_and_b32_e32 v9, 7, v9
	v_cndmask_b32_e32 v9, v11, v9, vcc_lo
	s_delay_alu instid0(VALU_DEP_3) | instskip(NEXT) | instid1(VALU_DEP_2)
	v_lshl_add_u32 v11, v13, 23, 0x3b800000
	v_lshlrev_b32_e32 v9, 20, v9
	s_delay_alu instid0(VALU_DEP_1)
	v_or3_b32 v22, v7, v11, v9
.LBB127_2844:
	s_or_b32 exec_lo, exec_lo, s19
.LBB127_2845:
	s_mov_b32 s18, -1
.LBB127_2846:
	s_mov_b32 s19, 0
.LBB127_2847:
	s_delay_alu instid0(SALU_CYCLE_1)
	s_and_b32 vcc_lo, exec_lo, s19
	s_cbranch_vccz .LBB127_2880
; %bb.2848:
	s_cmp_gt_i32 s15, 22
	s_cbranch_scc0 .LBB127_2858
; %bb.2849:
	s_cmp_lt_i32 s15, 24
	s_cbranch_scc1 .LBB127_2861
; %bb.2850:
	s_cmp_gt_i32 s15, 24
	s_cbranch_scc0 .LBB127_2862
; %bb.2851:
	global_load_u8 v7, v[20:21], off
	s_mov_b32 s18, exec_lo
	s_wait_loadcnt 0x0
	v_cmpx_lt_i16_e32 0x7f, v7
	s_xor_b32 s18, exec_lo, s18
	s_cbranch_execz .LBB127_2874
; %bb.2852:
	s_mov_b32 s17, -1
	s_mov_b32 s19, exec_lo
	v_cmpx_eq_u16_e32 0x80, v7
; %bb.2853:
	s_xor_b32 s17, exec_lo, -1
; %bb.2854:
	s_or_b32 exec_lo, exec_lo, s19
	s_delay_alu instid0(SALU_CYCLE_1)
	s_and_b32 s17, s17, exec_lo
	s_or_saveexec_b32 s18, s18
	v_mov_b32_e32 v22, 0x7f800001
	s_xor_b32 exec_lo, exec_lo, s18
	s_cbranch_execnz .LBB127_2875
.LBB127_2855:
	s_or_b32 exec_lo, exec_lo, s18
	s_and_saveexec_b32 s18, s17
	s_cbranch_execz .LBB127_2857
.LBB127_2856:
	v_and_b32_e32 v9, 0xffff, v7
	s_delay_alu instid0(VALU_DEP_1) | instskip(SKIP_1) | instid1(VALU_DEP_2)
	v_dual_lshlrev_b32 v7, 24, v7 :: v_dual_bitop2_b32 v11, 3, v9 bitop3:0x40
	v_bfe_u32 v17, v9, 2, 5
	v_and_b32_e32 v7, 0x80000000, v7
	s_delay_alu instid0(VALU_DEP_3) | instskip(NEXT) | instid1(VALU_DEP_3)
	v_clz_i32_u32_e32 v13, v11
	v_cmp_eq_u32_e32 vcc_lo, 0, v17
	s_delay_alu instid0(VALU_DEP_2) | instskip(NEXT) | instid1(VALU_DEP_1)
	v_min_u32_e32 v13, 32, v13
	v_subrev_nc_u32_e32 v15, 29, v13
	v_sub_nc_u32_e32 v13, 30, v13
	s_delay_alu instid0(VALU_DEP_2) | instskip(NEXT) | instid1(VALU_DEP_2)
	v_lshlrev_b32_e32 v9, v15, v9
	v_cndmask_b32_e32 v13, v17, v13, vcc_lo
	s_delay_alu instid0(VALU_DEP_2) | instskip(NEXT) | instid1(VALU_DEP_1)
	v_and_b32_e32 v9, 3, v9
	v_cndmask_b32_e32 v9, v11, v9, vcc_lo
	s_delay_alu instid0(VALU_DEP_3) | instskip(NEXT) | instid1(VALU_DEP_2)
	v_lshl_add_u32 v11, v13, 23, 0x37800000
	v_lshlrev_b32_e32 v9, 21, v9
	s_delay_alu instid0(VALU_DEP_1)
	v_or3_b32 v22, v7, v11, v9
.LBB127_2857:
	s_or_b32 exec_lo, exec_lo, s18
	s_mov_b32 s17, 0
	s_branch .LBB127_2863
.LBB127_2858:
	s_mov_b32 s17, -1
                                        ; implicit-def: $vgpr22
	s_branch .LBB127_2869
.LBB127_2859:
	s_or_saveexec_b32 s19, s19
	v_mov_b32_e32 v22, 0x7f800001
	s_xor_b32 exec_lo, exec_lo, s19
	s_cbranch_execz .LBB127_2842
.LBB127_2860:
	v_cmp_ne_u16_e32 vcc_lo, 0, v7
	v_mov_b32_e32 v22, 0
	s_and_not1_b32 s18, s18, exec_lo
	s_and_b32 s20, vcc_lo, exec_lo
	s_delay_alu instid0(SALU_CYCLE_1)
	s_or_b32 s18, s18, s20
	s_or_b32 exec_lo, exec_lo, s19
	s_and_saveexec_b32 s19, s18
	s_cbranch_execnz .LBB127_2843
	s_branch .LBB127_2844
.LBB127_2861:
	s_mov_b32 s17, -1
                                        ; implicit-def: $vgpr22
	s_branch .LBB127_2866
.LBB127_2862:
	s_mov_b32 s17, -1
                                        ; implicit-def: $vgpr22
.LBB127_2863:
	s_delay_alu instid0(SALU_CYCLE_1)
	s_and_b32 vcc_lo, exec_lo, s17
	s_cbranch_vccz .LBB127_2865
; %bb.2864:
	global_load_u8 v7, v[20:21], off
	s_wait_loadcnt 0x0
	v_lshlrev_b32_e32 v7, 24, v7
	s_delay_alu instid0(VALU_DEP_1) | instskip(NEXT) | instid1(VALU_DEP_1)
	v_and_b32_e32 v9, 0x7f000000, v7
	v_clz_i32_u32_e32 v11, v9
	v_add_nc_u32_e32 v15, 0x1000000, v9
	v_cmp_ne_u32_e32 vcc_lo, 0, v9
	s_delay_alu instid0(VALU_DEP_3) | instskip(NEXT) | instid1(VALU_DEP_1)
	v_min_u32_e32 v11, 32, v11
	v_sub_nc_u32_e64 v11, v11, 4 clamp
	s_delay_alu instid0(VALU_DEP_1) | instskip(NEXT) | instid1(VALU_DEP_1)
	v_dual_lshlrev_b32 v13, v11, v9 :: v_dual_lshlrev_b32 v11, 23, v11
	v_lshrrev_b32_e32 v13, 4, v13
	s_delay_alu instid0(VALU_DEP_1) | instskip(SKIP_1) | instid1(VALU_DEP_2)
	v_sub_nc_u32_e32 v11, v13, v11
	v_ashrrev_i32_e32 v13, 8, v15
	v_add_nc_u32_e32 v11, 0x3c000000, v11
	s_delay_alu instid0(VALU_DEP_1) | instskip(NEXT) | instid1(VALU_DEP_1)
	v_and_or_b32 v11, 0x7f800000, v13, v11
	v_cndmask_b32_e32 v9, 0, v11, vcc_lo
	s_wait_xcnt 0x1
	s_delay_alu instid0(VALU_DEP_1)
	v_and_or_b32 v22, 0x80000000, v7, v9
.LBB127_2865:
	s_mov_b32 s17, 0
.LBB127_2866:
	s_delay_alu instid0(SALU_CYCLE_1)
	s_and_not1_b32 vcc_lo, exec_lo, s17
	s_cbranch_vccnz .LBB127_2868
; %bb.2867:
	global_load_u8 v7, v[20:21], off
	s_wait_loadcnt 0x0
	v_lshlrev_b32_e32 v9, 25, v7
	v_lshlrev_b16 v7, 8, v7
	s_delay_alu instid0(VALU_DEP_1) | instskip(SKIP_1) | instid1(VALU_DEP_2)
	v_and_or_b32 v13, 0x7f00, v7, 0.5
	v_bfe_i32 v7, v7, 0, 16
	v_add_f32_e32 v13, -0.5, v13
	v_lshrrev_b32_e32 v11, 4, v9
	v_cmp_gt_u32_e32 vcc_lo, 0x8000000, v9
	s_delay_alu instid0(VALU_DEP_2) | instskip(NEXT) | instid1(VALU_DEP_1)
	v_or_b32_e32 v11, 0x70000000, v11
	v_mul_f32_e32 v11, 0x7800000, v11
	s_delay_alu instid0(VALU_DEP_1) | instskip(SKIP_1) | instid1(VALU_DEP_1)
	v_cndmask_b32_e32 v9, v11, v13, vcc_lo
	s_wait_xcnt 0x1
	v_and_or_b32 v22, 0x80000000, v7, v9
.LBB127_2868:
	s_mov_b32 s17, 0
	s_mov_b32 s18, -1
.LBB127_2869:
	s_and_not1_b32 vcc_lo, exec_lo, s17
	s_mov_b32 s17, 0
	s_cbranch_vccnz .LBB127_2880
; %bb.2870:
	s_cmp_gt_i32 s15, 14
	s_cbranch_scc0 .LBB127_2873
; %bb.2871:
	s_cmp_eq_u32 s15, 15
	s_cbranch_scc0 .LBB127_2876
; %bb.2872:
	global_load_u16 v7, v[20:21], off
	s_mov_b32 s16, 0
	s_mov_b32 s18, -1
	s_wait_loadcnt 0x0
	s_wait_xcnt 0x1
	v_lshlrev_b32_e32 v22, 16, v7
	s_branch .LBB127_2878
.LBB127_2873:
	s_mov_b32 s17, -1
	s_branch .LBB127_2877
.LBB127_2874:
	s_or_saveexec_b32 s18, s18
	v_mov_b32_e32 v22, 0x7f800001
	s_xor_b32 exec_lo, exec_lo, s18
	s_cbranch_execz .LBB127_2855
.LBB127_2875:
	v_cmp_ne_u16_e32 vcc_lo, 0, v7
	v_mov_b32_e32 v22, 0
	s_and_not1_b32 s17, s17, exec_lo
	s_and_b32 s19, vcc_lo, exec_lo
	s_delay_alu instid0(SALU_CYCLE_1)
	s_or_b32 s17, s17, s19
	s_or_b32 exec_lo, exec_lo, s18
	s_and_saveexec_b32 s18, s17
	s_cbranch_execnz .LBB127_2856
	s_branch .LBB127_2857
.LBB127_2876:
	s_mov_b32 s16, -1
.LBB127_2877:
                                        ; implicit-def: $vgpr22
.LBB127_2878:
	s_and_b32 vcc_lo, exec_lo, s17
	s_mov_b32 s17, 0
	s_cbranch_vccz .LBB127_2880
; %bb.2879:
	s_cmp_lg_u32 s15, 11
	s_mov_b32 s17, -1
	s_cselect_b32 s16, -1, 0
.LBB127_2880:
	s_delay_alu instid0(SALU_CYCLE_1)
	s_and_b32 vcc_lo, exec_lo, s16
	s_cbranch_vccnz .LBB127_2945
; %bb.2881:
	s_and_not1_b32 vcc_lo, exec_lo, s17
	s_cbranch_vccnz .LBB127_2883
.LBB127_2882:
	global_load_u8 v7, v[20:21], off
	s_mov_b32 s18, -1
	s_wait_loadcnt 0x0
	v_cmp_ne_u16_e32 vcc_lo, 0, v7
	s_wait_xcnt 0x1
	v_cndmask_b32_e64 v22, 0, 1.0, vcc_lo
.LBB127_2883:
	s_mov_b32 s16, 0
.LBB127_2884:
	s_delay_alu instid0(SALU_CYCLE_1)
	s_and_b32 vcc_lo, exec_lo, s16
	s_cbranch_vccz .LBB127_2933
; %bb.2885:
	s_cmp_lt_i32 s15, 5
	s_cbranch_scc1 .LBB127_2890
; %bb.2886:
	s_cmp_lt_i32 s15, 8
	s_cbranch_scc1 .LBB127_2891
	;; [unrolled: 3-line block ×3, first 2 shown]
; %bb.2888:
	s_cmp_gt_i32 s15, 9
	s_cbranch_scc0 .LBB127_2893
; %bb.2889:
	global_load_b64 v[22:23], v[20:21], off
	s_mov_b32 s16, 0
	s_wait_loadcnt 0x0
	v_cvt_f32_f64_e32 v22, v[22:23]
	s_branch .LBB127_2894
.LBB127_2890:
	s_mov_b32 s16, -1
                                        ; implicit-def: $vgpr22
	s_branch .LBB127_2912
.LBB127_2891:
	s_mov_b32 s16, -1
                                        ; implicit-def: $vgpr22
	s_branch .LBB127_2900
.LBB127_2892:
	s_mov_b32 s16, -1
                                        ; implicit-def: $vgpr22
	s_branch .LBB127_2897
.LBB127_2893:
	s_mov_b32 s16, -1
                                        ; implicit-def: $vgpr22
.LBB127_2894:
	s_delay_alu instid0(SALU_CYCLE_1)
	s_and_not1_b32 vcc_lo, exec_lo, s16
	s_cbranch_vccnz .LBB127_2896
; %bb.2895:
	global_load_b32 v22, v[20:21], off
.LBB127_2896:
	s_mov_b32 s16, 0
.LBB127_2897:
	s_delay_alu instid0(SALU_CYCLE_1)
	s_and_not1_b32 vcc_lo, exec_lo, s16
	s_cbranch_vccnz .LBB127_2899
; %bb.2898:
	global_load_b32 v7, v[20:21], off
	s_wait_loadcnt 0x0
	s_wait_xcnt 0x1
	v_cvt_f32_f16_e32 v22, v7
.LBB127_2899:
	s_mov_b32 s16, 0
.LBB127_2900:
	s_delay_alu instid0(SALU_CYCLE_1)
	s_and_not1_b32 vcc_lo, exec_lo, s16
	s_cbranch_vccnz .LBB127_2911
; %bb.2901:
	s_cmp_lt_i32 s15, 6
	s_cbranch_scc1 .LBB127_2904
; %bb.2902:
	s_cmp_gt_i32 s15, 6
	s_cbranch_scc0 .LBB127_2905
; %bb.2903:
	s_wait_loadcnt 0x0
	global_load_b64 v[22:23], v[20:21], off
	s_mov_b32 s16, 0
	s_wait_loadcnt 0x0
	v_cvt_f32_f64_e32 v22, v[22:23]
	s_branch .LBB127_2906
.LBB127_2904:
	s_mov_b32 s16, -1
                                        ; implicit-def: $vgpr22
	s_branch .LBB127_2909
.LBB127_2905:
	s_mov_b32 s16, -1
                                        ; implicit-def: $vgpr22
.LBB127_2906:
	s_delay_alu instid0(SALU_CYCLE_1)
	s_and_not1_b32 vcc_lo, exec_lo, s16
	s_cbranch_vccnz .LBB127_2908
; %bb.2907:
	s_wait_loadcnt 0x0
	global_load_b32 v22, v[20:21], off
.LBB127_2908:
	s_mov_b32 s16, 0
.LBB127_2909:
	s_delay_alu instid0(SALU_CYCLE_1)
	s_and_not1_b32 vcc_lo, exec_lo, s16
	s_cbranch_vccnz .LBB127_2911
; %bb.2910:
	global_load_u16 v7, v[20:21], off
	s_wait_loadcnt 0x0
	s_wait_xcnt 0x1
	v_cvt_f32_f16_e32 v22, v7
.LBB127_2911:
	s_mov_b32 s16, 0
.LBB127_2912:
	s_delay_alu instid0(SALU_CYCLE_1)
	s_and_not1_b32 vcc_lo, exec_lo, s16
	s_cbranch_vccnz .LBB127_2932
; %bb.2913:
	s_cmp_lt_i32 s15, 2
	s_cbranch_scc1 .LBB127_2917
; %bb.2914:
	s_cmp_lt_i32 s15, 3
	s_cbranch_scc1 .LBB127_2918
; %bb.2915:
	s_cmp_gt_i32 s15, 3
	s_cbranch_scc0 .LBB127_2919
; %bb.2916:
	s_wait_loadcnt 0x0
	global_load_b64 v[22:23], v[20:21], off
	s_mov_b32 s16, 0
	s_wait_loadcnt 0x0
	v_xor_b32_e32 v7, v22, v23
	v_cls_i32_e32 v9, v23
	s_delay_alu instid0(VALU_DEP_2) | instskip(NEXT) | instid1(VALU_DEP_1)
	v_ashrrev_i32_e32 v7, 31, v7
	v_add_nc_u32_e32 v7, 32, v7
	s_delay_alu instid0(VALU_DEP_1) | instskip(NEXT) | instid1(VALU_DEP_1)
	v_add_min_u32_e64 v7, v9, -1, v7
	v_lshlrev_b64_e32 v[22:23], v7, v[22:23]
	v_sub_nc_u32_e32 v7, 32, v7
	s_delay_alu instid0(VALU_DEP_2) | instskip(NEXT) | instid1(VALU_DEP_1)
	v_min_u32_e32 v9, 1, v22
	v_or_b32_e32 v9, v23, v9
	s_delay_alu instid0(VALU_DEP_1) | instskip(NEXT) | instid1(VALU_DEP_1)
	v_cvt_f32_i32_e32 v9, v9
	v_ldexp_f32 v22, v9, v7
	s_branch .LBB127_2920
.LBB127_2917:
	s_mov_b32 s16, -1
                                        ; implicit-def: $vgpr22
	s_branch .LBB127_2926
.LBB127_2918:
	s_mov_b32 s16, -1
                                        ; implicit-def: $vgpr22
	s_branch .LBB127_2923
.LBB127_2919:
	s_mov_b32 s16, -1
                                        ; implicit-def: $vgpr22
.LBB127_2920:
	s_delay_alu instid0(SALU_CYCLE_1)
	s_and_not1_b32 vcc_lo, exec_lo, s16
	s_cbranch_vccnz .LBB127_2922
; %bb.2921:
	global_load_b32 v7, v[20:21], off
	s_wait_loadcnt 0x0
	s_wait_xcnt 0x1
	v_cvt_f32_i32_e32 v22, v7
.LBB127_2922:
	s_mov_b32 s16, 0
.LBB127_2923:
	s_delay_alu instid0(SALU_CYCLE_1)
	s_and_not1_b32 vcc_lo, exec_lo, s16
	s_cbranch_vccnz .LBB127_2925
; %bb.2924:
	global_load_i16 v7, v[20:21], off
	s_wait_loadcnt 0x0
	s_wait_xcnt 0x1
	v_cvt_f32_i32_e32 v22, v7
.LBB127_2925:
	s_mov_b32 s16, 0
.LBB127_2926:
	s_delay_alu instid0(SALU_CYCLE_1)
	s_and_not1_b32 vcc_lo, exec_lo, s16
	s_cbranch_vccnz .LBB127_2932
; %bb.2927:
	s_cmp_gt_i32 s15, 0
	s_mov_b32 s16, 0
	s_cbranch_scc0 .LBB127_2929
; %bb.2928:
	global_load_i8 v7, v[20:21], off
	s_wait_loadcnt 0x0
	s_wait_xcnt 0x1
	v_cvt_f32_i32_e32 v22, v7
	s_branch .LBB127_2930
.LBB127_2929:
	s_mov_b32 s16, -1
                                        ; implicit-def: $vgpr22
.LBB127_2930:
	s_delay_alu instid0(SALU_CYCLE_1)
	s_and_not1_b32 vcc_lo, exec_lo, s16
	s_cbranch_vccnz .LBB127_2932
; %bb.2931:
	global_load_u8 v7, v[20:21], off
	s_wait_loadcnt 0x0
	s_wait_xcnt 0x1
	v_cvt_f32_ubyte0_e32 v22, v7
.LBB127_2932:
	s_mov_b32 s18, -1
.LBB127_2933:
	s_delay_alu instid0(SALU_CYCLE_1)
	s_and_not1_b32 vcc_lo, exec_lo, s18
	s_cbranch_vccnz .LBB127_4155
; %bb.2934:
	v_mov_b32_e32 v19, 0
	s_cmp_lt_i32 s10, 11
	s_delay_alu instid0(VALU_DEP_1)
	v_add_nc_u64_e32 v[18:19], s[6:7], v[18:19]
	s_cbranch_scc1 .LBB127_2941
; %bb.2935:
	s_cmp_gt_i32 s10, 25
	s_mov_b32 s17, 0
	s_cbranch_scc0 .LBB127_2942
; %bb.2936:
	s_cmp_gt_i32 s10, 28
	s_cbranch_scc0 .LBB127_2943
; %bb.2937:
	s_cmp_gt_i32 s10, 43
	;; [unrolled: 3-line block ×3, first 2 shown]
	s_cbranch_scc0 .LBB127_2946
; %bb.2939:
	s_cmp_eq_u32 s10, 46
	s_mov_b32 s19, 0
	s_cbranch_scc0 .LBB127_2949
; %bb.2940:
	global_load_b32 v7, v[18:19], off
	s_mov_b32 s16, 0
	s_mov_b32 s18, -1
	s_wait_loadcnt 0x0
	s_wait_xcnt 0x1
	v_lshlrev_b32_e32 v20, 16, v7
	s_branch .LBB127_2951
.LBB127_2941:
	s_mov_b32 s16, -1
	s_mov_b32 s18, 0
                                        ; implicit-def: $vgpr20
	s_branch .LBB127_3017
.LBB127_2942:
	s_mov_b32 s19, -1
	s_mov_b32 s18, 0
	s_mov_b32 s16, 0
                                        ; implicit-def: $vgpr20
	s_branch .LBB127_2980
.LBB127_2943:
	s_mov_b32 s19, -1
	s_mov_b32 s18, 0
	s_mov_b32 s16, 0
                                        ; implicit-def: $vgpr20
	s_branch .LBB127_2961
.LBB127_2944:
	s_mov_b32 s19, -1
	s_mov_b32 s18, 0
	s_mov_b32 s16, 0
                                        ; implicit-def: $vgpr20
	s_branch .LBB127_2956
.LBB127_2945:
	s_or_b32 s13, s13, exec_lo
	s_trap 2
	s_cbranch_execz .LBB127_2882
	s_branch .LBB127_2883
.LBB127_2946:
	s_mov_b32 s19, -1
	s_mov_b32 s18, 0
	s_mov_b32 s16, 0
	s_branch .LBB127_2950
.LBB127_2947:
	s_and_not1_saveexec_b32 s61, s61
	s_cbranch_execz .LBB127_1511
.LBB127_2948:
	v_add_f32_e64 v1, 0x42800000, |v4|
	s_and_not1_b32 s60, s60, exec_lo
	s_delay_alu instid0(VALU_DEP_1) | instskip(NEXT) | instid1(VALU_DEP_1)
	v_and_b32_e32 v1, 0xff, v1
	v_cmp_ne_u32_e32 vcc_lo, 0, v1
	s_and_b32 s62, vcc_lo, exec_lo
	s_delay_alu instid0(SALU_CYCLE_1)
	s_or_b32 s60, s60, s62
	s_or_b32 exec_lo, exec_lo, s61
	v_mov_b32_e32 v5, 0
	s_and_saveexec_b32 s61, s60
	s_cbranch_execnz .LBB127_1512
	s_branch .LBB127_1513
.LBB127_2949:
	s_mov_b32 s16, -1
	s_mov_b32 s18, 0
.LBB127_2950:
                                        ; implicit-def: $vgpr20
.LBB127_2951:
	s_and_b32 vcc_lo, exec_lo, s19
	s_cbranch_vccz .LBB127_2955
; %bb.2952:
	s_cmp_eq_u32 s10, 44
	s_cbranch_scc0 .LBB127_2954
; %bb.2953:
	global_load_u8 v7, v[18:19], off
	s_mov_b32 s16, 0
	s_mov_b32 s18, -1
	s_wait_loadcnt 0x0
	v_lshlrev_b32_e32 v9, 23, v7
	v_cmp_ne_u32_e32 vcc_lo, 0xff, v7
	s_delay_alu instid0(VALU_DEP_2) | instskip(SKIP_2) | instid1(VALU_DEP_2)
	v_cndmask_b32_e32 v9, 0x7f800001, v9, vcc_lo
	v_cmp_ne_u32_e32 vcc_lo, 0, v7
	s_wait_xcnt 0x1
	v_cndmask_b32_e32 v20, 0x400000, v9, vcc_lo
	s_branch .LBB127_2955
.LBB127_2954:
	s_mov_b32 s16, -1
                                        ; implicit-def: $vgpr20
.LBB127_2955:
	s_mov_b32 s19, 0
.LBB127_2956:
	s_delay_alu instid0(SALU_CYCLE_1)
	s_and_b32 vcc_lo, exec_lo, s19
	s_cbranch_vccz .LBB127_2960
; %bb.2957:
	s_cmp_eq_u32 s10, 29
	s_cbranch_scc0 .LBB127_2959
; %bb.2958:
	global_load_b64 v[20:21], v[18:19], off
	s_mov_b32 s16, 0
	s_mov_b32 s18, -1
	s_mov_b32 s19, 0
	s_wait_loadcnt 0x0
	v_clz_i32_u32_e32 v7, v21
	s_delay_alu instid0(VALU_DEP_1) | instskip(NEXT) | instid1(VALU_DEP_1)
	v_min_u32_e32 v7, 32, v7
	v_lshlrev_b64_e32 v[20:21], v7, v[20:21]
	v_sub_nc_u32_e32 v7, 32, v7
	s_delay_alu instid0(VALU_DEP_2) | instskip(NEXT) | instid1(VALU_DEP_1)
	v_min_u32_e32 v9, 1, v20
	v_or_b32_e32 v9, v21, v9
	s_delay_alu instid0(VALU_DEP_1) | instskip(NEXT) | instid1(VALU_DEP_1)
	v_cvt_f32_u32_e32 v9, v9
	v_ldexp_f32 v20, v9, v7
	s_branch .LBB127_2961
.LBB127_2959:
	s_mov_b32 s16, -1
                                        ; implicit-def: $vgpr20
.LBB127_2960:
	s_mov_b32 s19, 0
.LBB127_2961:
	s_delay_alu instid0(SALU_CYCLE_1)
	s_and_b32 vcc_lo, exec_lo, s19
	s_cbranch_vccz .LBB127_2979
; %bb.2962:
	s_cmp_lt_i32 s10, 27
	s_cbranch_scc1 .LBB127_2965
; %bb.2963:
	s_cmp_gt_i32 s10, 27
	s_cbranch_scc0 .LBB127_2966
; %bb.2964:
	global_load_b32 v7, v[18:19], off
	s_mov_b32 s18, 0
	s_wait_loadcnt 0x0
	s_wait_xcnt 0x1
	v_cvt_f32_u32_e32 v20, v7
	s_branch .LBB127_2967
.LBB127_2965:
	s_mov_b32 s18, -1
                                        ; implicit-def: $vgpr20
	s_branch .LBB127_2970
.LBB127_2966:
	s_mov_b32 s18, -1
                                        ; implicit-def: $vgpr20
.LBB127_2967:
	s_delay_alu instid0(SALU_CYCLE_1)
	s_and_not1_b32 vcc_lo, exec_lo, s18
	s_cbranch_vccnz .LBB127_2969
; %bb.2968:
	global_load_u16 v7, v[18:19], off
	s_wait_loadcnt 0x0
	s_wait_xcnt 0x1
	v_cvt_f32_u32_e32 v20, v7
.LBB127_2969:
	s_mov_b32 s18, 0
.LBB127_2970:
	s_delay_alu instid0(SALU_CYCLE_1)
	s_and_not1_b32 vcc_lo, exec_lo, s18
	s_cbranch_vccnz .LBB127_2978
; %bb.2971:
	global_load_u8 v7, v[18:19], off
	s_mov_b32 s18, 0
	s_mov_b32 s19, exec_lo
	s_wait_loadcnt 0x0
	v_cmpx_lt_i16_e32 0x7f, v7
	s_xor_b32 s19, exec_lo, s19
	s_cbranch_execz .LBB127_2992
; %bb.2972:
	s_mov_b32 s18, -1
	s_mov_b32 s20, exec_lo
	v_cmpx_eq_u16_e32 0x80, v7
; %bb.2973:
	s_xor_b32 s18, exec_lo, -1
; %bb.2974:
	s_or_b32 exec_lo, exec_lo, s20
	s_delay_alu instid0(SALU_CYCLE_1)
	s_and_b32 s18, s18, exec_lo
	s_or_saveexec_b32 s19, s19
	v_mov_b32_e32 v20, 0x7f800001
	s_xor_b32 exec_lo, exec_lo, s19
	s_cbranch_execnz .LBB127_2993
.LBB127_2975:
	s_or_b32 exec_lo, exec_lo, s19
	s_and_saveexec_b32 s19, s18
	s_cbranch_execz .LBB127_2977
.LBB127_2976:
	v_and_b32_e32 v9, 0xffff, v7
	s_delay_alu instid0(VALU_DEP_1) | instskip(SKIP_1) | instid1(VALU_DEP_2)
	v_dual_lshlrev_b32 v7, 24, v7 :: v_dual_bitop2_b32 v11, 7, v9 bitop3:0x40
	v_bfe_u32 v17, v9, 3, 4
	v_and_b32_e32 v7, 0x80000000, v7
	s_delay_alu instid0(VALU_DEP_3) | instskip(NEXT) | instid1(VALU_DEP_3)
	v_clz_i32_u32_e32 v13, v11
	v_cmp_eq_u32_e32 vcc_lo, 0, v17
	s_delay_alu instid0(VALU_DEP_2) | instskip(NEXT) | instid1(VALU_DEP_1)
	v_min_u32_e32 v13, 32, v13
	v_subrev_nc_u32_e32 v15, 28, v13
	v_sub_nc_u32_e32 v13, 29, v13
	s_delay_alu instid0(VALU_DEP_2) | instskip(NEXT) | instid1(VALU_DEP_2)
	v_lshlrev_b32_e32 v9, v15, v9
	v_cndmask_b32_e32 v13, v17, v13, vcc_lo
	s_delay_alu instid0(VALU_DEP_2) | instskip(NEXT) | instid1(VALU_DEP_1)
	v_and_b32_e32 v9, 7, v9
	v_cndmask_b32_e32 v9, v11, v9, vcc_lo
	s_delay_alu instid0(VALU_DEP_3) | instskip(NEXT) | instid1(VALU_DEP_2)
	v_lshl_add_u32 v11, v13, 23, 0x3b800000
	v_lshlrev_b32_e32 v9, 20, v9
	s_delay_alu instid0(VALU_DEP_1)
	v_or3_b32 v20, v7, v11, v9
.LBB127_2977:
	s_or_b32 exec_lo, exec_lo, s19
.LBB127_2978:
	s_mov_b32 s18, -1
.LBB127_2979:
	s_mov_b32 s19, 0
.LBB127_2980:
	s_delay_alu instid0(SALU_CYCLE_1)
	s_and_b32 vcc_lo, exec_lo, s19
	s_cbranch_vccz .LBB127_3013
; %bb.2981:
	s_cmp_gt_i32 s10, 22
	s_cbranch_scc0 .LBB127_2991
; %bb.2982:
	s_cmp_lt_i32 s10, 24
	s_cbranch_scc1 .LBB127_2994
; %bb.2983:
	s_cmp_gt_i32 s10, 24
	s_cbranch_scc0 .LBB127_2995
; %bb.2984:
	global_load_u8 v7, v[18:19], off
	s_mov_b32 s18, exec_lo
	s_wait_loadcnt 0x0
	v_cmpx_lt_i16_e32 0x7f, v7
	s_xor_b32 s18, exec_lo, s18
	s_cbranch_execz .LBB127_3007
; %bb.2985:
	s_mov_b32 s17, -1
	s_mov_b32 s19, exec_lo
	v_cmpx_eq_u16_e32 0x80, v7
; %bb.2986:
	s_xor_b32 s17, exec_lo, -1
; %bb.2987:
	s_or_b32 exec_lo, exec_lo, s19
	s_delay_alu instid0(SALU_CYCLE_1)
	s_and_b32 s17, s17, exec_lo
	s_or_saveexec_b32 s18, s18
	v_mov_b32_e32 v20, 0x7f800001
	s_xor_b32 exec_lo, exec_lo, s18
	s_cbranch_execnz .LBB127_3008
.LBB127_2988:
	s_or_b32 exec_lo, exec_lo, s18
	s_and_saveexec_b32 s18, s17
	s_cbranch_execz .LBB127_2990
.LBB127_2989:
	v_and_b32_e32 v9, 0xffff, v7
	s_delay_alu instid0(VALU_DEP_1) | instskip(SKIP_1) | instid1(VALU_DEP_2)
	v_dual_lshlrev_b32 v7, 24, v7 :: v_dual_bitop2_b32 v11, 3, v9 bitop3:0x40
	v_bfe_u32 v17, v9, 2, 5
	v_and_b32_e32 v7, 0x80000000, v7
	s_delay_alu instid0(VALU_DEP_3) | instskip(NEXT) | instid1(VALU_DEP_3)
	v_clz_i32_u32_e32 v13, v11
	v_cmp_eq_u32_e32 vcc_lo, 0, v17
	s_delay_alu instid0(VALU_DEP_2) | instskip(NEXT) | instid1(VALU_DEP_1)
	v_min_u32_e32 v13, 32, v13
	v_subrev_nc_u32_e32 v15, 29, v13
	v_sub_nc_u32_e32 v13, 30, v13
	s_delay_alu instid0(VALU_DEP_2) | instskip(NEXT) | instid1(VALU_DEP_2)
	v_lshlrev_b32_e32 v9, v15, v9
	v_cndmask_b32_e32 v13, v17, v13, vcc_lo
	s_delay_alu instid0(VALU_DEP_2) | instskip(NEXT) | instid1(VALU_DEP_1)
	v_and_b32_e32 v9, 3, v9
	v_cndmask_b32_e32 v9, v11, v9, vcc_lo
	s_delay_alu instid0(VALU_DEP_3) | instskip(NEXT) | instid1(VALU_DEP_2)
	v_lshl_add_u32 v11, v13, 23, 0x37800000
	v_lshlrev_b32_e32 v9, 21, v9
	s_delay_alu instid0(VALU_DEP_1)
	v_or3_b32 v20, v7, v11, v9
.LBB127_2990:
	s_or_b32 exec_lo, exec_lo, s18
	s_mov_b32 s17, 0
	s_branch .LBB127_2996
.LBB127_2991:
	s_mov_b32 s17, -1
                                        ; implicit-def: $vgpr20
	s_branch .LBB127_3002
.LBB127_2992:
	s_or_saveexec_b32 s19, s19
	v_mov_b32_e32 v20, 0x7f800001
	s_xor_b32 exec_lo, exec_lo, s19
	s_cbranch_execz .LBB127_2975
.LBB127_2993:
	v_cmp_ne_u16_e32 vcc_lo, 0, v7
	v_mov_b32_e32 v20, 0
	s_and_not1_b32 s18, s18, exec_lo
	s_and_b32 s20, vcc_lo, exec_lo
	s_delay_alu instid0(SALU_CYCLE_1)
	s_or_b32 s18, s18, s20
	s_or_b32 exec_lo, exec_lo, s19
	s_and_saveexec_b32 s19, s18
	s_cbranch_execnz .LBB127_2976
	s_branch .LBB127_2977
.LBB127_2994:
	s_mov_b32 s17, -1
                                        ; implicit-def: $vgpr20
	s_branch .LBB127_2999
.LBB127_2995:
	s_mov_b32 s17, -1
                                        ; implicit-def: $vgpr20
.LBB127_2996:
	s_delay_alu instid0(SALU_CYCLE_1)
	s_and_b32 vcc_lo, exec_lo, s17
	s_cbranch_vccz .LBB127_2998
; %bb.2997:
	global_load_u8 v7, v[18:19], off
	s_wait_loadcnt 0x0
	v_lshlrev_b32_e32 v7, 24, v7
	s_delay_alu instid0(VALU_DEP_1) | instskip(NEXT) | instid1(VALU_DEP_1)
	v_and_b32_e32 v9, 0x7f000000, v7
	v_clz_i32_u32_e32 v11, v9
	v_add_nc_u32_e32 v15, 0x1000000, v9
	v_cmp_ne_u32_e32 vcc_lo, 0, v9
	s_delay_alu instid0(VALU_DEP_3) | instskip(NEXT) | instid1(VALU_DEP_1)
	v_min_u32_e32 v11, 32, v11
	v_sub_nc_u32_e64 v11, v11, 4 clamp
	s_delay_alu instid0(VALU_DEP_1) | instskip(NEXT) | instid1(VALU_DEP_1)
	v_dual_lshlrev_b32 v13, v11, v9 :: v_dual_lshlrev_b32 v11, 23, v11
	v_lshrrev_b32_e32 v13, 4, v13
	s_delay_alu instid0(VALU_DEP_1) | instskip(SKIP_1) | instid1(VALU_DEP_2)
	v_sub_nc_u32_e32 v11, v13, v11
	v_ashrrev_i32_e32 v13, 8, v15
	v_add_nc_u32_e32 v11, 0x3c000000, v11
	s_delay_alu instid0(VALU_DEP_1) | instskip(NEXT) | instid1(VALU_DEP_1)
	v_and_or_b32 v11, 0x7f800000, v13, v11
	v_cndmask_b32_e32 v9, 0, v11, vcc_lo
	s_wait_xcnt 0x1
	s_delay_alu instid0(VALU_DEP_1)
	v_and_or_b32 v20, 0x80000000, v7, v9
.LBB127_2998:
	s_mov_b32 s17, 0
.LBB127_2999:
	s_delay_alu instid0(SALU_CYCLE_1)
	s_and_not1_b32 vcc_lo, exec_lo, s17
	s_cbranch_vccnz .LBB127_3001
; %bb.3000:
	global_load_u8 v7, v[18:19], off
	s_wait_loadcnt 0x0
	v_lshlrev_b32_e32 v9, 25, v7
	v_lshlrev_b16 v7, 8, v7
	s_delay_alu instid0(VALU_DEP_1) | instskip(SKIP_1) | instid1(VALU_DEP_2)
	v_and_or_b32 v13, 0x7f00, v7, 0.5
	v_bfe_i32 v7, v7, 0, 16
	v_add_f32_e32 v13, -0.5, v13
	v_lshrrev_b32_e32 v11, 4, v9
	v_cmp_gt_u32_e32 vcc_lo, 0x8000000, v9
	s_delay_alu instid0(VALU_DEP_2) | instskip(NEXT) | instid1(VALU_DEP_1)
	v_or_b32_e32 v11, 0x70000000, v11
	v_mul_f32_e32 v11, 0x7800000, v11
	s_delay_alu instid0(VALU_DEP_1) | instskip(SKIP_1) | instid1(VALU_DEP_1)
	v_cndmask_b32_e32 v9, v11, v13, vcc_lo
	s_wait_xcnt 0x1
	v_and_or_b32 v20, 0x80000000, v7, v9
.LBB127_3001:
	s_mov_b32 s17, 0
	s_mov_b32 s18, -1
.LBB127_3002:
	s_and_not1_b32 vcc_lo, exec_lo, s17
	s_mov_b32 s17, 0
	s_cbranch_vccnz .LBB127_3013
; %bb.3003:
	s_cmp_gt_i32 s10, 14
	s_cbranch_scc0 .LBB127_3006
; %bb.3004:
	s_cmp_eq_u32 s10, 15
	s_cbranch_scc0 .LBB127_3009
; %bb.3005:
	global_load_u16 v7, v[18:19], off
	s_mov_b32 s16, 0
	s_mov_b32 s18, -1
	s_wait_loadcnt 0x0
	s_wait_xcnt 0x1
	v_lshlrev_b32_e32 v20, 16, v7
	s_branch .LBB127_3011
.LBB127_3006:
	s_mov_b32 s17, -1
	s_branch .LBB127_3010
.LBB127_3007:
	s_or_saveexec_b32 s18, s18
	v_mov_b32_e32 v20, 0x7f800001
	s_xor_b32 exec_lo, exec_lo, s18
	s_cbranch_execz .LBB127_2988
.LBB127_3008:
	v_cmp_ne_u16_e32 vcc_lo, 0, v7
	v_mov_b32_e32 v20, 0
	s_and_not1_b32 s17, s17, exec_lo
	s_and_b32 s19, vcc_lo, exec_lo
	s_delay_alu instid0(SALU_CYCLE_1)
	s_or_b32 s17, s17, s19
	s_or_b32 exec_lo, exec_lo, s18
	s_and_saveexec_b32 s18, s17
	s_cbranch_execnz .LBB127_2989
	s_branch .LBB127_2990
.LBB127_3009:
	s_mov_b32 s16, -1
.LBB127_3010:
                                        ; implicit-def: $vgpr20
.LBB127_3011:
	s_and_b32 vcc_lo, exec_lo, s17
	s_mov_b32 s17, 0
	s_cbranch_vccz .LBB127_3013
; %bb.3012:
	s_cmp_lg_u32 s10, 11
	s_mov_b32 s17, -1
	s_cselect_b32 s16, -1, 0
.LBB127_3013:
	s_delay_alu instid0(SALU_CYCLE_1)
	s_and_b32 vcc_lo, exec_lo, s16
	s_cbranch_vccnz .LBB127_3078
; %bb.3014:
	s_and_not1_b32 vcc_lo, exec_lo, s17
	s_cbranch_vccnz .LBB127_3016
.LBB127_3015:
	global_load_u8 v7, v[18:19], off
	s_mov_b32 s18, -1
	s_wait_loadcnt 0x0
	v_cmp_ne_u16_e32 vcc_lo, 0, v7
	s_wait_xcnt 0x1
	v_cndmask_b32_e64 v20, 0, 1.0, vcc_lo
.LBB127_3016:
	s_mov_b32 s16, 0
.LBB127_3017:
	s_delay_alu instid0(SALU_CYCLE_1)
	s_and_b32 vcc_lo, exec_lo, s16
	s_cbranch_vccz .LBB127_3066
; %bb.3018:
	s_cmp_lt_i32 s10, 5
	s_cbranch_scc1 .LBB127_3023
; %bb.3019:
	s_cmp_lt_i32 s10, 8
	s_cbranch_scc1 .LBB127_3024
	;; [unrolled: 3-line block ×3, first 2 shown]
; %bb.3021:
	s_cmp_gt_i32 s10, 9
	s_cbranch_scc0 .LBB127_3026
; %bb.3022:
	global_load_b64 v[20:21], v[18:19], off
	s_mov_b32 s16, 0
	s_wait_loadcnt 0x0
	v_cvt_f32_f64_e32 v20, v[20:21]
	s_branch .LBB127_3027
.LBB127_3023:
	s_mov_b32 s16, -1
                                        ; implicit-def: $vgpr20
	s_branch .LBB127_3045
.LBB127_3024:
	s_mov_b32 s16, -1
                                        ; implicit-def: $vgpr20
	s_branch .LBB127_3033
.LBB127_3025:
	s_mov_b32 s16, -1
                                        ; implicit-def: $vgpr20
	s_branch .LBB127_3030
.LBB127_3026:
	s_mov_b32 s16, -1
                                        ; implicit-def: $vgpr20
.LBB127_3027:
	s_delay_alu instid0(SALU_CYCLE_1)
	s_and_not1_b32 vcc_lo, exec_lo, s16
	s_cbranch_vccnz .LBB127_3029
; %bb.3028:
	global_load_b32 v20, v[18:19], off
.LBB127_3029:
	s_mov_b32 s16, 0
.LBB127_3030:
	s_delay_alu instid0(SALU_CYCLE_1)
	s_and_not1_b32 vcc_lo, exec_lo, s16
	s_cbranch_vccnz .LBB127_3032
; %bb.3031:
	global_load_b32 v7, v[18:19], off
	s_wait_loadcnt 0x0
	s_wait_xcnt 0x1
	v_cvt_f32_f16_e32 v20, v7
.LBB127_3032:
	s_mov_b32 s16, 0
.LBB127_3033:
	s_delay_alu instid0(SALU_CYCLE_1)
	s_and_not1_b32 vcc_lo, exec_lo, s16
	s_cbranch_vccnz .LBB127_3044
; %bb.3034:
	s_cmp_lt_i32 s10, 6
	s_cbranch_scc1 .LBB127_3037
; %bb.3035:
	s_cmp_gt_i32 s10, 6
	s_cbranch_scc0 .LBB127_3038
; %bb.3036:
	s_wait_loadcnt 0x0
	global_load_b64 v[20:21], v[18:19], off
	s_mov_b32 s16, 0
	s_wait_loadcnt 0x0
	v_cvt_f32_f64_e32 v20, v[20:21]
	s_branch .LBB127_3039
.LBB127_3037:
	s_mov_b32 s16, -1
                                        ; implicit-def: $vgpr20
	s_branch .LBB127_3042
.LBB127_3038:
	s_mov_b32 s16, -1
                                        ; implicit-def: $vgpr20
.LBB127_3039:
	s_delay_alu instid0(SALU_CYCLE_1)
	s_and_not1_b32 vcc_lo, exec_lo, s16
	s_cbranch_vccnz .LBB127_3041
; %bb.3040:
	s_wait_loadcnt 0x0
	global_load_b32 v20, v[18:19], off
.LBB127_3041:
	s_mov_b32 s16, 0
.LBB127_3042:
	s_delay_alu instid0(SALU_CYCLE_1)
	s_and_not1_b32 vcc_lo, exec_lo, s16
	s_cbranch_vccnz .LBB127_3044
; %bb.3043:
	global_load_u16 v7, v[18:19], off
	s_wait_loadcnt 0x0
	s_wait_xcnt 0x1
	v_cvt_f32_f16_e32 v20, v7
.LBB127_3044:
	s_mov_b32 s16, 0
.LBB127_3045:
	s_delay_alu instid0(SALU_CYCLE_1)
	s_and_not1_b32 vcc_lo, exec_lo, s16
	s_cbranch_vccnz .LBB127_3065
; %bb.3046:
	s_cmp_lt_i32 s10, 2
	s_cbranch_scc1 .LBB127_3050
; %bb.3047:
	s_cmp_lt_i32 s10, 3
	s_cbranch_scc1 .LBB127_3051
; %bb.3048:
	s_cmp_gt_i32 s10, 3
	s_cbranch_scc0 .LBB127_3052
; %bb.3049:
	s_wait_loadcnt 0x0
	global_load_b64 v[20:21], v[18:19], off
	s_mov_b32 s16, 0
	s_wait_loadcnt 0x0
	v_xor_b32_e32 v7, v20, v21
	v_cls_i32_e32 v9, v21
	s_delay_alu instid0(VALU_DEP_2) | instskip(NEXT) | instid1(VALU_DEP_1)
	v_ashrrev_i32_e32 v7, 31, v7
	v_add_nc_u32_e32 v7, 32, v7
	s_delay_alu instid0(VALU_DEP_1) | instskip(NEXT) | instid1(VALU_DEP_1)
	v_add_min_u32_e64 v7, v9, -1, v7
	v_lshlrev_b64_e32 v[20:21], v7, v[20:21]
	v_sub_nc_u32_e32 v7, 32, v7
	s_delay_alu instid0(VALU_DEP_2) | instskip(NEXT) | instid1(VALU_DEP_1)
	v_min_u32_e32 v9, 1, v20
	v_or_b32_e32 v9, v21, v9
	s_delay_alu instid0(VALU_DEP_1) | instskip(NEXT) | instid1(VALU_DEP_1)
	v_cvt_f32_i32_e32 v9, v9
	v_ldexp_f32 v20, v9, v7
	s_branch .LBB127_3053
.LBB127_3050:
	s_mov_b32 s16, -1
                                        ; implicit-def: $vgpr20
	s_branch .LBB127_3059
.LBB127_3051:
	s_mov_b32 s16, -1
                                        ; implicit-def: $vgpr20
	s_branch .LBB127_3056
.LBB127_3052:
	s_mov_b32 s16, -1
                                        ; implicit-def: $vgpr20
.LBB127_3053:
	s_delay_alu instid0(SALU_CYCLE_1)
	s_and_not1_b32 vcc_lo, exec_lo, s16
	s_cbranch_vccnz .LBB127_3055
; %bb.3054:
	global_load_b32 v7, v[18:19], off
	s_wait_loadcnt 0x0
	s_wait_xcnt 0x1
	v_cvt_f32_i32_e32 v20, v7
.LBB127_3055:
	s_mov_b32 s16, 0
.LBB127_3056:
	s_delay_alu instid0(SALU_CYCLE_1)
	s_and_not1_b32 vcc_lo, exec_lo, s16
	s_cbranch_vccnz .LBB127_3058
; %bb.3057:
	global_load_i16 v7, v[18:19], off
	s_wait_loadcnt 0x0
	s_wait_xcnt 0x1
	v_cvt_f32_i32_e32 v20, v7
.LBB127_3058:
	s_mov_b32 s16, 0
.LBB127_3059:
	s_delay_alu instid0(SALU_CYCLE_1)
	s_and_not1_b32 vcc_lo, exec_lo, s16
	s_cbranch_vccnz .LBB127_3065
; %bb.3060:
	s_cmp_gt_i32 s10, 0
	s_mov_b32 s16, 0
	s_cbranch_scc0 .LBB127_3062
; %bb.3061:
	global_load_i8 v7, v[18:19], off
	s_wait_loadcnt 0x0
	s_wait_xcnt 0x1
	v_cvt_f32_i32_e32 v20, v7
	s_branch .LBB127_3063
.LBB127_3062:
	s_mov_b32 s16, -1
                                        ; implicit-def: $vgpr20
.LBB127_3063:
	s_delay_alu instid0(SALU_CYCLE_1)
	s_and_not1_b32 vcc_lo, exec_lo, s16
	s_cbranch_vccnz .LBB127_3065
; %bb.3064:
	global_load_u8 v7, v[18:19], off
	s_wait_loadcnt 0x0
	s_wait_xcnt 0x1
	v_cvt_f32_ubyte0_e32 v20, v7
.LBB127_3065:
	s_mov_b32 s18, -1
.LBB127_3066:
	s_delay_alu instid0(SALU_CYCLE_1)
	s_and_not1_b32 vcc_lo, exec_lo, s18
	s_cbranch_vccnz .LBB127_4155
; %bb.3067:
	v_mov_b32_e32 v17, 0
	s_cmp_lt_i32 s14, 11
	s_delay_alu instid0(VALU_DEP_1)
	v_add_nc_u64_e32 v[16:17], s[0:1], v[16:17]
	s_cbranch_scc1 .LBB127_3074
; %bb.3068:
	s_cmp_gt_i32 s14, 25
	s_mov_b32 s17, 0
	s_cbranch_scc0 .LBB127_3075
; %bb.3069:
	s_cmp_gt_i32 s14, 28
	s_cbranch_scc0 .LBB127_3076
; %bb.3070:
	s_cmp_gt_i32 s14, 43
	;; [unrolled: 3-line block ×3, first 2 shown]
	s_cbranch_scc0 .LBB127_3079
; %bb.3072:
	s_cmp_eq_u32 s14, 46
	s_mov_b32 s19, 0
	s_cbranch_scc0 .LBB127_3080
; %bb.3073:
	global_load_b32 v7, v[16:17], off
	s_mov_b32 s16, 0
	s_mov_b32 s18, -1
	s_wait_loadcnt 0x0
	s_wait_xcnt 0x1
	v_lshlrev_b32_e32 v18, 16, v7
	s_branch .LBB127_3082
.LBB127_3074:
	s_mov_b32 s16, -1
	s_mov_b32 s18, 0
                                        ; implicit-def: $vgpr18
	s_branch .LBB127_3148
.LBB127_3075:
	s_mov_b32 s19, -1
	s_mov_b32 s18, 0
	s_mov_b32 s16, 0
                                        ; implicit-def: $vgpr18
	s_branch .LBB127_3111
.LBB127_3076:
	s_mov_b32 s19, -1
	s_mov_b32 s18, 0
	s_mov_b32 s16, 0
                                        ; implicit-def: $vgpr18
	s_branch .LBB127_3092
.LBB127_3077:
	s_mov_b32 s19, -1
	s_mov_b32 s18, 0
	s_mov_b32 s16, 0
                                        ; implicit-def: $vgpr18
	s_branch .LBB127_3087
.LBB127_3078:
	s_or_b32 s13, s13, exec_lo
	s_trap 2
	s_cbranch_execz .LBB127_3015
	s_branch .LBB127_3016
.LBB127_3079:
	s_mov_b32 s19, -1
	s_mov_b32 s18, 0
	s_mov_b32 s16, 0
	s_branch .LBB127_3081
.LBB127_3080:
	s_mov_b32 s16, -1
	s_mov_b32 s18, 0
.LBB127_3081:
                                        ; implicit-def: $vgpr18
.LBB127_3082:
	s_and_b32 vcc_lo, exec_lo, s19
	s_cbranch_vccz .LBB127_3086
; %bb.3083:
	s_cmp_eq_u32 s14, 44
	s_cbranch_scc0 .LBB127_3085
; %bb.3084:
	global_load_u8 v7, v[16:17], off
	s_mov_b32 s16, 0
	s_mov_b32 s18, -1
	s_wait_loadcnt 0x0
	v_lshlrev_b32_e32 v9, 23, v7
	v_cmp_ne_u32_e32 vcc_lo, 0xff, v7
	s_delay_alu instid0(VALU_DEP_2) | instskip(SKIP_2) | instid1(VALU_DEP_2)
	v_cndmask_b32_e32 v9, 0x7f800001, v9, vcc_lo
	v_cmp_ne_u32_e32 vcc_lo, 0, v7
	s_wait_xcnt 0x1
	v_cndmask_b32_e32 v18, 0x400000, v9, vcc_lo
	s_branch .LBB127_3086
.LBB127_3085:
	s_mov_b32 s16, -1
                                        ; implicit-def: $vgpr18
.LBB127_3086:
	s_mov_b32 s19, 0
.LBB127_3087:
	s_delay_alu instid0(SALU_CYCLE_1)
	s_and_b32 vcc_lo, exec_lo, s19
	s_cbranch_vccz .LBB127_3091
; %bb.3088:
	s_cmp_eq_u32 s14, 29
	s_cbranch_scc0 .LBB127_3090
; %bb.3089:
	global_load_b64 v[18:19], v[16:17], off
	s_mov_b32 s16, 0
	s_mov_b32 s18, -1
	s_mov_b32 s19, 0
	s_wait_loadcnt 0x0
	v_clz_i32_u32_e32 v7, v19
	s_delay_alu instid0(VALU_DEP_1) | instskip(NEXT) | instid1(VALU_DEP_1)
	v_min_u32_e32 v7, 32, v7
	v_lshlrev_b64_e32 v[18:19], v7, v[18:19]
	v_sub_nc_u32_e32 v7, 32, v7
	s_delay_alu instid0(VALU_DEP_2) | instskip(NEXT) | instid1(VALU_DEP_1)
	v_min_u32_e32 v9, 1, v18
	v_or_b32_e32 v9, v19, v9
	s_delay_alu instid0(VALU_DEP_1) | instskip(NEXT) | instid1(VALU_DEP_1)
	v_cvt_f32_u32_e32 v9, v9
	v_ldexp_f32 v18, v9, v7
	s_branch .LBB127_3092
.LBB127_3090:
	s_mov_b32 s16, -1
                                        ; implicit-def: $vgpr18
.LBB127_3091:
	s_mov_b32 s19, 0
.LBB127_3092:
	s_delay_alu instid0(SALU_CYCLE_1)
	s_and_b32 vcc_lo, exec_lo, s19
	s_cbranch_vccz .LBB127_3110
; %bb.3093:
	s_cmp_lt_i32 s14, 27
	s_cbranch_scc1 .LBB127_3096
; %bb.3094:
	s_cmp_gt_i32 s14, 27
	s_cbranch_scc0 .LBB127_3097
; %bb.3095:
	global_load_b32 v7, v[16:17], off
	s_mov_b32 s18, 0
	s_wait_loadcnt 0x0
	s_wait_xcnt 0x1
	v_cvt_f32_u32_e32 v18, v7
	s_branch .LBB127_3098
.LBB127_3096:
	s_mov_b32 s18, -1
                                        ; implicit-def: $vgpr18
	s_branch .LBB127_3101
.LBB127_3097:
	s_mov_b32 s18, -1
                                        ; implicit-def: $vgpr18
.LBB127_3098:
	s_delay_alu instid0(SALU_CYCLE_1)
	s_and_not1_b32 vcc_lo, exec_lo, s18
	s_cbranch_vccnz .LBB127_3100
; %bb.3099:
	global_load_u16 v7, v[16:17], off
	s_wait_loadcnt 0x0
	s_wait_xcnt 0x1
	v_cvt_f32_u32_e32 v18, v7
.LBB127_3100:
	s_mov_b32 s18, 0
.LBB127_3101:
	s_delay_alu instid0(SALU_CYCLE_1)
	s_and_not1_b32 vcc_lo, exec_lo, s18
	s_cbranch_vccnz .LBB127_3109
; %bb.3102:
	global_load_u8 v7, v[16:17], off
	s_mov_b32 s18, 0
	s_mov_b32 s19, exec_lo
	s_wait_loadcnt 0x0
	v_cmpx_lt_i16_e32 0x7f, v7
	s_xor_b32 s19, exec_lo, s19
	s_cbranch_execz .LBB127_3123
; %bb.3103:
	s_mov_b32 s18, -1
	s_mov_b32 s20, exec_lo
	v_cmpx_eq_u16_e32 0x80, v7
; %bb.3104:
	s_xor_b32 s18, exec_lo, -1
; %bb.3105:
	s_or_b32 exec_lo, exec_lo, s20
	s_delay_alu instid0(SALU_CYCLE_1)
	s_and_b32 s18, s18, exec_lo
	s_or_saveexec_b32 s19, s19
	v_mov_b32_e32 v18, 0x7f800001
	s_xor_b32 exec_lo, exec_lo, s19
	s_cbranch_execnz .LBB127_3124
.LBB127_3106:
	s_or_b32 exec_lo, exec_lo, s19
	s_and_saveexec_b32 s19, s18
	s_cbranch_execz .LBB127_3108
.LBB127_3107:
	v_and_b32_e32 v9, 0xffff, v7
	s_delay_alu instid0(VALU_DEP_1) | instskip(SKIP_1) | instid1(VALU_DEP_2)
	v_dual_lshlrev_b32 v7, 24, v7 :: v_dual_bitop2_b32 v11, 7, v9 bitop3:0x40
	v_bfe_u32 v18, v9, 3, 4
	v_and_b32_e32 v7, 0x80000000, v7
	s_delay_alu instid0(VALU_DEP_3) | instskip(NEXT) | instid1(VALU_DEP_3)
	v_clz_i32_u32_e32 v13, v11
	v_cmp_eq_u32_e32 vcc_lo, 0, v18
	s_delay_alu instid0(VALU_DEP_2) | instskip(NEXT) | instid1(VALU_DEP_1)
	v_min_u32_e32 v13, 32, v13
	v_subrev_nc_u32_e32 v15, 28, v13
	v_sub_nc_u32_e32 v13, 29, v13
	s_delay_alu instid0(VALU_DEP_2) | instskip(NEXT) | instid1(VALU_DEP_2)
	v_lshlrev_b32_e32 v9, v15, v9
	v_cndmask_b32_e32 v13, v18, v13, vcc_lo
	s_delay_alu instid0(VALU_DEP_2) | instskip(NEXT) | instid1(VALU_DEP_1)
	v_and_b32_e32 v9, 7, v9
	v_cndmask_b32_e32 v9, v11, v9, vcc_lo
	s_delay_alu instid0(VALU_DEP_3) | instskip(NEXT) | instid1(VALU_DEP_2)
	v_lshl_add_u32 v11, v13, 23, 0x3b800000
	v_lshlrev_b32_e32 v9, 20, v9
	s_delay_alu instid0(VALU_DEP_1)
	v_or3_b32 v18, v7, v11, v9
.LBB127_3108:
	s_or_b32 exec_lo, exec_lo, s19
.LBB127_3109:
	s_mov_b32 s18, -1
.LBB127_3110:
	s_mov_b32 s19, 0
.LBB127_3111:
	s_delay_alu instid0(SALU_CYCLE_1)
	s_and_b32 vcc_lo, exec_lo, s19
	s_cbranch_vccz .LBB127_3144
; %bb.3112:
	s_cmp_gt_i32 s14, 22
	s_cbranch_scc0 .LBB127_3122
; %bb.3113:
	s_cmp_lt_i32 s14, 24
	s_cbranch_scc1 .LBB127_3125
; %bb.3114:
	s_cmp_gt_i32 s14, 24
	s_cbranch_scc0 .LBB127_3126
; %bb.3115:
	global_load_u8 v7, v[16:17], off
	s_mov_b32 s18, exec_lo
	s_wait_loadcnt 0x0
	v_cmpx_lt_i16_e32 0x7f, v7
	s_xor_b32 s18, exec_lo, s18
	s_cbranch_execz .LBB127_3138
; %bb.3116:
	s_mov_b32 s17, -1
	s_mov_b32 s19, exec_lo
	v_cmpx_eq_u16_e32 0x80, v7
; %bb.3117:
	s_xor_b32 s17, exec_lo, -1
; %bb.3118:
	s_or_b32 exec_lo, exec_lo, s19
	s_delay_alu instid0(SALU_CYCLE_1)
	s_and_b32 s17, s17, exec_lo
	s_or_saveexec_b32 s18, s18
	v_mov_b32_e32 v18, 0x7f800001
	s_xor_b32 exec_lo, exec_lo, s18
	s_cbranch_execnz .LBB127_3139
.LBB127_3119:
	s_or_b32 exec_lo, exec_lo, s18
	s_and_saveexec_b32 s18, s17
	s_cbranch_execz .LBB127_3121
.LBB127_3120:
	v_and_b32_e32 v9, 0xffff, v7
	s_delay_alu instid0(VALU_DEP_1) | instskip(SKIP_1) | instid1(VALU_DEP_2)
	v_dual_lshlrev_b32 v7, 24, v7 :: v_dual_bitop2_b32 v11, 3, v9 bitop3:0x40
	v_bfe_u32 v18, v9, 2, 5
	v_and_b32_e32 v7, 0x80000000, v7
	s_delay_alu instid0(VALU_DEP_3) | instskip(NEXT) | instid1(VALU_DEP_3)
	v_clz_i32_u32_e32 v13, v11
	v_cmp_eq_u32_e32 vcc_lo, 0, v18
	s_delay_alu instid0(VALU_DEP_2) | instskip(NEXT) | instid1(VALU_DEP_1)
	v_min_u32_e32 v13, 32, v13
	v_subrev_nc_u32_e32 v15, 29, v13
	v_sub_nc_u32_e32 v13, 30, v13
	s_delay_alu instid0(VALU_DEP_2) | instskip(NEXT) | instid1(VALU_DEP_2)
	v_lshlrev_b32_e32 v9, v15, v9
	v_cndmask_b32_e32 v13, v18, v13, vcc_lo
	s_delay_alu instid0(VALU_DEP_2) | instskip(NEXT) | instid1(VALU_DEP_1)
	v_and_b32_e32 v9, 3, v9
	v_cndmask_b32_e32 v9, v11, v9, vcc_lo
	s_delay_alu instid0(VALU_DEP_3) | instskip(NEXT) | instid1(VALU_DEP_2)
	v_lshl_add_u32 v11, v13, 23, 0x37800000
	v_lshlrev_b32_e32 v9, 21, v9
	s_delay_alu instid0(VALU_DEP_1)
	v_or3_b32 v18, v7, v11, v9
.LBB127_3121:
	s_or_b32 exec_lo, exec_lo, s18
	s_mov_b32 s17, 0
	s_branch .LBB127_3127
.LBB127_3122:
	s_mov_b32 s17, -1
                                        ; implicit-def: $vgpr18
	s_branch .LBB127_3133
.LBB127_3123:
	s_or_saveexec_b32 s19, s19
	v_mov_b32_e32 v18, 0x7f800001
	s_xor_b32 exec_lo, exec_lo, s19
	s_cbranch_execz .LBB127_3106
.LBB127_3124:
	v_cmp_ne_u16_e32 vcc_lo, 0, v7
	v_mov_b32_e32 v18, 0
	s_and_not1_b32 s18, s18, exec_lo
	s_and_b32 s20, vcc_lo, exec_lo
	s_delay_alu instid0(SALU_CYCLE_1)
	s_or_b32 s18, s18, s20
	s_or_b32 exec_lo, exec_lo, s19
	s_and_saveexec_b32 s19, s18
	s_cbranch_execnz .LBB127_3107
	s_branch .LBB127_3108
.LBB127_3125:
	s_mov_b32 s17, -1
                                        ; implicit-def: $vgpr18
	s_branch .LBB127_3130
.LBB127_3126:
	s_mov_b32 s17, -1
                                        ; implicit-def: $vgpr18
.LBB127_3127:
	s_delay_alu instid0(SALU_CYCLE_1)
	s_and_b32 vcc_lo, exec_lo, s17
	s_cbranch_vccz .LBB127_3129
; %bb.3128:
	global_load_u8 v7, v[16:17], off
	s_wait_loadcnt 0x0
	v_lshlrev_b32_e32 v7, 24, v7
	s_delay_alu instid0(VALU_DEP_1) | instskip(NEXT) | instid1(VALU_DEP_1)
	v_and_b32_e32 v9, 0x7f000000, v7
	v_clz_i32_u32_e32 v11, v9
	v_add_nc_u32_e32 v15, 0x1000000, v9
	v_cmp_ne_u32_e32 vcc_lo, 0, v9
	s_delay_alu instid0(VALU_DEP_3) | instskip(NEXT) | instid1(VALU_DEP_1)
	v_min_u32_e32 v11, 32, v11
	v_sub_nc_u32_e64 v11, v11, 4 clamp
	s_delay_alu instid0(VALU_DEP_1) | instskip(NEXT) | instid1(VALU_DEP_1)
	v_dual_lshlrev_b32 v13, v11, v9 :: v_dual_lshlrev_b32 v11, 23, v11
	v_lshrrev_b32_e32 v13, 4, v13
	s_delay_alu instid0(VALU_DEP_1) | instskip(SKIP_1) | instid1(VALU_DEP_2)
	v_sub_nc_u32_e32 v11, v13, v11
	v_ashrrev_i32_e32 v13, 8, v15
	v_add_nc_u32_e32 v11, 0x3c000000, v11
	s_delay_alu instid0(VALU_DEP_1) | instskip(NEXT) | instid1(VALU_DEP_1)
	v_and_or_b32 v11, 0x7f800000, v13, v11
	v_cndmask_b32_e32 v9, 0, v11, vcc_lo
	s_wait_xcnt 0x1
	s_delay_alu instid0(VALU_DEP_1)
	v_and_or_b32 v18, 0x80000000, v7, v9
.LBB127_3129:
	s_mov_b32 s17, 0
.LBB127_3130:
	s_delay_alu instid0(SALU_CYCLE_1)
	s_and_not1_b32 vcc_lo, exec_lo, s17
	s_cbranch_vccnz .LBB127_3132
; %bb.3131:
	global_load_u8 v7, v[16:17], off
	s_wait_loadcnt 0x0
	v_lshlrev_b32_e32 v9, 25, v7
	v_lshlrev_b16 v7, 8, v7
	s_delay_alu instid0(VALU_DEP_1) | instskip(SKIP_1) | instid1(VALU_DEP_2)
	v_and_or_b32 v13, 0x7f00, v7, 0.5
	v_bfe_i32 v7, v7, 0, 16
	v_add_f32_e32 v13, -0.5, v13
	v_lshrrev_b32_e32 v11, 4, v9
	v_cmp_gt_u32_e32 vcc_lo, 0x8000000, v9
	s_delay_alu instid0(VALU_DEP_2) | instskip(NEXT) | instid1(VALU_DEP_1)
	v_or_b32_e32 v11, 0x70000000, v11
	v_mul_f32_e32 v11, 0x7800000, v11
	s_delay_alu instid0(VALU_DEP_1) | instskip(SKIP_1) | instid1(VALU_DEP_1)
	v_cndmask_b32_e32 v9, v11, v13, vcc_lo
	s_wait_xcnt 0x1
	v_and_or_b32 v18, 0x80000000, v7, v9
.LBB127_3132:
	s_mov_b32 s17, 0
	s_mov_b32 s18, -1
.LBB127_3133:
	s_and_not1_b32 vcc_lo, exec_lo, s17
	s_mov_b32 s17, 0
	s_cbranch_vccnz .LBB127_3144
; %bb.3134:
	s_cmp_gt_i32 s14, 14
	s_cbranch_scc0 .LBB127_3137
; %bb.3135:
	s_cmp_eq_u32 s14, 15
	s_cbranch_scc0 .LBB127_3140
; %bb.3136:
	global_load_u16 v7, v[16:17], off
	s_mov_b32 s16, 0
	s_mov_b32 s18, -1
	s_wait_loadcnt 0x0
	s_wait_xcnt 0x1
	v_lshlrev_b32_e32 v18, 16, v7
	s_branch .LBB127_3142
.LBB127_3137:
	s_mov_b32 s17, -1
	s_branch .LBB127_3141
.LBB127_3138:
	s_or_saveexec_b32 s18, s18
	v_mov_b32_e32 v18, 0x7f800001
	s_xor_b32 exec_lo, exec_lo, s18
	s_cbranch_execz .LBB127_3119
.LBB127_3139:
	v_cmp_ne_u16_e32 vcc_lo, 0, v7
	v_mov_b32_e32 v18, 0
	s_and_not1_b32 s17, s17, exec_lo
	s_and_b32 s19, vcc_lo, exec_lo
	s_delay_alu instid0(SALU_CYCLE_1)
	s_or_b32 s17, s17, s19
	s_or_b32 exec_lo, exec_lo, s18
	s_and_saveexec_b32 s18, s17
	s_cbranch_execnz .LBB127_3120
	s_branch .LBB127_3121
.LBB127_3140:
	s_mov_b32 s16, -1
.LBB127_3141:
                                        ; implicit-def: $vgpr18
.LBB127_3142:
	s_and_b32 vcc_lo, exec_lo, s17
	s_mov_b32 s17, 0
	s_cbranch_vccz .LBB127_3144
; %bb.3143:
	s_cmp_lg_u32 s14, 11
	s_mov_b32 s17, -1
	s_cselect_b32 s16, -1, 0
.LBB127_3144:
	s_delay_alu instid0(SALU_CYCLE_1)
	s_and_b32 vcc_lo, exec_lo, s16
	s_cbranch_vccnz .LBB127_3209
; %bb.3145:
	s_and_not1_b32 vcc_lo, exec_lo, s17
	s_cbranch_vccnz .LBB127_3147
.LBB127_3146:
	global_load_u8 v7, v[16:17], off
	s_mov_b32 s18, -1
	s_wait_loadcnt 0x0
	v_cmp_ne_u16_e32 vcc_lo, 0, v7
	s_wait_xcnt 0x1
	v_cndmask_b32_e64 v18, 0, 1.0, vcc_lo
.LBB127_3147:
	s_mov_b32 s16, 0
.LBB127_3148:
	s_delay_alu instid0(SALU_CYCLE_1)
	s_and_b32 vcc_lo, exec_lo, s16
	s_cbranch_vccz .LBB127_3197
; %bb.3149:
	s_cmp_lt_i32 s14, 5
	s_cbranch_scc1 .LBB127_3154
; %bb.3150:
	s_cmp_lt_i32 s14, 8
	s_cbranch_scc1 .LBB127_3155
	;; [unrolled: 3-line block ×3, first 2 shown]
; %bb.3152:
	s_cmp_gt_i32 s14, 9
	s_cbranch_scc0 .LBB127_3157
; %bb.3153:
	global_load_b64 v[18:19], v[16:17], off
	s_mov_b32 s16, 0
	s_wait_loadcnt 0x0
	v_cvt_f32_f64_e32 v18, v[18:19]
	s_branch .LBB127_3158
.LBB127_3154:
	s_mov_b32 s16, -1
                                        ; implicit-def: $vgpr18
	s_branch .LBB127_3176
.LBB127_3155:
	s_mov_b32 s16, -1
                                        ; implicit-def: $vgpr18
	s_branch .LBB127_3164
.LBB127_3156:
	s_mov_b32 s16, -1
                                        ; implicit-def: $vgpr18
	s_branch .LBB127_3161
.LBB127_3157:
	s_mov_b32 s16, -1
                                        ; implicit-def: $vgpr18
.LBB127_3158:
	s_delay_alu instid0(SALU_CYCLE_1)
	s_and_not1_b32 vcc_lo, exec_lo, s16
	s_cbranch_vccnz .LBB127_3160
; %bb.3159:
	global_load_b32 v18, v[16:17], off
.LBB127_3160:
	s_mov_b32 s16, 0
.LBB127_3161:
	s_delay_alu instid0(SALU_CYCLE_1)
	s_and_not1_b32 vcc_lo, exec_lo, s16
	s_cbranch_vccnz .LBB127_3163
; %bb.3162:
	global_load_b32 v7, v[16:17], off
	s_wait_loadcnt 0x0
	s_wait_xcnt 0x1
	v_cvt_f32_f16_e32 v18, v7
.LBB127_3163:
	s_mov_b32 s16, 0
.LBB127_3164:
	s_delay_alu instid0(SALU_CYCLE_1)
	s_and_not1_b32 vcc_lo, exec_lo, s16
	s_cbranch_vccnz .LBB127_3175
; %bb.3165:
	s_cmp_lt_i32 s14, 6
	s_cbranch_scc1 .LBB127_3168
; %bb.3166:
	s_cmp_gt_i32 s14, 6
	s_cbranch_scc0 .LBB127_3169
; %bb.3167:
	s_wait_loadcnt 0x0
	global_load_b64 v[18:19], v[16:17], off
	s_mov_b32 s16, 0
	s_wait_loadcnt 0x0
	v_cvt_f32_f64_e32 v18, v[18:19]
	s_branch .LBB127_3170
.LBB127_3168:
	s_mov_b32 s16, -1
                                        ; implicit-def: $vgpr18
	s_branch .LBB127_3173
.LBB127_3169:
	s_mov_b32 s16, -1
                                        ; implicit-def: $vgpr18
.LBB127_3170:
	s_delay_alu instid0(SALU_CYCLE_1)
	s_and_not1_b32 vcc_lo, exec_lo, s16
	s_cbranch_vccnz .LBB127_3172
; %bb.3171:
	s_wait_loadcnt 0x0
	global_load_b32 v18, v[16:17], off
.LBB127_3172:
	s_mov_b32 s16, 0
.LBB127_3173:
	s_delay_alu instid0(SALU_CYCLE_1)
	s_and_not1_b32 vcc_lo, exec_lo, s16
	s_cbranch_vccnz .LBB127_3175
; %bb.3174:
	global_load_u16 v7, v[16:17], off
	s_wait_loadcnt 0x0
	s_wait_xcnt 0x1
	v_cvt_f32_f16_e32 v18, v7
.LBB127_3175:
	s_mov_b32 s16, 0
.LBB127_3176:
	s_delay_alu instid0(SALU_CYCLE_1)
	s_and_not1_b32 vcc_lo, exec_lo, s16
	s_cbranch_vccnz .LBB127_3196
; %bb.3177:
	s_cmp_lt_i32 s14, 2
	s_cbranch_scc1 .LBB127_3181
; %bb.3178:
	s_cmp_lt_i32 s14, 3
	s_cbranch_scc1 .LBB127_3182
; %bb.3179:
	s_cmp_gt_i32 s14, 3
	s_cbranch_scc0 .LBB127_3183
; %bb.3180:
	s_wait_loadcnt 0x0
	global_load_b64 v[18:19], v[16:17], off
	s_mov_b32 s16, 0
	s_wait_loadcnt 0x0
	v_xor_b32_e32 v7, v18, v19
	v_cls_i32_e32 v9, v19
	s_delay_alu instid0(VALU_DEP_2) | instskip(NEXT) | instid1(VALU_DEP_1)
	v_ashrrev_i32_e32 v7, 31, v7
	v_add_nc_u32_e32 v7, 32, v7
	s_delay_alu instid0(VALU_DEP_1) | instskip(NEXT) | instid1(VALU_DEP_1)
	v_add_min_u32_e64 v7, v9, -1, v7
	v_lshlrev_b64_e32 v[18:19], v7, v[18:19]
	v_sub_nc_u32_e32 v7, 32, v7
	s_delay_alu instid0(VALU_DEP_2) | instskip(NEXT) | instid1(VALU_DEP_1)
	v_min_u32_e32 v9, 1, v18
	v_or_b32_e32 v9, v19, v9
	s_delay_alu instid0(VALU_DEP_1) | instskip(NEXT) | instid1(VALU_DEP_1)
	v_cvt_f32_i32_e32 v9, v9
	v_ldexp_f32 v18, v9, v7
	s_branch .LBB127_3184
.LBB127_3181:
	s_mov_b32 s16, -1
                                        ; implicit-def: $vgpr18
	s_branch .LBB127_3190
.LBB127_3182:
	s_mov_b32 s16, -1
                                        ; implicit-def: $vgpr18
	s_branch .LBB127_3187
.LBB127_3183:
	s_mov_b32 s16, -1
                                        ; implicit-def: $vgpr18
.LBB127_3184:
	s_delay_alu instid0(SALU_CYCLE_1)
	s_and_not1_b32 vcc_lo, exec_lo, s16
	s_cbranch_vccnz .LBB127_3186
; %bb.3185:
	global_load_b32 v7, v[16:17], off
	s_wait_loadcnt 0x0
	s_wait_xcnt 0x1
	v_cvt_f32_i32_e32 v18, v7
.LBB127_3186:
	s_mov_b32 s16, 0
.LBB127_3187:
	s_delay_alu instid0(SALU_CYCLE_1)
	s_and_not1_b32 vcc_lo, exec_lo, s16
	s_cbranch_vccnz .LBB127_3189
; %bb.3188:
	global_load_i16 v7, v[16:17], off
	s_wait_loadcnt 0x0
	s_wait_xcnt 0x1
	v_cvt_f32_i32_e32 v18, v7
.LBB127_3189:
	s_mov_b32 s16, 0
.LBB127_3190:
	s_delay_alu instid0(SALU_CYCLE_1)
	s_and_not1_b32 vcc_lo, exec_lo, s16
	s_cbranch_vccnz .LBB127_3196
; %bb.3191:
	s_cmp_gt_i32 s14, 0
	s_mov_b32 s16, 0
	s_cbranch_scc0 .LBB127_3193
; %bb.3192:
	global_load_i8 v7, v[16:17], off
	s_wait_loadcnt 0x0
	s_wait_xcnt 0x1
	v_cvt_f32_i32_e32 v18, v7
	s_branch .LBB127_3194
.LBB127_3193:
	s_mov_b32 s16, -1
                                        ; implicit-def: $vgpr18
.LBB127_3194:
	s_delay_alu instid0(SALU_CYCLE_1)
	s_and_not1_b32 vcc_lo, exec_lo, s16
	s_cbranch_vccnz .LBB127_3196
; %bb.3195:
	global_load_u8 v7, v[16:17], off
	s_wait_loadcnt 0x0
	s_wait_xcnt 0x1
	v_cvt_f32_ubyte0_e32 v18, v7
.LBB127_3196:
	s_mov_b32 s18, -1
.LBB127_3197:
	s_delay_alu instid0(SALU_CYCLE_1)
	s_and_not1_b32 vcc_lo, exec_lo, s18
	s_cbranch_vccnz .LBB127_4155
; %bb.3198:
	v_mov_b32_e32 v15, 0
	s_cmp_lt_i32 s15, 11
	s_delay_alu instid0(VALU_DEP_1)
	v_add_nc_u64_e32 v[14:15], s[8:9], v[14:15]
	s_cbranch_scc1 .LBB127_3205
; %bb.3199:
	s_cmp_gt_i32 s15, 25
	s_mov_b32 s17, 0
	s_cbranch_scc0 .LBB127_3206
; %bb.3200:
	s_cmp_gt_i32 s15, 28
	s_cbranch_scc0 .LBB127_3207
; %bb.3201:
	s_cmp_gt_i32 s15, 43
	s_cbranch_scc0 .LBB127_3208
; %bb.3202:
	s_cmp_gt_i32 s15, 45
	s_cbranch_scc0 .LBB127_3210
; %bb.3203:
	s_cmp_eq_u32 s15, 46
	s_mov_b32 s19, 0
	s_cbranch_scc0 .LBB127_3211
; %bb.3204:
	global_load_b32 v7, v[14:15], off
	s_mov_b32 s16, 0
	s_mov_b32 s18, -1
	s_wait_loadcnt 0x0
	s_wait_xcnt 0x1
	v_lshlrev_b32_e32 v16, 16, v7
	s_branch .LBB127_3213
.LBB127_3205:
	s_mov_b32 s16, -1
	s_mov_b32 s18, 0
                                        ; implicit-def: $vgpr16
	s_branch .LBB127_3279
.LBB127_3206:
	s_mov_b32 s19, -1
	s_mov_b32 s18, 0
	s_mov_b32 s16, 0
                                        ; implicit-def: $vgpr16
	s_branch .LBB127_3242
.LBB127_3207:
	s_mov_b32 s19, -1
	s_mov_b32 s18, 0
	s_mov_b32 s16, 0
                                        ; implicit-def: $vgpr16
	s_branch .LBB127_3223
.LBB127_3208:
	s_mov_b32 s19, -1
	s_mov_b32 s18, 0
	s_mov_b32 s16, 0
                                        ; implicit-def: $vgpr16
	s_branch .LBB127_3218
.LBB127_3209:
	s_or_b32 s13, s13, exec_lo
	s_trap 2
	s_cbranch_execz .LBB127_3146
	s_branch .LBB127_3147
.LBB127_3210:
	s_mov_b32 s19, -1
	s_mov_b32 s18, 0
	s_mov_b32 s16, 0
	s_branch .LBB127_3212
.LBB127_3211:
	s_mov_b32 s16, -1
	s_mov_b32 s18, 0
.LBB127_3212:
                                        ; implicit-def: $vgpr16
.LBB127_3213:
	s_and_b32 vcc_lo, exec_lo, s19
	s_cbranch_vccz .LBB127_3217
; %bb.3214:
	s_cmp_eq_u32 s15, 44
	s_cbranch_scc0 .LBB127_3216
; %bb.3215:
	global_load_u8 v7, v[14:15], off
	s_mov_b32 s16, 0
	s_mov_b32 s18, -1
	s_wait_loadcnt 0x0
	v_lshlrev_b32_e32 v9, 23, v7
	v_cmp_ne_u32_e32 vcc_lo, 0xff, v7
	s_delay_alu instid0(VALU_DEP_2) | instskip(SKIP_2) | instid1(VALU_DEP_2)
	v_cndmask_b32_e32 v9, 0x7f800001, v9, vcc_lo
	v_cmp_ne_u32_e32 vcc_lo, 0, v7
	s_wait_xcnt 0x1
	v_cndmask_b32_e32 v16, 0x400000, v9, vcc_lo
	s_branch .LBB127_3217
.LBB127_3216:
	s_mov_b32 s16, -1
                                        ; implicit-def: $vgpr16
.LBB127_3217:
	s_mov_b32 s19, 0
.LBB127_3218:
	s_delay_alu instid0(SALU_CYCLE_1)
	s_and_b32 vcc_lo, exec_lo, s19
	s_cbranch_vccz .LBB127_3222
; %bb.3219:
	s_cmp_eq_u32 s15, 29
	s_cbranch_scc0 .LBB127_3221
; %bb.3220:
	global_load_b64 v[16:17], v[14:15], off
	s_mov_b32 s16, 0
	s_mov_b32 s18, -1
	s_mov_b32 s19, 0
	s_wait_loadcnt 0x0
	v_clz_i32_u32_e32 v7, v17
	s_delay_alu instid0(VALU_DEP_1) | instskip(NEXT) | instid1(VALU_DEP_1)
	v_min_u32_e32 v7, 32, v7
	v_lshlrev_b64_e32 v[16:17], v7, v[16:17]
	v_sub_nc_u32_e32 v7, 32, v7
	s_delay_alu instid0(VALU_DEP_2) | instskip(NEXT) | instid1(VALU_DEP_1)
	v_min_u32_e32 v9, 1, v16
	v_or_b32_e32 v9, v17, v9
	s_delay_alu instid0(VALU_DEP_1) | instskip(NEXT) | instid1(VALU_DEP_1)
	v_cvt_f32_u32_e32 v9, v9
	v_ldexp_f32 v16, v9, v7
	s_branch .LBB127_3223
.LBB127_3221:
	s_mov_b32 s16, -1
                                        ; implicit-def: $vgpr16
.LBB127_3222:
	s_mov_b32 s19, 0
.LBB127_3223:
	s_delay_alu instid0(SALU_CYCLE_1)
	s_and_b32 vcc_lo, exec_lo, s19
	s_cbranch_vccz .LBB127_3241
; %bb.3224:
	s_cmp_lt_i32 s15, 27
	s_cbranch_scc1 .LBB127_3227
; %bb.3225:
	s_cmp_gt_i32 s15, 27
	s_cbranch_scc0 .LBB127_3228
; %bb.3226:
	global_load_b32 v7, v[14:15], off
	s_mov_b32 s18, 0
	s_wait_loadcnt 0x0
	s_wait_xcnt 0x1
	v_cvt_f32_u32_e32 v16, v7
	s_branch .LBB127_3229
.LBB127_3227:
	s_mov_b32 s18, -1
                                        ; implicit-def: $vgpr16
	s_branch .LBB127_3232
.LBB127_3228:
	s_mov_b32 s18, -1
                                        ; implicit-def: $vgpr16
.LBB127_3229:
	s_delay_alu instid0(SALU_CYCLE_1)
	s_and_not1_b32 vcc_lo, exec_lo, s18
	s_cbranch_vccnz .LBB127_3231
; %bb.3230:
	global_load_u16 v7, v[14:15], off
	s_wait_loadcnt 0x0
	s_wait_xcnt 0x1
	v_cvt_f32_u32_e32 v16, v7
.LBB127_3231:
	s_mov_b32 s18, 0
.LBB127_3232:
	s_delay_alu instid0(SALU_CYCLE_1)
	s_and_not1_b32 vcc_lo, exec_lo, s18
	s_cbranch_vccnz .LBB127_3240
; %bb.3233:
	global_load_u8 v7, v[14:15], off
	s_mov_b32 s18, 0
	s_mov_b32 s19, exec_lo
	s_wait_loadcnt 0x0
	v_cmpx_lt_i16_e32 0x7f, v7
	s_xor_b32 s19, exec_lo, s19
	s_cbranch_execz .LBB127_3254
; %bb.3234:
	s_mov_b32 s18, -1
	s_mov_b32 s20, exec_lo
	v_cmpx_eq_u16_e32 0x80, v7
; %bb.3235:
	s_xor_b32 s18, exec_lo, -1
; %bb.3236:
	s_or_b32 exec_lo, exec_lo, s20
	s_delay_alu instid0(SALU_CYCLE_1)
	s_and_b32 s18, s18, exec_lo
	s_or_saveexec_b32 s19, s19
	v_mov_b32_e32 v16, 0x7f800001
	s_xor_b32 exec_lo, exec_lo, s19
	s_cbranch_execnz .LBB127_3255
.LBB127_3237:
	s_or_b32 exec_lo, exec_lo, s19
	s_and_saveexec_b32 s19, s18
	s_cbranch_execz .LBB127_3239
.LBB127_3238:
	v_and_b32_e32 v9, 0xffff, v7
	s_delay_alu instid0(VALU_DEP_1) | instskip(SKIP_1) | instid1(VALU_DEP_2)
	v_dual_lshlrev_b32 v7, 24, v7 :: v_dual_bitop2_b32 v11, 7, v9 bitop3:0x40
	v_bfe_u32 v17, v9, 3, 4
	v_and_b32_e32 v7, 0x80000000, v7
	s_delay_alu instid0(VALU_DEP_3) | instskip(NEXT) | instid1(VALU_DEP_3)
	v_clz_i32_u32_e32 v13, v11
	v_cmp_eq_u32_e32 vcc_lo, 0, v17
	s_delay_alu instid0(VALU_DEP_2) | instskip(NEXT) | instid1(VALU_DEP_1)
	v_min_u32_e32 v13, 32, v13
	v_subrev_nc_u32_e32 v16, 28, v13
	v_sub_nc_u32_e32 v13, 29, v13
	s_delay_alu instid0(VALU_DEP_2) | instskip(NEXT) | instid1(VALU_DEP_2)
	v_lshlrev_b32_e32 v9, v16, v9
	v_cndmask_b32_e32 v13, v17, v13, vcc_lo
	s_delay_alu instid0(VALU_DEP_2) | instskip(NEXT) | instid1(VALU_DEP_1)
	v_and_b32_e32 v9, 7, v9
	v_cndmask_b32_e32 v9, v11, v9, vcc_lo
	s_delay_alu instid0(VALU_DEP_3) | instskip(NEXT) | instid1(VALU_DEP_2)
	v_lshl_add_u32 v11, v13, 23, 0x3b800000
	v_lshlrev_b32_e32 v9, 20, v9
	s_delay_alu instid0(VALU_DEP_1)
	v_or3_b32 v16, v7, v11, v9
.LBB127_3239:
	s_or_b32 exec_lo, exec_lo, s19
.LBB127_3240:
	s_mov_b32 s18, -1
.LBB127_3241:
	s_mov_b32 s19, 0
.LBB127_3242:
	s_delay_alu instid0(SALU_CYCLE_1)
	s_and_b32 vcc_lo, exec_lo, s19
	s_cbranch_vccz .LBB127_3275
; %bb.3243:
	s_cmp_gt_i32 s15, 22
	s_cbranch_scc0 .LBB127_3253
; %bb.3244:
	s_cmp_lt_i32 s15, 24
	s_cbranch_scc1 .LBB127_3256
; %bb.3245:
	s_cmp_gt_i32 s15, 24
	s_cbranch_scc0 .LBB127_3257
; %bb.3246:
	global_load_u8 v7, v[14:15], off
	s_mov_b32 s18, exec_lo
	s_wait_loadcnt 0x0
	v_cmpx_lt_i16_e32 0x7f, v7
	s_xor_b32 s18, exec_lo, s18
	s_cbranch_execz .LBB127_3269
; %bb.3247:
	s_mov_b32 s17, -1
	s_mov_b32 s19, exec_lo
	v_cmpx_eq_u16_e32 0x80, v7
; %bb.3248:
	s_xor_b32 s17, exec_lo, -1
; %bb.3249:
	s_or_b32 exec_lo, exec_lo, s19
	s_delay_alu instid0(SALU_CYCLE_1)
	s_and_b32 s17, s17, exec_lo
	s_or_saveexec_b32 s18, s18
	v_mov_b32_e32 v16, 0x7f800001
	s_xor_b32 exec_lo, exec_lo, s18
	s_cbranch_execnz .LBB127_3270
.LBB127_3250:
	s_or_b32 exec_lo, exec_lo, s18
	s_and_saveexec_b32 s18, s17
	s_cbranch_execz .LBB127_3252
.LBB127_3251:
	v_and_b32_e32 v9, 0xffff, v7
	s_delay_alu instid0(VALU_DEP_1) | instskip(SKIP_1) | instid1(VALU_DEP_2)
	v_dual_lshlrev_b32 v7, 24, v7 :: v_dual_bitop2_b32 v11, 3, v9 bitop3:0x40
	v_bfe_u32 v17, v9, 2, 5
	v_and_b32_e32 v7, 0x80000000, v7
	s_delay_alu instid0(VALU_DEP_3) | instskip(NEXT) | instid1(VALU_DEP_3)
	v_clz_i32_u32_e32 v13, v11
	v_cmp_eq_u32_e32 vcc_lo, 0, v17
	s_delay_alu instid0(VALU_DEP_2) | instskip(NEXT) | instid1(VALU_DEP_1)
	v_min_u32_e32 v13, 32, v13
	v_subrev_nc_u32_e32 v16, 29, v13
	v_sub_nc_u32_e32 v13, 30, v13
	s_delay_alu instid0(VALU_DEP_2) | instskip(NEXT) | instid1(VALU_DEP_2)
	v_lshlrev_b32_e32 v9, v16, v9
	v_cndmask_b32_e32 v13, v17, v13, vcc_lo
	s_delay_alu instid0(VALU_DEP_2) | instskip(NEXT) | instid1(VALU_DEP_1)
	v_and_b32_e32 v9, 3, v9
	v_cndmask_b32_e32 v9, v11, v9, vcc_lo
	s_delay_alu instid0(VALU_DEP_3) | instskip(NEXT) | instid1(VALU_DEP_2)
	v_lshl_add_u32 v11, v13, 23, 0x37800000
	v_lshlrev_b32_e32 v9, 21, v9
	s_delay_alu instid0(VALU_DEP_1)
	v_or3_b32 v16, v7, v11, v9
.LBB127_3252:
	s_or_b32 exec_lo, exec_lo, s18
	s_mov_b32 s17, 0
	s_branch .LBB127_3258
.LBB127_3253:
	s_mov_b32 s17, -1
                                        ; implicit-def: $vgpr16
	s_branch .LBB127_3264
.LBB127_3254:
	s_or_saveexec_b32 s19, s19
	v_mov_b32_e32 v16, 0x7f800001
	s_xor_b32 exec_lo, exec_lo, s19
	s_cbranch_execz .LBB127_3237
.LBB127_3255:
	v_cmp_ne_u16_e32 vcc_lo, 0, v7
	v_mov_b32_e32 v16, 0
	s_and_not1_b32 s18, s18, exec_lo
	s_and_b32 s20, vcc_lo, exec_lo
	s_delay_alu instid0(SALU_CYCLE_1)
	s_or_b32 s18, s18, s20
	s_or_b32 exec_lo, exec_lo, s19
	s_and_saveexec_b32 s19, s18
	s_cbranch_execnz .LBB127_3238
	s_branch .LBB127_3239
.LBB127_3256:
	s_mov_b32 s17, -1
                                        ; implicit-def: $vgpr16
	s_branch .LBB127_3261
.LBB127_3257:
	s_mov_b32 s17, -1
                                        ; implicit-def: $vgpr16
.LBB127_3258:
	s_delay_alu instid0(SALU_CYCLE_1)
	s_and_b32 vcc_lo, exec_lo, s17
	s_cbranch_vccz .LBB127_3260
; %bb.3259:
	global_load_u8 v7, v[14:15], off
	s_wait_loadcnt 0x0
	v_lshlrev_b32_e32 v7, 24, v7
	s_delay_alu instid0(VALU_DEP_1) | instskip(NEXT) | instid1(VALU_DEP_1)
	v_and_b32_e32 v9, 0x7f000000, v7
	v_clz_i32_u32_e32 v11, v9
	v_cmp_ne_u32_e32 vcc_lo, 0, v9
	s_wait_xcnt 0x1
	v_add_nc_u32_e32 v16, 0x1000000, v9
	s_delay_alu instid0(VALU_DEP_3) | instskip(NEXT) | instid1(VALU_DEP_1)
	v_min_u32_e32 v11, 32, v11
	v_sub_nc_u32_e64 v11, v11, 4 clamp
	s_delay_alu instid0(VALU_DEP_1) | instskip(NEXT) | instid1(VALU_DEP_1)
	v_dual_lshlrev_b32 v13, v11, v9 :: v_dual_lshlrev_b32 v11, 23, v11
	v_lshrrev_b32_e32 v13, 4, v13
	s_delay_alu instid0(VALU_DEP_1) | instskip(NEXT) | instid1(VALU_DEP_1)
	v_dual_sub_nc_u32 v11, v13, v11 :: v_dual_ashrrev_i32 v13, 8, v16
	v_add_nc_u32_e32 v11, 0x3c000000, v11
	s_delay_alu instid0(VALU_DEP_1) | instskip(NEXT) | instid1(VALU_DEP_1)
	v_and_or_b32 v11, 0x7f800000, v13, v11
	v_cndmask_b32_e32 v9, 0, v11, vcc_lo
	s_delay_alu instid0(VALU_DEP_1)
	v_and_or_b32 v16, 0x80000000, v7, v9
.LBB127_3260:
	s_mov_b32 s17, 0
.LBB127_3261:
	s_delay_alu instid0(SALU_CYCLE_1)
	s_and_not1_b32 vcc_lo, exec_lo, s17
	s_cbranch_vccnz .LBB127_3263
; %bb.3262:
	global_load_u8 v7, v[14:15], off
	s_wait_loadcnt 0x0
	v_lshlrev_b32_e32 v9, 25, v7
	v_lshlrev_b16 v7, 8, v7
	s_delay_alu instid0(VALU_DEP_1) | instskip(SKIP_1) | instid1(VALU_DEP_2)
	v_and_or_b32 v13, 0x7f00, v7, 0.5
	v_bfe_i32 v7, v7, 0, 16
	v_add_f32_e32 v13, -0.5, v13
	v_lshrrev_b32_e32 v11, 4, v9
	v_cmp_gt_u32_e32 vcc_lo, 0x8000000, v9
	s_delay_alu instid0(VALU_DEP_2) | instskip(NEXT) | instid1(VALU_DEP_1)
	v_or_b32_e32 v11, 0x70000000, v11
	v_mul_f32_e32 v11, 0x7800000, v11
	s_delay_alu instid0(VALU_DEP_1) | instskip(SKIP_1) | instid1(VALU_DEP_1)
	v_cndmask_b32_e32 v9, v11, v13, vcc_lo
	s_wait_xcnt 0x1
	v_and_or_b32 v16, 0x80000000, v7, v9
.LBB127_3263:
	s_mov_b32 s17, 0
	s_mov_b32 s18, -1
.LBB127_3264:
	s_and_not1_b32 vcc_lo, exec_lo, s17
	s_mov_b32 s17, 0
	s_cbranch_vccnz .LBB127_3275
; %bb.3265:
	s_cmp_gt_i32 s15, 14
	s_cbranch_scc0 .LBB127_3268
; %bb.3266:
	s_cmp_eq_u32 s15, 15
	s_cbranch_scc0 .LBB127_3271
; %bb.3267:
	global_load_u16 v7, v[14:15], off
	s_mov_b32 s16, 0
	s_mov_b32 s18, -1
	s_wait_loadcnt 0x0
	s_wait_xcnt 0x1
	v_lshlrev_b32_e32 v16, 16, v7
	s_branch .LBB127_3273
.LBB127_3268:
	s_mov_b32 s17, -1
	s_branch .LBB127_3272
.LBB127_3269:
	s_or_saveexec_b32 s18, s18
	v_mov_b32_e32 v16, 0x7f800001
	s_xor_b32 exec_lo, exec_lo, s18
	s_cbranch_execz .LBB127_3250
.LBB127_3270:
	v_cmp_ne_u16_e32 vcc_lo, 0, v7
	v_mov_b32_e32 v16, 0
	s_and_not1_b32 s17, s17, exec_lo
	s_and_b32 s19, vcc_lo, exec_lo
	s_delay_alu instid0(SALU_CYCLE_1)
	s_or_b32 s17, s17, s19
	s_or_b32 exec_lo, exec_lo, s18
	s_and_saveexec_b32 s18, s17
	s_cbranch_execnz .LBB127_3251
	s_branch .LBB127_3252
.LBB127_3271:
	s_mov_b32 s16, -1
.LBB127_3272:
                                        ; implicit-def: $vgpr16
.LBB127_3273:
	s_and_b32 vcc_lo, exec_lo, s17
	s_mov_b32 s17, 0
	s_cbranch_vccz .LBB127_3275
; %bb.3274:
	s_cmp_lg_u32 s15, 11
	s_mov_b32 s17, -1
	s_cselect_b32 s16, -1, 0
.LBB127_3275:
	s_delay_alu instid0(SALU_CYCLE_1)
	s_and_b32 vcc_lo, exec_lo, s16
	s_cbranch_vccnz .LBB127_3340
; %bb.3276:
	s_and_not1_b32 vcc_lo, exec_lo, s17
	s_cbranch_vccnz .LBB127_3278
.LBB127_3277:
	global_load_u8 v7, v[14:15], off
	s_mov_b32 s18, -1
	s_wait_loadcnt 0x0
	v_cmp_ne_u16_e32 vcc_lo, 0, v7
	s_wait_xcnt 0x1
	v_cndmask_b32_e64 v16, 0, 1.0, vcc_lo
.LBB127_3278:
	s_mov_b32 s16, 0
.LBB127_3279:
	s_delay_alu instid0(SALU_CYCLE_1)
	s_and_b32 vcc_lo, exec_lo, s16
	s_cbranch_vccz .LBB127_3328
; %bb.3280:
	s_cmp_lt_i32 s15, 5
	s_cbranch_scc1 .LBB127_3285
; %bb.3281:
	s_cmp_lt_i32 s15, 8
	s_cbranch_scc1 .LBB127_3286
	;; [unrolled: 3-line block ×3, first 2 shown]
; %bb.3283:
	s_cmp_gt_i32 s15, 9
	s_cbranch_scc0 .LBB127_3288
; %bb.3284:
	global_load_b64 v[16:17], v[14:15], off
	s_mov_b32 s16, 0
	s_wait_loadcnt 0x0
	v_cvt_f32_f64_e32 v16, v[16:17]
	s_branch .LBB127_3289
.LBB127_3285:
	s_mov_b32 s16, -1
                                        ; implicit-def: $vgpr16
	s_branch .LBB127_3307
.LBB127_3286:
	s_mov_b32 s16, -1
                                        ; implicit-def: $vgpr16
	s_branch .LBB127_3295
.LBB127_3287:
	s_mov_b32 s16, -1
                                        ; implicit-def: $vgpr16
	s_branch .LBB127_3292
.LBB127_3288:
	s_mov_b32 s16, -1
                                        ; implicit-def: $vgpr16
.LBB127_3289:
	s_delay_alu instid0(SALU_CYCLE_1)
	s_and_not1_b32 vcc_lo, exec_lo, s16
	s_cbranch_vccnz .LBB127_3291
; %bb.3290:
	global_load_b32 v16, v[14:15], off
.LBB127_3291:
	s_mov_b32 s16, 0
.LBB127_3292:
	s_delay_alu instid0(SALU_CYCLE_1)
	s_and_not1_b32 vcc_lo, exec_lo, s16
	s_cbranch_vccnz .LBB127_3294
; %bb.3293:
	global_load_b32 v7, v[14:15], off
	s_wait_loadcnt 0x0
	s_wait_xcnt 0x1
	v_cvt_f32_f16_e32 v16, v7
.LBB127_3294:
	s_mov_b32 s16, 0
.LBB127_3295:
	s_delay_alu instid0(SALU_CYCLE_1)
	s_and_not1_b32 vcc_lo, exec_lo, s16
	s_cbranch_vccnz .LBB127_3306
; %bb.3296:
	s_cmp_lt_i32 s15, 6
	s_cbranch_scc1 .LBB127_3299
; %bb.3297:
	s_cmp_gt_i32 s15, 6
	s_cbranch_scc0 .LBB127_3300
; %bb.3298:
	s_wait_loadcnt 0x0
	global_load_b64 v[16:17], v[14:15], off
	s_mov_b32 s16, 0
	s_wait_loadcnt 0x0
	v_cvt_f32_f64_e32 v16, v[16:17]
	s_branch .LBB127_3301
.LBB127_3299:
	s_mov_b32 s16, -1
                                        ; implicit-def: $vgpr16
	s_branch .LBB127_3304
.LBB127_3300:
	s_mov_b32 s16, -1
                                        ; implicit-def: $vgpr16
.LBB127_3301:
	s_delay_alu instid0(SALU_CYCLE_1)
	s_and_not1_b32 vcc_lo, exec_lo, s16
	s_cbranch_vccnz .LBB127_3303
; %bb.3302:
	s_wait_loadcnt 0x0
	global_load_b32 v16, v[14:15], off
.LBB127_3303:
	s_mov_b32 s16, 0
.LBB127_3304:
	s_delay_alu instid0(SALU_CYCLE_1)
	s_and_not1_b32 vcc_lo, exec_lo, s16
	s_cbranch_vccnz .LBB127_3306
; %bb.3305:
	global_load_u16 v7, v[14:15], off
	s_wait_loadcnt 0x0
	s_wait_xcnt 0x1
	v_cvt_f32_f16_e32 v16, v7
.LBB127_3306:
	s_mov_b32 s16, 0
.LBB127_3307:
	s_delay_alu instid0(SALU_CYCLE_1)
	s_and_not1_b32 vcc_lo, exec_lo, s16
	s_cbranch_vccnz .LBB127_3327
; %bb.3308:
	s_cmp_lt_i32 s15, 2
	s_cbranch_scc1 .LBB127_3312
; %bb.3309:
	s_cmp_lt_i32 s15, 3
	s_cbranch_scc1 .LBB127_3313
; %bb.3310:
	s_cmp_gt_i32 s15, 3
	s_cbranch_scc0 .LBB127_3314
; %bb.3311:
	s_wait_loadcnt 0x0
	global_load_b64 v[16:17], v[14:15], off
	s_mov_b32 s16, 0
	s_wait_loadcnt 0x0
	v_xor_b32_e32 v7, v16, v17
	v_cls_i32_e32 v9, v17
	s_delay_alu instid0(VALU_DEP_2) | instskip(NEXT) | instid1(VALU_DEP_1)
	v_ashrrev_i32_e32 v7, 31, v7
	v_add_nc_u32_e32 v7, 32, v7
	s_delay_alu instid0(VALU_DEP_1) | instskip(NEXT) | instid1(VALU_DEP_1)
	v_add_min_u32_e64 v7, v9, -1, v7
	v_lshlrev_b64_e32 v[16:17], v7, v[16:17]
	v_sub_nc_u32_e32 v7, 32, v7
	s_delay_alu instid0(VALU_DEP_2) | instskip(NEXT) | instid1(VALU_DEP_1)
	v_min_u32_e32 v9, 1, v16
	v_or_b32_e32 v9, v17, v9
	s_delay_alu instid0(VALU_DEP_1) | instskip(NEXT) | instid1(VALU_DEP_1)
	v_cvt_f32_i32_e32 v9, v9
	v_ldexp_f32 v16, v9, v7
	s_branch .LBB127_3315
.LBB127_3312:
	s_mov_b32 s16, -1
                                        ; implicit-def: $vgpr16
	s_branch .LBB127_3321
.LBB127_3313:
	s_mov_b32 s16, -1
                                        ; implicit-def: $vgpr16
	s_branch .LBB127_3318
.LBB127_3314:
	s_mov_b32 s16, -1
                                        ; implicit-def: $vgpr16
.LBB127_3315:
	s_delay_alu instid0(SALU_CYCLE_1)
	s_and_not1_b32 vcc_lo, exec_lo, s16
	s_cbranch_vccnz .LBB127_3317
; %bb.3316:
	global_load_b32 v7, v[14:15], off
	s_wait_loadcnt 0x0
	s_wait_xcnt 0x1
	v_cvt_f32_i32_e32 v16, v7
.LBB127_3317:
	s_mov_b32 s16, 0
.LBB127_3318:
	s_delay_alu instid0(SALU_CYCLE_1)
	s_and_not1_b32 vcc_lo, exec_lo, s16
	s_cbranch_vccnz .LBB127_3320
; %bb.3319:
	global_load_i16 v7, v[14:15], off
	s_wait_loadcnt 0x0
	s_wait_xcnt 0x1
	v_cvt_f32_i32_e32 v16, v7
.LBB127_3320:
	s_mov_b32 s16, 0
.LBB127_3321:
	s_delay_alu instid0(SALU_CYCLE_1)
	s_and_not1_b32 vcc_lo, exec_lo, s16
	s_cbranch_vccnz .LBB127_3327
; %bb.3322:
	s_cmp_gt_i32 s15, 0
	s_mov_b32 s16, 0
	s_cbranch_scc0 .LBB127_3324
; %bb.3323:
	global_load_i8 v7, v[14:15], off
	s_wait_loadcnt 0x0
	s_wait_xcnt 0x1
	v_cvt_f32_i32_e32 v16, v7
	s_branch .LBB127_3325
.LBB127_3324:
	s_mov_b32 s16, -1
                                        ; implicit-def: $vgpr16
.LBB127_3325:
	s_delay_alu instid0(SALU_CYCLE_1)
	s_and_not1_b32 vcc_lo, exec_lo, s16
	s_cbranch_vccnz .LBB127_3327
; %bb.3326:
	global_load_u8 v7, v[14:15], off
	s_wait_loadcnt 0x0
	s_wait_xcnt 0x1
	v_cvt_f32_ubyte0_e32 v16, v7
.LBB127_3327:
	s_mov_b32 s18, -1
.LBB127_3328:
	s_delay_alu instid0(SALU_CYCLE_1)
	s_and_not1_b32 vcc_lo, exec_lo, s18
	s_cbranch_vccnz .LBB127_4155
; %bb.3329:
	v_mov_b32_e32 v13, 0
	s_cmp_lt_i32 s10, 11
	s_delay_alu instid0(VALU_DEP_1)
	v_add_nc_u64_e32 v[12:13], s[6:7], v[12:13]
	s_cbranch_scc1 .LBB127_3336
; %bb.3330:
	s_cmp_gt_i32 s10, 25
	s_mov_b32 s7, 0
	s_cbranch_scc0 .LBB127_3337
; %bb.3331:
	s_cmp_gt_i32 s10, 28
	s_cbranch_scc0 .LBB127_3338
; %bb.3332:
	s_cmp_gt_i32 s10, 43
	s_cbranch_scc0 .LBB127_3339
; %bb.3333:
	s_cmp_gt_i32 s10, 45
	s_cbranch_scc0 .LBB127_3341
; %bb.3334:
	s_cmp_eq_u32 s10, 46
	s_mov_b32 s17, 0
	s_cbranch_scc0 .LBB127_3342
; %bb.3335:
	global_load_b32 v7, v[12:13], off
	s_mov_b32 s6, 0
	s_mov_b32 s16, -1
	s_wait_loadcnt 0x0
	s_wait_xcnt 0x1
	v_lshlrev_b32_e32 v14, 16, v7
	s_branch .LBB127_3344
.LBB127_3336:
	s_mov_b32 s6, -1
	s_mov_b32 s16, 0
                                        ; implicit-def: $vgpr14
	s_branch .LBB127_3410
.LBB127_3337:
	s_mov_b32 s17, -1
	s_mov_b32 s16, 0
	s_mov_b32 s6, 0
                                        ; implicit-def: $vgpr14
	s_branch .LBB127_3373
.LBB127_3338:
	s_mov_b32 s17, -1
	s_mov_b32 s16, 0
	s_mov_b32 s6, 0
                                        ; implicit-def: $vgpr14
	s_branch .LBB127_3354
.LBB127_3339:
	s_mov_b32 s17, -1
	s_mov_b32 s16, 0
	s_mov_b32 s6, 0
                                        ; implicit-def: $vgpr14
	s_branch .LBB127_3349
.LBB127_3340:
	s_or_b32 s13, s13, exec_lo
	s_trap 2
	s_cbranch_execz .LBB127_3277
	s_branch .LBB127_3278
.LBB127_3341:
	s_mov_b32 s17, -1
	s_mov_b32 s16, 0
	s_mov_b32 s6, 0
	s_branch .LBB127_3343
.LBB127_3342:
	s_mov_b32 s6, -1
	s_mov_b32 s16, 0
.LBB127_3343:
                                        ; implicit-def: $vgpr14
.LBB127_3344:
	s_and_b32 vcc_lo, exec_lo, s17
	s_cbranch_vccz .LBB127_3348
; %bb.3345:
	s_cmp_eq_u32 s10, 44
	s_cbranch_scc0 .LBB127_3347
; %bb.3346:
	global_load_u8 v7, v[12:13], off
	s_mov_b32 s6, 0
	s_mov_b32 s16, -1
	s_wait_loadcnt 0x0
	v_lshlrev_b32_e32 v9, 23, v7
	v_cmp_ne_u32_e32 vcc_lo, 0xff, v7
	s_delay_alu instid0(VALU_DEP_2) | instskip(SKIP_2) | instid1(VALU_DEP_2)
	v_cndmask_b32_e32 v9, 0x7f800001, v9, vcc_lo
	v_cmp_ne_u32_e32 vcc_lo, 0, v7
	s_wait_xcnt 0x1
	v_cndmask_b32_e32 v14, 0x400000, v9, vcc_lo
	s_branch .LBB127_3348
.LBB127_3347:
	s_mov_b32 s6, -1
                                        ; implicit-def: $vgpr14
.LBB127_3348:
	s_mov_b32 s17, 0
.LBB127_3349:
	s_delay_alu instid0(SALU_CYCLE_1)
	s_and_b32 vcc_lo, exec_lo, s17
	s_cbranch_vccz .LBB127_3353
; %bb.3350:
	s_cmp_eq_u32 s10, 29
	s_cbranch_scc0 .LBB127_3352
; %bb.3351:
	global_load_b64 v[14:15], v[12:13], off
	s_mov_b32 s6, 0
	s_mov_b32 s16, -1
	s_mov_b32 s17, 0
	s_wait_loadcnt 0x0
	v_clz_i32_u32_e32 v7, v15
	s_delay_alu instid0(VALU_DEP_1) | instskip(NEXT) | instid1(VALU_DEP_1)
	v_min_u32_e32 v7, 32, v7
	v_lshlrev_b64_e32 v[14:15], v7, v[14:15]
	v_sub_nc_u32_e32 v7, 32, v7
	s_delay_alu instid0(VALU_DEP_2) | instskip(NEXT) | instid1(VALU_DEP_1)
	v_min_u32_e32 v9, 1, v14
	v_or_b32_e32 v9, v15, v9
	s_delay_alu instid0(VALU_DEP_1) | instskip(NEXT) | instid1(VALU_DEP_1)
	v_cvt_f32_u32_e32 v9, v9
	v_ldexp_f32 v14, v9, v7
	s_branch .LBB127_3354
.LBB127_3352:
	s_mov_b32 s6, -1
                                        ; implicit-def: $vgpr14
.LBB127_3353:
	s_mov_b32 s17, 0
.LBB127_3354:
	s_delay_alu instid0(SALU_CYCLE_1)
	s_and_b32 vcc_lo, exec_lo, s17
	s_cbranch_vccz .LBB127_3372
; %bb.3355:
	s_cmp_lt_i32 s10, 27
	s_cbranch_scc1 .LBB127_3358
; %bb.3356:
	s_cmp_gt_i32 s10, 27
	s_cbranch_scc0 .LBB127_3359
; %bb.3357:
	global_load_b32 v7, v[12:13], off
	s_mov_b32 s16, 0
	s_wait_loadcnt 0x0
	s_wait_xcnt 0x1
	v_cvt_f32_u32_e32 v14, v7
	s_branch .LBB127_3360
.LBB127_3358:
	s_mov_b32 s16, -1
                                        ; implicit-def: $vgpr14
	s_branch .LBB127_3363
.LBB127_3359:
	s_mov_b32 s16, -1
                                        ; implicit-def: $vgpr14
.LBB127_3360:
	s_delay_alu instid0(SALU_CYCLE_1)
	s_and_not1_b32 vcc_lo, exec_lo, s16
	s_cbranch_vccnz .LBB127_3362
; %bb.3361:
	global_load_u16 v7, v[12:13], off
	s_wait_loadcnt 0x0
	s_wait_xcnt 0x1
	v_cvt_f32_u32_e32 v14, v7
.LBB127_3362:
	s_mov_b32 s16, 0
.LBB127_3363:
	s_delay_alu instid0(SALU_CYCLE_1)
	s_and_not1_b32 vcc_lo, exec_lo, s16
	s_cbranch_vccnz .LBB127_3371
; %bb.3364:
	global_load_u8 v7, v[12:13], off
	s_mov_b32 s16, 0
	s_mov_b32 s17, exec_lo
	s_wait_loadcnt 0x0
	v_cmpx_lt_i16_e32 0x7f, v7
	s_xor_b32 s17, exec_lo, s17
	s_cbranch_execz .LBB127_3385
; %bb.3365:
	s_mov_b32 s16, -1
	s_mov_b32 s18, exec_lo
	v_cmpx_eq_u16_e32 0x80, v7
; %bb.3366:
	s_xor_b32 s16, exec_lo, -1
; %bb.3367:
	s_or_b32 exec_lo, exec_lo, s18
	s_delay_alu instid0(SALU_CYCLE_1)
	s_and_b32 s16, s16, exec_lo
	s_or_saveexec_b32 s17, s17
	v_mov_b32_e32 v14, 0x7f800001
	s_xor_b32 exec_lo, exec_lo, s17
	s_cbranch_execnz .LBB127_3386
.LBB127_3368:
	s_or_b32 exec_lo, exec_lo, s17
	s_and_saveexec_b32 s17, s16
	s_cbranch_execz .LBB127_3370
.LBB127_3369:
	v_and_b32_e32 v9, 0xffff, v7
	s_delay_alu instid0(VALU_DEP_1) | instskip(SKIP_1) | instid1(VALU_DEP_2)
	v_and_b32_e32 v11, 7, v9
	v_bfe_u32 v17, v9, 3, 4
	v_clz_i32_u32_e32 v14, v11
	s_delay_alu instid0(VALU_DEP_2) | instskip(NEXT) | instid1(VALU_DEP_2)
	v_cmp_eq_u32_e32 vcc_lo, 0, v17
	v_min_u32_e32 v14, 32, v14
	s_delay_alu instid0(VALU_DEP_1) | instskip(NEXT) | instid1(VALU_DEP_1)
	v_subrev_nc_u32_e32 v15, 28, v14
	v_dual_lshlrev_b32 v9, v15, v9 :: v_dual_sub_nc_u32 v14, 29, v14
	s_delay_alu instid0(VALU_DEP_1) | instskip(NEXT) | instid1(VALU_DEP_1)
	v_dual_lshlrev_b32 v7, 24, v7 :: v_dual_bitop2_b32 v9, 7, v9 bitop3:0x40
	v_dual_cndmask_b32 v14, v17, v14 :: v_dual_cndmask_b32 v9, v11, v9
	s_delay_alu instid0(VALU_DEP_2) | instskip(NEXT) | instid1(VALU_DEP_2)
	v_and_b32_e32 v7, 0x80000000, v7
	v_lshl_add_u32 v11, v14, 23, 0x3b800000
	s_delay_alu instid0(VALU_DEP_3) | instskip(NEXT) | instid1(VALU_DEP_1)
	v_lshlrev_b32_e32 v9, 20, v9
	v_or3_b32 v14, v7, v11, v9
.LBB127_3370:
	s_or_b32 exec_lo, exec_lo, s17
.LBB127_3371:
	s_mov_b32 s16, -1
.LBB127_3372:
	s_mov_b32 s17, 0
.LBB127_3373:
	s_delay_alu instid0(SALU_CYCLE_1)
	s_and_b32 vcc_lo, exec_lo, s17
	s_cbranch_vccz .LBB127_3406
; %bb.3374:
	s_cmp_gt_i32 s10, 22
	s_cbranch_scc0 .LBB127_3384
; %bb.3375:
	s_cmp_lt_i32 s10, 24
	s_cbranch_scc1 .LBB127_3387
; %bb.3376:
	s_cmp_gt_i32 s10, 24
	s_cbranch_scc0 .LBB127_3388
; %bb.3377:
	global_load_u8 v7, v[12:13], off
	s_mov_b32 s16, exec_lo
	s_wait_loadcnt 0x0
	v_cmpx_lt_i16_e32 0x7f, v7
	s_xor_b32 s16, exec_lo, s16
	s_cbranch_execz .LBB127_3400
; %bb.3378:
	s_mov_b32 s7, -1
	s_mov_b32 s17, exec_lo
	v_cmpx_eq_u16_e32 0x80, v7
; %bb.3379:
	s_xor_b32 s7, exec_lo, -1
; %bb.3380:
	s_or_b32 exec_lo, exec_lo, s17
	s_delay_alu instid0(SALU_CYCLE_1)
	s_and_b32 s7, s7, exec_lo
	s_or_saveexec_b32 s16, s16
	v_mov_b32_e32 v14, 0x7f800001
	s_xor_b32 exec_lo, exec_lo, s16
	s_cbranch_execnz .LBB127_3401
.LBB127_3381:
	s_or_b32 exec_lo, exec_lo, s16
	s_and_saveexec_b32 s16, s7
	s_cbranch_execz .LBB127_3383
.LBB127_3382:
	v_and_b32_e32 v9, 0xffff, v7
	s_delay_alu instid0(VALU_DEP_1) | instskip(SKIP_1) | instid1(VALU_DEP_2)
	v_and_b32_e32 v11, 3, v9
	v_bfe_u32 v17, v9, 2, 5
	v_clz_i32_u32_e32 v14, v11
	s_delay_alu instid0(VALU_DEP_2) | instskip(NEXT) | instid1(VALU_DEP_2)
	v_cmp_eq_u32_e32 vcc_lo, 0, v17
	v_min_u32_e32 v14, 32, v14
	s_delay_alu instid0(VALU_DEP_1) | instskip(NEXT) | instid1(VALU_DEP_1)
	v_subrev_nc_u32_e32 v15, 29, v14
	v_dual_lshlrev_b32 v9, v15, v9 :: v_dual_sub_nc_u32 v14, 30, v14
	s_delay_alu instid0(VALU_DEP_1) | instskip(NEXT) | instid1(VALU_DEP_1)
	v_dual_lshlrev_b32 v7, 24, v7 :: v_dual_bitop2_b32 v9, 3, v9 bitop3:0x40
	v_dual_cndmask_b32 v14, v17, v14 :: v_dual_cndmask_b32 v9, v11, v9
	s_delay_alu instid0(VALU_DEP_2) | instskip(NEXT) | instid1(VALU_DEP_2)
	v_and_b32_e32 v7, 0x80000000, v7
	v_lshl_add_u32 v11, v14, 23, 0x37800000
	s_delay_alu instid0(VALU_DEP_3) | instskip(NEXT) | instid1(VALU_DEP_1)
	v_lshlrev_b32_e32 v9, 21, v9
	v_or3_b32 v14, v7, v11, v9
.LBB127_3383:
	s_or_b32 exec_lo, exec_lo, s16
	s_mov_b32 s7, 0
	s_branch .LBB127_3389
.LBB127_3384:
	s_mov_b32 s7, -1
                                        ; implicit-def: $vgpr14
	s_branch .LBB127_3395
.LBB127_3385:
	s_or_saveexec_b32 s17, s17
	v_mov_b32_e32 v14, 0x7f800001
	s_xor_b32 exec_lo, exec_lo, s17
	s_cbranch_execz .LBB127_3368
.LBB127_3386:
	v_cmp_ne_u16_e32 vcc_lo, 0, v7
	v_mov_b32_e32 v14, 0
	s_and_not1_b32 s16, s16, exec_lo
	s_and_b32 s18, vcc_lo, exec_lo
	s_delay_alu instid0(SALU_CYCLE_1)
	s_or_b32 s16, s16, s18
	s_or_b32 exec_lo, exec_lo, s17
	s_and_saveexec_b32 s17, s16
	s_cbranch_execnz .LBB127_3369
	s_branch .LBB127_3370
.LBB127_3387:
	s_mov_b32 s7, -1
                                        ; implicit-def: $vgpr14
	s_branch .LBB127_3392
.LBB127_3388:
	s_mov_b32 s7, -1
                                        ; implicit-def: $vgpr14
.LBB127_3389:
	s_delay_alu instid0(SALU_CYCLE_1)
	s_and_b32 vcc_lo, exec_lo, s7
	s_cbranch_vccz .LBB127_3391
; %bb.3390:
	global_load_u8 v7, v[12:13], off
	s_wait_loadcnt 0x0
	v_lshlrev_b32_e32 v7, 24, v7
	s_delay_alu instid0(VALU_DEP_1) | instskip(NEXT) | instid1(VALU_DEP_1)
	v_and_b32_e32 v9, 0x7f000000, v7
	v_clz_i32_u32_e32 v11, v9
	s_wait_xcnt 0x1
	v_add_nc_u32_e32 v15, 0x1000000, v9
	v_cmp_ne_u32_e32 vcc_lo, 0, v9
	s_delay_alu instid0(VALU_DEP_3) | instskip(NEXT) | instid1(VALU_DEP_1)
	v_min_u32_e32 v11, 32, v11
	v_sub_nc_u32_e64 v11, v11, 4 clamp
	s_delay_alu instid0(VALU_DEP_1) | instskip(NEXT) | instid1(VALU_DEP_1)
	v_dual_lshlrev_b32 v14, v11, v9 :: v_dual_lshlrev_b32 v11, 23, v11
	v_lshrrev_b32_e32 v14, 4, v14
	s_delay_alu instid0(VALU_DEP_1) | instskip(SKIP_1) | instid1(VALU_DEP_2)
	v_sub_nc_u32_e32 v11, v14, v11
	v_ashrrev_i32_e32 v14, 8, v15
	v_add_nc_u32_e32 v11, 0x3c000000, v11
	s_delay_alu instid0(VALU_DEP_1) | instskip(NEXT) | instid1(VALU_DEP_1)
	v_and_or_b32 v11, 0x7f800000, v14, v11
	v_cndmask_b32_e32 v9, 0, v11, vcc_lo
	s_delay_alu instid0(VALU_DEP_1)
	v_and_or_b32 v14, 0x80000000, v7, v9
.LBB127_3391:
	s_mov_b32 s7, 0
.LBB127_3392:
	s_delay_alu instid0(SALU_CYCLE_1)
	s_and_not1_b32 vcc_lo, exec_lo, s7
	s_cbranch_vccnz .LBB127_3394
; %bb.3393:
	global_load_u8 v7, v[12:13], off
	s_wait_loadcnt 0x0
	v_lshlrev_b32_e32 v9, 25, v7
	v_lshlrev_b16 v7, 8, v7
	s_wait_xcnt 0x1
	s_delay_alu instid0(VALU_DEP_1) | instskip(SKIP_1) | instid1(VALU_DEP_2)
	v_and_or_b32 v14, 0x7f00, v7, 0.5
	v_bfe_i32 v7, v7, 0, 16
	v_dual_add_f32 v14, -0.5, v14 :: v_dual_lshrrev_b32 v11, 4, v9
	v_cmp_gt_u32_e32 vcc_lo, 0x8000000, v9
	s_delay_alu instid0(VALU_DEP_2) | instskip(NEXT) | instid1(VALU_DEP_1)
	v_or_b32_e32 v11, 0x70000000, v11
	v_mul_f32_e32 v11, 0x7800000, v11
	s_delay_alu instid0(VALU_DEP_1) | instskip(NEXT) | instid1(VALU_DEP_1)
	v_cndmask_b32_e32 v9, v11, v14, vcc_lo
	v_and_or_b32 v14, 0x80000000, v7, v9
.LBB127_3394:
	s_mov_b32 s7, 0
	s_mov_b32 s16, -1
.LBB127_3395:
	s_and_not1_b32 vcc_lo, exec_lo, s7
	s_mov_b32 s7, 0
	s_cbranch_vccnz .LBB127_3406
; %bb.3396:
	s_cmp_gt_i32 s10, 14
	s_cbranch_scc0 .LBB127_3399
; %bb.3397:
	s_cmp_eq_u32 s10, 15
	s_cbranch_scc0 .LBB127_3402
; %bb.3398:
	global_load_u16 v7, v[12:13], off
	s_mov_b32 s6, 0
	s_mov_b32 s16, -1
	s_wait_loadcnt 0x0
	s_wait_xcnt 0x1
	v_lshlrev_b32_e32 v14, 16, v7
	s_branch .LBB127_3404
.LBB127_3399:
	s_mov_b32 s7, -1
	s_branch .LBB127_3403
.LBB127_3400:
	s_or_saveexec_b32 s16, s16
	v_mov_b32_e32 v14, 0x7f800001
	s_xor_b32 exec_lo, exec_lo, s16
	s_cbranch_execz .LBB127_3381
.LBB127_3401:
	v_cmp_ne_u16_e32 vcc_lo, 0, v7
	v_mov_b32_e32 v14, 0
	s_and_not1_b32 s7, s7, exec_lo
	s_and_b32 s17, vcc_lo, exec_lo
	s_delay_alu instid0(SALU_CYCLE_1)
	s_or_b32 s7, s7, s17
	s_or_b32 exec_lo, exec_lo, s16
	s_and_saveexec_b32 s16, s7
	s_cbranch_execnz .LBB127_3382
	s_branch .LBB127_3383
.LBB127_3402:
	s_mov_b32 s6, -1
.LBB127_3403:
                                        ; implicit-def: $vgpr14
.LBB127_3404:
	s_and_b32 vcc_lo, exec_lo, s7
	s_mov_b32 s7, 0
	s_cbranch_vccz .LBB127_3406
; %bb.3405:
	s_cmp_lg_u32 s10, 11
	s_mov_b32 s7, -1
	s_cselect_b32 s6, -1, 0
.LBB127_3406:
	s_delay_alu instid0(SALU_CYCLE_1)
	s_and_b32 vcc_lo, exec_lo, s6
	s_cbranch_vccnz .LBB127_3471
; %bb.3407:
	s_and_not1_b32 vcc_lo, exec_lo, s7
	s_cbranch_vccnz .LBB127_3409
.LBB127_3408:
	global_load_u8 v7, v[12:13], off
	s_mov_b32 s16, -1
	s_wait_loadcnt 0x0
	v_cmp_ne_u16_e32 vcc_lo, 0, v7
	s_wait_xcnt 0x1
	v_cndmask_b32_e64 v14, 0, 1.0, vcc_lo
.LBB127_3409:
	s_mov_b32 s6, 0
.LBB127_3410:
	s_delay_alu instid0(SALU_CYCLE_1)
	s_and_b32 vcc_lo, exec_lo, s6
	s_cbranch_vccz .LBB127_3459
; %bb.3411:
	s_cmp_lt_i32 s10, 5
	s_cbranch_scc1 .LBB127_3416
; %bb.3412:
	s_cmp_lt_i32 s10, 8
	s_cbranch_scc1 .LBB127_3417
	;; [unrolled: 3-line block ×3, first 2 shown]
; %bb.3414:
	s_cmp_gt_i32 s10, 9
	s_cbranch_scc0 .LBB127_3419
; %bb.3415:
	global_load_b64 v[14:15], v[12:13], off
	s_mov_b32 s6, 0
	s_wait_loadcnt 0x0
	v_cvt_f32_f64_e32 v14, v[14:15]
	s_branch .LBB127_3420
.LBB127_3416:
	s_mov_b32 s6, -1
                                        ; implicit-def: $vgpr14
	s_branch .LBB127_3438
.LBB127_3417:
	s_mov_b32 s6, -1
                                        ; implicit-def: $vgpr14
	s_branch .LBB127_3426
.LBB127_3418:
	s_mov_b32 s6, -1
                                        ; implicit-def: $vgpr14
	s_branch .LBB127_3423
.LBB127_3419:
	s_mov_b32 s6, -1
                                        ; implicit-def: $vgpr14
.LBB127_3420:
	s_delay_alu instid0(SALU_CYCLE_1)
	s_and_not1_b32 vcc_lo, exec_lo, s6
	s_cbranch_vccnz .LBB127_3422
; %bb.3421:
	global_load_b32 v14, v[12:13], off
.LBB127_3422:
	s_mov_b32 s6, 0
.LBB127_3423:
	s_delay_alu instid0(SALU_CYCLE_1)
	s_and_not1_b32 vcc_lo, exec_lo, s6
	s_cbranch_vccnz .LBB127_3425
; %bb.3424:
	global_load_b32 v7, v[12:13], off
	s_wait_loadcnt 0x0
	s_wait_xcnt 0x1
	v_cvt_f32_f16_e32 v14, v7
.LBB127_3425:
	s_mov_b32 s6, 0
.LBB127_3426:
	s_delay_alu instid0(SALU_CYCLE_1)
	s_and_not1_b32 vcc_lo, exec_lo, s6
	s_cbranch_vccnz .LBB127_3437
; %bb.3427:
	s_cmp_lt_i32 s10, 6
	s_cbranch_scc1 .LBB127_3430
; %bb.3428:
	s_cmp_gt_i32 s10, 6
	s_cbranch_scc0 .LBB127_3431
; %bb.3429:
	s_wait_loadcnt 0x0
	global_load_b64 v[14:15], v[12:13], off
	s_mov_b32 s6, 0
	s_wait_loadcnt 0x0
	v_cvt_f32_f64_e32 v14, v[14:15]
	s_branch .LBB127_3432
.LBB127_3430:
	s_mov_b32 s6, -1
                                        ; implicit-def: $vgpr14
	s_branch .LBB127_3435
.LBB127_3431:
	s_mov_b32 s6, -1
                                        ; implicit-def: $vgpr14
.LBB127_3432:
	s_delay_alu instid0(SALU_CYCLE_1)
	s_and_not1_b32 vcc_lo, exec_lo, s6
	s_cbranch_vccnz .LBB127_3434
; %bb.3433:
	s_wait_loadcnt 0x0
	global_load_b32 v14, v[12:13], off
.LBB127_3434:
	s_mov_b32 s6, 0
.LBB127_3435:
	s_delay_alu instid0(SALU_CYCLE_1)
	s_and_not1_b32 vcc_lo, exec_lo, s6
	s_cbranch_vccnz .LBB127_3437
; %bb.3436:
	global_load_u16 v7, v[12:13], off
	s_wait_loadcnt 0x0
	s_wait_xcnt 0x1
	v_cvt_f32_f16_e32 v14, v7
.LBB127_3437:
	s_mov_b32 s6, 0
.LBB127_3438:
	s_delay_alu instid0(SALU_CYCLE_1)
	s_and_not1_b32 vcc_lo, exec_lo, s6
	s_cbranch_vccnz .LBB127_3458
; %bb.3439:
	s_cmp_lt_i32 s10, 2
	s_cbranch_scc1 .LBB127_3443
; %bb.3440:
	s_cmp_lt_i32 s10, 3
	s_cbranch_scc1 .LBB127_3444
; %bb.3441:
	s_cmp_gt_i32 s10, 3
	s_cbranch_scc0 .LBB127_3445
; %bb.3442:
	s_wait_loadcnt 0x0
	global_load_b64 v[14:15], v[12:13], off
	s_mov_b32 s6, 0
	s_wait_loadcnt 0x0
	v_xor_b32_e32 v7, v14, v15
	v_cls_i32_e32 v9, v15
	s_delay_alu instid0(VALU_DEP_2) | instskip(NEXT) | instid1(VALU_DEP_1)
	v_ashrrev_i32_e32 v7, 31, v7
	v_add_nc_u32_e32 v7, 32, v7
	s_delay_alu instid0(VALU_DEP_1) | instskip(NEXT) | instid1(VALU_DEP_1)
	v_add_min_u32_e64 v7, v9, -1, v7
	v_lshlrev_b64_e32 v[14:15], v7, v[14:15]
	v_sub_nc_u32_e32 v7, 32, v7
	s_delay_alu instid0(VALU_DEP_2) | instskip(NEXT) | instid1(VALU_DEP_1)
	v_min_u32_e32 v9, 1, v14
	v_or_b32_e32 v9, v15, v9
	s_delay_alu instid0(VALU_DEP_1) | instskip(NEXT) | instid1(VALU_DEP_1)
	v_cvt_f32_i32_e32 v9, v9
	v_ldexp_f32 v14, v9, v7
	s_branch .LBB127_3446
.LBB127_3443:
	s_mov_b32 s6, -1
                                        ; implicit-def: $vgpr14
	s_branch .LBB127_3452
.LBB127_3444:
	s_mov_b32 s6, -1
                                        ; implicit-def: $vgpr14
	s_branch .LBB127_3449
.LBB127_3445:
	s_mov_b32 s6, -1
                                        ; implicit-def: $vgpr14
.LBB127_3446:
	s_delay_alu instid0(SALU_CYCLE_1)
	s_and_not1_b32 vcc_lo, exec_lo, s6
	s_cbranch_vccnz .LBB127_3448
; %bb.3447:
	global_load_b32 v7, v[12:13], off
	s_wait_loadcnt 0x0
	s_wait_xcnt 0x1
	v_cvt_f32_i32_e32 v14, v7
.LBB127_3448:
	s_mov_b32 s6, 0
.LBB127_3449:
	s_delay_alu instid0(SALU_CYCLE_1)
	s_and_not1_b32 vcc_lo, exec_lo, s6
	s_cbranch_vccnz .LBB127_3451
; %bb.3450:
	global_load_i16 v7, v[12:13], off
	s_wait_loadcnt 0x0
	s_wait_xcnt 0x1
	v_cvt_f32_i32_e32 v14, v7
.LBB127_3451:
	s_mov_b32 s6, 0
.LBB127_3452:
	s_delay_alu instid0(SALU_CYCLE_1)
	s_and_not1_b32 vcc_lo, exec_lo, s6
	s_cbranch_vccnz .LBB127_3458
; %bb.3453:
	s_cmp_gt_i32 s10, 0
	s_mov_b32 s6, 0
	s_cbranch_scc0 .LBB127_3455
; %bb.3454:
	global_load_i8 v7, v[12:13], off
	s_wait_loadcnt 0x0
	s_wait_xcnt 0x1
	v_cvt_f32_i32_e32 v14, v7
	s_branch .LBB127_3456
.LBB127_3455:
	s_mov_b32 s6, -1
                                        ; implicit-def: $vgpr14
.LBB127_3456:
	s_delay_alu instid0(SALU_CYCLE_1)
	s_and_not1_b32 vcc_lo, exec_lo, s6
	s_cbranch_vccnz .LBB127_3458
; %bb.3457:
	global_load_u8 v7, v[12:13], off
	s_wait_loadcnt 0x0
	s_wait_xcnt 0x1
	v_cvt_f32_ubyte0_e32 v14, v7
.LBB127_3458:
	s_mov_b32 s16, -1
.LBB127_3459:
	s_delay_alu instid0(SALU_CYCLE_1)
	s_and_not1_b32 vcc_lo, exec_lo, s16
	s_cbranch_vccnz .LBB127_4155
; %bb.3460:
	v_mov_b32_e32 v11, 0
	s_cmp_lt_i32 s14, 11
	s_delay_alu instid0(VALU_DEP_1)
	v_add_nc_u64_e32 v[10:11], s[0:1], v[10:11]
	s_cbranch_scc1 .LBB127_3467
; %bb.3461:
	s_cmp_gt_i32 s14, 25
	s_mov_b32 s1, 0
	s_cbranch_scc0 .LBB127_3468
; %bb.3462:
	s_cmp_gt_i32 s14, 28
	s_cbranch_scc0 .LBB127_3469
; %bb.3463:
	s_cmp_gt_i32 s14, 43
	;; [unrolled: 3-line block ×3, first 2 shown]
	s_cbranch_scc0 .LBB127_3472
; %bb.3465:
	s_cmp_eq_u32 s14, 46
	s_mov_b32 s7, 0
	s_cbranch_scc0 .LBB127_3473
; %bb.3466:
	global_load_b32 v7, v[10:11], off
	s_mov_b32 s0, 0
	s_mov_b32 s6, -1
	s_wait_loadcnt 0x0
	s_wait_xcnt 0x1
	v_lshlrev_b32_e32 v12, 16, v7
	s_branch .LBB127_3475
.LBB127_3467:
	s_mov_b32 s0, -1
	s_mov_b32 s6, 0
                                        ; implicit-def: $vgpr12
	s_branch .LBB127_3541
.LBB127_3468:
	s_mov_b32 s7, -1
	s_mov_b32 s6, 0
	s_mov_b32 s0, 0
                                        ; implicit-def: $vgpr12
	s_branch .LBB127_3504
.LBB127_3469:
	s_mov_b32 s7, -1
	s_mov_b32 s6, 0
	s_mov_b32 s0, 0
                                        ; implicit-def: $vgpr12
	s_branch .LBB127_3485
.LBB127_3470:
	s_mov_b32 s7, -1
	s_mov_b32 s6, 0
	s_mov_b32 s0, 0
                                        ; implicit-def: $vgpr12
	s_branch .LBB127_3480
.LBB127_3471:
	s_or_b32 s13, s13, exec_lo
	s_trap 2
	s_cbranch_execz .LBB127_3408
	s_branch .LBB127_3409
.LBB127_3472:
	s_mov_b32 s7, -1
	s_mov_b32 s6, 0
	s_mov_b32 s0, 0
	s_branch .LBB127_3474
.LBB127_3473:
	s_mov_b32 s0, -1
	s_mov_b32 s6, 0
.LBB127_3474:
                                        ; implicit-def: $vgpr12
.LBB127_3475:
	s_and_b32 vcc_lo, exec_lo, s7
	s_cbranch_vccz .LBB127_3479
; %bb.3476:
	s_cmp_eq_u32 s14, 44
	s_cbranch_scc0 .LBB127_3478
; %bb.3477:
	global_load_u8 v7, v[10:11], off
	s_mov_b32 s0, 0
	s_mov_b32 s6, -1
	s_wait_loadcnt 0x0
	v_lshlrev_b32_e32 v9, 23, v7
	v_cmp_ne_u32_e32 vcc_lo, 0xff, v7
	s_delay_alu instid0(VALU_DEP_2) | instskip(SKIP_2) | instid1(VALU_DEP_2)
	v_cndmask_b32_e32 v9, 0x7f800001, v9, vcc_lo
	v_cmp_ne_u32_e32 vcc_lo, 0, v7
	s_wait_xcnt 0x1
	v_cndmask_b32_e32 v12, 0x400000, v9, vcc_lo
	s_branch .LBB127_3479
.LBB127_3478:
	s_mov_b32 s0, -1
                                        ; implicit-def: $vgpr12
.LBB127_3479:
	s_mov_b32 s7, 0
.LBB127_3480:
	s_delay_alu instid0(SALU_CYCLE_1)
	s_and_b32 vcc_lo, exec_lo, s7
	s_cbranch_vccz .LBB127_3484
; %bb.3481:
	s_cmp_eq_u32 s14, 29
	s_cbranch_scc0 .LBB127_3483
; %bb.3482:
	global_load_b64 v[12:13], v[10:11], off
	s_mov_b32 s0, 0
	s_mov_b32 s6, -1
	s_mov_b32 s7, 0
	s_wait_loadcnt 0x0
	v_clz_i32_u32_e32 v7, v13
	s_delay_alu instid0(VALU_DEP_1) | instskip(NEXT) | instid1(VALU_DEP_1)
	v_min_u32_e32 v7, 32, v7
	v_lshlrev_b64_e32 v[12:13], v7, v[12:13]
	v_sub_nc_u32_e32 v7, 32, v7
	s_delay_alu instid0(VALU_DEP_2) | instskip(NEXT) | instid1(VALU_DEP_1)
	v_min_u32_e32 v9, 1, v12
	v_or_b32_e32 v9, v13, v9
	s_delay_alu instid0(VALU_DEP_1) | instskip(NEXT) | instid1(VALU_DEP_1)
	v_cvt_f32_u32_e32 v9, v9
	v_ldexp_f32 v12, v9, v7
	s_branch .LBB127_3485
.LBB127_3483:
	s_mov_b32 s0, -1
                                        ; implicit-def: $vgpr12
.LBB127_3484:
	s_mov_b32 s7, 0
.LBB127_3485:
	s_delay_alu instid0(SALU_CYCLE_1)
	s_and_b32 vcc_lo, exec_lo, s7
	s_cbranch_vccz .LBB127_3503
; %bb.3486:
	s_cmp_lt_i32 s14, 27
	s_cbranch_scc1 .LBB127_3489
; %bb.3487:
	s_cmp_gt_i32 s14, 27
	s_cbranch_scc0 .LBB127_3490
; %bb.3488:
	global_load_b32 v7, v[10:11], off
	s_mov_b32 s6, 0
	s_wait_loadcnt 0x0
	s_wait_xcnt 0x1
	v_cvt_f32_u32_e32 v12, v7
	s_branch .LBB127_3491
.LBB127_3489:
	s_mov_b32 s6, -1
                                        ; implicit-def: $vgpr12
	s_branch .LBB127_3494
.LBB127_3490:
	s_mov_b32 s6, -1
                                        ; implicit-def: $vgpr12
.LBB127_3491:
	s_delay_alu instid0(SALU_CYCLE_1)
	s_and_not1_b32 vcc_lo, exec_lo, s6
	s_cbranch_vccnz .LBB127_3493
; %bb.3492:
	global_load_u16 v7, v[10:11], off
	s_wait_loadcnt 0x0
	s_wait_xcnt 0x1
	v_cvt_f32_u32_e32 v12, v7
.LBB127_3493:
	s_mov_b32 s6, 0
.LBB127_3494:
	s_delay_alu instid0(SALU_CYCLE_1)
	s_and_not1_b32 vcc_lo, exec_lo, s6
	s_cbranch_vccnz .LBB127_3502
; %bb.3495:
	global_load_u8 v7, v[10:11], off
	s_mov_b32 s6, 0
	s_mov_b32 s7, exec_lo
	s_wait_loadcnt 0x0
	v_cmpx_lt_i16_e32 0x7f, v7
	s_xor_b32 s7, exec_lo, s7
	s_cbranch_execz .LBB127_3516
; %bb.3496:
	s_mov_b32 s6, -1
	s_mov_b32 s10, exec_lo
	v_cmpx_eq_u16_e32 0x80, v7
; %bb.3497:
	s_xor_b32 s6, exec_lo, -1
; %bb.3498:
	s_or_b32 exec_lo, exec_lo, s10
	s_delay_alu instid0(SALU_CYCLE_1)
	s_and_b32 s6, s6, exec_lo
	s_or_saveexec_b32 s7, s7
	v_mov_b32_e32 v12, 0x7f800001
	s_xor_b32 exec_lo, exec_lo, s7
	s_cbranch_execnz .LBB127_3517
.LBB127_3499:
	s_or_b32 exec_lo, exec_lo, s7
	s_and_saveexec_b32 s7, s6
	s_cbranch_execz .LBB127_3501
.LBB127_3500:
	v_and_b32_e32 v9, 0xffff, v7
	s_delay_alu instid0(VALU_DEP_1) | instskip(SKIP_1) | instid1(VALU_DEP_2)
	v_dual_lshlrev_b32 v7, 24, v7 :: v_dual_bitop2_b32 v12, 7, v9 bitop3:0x40
	v_bfe_u32 v17, v9, 3, 4
	v_and_b32_e32 v7, 0x80000000, v7
	s_delay_alu instid0(VALU_DEP_3) | instskip(NEXT) | instid1(VALU_DEP_3)
	v_clz_i32_u32_e32 v13, v12
	v_cmp_eq_u32_e32 vcc_lo, 0, v17
	s_delay_alu instid0(VALU_DEP_2) | instskip(NEXT) | instid1(VALU_DEP_1)
	v_min_u32_e32 v13, 32, v13
	v_subrev_nc_u32_e32 v15, 28, v13
	v_sub_nc_u32_e32 v13, 29, v13
	s_delay_alu instid0(VALU_DEP_2) | instskip(NEXT) | instid1(VALU_DEP_2)
	v_lshlrev_b32_e32 v9, v15, v9
	v_cndmask_b32_e32 v13, v17, v13, vcc_lo
	s_delay_alu instid0(VALU_DEP_2) | instskip(NEXT) | instid1(VALU_DEP_1)
	v_and_b32_e32 v9, 7, v9
	v_cndmask_b32_e32 v9, v12, v9, vcc_lo
	s_delay_alu instid0(VALU_DEP_3) | instskip(NEXT) | instid1(VALU_DEP_2)
	v_lshl_add_u32 v12, v13, 23, 0x3b800000
	v_lshlrev_b32_e32 v9, 20, v9
	s_delay_alu instid0(VALU_DEP_1)
	v_or3_b32 v12, v7, v12, v9
.LBB127_3501:
	s_or_b32 exec_lo, exec_lo, s7
.LBB127_3502:
	s_mov_b32 s6, -1
.LBB127_3503:
	s_mov_b32 s7, 0
.LBB127_3504:
	s_delay_alu instid0(SALU_CYCLE_1)
	s_and_b32 vcc_lo, exec_lo, s7
	s_cbranch_vccz .LBB127_3537
; %bb.3505:
	s_cmp_gt_i32 s14, 22
	s_cbranch_scc0 .LBB127_3515
; %bb.3506:
	s_cmp_lt_i32 s14, 24
	s_cbranch_scc1 .LBB127_3518
; %bb.3507:
	s_cmp_gt_i32 s14, 24
	s_cbranch_scc0 .LBB127_3519
; %bb.3508:
	global_load_u8 v7, v[10:11], off
	s_mov_b32 s6, exec_lo
	s_wait_loadcnt 0x0
	v_cmpx_lt_i16_e32 0x7f, v7
	s_xor_b32 s6, exec_lo, s6
	s_cbranch_execz .LBB127_3531
; %bb.3509:
	s_mov_b32 s1, -1
	s_mov_b32 s7, exec_lo
	v_cmpx_eq_u16_e32 0x80, v7
; %bb.3510:
	s_xor_b32 s1, exec_lo, -1
; %bb.3511:
	s_or_b32 exec_lo, exec_lo, s7
	s_delay_alu instid0(SALU_CYCLE_1)
	s_and_b32 s1, s1, exec_lo
	s_or_saveexec_b32 s6, s6
	v_mov_b32_e32 v12, 0x7f800001
	s_xor_b32 exec_lo, exec_lo, s6
	s_cbranch_execnz .LBB127_3532
.LBB127_3512:
	s_or_b32 exec_lo, exec_lo, s6
	s_and_saveexec_b32 s6, s1
	s_cbranch_execz .LBB127_3514
.LBB127_3513:
	v_and_b32_e32 v9, 0xffff, v7
	s_delay_alu instid0(VALU_DEP_1) | instskip(SKIP_1) | instid1(VALU_DEP_2)
	v_dual_lshlrev_b32 v7, 24, v7 :: v_dual_bitop2_b32 v12, 3, v9 bitop3:0x40
	v_bfe_u32 v17, v9, 2, 5
	v_and_b32_e32 v7, 0x80000000, v7
	s_delay_alu instid0(VALU_DEP_3) | instskip(NEXT) | instid1(VALU_DEP_3)
	v_clz_i32_u32_e32 v13, v12
	v_cmp_eq_u32_e32 vcc_lo, 0, v17
	s_delay_alu instid0(VALU_DEP_2) | instskip(NEXT) | instid1(VALU_DEP_1)
	v_min_u32_e32 v13, 32, v13
	v_subrev_nc_u32_e32 v15, 29, v13
	v_sub_nc_u32_e32 v13, 30, v13
	s_delay_alu instid0(VALU_DEP_2) | instskip(NEXT) | instid1(VALU_DEP_2)
	v_lshlrev_b32_e32 v9, v15, v9
	v_cndmask_b32_e32 v13, v17, v13, vcc_lo
	s_delay_alu instid0(VALU_DEP_2) | instskip(NEXT) | instid1(VALU_DEP_1)
	v_and_b32_e32 v9, 3, v9
	v_cndmask_b32_e32 v9, v12, v9, vcc_lo
	s_delay_alu instid0(VALU_DEP_3) | instskip(NEXT) | instid1(VALU_DEP_2)
	v_lshl_add_u32 v12, v13, 23, 0x37800000
	v_lshlrev_b32_e32 v9, 21, v9
	s_delay_alu instid0(VALU_DEP_1)
	v_or3_b32 v12, v7, v12, v9
.LBB127_3514:
	s_or_b32 exec_lo, exec_lo, s6
	s_mov_b32 s1, 0
	s_branch .LBB127_3520
.LBB127_3515:
	s_mov_b32 s1, -1
                                        ; implicit-def: $vgpr12
	s_branch .LBB127_3526
.LBB127_3516:
	s_or_saveexec_b32 s7, s7
	v_mov_b32_e32 v12, 0x7f800001
	s_xor_b32 exec_lo, exec_lo, s7
	s_cbranch_execz .LBB127_3499
.LBB127_3517:
	v_cmp_ne_u16_e32 vcc_lo, 0, v7
	v_mov_b32_e32 v12, 0
	s_and_not1_b32 s6, s6, exec_lo
	s_and_b32 s10, vcc_lo, exec_lo
	s_delay_alu instid0(SALU_CYCLE_1)
	s_or_b32 s6, s6, s10
	s_or_b32 exec_lo, exec_lo, s7
	s_and_saveexec_b32 s7, s6
	s_cbranch_execnz .LBB127_3500
	s_branch .LBB127_3501
.LBB127_3518:
	s_mov_b32 s1, -1
                                        ; implicit-def: $vgpr12
	s_branch .LBB127_3523
.LBB127_3519:
	s_mov_b32 s1, -1
                                        ; implicit-def: $vgpr12
.LBB127_3520:
	s_delay_alu instid0(SALU_CYCLE_1)
	s_and_b32 vcc_lo, exec_lo, s1
	s_cbranch_vccz .LBB127_3522
; %bb.3521:
	global_load_u8 v7, v[10:11], off
	s_wait_loadcnt 0x0
	v_lshlrev_b32_e32 v7, 24, v7
	s_delay_alu instid0(VALU_DEP_1) | instskip(SKIP_1) | instid1(VALU_DEP_1)
	v_and_b32_e32 v9, 0x7f000000, v7
	s_wait_xcnt 0x1
	v_clz_i32_u32_e32 v12, v9
	v_add_nc_u32_e32 v15, 0x1000000, v9
	v_cmp_ne_u32_e32 vcc_lo, 0, v9
	s_delay_alu instid0(VALU_DEP_3) | instskip(NEXT) | instid1(VALU_DEP_1)
	v_min_u32_e32 v12, 32, v12
	v_sub_nc_u32_e64 v12, v12, 4 clamp
	s_delay_alu instid0(VALU_DEP_1) | instskip(NEXT) | instid1(VALU_DEP_1)
	v_dual_lshlrev_b32 v13, v12, v9 :: v_dual_lshlrev_b32 v12, 23, v12
	v_lshrrev_b32_e32 v13, 4, v13
	s_delay_alu instid0(VALU_DEP_1) | instskip(NEXT) | instid1(VALU_DEP_1)
	v_dual_sub_nc_u32 v12, v13, v12 :: v_dual_ashrrev_i32 v13, 8, v15
	v_add_nc_u32_e32 v12, 0x3c000000, v12
	s_delay_alu instid0(VALU_DEP_1) | instskip(NEXT) | instid1(VALU_DEP_1)
	v_and_or_b32 v12, 0x7f800000, v13, v12
	v_cndmask_b32_e32 v9, 0, v12, vcc_lo
	s_delay_alu instid0(VALU_DEP_1)
	v_and_or_b32 v12, 0x80000000, v7, v9
.LBB127_3522:
	s_mov_b32 s1, 0
.LBB127_3523:
	s_delay_alu instid0(SALU_CYCLE_1)
	s_and_not1_b32 vcc_lo, exec_lo, s1
	s_cbranch_vccnz .LBB127_3525
; %bb.3524:
	global_load_u8 v7, v[10:11], off
	s_wait_loadcnt 0x0
	v_lshlrev_b32_e32 v9, 25, v7
	v_lshlrev_b16 v7, 8, v7
	s_wait_xcnt 0x1
	s_delay_alu instid0(VALU_DEP_1) | instskip(SKIP_1) | instid1(VALU_DEP_2)
	v_and_or_b32 v13, 0x7f00, v7, 0.5
	v_bfe_i32 v7, v7, 0, 16
	v_add_f32_e32 v13, -0.5, v13
	v_lshrrev_b32_e32 v12, 4, v9
	v_cmp_gt_u32_e32 vcc_lo, 0x8000000, v9
	s_delay_alu instid0(VALU_DEP_2) | instskip(NEXT) | instid1(VALU_DEP_1)
	v_or_b32_e32 v12, 0x70000000, v12
	v_mul_f32_e32 v12, 0x7800000, v12
	s_delay_alu instid0(VALU_DEP_1) | instskip(NEXT) | instid1(VALU_DEP_1)
	v_cndmask_b32_e32 v9, v12, v13, vcc_lo
	v_and_or_b32 v12, 0x80000000, v7, v9
.LBB127_3525:
	s_mov_b32 s1, 0
	s_mov_b32 s6, -1
.LBB127_3526:
	s_and_not1_b32 vcc_lo, exec_lo, s1
	s_mov_b32 s1, 0
	s_cbranch_vccnz .LBB127_3537
; %bb.3527:
	s_cmp_gt_i32 s14, 14
	s_cbranch_scc0 .LBB127_3530
; %bb.3528:
	s_cmp_eq_u32 s14, 15
	s_cbranch_scc0 .LBB127_3533
; %bb.3529:
	global_load_u16 v7, v[10:11], off
	s_mov_b32 s0, 0
	s_mov_b32 s6, -1
	s_wait_loadcnt 0x0
	s_wait_xcnt 0x1
	v_lshlrev_b32_e32 v12, 16, v7
	s_branch .LBB127_3535
.LBB127_3530:
	s_mov_b32 s1, -1
	s_branch .LBB127_3534
.LBB127_3531:
	s_or_saveexec_b32 s6, s6
	v_mov_b32_e32 v12, 0x7f800001
	s_xor_b32 exec_lo, exec_lo, s6
	s_cbranch_execz .LBB127_3512
.LBB127_3532:
	v_cmp_ne_u16_e32 vcc_lo, 0, v7
	v_mov_b32_e32 v12, 0
	s_and_not1_b32 s1, s1, exec_lo
	s_and_b32 s7, vcc_lo, exec_lo
	s_delay_alu instid0(SALU_CYCLE_1)
	s_or_b32 s1, s1, s7
	s_or_b32 exec_lo, exec_lo, s6
	s_and_saveexec_b32 s6, s1
	s_cbranch_execnz .LBB127_3513
	s_branch .LBB127_3514
.LBB127_3533:
	s_mov_b32 s0, -1
.LBB127_3534:
                                        ; implicit-def: $vgpr12
.LBB127_3535:
	s_and_b32 vcc_lo, exec_lo, s1
	s_mov_b32 s1, 0
	s_cbranch_vccz .LBB127_3537
; %bb.3536:
	s_cmp_lg_u32 s14, 11
	s_mov_b32 s1, -1
	s_cselect_b32 s0, -1, 0
.LBB127_3537:
	s_delay_alu instid0(SALU_CYCLE_1)
	s_and_b32 vcc_lo, exec_lo, s0
	s_cbranch_vccnz .LBB127_3602
; %bb.3538:
	s_and_not1_b32 vcc_lo, exec_lo, s1
	s_cbranch_vccnz .LBB127_3540
.LBB127_3539:
	global_load_u8 v7, v[10:11], off
	s_mov_b32 s6, -1
	s_wait_loadcnt 0x0
	v_cmp_ne_u16_e32 vcc_lo, 0, v7
	s_wait_xcnt 0x1
	v_cndmask_b32_e64 v12, 0, 1.0, vcc_lo
.LBB127_3540:
	s_mov_b32 s0, 0
.LBB127_3541:
	s_delay_alu instid0(SALU_CYCLE_1)
	s_and_b32 vcc_lo, exec_lo, s0
	s_cbranch_vccz .LBB127_3590
; %bb.3542:
	s_cmp_lt_i32 s14, 5
	s_cbranch_scc1 .LBB127_3547
; %bb.3543:
	s_cmp_lt_i32 s14, 8
	s_cbranch_scc1 .LBB127_3548
	;; [unrolled: 3-line block ×3, first 2 shown]
; %bb.3545:
	s_cmp_gt_i32 s14, 9
	s_cbranch_scc0 .LBB127_3550
; %bb.3546:
	global_load_b64 v[12:13], v[10:11], off
	s_mov_b32 s0, 0
	s_wait_loadcnt 0x0
	v_cvt_f32_f64_e32 v12, v[12:13]
	s_branch .LBB127_3551
.LBB127_3547:
	s_mov_b32 s0, -1
                                        ; implicit-def: $vgpr12
	s_branch .LBB127_3569
.LBB127_3548:
	s_mov_b32 s0, -1
                                        ; implicit-def: $vgpr12
	s_branch .LBB127_3557
.LBB127_3549:
	s_mov_b32 s0, -1
                                        ; implicit-def: $vgpr12
	s_branch .LBB127_3554
.LBB127_3550:
	s_mov_b32 s0, -1
                                        ; implicit-def: $vgpr12
.LBB127_3551:
	s_delay_alu instid0(SALU_CYCLE_1)
	s_and_not1_b32 vcc_lo, exec_lo, s0
	s_cbranch_vccnz .LBB127_3553
; %bb.3552:
	global_load_b32 v12, v[10:11], off
.LBB127_3553:
	s_mov_b32 s0, 0
.LBB127_3554:
	s_delay_alu instid0(SALU_CYCLE_1)
	s_and_not1_b32 vcc_lo, exec_lo, s0
	s_cbranch_vccnz .LBB127_3556
; %bb.3555:
	global_load_b32 v7, v[10:11], off
	s_wait_loadcnt 0x0
	s_wait_xcnt 0x1
	v_cvt_f32_f16_e32 v12, v7
.LBB127_3556:
	s_mov_b32 s0, 0
.LBB127_3557:
	s_delay_alu instid0(SALU_CYCLE_1)
	s_and_not1_b32 vcc_lo, exec_lo, s0
	s_cbranch_vccnz .LBB127_3568
; %bb.3558:
	s_cmp_lt_i32 s14, 6
	s_cbranch_scc1 .LBB127_3561
; %bb.3559:
	s_cmp_gt_i32 s14, 6
	s_cbranch_scc0 .LBB127_3562
; %bb.3560:
	s_wait_loadcnt 0x0
	global_load_b64 v[12:13], v[10:11], off
	s_mov_b32 s0, 0
	s_wait_loadcnt 0x0
	v_cvt_f32_f64_e32 v12, v[12:13]
	s_branch .LBB127_3563
.LBB127_3561:
	s_mov_b32 s0, -1
                                        ; implicit-def: $vgpr12
	s_branch .LBB127_3566
.LBB127_3562:
	s_mov_b32 s0, -1
                                        ; implicit-def: $vgpr12
.LBB127_3563:
	s_delay_alu instid0(SALU_CYCLE_1)
	s_and_not1_b32 vcc_lo, exec_lo, s0
	s_cbranch_vccnz .LBB127_3565
; %bb.3564:
	s_wait_loadcnt 0x0
	global_load_b32 v12, v[10:11], off
.LBB127_3565:
	s_mov_b32 s0, 0
.LBB127_3566:
	s_delay_alu instid0(SALU_CYCLE_1)
	s_and_not1_b32 vcc_lo, exec_lo, s0
	s_cbranch_vccnz .LBB127_3568
; %bb.3567:
	global_load_u16 v7, v[10:11], off
	s_wait_loadcnt 0x0
	s_wait_xcnt 0x1
	v_cvt_f32_f16_e32 v12, v7
.LBB127_3568:
	s_mov_b32 s0, 0
.LBB127_3569:
	s_delay_alu instid0(SALU_CYCLE_1)
	s_and_not1_b32 vcc_lo, exec_lo, s0
	s_cbranch_vccnz .LBB127_3589
; %bb.3570:
	s_cmp_lt_i32 s14, 2
	s_cbranch_scc1 .LBB127_3574
; %bb.3571:
	s_cmp_lt_i32 s14, 3
	s_cbranch_scc1 .LBB127_3575
; %bb.3572:
	s_cmp_gt_i32 s14, 3
	s_cbranch_scc0 .LBB127_3576
; %bb.3573:
	s_wait_loadcnt 0x0
	global_load_b64 v[12:13], v[10:11], off
	s_mov_b32 s0, 0
	s_wait_loadcnt 0x0
	v_xor_b32_e32 v7, v12, v13
	v_cls_i32_e32 v9, v13
	s_delay_alu instid0(VALU_DEP_2) | instskip(NEXT) | instid1(VALU_DEP_1)
	v_ashrrev_i32_e32 v7, 31, v7
	v_add_nc_u32_e32 v7, 32, v7
	s_delay_alu instid0(VALU_DEP_1) | instskip(NEXT) | instid1(VALU_DEP_1)
	v_add_min_u32_e64 v7, v9, -1, v7
	v_lshlrev_b64_e32 v[12:13], v7, v[12:13]
	v_sub_nc_u32_e32 v7, 32, v7
	s_delay_alu instid0(VALU_DEP_2) | instskip(NEXT) | instid1(VALU_DEP_1)
	v_min_u32_e32 v9, 1, v12
	v_or_b32_e32 v9, v13, v9
	s_delay_alu instid0(VALU_DEP_1) | instskip(NEXT) | instid1(VALU_DEP_1)
	v_cvt_f32_i32_e32 v9, v9
	v_ldexp_f32 v12, v9, v7
	s_branch .LBB127_3577
.LBB127_3574:
	s_mov_b32 s0, -1
                                        ; implicit-def: $vgpr12
	s_branch .LBB127_3583
.LBB127_3575:
	s_mov_b32 s0, -1
                                        ; implicit-def: $vgpr12
	s_branch .LBB127_3580
.LBB127_3576:
	s_mov_b32 s0, -1
                                        ; implicit-def: $vgpr12
.LBB127_3577:
	s_delay_alu instid0(SALU_CYCLE_1)
	s_and_not1_b32 vcc_lo, exec_lo, s0
	s_cbranch_vccnz .LBB127_3579
; %bb.3578:
	global_load_b32 v7, v[10:11], off
	s_wait_loadcnt 0x0
	s_wait_xcnt 0x1
	v_cvt_f32_i32_e32 v12, v7
.LBB127_3579:
	s_mov_b32 s0, 0
.LBB127_3580:
	s_delay_alu instid0(SALU_CYCLE_1)
	s_and_not1_b32 vcc_lo, exec_lo, s0
	s_cbranch_vccnz .LBB127_3582
; %bb.3581:
	global_load_i16 v7, v[10:11], off
	s_wait_loadcnt 0x0
	s_wait_xcnt 0x1
	v_cvt_f32_i32_e32 v12, v7
.LBB127_3582:
	s_mov_b32 s0, 0
.LBB127_3583:
	s_delay_alu instid0(SALU_CYCLE_1)
	s_and_not1_b32 vcc_lo, exec_lo, s0
	s_cbranch_vccnz .LBB127_3589
; %bb.3584:
	s_cmp_gt_i32 s14, 0
	s_mov_b32 s0, 0
	s_cbranch_scc0 .LBB127_3586
; %bb.3585:
	global_load_i8 v7, v[10:11], off
	s_wait_loadcnt 0x0
	s_wait_xcnt 0x1
	v_cvt_f32_i32_e32 v12, v7
	s_branch .LBB127_3587
.LBB127_3586:
	s_mov_b32 s0, -1
                                        ; implicit-def: $vgpr12
.LBB127_3587:
	s_delay_alu instid0(SALU_CYCLE_1)
	s_and_not1_b32 vcc_lo, exec_lo, s0
	s_cbranch_vccnz .LBB127_3589
; %bb.3588:
	global_load_u8 v7, v[10:11], off
	s_wait_loadcnt 0x0
	s_wait_xcnt 0x1
	v_cvt_f32_ubyte0_e32 v12, v7
.LBB127_3589:
	s_mov_b32 s6, -1
.LBB127_3590:
	s_delay_alu instid0(SALU_CYCLE_1)
	s_and_not1_b32 vcc_lo, exec_lo, s6
	s_cbranch_vccnz .LBB127_4155
; %bb.3591:
	v_mov_b32_e32 v9, 0
	s_cmp_lt_i32 s15, 11
	s_delay_alu instid0(VALU_DEP_1)
	v_add_nc_u64_e32 v[8:9], s[8:9], v[8:9]
	s_cbranch_scc1 .LBB127_3598
; %bb.3592:
	s_cmp_gt_i32 s15, 25
	s_mov_b32 s1, 0
	s_cbranch_scc0 .LBB127_3599
; %bb.3593:
	s_cmp_gt_i32 s15, 28
	s_cbranch_scc0 .LBB127_3600
; %bb.3594:
	s_cmp_gt_i32 s15, 43
	;; [unrolled: 3-line block ×3, first 2 shown]
	s_cbranch_scc0 .LBB127_3603
; %bb.3596:
	s_cmp_eq_u32 s15, 46
	s_mov_b32 s7, 0
	s_cbranch_scc0 .LBB127_3604
; %bb.3597:
	global_load_b32 v7, v[8:9], off
	s_mov_b32 s0, 0
	s_mov_b32 s6, -1
	s_wait_loadcnt 0x0
	s_wait_xcnt 0x1
	v_lshlrev_b32_e32 v10, 16, v7
	s_branch .LBB127_3606
.LBB127_3598:
	s_mov_b32 s0, -1
	s_mov_b32 s6, 0
                                        ; implicit-def: $vgpr10
	s_branch .LBB127_3672
.LBB127_3599:
	s_mov_b32 s7, -1
	s_mov_b32 s6, 0
	s_mov_b32 s0, 0
                                        ; implicit-def: $vgpr10
	s_branch .LBB127_3635
.LBB127_3600:
	s_mov_b32 s7, -1
	s_mov_b32 s6, 0
	s_mov_b32 s0, 0
                                        ; implicit-def: $vgpr10
	s_branch .LBB127_3616
.LBB127_3601:
	s_mov_b32 s7, -1
	s_mov_b32 s6, 0
	s_mov_b32 s0, 0
                                        ; implicit-def: $vgpr10
	s_branch .LBB127_3611
.LBB127_3602:
	s_or_b32 s13, s13, exec_lo
	s_trap 2
	s_cbranch_execz .LBB127_3539
	s_branch .LBB127_3540
.LBB127_3603:
	s_mov_b32 s7, -1
	s_mov_b32 s6, 0
	s_mov_b32 s0, 0
	s_branch .LBB127_3605
.LBB127_3604:
	s_mov_b32 s0, -1
	s_mov_b32 s6, 0
.LBB127_3605:
                                        ; implicit-def: $vgpr10
.LBB127_3606:
	s_and_b32 vcc_lo, exec_lo, s7
	s_cbranch_vccz .LBB127_3610
; %bb.3607:
	s_cmp_eq_u32 s15, 44
	s_cbranch_scc0 .LBB127_3609
; %bb.3608:
	global_load_u8 v7, v[8:9], off
	s_mov_b32 s0, 0
	s_mov_b32 s6, -1
	s_wait_loadcnt 0x0
	s_wait_xcnt 0x1
	v_lshlrev_b32_e32 v10, 23, v7
	v_cmp_ne_u32_e32 vcc_lo, 0xff, v7
	s_delay_alu instid0(VALU_DEP_2) | instskip(SKIP_1) | instid1(VALU_DEP_2)
	v_cndmask_b32_e32 v10, 0x7f800001, v10, vcc_lo
	v_cmp_ne_u32_e32 vcc_lo, 0, v7
	v_cndmask_b32_e32 v10, 0x400000, v10, vcc_lo
	s_branch .LBB127_3610
.LBB127_3609:
	s_mov_b32 s0, -1
                                        ; implicit-def: $vgpr10
.LBB127_3610:
	s_mov_b32 s7, 0
.LBB127_3611:
	s_delay_alu instid0(SALU_CYCLE_1)
	s_and_b32 vcc_lo, exec_lo, s7
	s_cbranch_vccz .LBB127_3615
; %bb.3612:
	s_cmp_eq_u32 s15, 29
	s_cbranch_scc0 .LBB127_3614
; %bb.3613:
	global_load_b64 v[10:11], v[8:9], off
	s_mov_b32 s0, 0
	s_mov_b32 s6, -1
	s_mov_b32 s7, 0
	s_wait_loadcnt 0x0
	v_clz_i32_u32_e32 v7, v11
	s_delay_alu instid0(VALU_DEP_1) | instskip(NEXT) | instid1(VALU_DEP_1)
	v_min_u32_e32 v7, 32, v7
	v_lshlrev_b64_e32 v[10:11], v7, v[10:11]
	v_sub_nc_u32_e32 v7, 32, v7
	s_delay_alu instid0(VALU_DEP_2) | instskip(NEXT) | instid1(VALU_DEP_1)
	v_min_u32_e32 v10, 1, v10
	v_or_b32_e32 v10, v11, v10
	s_delay_alu instid0(VALU_DEP_1) | instskip(NEXT) | instid1(VALU_DEP_1)
	v_cvt_f32_u32_e32 v10, v10
	v_ldexp_f32 v10, v10, v7
	s_branch .LBB127_3616
.LBB127_3614:
	s_mov_b32 s0, -1
                                        ; implicit-def: $vgpr10
.LBB127_3615:
	s_mov_b32 s7, 0
.LBB127_3616:
	s_delay_alu instid0(SALU_CYCLE_1)
	s_and_b32 vcc_lo, exec_lo, s7
	s_cbranch_vccz .LBB127_3634
; %bb.3617:
	s_cmp_lt_i32 s15, 27
	s_cbranch_scc1 .LBB127_3620
; %bb.3618:
	s_cmp_gt_i32 s15, 27
	s_cbranch_scc0 .LBB127_3621
; %bb.3619:
	global_load_b32 v7, v[8:9], off
	s_mov_b32 s6, 0
	s_wait_loadcnt 0x0
	s_wait_xcnt 0x1
	v_cvt_f32_u32_e32 v10, v7
	s_branch .LBB127_3622
.LBB127_3620:
	s_mov_b32 s6, -1
                                        ; implicit-def: $vgpr10
	s_branch .LBB127_3625
.LBB127_3621:
	s_mov_b32 s6, -1
                                        ; implicit-def: $vgpr10
.LBB127_3622:
	s_delay_alu instid0(SALU_CYCLE_1)
	s_and_not1_b32 vcc_lo, exec_lo, s6
	s_cbranch_vccnz .LBB127_3624
; %bb.3623:
	global_load_u16 v7, v[8:9], off
	s_wait_loadcnt 0x0
	s_wait_xcnt 0x1
	v_cvt_f32_u32_e32 v10, v7
.LBB127_3624:
	s_mov_b32 s6, 0
.LBB127_3625:
	s_delay_alu instid0(SALU_CYCLE_1)
	s_and_not1_b32 vcc_lo, exec_lo, s6
	s_cbranch_vccnz .LBB127_3633
; %bb.3626:
	global_load_u8 v7, v[8:9], off
	s_mov_b32 s6, 0
	s_mov_b32 s7, exec_lo
	s_wait_loadcnt 0x0
	v_cmpx_lt_i16_e32 0x7f, v7
	s_xor_b32 s7, exec_lo, s7
	s_cbranch_execz .LBB127_3647
; %bb.3627:
	s_mov_b32 s6, -1
	s_mov_b32 s8, exec_lo
	v_cmpx_eq_u16_e32 0x80, v7
; %bb.3628:
	s_xor_b32 s6, exec_lo, -1
; %bb.3629:
	s_or_b32 exec_lo, exec_lo, s8
	s_delay_alu instid0(SALU_CYCLE_1)
	s_and_b32 s6, s6, exec_lo
	s_or_saveexec_b32 s7, s7
	v_mov_b32_e32 v10, 0x7f800001
	s_xor_b32 exec_lo, exec_lo, s7
	s_cbranch_execnz .LBB127_3648
.LBB127_3630:
	s_or_b32 exec_lo, exec_lo, s7
	s_and_saveexec_b32 s7, s6
	s_cbranch_execz .LBB127_3632
.LBB127_3631:
	v_and_b32_e32 v10, 0xffff, v7
	s_delay_alu instid0(VALU_DEP_1) | instskip(SKIP_1) | instid1(VALU_DEP_2)
	v_and_b32_e32 v11, 7, v10
	v_bfe_u32 v17, v10, 3, 4
	v_clz_i32_u32_e32 v13, v11
	s_delay_alu instid0(VALU_DEP_2) | instskip(NEXT) | instid1(VALU_DEP_2)
	v_cmp_eq_u32_e32 vcc_lo, 0, v17
	v_min_u32_e32 v13, 32, v13
	s_delay_alu instid0(VALU_DEP_1) | instskip(NEXT) | instid1(VALU_DEP_1)
	v_subrev_nc_u32_e32 v15, 28, v13
	v_dual_lshlrev_b32 v10, v15, v10 :: v_dual_sub_nc_u32 v13, 29, v13
	s_delay_alu instid0(VALU_DEP_1) | instskip(NEXT) | instid1(VALU_DEP_1)
	v_dual_lshlrev_b32 v7, 24, v7 :: v_dual_bitop2_b32 v10, 7, v10 bitop3:0x40
	v_dual_cndmask_b32 v13, v17, v13 :: v_dual_cndmask_b32 v10, v11, v10
	s_delay_alu instid0(VALU_DEP_2) | instskip(NEXT) | instid1(VALU_DEP_2)
	v_and_b32_e32 v7, 0x80000000, v7
	v_lshl_add_u32 v11, v13, 23, 0x3b800000
	s_delay_alu instid0(VALU_DEP_3) | instskip(NEXT) | instid1(VALU_DEP_1)
	v_lshlrev_b32_e32 v10, 20, v10
	v_or3_b32 v10, v7, v11, v10
.LBB127_3632:
	s_or_b32 exec_lo, exec_lo, s7
.LBB127_3633:
	s_mov_b32 s6, -1
.LBB127_3634:
	s_mov_b32 s7, 0
.LBB127_3635:
	s_delay_alu instid0(SALU_CYCLE_1)
	s_and_b32 vcc_lo, exec_lo, s7
	s_cbranch_vccz .LBB127_3668
; %bb.3636:
	s_cmp_gt_i32 s15, 22
	s_cbranch_scc0 .LBB127_3646
; %bb.3637:
	s_cmp_lt_i32 s15, 24
	s_cbranch_scc1 .LBB127_3649
; %bb.3638:
	s_cmp_gt_i32 s15, 24
	s_cbranch_scc0 .LBB127_3650
; %bb.3639:
	global_load_u8 v7, v[8:9], off
	s_mov_b32 s6, exec_lo
	s_wait_loadcnt 0x0
	v_cmpx_lt_i16_e32 0x7f, v7
	s_xor_b32 s6, exec_lo, s6
	s_cbranch_execz .LBB127_3662
; %bb.3640:
	s_mov_b32 s1, -1
	s_mov_b32 s7, exec_lo
	v_cmpx_eq_u16_e32 0x80, v7
; %bb.3641:
	s_xor_b32 s1, exec_lo, -1
; %bb.3642:
	s_or_b32 exec_lo, exec_lo, s7
	s_delay_alu instid0(SALU_CYCLE_1)
	s_and_b32 s1, s1, exec_lo
	s_or_saveexec_b32 s6, s6
	v_mov_b32_e32 v10, 0x7f800001
	s_xor_b32 exec_lo, exec_lo, s6
	s_cbranch_execnz .LBB127_3663
.LBB127_3643:
	s_or_b32 exec_lo, exec_lo, s6
	s_and_saveexec_b32 s6, s1
	s_cbranch_execz .LBB127_3645
.LBB127_3644:
	v_and_b32_e32 v10, 0xffff, v7
	s_delay_alu instid0(VALU_DEP_1) | instskip(SKIP_1) | instid1(VALU_DEP_2)
	v_and_b32_e32 v11, 3, v10
	v_bfe_u32 v17, v10, 2, 5
	v_clz_i32_u32_e32 v13, v11
	s_delay_alu instid0(VALU_DEP_2) | instskip(NEXT) | instid1(VALU_DEP_2)
	v_cmp_eq_u32_e32 vcc_lo, 0, v17
	v_min_u32_e32 v13, 32, v13
	s_delay_alu instid0(VALU_DEP_1) | instskip(NEXT) | instid1(VALU_DEP_1)
	v_subrev_nc_u32_e32 v15, 29, v13
	v_dual_lshlrev_b32 v10, v15, v10 :: v_dual_sub_nc_u32 v13, 30, v13
	s_delay_alu instid0(VALU_DEP_1) | instskip(NEXT) | instid1(VALU_DEP_1)
	v_dual_lshlrev_b32 v7, 24, v7 :: v_dual_bitop2_b32 v10, 3, v10 bitop3:0x40
	v_dual_cndmask_b32 v13, v17, v13 :: v_dual_cndmask_b32 v10, v11, v10
	s_delay_alu instid0(VALU_DEP_2) | instskip(NEXT) | instid1(VALU_DEP_2)
	v_and_b32_e32 v7, 0x80000000, v7
	v_lshl_add_u32 v11, v13, 23, 0x37800000
	s_delay_alu instid0(VALU_DEP_3) | instskip(NEXT) | instid1(VALU_DEP_1)
	v_lshlrev_b32_e32 v10, 21, v10
	v_or3_b32 v10, v7, v11, v10
.LBB127_3645:
	s_or_b32 exec_lo, exec_lo, s6
	s_mov_b32 s1, 0
	s_branch .LBB127_3651
.LBB127_3646:
	s_mov_b32 s1, -1
                                        ; implicit-def: $vgpr10
	s_branch .LBB127_3657
.LBB127_3647:
	s_or_saveexec_b32 s7, s7
	v_mov_b32_e32 v10, 0x7f800001
	s_xor_b32 exec_lo, exec_lo, s7
	s_cbranch_execz .LBB127_3630
.LBB127_3648:
	v_cmp_ne_u16_e32 vcc_lo, 0, v7
	v_mov_b32_e32 v10, 0
	s_and_not1_b32 s6, s6, exec_lo
	s_and_b32 s8, vcc_lo, exec_lo
	s_delay_alu instid0(SALU_CYCLE_1)
	s_or_b32 s6, s6, s8
	s_or_b32 exec_lo, exec_lo, s7
	s_and_saveexec_b32 s7, s6
	s_cbranch_execnz .LBB127_3631
	s_branch .LBB127_3632
.LBB127_3649:
	s_mov_b32 s1, -1
                                        ; implicit-def: $vgpr10
	s_branch .LBB127_3654
.LBB127_3650:
	s_mov_b32 s1, -1
                                        ; implicit-def: $vgpr10
.LBB127_3651:
	s_delay_alu instid0(SALU_CYCLE_1)
	s_and_b32 vcc_lo, exec_lo, s1
	s_cbranch_vccz .LBB127_3653
; %bb.3652:
	global_load_u8 v7, v[8:9], off
	s_wait_loadcnt 0x0
	v_lshlrev_b32_e32 v7, 24, v7
	s_wait_xcnt 0x1
	s_delay_alu instid0(VALU_DEP_1) | instskip(NEXT) | instid1(VALU_DEP_1)
	v_and_b32_e32 v10, 0x7f000000, v7
	v_clz_i32_u32_e32 v11, v10
	v_cmp_ne_u32_e32 vcc_lo, 0, v10
	v_add_nc_u32_e32 v15, 0x1000000, v10
	s_delay_alu instid0(VALU_DEP_3) | instskip(NEXT) | instid1(VALU_DEP_1)
	v_min_u32_e32 v11, 32, v11
	v_sub_nc_u32_e64 v11, v11, 4 clamp
	s_delay_alu instid0(VALU_DEP_1) | instskip(NEXT) | instid1(VALU_DEP_1)
	v_dual_lshlrev_b32 v13, v11, v10 :: v_dual_lshlrev_b32 v11, 23, v11
	v_lshrrev_b32_e32 v13, 4, v13
	s_delay_alu instid0(VALU_DEP_1) | instskip(SKIP_1) | instid1(VALU_DEP_2)
	v_sub_nc_u32_e32 v11, v13, v11
	v_ashrrev_i32_e32 v13, 8, v15
	v_add_nc_u32_e32 v11, 0x3c000000, v11
	s_delay_alu instid0(VALU_DEP_1) | instskip(NEXT) | instid1(VALU_DEP_1)
	v_and_or_b32 v11, 0x7f800000, v13, v11
	v_cndmask_b32_e32 v10, 0, v11, vcc_lo
	s_delay_alu instid0(VALU_DEP_1)
	v_and_or_b32 v10, 0x80000000, v7, v10
.LBB127_3653:
	s_mov_b32 s1, 0
.LBB127_3654:
	s_delay_alu instid0(SALU_CYCLE_1)
	s_and_not1_b32 vcc_lo, exec_lo, s1
	s_cbranch_vccnz .LBB127_3656
; %bb.3655:
	global_load_u8 v7, v[8:9], off
	s_wait_loadcnt 0x0
	s_wait_xcnt 0x1
	v_lshlrev_b32_e32 v10, 25, v7
	v_lshlrev_b16 v7, 8, v7
	s_delay_alu instid0(VALU_DEP_1) | instskip(SKIP_1) | instid1(VALU_DEP_2)
	v_and_or_b32 v13, 0x7f00, v7, 0.5
	v_bfe_i32 v7, v7, 0, 16
	v_dual_add_f32 v13, -0.5, v13 :: v_dual_lshrrev_b32 v11, 4, v10
	v_cmp_gt_u32_e32 vcc_lo, 0x8000000, v10
	s_delay_alu instid0(VALU_DEP_2) | instskip(NEXT) | instid1(VALU_DEP_1)
	v_or_b32_e32 v11, 0x70000000, v11
	v_mul_f32_e32 v11, 0x7800000, v11
	s_delay_alu instid0(VALU_DEP_1) | instskip(NEXT) | instid1(VALU_DEP_1)
	v_cndmask_b32_e32 v10, v11, v13, vcc_lo
	v_and_or_b32 v10, 0x80000000, v7, v10
.LBB127_3656:
	s_mov_b32 s1, 0
	s_mov_b32 s6, -1
.LBB127_3657:
	s_and_not1_b32 vcc_lo, exec_lo, s1
	s_mov_b32 s1, 0
	s_cbranch_vccnz .LBB127_3668
; %bb.3658:
	s_cmp_gt_i32 s15, 14
	s_cbranch_scc0 .LBB127_3661
; %bb.3659:
	s_cmp_eq_u32 s15, 15
	s_cbranch_scc0 .LBB127_3664
; %bb.3660:
	global_load_u16 v7, v[8:9], off
	s_mov_b32 s0, 0
	s_mov_b32 s6, -1
	s_wait_loadcnt 0x0
	s_wait_xcnt 0x1
	v_lshlrev_b32_e32 v10, 16, v7
	s_branch .LBB127_3666
.LBB127_3661:
	s_mov_b32 s1, -1
	s_branch .LBB127_3665
.LBB127_3662:
	s_or_saveexec_b32 s6, s6
	v_mov_b32_e32 v10, 0x7f800001
	s_xor_b32 exec_lo, exec_lo, s6
	s_cbranch_execz .LBB127_3643
.LBB127_3663:
	v_cmp_ne_u16_e32 vcc_lo, 0, v7
	v_mov_b32_e32 v10, 0
	s_and_not1_b32 s1, s1, exec_lo
	s_and_b32 s7, vcc_lo, exec_lo
	s_delay_alu instid0(SALU_CYCLE_1)
	s_or_b32 s1, s1, s7
	s_or_b32 exec_lo, exec_lo, s6
	s_and_saveexec_b32 s6, s1
	s_cbranch_execnz .LBB127_3644
	s_branch .LBB127_3645
.LBB127_3664:
	s_mov_b32 s0, -1
.LBB127_3665:
                                        ; implicit-def: $vgpr10
.LBB127_3666:
	s_and_b32 vcc_lo, exec_lo, s1
	s_mov_b32 s1, 0
	s_cbranch_vccz .LBB127_3668
; %bb.3667:
	s_cmp_lg_u32 s15, 11
	s_mov_b32 s1, -1
	s_cselect_b32 s0, -1, 0
.LBB127_3668:
	s_delay_alu instid0(SALU_CYCLE_1)
	s_and_b32 vcc_lo, exec_lo, s0
	s_cbranch_vccnz .LBB127_4201
; %bb.3669:
	s_and_not1_b32 vcc_lo, exec_lo, s1
	s_cbranch_vccnz .LBB127_3671
.LBB127_3670:
	global_load_u8 v7, v[8:9], off
	s_mov_b32 s6, -1
	s_wait_loadcnt 0x0
	v_cmp_ne_u16_e32 vcc_lo, 0, v7
	s_wait_xcnt 0x1
	v_cndmask_b32_e64 v10, 0, 1.0, vcc_lo
.LBB127_3671:
	s_mov_b32 s0, 0
.LBB127_3672:
	s_delay_alu instid0(SALU_CYCLE_1)
	s_and_b32 vcc_lo, exec_lo, s0
	s_cbranch_vccz .LBB127_3721
; %bb.3673:
	s_cmp_lt_i32 s15, 5
	s_cbranch_scc1 .LBB127_3678
; %bb.3674:
	s_cmp_lt_i32 s15, 8
	s_cbranch_scc1 .LBB127_3679
	;; [unrolled: 3-line block ×3, first 2 shown]
; %bb.3676:
	s_cmp_gt_i32 s15, 9
	s_cbranch_scc0 .LBB127_3681
; %bb.3677:
	global_load_b64 v[10:11], v[8:9], off
	s_mov_b32 s0, 0
	s_wait_loadcnt 0x0
	v_cvt_f32_f64_e32 v10, v[10:11]
	s_branch .LBB127_3682
.LBB127_3678:
	s_mov_b32 s0, -1
                                        ; implicit-def: $vgpr10
	s_branch .LBB127_3700
.LBB127_3679:
	s_mov_b32 s0, -1
                                        ; implicit-def: $vgpr10
	s_branch .LBB127_3688
.LBB127_3680:
	s_mov_b32 s0, -1
                                        ; implicit-def: $vgpr10
	s_branch .LBB127_3685
.LBB127_3681:
	s_mov_b32 s0, -1
                                        ; implicit-def: $vgpr10
.LBB127_3682:
	s_delay_alu instid0(SALU_CYCLE_1)
	s_and_not1_b32 vcc_lo, exec_lo, s0
	s_cbranch_vccnz .LBB127_3684
; %bb.3683:
	global_load_b32 v10, v[8:9], off
.LBB127_3684:
	s_mov_b32 s0, 0
.LBB127_3685:
	s_delay_alu instid0(SALU_CYCLE_1)
	s_and_not1_b32 vcc_lo, exec_lo, s0
	s_cbranch_vccnz .LBB127_3687
; %bb.3686:
	global_load_b32 v7, v[8:9], off
	s_wait_loadcnt 0x0
	s_wait_xcnt 0x1
	v_cvt_f32_f16_e32 v10, v7
.LBB127_3687:
	s_mov_b32 s0, 0
.LBB127_3688:
	s_delay_alu instid0(SALU_CYCLE_1)
	s_and_not1_b32 vcc_lo, exec_lo, s0
	s_cbranch_vccnz .LBB127_3699
; %bb.3689:
	s_cmp_lt_i32 s15, 6
	s_cbranch_scc1 .LBB127_3692
; %bb.3690:
	s_cmp_gt_i32 s15, 6
	s_cbranch_scc0 .LBB127_3693
; %bb.3691:
	s_wait_loadcnt 0x0
	global_load_b64 v[10:11], v[8:9], off
	s_mov_b32 s0, 0
	s_wait_loadcnt 0x0
	v_cvt_f32_f64_e32 v10, v[10:11]
	s_branch .LBB127_3694
.LBB127_3692:
	s_mov_b32 s0, -1
                                        ; implicit-def: $vgpr10
	s_branch .LBB127_3697
.LBB127_3693:
	s_mov_b32 s0, -1
                                        ; implicit-def: $vgpr10
.LBB127_3694:
	s_delay_alu instid0(SALU_CYCLE_1)
	s_and_not1_b32 vcc_lo, exec_lo, s0
	s_cbranch_vccnz .LBB127_3696
; %bb.3695:
	s_wait_loadcnt 0x0
	global_load_b32 v10, v[8:9], off
.LBB127_3696:
	s_mov_b32 s0, 0
.LBB127_3697:
	s_delay_alu instid0(SALU_CYCLE_1)
	s_and_not1_b32 vcc_lo, exec_lo, s0
	s_cbranch_vccnz .LBB127_3699
; %bb.3698:
	global_load_u16 v7, v[8:9], off
	s_wait_loadcnt 0x0
	s_wait_xcnt 0x1
	v_cvt_f32_f16_e32 v10, v7
.LBB127_3699:
	s_mov_b32 s0, 0
.LBB127_3700:
	s_delay_alu instid0(SALU_CYCLE_1)
	s_and_not1_b32 vcc_lo, exec_lo, s0
	s_cbranch_vccnz .LBB127_3720
; %bb.3701:
	s_cmp_lt_i32 s15, 2
	s_cbranch_scc1 .LBB127_3705
; %bb.3702:
	s_cmp_lt_i32 s15, 3
	s_cbranch_scc1 .LBB127_3706
; %bb.3703:
	s_cmp_gt_i32 s15, 3
	s_cbranch_scc0 .LBB127_3707
; %bb.3704:
	s_wait_loadcnt 0x0
	global_load_b64 v[10:11], v[8:9], off
	s_mov_b32 s0, 0
	s_wait_loadcnt 0x0
	v_xor_b32_e32 v7, v10, v11
	v_cls_i32_e32 v13, v11
	s_delay_alu instid0(VALU_DEP_2) | instskip(NEXT) | instid1(VALU_DEP_1)
	v_ashrrev_i32_e32 v7, 31, v7
	v_add_nc_u32_e32 v7, 32, v7
	s_delay_alu instid0(VALU_DEP_1) | instskip(NEXT) | instid1(VALU_DEP_1)
	v_add_min_u32_e64 v7, v13, -1, v7
	v_lshlrev_b64_e32 v[10:11], v7, v[10:11]
	v_sub_nc_u32_e32 v7, 32, v7
	s_delay_alu instid0(VALU_DEP_2) | instskip(NEXT) | instid1(VALU_DEP_1)
	v_min_u32_e32 v10, 1, v10
	v_or_b32_e32 v10, v11, v10
	s_delay_alu instid0(VALU_DEP_1) | instskip(NEXT) | instid1(VALU_DEP_1)
	v_cvt_f32_i32_e32 v10, v10
	v_ldexp_f32 v10, v10, v7
	s_branch .LBB127_3708
.LBB127_3705:
	s_mov_b32 s0, -1
                                        ; implicit-def: $vgpr10
	s_branch .LBB127_3714
.LBB127_3706:
	s_mov_b32 s0, -1
                                        ; implicit-def: $vgpr10
	s_branch .LBB127_3711
.LBB127_3707:
	s_mov_b32 s0, -1
                                        ; implicit-def: $vgpr10
.LBB127_3708:
	s_delay_alu instid0(SALU_CYCLE_1)
	s_and_not1_b32 vcc_lo, exec_lo, s0
	s_cbranch_vccnz .LBB127_3710
; %bb.3709:
	global_load_b32 v7, v[8:9], off
	s_wait_loadcnt 0x0
	s_wait_xcnt 0x1
	v_cvt_f32_i32_e32 v10, v7
.LBB127_3710:
	s_mov_b32 s0, 0
.LBB127_3711:
	s_delay_alu instid0(SALU_CYCLE_1)
	s_and_not1_b32 vcc_lo, exec_lo, s0
	s_cbranch_vccnz .LBB127_3713
; %bb.3712:
	global_load_i16 v7, v[8:9], off
	s_wait_loadcnt 0x0
	s_wait_xcnt 0x1
	v_cvt_f32_i32_e32 v10, v7
.LBB127_3713:
	s_mov_b32 s0, 0
.LBB127_3714:
	s_delay_alu instid0(SALU_CYCLE_1)
	s_and_not1_b32 vcc_lo, exec_lo, s0
	s_cbranch_vccnz .LBB127_3720
; %bb.3715:
	s_cmp_gt_i32 s15, 0
	s_mov_b32 s0, 0
	s_cbranch_scc0 .LBB127_3717
; %bb.3716:
	global_load_i8 v7, v[8:9], off
	s_wait_loadcnt 0x0
	s_wait_xcnt 0x1
	v_cvt_f32_i32_e32 v10, v7
	s_branch .LBB127_3718
.LBB127_3717:
	s_mov_b32 s0, -1
                                        ; implicit-def: $vgpr10
.LBB127_3718:
	s_delay_alu instid0(SALU_CYCLE_1)
	s_and_not1_b32 vcc_lo, exec_lo, s0
	s_cbranch_vccnz .LBB127_3720
; %bb.3719:
	global_load_u8 v7, v[8:9], off
	s_wait_loadcnt 0x0
	s_wait_xcnt 0x1
	v_cvt_f32_ubyte0_e32 v10, v7
.LBB127_3720:
	s_mov_b32 s6, -1
.LBB127_3721:
	s_delay_alu instid0(SALU_CYCLE_1)
	s_and_not1_b32 vcc_lo, exec_lo, s6
	s_cbranch_vccnz .LBB127_4155
; %bb.3722:
	s_load_b96 s[8:10], s[2:3], 0x1e8
	v_mov_b32_e32 v7, 0
	s_delay_alu instid0(VALU_DEP_1) | instskip(SKIP_3) | instid1(SALU_CYCLE_1)
	v_add_nc_u64_e32 v[6:7], s[4:5], v[6:7]
	s_wait_kmcnt 0x0
	v_mul_f32_e32 v3, s9, v3
	s_and_b32 s1, s10, 0xff
	s_cmp_lt_i32 s1, 11
	s_wait_loadcnt 0x0
	s_delay_alu instid0(VALU_DEP_1) | instskip(NEXT) | instid1(VALU_DEP_1)
	v_mul_f32_e32 v8, v3, v5
	v_fmac_f32_e32 v8, s8, v1
	s_cbranch_scc1 .LBB127_3800
; %bb.3723:
	s_and_b32 s2, 0xffff, s1
	s_mov_b32 s7, -1
	s_mov_b32 s3, 0
	s_cmp_gt_i32 s2, 25
	s_mov_b32 s6, 0
	s_mov_b32 s0, 0
	s_cbranch_scc0 .LBB127_3756
; %bb.3724:
	s_cmp_gt_i32 s2, 28
	s_cbranch_scc0 .LBB127_3739
; %bb.3725:
	s_cmp_gt_i32 s2, 43
	;; [unrolled: 3-line block ×3, first 2 shown]
	s_cbranch_scc0 .LBB127_3729
; %bb.3727:
	s_mov_b32 s0, -1
	s_mov_b32 s7, 0
	s_cmp_eq_u32 s2, 46
	s_cbranch_scc0 .LBB127_3729
; %bb.3728:
	v_bfe_u32 v1, v8, 16, 1
	v_cmp_o_f32_e32 vcc_lo, v8, v8
	s_mov_b32 s0, 0
	s_mov_b32 s6, -1
	s_delay_alu instid0(VALU_DEP_2) | instskip(NEXT) | instid1(VALU_DEP_1)
	v_add3_u32 v1, v8, v1, 0x7fff
	v_lshrrev_b32_e32 v1, 16, v1
	s_delay_alu instid0(VALU_DEP_1)
	v_cndmask_b32_e32 v1, 0x7fc0, v1, vcc_lo
	global_store_b32 v[6:7], v1, off
.LBB127_3729:
	s_and_b32 vcc_lo, exec_lo, s7
	s_cbranch_vccz .LBB127_3734
; %bb.3730:
	s_cmp_eq_u32 s2, 44
	s_mov_b32 s0, -1
	s_cbranch_scc0 .LBB127_3734
; %bb.3731:
	v_bfe_u32 v3, v8, 23, 8
	s_wait_xcnt 0x0
	v_mov_b32_e32 v1, 0xff
	s_mov_b32 s6, exec_lo
	s_delay_alu instid0(VALU_DEP_2)
	v_cmpx_ne_u32_e32 0xff, v3
	s_cbranch_execz .LBB127_3733
; %bb.3732:
	v_and_b32_e32 v1, 0x400000, v8
	v_and_or_b32 v3, 0x3fffff, v8, v3
	s_delay_alu instid0(VALU_DEP_2) | instskip(NEXT) | instid1(VALU_DEP_2)
	v_cmp_ne_u32_e32 vcc_lo, 0, v1
	v_cmp_ne_u32_e64 s0, 0, v3
	v_lshrrev_b32_e32 v1, 23, v8
	s_and_b32 s0, vcc_lo, s0
	s_delay_alu instid0(SALU_CYCLE_1) | instskip(NEXT) | instid1(VALU_DEP_1)
	v_cndmask_b32_e64 v3, 0, 1, s0
	v_add_nc_u32_e32 v1, v1, v3
.LBB127_3733:
	s_or_b32 exec_lo, exec_lo, s6
	s_mov_b32 s0, 0
	s_mov_b32 s6, -1
	global_store_b8 v[6:7], v1, off
.LBB127_3734:
	s_mov_b32 s7, 0
.LBB127_3735:
	s_delay_alu instid0(SALU_CYCLE_1)
	s_and_b32 vcc_lo, exec_lo, s7
	s_cbranch_vccz .LBB127_3738
; %bb.3736:
	s_cmp_eq_u32 s2, 29
	s_mov_b32 s0, -1
	s_cbranch_scc0 .LBB127_3738
; %bb.3737:
	s_wait_xcnt 0x0
	v_trunc_f32_e32 v1, v8
	s_mov_b32 s0, 0
	s_mov_b32 s6, -1
	s_delay_alu instid0(VALU_DEP_1) | instskip(NEXT) | instid1(VALU_DEP_1)
	v_mul_f32_e32 v3, 0x2f800000, v1
	v_floor_f32_e32 v3, v3
	s_delay_alu instid0(VALU_DEP_1) | instskip(SKIP_1) | instid1(VALU_DEP_2)
	v_fmamk_f32 v1, v3, 0xcf800000, v1
	v_cvt_u32_f32_e32 v29, v3
	v_cvt_u32_f32_e32 v28, v1
	global_store_b64 v[6:7], v[28:29], off
.LBB127_3738:
	s_mov_b32 s7, 0
.LBB127_3739:
	s_delay_alu instid0(SALU_CYCLE_1)
	s_and_b32 vcc_lo, exec_lo, s7
	s_cbranch_vccz .LBB127_3755
; %bb.3740:
	s_cmp_lt_i32 s2, 27
	s_mov_b32 s6, -1
	s_cbranch_scc1 .LBB127_3746
; %bb.3741:
	s_wait_xcnt 0x0
	v_cvt_u32_f32_e32 v1, v8
	s_cmp_gt_i32 s2, 27
	s_cbranch_scc0 .LBB127_3743
; %bb.3742:
	s_mov_b32 s6, 0
	global_store_b32 v[6:7], v1, off
.LBB127_3743:
	s_and_not1_b32 vcc_lo, exec_lo, s6
	s_cbranch_vccnz .LBB127_3745
; %bb.3744:
	global_store_b16 v[6:7], v1, off
.LBB127_3745:
	s_mov_b32 s6, 0
.LBB127_3746:
	s_delay_alu instid0(SALU_CYCLE_1)
	s_and_not1_b32 vcc_lo, exec_lo, s6
	s_cbranch_vccnz .LBB127_3754
; %bb.3747:
	s_wait_xcnt 0x0
	v_and_b32_e32 v1, 0x7fffffff, v8
	v_mov_b32_e32 v3, 0x80
	s_mov_b32 s6, exec_lo
	s_delay_alu instid0(VALU_DEP_2)
	v_cmpx_gt_u32_e32 0x43800000, v1
	s_cbranch_execz .LBB127_3753
; %bb.3748:
	v_cmp_lt_u32_e32 vcc_lo, 0x3bffffff, v1
	s_mov_b32 s7, 0
                                        ; implicit-def: $vgpr1
	s_and_saveexec_b32 s10, vcc_lo
	s_delay_alu instid0(SALU_CYCLE_1)
	s_xor_b32 s10, exec_lo, s10
	s_cbranch_execz .LBB127_4202
; %bb.3749:
	v_bfe_u32 v1, v8, 20, 1
	s_mov_b32 s7, exec_lo
	s_delay_alu instid0(VALU_DEP_1) | instskip(NEXT) | instid1(VALU_DEP_1)
	v_add3_u32 v1, v8, v1, 0x487ffff
	v_lshrrev_b32_e32 v1, 20, v1
	s_and_not1_saveexec_b32 s10, s10
	s_cbranch_execnz .LBB127_4203
.LBB127_3750:
	s_or_b32 exec_lo, exec_lo, s10
	v_mov_b32_e32 v3, 0
	s_and_saveexec_b32 s10, s7
.LBB127_3751:
	v_lshrrev_b32_e32 v3, 24, v8
	s_delay_alu instid0(VALU_DEP_1)
	v_and_or_b32 v3, 0x80, v3, v1
.LBB127_3752:
	s_or_b32 exec_lo, exec_lo, s10
.LBB127_3753:
	s_delay_alu instid0(SALU_CYCLE_1)
	s_or_b32 exec_lo, exec_lo, s6
	global_store_b8 v[6:7], v3, off
.LBB127_3754:
	s_mov_b32 s6, -1
.LBB127_3755:
	s_mov_b32 s7, 0
.LBB127_3756:
	s_delay_alu instid0(SALU_CYCLE_1)
	s_and_b32 vcc_lo, exec_lo, s7
	s_cbranch_vccz .LBB127_3796
; %bb.3757:
	s_cmp_gt_i32 s2, 22
	s_mov_b32 s3, -1
	s_cbranch_scc0 .LBB127_3789
; %bb.3758:
	s_cmp_lt_i32 s2, 24
	s_cbranch_scc1 .LBB127_3778
; %bb.3759:
	s_cmp_gt_i32 s2, 24
	s_cbranch_scc0 .LBB127_3767
; %bb.3760:
	s_wait_xcnt 0x0
	v_and_b32_e32 v1, 0x7fffffff, v8
	v_mov_b32_e32 v3, 0x80
	s_mov_b32 s3, exec_lo
	s_delay_alu instid0(VALU_DEP_2)
	v_cmpx_gt_u32_e32 0x47800000, v1
	s_cbranch_execz .LBB127_3766
; %bb.3761:
	v_cmp_lt_u32_e32 vcc_lo, 0x37ffffff, v1
	s_mov_b32 s6, 0
                                        ; implicit-def: $vgpr1
	s_and_saveexec_b32 s7, vcc_lo
	s_delay_alu instid0(SALU_CYCLE_1)
	s_xor_b32 s7, exec_lo, s7
	s_cbranch_execz .LBB127_4205
; %bb.3762:
	v_bfe_u32 v1, v8, 21, 1
	s_mov_b32 s6, exec_lo
	s_delay_alu instid0(VALU_DEP_1) | instskip(NEXT) | instid1(VALU_DEP_1)
	v_add3_u32 v1, v8, v1, 0x88fffff
	v_lshrrev_b32_e32 v1, 21, v1
	s_and_not1_saveexec_b32 s7, s7
	s_cbranch_execnz .LBB127_4206
.LBB127_3763:
	s_or_b32 exec_lo, exec_lo, s7
	v_mov_b32_e32 v3, 0
	s_and_saveexec_b32 s7, s6
.LBB127_3764:
	v_lshrrev_b32_e32 v3, 24, v8
	s_delay_alu instid0(VALU_DEP_1)
	v_and_or_b32 v3, 0x80, v3, v1
.LBB127_3765:
	s_or_b32 exec_lo, exec_lo, s7
.LBB127_3766:
	s_delay_alu instid0(SALU_CYCLE_1)
	s_or_b32 exec_lo, exec_lo, s3
	s_mov_b32 s3, 0
	global_store_b8 v[6:7], v3, off
.LBB127_3767:
	s_and_b32 vcc_lo, exec_lo, s3
	s_cbranch_vccz .LBB127_3777
; %bb.3768:
	s_wait_xcnt 0x0
	v_and_b32_e32 v3, 0x7fffffff, v8
	s_mov_b32 s3, exec_lo
                                        ; implicit-def: $vgpr1
	s_delay_alu instid0(VALU_DEP_1)
	v_cmpx_gt_u32_e32 0x43f00000, v3
	s_xor_b32 s3, exec_lo, s3
	s_cbranch_execz .LBB127_3774
; %bb.3769:
	s_mov_b32 s6, exec_lo
                                        ; implicit-def: $vgpr1
	v_cmpx_lt_u32_e32 0x3c7fffff, v3
	s_xor_b32 s6, exec_lo, s6
; %bb.3770:
	v_bfe_u32 v1, v8, 20, 1
	s_delay_alu instid0(VALU_DEP_1) | instskip(NEXT) | instid1(VALU_DEP_1)
	v_add3_u32 v1, v8, v1, 0x407ffff
	v_and_b32_e32 v3, 0xff00000, v1
	v_lshrrev_b32_e32 v1, 20, v1
	s_delay_alu instid0(VALU_DEP_2) | instskip(NEXT) | instid1(VALU_DEP_2)
	v_cmp_ne_u32_e32 vcc_lo, 0x7f00000, v3
	v_cndmask_b32_e32 v1, 0x7e, v1, vcc_lo
; %bb.3771:
	s_and_not1_saveexec_b32 s6, s6
; %bb.3772:
	v_add_f32_e64 v1, 0x46800000, |v8|
; %bb.3773:
	s_or_b32 exec_lo, exec_lo, s6
                                        ; implicit-def: $vgpr3
.LBB127_3774:
	s_and_not1_saveexec_b32 s3, s3
; %bb.3775:
	v_mov_b32_e32 v1, 0x7f
	v_cmp_lt_u32_e32 vcc_lo, 0x7f800000, v3
	s_delay_alu instid0(VALU_DEP_2)
	v_cndmask_b32_e32 v1, 0x7e, v1, vcc_lo
; %bb.3776:
	s_or_b32 exec_lo, exec_lo, s3
	v_lshrrev_b32_e32 v3, 24, v8
	s_delay_alu instid0(VALU_DEP_1)
	v_and_or_b32 v1, 0x80, v3, v1
	global_store_b8 v[6:7], v1, off
.LBB127_3777:
	s_mov_b32 s3, 0
.LBB127_3778:
	s_delay_alu instid0(SALU_CYCLE_1)
	s_and_not1_b32 vcc_lo, exec_lo, s3
	s_cbranch_vccnz .LBB127_3788
; %bb.3779:
	s_wait_xcnt 0x0
	v_and_b32_e32 v3, 0x7fffffff, v8
	s_mov_b32 s3, exec_lo
                                        ; implicit-def: $vgpr1
	s_delay_alu instid0(VALU_DEP_1)
	v_cmpx_gt_u32_e32 0x47800000, v3
	s_xor_b32 s3, exec_lo, s3
	s_cbranch_execz .LBB127_3785
; %bb.3780:
	s_mov_b32 s6, exec_lo
                                        ; implicit-def: $vgpr1
	v_cmpx_lt_u32_e32 0x387fffff, v3
	s_xor_b32 s6, exec_lo, s6
; %bb.3781:
	v_bfe_u32 v1, v8, 21, 1
	s_delay_alu instid0(VALU_DEP_1) | instskip(NEXT) | instid1(VALU_DEP_1)
	v_add3_u32 v1, v8, v1, 0x80fffff
	v_lshrrev_b32_e32 v1, 21, v1
; %bb.3782:
	s_and_not1_saveexec_b32 s6, s6
; %bb.3783:
	v_add_f32_e64 v1, 0x43000000, |v8|
; %bb.3784:
	s_or_b32 exec_lo, exec_lo, s6
                                        ; implicit-def: $vgpr3
.LBB127_3785:
	s_and_not1_saveexec_b32 s3, s3
; %bb.3786:
	v_mov_b32_e32 v1, 0x7f
	v_cmp_lt_u32_e32 vcc_lo, 0x7f800000, v3
	s_delay_alu instid0(VALU_DEP_2)
	v_cndmask_b32_e32 v1, 0x7c, v1, vcc_lo
; %bb.3787:
	s_or_b32 exec_lo, exec_lo, s3
	v_lshrrev_b32_e32 v3, 24, v8
	s_delay_alu instid0(VALU_DEP_1)
	v_and_or_b32 v1, 0x80, v3, v1
	global_store_b8 v[6:7], v1, off
.LBB127_3788:
	s_mov_b32 s3, 0
	s_mov_b32 s6, -1
.LBB127_3789:
	s_and_not1_b32 vcc_lo, exec_lo, s3
	s_mov_b32 s3, 0
	s_cbranch_vccnz .LBB127_3796
; %bb.3790:
	s_cmp_gt_i32 s2, 14
	s_mov_b32 s3, -1
	s_cbranch_scc0 .LBB127_3794
; %bb.3791:
	s_cmp_eq_u32 s2, 15
	s_mov_b32 s0, -1
	s_cbranch_scc0 .LBB127_3793
; %bb.3792:
	s_wait_xcnt 0x0
	v_bfe_u32 v1, v8, 16, 1
	v_cmp_o_f32_e32 vcc_lo, v8, v8
	s_mov_b32 s0, 0
	s_mov_b32 s6, -1
	s_delay_alu instid0(VALU_DEP_2) | instskip(NEXT) | instid1(VALU_DEP_1)
	v_add3_u32 v1, v8, v1, 0x7fff
	v_lshrrev_b32_e32 v1, 16, v1
	s_delay_alu instid0(VALU_DEP_1)
	v_cndmask_b32_e32 v1, 0x7fc0, v1, vcc_lo
	global_store_b16 v[6:7], v1, off
.LBB127_3793:
	s_mov_b32 s3, 0
.LBB127_3794:
	s_delay_alu instid0(SALU_CYCLE_1)
	s_and_b32 vcc_lo, exec_lo, s3
	s_mov_b32 s3, 0
	s_cbranch_vccz .LBB127_3796
; %bb.3795:
	s_cmp_lg_u32 s2, 11
	s_mov_b32 s3, -1
	s_cselect_b32 s0, -1, 0
.LBB127_3796:
	s_delay_alu instid0(SALU_CYCLE_1)
	s_and_b32 vcc_lo, exec_lo, s0
	s_cbranch_vccnz .LBB127_4204
; %bb.3797:
	s_and_not1_b32 vcc_lo, exec_lo, s3
	s_cbranch_vccnz .LBB127_3799
.LBB127_3798:
	v_cmp_neq_f32_e32 vcc_lo, 0, v8
	s_mov_b32 s6, -1
	s_wait_xcnt 0x0
	v_cndmask_b32_e64 v1, 0, 1, vcc_lo
	global_store_b8 v[6:7], v1, off
.LBB127_3799:
	s_mov_b32 s0, 0
	s_branch .LBB127_3801
.LBB127_3800:
	s_mov_b32 s0, -1
	s_mov_b32 s6, 0
.LBB127_3801:
	s_and_b32 vcc_lo, exec_lo, s0
	s_cbranch_vccz .LBB127_3840
; %bb.3802:
	s_and_b32 s0, 0xffff, s1
	s_mov_b32 s2, -1
	s_cmp_lt_i32 s0, 5
	s_cbranch_scc1 .LBB127_3823
; %bb.3803:
	s_cmp_lt_i32 s0, 8
	s_cbranch_scc1 .LBB127_3813
; %bb.3804:
	s_cmp_lt_i32 s0, 9
	s_cbranch_scc1 .LBB127_3810
; %bb.3805:
	s_cmp_gt_i32 s0, 9
	s_cbranch_scc0 .LBB127_3807
; %bb.3806:
	s_wait_xcnt 0x0
	v_cvt_f64_f32_e32 v[28:29], v8
	v_mov_b32_e32 v30, 0
	s_mov_b32 s2, 0
	s_delay_alu instid0(VALU_DEP_1)
	v_mov_b32_e32 v31, v30
	global_store_b128 v[6:7], v[28:31], off
.LBB127_3807:
	s_and_not1_b32 vcc_lo, exec_lo, s2
	s_cbranch_vccnz .LBB127_3809
; %bb.3808:
	v_mov_b32_e32 v9, 0
	global_store_b64 v[6:7], v[8:9], off
.LBB127_3809:
	s_mov_b32 s2, 0
.LBB127_3810:
	s_delay_alu instid0(SALU_CYCLE_1)
	s_and_not1_b32 vcc_lo, exec_lo, s2
	s_cbranch_vccnz .LBB127_3812
; %bb.3811:
	s_wait_xcnt 0x0
	v_cvt_f16_f32_e32 v1, v8
	s_delay_alu instid0(VALU_DEP_1)
	v_and_b32_e32 v1, 0xffff, v1
	global_store_b32 v[6:7], v1, off
.LBB127_3812:
	s_mov_b32 s2, 0
.LBB127_3813:
	s_delay_alu instid0(SALU_CYCLE_1)
	s_and_not1_b32 vcc_lo, exec_lo, s2
	s_cbranch_vccnz .LBB127_3822
; %bb.3814:
	s_cmp_lt_i32 s0, 6
	s_mov_b32 s2, -1
	s_cbranch_scc1 .LBB127_3820
; %bb.3815:
	s_cmp_gt_i32 s0, 6
	s_cbranch_scc0 .LBB127_3817
; %bb.3816:
	s_wait_xcnt 0x0
	v_cvt_f64_f32_e32 v[28:29], v8
	s_mov_b32 s2, 0
	global_store_b64 v[6:7], v[28:29], off
.LBB127_3817:
	s_and_not1_b32 vcc_lo, exec_lo, s2
	s_cbranch_vccnz .LBB127_3819
; %bb.3818:
	global_store_b32 v[6:7], v8, off
.LBB127_3819:
	s_mov_b32 s2, 0
.LBB127_3820:
	s_delay_alu instid0(SALU_CYCLE_1)
	s_and_not1_b32 vcc_lo, exec_lo, s2
	s_cbranch_vccnz .LBB127_3822
; %bb.3821:
	s_wait_xcnt 0x0
	v_cvt_f16_f32_e32 v1, v8
	global_store_b16 v[6:7], v1, off
.LBB127_3822:
	s_mov_b32 s2, 0
.LBB127_3823:
	s_delay_alu instid0(SALU_CYCLE_1)
	s_and_not1_b32 vcc_lo, exec_lo, s2
	s_cbranch_vccnz .LBB127_3839
; %bb.3824:
	s_cmp_lt_i32 s0, 2
	s_mov_b32 s2, -1
	s_cbranch_scc1 .LBB127_3834
; %bb.3825:
	s_cmp_lt_i32 s0, 3
	s_cbranch_scc1 .LBB127_3831
; %bb.3826:
	s_cmp_gt_i32 s0, 3
	s_cbranch_scc0 .LBB127_3828
; %bb.3827:
	s_wait_xcnt 0x0
	v_trunc_f32_e32 v1, v8
	s_mov_b32 s2, 0
	s_delay_alu instid0(VALU_DEP_1) | instskip(SKIP_1) | instid1(VALU_DEP_2)
	v_mul_f32_e64 v3, 0x2f800000, |v1|
	v_ashrrev_i32_e32 v28, 31, v1
	v_floor_f32_e32 v3, v3
	s_delay_alu instid0(VALU_DEP_1) | instskip(SKIP_1) | instid1(VALU_DEP_4)
	v_fma_f32 v5, 0xcf800000, v3, |v1|
	v_cvt_u32_f32_e32 v1, v3
	v_mov_b32_e32 v29, v28
	s_delay_alu instid0(VALU_DEP_3) | instskip(NEXT) | instid1(VALU_DEP_3)
	v_cvt_u32_f32_e32 v3, v5
	v_xor_b32_e32 v31, v1, v28
	s_delay_alu instid0(VALU_DEP_2) | instskip(NEXT) | instid1(VALU_DEP_1)
	v_xor_b32_e32 v30, v3, v28
	v_sub_nc_u64_e32 v[28:29], v[30:31], v[28:29]
	global_store_b64 v[6:7], v[28:29], off
.LBB127_3828:
	s_and_not1_b32 vcc_lo, exec_lo, s2
	s_cbranch_vccnz .LBB127_3830
; %bb.3829:
	s_wait_xcnt 0x0
	v_cvt_i32_f32_e32 v1, v8
	global_store_b32 v[6:7], v1, off
.LBB127_3830:
	s_mov_b32 s2, 0
.LBB127_3831:
	s_delay_alu instid0(SALU_CYCLE_1)
	s_and_not1_b32 vcc_lo, exec_lo, s2
	s_cbranch_vccnz .LBB127_3833
; %bb.3832:
	s_wait_xcnt 0x0
	v_cvt_i32_f32_e32 v1, v8
	global_store_b16 v[6:7], v1, off
.LBB127_3833:
	s_mov_b32 s2, 0
.LBB127_3834:
	s_delay_alu instid0(SALU_CYCLE_1)
	s_and_not1_b32 vcc_lo, exec_lo, s2
	s_cbranch_vccnz .LBB127_3839
; %bb.3835:
	s_cmp_gt_i32 s0, 0
	s_mov_b32 s0, -1
	s_cbranch_scc0 .LBB127_3837
; %bb.3836:
	s_wait_xcnt 0x0
	v_cvt_i32_f32_e32 v1, v8
	s_mov_b32 s0, 0
	global_store_b8 v[6:7], v1, off
.LBB127_3837:
	s_and_not1_b32 vcc_lo, exec_lo, s0
	s_cbranch_vccnz .LBB127_3839
; %bb.3838:
	s_wait_xcnt 0x0
	v_trunc_f32_e32 v1, v8
	s_delay_alu instid0(VALU_DEP_1) | instskip(NEXT) | instid1(VALU_DEP_1)
	v_mul_f32_e64 v3, 0x2f800000, |v1|
	v_floor_f32_e32 v3, v3
	s_delay_alu instid0(VALU_DEP_1) | instskip(SKIP_1) | instid1(VALU_DEP_2)
	v_fma_f32 v3, 0xcf800000, v3, |v1|
	v_ashrrev_i32_e32 v1, 31, v1
	v_cvt_u32_f32_e32 v3, v3
	s_delay_alu instid0(VALU_DEP_1) | instskip(NEXT) | instid1(VALU_DEP_1)
	v_xor_b32_e32 v3, v3, v1
	v_sub_nc_u32_e32 v1, v3, v1
	global_store_b8 v[6:7], v1, off
.LBB127_3839:
	s_mov_b32 s6, -1
.LBB127_3840:
	s_delay_alu instid0(SALU_CYCLE_1)
	s_and_not1_b32 vcc_lo, exec_lo, s6
	s_cbranch_vccnz .LBB127_4155
; %bb.3841:
	s_wait_xcnt 0x0
	v_dual_mul_f32 v1, s9, v24 :: v_dual_mov_b32 v5, 0
	s_and_b32 s2, 0xffff, s1
	s_delay_alu instid0(SALU_CYCLE_1) | instskip(NEXT) | instid1(VALU_DEP_1)
	s_cmp_lt_i32 s2, 11
	v_mul_f32_e32 v6, v1, v22
	s_delay_alu instid0(VALU_DEP_2) | instskip(NEXT) | instid1(VALU_DEP_2)
	v_add_nc_u64_e32 v[4:5], s[4:5], v[4:5]
	v_fmac_f32_e32 v6, s8, v26
	s_cbranch_scc1 .LBB127_3919
; %bb.3842:
	s_mov_b32 s7, -1
	s_mov_b32 s3, 0
	s_cmp_gt_i32 s2, 25
	s_mov_b32 s6, 0
	s_mov_b32 s0, 0
	s_cbranch_scc0 .LBB127_3875
; %bb.3843:
	s_cmp_gt_i32 s2, 28
	s_cbranch_scc0 .LBB127_3858
; %bb.3844:
	s_cmp_gt_i32 s2, 43
	;; [unrolled: 3-line block ×3, first 2 shown]
	s_cbranch_scc0 .LBB127_3848
; %bb.3846:
	s_mov_b32 s0, -1
	s_mov_b32 s7, 0
	s_cmp_eq_u32 s2, 46
	s_cbranch_scc0 .LBB127_3848
; %bb.3847:
	v_bfe_u32 v1, v6, 16, 1
	v_cmp_o_f32_e32 vcc_lo, v6, v6
	s_mov_b32 s0, 0
	s_mov_b32 s6, -1
	s_delay_alu instid0(VALU_DEP_2) | instskip(NEXT) | instid1(VALU_DEP_1)
	v_add3_u32 v1, v6, v1, 0x7fff
	v_lshrrev_b32_e32 v1, 16, v1
	s_delay_alu instid0(VALU_DEP_1)
	v_cndmask_b32_e32 v1, 0x7fc0, v1, vcc_lo
	global_store_b32 v[4:5], v1, off
.LBB127_3848:
	s_and_b32 vcc_lo, exec_lo, s7
	s_cbranch_vccz .LBB127_3853
; %bb.3849:
	s_cmp_eq_u32 s2, 44
	s_mov_b32 s0, -1
	s_cbranch_scc0 .LBB127_3853
; %bb.3850:
	v_bfe_u32 v3, v6, 23, 8
	s_wait_xcnt 0x0
	v_mov_b32_e32 v1, 0xff
	s_mov_b32 s6, exec_lo
	s_delay_alu instid0(VALU_DEP_2)
	v_cmpx_ne_u32_e32 0xff, v3
	s_cbranch_execz .LBB127_3852
; %bb.3851:
	v_and_b32_e32 v1, 0x400000, v6
	v_and_or_b32 v3, 0x3fffff, v6, v3
	s_delay_alu instid0(VALU_DEP_2) | instskip(NEXT) | instid1(VALU_DEP_2)
	v_cmp_ne_u32_e32 vcc_lo, 0, v1
	v_cmp_ne_u32_e64 s0, 0, v3
	v_lshrrev_b32_e32 v1, 23, v6
	s_and_b32 s0, vcc_lo, s0
	s_delay_alu instid0(SALU_CYCLE_1) | instskip(NEXT) | instid1(VALU_DEP_1)
	v_cndmask_b32_e64 v3, 0, 1, s0
	v_add_nc_u32_e32 v1, v1, v3
.LBB127_3852:
	s_or_b32 exec_lo, exec_lo, s6
	s_mov_b32 s0, 0
	s_mov_b32 s6, -1
	global_store_b8 v[4:5], v1, off
.LBB127_3853:
	s_mov_b32 s7, 0
.LBB127_3854:
	s_delay_alu instid0(SALU_CYCLE_1)
	s_and_b32 vcc_lo, exec_lo, s7
	s_cbranch_vccz .LBB127_3857
; %bb.3855:
	s_cmp_eq_u32 s2, 29
	s_mov_b32 s0, -1
	s_cbranch_scc0 .LBB127_3857
; %bb.3856:
	s_wait_xcnt 0x0
	v_trunc_f32_e32 v1, v6
	s_mov_b32 s0, 0
	s_mov_b32 s6, -1
	s_delay_alu instid0(VALU_DEP_1) | instskip(NEXT) | instid1(VALU_DEP_1)
	v_mul_f32_e32 v3, 0x2f800000, v1
	v_floor_f32_e32 v3, v3
	s_delay_alu instid0(VALU_DEP_1) | instskip(SKIP_1) | instid1(VALU_DEP_2)
	v_fmamk_f32 v1, v3, 0xcf800000, v1
	v_cvt_u32_f32_e32 v9, v3
	v_cvt_u32_f32_e32 v8, v1
	global_store_b64 v[4:5], v[8:9], off
.LBB127_3857:
	s_mov_b32 s7, 0
.LBB127_3858:
	s_delay_alu instid0(SALU_CYCLE_1)
	s_and_b32 vcc_lo, exec_lo, s7
	s_cbranch_vccz .LBB127_3874
; %bb.3859:
	s_cmp_lt_i32 s2, 27
	s_mov_b32 s6, -1
	s_cbranch_scc1 .LBB127_3865
; %bb.3860:
	s_cmp_gt_i32 s2, 27
	s_cbranch_scc0 .LBB127_3862
; %bb.3861:
	s_wait_xcnt 0x0
	v_cvt_u32_f32_e32 v1, v6
	s_mov_b32 s6, 0
	global_store_b32 v[4:5], v1, off
.LBB127_3862:
	s_and_not1_b32 vcc_lo, exec_lo, s6
	s_cbranch_vccnz .LBB127_3864
; %bb.3863:
	s_wait_xcnt 0x0
	v_cvt_u32_f32_e32 v1, v6
	global_store_b16 v[4:5], v1, off
.LBB127_3864:
	s_mov_b32 s6, 0
.LBB127_3865:
	s_delay_alu instid0(SALU_CYCLE_1)
	s_and_not1_b32 vcc_lo, exec_lo, s6
	s_cbranch_vccnz .LBB127_3873
; %bb.3866:
	s_wait_xcnt 0x0
	v_and_b32_e32 v1, 0x7fffffff, v6
	v_mov_b32_e32 v3, 0x80
	s_mov_b32 s6, exec_lo
	s_delay_alu instid0(VALU_DEP_2)
	v_cmpx_gt_u32_e32 0x43800000, v1
	s_cbranch_execz .LBB127_3872
; %bb.3867:
	v_cmp_lt_u32_e32 vcc_lo, 0x3bffffff, v1
	s_mov_b32 s7, 0
                                        ; implicit-def: $vgpr1
	s_and_saveexec_b32 s10, vcc_lo
	s_delay_alu instid0(SALU_CYCLE_1)
	s_xor_b32 s10, exec_lo, s10
	s_cbranch_execz .LBB127_4207
; %bb.3868:
	v_bfe_u32 v1, v6, 20, 1
	s_mov_b32 s7, exec_lo
	s_delay_alu instid0(VALU_DEP_1) | instskip(NEXT) | instid1(VALU_DEP_1)
	v_add3_u32 v1, v6, v1, 0x487ffff
	v_lshrrev_b32_e32 v1, 20, v1
	s_and_not1_saveexec_b32 s10, s10
	s_cbranch_execnz .LBB127_4208
.LBB127_3869:
	s_or_b32 exec_lo, exec_lo, s10
	v_mov_b32_e32 v3, 0
	s_and_saveexec_b32 s10, s7
.LBB127_3870:
	v_lshrrev_b32_e32 v3, 24, v6
	s_delay_alu instid0(VALU_DEP_1)
	v_and_or_b32 v3, 0x80, v3, v1
.LBB127_3871:
	s_or_b32 exec_lo, exec_lo, s10
.LBB127_3872:
	s_delay_alu instid0(SALU_CYCLE_1)
	s_or_b32 exec_lo, exec_lo, s6
	global_store_b8 v[4:5], v3, off
.LBB127_3873:
	s_mov_b32 s6, -1
.LBB127_3874:
	s_mov_b32 s7, 0
.LBB127_3875:
	s_delay_alu instid0(SALU_CYCLE_1)
	s_and_b32 vcc_lo, exec_lo, s7
	s_cbranch_vccz .LBB127_3915
; %bb.3876:
	s_cmp_gt_i32 s2, 22
	s_mov_b32 s3, -1
	s_cbranch_scc0 .LBB127_3908
; %bb.3877:
	s_cmp_lt_i32 s2, 24
	s_cbranch_scc1 .LBB127_3897
; %bb.3878:
	s_cmp_gt_i32 s2, 24
	s_cbranch_scc0 .LBB127_3886
; %bb.3879:
	s_wait_xcnt 0x0
	v_and_b32_e32 v1, 0x7fffffff, v6
	v_mov_b32_e32 v3, 0x80
	s_mov_b32 s3, exec_lo
	s_delay_alu instid0(VALU_DEP_2)
	v_cmpx_gt_u32_e32 0x47800000, v1
	s_cbranch_execz .LBB127_3885
; %bb.3880:
	v_cmp_lt_u32_e32 vcc_lo, 0x37ffffff, v1
	s_mov_b32 s6, 0
                                        ; implicit-def: $vgpr1
	s_and_saveexec_b32 s7, vcc_lo
	s_delay_alu instid0(SALU_CYCLE_1)
	s_xor_b32 s7, exec_lo, s7
	s_cbranch_execz .LBB127_4210
; %bb.3881:
	v_bfe_u32 v1, v6, 21, 1
	s_mov_b32 s6, exec_lo
	s_delay_alu instid0(VALU_DEP_1) | instskip(NEXT) | instid1(VALU_DEP_1)
	v_add3_u32 v1, v6, v1, 0x88fffff
	v_lshrrev_b32_e32 v1, 21, v1
	s_and_not1_saveexec_b32 s7, s7
	s_cbranch_execnz .LBB127_4211
.LBB127_3882:
	s_or_b32 exec_lo, exec_lo, s7
	v_mov_b32_e32 v3, 0
	s_and_saveexec_b32 s7, s6
.LBB127_3883:
	v_lshrrev_b32_e32 v3, 24, v6
	s_delay_alu instid0(VALU_DEP_1)
	v_and_or_b32 v3, 0x80, v3, v1
.LBB127_3884:
	s_or_b32 exec_lo, exec_lo, s7
.LBB127_3885:
	s_delay_alu instid0(SALU_CYCLE_1)
	s_or_b32 exec_lo, exec_lo, s3
	s_mov_b32 s3, 0
	global_store_b8 v[4:5], v3, off
.LBB127_3886:
	s_and_b32 vcc_lo, exec_lo, s3
	s_cbranch_vccz .LBB127_3896
; %bb.3887:
	s_wait_xcnt 0x0
	v_and_b32_e32 v3, 0x7fffffff, v6
	s_mov_b32 s3, exec_lo
                                        ; implicit-def: $vgpr1
	s_delay_alu instid0(VALU_DEP_1)
	v_cmpx_gt_u32_e32 0x43f00000, v3
	s_xor_b32 s3, exec_lo, s3
	s_cbranch_execz .LBB127_3893
; %bb.3888:
	s_mov_b32 s6, exec_lo
                                        ; implicit-def: $vgpr1
	v_cmpx_lt_u32_e32 0x3c7fffff, v3
	s_xor_b32 s6, exec_lo, s6
; %bb.3889:
	v_bfe_u32 v1, v6, 20, 1
	s_delay_alu instid0(VALU_DEP_1) | instskip(NEXT) | instid1(VALU_DEP_1)
	v_add3_u32 v1, v6, v1, 0x407ffff
	v_and_b32_e32 v3, 0xff00000, v1
	v_lshrrev_b32_e32 v1, 20, v1
	s_delay_alu instid0(VALU_DEP_2) | instskip(NEXT) | instid1(VALU_DEP_2)
	v_cmp_ne_u32_e32 vcc_lo, 0x7f00000, v3
	v_cndmask_b32_e32 v1, 0x7e, v1, vcc_lo
; %bb.3890:
	s_and_not1_saveexec_b32 s6, s6
; %bb.3891:
	v_add_f32_e64 v1, 0x46800000, |v6|
; %bb.3892:
	s_or_b32 exec_lo, exec_lo, s6
                                        ; implicit-def: $vgpr3
.LBB127_3893:
	s_and_not1_saveexec_b32 s3, s3
; %bb.3894:
	v_mov_b32_e32 v1, 0x7f
	v_cmp_lt_u32_e32 vcc_lo, 0x7f800000, v3
	s_delay_alu instid0(VALU_DEP_2)
	v_cndmask_b32_e32 v1, 0x7e, v1, vcc_lo
; %bb.3895:
	s_or_b32 exec_lo, exec_lo, s3
	v_lshrrev_b32_e32 v3, 24, v6
	s_delay_alu instid0(VALU_DEP_1)
	v_and_or_b32 v1, 0x80, v3, v1
	global_store_b8 v[4:5], v1, off
.LBB127_3896:
	s_mov_b32 s3, 0
.LBB127_3897:
	s_delay_alu instid0(SALU_CYCLE_1)
	s_and_not1_b32 vcc_lo, exec_lo, s3
	s_cbranch_vccnz .LBB127_3907
; %bb.3898:
	s_wait_xcnt 0x0
	v_and_b32_e32 v3, 0x7fffffff, v6
	s_mov_b32 s3, exec_lo
                                        ; implicit-def: $vgpr1
	s_delay_alu instid0(VALU_DEP_1)
	v_cmpx_gt_u32_e32 0x47800000, v3
	s_xor_b32 s3, exec_lo, s3
	s_cbranch_execz .LBB127_3904
; %bb.3899:
	s_mov_b32 s6, exec_lo
                                        ; implicit-def: $vgpr1
	v_cmpx_lt_u32_e32 0x387fffff, v3
	s_xor_b32 s6, exec_lo, s6
; %bb.3900:
	v_bfe_u32 v1, v6, 21, 1
	s_delay_alu instid0(VALU_DEP_1) | instskip(NEXT) | instid1(VALU_DEP_1)
	v_add3_u32 v1, v6, v1, 0x80fffff
	v_lshrrev_b32_e32 v1, 21, v1
; %bb.3901:
	s_and_not1_saveexec_b32 s6, s6
; %bb.3902:
	v_add_f32_e64 v1, 0x43000000, |v6|
; %bb.3903:
	s_or_b32 exec_lo, exec_lo, s6
                                        ; implicit-def: $vgpr3
.LBB127_3904:
	s_and_not1_saveexec_b32 s3, s3
; %bb.3905:
	v_mov_b32_e32 v1, 0x7f
	v_cmp_lt_u32_e32 vcc_lo, 0x7f800000, v3
	s_delay_alu instid0(VALU_DEP_2)
	v_cndmask_b32_e32 v1, 0x7c, v1, vcc_lo
; %bb.3906:
	s_or_b32 exec_lo, exec_lo, s3
	v_lshrrev_b32_e32 v3, 24, v6
	s_delay_alu instid0(VALU_DEP_1)
	v_and_or_b32 v1, 0x80, v3, v1
	global_store_b8 v[4:5], v1, off
.LBB127_3907:
	s_mov_b32 s3, 0
	s_mov_b32 s6, -1
.LBB127_3908:
	s_and_not1_b32 vcc_lo, exec_lo, s3
	s_mov_b32 s3, 0
	s_cbranch_vccnz .LBB127_3915
; %bb.3909:
	s_cmp_gt_i32 s2, 14
	s_mov_b32 s3, -1
	s_cbranch_scc0 .LBB127_3913
; %bb.3910:
	s_cmp_eq_u32 s2, 15
	s_mov_b32 s0, -1
	s_cbranch_scc0 .LBB127_3912
; %bb.3911:
	s_wait_xcnt 0x0
	v_bfe_u32 v1, v6, 16, 1
	v_cmp_o_f32_e32 vcc_lo, v6, v6
	s_mov_b32 s0, 0
	s_mov_b32 s6, -1
	s_delay_alu instid0(VALU_DEP_2) | instskip(NEXT) | instid1(VALU_DEP_1)
	v_add3_u32 v1, v6, v1, 0x7fff
	v_lshrrev_b32_e32 v1, 16, v1
	s_delay_alu instid0(VALU_DEP_1)
	v_cndmask_b32_e32 v1, 0x7fc0, v1, vcc_lo
	global_store_b16 v[4:5], v1, off
.LBB127_3912:
	s_mov_b32 s3, 0
.LBB127_3913:
	s_delay_alu instid0(SALU_CYCLE_1)
	s_and_b32 vcc_lo, exec_lo, s3
	s_mov_b32 s3, 0
	s_cbranch_vccz .LBB127_3915
; %bb.3914:
	s_cmp_lg_u32 s2, 11
	s_mov_b32 s3, -1
	s_cselect_b32 s0, -1, 0
.LBB127_3915:
	s_delay_alu instid0(SALU_CYCLE_1)
	s_and_b32 vcc_lo, exec_lo, s0
	s_cbranch_vccnz .LBB127_4209
; %bb.3916:
	s_and_not1_b32 vcc_lo, exec_lo, s3
	s_cbranch_vccnz .LBB127_3918
.LBB127_3917:
	v_cmp_neq_f32_e32 vcc_lo, 0, v6
	s_mov_b32 s6, -1
	s_wait_xcnt 0x0
	v_cndmask_b32_e64 v1, 0, 1, vcc_lo
	global_store_b8 v[4:5], v1, off
.LBB127_3918:
	s_mov_b32 s0, 0
	s_branch .LBB127_3920
.LBB127_3919:
	s_mov_b32 s0, -1
	s_mov_b32 s6, 0
.LBB127_3920:
	s_and_b32 vcc_lo, exec_lo, s0
	s_cbranch_vccz .LBB127_3959
; %bb.3921:
	s_cmp_lt_i32 s2, 5
	s_mov_b32 s0, -1
	s_cbranch_scc1 .LBB127_3942
; %bb.3922:
	s_cmp_lt_i32 s2, 8
	s_cbranch_scc1 .LBB127_3932
; %bb.3923:
	s_cmp_lt_i32 s2, 9
	s_cbranch_scc1 .LBB127_3929
; %bb.3924:
	s_cmp_gt_i32 s2, 9
	s_cbranch_scc0 .LBB127_3926
; %bb.3925:
	v_cvt_f64_f32_e32 v[22:23], v6
	v_mov_b32_e32 v24, 0
	s_mov_b32 s0, 0
	s_delay_alu instid0(VALU_DEP_1)
	v_mov_b32_e32 v25, v24
	global_store_b128 v[4:5], v[22:25], off
.LBB127_3926:
	s_and_not1_b32 vcc_lo, exec_lo, s0
	s_cbranch_vccnz .LBB127_3928
; %bb.3927:
	v_mov_b32_e32 v7, 0
	global_store_b64 v[4:5], v[6:7], off
.LBB127_3928:
	s_mov_b32 s0, 0
.LBB127_3929:
	s_delay_alu instid0(SALU_CYCLE_1)
	s_and_not1_b32 vcc_lo, exec_lo, s0
	s_cbranch_vccnz .LBB127_3931
; %bb.3930:
	s_wait_xcnt 0x0
	v_cvt_f16_f32_e32 v1, v6
	s_delay_alu instid0(VALU_DEP_1)
	v_and_b32_e32 v1, 0xffff, v1
	global_store_b32 v[4:5], v1, off
.LBB127_3931:
	s_mov_b32 s0, 0
.LBB127_3932:
	s_delay_alu instid0(SALU_CYCLE_1)
	s_and_not1_b32 vcc_lo, exec_lo, s0
	s_cbranch_vccnz .LBB127_3941
; %bb.3933:
	s_cmp_lt_i32 s2, 6
	s_mov_b32 s0, -1
	s_cbranch_scc1 .LBB127_3939
; %bb.3934:
	s_cmp_gt_i32 s2, 6
	s_cbranch_scc0 .LBB127_3936
; %bb.3935:
	s_wait_xcnt 0x0
	v_cvt_f64_f32_e32 v[8:9], v6
	s_mov_b32 s0, 0
	global_store_b64 v[4:5], v[8:9], off
.LBB127_3936:
	s_and_not1_b32 vcc_lo, exec_lo, s0
	s_cbranch_vccnz .LBB127_3938
; %bb.3937:
	global_store_b32 v[4:5], v6, off
.LBB127_3938:
	s_mov_b32 s0, 0
.LBB127_3939:
	s_delay_alu instid0(SALU_CYCLE_1)
	s_and_not1_b32 vcc_lo, exec_lo, s0
	s_cbranch_vccnz .LBB127_3941
; %bb.3940:
	s_wait_xcnt 0x0
	v_cvt_f16_f32_e32 v1, v6
	global_store_b16 v[4:5], v1, off
.LBB127_3941:
	s_mov_b32 s0, 0
.LBB127_3942:
	s_delay_alu instid0(SALU_CYCLE_1)
	s_and_not1_b32 vcc_lo, exec_lo, s0
	s_cbranch_vccnz .LBB127_3958
; %bb.3943:
	s_cmp_lt_i32 s2, 2
	s_mov_b32 s0, -1
	s_cbranch_scc1 .LBB127_3953
; %bb.3944:
	s_cmp_lt_i32 s2, 3
	s_cbranch_scc1 .LBB127_3950
; %bb.3945:
	s_cmp_gt_i32 s2, 3
	s_cbranch_scc0 .LBB127_3947
; %bb.3946:
	s_wait_xcnt 0x0
	v_trunc_f32_e32 v1, v6
	s_mov_b32 s0, 0
	s_delay_alu instid0(VALU_DEP_1) | instskip(SKIP_1) | instid1(VALU_DEP_2)
	v_mul_f32_e64 v3, 0x2f800000, |v1|
	v_ashrrev_i32_e32 v8, 31, v1
	v_floor_f32_e32 v3, v3
	s_delay_alu instid0(VALU_DEP_1) | instskip(SKIP_1) | instid1(VALU_DEP_4)
	v_fma_f32 v7, 0xcf800000, v3, |v1|
	v_cvt_u32_f32_e32 v1, v3
	v_mov_b32_e32 v9, v8
	s_delay_alu instid0(VALU_DEP_3) | instskip(NEXT) | instid1(VALU_DEP_3)
	v_cvt_u32_f32_e32 v3, v7
	v_xor_b32_e32 v23, v1, v8
	s_delay_alu instid0(VALU_DEP_2) | instskip(NEXT) | instid1(VALU_DEP_1)
	v_xor_b32_e32 v22, v3, v8
	v_sub_nc_u64_e32 v[8:9], v[22:23], v[8:9]
	global_store_b64 v[4:5], v[8:9], off
.LBB127_3947:
	s_and_not1_b32 vcc_lo, exec_lo, s0
	s_cbranch_vccnz .LBB127_3949
; %bb.3948:
	s_wait_xcnt 0x0
	v_cvt_i32_f32_e32 v1, v6
	global_store_b32 v[4:5], v1, off
.LBB127_3949:
	s_mov_b32 s0, 0
.LBB127_3950:
	s_delay_alu instid0(SALU_CYCLE_1)
	s_and_not1_b32 vcc_lo, exec_lo, s0
	s_cbranch_vccnz .LBB127_3952
; %bb.3951:
	s_wait_xcnt 0x0
	v_cvt_i32_f32_e32 v1, v6
	global_store_b16 v[4:5], v1, off
.LBB127_3952:
	s_mov_b32 s0, 0
.LBB127_3953:
	s_delay_alu instid0(SALU_CYCLE_1)
	s_and_not1_b32 vcc_lo, exec_lo, s0
	s_cbranch_vccnz .LBB127_3958
; %bb.3954:
	s_cmp_gt_i32 s2, 0
	s_mov_b32 s0, -1
	s_cbranch_scc0 .LBB127_3956
; %bb.3955:
	s_wait_xcnt 0x0
	v_cvt_i32_f32_e32 v1, v6
	s_mov_b32 s0, 0
	global_store_b8 v[4:5], v1, off
.LBB127_3956:
	s_and_not1_b32 vcc_lo, exec_lo, s0
	s_cbranch_vccnz .LBB127_3958
; %bb.3957:
	s_wait_xcnt 0x0
	v_trunc_f32_e32 v1, v6
	s_delay_alu instid0(VALU_DEP_1) | instskip(NEXT) | instid1(VALU_DEP_1)
	v_mul_f32_e64 v3, 0x2f800000, |v1|
	v_floor_f32_e32 v3, v3
	s_delay_alu instid0(VALU_DEP_1) | instskip(SKIP_1) | instid1(VALU_DEP_2)
	v_fma_f32 v3, 0xcf800000, v3, |v1|
	v_ashrrev_i32_e32 v1, 31, v1
	v_cvt_u32_f32_e32 v3, v3
	s_delay_alu instid0(VALU_DEP_1) | instskip(NEXT) | instid1(VALU_DEP_1)
	v_xor_b32_e32 v3, v3, v1
	v_sub_nc_u32_e32 v1, v3, v1
	global_store_b8 v[4:5], v1, off
.LBB127_3958:
	s_mov_b32 s6, -1
.LBB127_3959:
	s_delay_alu instid0(SALU_CYCLE_1)
	s_and_not1_b32 vcc_lo, exec_lo, s6
	s_cbranch_vccnz .LBB127_4155
; %bb.3960:
	s_wait_xcnt 0x0
	v_dual_mul_f32 v1, s9, v18 :: v_dual_mov_b32 v3, 0
	s_cmp_lt_i32 s2, 11
	s_delay_alu instid0(VALU_DEP_1) | instskip(NEXT) | instid1(VALU_DEP_2)
	v_mul_f32_e32 v4, v1, v16
	v_add_nc_u64_e32 v[2:3], s[4:5], v[2:3]
	s_delay_alu instid0(VALU_DEP_2)
	v_fmac_f32_e32 v4, s8, v20
	s_cbranch_scc1 .LBB127_4038
; %bb.3961:
	s_mov_b32 s7, -1
	s_mov_b32 s3, 0
	s_cmp_gt_i32 s2, 25
	s_mov_b32 s6, 0
	s_mov_b32 s0, 0
	s_cbranch_scc0 .LBB127_3994
; %bb.3962:
	s_cmp_gt_i32 s2, 28
	s_cbranch_scc0 .LBB127_3977
; %bb.3963:
	s_cmp_gt_i32 s2, 43
	;; [unrolled: 3-line block ×3, first 2 shown]
	s_cbranch_scc0 .LBB127_3967
; %bb.3965:
	s_mov_b32 s0, -1
	s_mov_b32 s7, 0
	s_cmp_eq_u32 s2, 46
	s_cbranch_scc0 .LBB127_3967
; %bb.3966:
	v_bfe_u32 v1, v4, 16, 1
	v_cmp_o_f32_e32 vcc_lo, v4, v4
	s_mov_b32 s0, 0
	s_mov_b32 s6, -1
	s_delay_alu instid0(VALU_DEP_2) | instskip(NEXT) | instid1(VALU_DEP_1)
	v_add3_u32 v1, v4, v1, 0x7fff
	v_lshrrev_b32_e32 v1, 16, v1
	s_delay_alu instid0(VALU_DEP_1)
	v_cndmask_b32_e32 v1, 0x7fc0, v1, vcc_lo
	global_store_b32 v[2:3], v1, off
.LBB127_3967:
	s_and_b32 vcc_lo, exec_lo, s7
	s_cbranch_vccz .LBB127_3972
; %bb.3968:
	s_cmp_eq_u32 s2, 44
	s_mov_b32 s0, -1
	s_cbranch_scc0 .LBB127_3972
; %bb.3969:
	v_bfe_u32 v5, v4, 23, 8
	s_wait_xcnt 0x0
	v_mov_b32_e32 v1, 0xff
	s_mov_b32 s6, exec_lo
	s_delay_alu instid0(VALU_DEP_2)
	v_cmpx_ne_u32_e32 0xff, v5
	s_cbranch_execz .LBB127_3971
; %bb.3970:
	v_and_b32_e32 v1, 0x400000, v4
	v_and_or_b32 v5, 0x3fffff, v4, v5
	s_delay_alu instid0(VALU_DEP_2) | instskip(NEXT) | instid1(VALU_DEP_2)
	v_cmp_ne_u32_e32 vcc_lo, 0, v1
	v_cmp_ne_u32_e64 s0, 0, v5
	v_lshrrev_b32_e32 v1, 23, v4
	s_and_b32 s0, vcc_lo, s0
	s_delay_alu instid0(SALU_CYCLE_1) | instskip(NEXT) | instid1(VALU_DEP_1)
	v_cndmask_b32_e64 v5, 0, 1, s0
	v_add_nc_u32_e32 v1, v1, v5
.LBB127_3971:
	s_or_b32 exec_lo, exec_lo, s6
	s_mov_b32 s0, 0
	s_mov_b32 s6, -1
	global_store_b8 v[2:3], v1, off
.LBB127_3972:
	s_mov_b32 s7, 0
.LBB127_3973:
	s_delay_alu instid0(SALU_CYCLE_1)
	s_and_b32 vcc_lo, exec_lo, s7
	s_cbranch_vccz .LBB127_3976
; %bb.3974:
	s_cmp_eq_u32 s2, 29
	s_mov_b32 s0, -1
	s_cbranch_scc0 .LBB127_3976
; %bb.3975:
	s_wait_xcnt 0x0
	v_trunc_f32_e32 v1, v4
	s_mov_b32 s0, 0
	s_mov_b32 s6, -1
	s_delay_alu instid0(VALU_DEP_1) | instskip(NEXT) | instid1(VALU_DEP_1)
	v_mul_f32_e32 v5, 0x2f800000, v1
	v_floor_f32_e32 v5, v5
	s_delay_alu instid0(VALU_DEP_1) | instskip(SKIP_1) | instid1(VALU_DEP_2)
	v_fmamk_f32 v1, v5, 0xcf800000, v1
	v_cvt_u32_f32_e32 v7, v5
	v_cvt_u32_f32_e32 v6, v1
	global_store_b64 v[2:3], v[6:7], off
.LBB127_3976:
	s_mov_b32 s7, 0
.LBB127_3977:
	s_delay_alu instid0(SALU_CYCLE_1)
	s_and_b32 vcc_lo, exec_lo, s7
	s_cbranch_vccz .LBB127_3993
; %bb.3978:
	s_cmp_lt_i32 s2, 27
	s_mov_b32 s6, -1
	s_cbranch_scc1 .LBB127_3984
; %bb.3979:
	s_cmp_gt_i32 s2, 27
	s_cbranch_scc0 .LBB127_3981
; %bb.3980:
	s_wait_xcnt 0x0
	v_cvt_u32_f32_e32 v1, v4
	s_mov_b32 s6, 0
	global_store_b32 v[2:3], v1, off
.LBB127_3981:
	s_and_not1_b32 vcc_lo, exec_lo, s6
	s_cbranch_vccnz .LBB127_3983
; %bb.3982:
	s_wait_xcnt 0x0
	v_cvt_u32_f32_e32 v1, v4
	global_store_b16 v[2:3], v1, off
.LBB127_3983:
	s_mov_b32 s6, 0
.LBB127_3984:
	s_delay_alu instid0(SALU_CYCLE_1)
	s_and_not1_b32 vcc_lo, exec_lo, s6
	s_cbranch_vccnz .LBB127_3992
; %bb.3985:
	s_wait_xcnt 0x0
	v_and_b32_e32 v1, 0x7fffffff, v4
	v_mov_b32_e32 v5, 0x80
	s_mov_b32 s6, exec_lo
	s_delay_alu instid0(VALU_DEP_2)
	v_cmpx_gt_u32_e32 0x43800000, v1
	s_cbranch_execz .LBB127_3991
; %bb.3986:
	v_cmp_lt_u32_e32 vcc_lo, 0x3bffffff, v1
	s_mov_b32 s7, 0
                                        ; implicit-def: $vgpr1
	s_and_saveexec_b32 s10, vcc_lo
	s_delay_alu instid0(SALU_CYCLE_1)
	s_xor_b32 s10, exec_lo, s10
	s_cbranch_execz .LBB127_4212
; %bb.3987:
	v_bfe_u32 v1, v4, 20, 1
	s_mov_b32 s7, exec_lo
	s_delay_alu instid0(VALU_DEP_1) | instskip(NEXT) | instid1(VALU_DEP_1)
	v_add3_u32 v1, v4, v1, 0x487ffff
	v_lshrrev_b32_e32 v1, 20, v1
	s_and_not1_saveexec_b32 s10, s10
	s_cbranch_execnz .LBB127_4213
.LBB127_3988:
	s_or_b32 exec_lo, exec_lo, s10
	v_mov_b32_e32 v5, 0
	s_and_saveexec_b32 s10, s7
.LBB127_3989:
	v_lshrrev_b32_e32 v5, 24, v4
	s_delay_alu instid0(VALU_DEP_1)
	v_and_or_b32 v5, 0x80, v5, v1
.LBB127_3990:
	s_or_b32 exec_lo, exec_lo, s10
.LBB127_3991:
	s_delay_alu instid0(SALU_CYCLE_1)
	s_or_b32 exec_lo, exec_lo, s6
	global_store_b8 v[2:3], v5, off
.LBB127_3992:
	s_mov_b32 s6, -1
.LBB127_3993:
	s_mov_b32 s7, 0
.LBB127_3994:
	s_delay_alu instid0(SALU_CYCLE_1)
	s_and_b32 vcc_lo, exec_lo, s7
	s_cbranch_vccz .LBB127_4034
; %bb.3995:
	s_cmp_gt_i32 s2, 22
	s_mov_b32 s3, -1
	s_cbranch_scc0 .LBB127_4027
; %bb.3996:
	s_cmp_lt_i32 s2, 24
	s_cbranch_scc1 .LBB127_4016
; %bb.3997:
	s_cmp_gt_i32 s2, 24
	s_cbranch_scc0 .LBB127_4005
; %bb.3998:
	s_wait_xcnt 0x0
	v_and_b32_e32 v1, 0x7fffffff, v4
	v_mov_b32_e32 v5, 0x80
	s_mov_b32 s3, exec_lo
	s_delay_alu instid0(VALU_DEP_2)
	v_cmpx_gt_u32_e32 0x47800000, v1
	s_cbranch_execz .LBB127_4004
; %bb.3999:
	v_cmp_lt_u32_e32 vcc_lo, 0x37ffffff, v1
	s_mov_b32 s6, 0
                                        ; implicit-def: $vgpr1
	s_and_saveexec_b32 s7, vcc_lo
	s_delay_alu instid0(SALU_CYCLE_1)
	s_xor_b32 s7, exec_lo, s7
	s_cbranch_execz .LBB127_4215
; %bb.4000:
	v_bfe_u32 v1, v4, 21, 1
	s_mov_b32 s6, exec_lo
	s_delay_alu instid0(VALU_DEP_1) | instskip(NEXT) | instid1(VALU_DEP_1)
	v_add3_u32 v1, v4, v1, 0x88fffff
	v_lshrrev_b32_e32 v1, 21, v1
	s_and_not1_saveexec_b32 s7, s7
	s_cbranch_execnz .LBB127_4216
.LBB127_4001:
	s_or_b32 exec_lo, exec_lo, s7
	v_mov_b32_e32 v5, 0
	s_and_saveexec_b32 s7, s6
.LBB127_4002:
	v_lshrrev_b32_e32 v5, 24, v4
	s_delay_alu instid0(VALU_DEP_1)
	v_and_or_b32 v5, 0x80, v5, v1
.LBB127_4003:
	s_or_b32 exec_lo, exec_lo, s7
.LBB127_4004:
	s_delay_alu instid0(SALU_CYCLE_1)
	s_or_b32 exec_lo, exec_lo, s3
	s_mov_b32 s3, 0
	global_store_b8 v[2:3], v5, off
.LBB127_4005:
	s_and_b32 vcc_lo, exec_lo, s3
	s_cbranch_vccz .LBB127_4015
; %bb.4006:
	s_wait_xcnt 0x0
	v_and_b32_e32 v5, 0x7fffffff, v4
	s_mov_b32 s3, exec_lo
                                        ; implicit-def: $vgpr1
	s_delay_alu instid0(VALU_DEP_1)
	v_cmpx_gt_u32_e32 0x43f00000, v5
	s_xor_b32 s3, exec_lo, s3
	s_cbranch_execz .LBB127_4012
; %bb.4007:
	s_mov_b32 s6, exec_lo
                                        ; implicit-def: $vgpr1
	v_cmpx_lt_u32_e32 0x3c7fffff, v5
	s_xor_b32 s6, exec_lo, s6
; %bb.4008:
	v_bfe_u32 v1, v4, 20, 1
	s_delay_alu instid0(VALU_DEP_1) | instskip(NEXT) | instid1(VALU_DEP_1)
	v_add3_u32 v1, v4, v1, 0x407ffff
	v_and_b32_e32 v5, 0xff00000, v1
	v_lshrrev_b32_e32 v1, 20, v1
	s_delay_alu instid0(VALU_DEP_2) | instskip(NEXT) | instid1(VALU_DEP_2)
	v_cmp_ne_u32_e32 vcc_lo, 0x7f00000, v5
	v_cndmask_b32_e32 v1, 0x7e, v1, vcc_lo
; %bb.4009:
	s_and_not1_saveexec_b32 s6, s6
; %bb.4010:
	v_add_f32_e64 v1, 0x46800000, |v4|
; %bb.4011:
	s_or_b32 exec_lo, exec_lo, s6
                                        ; implicit-def: $vgpr5
.LBB127_4012:
	s_and_not1_saveexec_b32 s3, s3
; %bb.4013:
	v_mov_b32_e32 v1, 0x7f
	v_cmp_lt_u32_e32 vcc_lo, 0x7f800000, v5
	s_delay_alu instid0(VALU_DEP_2)
	v_cndmask_b32_e32 v1, 0x7e, v1, vcc_lo
; %bb.4014:
	s_or_b32 exec_lo, exec_lo, s3
	v_lshrrev_b32_e32 v5, 24, v4
	s_delay_alu instid0(VALU_DEP_1)
	v_and_or_b32 v1, 0x80, v5, v1
	global_store_b8 v[2:3], v1, off
.LBB127_4015:
	s_mov_b32 s3, 0
.LBB127_4016:
	s_delay_alu instid0(SALU_CYCLE_1)
	s_and_not1_b32 vcc_lo, exec_lo, s3
	s_cbranch_vccnz .LBB127_4026
; %bb.4017:
	s_wait_xcnt 0x0
	v_and_b32_e32 v5, 0x7fffffff, v4
	s_mov_b32 s3, exec_lo
                                        ; implicit-def: $vgpr1
	s_delay_alu instid0(VALU_DEP_1)
	v_cmpx_gt_u32_e32 0x47800000, v5
	s_xor_b32 s3, exec_lo, s3
	s_cbranch_execz .LBB127_4023
; %bb.4018:
	s_mov_b32 s6, exec_lo
                                        ; implicit-def: $vgpr1
	v_cmpx_lt_u32_e32 0x387fffff, v5
	s_xor_b32 s6, exec_lo, s6
; %bb.4019:
	v_bfe_u32 v1, v4, 21, 1
	s_delay_alu instid0(VALU_DEP_1) | instskip(NEXT) | instid1(VALU_DEP_1)
	v_add3_u32 v1, v4, v1, 0x80fffff
	v_lshrrev_b32_e32 v1, 21, v1
; %bb.4020:
	s_and_not1_saveexec_b32 s6, s6
; %bb.4021:
	v_add_f32_e64 v1, 0x43000000, |v4|
; %bb.4022:
	s_or_b32 exec_lo, exec_lo, s6
                                        ; implicit-def: $vgpr5
.LBB127_4023:
	s_and_not1_saveexec_b32 s3, s3
; %bb.4024:
	v_mov_b32_e32 v1, 0x7f
	v_cmp_lt_u32_e32 vcc_lo, 0x7f800000, v5
	s_delay_alu instid0(VALU_DEP_2)
	v_cndmask_b32_e32 v1, 0x7c, v1, vcc_lo
; %bb.4025:
	s_or_b32 exec_lo, exec_lo, s3
	v_lshrrev_b32_e32 v5, 24, v4
	s_delay_alu instid0(VALU_DEP_1)
	v_and_or_b32 v1, 0x80, v5, v1
	global_store_b8 v[2:3], v1, off
.LBB127_4026:
	s_mov_b32 s3, 0
	s_mov_b32 s6, -1
.LBB127_4027:
	s_and_not1_b32 vcc_lo, exec_lo, s3
	s_mov_b32 s3, 0
	s_cbranch_vccnz .LBB127_4034
; %bb.4028:
	s_cmp_gt_i32 s2, 14
	s_mov_b32 s3, -1
	s_cbranch_scc0 .LBB127_4032
; %bb.4029:
	s_cmp_eq_u32 s2, 15
	s_mov_b32 s0, -1
	s_cbranch_scc0 .LBB127_4031
; %bb.4030:
	s_wait_xcnt 0x0
	v_bfe_u32 v1, v4, 16, 1
	v_cmp_o_f32_e32 vcc_lo, v4, v4
	s_mov_b32 s0, 0
	s_mov_b32 s6, -1
	s_delay_alu instid0(VALU_DEP_2) | instskip(NEXT) | instid1(VALU_DEP_1)
	v_add3_u32 v1, v4, v1, 0x7fff
	v_lshrrev_b32_e32 v1, 16, v1
	s_delay_alu instid0(VALU_DEP_1)
	v_cndmask_b32_e32 v1, 0x7fc0, v1, vcc_lo
	global_store_b16 v[2:3], v1, off
.LBB127_4031:
	s_mov_b32 s3, 0
.LBB127_4032:
	s_delay_alu instid0(SALU_CYCLE_1)
	s_and_b32 vcc_lo, exec_lo, s3
	s_mov_b32 s3, 0
	s_cbranch_vccz .LBB127_4034
; %bb.4033:
	s_cmp_lg_u32 s2, 11
	s_mov_b32 s3, -1
	s_cselect_b32 s0, -1, 0
.LBB127_4034:
	s_delay_alu instid0(SALU_CYCLE_1)
	s_and_b32 vcc_lo, exec_lo, s0
	s_cbranch_vccnz .LBB127_4214
; %bb.4035:
	s_and_not1_b32 vcc_lo, exec_lo, s3
	s_cbranch_vccnz .LBB127_4037
.LBB127_4036:
	v_cmp_neq_f32_e32 vcc_lo, 0, v4
	s_mov_b32 s6, -1
	s_wait_xcnt 0x0
	v_cndmask_b32_e64 v1, 0, 1, vcc_lo
	global_store_b8 v[2:3], v1, off
.LBB127_4037:
	s_mov_b32 s0, 0
	s_branch .LBB127_4039
.LBB127_4038:
	s_mov_b32 s0, -1
	s_mov_b32 s6, 0
.LBB127_4039:
	s_and_b32 vcc_lo, exec_lo, s0
	s_cbranch_vccz .LBB127_4078
; %bb.4040:
	s_cmp_lt_i32 s2, 5
	s_mov_b32 s0, -1
	s_cbranch_scc1 .LBB127_4061
; %bb.4041:
	s_cmp_lt_i32 s2, 8
	s_cbranch_scc1 .LBB127_4051
; %bb.4042:
	s_cmp_lt_i32 s2, 9
	s_cbranch_scc1 .LBB127_4048
; %bb.4043:
	s_cmp_gt_i32 s2, 9
	s_cbranch_scc0 .LBB127_4045
; %bb.4044:
	s_wait_xcnt 0x0
	v_cvt_f64_f32_e32 v[6:7], v4
	v_mov_b32_e32 v8, 0
	s_mov_b32 s0, 0
	s_delay_alu instid0(VALU_DEP_1)
	v_mov_b32_e32 v9, v8
	global_store_b128 v[2:3], v[6:9], off
.LBB127_4045:
	s_and_not1_b32 vcc_lo, exec_lo, s0
	s_cbranch_vccnz .LBB127_4047
; %bb.4046:
	s_wait_xcnt 0x0
	v_mov_b32_e32 v5, 0
	global_store_b64 v[2:3], v[4:5], off
.LBB127_4047:
	s_mov_b32 s0, 0
.LBB127_4048:
	s_delay_alu instid0(SALU_CYCLE_1)
	s_and_not1_b32 vcc_lo, exec_lo, s0
	s_cbranch_vccnz .LBB127_4050
; %bb.4049:
	s_wait_xcnt 0x0
	v_cvt_f16_f32_e32 v1, v4
	s_delay_alu instid0(VALU_DEP_1)
	v_and_b32_e32 v1, 0xffff, v1
	global_store_b32 v[2:3], v1, off
.LBB127_4050:
	s_mov_b32 s0, 0
.LBB127_4051:
	s_delay_alu instid0(SALU_CYCLE_1)
	s_and_not1_b32 vcc_lo, exec_lo, s0
	s_cbranch_vccnz .LBB127_4060
; %bb.4052:
	s_cmp_lt_i32 s2, 6
	s_mov_b32 s0, -1
	s_cbranch_scc1 .LBB127_4058
; %bb.4053:
	s_cmp_gt_i32 s2, 6
	s_cbranch_scc0 .LBB127_4055
; %bb.4054:
	s_wait_xcnt 0x0
	v_cvt_f64_f32_e32 v[6:7], v4
	s_mov_b32 s0, 0
	global_store_b64 v[2:3], v[6:7], off
.LBB127_4055:
	s_and_not1_b32 vcc_lo, exec_lo, s0
	s_cbranch_vccnz .LBB127_4057
; %bb.4056:
	global_store_b32 v[2:3], v4, off
.LBB127_4057:
	s_mov_b32 s0, 0
.LBB127_4058:
	s_delay_alu instid0(SALU_CYCLE_1)
	s_and_not1_b32 vcc_lo, exec_lo, s0
	s_cbranch_vccnz .LBB127_4060
; %bb.4059:
	s_wait_xcnt 0x0
	v_cvt_f16_f32_e32 v1, v4
	global_store_b16 v[2:3], v1, off
.LBB127_4060:
	s_mov_b32 s0, 0
.LBB127_4061:
	s_delay_alu instid0(SALU_CYCLE_1)
	s_and_not1_b32 vcc_lo, exec_lo, s0
	s_cbranch_vccnz .LBB127_4077
; %bb.4062:
	s_cmp_lt_i32 s2, 2
	s_mov_b32 s0, -1
	s_cbranch_scc1 .LBB127_4072
; %bb.4063:
	s_cmp_lt_i32 s2, 3
	s_cbranch_scc1 .LBB127_4069
; %bb.4064:
	s_cmp_gt_i32 s2, 3
	s_cbranch_scc0 .LBB127_4066
; %bb.4065:
	s_wait_xcnt 0x0
	v_trunc_f32_e32 v1, v4
	s_mov_b32 s0, 0
	s_delay_alu instid0(VALU_DEP_1) | instskip(SKIP_1) | instid1(VALU_DEP_2)
	v_mul_f32_e64 v5, 0x2f800000, |v1|
	v_ashrrev_i32_e32 v6, 31, v1
	v_floor_f32_e32 v5, v5
	s_delay_alu instid0(VALU_DEP_1) | instskip(SKIP_1) | instid1(VALU_DEP_2)
	v_fma_f32 v7, 0xcf800000, v5, |v1|
	v_cvt_u32_f32_e32 v1, v5
	v_cvt_u32_f32_e32 v5, v7
	s_delay_alu instid0(VALU_DEP_2) | instskip(NEXT) | instid1(VALU_DEP_2)
	v_dual_mov_b32 v7, v6 :: v_dual_bitop2_b32 v9, v1, v6 bitop3:0x14
	v_xor_b32_e32 v8, v5, v6
	s_delay_alu instid0(VALU_DEP_1)
	v_sub_nc_u64_e32 v[6:7], v[8:9], v[6:7]
	global_store_b64 v[2:3], v[6:7], off
.LBB127_4066:
	s_and_not1_b32 vcc_lo, exec_lo, s0
	s_cbranch_vccnz .LBB127_4068
; %bb.4067:
	s_wait_xcnt 0x0
	v_cvt_i32_f32_e32 v1, v4
	global_store_b32 v[2:3], v1, off
.LBB127_4068:
	s_mov_b32 s0, 0
.LBB127_4069:
	s_delay_alu instid0(SALU_CYCLE_1)
	s_and_not1_b32 vcc_lo, exec_lo, s0
	s_cbranch_vccnz .LBB127_4071
; %bb.4070:
	s_wait_xcnt 0x0
	v_cvt_i32_f32_e32 v1, v4
	global_store_b16 v[2:3], v1, off
.LBB127_4071:
	s_mov_b32 s0, 0
.LBB127_4072:
	s_delay_alu instid0(SALU_CYCLE_1)
	s_and_not1_b32 vcc_lo, exec_lo, s0
	s_cbranch_vccnz .LBB127_4077
; %bb.4073:
	s_cmp_gt_i32 s2, 0
	s_mov_b32 s0, -1
	s_cbranch_scc0 .LBB127_4075
; %bb.4074:
	s_wait_xcnt 0x0
	v_cvt_i32_f32_e32 v1, v4
	s_mov_b32 s0, 0
	global_store_b8 v[2:3], v1, off
.LBB127_4075:
	s_and_not1_b32 vcc_lo, exec_lo, s0
	s_cbranch_vccnz .LBB127_4077
; %bb.4076:
	s_wait_xcnt 0x0
	v_trunc_f32_e32 v1, v4
	s_delay_alu instid0(VALU_DEP_1) | instskip(NEXT) | instid1(VALU_DEP_1)
	v_mul_f32_e64 v4, 0x2f800000, |v1|
	v_floor_f32_e32 v4, v4
	s_delay_alu instid0(VALU_DEP_1) | instskip(SKIP_1) | instid1(VALU_DEP_2)
	v_fma_f32 v4, 0xcf800000, v4, |v1|
	v_ashrrev_i32_e32 v1, 31, v1
	v_cvt_u32_f32_e32 v4, v4
	s_delay_alu instid0(VALU_DEP_1) | instskip(NEXT) | instid1(VALU_DEP_1)
	v_xor_b32_e32 v4, v4, v1
	v_sub_nc_u32_e32 v1, v4, v1
	global_store_b8 v[2:3], v1, off
.LBB127_4077:
	s_mov_b32 s6, -1
.LBB127_4078:
	s_delay_alu instid0(SALU_CYCLE_1)
	s_and_not1_b32 vcc_lo, exec_lo, s6
	s_cbranch_vccnz .LBB127_4155
; %bb.4079:
	s_wait_xcnt 0x0
	v_dual_mul_f32 v2, s9, v12 :: v_dual_mov_b32 v1, 0
	s_cmp_lt_i32 s2, 11
	s_delay_alu instid0(VALU_DEP_1) | instskip(NEXT) | instid1(VALU_DEP_2)
	v_mul_f32_e32 v4, v2, v10
	v_add_nc_u64_e32 v[2:3], s[4:5], v[0:1]
	s_delay_alu instid0(VALU_DEP_2)
	v_fmac_f32_e32 v4, s8, v14
	s_cbranch_scc1 .LBB127_4200
; %bb.4080:
	s_mov_b32 s4, -1
	s_mov_b32 s3, 0
	s_cmp_gt_i32 s2, 25
	s_mov_b32 s0, 0
	s_cbranch_scc0 .LBB127_4113
; %bb.4081:
	s_cmp_gt_i32 s2, 28
	s_cbranch_scc0 .LBB127_4097
; %bb.4082:
	s_cmp_gt_i32 s2, 43
	;; [unrolled: 3-line block ×3, first 2 shown]
	s_cbranch_scc0 .LBB127_4087
; %bb.4084:
	s_cmp_eq_u32 s2, 46
	s_mov_b32 s0, -1
	s_cbranch_scc0 .LBB127_4086
; %bb.4085:
	v_bfe_u32 v0, v4, 16, 1
	v_cmp_o_f32_e32 vcc_lo, v4, v4
	s_mov_b32 s0, 0
	s_delay_alu instid0(VALU_DEP_2) | instskip(NEXT) | instid1(VALU_DEP_1)
	v_add3_u32 v0, v4, v0, 0x7fff
	v_lshrrev_b32_e32 v0, 16, v0
	s_delay_alu instid0(VALU_DEP_1)
	v_cndmask_b32_e32 v0, 0x7fc0, v0, vcc_lo
	global_store_b32 v[2:3], v0, off
.LBB127_4086:
	s_mov_b32 s4, 0
.LBB127_4087:
	s_delay_alu instid0(SALU_CYCLE_1)
	s_and_b32 vcc_lo, exec_lo, s4
	s_cbranch_vccz .LBB127_4092
; %bb.4088:
	s_cmp_eq_u32 s2, 44
	s_mov_b32 s0, -1
	s_cbranch_scc0 .LBB127_4092
; %bb.4089:
	v_bfe_u32 v1, v4, 23, 8
	s_wait_xcnt 0x0
	v_mov_b32_e32 v0, 0xff
	s_mov_b32 s4, exec_lo
	s_delay_alu instid0(VALU_DEP_2)
	v_cmpx_ne_u32_e32 0xff, v1
	s_cbranch_execz .LBB127_4091
; %bb.4090:
	v_and_b32_e32 v0, 0x400000, v4
	v_and_or_b32 v1, 0x3fffff, v4, v1
	s_delay_alu instid0(VALU_DEP_2) | instskip(NEXT) | instid1(VALU_DEP_2)
	v_cmp_ne_u32_e32 vcc_lo, 0, v0
	v_cmp_ne_u32_e64 s0, 0, v1
	v_lshrrev_b32_e32 v0, 23, v4
	s_and_b32 s0, vcc_lo, s0
	s_delay_alu instid0(SALU_CYCLE_1) | instskip(NEXT) | instid1(VALU_DEP_1)
	v_cndmask_b32_e64 v1, 0, 1, s0
	v_add_nc_u32_e32 v0, v0, v1
.LBB127_4091:
	s_or_b32 exec_lo, exec_lo, s4
	s_mov_b32 s0, 0
	global_store_b8 v[2:3], v0, off
.LBB127_4092:
	s_mov_b32 s4, 0
.LBB127_4093:
	s_delay_alu instid0(SALU_CYCLE_1)
	s_and_b32 vcc_lo, exec_lo, s4
	s_cbranch_vccz .LBB127_4096
; %bb.4094:
	s_cmp_eq_u32 s2, 29
	s_mov_b32 s0, -1
	s_cbranch_scc0 .LBB127_4096
; %bb.4095:
	s_wait_xcnt 0x0
	v_trunc_f32_e32 v0, v4
	s_mov_b32 s0, 0
	s_delay_alu instid0(VALU_DEP_1) | instskip(NEXT) | instid1(VALU_DEP_1)
	v_mul_f32_e32 v1, 0x2f800000, v0
	v_floor_f32_e32 v1, v1
	s_delay_alu instid0(VALU_DEP_1) | instskip(SKIP_1) | instid1(VALU_DEP_2)
	v_fmamk_f32 v0, v1, 0xcf800000, v0
	v_cvt_u32_f32_e32 v1, v1
	v_cvt_u32_f32_e32 v0, v0
	global_store_b64 v[2:3], v[0:1], off
.LBB127_4096:
	s_mov_b32 s4, 0
.LBB127_4097:
	s_delay_alu instid0(SALU_CYCLE_1)
	s_and_b32 vcc_lo, exec_lo, s4
	s_cbranch_vccz .LBB127_4112
; %bb.4098:
	s_cmp_lt_i32 s2, 27
	s_mov_b32 s4, -1
	s_cbranch_scc1 .LBB127_4104
; %bb.4099:
	s_wait_xcnt 0x0
	v_cvt_u32_f32_e32 v0, v4
	s_cmp_gt_i32 s2, 27
	s_cbranch_scc0 .LBB127_4101
; %bb.4100:
	s_mov_b32 s4, 0
	global_store_b32 v[2:3], v0, off
.LBB127_4101:
	s_and_not1_b32 vcc_lo, exec_lo, s4
	s_cbranch_vccnz .LBB127_4103
; %bb.4102:
	global_store_b16 v[2:3], v0, off
.LBB127_4103:
	s_mov_b32 s4, 0
.LBB127_4104:
	s_delay_alu instid0(SALU_CYCLE_1)
	s_and_not1_b32 vcc_lo, exec_lo, s4
	s_cbranch_vccnz .LBB127_4112
; %bb.4105:
	s_wait_xcnt 0x0
	v_and_b32_e32 v0, 0x7fffffff, v4
	v_mov_b32_e32 v1, 0x80
	s_mov_b32 s4, exec_lo
	s_delay_alu instid0(VALU_DEP_2)
	v_cmpx_gt_u32_e32 0x43800000, v0
	s_cbranch_execz .LBB127_4111
; %bb.4106:
	v_cmp_lt_u32_e32 vcc_lo, 0x3bffffff, v0
	s_mov_b32 s5, 0
                                        ; implicit-def: $vgpr0
	s_and_saveexec_b32 s6, vcc_lo
	s_delay_alu instid0(SALU_CYCLE_1)
	s_xor_b32 s6, exec_lo, s6
	s_cbranch_execz .LBB127_4217
; %bb.4107:
	v_bfe_u32 v0, v4, 20, 1
	s_mov_b32 s5, exec_lo
	s_delay_alu instid0(VALU_DEP_1) | instskip(NEXT) | instid1(VALU_DEP_1)
	v_add3_u32 v0, v4, v0, 0x487ffff
	v_lshrrev_b32_e32 v0, 20, v0
	s_and_not1_saveexec_b32 s6, s6
	s_cbranch_execnz .LBB127_4218
.LBB127_4108:
	s_or_b32 exec_lo, exec_lo, s6
	v_mov_b32_e32 v1, 0
	s_and_saveexec_b32 s6, s5
.LBB127_4109:
	v_lshrrev_b32_e32 v1, 24, v4
	s_delay_alu instid0(VALU_DEP_1)
	v_and_or_b32 v1, 0x80, v1, v0
.LBB127_4110:
	s_or_b32 exec_lo, exec_lo, s6
.LBB127_4111:
	s_delay_alu instid0(SALU_CYCLE_1)
	s_or_b32 exec_lo, exec_lo, s4
	global_store_b8 v[2:3], v1, off
.LBB127_4112:
	s_mov_b32 s4, 0
.LBB127_4113:
	s_delay_alu instid0(SALU_CYCLE_1)
	s_and_b32 vcc_lo, exec_lo, s4
	s_cbranch_vccz .LBB127_4153
; %bb.4114:
	s_cmp_gt_i32 s2, 22
	s_mov_b32 s3, -1
	s_cbranch_scc0 .LBB127_4146
; %bb.4115:
	s_cmp_lt_i32 s2, 24
	s_cbranch_scc1 .LBB127_4135
; %bb.4116:
	s_cmp_gt_i32 s2, 24
	s_cbranch_scc0 .LBB127_4124
; %bb.4117:
	s_wait_xcnt 0x0
	v_and_b32_e32 v0, 0x7fffffff, v4
	v_mov_b32_e32 v1, 0x80
	s_mov_b32 s3, exec_lo
	s_delay_alu instid0(VALU_DEP_2)
	v_cmpx_gt_u32_e32 0x47800000, v0
	s_cbranch_execz .LBB127_4123
; %bb.4118:
	v_cmp_lt_u32_e32 vcc_lo, 0x37ffffff, v0
	s_mov_b32 s4, 0
                                        ; implicit-def: $vgpr0
	s_and_saveexec_b32 s5, vcc_lo
	s_delay_alu instid0(SALU_CYCLE_1)
	s_xor_b32 s5, exec_lo, s5
	s_cbranch_execz .LBB127_4220
; %bb.4119:
	v_bfe_u32 v0, v4, 21, 1
	s_mov_b32 s4, exec_lo
	s_delay_alu instid0(VALU_DEP_1) | instskip(NEXT) | instid1(VALU_DEP_1)
	v_add3_u32 v0, v4, v0, 0x88fffff
	v_lshrrev_b32_e32 v0, 21, v0
	s_and_not1_saveexec_b32 s5, s5
	s_cbranch_execnz .LBB127_4221
.LBB127_4120:
	s_or_b32 exec_lo, exec_lo, s5
	v_mov_b32_e32 v1, 0
	s_and_saveexec_b32 s5, s4
.LBB127_4121:
	v_lshrrev_b32_e32 v1, 24, v4
	s_delay_alu instid0(VALU_DEP_1)
	v_and_or_b32 v1, 0x80, v1, v0
.LBB127_4122:
	s_or_b32 exec_lo, exec_lo, s5
.LBB127_4123:
	s_delay_alu instid0(SALU_CYCLE_1)
	s_or_b32 exec_lo, exec_lo, s3
	s_mov_b32 s3, 0
	global_store_b8 v[2:3], v1, off
.LBB127_4124:
	s_and_b32 vcc_lo, exec_lo, s3
	s_cbranch_vccz .LBB127_4134
; %bb.4125:
	s_wait_xcnt 0x0
	v_and_b32_e32 v1, 0x7fffffff, v4
	s_mov_b32 s3, exec_lo
                                        ; implicit-def: $vgpr0
	s_delay_alu instid0(VALU_DEP_1)
	v_cmpx_gt_u32_e32 0x43f00000, v1
	s_xor_b32 s3, exec_lo, s3
	s_cbranch_execz .LBB127_4131
; %bb.4126:
	s_mov_b32 s4, exec_lo
                                        ; implicit-def: $vgpr0
	v_cmpx_lt_u32_e32 0x3c7fffff, v1
	s_xor_b32 s4, exec_lo, s4
; %bb.4127:
	v_bfe_u32 v0, v4, 20, 1
	s_delay_alu instid0(VALU_DEP_1) | instskip(NEXT) | instid1(VALU_DEP_1)
	v_add3_u32 v0, v4, v0, 0x407ffff
	v_and_b32_e32 v1, 0xff00000, v0
	v_lshrrev_b32_e32 v0, 20, v0
	s_delay_alu instid0(VALU_DEP_2) | instskip(NEXT) | instid1(VALU_DEP_2)
	v_cmp_ne_u32_e32 vcc_lo, 0x7f00000, v1
	v_cndmask_b32_e32 v0, 0x7e, v0, vcc_lo
; %bb.4128:
	s_and_not1_saveexec_b32 s4, s4
; %bb.4129:
	v_add_f32_e64 v0, 0x46800000, |v4|
; %bb.4130:
	s_or_b32 exec_lo, exec_lo, s4
                                        ; implicit-def: $vgpr1
.LBB127_4131:
	s_and_not1_saveexec_b32 s3, s3
; %bb.4132:
	v_mov_b32_e32 v0, 0x7f
	v_cmp_lt_u32_e32 vcc_lo, 0x7f800000, v1
	s_delay_alu instid0(VALU_DEP_2)
	v_cndmask_b32_e32 v0, 0x7e, v0, vcc_lo
; %bb.4133:
	s_or_b32 exec_lo, exec_lo, s3
	v_lshrrev_b32_e32 v1, 24, v4
	s_delay_alu instid0(VALU_DEP_1)
	v_and_or_b32 v0, 0x80, v1, v0
	global_store_b8 v[2:3], v0, off
.LBB127_4134:
	s_mov_b32 s3, 0
.LBB127_4135:
	s_delay_alu instid0(SALU_CYCLE_1)
	s_and_not1_b32 vcc_lo, exec_lo, s3
	s_cbranch_vccnz .LBB127_4145
; %bb.4136:
	s_wait_xcnt 0x0
	v_and_b32_e32 v1, 0x7fffffff, v4
	s_mov_b32 s3, exec_lo
                                        ; implicit-def: $vgpr0
	s_delay_alu instid0(VALU_DEP_1)
	v_cmpx_gt_u32_e32 0x47800000, v1
	s_xor_b32 s3, exec_lo, s3
	s_cbranch_execz .LBB127_4142
; %bb.4137:
	s_mov_b32 s4, exec_lo
                                        ; implicit-def: $vgpr0
	v_cmpx_lt_u32_e32 0x387fffff, v1
	s_xor_b32 s4, exec_lo, s4
; %bb.4138:
	v_bfe_u32 v0, v4, 21, 1
	s_delay_alu instid0(VALU_DEP_1) | instskip(NEXT) | instid1(VALU_DEP_1)
	v_add3_u32 v0, v4, v0, 0x80fffff
	v_lshrrev_b32_e32 v0, 21, v0
; %bb.4139:
	s_and_not1_saveexec_b32 s4, s4
; %bb.4140:
	v_add_f32_e64 v0, 0x43000000, |v4|
; %bb.4141:
	s_or_b32 exec_lo, exec_lo, s4
                                        ; implicit-def: $vgpr1
.LBB127_4142:
	s_and_not1_saveexec_b32 s3, s3
; %bb.4143:
	v_mov_b32_e32 v0, 0x7f
	v_cmp_lt_u32_e32 vcc_lo, 0x7f800000, v1
	s_delay_alu instid0(VALU_DEP_2)
	v_cndmask_b32_e32 v0, 0x7c, v0, vcc_lo
; %bb.4144:
	s_or_b32 exec_lo, exec_lo, s3
	v_lshrrev_b32_e32 v1, 24, v4
	s_delay_alu instid0(VALU_DEP_1)
	v_and_or_b32 v0, 0x80, v1, v0
	global_store_b8 v[2:3], v0, off
.LBB127_4145:
	s_mov_b32 s3, 0
.LBB127_4146:
	s_delay_alu instid0(SALU_CYCLE_1)
	s_and_not1_b32 vcc_lo, exec_lo, s3
	s_mov_b32 s3, 0
	s_cbranch_vccnz .LBB127_4153
; %bb.4147:
	s_cmp_gt_i32 s2, 14
	s_mov_b32 s3, -1
	s_cbranch_scc0 .LBB127_4151
; %bb.4148:
	s_cmp_eq_u32 s2, 15
	s_mov_b32 s0, -1
	s_cbranch_scc0 .LBB127_4150
; %bb.4149:
	s_wait_xcnt 0x0
	v_bfe_u32 v0, v4, 16, 1
	v_cmp_o_f32_e32 vcc_lo, v4, v4
	s_mov_b32 s0, 0
	s_delay_alu instid0(VALU_DEP_2) | instskip(NEXT) | instid1(VALU_DEP_1)
	v_add3_u32 v0, v4, v0, 0x7fff
	v_lshrrev_b32_e32 v0, 16, v0
	s_delay_alu instid0(VALU_DEP_1)
	v_cndmask_b32_e32 v0, 0x7fc0, v0, vcc_lo
	global_store_b16 v[2:3], v0, off
.LBB127_4150:
	s_mov_b32 s3, 0
.LBB127_4151:
	s_delay_alu instid0(SALU_CYCLE_1)
	s_and_b32 vcc_lo, exec_lo, s3
	s_mov_b32 s3, 0
	s_cbranch_vccz .LBB127_4153
; %bb.4152:
	s_cmp_lg_u32 s2, 11
	s_mov_b32 s3, -1
	s_cselect_b32 s0, -1, 0
.LBB127_4153:
	s_delay_alu instid0(SALU_CYCLE_1)
	s_and_b32 vcc_lo, exec_lo, s0
	s_cbranch_vccnz .LBB127_4219
.LBB127_4154:
	s_mov_b32 s0, 0
	s_branch .LBB127_4156
.LBB127_4155:
	s_mov_b32 s0, 0
	s_mov_b32 s3, 0
                                        ; implicit-def: $vgpr2_vgpr3
                                        ; implicit-def: $sgpr1
                                        ; implicit-def: $vgpr4
.LBB127_4156:
	s_and_not1_b32 s2, s11, exec_lo
	s_and_b32 s4, s13, exec_lo
	s_and_b32 s0, s0, exec_lo
	;; [unrolled: 1-line block ×3, first 2 shown]
	s_or_b32 s11, s2, s4
.LBB127_4157:
	s_wait_xcnt 0x0
	s_or_b32 exec_lo, exec_lo, s12
	s_and_saveexec_b32 s2, s11
	s_cbranch_execz .LBB127_4160
; %bb.4158:
	; divergent unreachable
	s_or_b32 exec_lo, exec_lo, s2
	s_and_saveexec_b32 s2, s38
	s_delay_alu instid0(SALU_CYCLE_1)
	s_xor_b32 s2, exec_lo, s2
	s_cbranch_execnz .LBB127_4161
.LBB127_4159:
	s_or_b32 exec_lo, exec_lo, s2
	s_and_saveexec_b32 s2, s0
	s_cbranch_execnz .LBB127_4162
	s_branch .LBB127_4199
.LBB127_4160:
	s_or_b32 exec_lo, exec_lo, s2
	s_and_saveexec_b32 s2, s38
	s_delay_alu instid0(SALU_CYCLE_1)
	s_xor_b32 s2, exec_lo, s2
	s_cbranch_execz .LBB127_4159
.LBB127_4161:
	v_cmp_neq_f32_e32 vcc_lo, 0, v4
	v_cndmask_b32_e64 v0, 0, 1, vcc_lo
	s_wait_loadcnt 0x0
	global_store_b8 v[2:3], v0, off
	s_wait_xcnt 0x0
	s_or_b32 exec_lo, exec_lo, s2
	s_and_saveexec_b32 s2, s0
	s_cbranch_execz .LBB127_4199
.LBB127_4162:
	s_sext_i32_i16 s2, s1
	s_mov_b32 s0, -1
	s_cmp_lt_i32 s2, 5
	s_cbranch_scc1 .LBB127_4183
; %bb.4163:
	s_cmp_lt_i32 s2, 8
	s_cbranch_scc1 .LBB127_4173
; %bb.4164:
	;; [unrolled: 3-line block ×3, first 2 shown]
	s_cmp_gt_i32 s2, 9
	s_cbranch_scc0 .LBB127_4167
; %bb.4166:
	s_wait_loadcnt 0x0
	v_cvt_f64_f32_e32 v[6:7], v4
	v_mov_b32_e32 v8, 0
	s_mov_b32 s0, 0
	s_delay_alu instid0(VALU_DEP_1)
	v_mov_b32_e32 v9, v8
	global_store_b128 v[2:3], v[6:9], off
.LBB127_4167:
	s_and_not1_b32 vcc_lo, exec_lo, s0
	s_cbranch_vccnz .LBB127_4169
; %bb.4168:
	s_wait_loadcnt 0x0
	v_mov_b32_e32 v5, 0
	global_store_b64 v[2:3], v[4:5], off
.LBB127_4169:
	s_mov_b32 s0, 0
.LBB127_4170:
	s_delay_alu instid0(SALU_CYCLE_1)
	s_and_not1_b32 vcc_lo, exec_lo, s0
	s_cbranch_vccnz .LBB127_4172
; %bb.4171:
	v_cvt_f16_f32_e32 v0, v4
	s_delay_alu instid0(VALU_DEP_1)
	v_and_b32_e32 v0, 0xffff, v0
	s_wait_loadcnt 0x0
	global_store_b32 v[2:3], v0, off
.LBB127_4172:
	s_mov_b32 s0, 0
.LBB127_4173:
	s_delay_alu instid0(SALU_CYCLE_1)
	s_and_not1_b32 vcc_lo, exec_lo, s0
	s_cbranch_vccnz .LBB127_4182
; %bb.4174:
	s_sext_i32_i16 s2, s1
	s_mov_b32 s0, -1
	s_cmp_lt_i32 s2, 6
	s_cbranch_scc1 .LBB127_4180
; %bb.4175:
	s_cmp_gt_i32 s2, 6
	s_cbranch_scc0 .LBB127_4177
; %bb.4176:
	s_wait_loadcnt 0x0
	v_cvt_f64_f32_e32 v[0:1], v4
	s_mov_b32 s0, 0
	global_store_b64 v[2:3], v[0:1], off
.LBB127_4177:
	s_and_not1_b32 vcc_lo, exec_lo, s0
	s_cbranch_vccnz .LBB127_4179
; %bb.4178:
	s_wait_loadcnt 0x0
	global_store_b32 v[2:3], v4, off
.LBB127_4179:
	s_mov_b32 s0, 0
.LBB127_4180:
	s_delay_alu instid0(SALU_CYCLE_1)
	s_and_not1_b32 vcc_lo, exec_lo, s0
	s_cbranch_vccnz .LBB127_4182
; %bb.4181:
	s_wait_xcnt 0x0
	v_cvt_f16_f32_e32 v0, v4
	s_wait_loadcnt 0x0
	global_store_b16 v[2:3], v0, off
.LBB127_4182:
	s_mov_b32 s0, 0
.LBB127_4183:
	s_delay_alu instid0(SALU_CYCLE_1)
	s_and_not1_b32 vcc_lo, exec_lo, s0
	s_cbranch_vccnz .LBB127_4199
; %bb.4184:
	s_sext_i32_i16 s2, s1
	s_mov_b32 s0, -1
	s_cmp_lt_i32 s2, 2
	s_cbranch_scc1 .LBB127_4194
; %bb.4185:
	s_cmp_lt_i32 s2, 3
	s_cbranch_scc1 .LBB127_4191
; %bb.4186:
	s_cmp_gt_i32 s2, 3
	s_cbranch_scc0 .LBB127_4188
; %bb.4187:
	s_wait_xcnt 0x0
	v_trunc_f32_e32 v0, v4
	s_mov_b32 s0, 0
	s_wait_loadcnt 0x0
	s_delay_alu instid0(VALU_DEP_1) | instskip(NEXT) | instid1(VALU_DEP_1)
	v_mul_f32_e64 v1, 0x2f800000, |v0|
	v_floor_f32_e32 v1, v1
	s_delay_alu instid0(VALU_DEP_1) | instskip(SKIP_2) | instid1(VALU_DEP_3)
	v_fma_f32 v5, 0xcf800000, v1, |v0|
	v_ashrrev_i32_e32 v0, 31, v0
	v_cvt_u32_f32_e32 v6, v1
	v_cvt_u32_f32_e32 v5, v5
	s_delay_alu instid0(VALU_DEP_2) | instskip(NEXT) | instid1(VALU_DEP_2)
	v_dual_mov_b32 v1, v0 :: v_dual_bitop2_b32 v7, v6, v0 bitop3:0x14
	v_xor_b32_e32 v6, v5, v0
	s_delay_alu instid0(VALU_DEP_1)
	v_sub_nc_u64_e32 v[0:1], v[6:7], v[0:1]
	global_store_b64 v[2:3], v[0:1], off
.LBB127_4188:
	s_and_not1_b32 vcc_lo, exec_lo, s0
	s_cbranch_vccnz .LBB127_4190
; %bb.4189:
	s_wait_xcnt 0x0
	v_cvt_i32_f32_e32 v0, v4
	s_wait_loadcnt 0x0
	global_store_b32 v[2:3], v0, off
.LBB127_4190:
	s_mov_b32 s0, 0
.LBB127_4191:
	s_delay_alu instid0(SALU_CYCLE_1)
	s_and_not1_b32 vcc_lo, exec_lo, s0
	s_cbranch_vccnz .LBB127_4193
; %bb.4192:
	s_wait_xcnt 0x0
	v_cvt_i32_f32_e32 v0, v4
	s_wait_loadcnt 0x0
	global_store_b16 v[2:3], v0, off
.LBB127_4193:
	s_mov_b32 s0, 0
.LBB127_4194:
	s_delay_alu instid0(SALU_CYCLE_1)
	s_and_not1_b32 vcc_lo, exec_lo, s0
	s_cbranch_vccnz .LBB127_4199
; %bb.4195:
	s_sext_i32_i16 s0, s1
	s_delay_alu instid0(SALU_CYCLE_1)
	s_cmp_gt_i32 s0, 0
	s_mov_b32 s0, -1
	s_cbranch_scc0 .LBB127_4197
; %bb.4196:
	s_wait_xcnt 0x0
	v_cvt_i32_f32_e32 v0, v4
	s_mov_b32 s0, 0
	s_wait_loadcnt 0x0
	global_store_b8 v[2:3], v0, off
.LBB127_4197:
	s_and_not1_b32 vcc_lo, exec_lo, s0
	s_cbranch_vccnz .LBB127_4199
; %bb.4198:
	s_wait_xcnt 0x0
	v_trunc_f32_e32 v0, v4
	s_wait_loadcnt 0x0
	s_delay_alu instid0(VALU_DEP_1) | instskip(NEXT) | instid1(VALU_DEP_1)
	v_mul_f32_e64 v1, 0x2f800000, |v0|
	v_floor_f32_e32 v1, v1
	s_delay_alu instid0(VALU_DEP_1) | instskip(SKIP_1) | instid1(VALU_DEP_2)
	v_fma_f32 v1, 0xcf800000, v1, |v0|
	v_ashrrev_i32_e32 v0, 31, v0
	v_cvt_u32_f32_e32 v1, v1
	s_delay_alu instid0(VALU_DEP_1) | instskip(NEXT) | instid1(VALU_DEP_1)
	v_xor_b32_e32 v1, v1, v0
	v_sub_nc_u32_e32 v0, v1, v0
	global_store_b8 v[2:3], v0, off
	s_endpgm
.LBB127_4199:
	s_endpgm
.LBB127_4200:
	s_mov_b32 s3, 0
	s_mov_b32 s0, -1
	s_branch .LBB127_4156
.LBB127_4201:
	s_or_b32 s13, s13, exec_lo
	s_trap 2
	s_cbranch_execz .LBB127_3670
	s_branch .LBB127_3671
.LBB127_4202:
	s_and_not1_saveexec_b32 s10, s10
	s_cbranch_execz .LBB127_3750
.LBB127_4203:
	v_add_f32_e64 v1, 0x46000000, |v8|
	s_and_not1_b32 s7, s7, exec_lo
	s_delay_alu instid0(VALU_DEP_1) | instskip(NEXT) | instid1(VALU_DEP_1)
	v_and_b32_e32 v1, 0xff, v1
	v_cmp_ne_u32_e32 vcc_lo, 0, v1
	s_and_b32 s14, vcc_lo, exec_lo
	s_delay_alu instid0(SALU_CYCLE_1)
	s_or_b32 s7, s7, s14
	s_or_b32 exec_lo, exec_lo, s10
	v_mov_b32_e32 v3, 0
	s_and_saveexec_b32 s10, s7
	s_cbranch_execnz .LBB127_3751
	s_branch .LBB127_3752
.LBB127_4204:
	s_or_b32 s13, s13, exec_lo
	s_trap 2
	s_cbranch_execz .LBB127_3798
	s_branch .LBB127_3799
.LBB127_4205:
	s_and_not1_saveexec_b32 s7, s7
	s_cbranch_execz .LBB127_3763
.LBB127_4206:
	v_add_f32_e64 v1, 0x42800000, |v8|
	s_and_not1_b32 s6, s6, exec_lo
	s_delay_alu instid0(VALU_DEP_1) | instskip(NEXT) | instid1(VALU_DEP_1)
	v_and_b32_e32 v1, 0xff, v1
	v_cmp_ne_u32_e32 vcc_lo, 0, v1
	s_and_b32 s10, vcc_lo, exec_lo
	s_delay_alu instid0(SALU_CYCLE_1)
	s_or_b32 s6, s6, s10
	s_or_b32 exec_lo, exec_lo, s7
	v_mov_b32_e32 v3, 0
	s_and_saveexec_b32 s7, s6
	s_cbranch_execnz .LBB127_3764
	s_branch .LBB127_3765
.LBB127_4207:
	s_and_not1_saveexec_b32 s10, s10
	s_cbranch_execz .LBB127_3869
.LBB127_4208:
	v_add_f32_e64 v1, 0x46000000, |v6|
	s_and_not1_b32 s7, s7, exec_lo
	s_delay_alu instid0(VALU_DEP_1) | instskip(NEXT) | instid1(VALU_DEP_1)
	v_and_b32_e32 v1, 0xff, v1
	v_cmp_ne_u32_e32 vcc_lo, 0, v1
	s_and_b32 s14, vcc_lo, exec_lo
	s_delay_alu instid0(SALU_CYCLE_1)
	s_or_b32 s7, s7, s14
	s_or_b32 exec_lo, exec_lo, s10
	v_mov_b32_e32 v3, 0
	s_and_saveexec_b32 s10, s7
	s_cbranch_execnz .LBB127_3870
	s_branch .LBB127_3871
.LBB127_4209:
	s_or_b32 s13, s13, exec_lo
	s_trap 2
	s_cbranch_execz .LBB127_3917
	s_branch .LBB127_3918
.LBB127_4210:
	s_and_not1_saveexec_b32 s7, s7
	s_cbranch_execz .LBB127_3882
.LBB127_4211:
	v_add_f32_e64 v1, 0x42800000, |v6|
	s_and_not1_b32 s6, s6, exec_lo
	s_delay_alu instid0(VALU_DEP_1) | instskip(NEXT) | instid1(VALU_DEP_1)
	v_and_b32_e32 v1, 0xff, v1
	v_cmp_ne_u32_e32 vcc_lo, 0, v1
	s_and_b32 s10, vcc_lo, exec_lo
	s_delay_alu instid0(SALU_CYCLE_1)
	s_or_b32 s6, s6, s10
	s_or_b32 exec_lo, exec_lo, s7
	v_mov_b32_e32 v3, 0
	s_and_saveexec_b32 s7, s6
	s_cbranch_execnz .LBB127_3883
	s_branch .LBB127_3884
.LBB127_4212:
	s_and_not1_saveexec_b32 s10, s10
	s_cbranch_execz .LBB127_3988
.LBB127_4213:
	v_add_f32_e64 v1, 0x46000000, |v4|
	s_and_not1_b32 s7, s7, exec_lo
	s_delay_alu instid0(VALU_DEP_1) | instskip(NEXT) | instid1(VALU_DEP_1)
	v_and_b32_e32 v1, 0xff, v1
	v_cmp_ne_u32_e32 vcc_lo, 0, v1
	s_and_b32 s14, vcc_lo, exec_lo
	s_delay_alu instid0(SALU_CYCLE_1)
	s_or_b32 s7, s7, s14
	s_or_b32 exec_lo, exec_lo, s10
	v_mov_b32_e32 v5, 0
	s_and_saveexec_b32 s10, s7
	s_cbranch_execnz .LBB127_3989
	s_branch .LBB127_3990
.LBB127_4214:
	s_or_b32 s13, s13, exec_lo
	s_trap 2
	s_cbranch_execz .LBB127_4036
	s_branch .LBB127_4037
.LBB127_4215:
	s_and_not1_saveexec_b32 s7, s7
	s_cbranch_execz .LBB127_4001
.LBB127_4216:
	v_add_f32_e64 v1, 0x42800000, |v4|
	s_and_not1_b32 s6, s6, exec_lo
	s_delay_alu instid0(VALU_DEP_1) | instskip(NEXT) | instid1(VALU_DEP_1)
	v_and_b32_e32 v1, 0xff, v1
	v_cmp_ne_u32_e32 vcc_lo, 0, v1
	s_and_b32 s10, vcc_lo, exec_lo
	s_delay_alu instid0(SALU_CYCLE_1)
	s_or_b32 s6, s6, s10
	s_or_b32 exec_lo, exec_lo, s7
	v_mov_b32_e32 v5, 0
	s_and_saveexec_b32 s7, s6
	s_cbranch_execnz .LBB127_4002
	s_branch .LBB127_4003
.LBB127_4217:
	s_and_not1_saveexec_b32 s6, s6
	s_cbranch_execz .LBB127_4108
.LBB127_4218:
	v_add_f32_e64 v0, 0x46000000, |v4|
	s_and_not1_b32 s5, s5, exec_lo
	s_delay_alu instid0(VALU_DEP_1) | instskip(NEXT) | instid1(VALU_DEP_1)
	v_and_b32_e32 v0, 0xff, v0
	v_cmp_ne_u32_e32 vcc_lo, 0, v0
	s_and_b32 s7, vcc_lo, exec_lo
	s_delay_alu instid0(SALU_CYCLE_1)
	s_or_b32 s5, s5, s7
	s_or_b32 exec_lo, exec_lo, s6
	v_mov_b32_e32 v1, 0
	s_and_saveexec_b32 s6, s5
	s_cbranch_execnz .LBB127_4109
	s_branch .LBB127_4110
.LBB127_4219:
	s_mov_b32 s3, 0
	s_or_b32 s13, s13, exec_lo
	s_trap 2
	s_branch .LBB127_4154
.LBB127_4220:
	s_and_not1_saveexec_b32 s5, s5
	s_cbranch_execz .LBB127_4120
.LBB127_4221:
	v_add_f32_e64 v0, 0x42800000, |v4|
	s_and_not1_b32 s4, s4, exec_lo
	s_delay_alu instid0(VALU_DEP_1) | instskip(NEXT) | instid1(VALU_DEP_1)
	v_and_b32_e32 v0, 0xff, v0
	v_cmp_ne_u32_e32 vcc_lo, 0, v0
	s_and_b32 s6, vcc_lo, exec_lo
	s_delay_alu instid0(SALU_CYCLE_1)
	s_or_b32 s4, s4, s6
	s_or_b32 exec_lo, exec_lo, s5
	v_mov_b32_e32 v1, 0
	s_and_saveexec_b32 s5, s4
	s_cbranch_execnz .LBB127_4121
	s_branch .LBB127_4122
	.section	.rodata,"a",@progbits
	.p2align	6, 0x0
	.amdhsa_kernel _ZN2at6native32elementwise_kernel_manual_unrollILi128ELi4EZNS0_15gpu_kernel_implIZZZNS0_12_GLOBAL__N_116addr_kernel_cudaERNS_14TensorIteratorERKN3c106ScalarES9_ENKUlvE_clEvENKUlvE5_clEvEUlfffE0_EEvRNS_18TensorIteratorBaseERKT_EUlibE0_EEviT1_
		.amdhsa_group_segment_fixed_size 0
		.amdhsa_private_segment_fixed_size 0
		.amdhsa_kernarg_size 512
		.amdhsa_user_sgpr_count 2
		.amdhsa_user_sgpr_dispatch_ptr 0
		.amdhsa_user_sgpr_queue_ptr 0
		.amdhsa_user_sgpr_kernarg_segment_ptr 1
		.amdhsa_user_sgpr_dispatch_id 0
		.amdhsa_user_sgpr_kernarg_preload_length 0
		.amdhsa_user_sgpr_kernarg_preload_offset 0
		.amdhsa_user_sgpr_private_segment_size 0
		.amdhsa_wavefront_size32 1
		.amdhsa_uses_dynamic_stack 0
		.amdhsa_enable_private_segment 0
		.amdhsa_system_sgpr_workgroup_id_x 1
		.amdhsa_system_sgpr_workgroup_id_y 0
		.amdhsa_system_sgpr_workgroup_id_z 0
		.amdhsa_system_sgpr_workgroup_info 0
		.amdhsa_system_vgpr_workitem_id 0
		.amdhsa_next_free_vgpr 34
		.amdhsa_next_free_sgpr 76
		.amdhsa_named_barrier_count 0
		.amdhsa_reserve_vcc 1
		.amdhsa_float_round_mode_32 0
		.amdhsa_float_round_mode_16_64 0
		.amdhsa_float_denorm_mode_32 3
		.amdhsa_float_denorm_mode_16_64 3
		.amdhsa_fp16_overflow 0
		.amdhsa_memory_ordered 1
		.amdhsa_forward_progress 1
		.amdhsa_inst_pref_size 255
		.amdhsa_round_robin_scheduling 0
		.amdhsa_exception_fp_ieee_invalid_op 0
		.amdhsa_exception_fp_denorm_src 0
		.amdhsa_exception_fp_ieee_div_zero 0
		.amdhsa_exception_fp_ieee_overflow 0
		.amdhsa_exception_fp_ieee_underflow 0
		.amdhsa_exception_fp_ieee_inexact 0
		.amdhsa_exception_int_div_zero 0
	.end_amdhsa_kernel
	.section	.text._ZN2at6native32elementwise_kernel_manual_unrollILi128ELi4EZNS0_15gpu_kernel_implIZZZNS0_12_GLOBAL__N_116addr_kernel_cudaERNS_14TensorIteratorERKN3c106ScalarES9_ENKUlvE_clEvENKUlvE5_clEvEUlfffE0_EEvRNS_18TensorIteratorBaseERKT_EUlibE0_EEviT1_,"axG",@progbits,_ZN2at6native32elementwise_kernel_manual_unrollILi128ELi4EZNS0_15gpu_kernel_implIZZZNS0_12_GLOBAL__N_116addr_kernel_cudaERNS_14TensorIteratorERKN3c106ScalarES9_ENKUlvE_clEvENKUlvE5_clEvEUlfffE0_EEvRNS_18TensorIteratorBaseERKT_EUlibE0_EEviT1_,comdat
.Lfunc_end127:
	.size	_ZN2at6native32elementwise_kernel_manual_unrollILi128ELi4EZNS0_15gpu_kernel_implIZZZNS0_12_GLOBAL__N_116addr_kernel_cudaERNS_14TensorIteratorERKN3c106ScalarES9_ENKUlvE_clEvENKUlvE5_clEvEUlfffE0_EEvRNS_18TensorIteratorBaseERKT_EUlibE0_EEviT1_, .Lfunc_end127-_ZN2at6native32elementwise_kernel_manual_unrollILi128ELi4EZNS0_15gpu_kernel_implIZZZNS0_12_GLOBAL__N_116addr_kernel_cudaERNS_14TensorIteratorERKN3c106ScalarES9_ENKUlvE_clEvENKUlvE5_clEvEUlfffE0_EEvRNS_18TensorIteratorBaseERKT_EUlibE0_EEviT1_
                                        ; -- End function
	.set _ZN2at6native32elementwise_kernel_manual_unrollILi128ELi4EZNS0_15gpu_kernel_implIZZZNS0_12_GLOBAL__N_116addr_kernel_cudaERNS_14TensorIteratorERKN3c106ScalarES9_ENKUlvE_clEvENKUlvE5_clEvEUlfffE0_EEvRNS_18TensorIteratorBaseERKT_EUlibE0_EEviT1_.num_vgpr, 34
	.set _ZN2at6native32elementwise_kernel_manual_unrollILi128ELi4EZNS0_15gpu_kernel_implIZZZNS0_12_GLOBAL__N_116addr_kernel_cudaERNS_14TensorIteratorERKN3c106ScalarES9_ENKUlvE_clEvENKUlvE5_clEvEUlfffE0_EEvRNS_18TensorIteratorBaseERKT_EUlibE0_EEviT1_.num_agpr, 0
	.set _ZN2at6native32elementwise_kernel_manual_unrollILi128ELi4EZNS0_15gpu_kernel_implIZZZNS0_12_GLOBAL__N_116addr_kernel_cudaERNS_14TensorIteratorERKN3c106ScalarES9_ENKUlvE_clEvENKUlvE5_clEvEUlfffE0_EEvRNS_18TensorIteratorBaseERKT_EUlibE0_EEviT1_.numbered_sgpr, 76
	.set _ZN2at6native32elementwise_kernel_manual_unrollILi128ELi4EZNS0_15gpu_kernel_implIZZZNS0_12_GLOBAL__N_116addr_kernel_cudaERNS_14TensorIteratorERKN3c106ScalarES9_ENKUlvE_clEvENKUlvE5_clEvEUlfffE0_EEvRNS_18TensorIteratorBaseERKT_EUlibE0_EEviT1_.num_named_barrier, 0
	.set _ZN2at6native32elementwise_kernel_manual_unrollILi128ELi4EZNS0_15gpu_kernel_implIZZZNS0_12_GLOBAL__N_116addr_kernel_cudaERNS_14TensorIteratorERKN3c106ScalarES9_ENKUlvE_clEvENKUlvE5_clEvEUlfffE0_EEvRNS_18TensorIteratorBaseERKT_EUlibE0_EEviT1_.private_seg_size, 0
	.set _ZN2at6native32elementwise_kernel_manual_unrollILi128ELi4EZNS0_15gpu_kernel_implIZZZNS0_12_GLOBAL__N_116addr_kernel_cudaERNS_14TensorIteratorERKN3c106ScalarES9_ENKUlvE_clEvENKUlvE5_clEvEUlfffE0_EEvRNS_18TensorIteratorBaseERKT_EUlibE0_EEviT1_.uses_vcc, 1
	.set _ZN2at6native32elementwise_kernel_manual_unrollILi128ELi4EZNS0_15gpu_kernel_implIZZZNS0_12_GLOBAL__N_116addr_kernel_cudaERNS_14TensorIteratorERKN3c106ScalarES9_ENKUlvE_clEvENKUlvE5_clEvEUlfffE0_EEvRNS_18TensorIteratorBaseERKT_EUlibE0_EEviT1_.uses_flat_scratch, 0
	.set _ZN2at6native32elementwise_kernel_manual_unrollILi128ELi4EZNS0_15gpu_kernel_implIZZZNS0_12_GLOBAL__N_116addr_kernel_cudaERNS_14TensorIteratorERKN3c106ScalarES9_ENKUlvE_clEvENKUlvE5_clEvEUlfffE0_EEvRNS_18TensorIteratorBaseERKT_EUlibE0_EEviT1_.has_dyn_sized_stack, 0
	.set _ZN2at6native32elementwise_kernel_manual_unrollILi128ELi4EZNS0_15gpu_kernel_implIZZZNS0_12_GLOBAL__N_116addr_kernel_cudaERNS_14TensorIteratorERKN3c106ScalarES9_ENKUlvE_clEvENKUlvE5_clEvEUlfffE0_EEvRNS_18TensorIteratorBaseERKT_EUlibE0_EEviT1_.has_recursion, 0
	.set _ZN2at6native32elementwise_kernel_manual_unrollILi128ELi4EZNS0_15gpu_kernel_implIZZZNS0_12_GLOBAL__N_116addr_kernel_cudaERNS_14TensorIteratorERKN3c106ScalarES9_ENKUlvE_clEvENKUlvE5_clEvEUlfffE0_EEvRNS_18TensorIteratorBaseERKT_EUlibE0_EEviT1_.has_indirect_call, 0
	.section	.AMDGPU.csdata,"",@progbits
; Kernel info:
; codeLenInByte = 79396
; TotalNumSgprs: 78
; NumVgprs: 34
; ScratchSize: 0
; MemoryBound: 1
; FloatMode: 240
; IeeeMode: 1
; LDSByteSize: 0 bytes/workgroup (compile time only)
; SGPRBlocks: 0
; VGPRBlocks: 2
; NumSGPRsForWavesPerEU: 78
; NumVGPRsForWavesPerEU: 34
; NamedBarCnt: 0
; Occupancy: 16
; WaveLimiterHint : 1
; COMPUTE_PGM_RSRC2:SCRATCH_EN: 0
; COMPUTE_PGM_RSRC2:USER_SGPR: 2
; COMPUTE_PGM_RSRC2:TRAP_HANDLER: 0
; COMPUTE_PGM_RSRC2:TGID_X_EN: 1
; COMPUTE_PGM_RSRC2:TGID_Y_EN: 0
; COMPUTE_PGM_RSRC2:TGID_Z_EN: 0
; COMPUTE_PGM_RSRC2:TIDIG_COMP_CNT: 0
	.section	.text._ZN2at6native29vectorized_elementwise_kernelILi16EZZZNS0_12_GLOBAL__N_116addr_kernel_cudaERNS_14TensorIteratorERKN3c106ScalarES8_ENKUlvE_clEvENKUlvE6_clEvEUlNS5_7complexIdEESC_SC_E_St5arrayIPcLm4EEEEviT0_T1_,"axG",@progbits,_ZN2at6native29vectorized_elementwise_kernelILi16EZZZNS0_12_GLOBAL__N_116addr_kernel_cudaERNS_14TensorIteratorERKN3c106ScalarES8_ENKUlvE_clEvENKUlvE6_clEvEUlNS5_7complexIdEESC_SC_E_St5arrayIPcLm4EEEEviT0_T1_,comdat
	.globl	_ZN2at6native29vectorized_elementwise_kernelILi16EZZZNS0_12_GLOBAL__N_116addr_kernel_cudaERNS_14TensorIteratorERKN3c106ScalarES8_ENKUlvE_clEvENKUlvE6_clEvEUlNS5_7complexIdEESC_SC_E_St5arrayIPcLm4EEEEviT0_T1_ ; -- Begin function _ZN2at6native29vectorized_elementwise_kernelILi16EZZZNS0_12_GLOBAL__N_116addr_kernel_cudaERNS_14TensorIteratorERKN3c106ScalarES8_ENKUlvE_clEvENKUlvE6_clEvEUlNS5_7complexIdEESC_SC_E_St5arrayIPcLm4EEEEviT0_T1_
	.p2align	8
	.type	_ZN2at6native29vectorized_elementwise_kernelILi16EZZZNS0_12_GLOBAL__N_116addr_kernel_cudaERNS_14TensorIteratorERKN3c106ScalarES8_ENKUlvE_clEvENKUlvE6_clEvEUlNS5_7complexIdEESC_SC_E_St5arrayIPcLm4EEEEviT0_T1_,@function
_ZN2at6native29vectorized_elementwise_kernelILi16EZZZNS0_12_GLOBAL__N_116addr_kernel_cudaERNS_14TensorIteratorERKN3c106ScalarES8_ENKUlvE_clEvENKUlvE6_clEvEUlNS5_7complexIdEESC_SC_E_St5arrayIPcLm4EEEEviT0_T1_: ; @_ZN2at6native29vectorized_elementwise_kernelILi16EZZZNS0_12_GLOBAL__N_116addr_kernel_cudaERNS_14TensorIteratorERKN3c106ScalarES8_ENKUlvE_clEvENKUlvE6_clEvEUlNS5_7complexIdEESC_SC_E_St5arrayIPcLm4EEEEviT0_T1_
; %bb.0:
	s_clause 0x3
	s_load_b32 s13, s[0:1], 0x0
	s_load_b128 s[4:7], s[0:1], 0x10
	s_load_b64 s[2:3], s[0:1], 0x20
	s_load_b128 s[8:11], s[0:1], 0x30
	s_wait_xcnt 0x0
	s_bfe_u32 s0, ttmp6, 0x4000c
	s_and_b32 s1, ttmp6, 15
	s_add_co_i32 s0, s0, 1
	s_getreg_b32 s12, hwreg(HW_REG_IB_STS2, 6, 4)
	s_mul_i32 s0, ttmp9, s0
	s_delay_alu instid0(SALU_CYCLE_1) | instskip(SKIP_2) | instid1(SALU_CYCLE_1)
	s_add_co_i32 s1, s1, s0
	s_cmp_eq_u32 s12, 0
	s_cselect_b32 s0, ttmp9, s1
	s_lshl_b32 s12, s0, 10
	s_mov_b32 s0, -1
	s_wait_kmcnt 0x0
	s_sub_co_i32 s14, s13, s12
	s_delay_alu instid0(SALU_CYCLE_1)
	s_cmp_gt_i32 s14, 0x3ff
	s_cbranch_scc0 .LBB128_2
; %bb.1:
	s_ashr_i32 s13, s12, 31
	v_lshlrev_b32_e32 v1, 6, v0
	s_lshl_b64 s[0:1], s[12:13], 4
	s_delay_alu instid0(SALU_CYCLE_1)
	s_add_nc_u64 s[16:17], s[8:9], s[0:1]
	s_clause 0x3
	global_load_b128 v[2:5], v1, s[16:17]
	global_load_b128 v[6:9], v1, s[16:17] offset:16
	global_load_b128 v[10:13], v1, s[16:17] offset:32
	;; [unrolled: 1-line block ×3, first 2 shown]
	s_wait_xcnt 0x0
	s_add_nc_u64 s[16:17], s[10:11], s[0:1]
	s_wait_loadcnt 0x3
	v_mul_f64_e32 v[34:35], s[4:5], v[4:5]
	v_mul_f64_e32 v[4:5], s[6:7], v[4:5]
	s_wait_loadcnt 0x2
	v_mul_f64_e32 v[36:37], s[4:5], v[8:9]
	v_mul_f64_e32 v[8:9], s[6:7], v[8:9]
	;; [unrolled: 3-line block ×4, first 2 shown]
	v_fmac_f64_e32 v[34:35], s[6:7], v[2:3]
	v_fma_f64 v[2:3], s[4:5], v[2:3], -v[4:5]
	s_clause 0x3
	global_load_b128 v[18:21], v1, s[16:17]
	global_load_b128 v[22:25], v1, s[16:17] offset:16
	global_load_b128 v[26:29], v1, s[16:17] offset:32
	;; [unrolled: 1-line block ×3, first 2 shown]
	v_fmac_f64_e32 v[36:37], s[6:7], v[6:7]
	v_fma_f64 v[6:7], s[4:5], v[6:7], -v[8:9]
	v_fmac_f64_e32 v[38:39], s[6:7], v[10:11]
	v_fma_f64 v[10:11], s[4:5], v[10:11], -v[12:13]
	;; [unrolled: 2-line block ×3, first 2 shown]
	s_wait_xcnt 0x0
	s_add_nc_u64 s[16:17], s[2:3], s[0:1]
	s_mov_b32 s0, 0
	s_wait_loadcnt 0x3
	v_mul_f64_e32 v[42:43], v[34:35], v[20:21]
	v_mul_f64_e32 v[4:5], v[2:3], v[20:21]
	s_wait_loadcnt 0x2
	v_mul_f64_e32 v[20:21], v[36:37], v[24:25]
	v_mul_f64_e32 v[8:9], v[6:7], v[24:25]
	;; [unrolled: 3-line block ×4, first 2 shown]
	v_fma_f64 v[2:3], v[2:3], v[18:19], -v[42:43]
	v_fmac_f64_e32 v[4:5], v[34:35], v[18:19]
	v_fma_f64 v[6:7], v[6:7], v[22:23], -v[20:21]
	v_fmac_f64_e32 v[8:9], v[36:37], v[22:23]
	;; [unrolled: 2-line block ×4, first 2 shown]
	s_clause 0x3
	global_store_b128 v1, v[2:5], s[16:17]
	global_store_b128 v1, v[6:9], s[16:17] offset:16
	global_store_b128 v1, v[10:13], s[16:17] offset:32
	;; [unrolled: 1-line block ×3, first 2 shown]
.LBB128_2:
	s_and_not1_b32 vcc_lo, exec_lo, s0
	s_cbranch_vccnz .LBB128_23
; %bb.3:
	s_wait_xcnt 0x3
	v_mov_b64_e32 v[2:3], 0
	s_wait_xcnt 0x1
	v_mov_b64_e32 v[10:11], 0
	v_mov_b64_e32 v[12:13], 0
	s_wait_xcnt 0x0
	v_mov_b64_e32 v[14:15], 0
	v_mov_b64_e32 v[16:17], 0
	v_cmp_gt_i32_e32 vcc_lo, s14, v0
	v_dual_mov_b32 v30, v0 :: v_dual_bitop2_b32 v1, s12, v0 bitop3:0x54
	v_or_b32_e32 v42, 0x100, v0
	s_and_saveexec_b32 s0, vcc_lo
	s_cbranch_execz .LBB128_5
; %bb.4:
	s_clause 0x1
	global_load_b128 v[14:17], v1, s[8:9] scale_offset
	global_load_b128 v[10:13], v1, s[10:11] scale_offset
	v_or_b32_e32 v30, 0x100, v0
.LBB128_5:
	s_wait_xcnt 0x0
	s_or_b32 exec_lo, exec_lo, s0
	v_mov_b64_e32 v[4:5], 0
	v_mov_b64_e32 v[18:19], 0
	;; [unrolled: 1-line block ×3, first 2 shown]
	s_mov_b32 s1, exec_lo
	v_cmpx_gt_i32_e64 s14, v30
	s_cbranch_execz .LBB128_7
; %bb.6:
	v_add_nc_u32_e32 v6, s12, v30
	v_add_nc_u32_e32 v30, 0x100, v30
	s_clause 0x1
	global_load_b128 v[18:21], v6, s[8:9] scale_offset
	global_load_b128 v[2:5], v6, s[10:11] scale_offset
.LBB128_7:
	s_wait_xcnt 0x0
	s_or_b32 exec_lo, exec_lo, s1
	v_mov_b64_e32 v[6:7], 0
	v_mov_b64_e32 v[22:23], 0
	;; [unrolled: 1-line block ×5, first 2 shown]
	s_mov_b32 s1, exec_lo
	v_cmpx_gt_i32_e64 s14, v30
	s_cbranch_execz .LBB128_9
; %bb.8:
	v_add_nc_u32_e32 v8, s12, v30
	v_add_nc_u32_e32 v30, 0x100, v30
	s_clause 0x1
	global_load_b128 v[26:29], v8, s[8:9] scale_offset
	global_load_b128 v[22:25], v8, s[10:11] scale_offset
.LBB128_9:
	s_wait_xcnt 0x0
	s_or_b32 exec_lo, exec_lo, s1
	v_mov_b64_e32 v[8:9], 0
	v_mov_b64_e32 v[34:35], 0
	;; [unrolled: 1-line block ×3, first 2 shown]
	s_mov_b32 s1, exec_lo
	v_cmpx_gt_i32_e64 s14, v30
	s_cbranch_execz .LBB128_11
; %bb.10:
	v_add_nc_u32_e32 v30, s12, v30
	s_clause 0x1
	global_load_b128 v[34:37], v30, s[8:9] scale_offset
	global_load_b128 v[6:9], v30, s[10:11] scale_offset
.LBB128_11:
	s_wait_xcnt 0x0
	s_or_b32 exec_lo, exec_lo, s1
	v_mov_b64_e32 v[32:33], 0
	v_mov_b64_e32 v[40:41], 0
	;; [unrolled: 1-line block ×3, first 2 shown]
	s_and_saveexec_b32 s0, vcc_lo
	s_cbranch_execz .LBB128_13
; %bb.12:
	s_wait_loadcnt 0x1
	v_mul_f64_e32 v[30:31], s[4:5], v[16:17]
	v_mul_f64_e32 v[16:17], s[6:7], v[16:17]
	s_delay_alu instid0(VALU_DEP_2) | instskip(NEXT) | instid1(VALU_DEP_2)
	v_fmac_f64_e32 v[30:31], s[6:7], v[14:15]
	v_fma_f64 v[14:15], s[4:5], v[14:15], -v[16:17]
	s_wait_loadcnt 0x0
	s_delay_alu instid0(VALU_DEP_2) | instskip(SKIP_1) | instid1(VALU_DEP_2)
	v_mul_f64_e32 v[16:17], v[12:13], v[30:31]
	v_mul_f64_e32 v[40:41], v[10:11], v[30:31]
	v_fma_f64 v[38:39], v[10:11], v[14:15], -v[16:17]
	s_delay_alu instid0(VALU_DEP_2)
	v_fmac_f64_e32 v[40:41], v[12:13], v[14:15]
.LBB128_13:
	s_or_b32 exec_lo, exec_lo, s0
	v_mov_b64_e32 v[30:31], 0
	s_mov_b32 s1, exec_lo
	v_cmpx_gt_i32_e64 s14, v42
	s_cbranch_execz .LBB128_15
; %bb.14:
	s_wait_loadcnt 0x0
	v_mul_f64_e32 v[10:11], s[4:5], v[20:21]
	v_mul_f64_e32 v[12:13], s[6:7], v[20:21]
	s_delay_alu instid0(VALU_DEP_2) | instskip(NEXT) | instid1(VALU_DEP_2)
	v_fmac_f64_e32 v[10:11], s[6:7], v[18:19]
	v_fma_f64 v[12:13], s[4:5], v[18:19], -v[12:13]
	s_delay_alu instid0(VALU_DEP_2) | instskip(SKIP_1) | instid1(VALU_DEP_2)
	v_mul_f64_e32 v[14:15], v[4:5], v[10:11]
	v_mul_f64_e32 v[32:33], v[2:3], v[10:11]
	v_fma_f64 v[30:31], v[2:3], v[12:13], -v[14:15]
	s_delay_alu instid0(VALU_DEP_2)
	v_fmac_f64_e32 v[32:33], v[4:5], v[12:13]
.LBB128_15:
	s_or_b32 exec_lo, exec_lo, s1
	s_wait_loadcnt 0x0
	v_mov_b64_e32 v[4:5], 0
	v_mov_b64_e32 v[12:13], 0
	;; [unrolled: 1-line block ×3, first 2 shown]
	v_or_b32_e32 v2, 0x200, v0
	s_mov_b32 s1, exec_lo
	s_delay_alu instid0(VALU_DEP_1)
	v_cmpx_gt_i32_e64 s14, v2
	s_cbranch_execz .LBB128_17
; %bb.16:
	v_mul_f64_e32 v[2:3], s[4:5], v[28:29]
	v_mul_f64_e32 v[10:11], s[6:7], v[28:29]
	s_delay_alu instid0(VALU_DEP_2) | instskip(NEXT) | instid1(VALU_DEP_2)
	v_fmac_f64_e32 v[2:3], s[6:7], v[26:27]
	v_fma_f64 v[14:15], s[4:5], v[26:27], -v[10:11]
	s_delay_alu instid0(VALU_DEP_2) | instskip(SKIP_1) | instid1(VALU_DEP_2)
	v_mul_f64_e32 v[10:11], v[24:25], v[2:3]
	v_mul_f64_e32 v[12:13], v[22:23], v[2:3]
	v_fma_f64 v[10:11], v[22:23], v[14:15], -v[10:11]
	s_delay_alu instid0(VALU_DEP_2)
	v_fmac_f64_e32 v[12:13], v[24:25], v[14:15]
.LBB128_17:
	s_or_b32 exec_lo, exec_lo, s1
	v_mov_b64_e32 v[2:3], 0
	v_or_b32_e32 v14, 0x300, v0
	s_mov_b32 s1, exec_lo
	s_delay_alu instid0(VALU_DEP_1)
	v_cmpx_gt_i32_e64 s14, v14
	s_cbranch_execnz .LBB128_24
; %bb.18:
	s_or_b32 exec_lo, exec_lo, s1
	s_and_saveexec_b32 s0, vcc_lo
	s_delay_alu instid0(SALU_CYCLE_1)
	s_xor_b32 s0, exec_lo, s0
	s_cbranch_execnz .LBB128_25
.LBB128_19:
	s_or_b32 exec_lo, exec_lo, s0
	s_delay_alu instid0(SALU_CYCLE_1)
	s_mov_b32 s0, exec_lo
	v_cmpx_gt_i32_e64 s14, v0
	s_cbranch_execnz .LBB128_26
.LBB128_20:
	s_or_b32 exec_lo, exec_lo, s0
	s_delay_alu instid0(SALU_CYCLE_1)
	s_mov_b32 s0, exec_lo
	v_cmpx_gt_i32_e64 s14, v0
	s_cbranch_execnz .LBB128_27
.LBB128_21:
	s_or_b32 exec_lo, exec_lo, s0
	s_delay_alu instid0(SALU_CYCLE_1)
	s_mov_b32 s0, exec_lo
	v_cmpx_gt_i32_e64 s14, v0
	s_cbranch_execz .LBB128_23
.LBB128_22:
	v_add_nc_u32_e32 v0, s12, v0
	global_store_b128 v0, v[2:5], s[2:3] scale_offset
.LBB128_23:
	s_endpgm
.LBB128_24:
	v_mul_f64_e32 v[2:3], s[4:5], v[36:37]
	v_mul_f64_e32 v[4:5], s[6:7], v[36:37]
	s_delay_alu instid0(VALU_DEP_2) | instskip(NEXT) | instid1(VALU_DEP_2)
	v_fmac_f64_e32 v[2:3], s[6:7], v[34:35]
	v_fma_f64 v[14:15], s[4:5], v[34:35], -v[4:5]
	s_delay_alu instid0(VALU_DEP_2) | instskip(SKIP_1) | instid1(VALU_DEP_2)
	v_mul_f64_e32 v[16:17], v[8:9], v[2:3]
	v_mul_f64_e32 v[4:5], v[6:7], v[2:3]
	v_fma_f64 v[2:3], v[6:7], v[14:15], -v[16:17]
	s_delay_alu instid0(VALU_DEP_2) | instskip(SKIP_2) | instid1(SALU_CYCLE_1)
	v_fmac_f64_e32 v[4:5], v[8:9], v[14:15]
	s_or_b32 exec_lo, exec_lo, s1
	s_and_saveexec_b32 s0, vcc_lo
	s_xor_b32 s0, exec_lo, s0
	s_cbranch_execz .LBB128_19
.LBB128_25:
	v_mov_b32_e32 v0, v42
	global_store_b128 v1, v[38:41], s[2:3] scale_offset
	s_wait_xcnt 0x0
	s_or_b32 exec_lo, exec_lo, s0
	s_delay_alu instid0(SALU_CYCLE_1)
	s_mov_b32 s0, exec_lo
	v_cmpx_gt_i32_e64 s14, v0
	s_cbranch_execz .LBB128_20
.LBB128_26:
	v_add_nc_u32_e32 v1, s12, v0
	v_add_nc_u32_e32 v0, 0x100, v0
	global_store_b128 v1, v[30:33], s[2:3] scale_offset
	s_wait_xcnt 0x0
	s_or_b32 exec_lo, exec_lo, s0
	s_delay_alu instid0(SALU_CYCLE_1)
	s_mov_b32 s0, exec_lo
	v_cmpx_gt_i32_e64 s14, v0
	s_cbranch_execz .LBB128_21
.LBB128_27:
	v_add_nc_u32_e32 v1, s12, v0
	v_add_nc_u32_e32 v0, 0x100, v0
	global_store_b128 v1, v[10:13], s[2:3] scale_offset
	s_wait_xcnt 0x0
	s_or_b32 exec_lo, exec_lo, s0
	s_delay_alu instid0(SALU_CYCLE_1)
	s_mov_b32 s0, exec_lo
	v_cmpx_gt_i32_e64 s14, v0
	s_cbranch_execnz .LBB128_22
	s_branch .LBB128_23
	.section	.rodata,"a",@progbits
	.p2align	6, 0x0
	.amdhsa_kernel _ZN2at6native29vectorized_elementwise_kernelILi16EZZZNS0_12_GLOBAL__N_116addr_kernel_cudaERNS_14TensorIteratorERKN3c106ScalarES8_ENKUlvE_clEvENKUlvE6_clEvEUlNS5_7complexIdEESC_SC_E_St5arrayIPcLm4EEEEviT0_T1_
		.amdhsa_group_segment_fixed_size 0
		.amdhsa_private_segment_fixed_size 0
		.amdhsa_kernarg_size 64
		.amdhsa_user_sgpr_count 2
		.amdhsa_user_sgpr_dispatch_ptr 0
		.amdhsa_user_sgpr_queue_ptr 0
		.amdhsa_user_sgpr_kernarg_segment_ptr 1
		.amdhsa_user_sgpr_dispatch_id 0
		.amdhsa_user_sgpr_kernarg_preload_length 0
		.amdhsa_user_sgpr_kernarg_preload_offset 0
		.amdhsa_user_sgpr_private_segment_size 0
		.amdhsa_wavefront_size32 1
		.amdhsa_uses_dynamic_stack 0
		.amdhsa_enable_private_segment 0
		.amdhsa_system_sgpr_workgroup_id_x 1
		.amdhsa_system_sgpr_workgroup_id_y 0
		.amdhsa_system_sgpr_workgroup_id_z 0
		.amdhsa_system_sgpr_workgroup_info 0
		.amdhsa_system_vgpr_workitem_id 0
		.amdhsa_next_free_vgpr 44
		.amdhsa_next_free_sgpr 18
		.amdhsa_named_barrier_count 0
		.amdhsa_reserve_vcc 1
		.amdhsa_float_round_mode_32 0
		.amdhsa_float_round_mode_16_64 0
		.amdhsa_float_denorm_mode_32 3
		.amdhsa_float_denorm_mode_16_64 3
		.amdhsa_fp16_overflow 0
		.amdhsa_memory_ordered 1
		.amdhsa_forward_progress 1
		.amdhsa_inst_pref_size 12
		.amdhsa_round_robin_scheduling 0
		.amdhsa_exception_fp_ieee_invalid_op 0
		.amdhsa_exception_fp_denorm_src 0
		.amdhsa_exception_fp_ieee_div_zero 0
		.amdhsa_exception_fp_ieee_overflow 0
		.amdhsa_exception_fp_ieee_underflow 0
		.amdhsa_exception_fp_ieee_inexact 0
		.amdhsa_exception_int_div_zero 0
	.end_amdhsa_kernel
	.section	.text._ZN2at6native29vectorized_elementwise_kernelILi16EZZZNS0_12_GLOBAL__N_116addr_kernel_cudaERNS_14TensorIteratorERKN3c106ScalarES8_ENKUlvE_clEvENKUlvE6_clEvEUlNS5_7complexIdEESC_SC_E_St5arrayIPcLm4EEEEviT0_T1_,"axG",@progbits,_ZN2at6native29vectorized_elementwise_kernelILi16EZZZNS0_12_GLOBAL__N_116addr_kernel_cudaERNS_14TensorIteratorERKN3c106ScalarES8_ENKUlvE_clEvENKUlvE6_clEvEUlNS5_7complexIdEESC_SC_E_St5arrayIPcLm4EEEEviT0_T1_,comdat
.Lfunc_end128:
	.size	_ZN2at6native29vectorized_elementwise_kernelILi16EZZZNS0_12_GLOBAL__N_116addr_kernel_cudaERNS_14TensorIteratorERKN3c106ScalarES8_ENKUlvE_clEvENKUlvE6_clEvEUlNS5_7complexIdEESC_SC_E_St5arrayIPcLm4EEEEviT0_T1_, .Lfunc_end128-_ZN2at6native29vectorized_elementwise_kernelILi16EZZZNS0_12_GLOBAL__N_116addr_kernel_cudaERNS_14TensorIteratorERKN3c106ScalarES8_ENKUlvE_clEvENKUlvE6_clEvEUlNS5_7complexIdEESC_SC_E_St5arrayIPcLm4EEEEviT0_T1_
                                        ; -- End function
	.set _ZN2at6native29vectorized_elementwise_kernelILi16EZZZNS0_12_GLOBAL__N_116addr_kernel_cudaERNS_14TensorIteratorERKN3c106ScalarES8_ENKUlvE_clEvENKUlvE6_clEvEUlNS5_7complexIdEESC_SC_E_St5arrayIPcLm4EEEEviT0_T1_.num_vgpr, 44
	.set _ZN2at6native29vectorized_elementwise_kernelILi16EZZZNS0_12_GLOBAL__N_116addr_kernel_cudaERNS_14TensorIteratorERKN3c106ScalarES8_ENKUlvE_clEvENKUlvE6_clEvEUlNS5_7complexIdEESC_SC_E_St5arrayIPcLm4EEEEviT0_T1_.num_agpr, 0
	.set _ZN2at6native29vectorized_elementwise_kernelILi16EZZZNS0_12_GLOBAL__N_116addr_kernel_cudaERNS_14TensorIteratorERKN3c106ScalarES8_ENKUlvE_clEvENKUlvE6_clEvEUlNS5_7complexIdEESC_SC_E_St5arrayIPcLm4EEEEviT0_T1_.numbered_sgpr, 18
	.set _ZN2at6native29vectorized_elementwise_kernelILi16EZZZNS0_12_GLOBAL__N_116addr_kernel_cudaERNS_14TensorIteratorERKN3c106ScalarES8_ENKUlvE_clEvENKUlvE6_clEvEUlNS5_7complexIdEESC_SC_E_St5arrayIPcLm4EEEEviT0_T1_.num_named_barrier, 0
	.set _ZN2at6native29vectorized_elementwise_kernelILi16EZZZNS0_12_GLOBAL__N_116addr_kernel_cudaERNS_14TensorIteratorERKN3c106ScalarES8_ENKUlvE_clEvENKUlvE6_clEvEUlNS5_7complexIdEESC_SC_E_St5arrayIPcLm4EEEEviT0_T1_.private_seg_size, 0
	.set _ZN2at6native29vectorized_elementwise_kernelILi16EZZZNS0_12_GLOBAL__N_116addr_kernel_cudaERNS_14TensorIteratorERKN3c106ScalarES8_ENKUlvE_clEvENKUlvE6_clEvEUlNS5_7complexIdEESC_SC_E_St5arrayIPcLm4EEEEviT0_T1_.uses_vcc, 1
	.set _ZN2at6native29vectorized_elementwise_kernelILi16EZZZNS0_12_GLOBAL__N_116addr_kernel_cudaERNS_14TensorIteratorERKN3c106ScalarES8_ENKUlvE_clEvENKUlvE6_clEvEUlNS5_7complexIdEESC_SC_E_St5arrayIPcLm4EEEEviT0_T1_.uses_flat_scratch, 0
	.set _ZN2at6native29vectorized_elementwise_kernelILi16EZZZNS0_12_GLOBAL__N_116addr_kernel_cudaERNS_14TensorIteratorERKN3c106ScalarES8_ENKUlvE_clEvENKUlvE6_clEvEUlNS5_7complexIdEESC_SC_E_St5arrayIPcLm4EEEEviT0_T1_.has_dyn_sized_stack, 0
	.set _ZN2at6native29vectorized_elementwise_kernelILi16EZZZNS0_12_GLOBAL__N_116addr_kernel_cudaERNS_14TensorIteratorERKN3c106ScalarES8_ENKUlvE_clEvENKUlvE6_clEvEUlNS5_7complexIdEESC_SC_E_St5arrayIPcLm4EEEEviT0_T1_.has_recursion, 0
	.set _ZN2at6native29vectorized_elementwise_kernelILi16EZZZNS0_12_GLOBAL__N_116addr_kernel_cudaERNS_14TensorIteratorERKN3c106ScalarES8_ENKUlvE_clEvENKUlvE6_clEvEUlNS5_7complexIdEESC_SC_E_St5arrayIPcLm4EEEEviT0_T1_.has_indirect_call, 0
	.section	.AMDGPU.csdata,"",@progbits
; Kernel info:
; codeLenInByte = 1472
; TotalNumSgprs: 20
; NumVgprs: 44
; ScratchSize: 0
; MemoryBound: 1
; FloatMode: 240
; IeeeMode: 1
; LDSByteSize: 0 bytes/workgroup (compile time only)
; SGPRBlocks: 0
; VGPRBlocks: 2
; NumSGPRsForWavesPerEU: 20
; NumVGPRsForWavesPerEU: 44
; NamedBarCnt: 0
; Occupancy: 16
; WaveLimiterHint : 0
; COMPUTE_PGM_RSRC2:SCRATCH_EN: 0
; COMPUTE_PGM_RSRC2:USER_SGPR: 2
; COMPUTE_PGM_RSRC2:TRAP_HANDLER: 0
; COMPUTE_PGM_RSRC2:TGID_X_EN: 1
; COMPUTE_PGM_RSRC2:TGID_Y_EN: 0
; COMPUTE_PGM_RSRC2:TGID_Z_EN: 0
; COMPUTE_PGM_RSRC2:TIDIG_COMP_CNT: 0
	.section	.text._ZN2at6native29vectorized_elementwise_kernelILi8EZZZNS0_12_GLOBAL__N_116addr_kernel_cudaERNS_14TensorIteratorERKN3c106ScalarES8_ENKUlvE_clEvENKUlvE6_clEvEUlNS5_7complexIdEESC_SC_E_St5arrayIPcLm4EEEEviT0_T1_,"axG",@progbits,_ZN2at6native29vectorized_elementwise_kernelILi8EZZZNS0_12_GLOBAL__N_116addr_kernel_cudaERNS_14TensorIteratorERKN3c106ScalarES8_ENKUlvE_clEvENKUlvE6_clEvEUlNS5_7complexIdEESC_SC_E_St5arrayIPcLm4EEEEviT0_T1_,comdat
	.globl	_ZN2at6native29vectorized_elementwise_kernelILi8EZZZNS0_12_GLOBAL__N_116addr_kernel_cudaERNS_14TensorIteratorERKN3c106ScalarES8_ENKUlvE_clEvENKUlvE6_clEvEUlNS5_7complexIdEESC_SC_E_St5arrayIPcLm4EEEEviT0_T1_ ; -- Begin function _ZN2at6native29vectorized_elementwise_kernelILi8EZZZNS0_12_GLOBAL__N_116addr_kernel_cudaERNS_14TensorIteratorERKN3c106ScalarES8_ENKUlvE_clEvENKUlvE6_clEvEUlNS5_7complexIdEESC_SC_E_St5arrayIPcLm4EEEEviT0_T1_
	.p2align	8
	.type	_ZN2at6native29vectorized_elementwise_kernelILi8EZZZNS0_12_GLOBAL__N_116addr_kernel_cudaERNS_14TensorIteratorERKN3c106ScalarES8_ENKUlvE_clEvENKUlvE6_clEvEUlNS5_7complexIdEESC_SC_E_St5arrayIPcLm4EEEEviT0_T1_,@function
_ZN2at6native29vectorized_elementwise_kernelILi8EZZZNS0_12_GLOBAL__N_116addr_kernel_cudaERNS_14TensorIteratorERKN3c106ScalarES8_ENKUlvE_clEvENKUlvE6_clEvEUlNS5_7complexIdEESC_SC_E_St5arrayIPcLm4EEEEviT0_T1_: ; @_ZN2at6native29vectorized_elementwise_kernelILi8EZZZNS0_12_GLOBAL__N_116addr_kernel_cudaERNS_14TensorIteratorERKN3c106ScalarES8_ENKUlvE_clEvENKUlvE6_clEvEUlNS5_7complexIdEESC_SC_E_St5arrayIPcLm4EEEEviT0_T1_
; %bb.0:
	s_clause 0x3
	s_load_b32 s13, s[0:1], 0x0
	s_load_b128 s[4:7], s[0:1], 0x10
	s_load_b64 s[2:3], s[0:1], 0x20
	s_load_b128 s[8:11], s[0:1], 0x30
	s_wait_xcnt 0x0
	s_bfe_u32 s0, ttmp6, 0x4000c
	s_and_b32 s1, ttmp6, 15
	s_add_co_i32 s0, s0, 1
	s_getreg_b32 s12, hwreg(HW_REG_IB_STS2, 6, 4)
	s_mul_i32 s0, ttmp9, s0
	s_delay_alu instid0(SALU_CYCLE_1) | instskip(SKIP_2) | instid1(SALU_CYCLE_1)
	s_add_co_i32 s1, s1, s0
	s_cmp_eq_u32 s12, 0
	s_cselect_b32 s0, ttmp9, s1
	s_lshl_b32 s12, s0, 10
	s_mov_b32 s0, -1
	s_wait_kmcnt 0x0
	s_sub_co_i32 s14, s13, s12
	s_delay_alu instid0(SALU_CYCLE_1)
	s_cmp_gt_i32 s14, 0x3ff
	s_cbranch_scc0 .LBB129_2
; %bb.1:
	s_ashr_i32 s13, s12, 31
	v_lshlrev_b32_e32 v1, 6, v0
	s_lshl_b64 s[0:1], s[12:13], 4
	s_delay_alu instid0(SALU_CYCLE_1)
	s_add_nc_u64 s[16:17], s[8:9], s[0:1]
	s_clause 0x3
	global_load_b128 v[2:5], v1, s[16:17]
	global_load_b128 v[6:9], v1, s[16:17] offset:16
	global_load_b128 v[10:13], v1, s[16:17] offset:32
	global_load_b128 v[14:17], v1, s[16:17] offset:48
	s_wait_xcnt 0x0
	s_add_nc_u64 s[16:17], s[10:11], s[0:1]
	s_wait_loadcnt 0x3
	v_mul_f64_e32 v[34:35], s[4:5], v[4:5]
	v_mul_f64_e32 v[4:5], s[6:7], v[4:5]
	s_wait_loadcnt 0x2
	v_mul_f64_e32 v[36:37], s[4:5], v[8:9]
	v_mul_f64_e32 v[8:9], s[6:7], v[8:9]
	;; [unrolled: 3-line block ×4, first 2 shown]
	v_fmac_f64_e32 v[34:35], s[6:7], v[2:3]
	v_fma_f64 v[2:3], s[4:5], v[2:3], -v[4:5]
	s_clause 0x3
	global_load_b128 v[18:21], v1, s[16:17]
	global_load_b128 v[22:25], v1, s[16:17] offset:16
	global_load_b128 v[26:29], v1, s[16:17] offset:32
	global_load_b128 v[30:33], v1, s[16:17] offset:48
	v_fmac_f64_e32 v[36:37], s[6:7], v[6:7]
	v_fma_f64 v[6:7], s[4:5], v[6:7], -v[8:9]
	v_fmac_f64_e32 v[38:39], s[6:7], v[10:11]
	v_fma_f64 v[10:11], s[4:5], v[10:11], -v[12:13]
	;; [unrolled: 2-line block ×3, first 2 shown]
	s_wait_xcnt 0x0
	s_add_nc_u64 s[16:17], s[2:3], s[0:1]
	s_mov_b32 s0, 0
	s_wait_loadcnt 0x3
	v_mul_f64_e32 v[42:43], v[34:35], v[20:21]
	v_mul_f64_e32 v[4:5], v[2:3], v[20:21]
	s_wait_loadcnt 0x2
	v_mul_f64_e32 v[20:21], v[36:37], v[24:25]
	v_mul_f64_e32 v[8:9], v[6:7], v[24:25]
	;; [unrolled: 3-line block ×4, first 2 shown]
	v_fma_f64 v[2:3], v[2:3], v[18:19], -v[42:43]
	v_fmac_f64_e32 v[4:5], v[34:35], v[18:19]
	v_fma_f64 v[6:7], v[6:7], v[22:23], -v[20:21]
	v_fmac_f64_e32 v[8:9], v[36:37], v[22:23]
	;; [unrolled: 2-line block ×4, first 2 shown]
	s_clause 0x3
	global_store_b128 v1, v[2:5], s[16:17]
	global_store_b128 v1, v[6:9], s[16:17] offset:16
	global_store_b128 v1, v[10:13], s[16:17] offset:32
	;; [unrolled: 1-line block ×3, first 2 shown]
.LBB129_2:
	s_and_not1_b32 vcc_lo, exec_lo, s0
	s_cbranch_vccnz .LBB129_23
; %bb.3:
	s_wait_xcnt 0x3
	v_mov_b64_e32 v[2:3], 0
	s_wait_xcnt 0x1
	v_mov_b64_e32 v[10:11], 0
	v_mov_b64_e32 v[12:13], 0
	s_wait_xcnt 0x0
	v_mov_b64_e32 v[14:15], 0
	v_mov_b64_e32 v[16:17], 0
	v_cmp_gt_i32_e32 vcc_lo, s14, v0
	v_dual_mov_b32 v30, v0 :: v_dual_bitop2_b32 v1, s12, v0 bitop3:0x54
	v_or_b32_e32 v42, 0x100, v0
	s_and_saveexec_b32 s0, vcc_lo
	s_cbranch_execz .LBB129_5
; %bb.4:
	s_clause 0x1
	global_load_b128 v[14:17], v1, s[8:9] scale_offset
	global_load_b128 v[10:13], v1, s[10:11] scale_offset
	v_or_b32_e32 v30, 0x100, v0
.LBB129_5:
	s_wait_xcnt 0x0
	s_or_b32 exec_lo, exec_lo, s0
	v_mov_b64_e32 v[4:5], 0
	v_mov_b64_e32 v[18:19], 0
	;; [unrolled: 1-line block ×3, first 2 shown]
	s_mov_b32 s1, exec_lo
	v_cmpx_gt_i32_e64 s14, v30
	s_cbranch_execz .LBB129_7
; %bb.6:
	v_add_nc_u32_e32 v6, s12, v30
	v_add_nc_u32_e32 v30, 0x100, v30
	s_clause 0x1
	global_load_b128 v[18:21], v6, s[8:9] scale_offset
	global_load_b128 v[2:5], v6, s[10:11] scale_offset
.LBB129_7:
	s_wait_xcnt 0x0
	s_or_b32 exec_lo, exec_lo, s1
	v_mov_b64_e32 v[6:7], 0
	v_mov_b64_e32 v[22:23], 0
	;; [unrolled: 1-line block ×5, first 2 shown]
	s_mov_b32 s1, exec_lo
	v_cmpx_gt_i32_e64 s14, v30
	s_cbranch_execz .LBB129_9
; %bb.8:
	v_add_nc_u32_e32 v8, s12, v30
	v_add_nc_u32_e32 v30, 0x100, v30
	s_clause 0x1
	global_load_b128 v[26:29], v8, s[8:9] scale_offset
	global_load_b128 v[22:25], v8, s[10:11] scale_offset
.LBB129_9:
	s_wait_xcnt 0x0
	s_or_b32 exec_lo, exec_lo, s1
	v_mov_b64_e32 v[8:9], 0
	v_mov_b64_e32 v[34:35], 0
	;; [unrolled: 1-line block ×3, first 2 shown]
	s_mov_b32 s1, exec_lo
	v_cmpx_gt_i32_e64 s14, v30
	s_cbranch_execz .LBB129_11
; %bb.10:
	v_add_nc_u32_e32 v30, s12, v30
	s_clause 0x1
	global_load_b128 v[34:37], v30, s[8:9] scale_offset
	global_load_b128 v[6:9], v30, s[10:11] scale_offset
.LBB129_11:
	s_wait_xcnt 0x0
	s_or_b32 exec_lo, exec_lo, s1
	v_mov_b64_e32 v[32:33], 0
	v_mov_b64_e32 v[40:41], 0
	;; [unrolled: 1-line block ×3, first 2 shown]
	s_and_saveexec_b32 s0, vcc_lo
	s_cbranch_execz .LBB129_13
; %bb.12:
	s_wait_loadcnt 0x1
	v_mul_f64_e32 v[30:31], s[4:5], v[16:17]
	v_mul_f64_e32 v[16:17], s[6:7], v[16:17]
	s_delay_alu instid0(VALU_DEP_2) | instskip(NEXT) | instid1(VALU_DEP_2)
	v_fmac_f64_e32 v[30:31], s[6:7], v[14:15]
	v_fma_f64 v[14:15], s[4:5], v[14:15], -v[16:17]
	s_wait_loadcnt 0x0
	s_delay_alu instid0(VALU_DEP_2) | instskip(SKIP_1) | instid1(VALU_DEP_2)
	v_mul_f64_e32 v[16:17], v[12:13], v[30:31]
	v_mul_f64_e32 v[40:41], v[10:11], v[30:31]
	v_fma_f64 v[38:39], v[10:11], v[14:15], -v[16:17]
	s_delay_alu instid0(VALU_DEP_2)
	v_fmac_f64_e32 v[40:41], v[12:13], v[14:15]
.LBB129_13:
	s_or_b32 exec_lo, exec_lo, s0
	v_mov_b64_e32 v[30:31], 0
	s_mov_b32 s1, exec_lo
	v_cmpx_gt_i32_e64 s14, v42
	s_cbranch_execz .LBB129_15
; %bb.14:
	s_wait_loadcnt 0x0
	v_mul_f64_e32 v[10:11], s[4:5], v[20:21]
	v_mul_f64_e32 v[12:13], s[6:7], v[20:21]
	s_delay_alu instid0(VALU_DEP_2) | instskip(NEXT) | instid1(VALU_DEP_2)
	v_fmac_f64_e32 v[10:11], s[6:7], v[18:19]
	v_fma_f64 v[12:13], s[4:5], v[18:19], -v[12:13]
	s_delay_alu instid0(VALU_DEP_2) | instskip(SKIP_1) | instid1(VALU_DEP_2)
	v_mul_f64_e32 v[14:15], v[4:5], v[10:11]
	v_mul_f64_e32 v[32:33], v[2:3], v[10:11]
	v_fma_f64 v[30:31], v[2:3], v[12:13], -v[14:15]
	s_delay_alu instid0(VALU_DEP_2)
	v_fmac_f64_e32 v[32:33], v[4:5], v[12:13]
.LBB129_15:
	s_or_b32 exec_lo, exec_lo, s1
	s_wait_loadcnt 0x0
	v_mov_b64_e32 v[4:5], 0
	v_mov_b64_e32 v[12:13], 0
	;; [unrolled: 1-line block ×3, first 2 shown]
	v_or_b32_e32 v2, 0x200, v0
	s_mov_b32 s1, exec_lo
	s_delay_alu instid0(VALU_DEP_1)
	v_cmpx_gt_i32_e64 s14, v2
	s_cbranch_execz .LBB129_17
; %bb.16:
	v_mul_f64_e32 v[2:3], s[4:5], v[28:29]
	v_mul_f64_e32 v[10:11], s[6:7], v[28:29]
	s_delay_alu instid0(VALU_DEP_2) | instskip(NEXT) | instid1(VALU_DEP_2)
	v_fmac_f64_e32 v[2:3], s[6:7], v[26:27]
	v_fma_f64 v[14:15], s[4:5], v[26:27], -v[10:11]
	s_delay_alu instid0(VALU_DEP_2) | instskip(SKIP_1) | instid1(VALU_DEP_2)
	v_mul_f64_e32 v[10:11], v[24:25], v[2:3]
	v_mul_f64_e32 v[12:13], v[22:23], v[2:3]
	v_fma_f64 v[10:11], v[22:23], v[14:15], -v[10:11]
	s_delay_alu instid0(VALU_DEP_2)
	v_fmac_f64_e32 v[12:13], v[24:25], v[14:15]
.LBB129_17:
	s_or_b32 exec_lo, exec_lo, s1
	v_mov_b64_e32 v[2:3], 0
	v_or_b32_e32 v14, 0x300, v0
	s_mov_b32 s1, exec_lo
	s_delay_alu instid0(VALU_DEP_1)
	v_cmpx_gt_i32_e64 s14, v14
	s_cbranch_execnz .LBB129_24
; %bb.18:
	s_or_b32 exec_lo, exec_lo, s1
	s_and_saveexec_b32 s0, vcc_lo
	s_delay_alu instid0(SALU_CYCLE_1)
	s_xor_b32 s0, exec_lo, s0
	s_cbranch_execnz .LBB129_25
.LBB129_19:
	s_or_b32 exec_lo, exec_lo, s0
	s_delay_alu instid0(SALU_CYCLE_1)
	s_mov_b32 s0, exec_lo
	v_cmpx_gt_i32_e64 s14, v0
	s_cbranch_execnz .LBB129_26
.LBB129_20:
	s_or_b32 exec_lo, exec_lo, s0
	s_delay_alu instid0(SALU_CYCLE_1)
	s_mov_b32 s0, exec_lo
	v_cmpx_gt_i32_e64 s14, v0
	s_cbranch_execnz .LBB129_27
.LBB129_21:
	s_or_b32 exec_lo, exec_lo, s0
	s_delay_alu instid0(SALU_CYCLE_1)
	s_mov_b32 s0, exec_lo
	v_cmpx_gt_i32_e64 s14, v0
	s_cbranch_execz .LBB129_23
.LBB129_22:
	v_add_nc_u32_e32 v0, s12, v0
	global_store_b128 v0, v[2:5], s[2:3] scale_offset
.LBB129_23:
	s_endpgm
.LBB129_24:
	v_mul_f64_e32 v[2:3], s[4:5], v[36:37]
	v_mul_f64_e32 v[4:5], s[6:7], v[36:37]
	s_delay_alu instid0(VALU_DEP_2) | instskip(NEXT) | instid1(VALU_DEP_2)
	v_fmac_f64_e32 v[2:3], s[6:7], v[34:35]
	v_fma_f64 v[14:15], s[4:5], v[34:35], -v[4:5]
	s_delay_alu instid0(VALU_DEP_2) | instskip(SKIP_1) | instid1(VALU_DEP_2)
	v_mul_f64_e32 v[16:17], v[8:9], v[2:3]
	v_mul_f64_e32 v[4:5], v[6:7], v[2:3]
	v_fma_f64 v[2:3], v[6:7], v[14:15], -v[16:17]
	s_delay_alu instid0(VALU_DEP_2) | instskip(SKIP_2) | instid1(SALU_CYCLE_1)
	v_fmac_f64_e32 v[4:5], v[8:9], v[14:15]
	s_or_b32 exec_lo, exec_lo, s1
	s_and_saveexec_b32 s0, vcc_lo
	s_xor_b32 s0, exec_lo, s0
	s_cbranch_execz .LBB129_19
.LBB129_25:
	v_mov_b32_e32 v0, v42
	global_store_b128 v1, v[38:41], s[2:3] scale_offset
	s_wait_xcnt 0x0
	s_or_b32 exec_lo, exec_lo, s0
	s_delay_alu instid0(SALU_CYCLE_1)
	s_mov_b32 s0, exec_lo
	v_cmpx_gt_i32_e64 s14, v0
	s_cbranch_execz .LBB129_20
.LBB129_26:
	v_add_nc_u32_e32 v1, s12, v0
	v_add_nc_u32_e32 v0, 0x100, v0
	global_store_b128 v1, v[30:33], s[2:3] scale_offset
	s_wait_xcnt 0x0
	s_or_b32 exec_lo, exec_lo, s0
	s_delay_alu instid0(SALU_CYCLE_1)
	s_mov_b32 s0, exec_lo
	v_cmpx_gt_i32_e64 s14, v0
	s_cbranch_execz .LBB129_21
.LBB129_27:
	v_add_nc_u32_e32 v1, s12, v0
	v_add_nc_u32_e32 v0, 0x100, v0
	global_store_b128 v1, v[10:13], s[2:3] scale_offset
	s_wait_xcnt 0x0
	s_or_b32 exec_lo, exec_lo, s0
	s_delay_alu instid0(SALU_CYCLE_1)
	s_mov_b32 s0, exec_lo
	v_cmpx_gt_i32_e64 s14, v0
	s_cbranch_execnz .LBB129_22
	s_branch .LBB129_23
	.section	.rodata,"a",@progbits
	.p2align	6, 0x0
	.amdhsa_kernel _ZN2at6native29vectorized_elementwise_kernelILi8EZZZNS0_12_GLOBAL__N_116addr_kernel_cudaERNS_14TensorIteratorERKN3c106ScalarES8_ENKUlvE_clEvENKUlvE6_clEvEUlNS5_7complexIdEESC_SC_E_St5arrayIPcLm4EEEEviT0_T1_
		.amdhsa_group_segment_fixed_size 0
		.amdhsa_private_segment_fixed_size 0
		.amdhsa_kernarg_size 64
		.amdhsa_user_sgpr_count 2
		.amdhsa_user_sgpr_dispatch_ptr 0
		.amdhsa_user_sgpr_queue_ptr 0
		.amdhsa_user_sgpr_kernarg_segment_ptr 1
		.amdhsa_user_sgpr_dispatch_id 0
		.amdhsa_user_sgpr_kernarg_preload_length 0
		.amdhsa_user_sgpr_kernarg_preload_offset 0
		.amdhsa_user_sgpr_private_segment_size 0
		.amdhsa_wavefront_size32 1
		.amdhsa_uses_dynamic_stack 0
		.amdhsa_enable_private_segment 0
		.amdhsa_system_sgpr_workgroup_id_x 1
		.amdhsa_system_sgpr_workgroup_id_y 0
		.amdhsa_system_sgpr_workgroup_id_z 0
		.amdhsa_system_sgpr_workgroup_info 0
		.amdhsa_system_vgpr_workitem_id 0
		.amdhsa_next_free_vgpr 44
		.amdhsa_next_free_sgpr 18
		.amdhsa_named_barrier_count 0
		.amdhsa_reserve_vcc 1
		.amdhsa_float_round_mode_32 0
		.amdhsa_float_round_mode_16_64 0
		.amdhsa_float_denorm_mode_32 3
		.amdhsa_float_denorm_mode_16_64 3
		.amdhsa_fp16_overflow 0
		.amdhsa_memory_ordered 1
		.amdhsa_forward_progress 1
		.amdhsa_inst_pref_size 12
		.amdhsa_round_robin_scheduling 0
		.amdhsa_exception_fp_ieee_invalid_op 0
		.amdhsa_exception_fp_denorm_src 0
		.amdhsa_exception_fp_ieee_div_zero 0
		.amdhsa_exception_fp_ieee_overflow 0
		.amdhsa_exception_fp_ieee_underflow 0
		.amdhsa_exception_fp_ieee_inexact 0
		.amdhsa_exception_int_div_zero 0
	.end_amdhsa_kernel
	.section	.text._ZN2at6native29vectorized_elementwise_kernelILi8EZZZNS0_12_GLOBAL__N_116addr_kernel_cudaERNS_14TensorIteratorERKN3c106ScalarES8_ENKUlvE_clEvENKUlvE6_clEvEUlNS5_7complexIdEESC_SC_E_St5arrayIPcLm4EEEEviT0_T1_,"axG",@progbits,_ZN2at6native29vectorized_elementwise_kernelILi8EZZZNS0_12_GLOBAL__N_116addr_kernel_cudaERNS_14TensorIteratorERKN3c106ScalarES8_ENKUlvE_clEvENKUlvE6_clEvEUlNS5_7complexIdEESC_SC_E_St5arrayIPcLm4EEEEviT0_T1_,comdat
.Lfunc_end129:
	.size	_ZN2at6native29vectorized_elementwise_kernelILi8EZZZNS0_12_GLOBAL__N_116addr_kernel_cudaERNS_14TensorIteratorERKN3c106ScalarES8_ENKUlvE_clEvENKUlvE6_clEvEUlNS5_7complexIdEESC_SC_E_St5arrayIPcLm4EEEEviT0_T1_, .Lfunc_end129-_ZN2at6native29vectorized_elementwise_kernelILi8EZZZNS0_12_GLOBAL__N_116addr_kernel_cudaERNS_14TensorIteratorERKN3c106ScalarES8_ENKUlvE_clEvENKUlvE6_clEvEUlNS5_7complexIdEESC_SC_E_St5arrayIPcLm4EEEEviT0_T1_
                                        ; -- End function
	.set _ZN2at6native29vectorized_elementwise_kernelILi8EZZZNS0_12_GLOBAL__N_116addr_kernel_cudaERNS_14TensorIteratorERKN3c106ScalarES8_ENKUlvE_clEvENKUlvE6_clEvEUlNS5_7complexIdEESC_SC_E_St5arrayIPcLm4EEEEviT0_T1_.num_vgpr, 44
	.set _ZN2at6native29vectorized_elementwise_kernelILi8EZZZNS0_12_GLOBAL__N_116addr_kernel_cudaERNS_14TensorIteratorERKN3c106ScalarES8_ENKUlvE_clEvENKUlvE6_clEvEUlNS5_7complexIdEESC_SC_E_St5arrayIPcLm4EEEEviT0_T1_.num_agpr, 0
	.set _ZN2at6native29vectorized_elementwise_kernelILi8EZZZNS0_12_GLOBAL__N_116addr_kernel_cudaERNS_14TensorIteratorERKN3c106ScalarES8_ENKUlvE_clEvENKUlvE6_clEvEUlNS5_7complexIdEESC_SC_E_St5arrayIPcLm4EEEEviT0_T1_.numbered_sgpr, 18
	.set _ZN2at6native29vectorized_elementwise_kernelILi8EZZZNS0_12_GLOBAL__N_116addr_kernel_cudaERNS_14TensorIteratorERKN3c106ScalarES8_ENKUlvE_clEvENKUlvE6_clEvEUlNS5_7complexIdEESC_SC_E_St5arrayIPcLm4EEEEviT0_T1_.num_named_barrier, 0
	.set _ZN2at6native29vectorized_elementwise_kernelILi8EZZZNS0_12_GLOBAL__N_116addr_kernel_cudaERNS_14TensorIteratorERKN3c106ScalarES8_ENKUlvE_clEvENKUlvE6_clEvEUlNS5_7complexIdEESC_SC_E_St5arrayIPcLm4EEEEviT0_T1_.private_seg_size, 0
	.set _ZN2at6native29vectorized_elementwise_kernelILi8EZZZNS0_12_GLOBAL__N_116addr_kernel_cudaERNS_14TensorIteratorERKN3c106ScalarES8_ENKUlvE_clEvENKUlvE6_clEvEUlNS5_7complexIdEESC_SC_E_St5arrayIPcLm4EEEEviT0_T1_.uses_vcc, 1
	.set _ZN2at6native29vectorized_elementwise_kernelILi8EZZZNS0_12_GLOBAL__N_116addr_kernel_cudaERNS_14TensorIteratorERKN3c106ScalarES8_ENKUlvE_clEvENKUlvE6_clEvEUlNS5_7complexIdEESC_SC_E_St5arrayIPcLm4EEEEviT0_T1_.uses_flat_scratch, 0
	.set _ZN2at6native29vectorized_elementwise_kernelILi8EZZZNS0_12_GLOBAL__N_116addr_kernel_cudaERNS_14TensorIteratorERKN3c106ScalarES8_ENKUlvE_clEvENKUlvE6_clEvEUlNS5_7complexIdEESC_SC_E_St5arrayIPcLm4EEEEviT0_T1_.has_dyn_sized_stack, 0
	.set _ZN2at6native29vectorized_elementwise_kernelILi8EZZZNS0_12_GLOBAL__N_116addr_kernel_cudaERNS_14TensorIteratorERKN3c106ScalarES8_ENKUlvE_clEvENKUlvE6_clEvEUlNS5_7complexIdEESC_SC_E_St5arrayIPcLm4EEEEviT0_T1_.has_recursion, 0
	.set _ZN2at6native29vectorized_elementwise_kernelILi8EZZZNS0_12_GLOBAL__N_116addr_kernel_cudaERNS_14TensorIteratorERKN3c106ScalarES8_ENKUlvE_clEvENKUlvE6_clEvEUlNS5_7complexIdEESC_SC_E_St5arrayIPcLm4EEEEviT0_T1_.has_indirect_call, 0
	.section	.AMDGPU.csdata,"",@progbits
; Kernel info:
; codeLenInByte = 1472
; TotalNumSgprs: 20
; NumVgprs: 44
; ScratchSize: 0
; MemoryBound: 1
; FloatMode: 240
; IeeeMode: 1
; LDSByteSize: 0 bytes/workgroup (compile time only)
; SGPRBlocks: 0
; VGPRBlocks: 2
; NumSGPRsForWavesPerEU: 20
; NumVGPRsForWavesPerEU: 44
; NamedBarCnt: 0
; Occupancy: 16
; WaveLimiterHint : 0
; COMPUTE_PGM_RSRC2:SCRATCH_EN: 0
; COMPUTE_PGM_RSRC2:USER_SGPR: 2
; COMPUTE_PGM_RSRC2:TRAP_HANDLER: 0
; COMPUTE_PGM_RSRC2:TGID_X_EN: 1
; COMPUTE_PGM_RSRC2:TGID_Y_EN: 0
; COMPUTE_PGM_RSRC2:TGID_Z_EN: 0
; COMPUTE_PGM_RSRC2:TIDIG_COMP_CNT: 0
	.section	.text._ZN2at6native29vectorized_elementwise_kernelILi4EZZZNS0_12_GLOBAL__N_116addr_kernel_cudaERNS_14TensorIteratorERKN3c106ScalarES8_ENKUlvE_clEvENKUlvE6_clEvEUlNS5_7complexIdEESC_SC_E_St5arrayIPcLm4EEEEviT0_T1_,"axG",@progbits,_ZN2at6native29vectorized_elementwise_kernelILi4EZZZNS0_12_GLOBAL__N_116addr_kernel_cudaERNS_14TensorIteratorERKN3c106ScalarES8_ENKUlvE_clEvENKUlvE6_clEvEUlNS5_7complexIdEESC_SC_E_St5arrayIPcLm4EEEEviT0_T1_,comdat
	.globl	_ZN2at6native29vectorized_elementwise_kernelILi4EZZZNS0_12_GLOBAL__N_116addr_kernel_cudaERNS_14TensorIteratorERKN3c106ScalarES8_ENKUlvE_clEvENKUlvE6_clEvEUlNS5_7complexIdEESC_SC_E_St5arrayIPcLm4EEEEviT0_T1_ ; -- Begin function _ZN2at6native29vectorized_elementwise_kernelILi4EZZZNS0_12_GLOBAL__N_116addr_kernel_cudaERNS_14TensorIteratorERKN3c106ScalarES8_ENKUlvE_clEvENKUlvE6_clEvEUlNS5_7complexIdEESC_SC_E_St5arrayIPcLm4EEEEviT0_T1_
	.p2align	8
	.type	_ZN2at6native29vectorized_elementwise_kernelILi4EZZZNS0_12_GLOBAL__N_116addr_kernel_cudaERNS_14TensorIteratorERKN3c106ScalarES8_ENKUlvE_clEvENKUlvE6_clEvEUlNS5_7complexIdEESC_SC_E_St5arrayIPcLm4EEEEviT0_T1_,@function
_ZN2at6native29vectorized_elementwise_kernelILi4EZZZNS0_12_GLOBAL__N_116addr_kernel_cudaERNS_14TensorIteratorERKN3c106ScalarES8_ENKUlvE_clEvENKUlvE6_clEvEUlNS5_7complexIdEESC_SC_E_St5arrayIPcLm4EEEEviT0_T1_: ; @_ZN2at6native29vectorized_elementwise_kernelILi4EZZZNS0_12_GLOBAL__N_116addr_kernel_cudaERNS_14TensorIteratorERKN3c106ScalarES8_ENKUlvE_clEvENKUlvE6_clEvEUlNS5_7complexIdEESC_SC_E_St5arrayIPcLm4EEEEviT0_T1_
; %bb.0:
	s_clause 0x3
	s_load_b32 s13, s[0:1], 0x0
	s_load_b128 s[4:7], s[0:1], 0x10
	s_load_b64 s[2:3], s[0:1], 0x20
	s_load_b128 s[8:11], s[0:1], 0x30
	s_wait_xcnt 0x0
	s_bfe_u32 s0, ttmp6, 0x4000c
	s_and_b32 s1, ttmp6, 15
	s_add_co_i32 s0, s0, 1
	s_getreg_b32 s12, hwreg(HW_REG_IB_STS2, 6, 4)
	s_mul_i32 s0, ttmp9, s0
	s_delay_alu instid0(SALU_CYCLE_1) | instskip(SKIP_2) | instid1(SALU_CYCLE_1)
	s_add_co_i32 s1, s1, s0
	s_cmp_eq_u32 s12, 0
	s_cselect_b32 s0, ttmp9, s1
	s_lshl_b32 s12, s0, 10
	s_mov_b32 s0, -1
	s_wait_kmcnt 0x0
	s_sub_co_i32 s14, s13, s12
	s_delay_alu instid0(SALU_CYCLE_1)
	s_cmp_gt_i32 s14, 0x3ff
	s_cbranch_scc0 .LBB130_2
; %bb.1:
	s_ashr_i32 s13, s12, 31
	v_lshlrev_b32_e32 v1, 6, v0
	s_lshl_b64 s[0:1], s[12:13], 4
	s_delay_alu instid0(SALU_CYCLE_1)
	s_add_nc_u64 s[16:17], s[8:9], s[0:1]
	s_clause 0x3
	global_load_b128 v[2:5], v1, s[16:17]
	global_load_b128 v[6:9], v1, s[16:17] offset:16
	global_load_b128 v[10:13], v1, s[16:17] offset:32
	;; [unrolled: 1-line block ×3, first 2 shown]
	s_wait_xcnt 0x0
	s_add_nc_u64 s[16:17], s[10:11], s[0:1]
	s_wait_loadcnt 0x3
	v_mul_f64_e32 v[34:35], s[4:5], v[4:5]
	v_mul_f64_e32 v[4:5], s[6:7], v[4:5]
	s_wait_loadcnt 0x2
	v_mul_f64_e32 v[36:37], s[4:5], v[8:9]
	v_mul_f64_e32 v[8:9], s[6:7], v[8:9]
	;; [unrolled: 3-line block ×4, first 2 shown]
	v_fmac_f64_e32 v[34:35], s[6:7], v[2:3]
	v_fma_f64 v[2:3], s[4:5], v[2:3], -v[4:5]
	s_clause 0x3
	global_load_b128 v[18:21], v1, s[16:17]
	global_load_b128 v[22:25], v1, s[16:17] offset:16
	global_load_b128 v[26:29], v1, s[16:17] offset:32
	;; [unrolled: 1-line block ×3, first 2 shown]
	v_fmac_f64_e32 v[36:37], s[6:7], v[6:7]
	v_fma_f64 v[6:7], s[4:5], v[6:7], -v[8:9]
	v_fmac_f64_e32 v[38:39], s[6:7], v[10:11]
	v_fma_f64 v[10:11], s[4:5], v[10:11], -v[12:13]
	;; [unrolled: 2-line block ×3, first 2 shown]
	s_wait_xcnt 0x0
	s_add_nc_u64 s[16:17], s[2:3], s[0:1]
	s_mov_b32 s0, 0
	s_wait_loadcnt 0x3
	v_mul_f64_e32 v[42:43], v[34:35], v[20:21]
	v_mul_f64_e32 v[4:5], v[2:3], v[20:21]
	s_wait_loadcnt 0x2
	v_mul_f64_e32 v[20:21], v[36:37], v[24:25]
	v_mul_f64_e32 v[8:9], v[6:7], v[24:25]
	;; [unrolled: 3-line block ×4, first 2 shown]
	v_fma_f64 v[2:3], v[2:3], v[18:19], -v[42:43]
	v_fmac_f64_e32 v[4:5], v[34:35], v[18:19]
	v_fma_f64 v[6:7], v[6:7], v[22:23], -v[20:21]
	v_fmac_f64_e32 v[8:9], v[36:37], v[22:23]
	;; [unrolled: 2-line block ×4, first 2 shown]
	s_clause 0x3
	global_store_b128 v1, v[2:5], s[16:17]
	global_store_b128 v1, v[6:9], s[16:17] offset:16
	global_store_b128 v1, v[10:13], s[16:17] offset:32
	;; [unrolled: 1-line block ×3, first 2 shown]
.LBB130_2:
	s_and_not1_b32 vcc_lo, exec_lo, s0
	s_cbranch_vccnz .LBB130_23
; %bb.3:
	s_wait_xcnt 0x3
	v_mov_b64_e32 v[2:3], 0
	s_wait_xcnt 0x1
	v_mov_b64_e32 v[10:11], 0
	v_mov_b64_e32 v[12:13], 0
	s_wait_xcnt 0x0
	v_mov_b64_e32 v[14:15], 0
	v_mov_b64_e32 v[16:17], 0
	v_cmp_gt_i32_e32 vcc_lo, s14, v0
	v_dual_mov_b32 v30, v0 :: v_dual_bitop2_b32 v1, s12, v0 bitop3:0x54
	v_or_b32_e32 v42, 0x100, v0
	s_and_saveexec_b32 s0, vcc_lo
	s_cbranch_execz .LBB130_5
; %bb.4:
	s_clause 0x1
	global_load_b128 v[14:17], v1, s[8:9] scale_offset
	global_load_b128 v[10:13], v1, s[10:11] scale_offset
	v_or_b32_e32 v30, 0x100, v0
.LBB130_5:
	s_wait_xcnt 0x0
	s_or_b32 exec_lo, exec_lo, s0
	v_mov_b64_e32 v[4:5], 0
	v_mov_b64_e32 v[18:19], 0
	;; [unrolled: 1-line block ×3, first 2 shown]
	s_mov_b32 s1, exec_lo
	v_cmpx_gt_i32_e64 s14, v30
	s_cbranch_execz .LBB130_7
; %bb.6:
	v_add_nc_u32_e32 v6, s12, v30
	v_add_nc_u32_e32 v30, 0x100, v30
	s_clause 0x1
	global_load_b128 v[18:21], v6, s[8:9] scale_offset
	global_load_b128 v[2:5], v6, s[10:11] scale_offset
.LBB130_7:
	s_wait_xcnt 0x0
	s_or_b32 exec_lo, exec_lo, s1
	v_mov_b64_e32 v[6:7], 0
	v_mov_b64_e32 v[22:23], 0
	;; [unrolled: 1-line block ×5, first 2 shown]
	s_mov_b32 s1, exec_lo
	v_cmpx_gt_i32_e64 s14, v30
	s_cbranch_execz .LBB130_9
; %bb.8:
	v_add_nc_u32_e32 v8, s12, v30
	v_add_nc_u32_e32 v30, 0x100, v30
	s_clause 0x1
	global_load_b128 v[26:29], v8, s[8:9] scale_offset
	global_load_b128 v[22:25], v8, s[10:11] scale_offset
.LBB130_9:
	s_wait_xcnt 0x0
	s_or_b32 exec_lo, exec_lo, s1
	v_mov_b64_e32 v[8:9], 0
	v_mov_b64_e32 v[34:35], 0
	;; [unrolled: 1-line block ×3, first 2 shown]
	s_mov_b32 s1, exec_lo
	v_cmpx_gt_i32_e64 s14, v30
	s_cbranch_execz .LBB130_11
; %bb.10:
	v_add_nc_u32_e32 v30, s12, v30
	s_clause 0x1
	global_load_b128 v[34:37], v30, s[8:9] scale_offset
	global_load_b128 v[6:9], v30, s[10:11] scale_offset
.LBB130_11:
	s_wait_xcnt 0x0
	s_or_b32 exec_lo, exec_lo, s1
	v_mov_b64_e32 v[32:33], 0
	v_mov_b64_e32 v[40:41], 0
	;; [unrolled: 1-line block ×3, first 2 shown]
	s_and_saveexec_b32 s0, vcc_lo
	s_cbranch_execz .LBB130_13
; %bb.12:
	s_wait_loadcnt 0x1
	v_mul_f64_e32 v[30:31], s[4:5], v[16:17]
	v_mul_f64_e32 v[16:17], s[6:7], v[16:17]
	s_delay_alu instid0(VALU_DEP_2) | instskip(NEXT) | instid1(VALU_DEP_2)
	v_fmac_f64_e32 v[30:31], s[6:7], v[14:15]
	v_fma_f64 v[14:15], s[4:5], v[14:15], -v[16:17]
	s_wait_loadcnt 0x0
	s_delay_alu instid0(VALU_DEP_2) | instskip(SKIP_1) | instid1(VALU_DEP_2)
	v_mul_f64_e32 v[16:17], v[12:13], v[30:31]
	v_mul_f64_e32 v[40:41], v[10:11], v[30:31]
	v_fma_f64 v[38:39], v[10:11], v[14:15], -v[16:17]
	s_delay_alu instid0(VALU_DEP_2)
	v_fmac_f64_e32 v[40:41], v[12:13], v[14:15]
.LBB130_13:
	s_or_b32 exec_lo, exec_lo, s0
	v_mov_b64_e32 v[30:31], 0
	s_mov_b32 s1, exec_lo
	v_cmpx_gt_i32_e64 s14, v42
	s_cbranch_execz .LBB130_15
; %bb.14:
	s_wait_loadcnt 0x0
	v_mul_f64_e32 v[10:11], s[4:5], v[20:21]
	v_mul_f64_e32 v[12:13], s[6:7], v[20:21]
	s_delay_alu instid0(VALU_DEP_2) | instskip(NEXT) | instid1(VALU_DEP_2)
	v_fmac_f64_e32 v[10:11], s[6:7], v[18:19]
	v_fma_f64 v[12:13], s[4:5], v[18:19], -v[12:13]
	s_delay_alu instid0(VALU_DEP_2) | instskip(SKIP_1) | instid1(VALU_DEP_2)
	v_mul_f64_e32 v[14:15], v[4:5], v[10:11]
	v_mul_f64_e32 v[32:33], v[2:3], v[10:11]
	v_fma_f64 v[30:31], v[2:3], v[12:13], -v[14:15]
	s_delay_alu instid0(VALU_DEP_2)
	v_fmac_f64_e32 v[32:33], v[4:5], v[12:13]
.LBB130_15:
	s_or_b32 exec_lo, exec_lo, s1
	s_wait_loadcnt 0x0
	v_mov_b64_e32 v[4:5], 0
	v_mov_b64_e32 v[12:13], 0
	;; [unrolled: 1-line block ×3, first 2 shown]
	v_or_b32_e32 v2, 0x200, v0
	s_mov_b32 s1, exec_lo
	s_delay_alu instid0(VALU_DEP_1)
	v_cmpx_gt_i32_e64 s14, v2
	s_cbranch_execz .LBB130_17
; %bb.16:
	v_mul_f64_e32 v[2:3], s[4:5], v[28:29]
	v_mul_f64_e32 v[10:11], s[6:7], v[28:29]
	s_delay_alu instid0(VALU_DEP_2) | instskip(NEXT) | instid1(VALU_DEP_2)
	v_fmac_f64_e32 v[2:3], s[6:7], v[26:27]
	v_fma_f64 v[14:15], s[4:5], v[26:27], -v[10:11]
	s_delay_alu instid0(VALU_DEP_2) | instskip(SKIP_1) | instid1(VALU_DEP_2)
	v_mul_f64_e32 v[10:11], v[24:25], v[2:3]
	v_mul_f64_e32 v[12:13], v[22:23], v[2:3]
	v_fma_f64 v[10:11], v[22:23], v[14:15], -v[10:11]
	s_delay_alu instid0(VALU_DEP_2)
	v_fmac_f64_e32 v[12:13], v[24:25], v[14:15]
.LBB130_17:
	s_or_b32 exec_lo, exec_lo, s1
	v_mov_b64_e32 v[2:3], 0
	v_or_b32_e32 v14, 0x300, v0
	s_mov_b32 s1, exec_lo
	s_delay_alu instid0(VALU_DEP_1)
	v_cmpx_gt_i32_e64 s14, v14
	s_cbranch_execnz .LBB130_24
; %bb.18:
	s_or_b32 exec_lo, exec_lo, s1
	s_and_saveexec_b32 s0, vcc_lo
	s_delay_alu instid0(SALU_CYCLE_1)
	s_xor_b32 s0, exec_lo, s0
	s_cbranch_execnz .LBB130_25
.LBB130_19:
	s_or_b32 exec_lo, exec_lo, s0
	s_delay_alu instid0(SALU_CYCLE_1)
	s_mov_b32 s0, exec_lo
	v_cmpx_gt_i32_e64 s14, v0
	s_cbranch_execnz .LBB130_26
.LBB130_20:
	s_or_b32 exec_lo, exec_lo, s0
	s_delay_alu instid0(SALU_CYCLE_1)
	s_mov_b32 s0, exec_lo
	v_cmpx_gt_i32_e64 s14, v0
	s_cbranch_execnz .LBB130_27
.LBB130_21:
	s_or_b32 exec_lo, exec_lo, s0
	s_delay_alu instid0(SALU_CYCLE_1)
	s_mov_b32 s0, exec_lo
	v_cmpx_gt_i32_e64 s14, v0
	s_cbranch_execz .LBB130_23
.LBB130_22:
	v_add_nc_u32_e32 v0, s12, v0
	global_store_b128 v0, v[2:5], s[2:3] scale_offset
.LBB130_23:
	s_endpgm
.LBB130_24:
	v_mul_f64_e32 v[2:3], s[4:5], v[36:37]
	v_mul_f64_e32 v[4:5], s[6:7], v[36:37]
	s_delay_alu instid0(VALU_DEP_2) | instskip(NEXT) | instid1(VALU_DEP_2)
	v_fmac_f64_e32 v[2:3], s[6:7], v[34:35]
	v_fma_f64 v[14:15], s[4:5], v[34:35], -v[4:5]
	s_delay_alu instid0(VALU_DEP_2) | instskip(SKIP_1) | instid1(VALU_DEP_2)
	v_mul_f64_e32 v[16:17], v[8:9], v[2:3]
	v_mul_f64_e32 v[4:5], v[6:7], v[2:3]
	v_fma_f64 v[2:3], v[6:7], v[14:15], -v[16:17]
	s_delay_alu instid0(VALU_DEP_2) | instskip(SKIP_2) | instid1(SALU_CYCLE_1)
	v_fmac_f64_e32 v[4:5], v[8:9], v[14:15]
	s_or_b32 exec_lo, exec_lo, s1
	s_and_saveexec_b32 s0, vcc_lo
	s_xor_b32 s0, exec_lo, s0
	s_cbranch_execz .LBB130_19
.LBB130_25:
	v_mov_b32_e32 v0, v42
	global_store_b128 v1, v[38:41], s[2:3] scale_offset
	s_wait_xcnt 0x0
	s_or_b32 exec_lo, exec_lo, s0
	s_delay_alu instid0(SALU_CYCLE_1)
	s_mov_b32 s0, exec_lo
	v_cmpx_gt_i32_e64 s14, v0
	s_cbranch_execz .LBB130_20
.LBB130_26:
	v_add_nc_u32_e32 v1, s12, v0
	v_add_nc_u32_e32 v0, 0x100, v0
	global_store_b128 v1, v[30:33], s[2:3] scale_offset
	s_wait_xcnt 0x0
	s_or_b32 exec_lo, exec_lo, s0
	s_delay_alu instid0(SALU_CYCLE_1)
	s_mov_b32 s0, exec_lo
	v_cmpx_gt_i32_e64 s14, v0
	s_cbranch_execz .LBB130_21
.LBB130_27:
	v_add_nc_u32_e32 v1, s12, v0
	v_add_nc_u32_e32 v0, 0x100, v0
	global_store_b128 v1, v[10:13], s[2:3] scale_offset
	s_wait_xcnt 0x0
	s_or_b32 exec_lo, exec_lo, s0
	s_delay_alu instid0(SALU_CYCLE_1)
	s_mov_b32 s0, exec_lo
	v_cmpx_gt_i32_e64 s14, v0
	s_cbranch_execnz .LBB130_22
	s_branch .LBB130_23
	.section	.rodata,"a",@progbits
	.p2align	6, 0x0
	.amdhsa_kernel _ZN2at6native29vectorized_elementwise_kernelILi4EZZZNS0_12_GLOBAL__N_116addr_kernel_cudaERNS_14TensorIteratorERKN3c106ScalarES8_ENKUlvE_clEvENKUlvE6_clEvEUlNS5_7complexIdEESC_SC_E_St5arrayIPcLm4EEEEviT0_T1_
		.amdhsa_group_segment_fixed_size 0
		.amdhsa_private_segment_fixed_size 0
		.amdhsa_kernarg_size 64
		.amdhsa_user_sgpr_count 2
		.amdhsa_user_sgpr_dispatch_ptr 0
		.amdhsa_user_sgpr_queue_ptr 0
		.amdhsa_user_sgpr_kernarg_segment_ptr 1
		.amdhsa_user_sgpr_dispatch_id 0
		.amdhsa_user_sgpr_kernarg_preload_length 0
		.amdhsa_user_sgpr_kernarg_preload_offset 0
		.amdhsa_user_sgpr_private_segment_size 0
		.amdhsa_wavefront_size32 1
		.amdhsa_uses_dynamic_stack 0
		.amdhsa_enable_private_segment 0
		.amdhsa_system_sgpr_workgroup_id_x 1
		.amdhsa_system_sgpr_workgroup_id_y 0
		.amdhsa_system_sgpr_workgroup_id_z 0
		.amdhsa_system_sgpr_workgroup_info 0
		.amdhsa_system_vgpr_workitem_id 0
		.amdhsa_next_free_vgpr 44
		.amdhsa_next_free_sgpr 18
		.amdhsa_named_barrier_count 0
		.amdhsa_reserve_vcc 1
		.amdhsa_float_round_mode_32 0
		.amdhsa_float_round_mode_16_64 0
		.amdhsa_float_denorm_mode_32 3
		.amdhsa_float_denorm_mode_16_64 3
		.amdhsa_fp16_overflow 0
		.amdhsa_memory_ordered 1
		.amdhsa_forward_progress 1
		.amdhsa_inst_pref_size 12
		.amdhsa_round_robin_scheduling 0
		.amdhsa_exception_fp_ieee_invalid_op 0
		.amdhsa_exception_fp_denorm_src 0
		.amdhsa_exception_fp_ieee_div_zero 0
		.amdhsa_exception_fp_ieee_overflow 0
		.amdhsa_exception_fp_ieee_underflow 0
		.amdhsa_exception_fp_ieee_inexact 0
		.amdhsa_exception_int_div_zero 0
	.end_amdhsa_kernel
	.section	.text._ZN2at6native29vectorized_elementwise_kernelILi4EZZZNS0_12_GLOBAL__N_116addr_kernel_cudaERNS_14TensorIteratorERKN3c106ScalarES8_ENKUlvE_clEvENKUlvE6_clEvEUlNS5_7complexIdEESC_SC_E_St5arrayIPcLm4EEEEviT0_T1_,"axG",@progbits,_ZN2at6native29vectorized_elementwise_kernelILi4EZZZNS0_12_GLOBAL__N_116addr_kernel_cudaERNS_14TensorIteratorERKN3c106ScalarES8_ENKUlvE_clEvENKUlvE6_clEvEUlNS5_7complexIdEESC_SC_E_St5arrayIPcLm4EEEEviT0_T1_,comdat
.Lfunc_end130:
	.size	_ZN2at6native29vectorized_elementwise_kernelILi4EZZZNS0_12_GLOBAL__N_116addr_kernel_cudaERNS_14TensorIteratorERKN3c106ScalarES8_ENKUlvE_clEvENKUlvE6_clEvEUlNS5_7complexIdEESC_SC_E_St5arrayIPcLm4EEEEviT0_T1_, .Lfunc_end130-_ZN2at6native29vectorized_elementwise_kernelILi4EZZZNS0_12_GLOBAL__N_116addr_kernel_cudaERNS_14TensorIteratorERKN3c106ScalarES8_ENKUlvE_clEvENKUlvE6_clEvEUlNS5_7complexIdEESC_SC_E_St5arrayIPcLm4EEEEviT0_T1_
                                        ; -- End function
	.set _ZN2at6native29vectorized_elementwise_kernelILi4EZZZNS0_12_GLOBAL__N_116addr_kernel_cudaERNS_14TensorIteratorERKN3c106ScalarES8_ENKUlvE_clEvENKUlvE6_clEvEUlNS5_7complexIdEESC_SC_E_St5arrayIPcLm4EEEEviT0_T1_.num_vgpr, 44
	.set _ZN2at6native29vectorized_elementwise_kernelILi4EZZZNS0_12_GLOBAL__N_116addr_kernel_cudaERNS_14TensorIteratorERKN3c106ScalarES8_ENKUlvE_clEvENKUlvE6_clEvEUlNS5_7complexIdEESC_SC_E_St5arrayIPcLm4EEEEviT0_T1_.num_agpr, 0
	.set _ZN2at6native29vectorized_elementwise_kernelILi4EZZZNS0_12_GLOBAL__N_116addr_kernel_cudaERNS_14TensorIteratorERKN3c106ScalarES8_ENKUlvE_clEvENKUlvE6_clEvEUlNS5_7complexIdEESC_SC_E_St5arrayIPcLm4EEEEviT0_T1_.numbered_sgpr, 18
	.set _ZN2at6native29vectorized_elementwise_kernelILi4EZZZNS0_12_GLOBAL__N_116addr_kernel_cudaERNS_14TensorIteratorERKN3c106ScalarES8_ENKUlvE_clEvENKUlvE6_clEvEUlNS5_7complexIdEESC_SC_E_St5arrayIPcLm4EEEEviT0_T1_.num_named_barrier, 0
	.set _ZN2at6native29vectorized_elementwise_kernelILi4EZZZNS0_12_GLOBAL__N_116addr_kernel_cudaERNS_14TensorIteratorERKN3c106ScalarES8_ENKUlvE_clEvENKUlvE6_clEvEUlNS5_7complexIdEESC_SC_E_St5arrayIPcLm4EEEEviT0_T1_.private_seg_size, 0
	.set _ZN2at6native29vectorized_elementwise_kernelILi4EZZZNS0_12_GLOBAL__N_116addr_kernel_cudaERNS_14TensorIteratorERKN3c106ScalarES8_ENKUlvE_clEvENKUlvE6_clEvEUlNS5_7complexIdEESC_SC_E_St5arrayIPcLm4EEEEviT0_T1_.uses_vcc, 1
	.set _ZN2at6native29vectorized_elementwise_kernelILi4EZZZNS0_12_GLOBAL__N_116addr_kernel_cudaERNS_14TensorIteratorERKN3c106ScalarES8_ENKUlvE_clEvENKUlvE6_clEvEUlNS5_7complexIdEESC_SC_E_St5arrayIPcLm4EEEEviT0_T1_.uses_flat_scratch, 0
	.set _ZN2at6native29vectorized_elementwise_kernelILi4EZZZNS0_12_GLOBAL__N_116addr_kernel_cudaERNS_14TensorIteratorERKN3c106ScalarES8_ENKUlvE_clEvENKUlvE6_clEvEUlNS5_7complexIdEESC_SC_E_St5arrayIPcLm4EEEEviT0_T1_.has_dyn_sized_stack, 0
	.set _ZN2at6native29vectorized_elementwise_kernelILi4EZZZNS0_12_GLOBAL__N_116addr_kernel_cudaERNS_14TensorIteratorERKN3c106ScalarES8_ENKUlvE_clEvENKUlvE6_clEvEUlNS5_7complexIdEESC_SC_E_St5arrayIPcLm4EEEEviT0_T1_.has_recursion, 0
	.set _ZN2at6native29vectorized_elementwise_kernelILi4EZZZNS0_12_GLOBAL__N_116addr_kernel_cudaERNS_14TensorIteratorERKN3c106ScalarES8_ENKUlvE_clEvENKUlvE6_clEvEUlNS5_7complexIdEESC_SC_E_St5arrayIPcLm4EEEEviT0_T1_.has_indirect_call, 0
	.section	.AMDGPU.csdata,"",@progbits
; Kernel info:
; codeLenInByte = 1472
; TotalNumSgprs: 20
; NumVgprs: 44
; ScratchSize: 0
; MemoryBound: 1
; FloatMode: 240
; IeeeMode: 1
; LDSByteSize: 0 bytes/workgroup (compile time only)
; SGPRBlocks: 0
; VGPRBlocks: 2
; NumSGPRsForWavesPerEU: 20
; NumVGPRsForWavesPerEU: 44
; NamedBarCnt: 0
; Occupancy: 16
; WaveLimiterHint : 0
; COMPUTE_PGM_RSRC2:SCRATCH_EN: 0
; COMPUTE_PGM_RSRC2:USER_SGPR: 2
; COMPUTE_PGM_RSRC2:TRAP_HANDLER: 0
; COMPUTE_PGM_RSRC2:TGID_X_EN: 1
; COMPUTE_PGM_RSRC2:TGID_Y_EN: 0
; COMPUTE_PGM_RSRC2:TGID_Z_EN: 0
; COMPUTE_PGM_RSRC2:TIDIG_COMP_CNT: 0
	.section	.text._ZN2at6native29vectorized_elementwise_kernelILi2EZZZNS0_12_GLOBAL__N_116addr_kernel_cudaERNS_14TensorIteratorERKN3c106ScalarES8_ENKUlvE_clEvENKUlvE6_clEvEUlNS5_7complexIdEESC_SC_E_St5arrayIPcLm4EEEEviT0_T1_,"axG",@progbits,_ZN2at6native29vectorized_elementwise_kernelILi2EZZZNS0_12_GLOBAL__N_116addr_kernel_cudaERNS_14TensorIteratorERKN3c106ScalarES8_ENKUlvE_clEvENKUlvE6_clEvEUlNS5_7complexIdEESC_SC_E_St5arrayIPcLm4EEEEviT0_T1_,comdat
	.globl	_ZN2at6native29vectorized_elementwise_kernelILi2EZZZNS0_12_GLOBAL__N_116addr_kernel_cudaERNS_14TensorIteratorERKN3c106ScalarES8_ENKUlvE_clEvENKUlvE6_clEvEUlNS5_7complexIdEESC_SC_E_St5arrayIPcLm4EEEEviT0_T1_ ; -- Begin function _ZN2at6native29vectorized_elementwise_kernelILi2EZZZNS0_12_GLOBAL__N_116addr_kernel_cudaERNS_14TensorIteratorERKN3c106ScalarES8_ENKUlvE_clEvENKUlvE6_clEvEUlNS5_7complexIdEESC_SC_E_St5arrayIPcLm4EEEEviT0_T1_
	.p2align	8
	.type	_ZN2at6native29vectorized_elementwise_kernelILi2EZZZNS0_12_GLOBAL__N_116addr_kernel_cudaERNS_14TensorIteratorERKN3c106ScalarES8_ENKUlvE_clEvENKUlvE6_clEvEUlNS5_7complexIdEESC_SC_E_St5arrayIPcLm4EEEEviT0_T1_,@function
_ZN2at6native29vectorized_elementwise_kernelILi2EZZZNS0_12_GLOBAL__N_116addr_kernel_cudaERNS_14TensorIteratorERKN3c106ScalarES8_ENKUlvE_clEvENKUlvE6_clEvEUlNS5_7complexIdEESC_SC_E_St5arrayIPcLm4EEEEviT0_T1_: ; @_ZN2at6native29vectorized_elementwise_kernelILi2EZZZNS0_12_GLOBAL__N_116addr_kernel_cudaERNS_14TensorIteratorERKN3c106ScalarES8_ENKUlvE_clEvENKUlvE6_clEvEUlNS5_7complexIdEESC_SC_E_St5arrayIPcLm4EEEEviT0_T1_
; %bb.0:
	s_clause 0x3
	s_load_b32 s13, s[0:1], 0x0
	s_load_b128 s[4:7], s[0:1], 0x10
	s_load_b64 s[2:3], s[0:1], 0x20
	s_load_b128 s[8:11], s[0:1], 0x30
	s_wait_xcnt 0x0
	s_bfe_u32 s0, ttmp6, 0x4000c
	s_and_b32 s1, ttmp6, 15
	s_add_co_i32 s0, s0, 1
	s_getreg_b32 s12, hwreg(HW_REG_IB_STS2, 6, 4)
	s_mul_i32 s0, ttmp9, s0
	s_delay_alu instid0(SALU_CYCLE_1) | instskip(SKIP_2) | instid1(SALU_CYCLE_1)
	s_add_co_i32 s1, s1, s0
	s_cmp_eq_u32 s12, 0
	s_cselect_b32 s0, ttmp9, s1
	s_lshl_b32 s12, s0, 10
	s_mov_b32 s0, -1
	s_wait_kmcnt 0x0
	s_sub_co_i32 s14, s13, s12
	s_delay_alu instid0(SALU_CYCLE_1)
	s_cmp_gt_i32 s14, 0x3ff
	s_cbranch_scc0 .LBB131_2
; %bb.1:
	s_ashr_i32 s13, s12, 31
	v_lshlrev_b32_e32 v1, 5, v0
	s_lshl_b64 s[0:1], s[12:13], 4
	s_delay_alu instid0(SALU_CYCLE_1)
	s_add_nc_u64 s[16:17], s[8:9], s[0:1]
	s_clause 0x3
	global_load_b128 v[2:5], v1, s[16:17]
	global_load_b128 v[6:9], v1, s[16:17] offset:16
	global_load_b128 v[10:13], v1, s[16:17] offset:8192
	;; [unrolled: 1-line block ×3, first 2 shown]
	s_wait_xcnt 0x0
	s_add_nc_u64 s[16:17], s[10:11], s[0:1]
	s_wait_loadcnt 0x3
	v_mul_f64_e32 v[34:35], s[4:5], v[4:5]
	v_mul_f64_e32 v[4:5], s[6:7], v[4:5]
	s_wait_loadcnt 0x2
	v_mul_f64_e32 v[36:37], s[4:5], v[8:9]
	v_mul_f64_e32 v[8:9], s[6:7], v[8:9]
	;; [unrolled: 3-line block ×4, first 2 shown]
	v_fmac_f64_e32 v[34:35], s[6:7], v[2:3]
	v_fma_f64 v[2:3], s[4:5], v[2:3], -v[4:5]
	s_clause 0x3
	global_load_b128 v[18:21], v1, s[16:17]
	global_load_b128 v[22:25], v1, s[16:17] offset:16
	global_load_b128 v[26:29], v1, s[16:17] offset:8192
	;; [unrolled: 1-line block ×3, first 2 shown]
	v_fmac_f64_e32 v[36:37], s[6:7], v[6:7]
	v_fma_f64 v[6:7], s[4:5], v[6:7], -v[8:9]
	v_fmac_f64_e32 v[38:39], s[6:7], v[10:11]
	v_fma_f64 v[10:11], s[4:5], v[10:11], -v[12:13]
	;; [unrolled: 2-line block ×3, first 2 shown]
	s_wait_xcnt 0x0
	s_add_nc_u64 s[16:17], s[2:3], s[0:1]
	s_mov_b32 s0, 0
	s_wait_loadcnt 0x3
	v_mul_f64_e32 v[42:43], v[34:35], v[20:21]
	v_mul_f64_e32 v[4:5], v[2:3], v[20:21]
	s_wait_loadcnt 0x2
	v_mul_f64_e32 v[20:21], v[36:37], v[24:25]
	v_mul_f64_e32 v[8:9], v[6:7], v[24:25]
	;; [unrolled: 3-line block ×4, first 2 shown]
	v_fma_f64 v[2:3], v[2:3], v[18:19], -v[42:43]
	v_fmac_f64_e32 v[4:5], v[34:35], v[18:19]
	v_fma_f64 v[6:7], v[6:7], v[22:23], -v[20:21]
	v_fmac_f64_e32 v[8:9], v[36:37], v[22:23]
	;; [unrolled: 2-line block ×4, first 2 shown]
	s_clause 0x3
	global_store_b128 v1, v[2:5], s[16:17]
	global_store_b128 v1, v[6:9], s[16:17] offset:16
	global_store_b128 v1, v[10:13], s[16:17] offset:8192
	;; [unrolled: 1-line block ×3, first 2 shown]
.LBB131_2:
	s_and_not1_b32 vcc_lo, exec_lo, s0
	s_cbranch_vccnz .LBB131_23
; %bb.3:
	s_wait_xcnt 0x3
	v_mov_b64_e32 v[2:3], 0
	s_wait_xcnt 0x1
	v_mov_b64_e32 v[10:11], 0
	v_mov_b64_e32 v[12:13], 0
	s_wait_xcnt 0x0
	v_mov_b64_e32 v[14:15], 0
	v_mov_b64_e32 v[16:17], 0
	v_cmp_gt_i32_e32 vcc_lo, s14, v0
	v_dual_mov_b32 v30, v0 :: v_dual_bitop2_b32 v1, s12, v0 bitop3:0x54
	v_or_b32_e32 v42, 0x100, v0
	s_and_saveexec_b32 s0, vcc_lo
	s_cbranch_execz .LBB131_5
; %bb.4:
	s_clause 0x1
	global_load_b128 v[14:17], v1, s[8:9] scale_offset
	global_load_b128 v[10:13], v1, s[10:11] scale_offset
	v_or_b32_e32 v30, 0x100, v0
.LBB131_5:
	s_wait_xcnt 0x0
	s_or_b32 exec_lo, exec_lo, s0
	v_mov_b64_e32 v[4:5], 0
	v_mov_b64_e32 v[18:19], 0
	;; [unrolled: 1-line block ×3, first 2 shown]
	s_mov_b32 s1, exec_lo
	v_cmpx_gt_i32_e64 s14, v30
	s_cbranch_execz .LBB131_7
; %bb.6:
	v_add_nc_u32_e32 v6, s12, v30
	v_add_nc_u32_e32 v30, 0x100, v30
	s_clause 0x1
	global_load_b128 v[18:21], v6, s[8:9] scale_offset
	global_load_b128 v[2:5], v6, s[10:11] scale_offset
.LBB131_7:
	s_wait_xcnt 0x0
	s_or_b32 exec_lo, exec_lo, s1
	v_mov_b64_e32 v[6:7], 0
	v_mov_b64_e32 v[22:23], 0
	v_mov_b64_e32 v[24:25], 0
	v_mov_b64_e32 v[26:27], 0
	v_mov_b64_e32 v[28:29], 0
	s_mov_b32 s1, exec_lo
	v_cmpx_gt_i32_e64 s14, v30
	s_cbranch_execz .LBB131_9
; %bb.8:
	v_add_nc_u32_e32 v8, s12, v30
	v_add_nc_u32_e32 v30, 0x100, v30
	s_clause 0x1
	global_load_b128 v[26:29], v8, s[8:9] scale_offset
	global_load_b128 v[22:25], v8, s[10:11] scale_offset
.LBB131_9:
	s_wait_xcnt 0x0
	s_or_b32 exec_lo, exec_lo, s1
	v_mov_b64_e32 v[8:9], 0
	v_mov_b64_e32 v[34:35], 0
	;; [unrolled: 1-line block ×3, first 2 shown]
	s_mov_b32 s1, exec_lo
	v_cmpx_gt_i32_e64 s14, v30
	s_cbranch_execz .LBB131_11
; %bb.10:
	v_add_nc_u32_e32 v30, s12, v30
	s_clause 0x1
	global_load_b128 v[34:37], v30, s[8:9] scale_offset
	global_load_b128 v[6:9], v30, s[10:11] scale_offset
.LBB131_11:
	s_wait_xcnt 0x0
	s_or_b32 exec_lo, exec_lo, s1
	v_mov_b64_e32 v[32:33], 0
	v_mov_b64_e32 v[40:41], 0
	;; [unrolled: 1-line block ×3, first 2 shown]
	s_and_saveexec_b32 s0, vcc_lo
	s_cbranch_execz .LBB131_13
; %bb.12:
	s_wait_loadcnt 0x1
	v_mul_f64_e32 v[30:31], s[4:5], v[16:17]
	v_mul_f64_e32 v[16:17], s[6:7], v[16:17]
	s_delay_alu instid0(VALU_DEP_2) | instskip(NEXT) | instid1(VALU_DEP_2)
	v_fmac_f64_e32 v[30:31], s[6:7], v[14:15]
	v_fma_f64 v[14:15], s[4:5], v[14:15], -v[16:17]
	s_wait_loadcnt 0x0
	s_delay_alu instid0(VALU_DEP_2) | instskip(SKIP_1) | instid1(VALU_DEP_2)
	v_mul_f64_e32 v[16:17], v[12:13], v[30:31]
	v_mul_f64_e32 v[40:41], v[10:11], v[30:31]
	v_fma_f64 v[38:39], v[10:11], v[14:15], -v[16:17]
	s_delay_alu instid0(VALU_DEP_2)
	v_fmac_f64_e32 v[40:41], v[12:13], v[14:15]
.LBB131_13:
	s_or_b32 exec_lo, exec_lo, s0
	v_mov_b64_e32 v[30:31], 0
	s_mov_b32 s1, exec_lo
	v_cmpx_gt_i32_e64 s14, v42
	s_cbranch_execz .LBB131_15
; %bb.14:
	s_wait_loadcnt 0x0
	v_mul_f64_e32 v[10:11], s[4:5], v[20:21]
	v_mul_f64_e32 v[12:13], s[6:7], v[20:21]
	s_delay_alu instid0(VALU_DEP_2) | instskip(NEXT) | instid1(VALU_DEP_2)
	v_fmac_f64_e32 v[10:11], s[6:7], v[18:19]
	v_fma_f64 v[12:13], s[4:5], v[18:19], -v[12:13]
	s_delay_alu instid0(VALU_DEP_2) | instskip(SKIP_1) | instid1(VALU_DEP_2)
	v_mul_f64_e32 v[14:15], v[4:5], v[10:11]
	v_mul_f64_e32 v[32:33], v[2:3], v[10:11]
	v_fma_f64 v[30:31], v[2:3], v[12:13], -v[14:15]
	s_delay_alu instid0(VALU_DEP_2)
	v_fmac_f64_e32 v[32:33], v[4:5], v[12:13]
.LBB131_15:
	s_or_b32 exec_lo, exec_lo, s1
	s_wait_loadcnt 0x0
	v_mov_b64_e32 v[4:5], 0
	v_mov_b64_e32 v[12:13], 0
	;; [unrolled: 1-line block ×3, first 2 shown]
	v_or_b32_e32 v2, 0x200, v0
	s_mov_b32 s1, exec_lo
	s_delay_alu instid0(VALU_DEP_1)
	v_cmpx_gt_i32_e64 s14, v2
	s_cbranch_execz .LBB131_17
; %bb.16:
	v_mul_f64_e32 v[2:3], s[4:5], v[28:29]
	v_mul_f64_e32 v[10:11], s[6:7], v[28:29]
	s_delay_alu instid0(VALU_DEP_2) | instskip(NEXT) | instid1(VALU_DEP_2)
	v_fmac_f64_e32 v[2:3], s[6:7], v[26:27]
	v_fma_f64 v[14:15], s[4:5], v[26:27], -v[10:11]
	s_delay_alu instid0(VALU_DEP_2) | instskip(SKIP_1) | instid1(VALU_DEP_2)
	v_mul_f64_e32 v[10:11], v[24:25], v[2:3]
	v_mul_f64_e32 v[12:13], v[22:23], v[2:3]
	v_fma_f64 v[10:11], v[22:23], v[14:15], -v[10:11]
	s_delay_alu instid0(VALU_DEP_2)
	v_fmac_f64_e32 v[12:13], v[24:25], v[14:15]
.LBB131_17:
	s_or_b32 exec_lo, exec_lo, s1
	v_mov_b64_e32 v[2:3], 0
	v_or_b32_e32 v14, 0x300, v0
	s_mov_b32 s1, exec_lo
	s_delay_alu instid0(VALU_DEP_1)
	v_cmpx_gt_i32_e64 s14, v14
	s_cbranch_execnz .LBB131_24
; %bb.18:
	s_or_b32 exec_lo, exec_lo, s1
	s_and_saveexec_b32 s0, vcc_lo
	s_delay_alu instid0(SALU_CYCLE_1)
	s_xor_b32 s0, exec_lo, s0
	s_cbranch_execnz .LBB131_25
.LBB131_19:
	s_or_b32 exec_lo, exec_lo, s0
	s_delay_alu instid0(SALU_CYCLE_1)
	s_mov_b32 s0, exec_lo
	v_cmpx_gt_i32_e64 s14, v0
	s_cbranch_execnz .LBB131_26
.LBB131_20:
	s_or_b32 exec_lo, exec_lo, s0
	s_delay_alu instid0(SALU_CYCLE_1)
	s_mov_b32 s0, exec_lo
	v_cmpx_gt_i32_e64 s14, v0
	s_cbranch_execnz .LBB131_27
.LBB131_21:
	s_or_b32 exec_lo, exec_lo, s0
	s_delay_alu instid0(SALU_CYCLE_1)
	s_mov_b32 s0, exec_lo
	v_cmpx_gt_i32_e64 s14, v0
	s_cbranch_execz .LBB131_23
.LBB131_22:
	v_add_nc_u32_e32 v0, s12, v0
	global_store_b128 v0, v[2:5], s[2:3] scale_offset
.LBB131_23:
	s_endpgm
.LBB131_24:
	v_mul_f64_e32 v[2:3], s[4:5], v[36:37]
	v_mul_f64_e32 v[4:5], s[6:7], v[36:37]
	s_delay_alu instid0(VALU_DEP_2) | instskip(NEXT) | instid1(VALU_DEP_2)
	v_fmac_f64_e32 v[2:3], s[6:7], v[34:35]
	v_fma_f64 v[14:15], s[4:5], v[34:35], -v[4:5]
	s_delay_alu instid0(VALU_DEP_2) | instskip(SKIP_1) | instid1(VALU_DEP_2)
	v_mul_f64_e32 v[16:17], v[8:9], v[2:3]
	v_mul_f64_e32 v[4:5], v[6:7], v[2:3]
	v_fma_f64 v[2:3], v[6:7], v[14:15], -v[16:17]
	s_delay_alu instid0(VALU_DEP_2) | instskip(SKIP_2) | instid1(SALU_CYCLE_1)
	v_fmac_f64_e32 v[4:5], v[8:9], v[14:15]
	s_or_b32 exec_lo, exec_lo, s1
	s_and_saveexec_b32 s0, vcc_lo
	s_xor_b32 s0, exec_lo, s0
	s_cbranch_execz .LBB131_19
.LBB131_25:
	v_mov_b32_e32 v0, v42
	global_store_b128 v1, v[38:41], s[2:3] scale_offset
	s_wait_xcnt 0x0
	s_or_b32 exec_lo, exec_lo, s0
	s_delay_alu instid0(SALU_CYCLE_1)
	s_mov_b32 s0, exec_lo
	v_cmpx_gt_i32_e64 s14, v0
	s_cbranch_execz .LBB131_20
.LBB131_26:
	v_add_nc_u32_e32 v1, s12, v0
	v_add_nc_u32_e32 v0, 0x100, v0
	global_store_b128 v1, v[30:33], s[2:3] scale_offset
	s_wait_xcnt 0x0
	s_or_b32 exec_lo, exec_lo, s0
	s_delay_alu instid0(SALU_CYCLE_1)
	s_mov_b32 s0, exec_lo
	v_cmpx_gt_i32_e64 s14, v0
	s_cbranch_execz .LBB131_21
.LBB131_27:
	v_add_nc_u32_e32 v1, s12, v0
	v_add_nc_u32_e32 v0, 0x100, v0
	global_store_b128 v1, v[10:13], s[2:3] scale_offset
	s_wait_xcnt 0x0
	s_or_b32 exec_lo, exec_lo, s0
	s_delay_alu instid0(SALU_CYCLE_1)
	s_mov_b32 s0, exec_lo
	v_cmpx_gt_i32_e64 s14, v0
	s_cbranch_execnz .LBB131_22
	s_branch .LBB131_23
	.section	.rodata,"a",@progbits
	.p2align	6, 0x0
	.amdhsa_kernel _ZN2at6native29vectorized_elementwise_kernelILi2EZZZNS0_12_GLOBAL__N_116addr_kernel_cudaERNS_14TensorIteratorERKN3c106ScalarES8_ENKUlvE_clEvENKUlvE6_clEvEUlNS5_7complexIdEESC_SC_E_St5arrayIPcLm4EEEEviT0_T1_
		.amdhsa_group_segment_fixed_size 0
		.amdhsa_private_segment_fixed_size 0
		.amdhsa_kernarg_size 64
		.amdhsa_user_sgpr_count 2
		.amdhsa_user_sgpr_dispatch_ptr 0
		.amdhsa_user_sgpr_queue_ptr 0
		.amdhsa_user_sgpr_kernarg_segment_ptr 1
		.amdhsa_user_sgpr_dispatch_id 0
		.amdhsa_user_sgpr_kernarg_preload_length 0
		.amdhsa_user_sgpr_kernarg_preload_offset 0
		.amdhsa_user_sgpr_private_segment_size 0
		.amdhsa_wavefront_size32 1
		.amdhsa_uses_dynamic_stack 0
		.amdhsa_enable_private_segment 0
		.amdhsa_system_sgpr_workgroup_id_x 1
		.amdhsa_system_sgpr_workgroup_id_y 0
		.amdhsa_system_sgpr_workgroup_id_z 0
		.amdhsa_system_sgpr_workgroup_info 0
		.amdhsa_system_vgpr_workitem_id 0
		.amdhsa_next_free_vgpr 44
		.amdhsa_next_free_sgpr 18
		.amdhsa_named_barrier_count 0
		.amdhsa_reserve_vcc 1
		.amdhsa_float_round_mode_32 0
		.amdhsa_float_round_mode_16_64 0
		.amdhsa_float_denorm_mode_32 3
		.amdhsa_float_denorm_mode_16_64 3
		.amdhsa_fp16_overflow 0
		.amdhsa_memory_ordered 1
		.amdhsa_forward_progress 1
		.amdhsa_inst_pref_size 12
		.amdhsa_round_robin_scheduling 0
		.amdhsa_exception_fp_ieee_invalid_op 0
		.amdhsa_exception_fp_denorm_src 0
		.amdhsa_exception_fp_ieee_div_zero 0
		.amdhsa_exception_fp_ieee_overflow 0
		.amdhsa_exception_fp_ieee_underflow 0
		.amdhsa_exception_fp_ieee_inexact 0
		.amdhsa_exception_int_div_zero 0
	.end_amdhsa_kernel
	.section	.text._ZN2at6native29vectorized_elementwise_kernelILi2EZZZNS0_12_GLOBAL__N_116addr_kernel_cudaERNS_14TensorIteratorERKN3c106ScalarES8_ENKUlvE_clEvENKUlvE6_clEvEUlNS5_7complexIdEESC_SC_E_St5arrayIPcLm4EEEEviT0_T1_,"axG",@progbits,_ZN2at6native29vectorized_elementwise_kernelILi2EZZZNS0_12_GLOBAL__N_116addr_kernel_cudaERNS_14TensorIteratorERKN3c106ScalarES8_ENKUlvE_clEvENKUlvE6_clEvEUlNS5_7complexIdEESC_SC_E_St5arrayIPcLm4EEEEviT0_T1_,comdat
.Lfunc_end131:
	.size	_ZN2at6native29vectorized_elementwise_kernelILi2EZZZNS0_12_GLOBAL__N_116addr_kernel_cudaERNS_14TensorIteratorERKN3c106ScalarES8_ENKUlvE_clEvENKUlvE6_clEvEUlNS5_7complexIdEESC_SC_E_St5arrayIPcLm4EEEEviT0_T1_, .Lfunc_end131-_ZN2at6native29vectorized_elementwise_kernelILi2EZZZNS0_12_GLOBAL__N_116addr_kernel_cudaERNS_14TensorIteratorERKN3c106ScalarES8_ENKUlvE_clEvENKUlvE6_clEvEUlNS5_7complexIdEESC_SC_E_St5arrayIPcLm4EEEEviT0_T1_
                                        ; -- End function
	.set _ZN2at6native29vectorized_elementwise_kernelILi2EZZZNS0_12_GLOBAL__N_116addr_kernel_cudaERNS_14TensorIteratorERKN3c106ScalarES8_ENKUlvE_clEvENKUlvE6_clEvEUlNS5_7complexIdEESC_SC_E_St5arrayIPcLm4EEEEviT0_T1_.num_vgpr, 44
	.set _ZN2at6native29vectorized_elementwise_kernelILi2EZZZNS0_12_GLOBAL__N_116addr_kernel_cudaERNS_14TensorIteratorERKN3c106ScalarES8_ENKUlvE_clEvENKUlvE6_clEvEUlNS5_7complexIdEESC_SC_E_St5arrayIPcLm4EEEEviT0_T1_.num_agpr, 0
	.set _ZN2at6native29vectorized_elementwise_kernelILi2EZZZNS0_12_GLOBAL__N_116addr_kernel_cudaERNS_14TensorIteratorERKN3c106ScalarES8_ENKUlvE_clEvENKUlvE6_clEvEUlNS5_7complexIdEESC_SC_E_St5arrayIPcLm4EEEEviT0_T1_.numbered_sgpr, 18
	.set _ZN2at6native29vectorized_elementwise_kernelILi2EZZZNS0_12_GLOBAL__N_116addr_kernel_cudaERNS_14TensorIteratorERKN3c106ScalarES8_ENKUlvE_clEvENKUlvE6_clEvEUlNS5_7complexIdEESC_SC_E_St5arrayIPcLm4EEEEviT0_T1_.num_named_barrier, 0
	.set _ZN2at6native29vectorized_elementwise_kernelILi2EZZZNS0_12_GLOBAL__N_116addr_kernel_cudaERNS_14TensorIteratorERKN3c106ScalarES8_ENKUlvE_clEvENKUlvE6_clEvEUlNS5_7complexIdEESC_SC_E_St5arrayIPcLm4EEEEviT0_T1_.private_seg_size, 0
	.set _ZN2at6native29vectorized_elementwise_kernelILi2EZZZNS0_12_GLOBAL__N_116addr_kernel_cudaERNS_14TensorIteratorERKN3c106ScalarES8_ENKUlvE_clEvENKUlvE6_clEvEUlNS5_7complexIdEESC_SC_E_St5arrayIPcLm4EEEEviT0_T1_.uses_vcc, 1
	.set _ZN2at6native29vectorized_elementwise_kernelILi2EZZZNS0_12_GLOBAL__N_116addr_kernel_cudaERNS_14TensorIteratorERKN3c106ScalarES8_ENKUlvE_clEvENKUlvE6_clEvEUlNS5_7complexIdEESC_SC_E_St5arrayIPcLm4EEEEviT0_T1_.uses_flat_scratch, 0
	.set _ZN2at6native29vectorized_elementwise_kernelILi2EZZZNS0_12_GLOBAL__N_116addr_kernel_cudaERNS_14TensorIteratorERKN3c106ScalarES8_ENKUlvE_clEvENKUlvE6_clEvEUlNS5_7complexIdEESC_SC_E_St5arrayIPcLm4EEEEviT0_T1_.has_dyn_sized_stack, 0
	.set _ZN2at6native29vectorized_elementwise_kernelILi2EZZZNS0_12_GLOBAL__N_116addr_kernel_cudaERNS_14TensorIteratorERKN3c106ScalarES8_ENKUlvE_clEvENKUlvE6_clEvEUlNS5_7complexIdEESC_SC_E_St5arrayIPcLm4EEEEviT0_T1_.has_recursion, 0
	.set _ZN2at6native29vectorized_elementwise_kernelILi2EZZZNS0_12_GLOBAL__N_116addr_kernel_cudaERNS_14TensorIteratorERKN3c106ScalarES8_ENKUlvE_clEvENKUlvE6_clEvEUlNS5_7complexIdEESC_SC_E_St5arrayIPcLm4EEEEviT0_T1_.has_indirect_call, 0
	.section	.AMDGPU.csdata,"",@progbits
; Kernel info:
; codeLenInByte = 1472
; TotalNumSgprs: 20
; NumVgprs: 44
; ScratchSize: 0
; MemoryBound: 1
; FloatMode: 240
; IeeeMode: 1
; LDSByteSize: 0 bytes/workgroup (compile time only)
; SGPRBlocks: 0
; VGPRBlocks: 2
; NumSGPRsForWavesPerEU: 20
; NumVGPRsForWavesPerEU: 44
; NamedBarCnt: 0
; Occupancy: 16
; WaveLimiterHint : 1
; COMPUTE_PGM_RSRC2:SCRATCH_EN: 0
; COMPUTE_PGM_RSRC2:USER_SGPR: 2
; COMPUTE_PGM_RSRC2:TRAP_HANDLER: 0
; COMPUTE_PGM_RSRC2:TGID_X_EN: 1
; COMPUTE_PGM_RSRC2:TGID_Y_EN: 0
; COMPUTE_PGM_RSRC2:TGID_Z_EN: 0
; COMPUTE_PGM_RSRC2:TIDIG_COMP_CNT: 0
	.section	.text._ZN2at6native27unrolled_elementwise_kernelIZZZNS0_12_GLOBAL__N_116addr_kernel_cudaERNS_14TensorIteratorERKN3c106ScalarES8_ENKUlvE_clEvENKUlvE6_clEvEUlNS5_7complexIdEESC_SC_E_St5arrayIPcLm4EELi4E23TrivialOffsetCalculatorILi3EjESH_ILi1EjENS0_6memory15LoadWithoutCastENSK_16StoreWithoutCastEEEviT_T0_T2_T3_T4_T5_,"axG",@progbits,_ZN2at6native27unrolled_elementwise_kernelIZZZNS0_12_GLOBAL__N_116addr_kernel_cudaERNS_14TensorIteratorERKN3c106ScalarES8_ENKUlvE_clEvENKUlvE6_clEvEUlNS5_7complexIdEESC_SC_E_St5arrayIPcLm4EELi4E23TrivialOffsetCalculatorILi3EjESH_ILi1EjENS0_6memory15LoadWithoutCastENSK_16StoreWithoutCastEEEviT_T0_T2_T3_T4_T5_,comdat
	.globl	_ZN2at6native27unrolled_elementwise_kernelIZZZNS0_12_GLOBAL__N_116addr_kernel_cudaERNS_14TensorIteratorERKN3c106ScalarES8_ENKUlvE_clEvENKUlvE6_clEvEUlNS5_7complexIdEESC_SC_E_St5arrayIPcLm4EELi4E23TrivialOffsetCalculatorILi3EjESH_ILi1EjENS0_6memory15LoadWithoutCastENSK_16StoreWithoutCastEEEviT_T0_T2_T3_T4_T5_ ; -- Begin function _ZN2at6native27unrolled_elementwise_kernelIZZZNS0_12_GLOBAL__N_116addr_kernel_cudaERNS_14TensorIteratorERKN3c106ScalarES8_ENKUlvE_clEvENKUlvE6_clEvEUlNS5_7complexIdEESC_SC_E_St5arrayIPcLm4EELi4E23TrivialOffsetCalculatorILi3EjESH_ILi1EjENS0_6memory15LoadWithoutCastENSK_16StoreWithoutCastEEEviT_T0_T2_T3_T4_T5_
	.p2align	8
	.type	_ZN2at6native27unrolled_elementwise_kernelIZZZNS0_12_GLOBAL__N_116addr_kernel_cudaERNS_14TensorIteratorERKN3c106ScalarES8_ENKUlvE_clEvENKUlvE6_clEvEUlNS5_7complexIdEESC_SC_E_St5arrayIPcLm4EELi4E23TrivialOffsetCalculatorILi3EjESH_ILi1EjENS0_6memory15LoadWithoutCastENSK_16StoreWithoutCastEEEviT_T0_T2_T3_T4_T5_,@function
_ZN2at6native27unrolled_elementwise_kernelIZZZNS0_12_GLOBAL__N_116addr_kernel_cudaERNS_14TensorIteratorERKN3c106ScalarES8_ENKUlvE_clEvENKUlvE6_clEvEUlNS5_7complexIdEESC_SC_E_St5arrayIPcLm4EELi4E23TrivialOffsetCalculatorILi3EjESH_ILi1EjENS0_6memory15LoadWithoutCastENSK_16StoreWithoutCastEEEviT_T0_T2_T3_T4_T5_: ; @_ZN2at6native27unrolled_elementwise_kernelIZZZNS0_12_GLOBAL__N_116addr_kernel_cudaERNS_14TensorIteratorERKN3c106ScalarES8_ENKUlvE_clEvENKUlvE6_clEvEUlNS5_7complexIdEESC_SC_E_St5arrayIPcLm4EELi4E23TrivialOffsetCalculatorILi3EjESH_ILi1EjENS0_6memory15LoadWithoutCastENSK_16StoreWithoutCastEEEviT_T0_T2_T3_T4_T5_
; %bb.0:
	s_clause 0x1
	s_load_b32 s2, s[0:1], 0x0
	s_load_b128 s[8:11], s[0:1], 0x30
	s_bfe_u32 s4, ttmp6, 0x4000c
	s_and_b32 s3, ttmp6, 15
	s_add_co_i32 s4, s4, 1
	s_getreg_b32 s5, hwreg(HW_REG_IB_STS2, 6, 4)
	s_mul_i32 s4, ttmp9, s4
	v_mov_b64_e32 v[2:3], 0
	s_add_co_i32 s3, s3, s4
	s_cmp_eq_u32 s5, 0
	v_mov_b64_e32 v[6:7], 0
	s_cselect_b32 s3, ttmp9, s3
	v_mov_b64_e32 v[8:9], 0
	s_lshl_b32 s12, s3, 10
	v_mov_b64_e32 v[10:11], 0
	v_mov_b64_e32 v[12:13], 0
	v_or_b32_e32 v1, 0x100, v0
	v_dual_mov_b32 v30, v0 :: v_dual_bitop2_b32 v42, s12, v0 bitop3:0x54
	s_wait_kmcnt 0x0
	s_sub_co_i32 s13, s2, s12
	s_delay_alu instid0(SALU_CYCLE_1)
	v_cmp_gt_i32_e32 vcc_lo, s13, v0
	s_and_saveexec_b32 s2, vcc_lo
	s_cbranch_execz .LBB132_2
; %bb.1:
	s_clause 0x1
	global_load_b128 v[10:13], v42, s[8:9] scale_offset
	global_load_b128 v[6:9], v42, s[10:11] scale_offset
	v_or_b32_e32 v30, 0x100, v0
.LBB132_2:
	s_wait_xcnt 0x0
	s_or_b32 exec_lo, exec_lo, s2
	s_clause 0x1
	s_load_b128 s[4:7], s[0:1], 0x10
	s_load_b64 s[2:3], s[0:1], 0x20
	v_mov_b64_e32 v[4:5], 0
	v_mov_b64_e32 v[18:19], 0
	;; [unrolled: 1-line block ×3, first 2 shown]
	s_wait_xcnt 0x0
	s_mov_b32 s1, exec_lo
	v_cmpx_gt_i32_e64 s13, v30
	s_cbranch_execz .LBB132_4
; %bb.3:
	v_add_nc_u32_e32 v14, s12, v30
	v_add_nc_u32_e32 v30, 0x100, v30
	s_clause 0x1
	global_load_b128 v[18:21], v14, s[8:9] scale_offset
	global_load_b128 v[2:5], v14, s[10:11] scale_offset
.LBB132_4:
	s_wait_xcnt 0x0
	s_or_b32 exec_lo, exec_lo, s1
	v_mov_b64_e32 v[14:15], 0
	v_mov_b64_e32 v[22:23], 0
	;; [unrolled: 1-line block ×5, first 2 shown]
	s_mov_b32 s1, exec_lo
	v_cmpx_gt_i32_e64 s13, v30
	s_cbranch_execz .LBB132_6
; %bb.5:
	v_add_nc_u32_e32 v16, s12, v30
	v_add_nc_u32_e32 v30, 0x100, v30
	s_clause 0x1
	global_load_b128 v[26:29], v16, s[8:9] scale_offset
	global_load_b128 v[22:25], v16, s[10:11] scale_offset
.LBB132_6:
	s_wait_xcnt 0x0
	s_or_b32 exec_lo, exec_lo, s1
	v_mov_b64_e32 v[16:17], 0
	v_mov_b64_e32 v[34:35], 0
	;; [unrolled: 1-line block ×3, first 2 shown]
	s_mov_b32 s1, exec_lo
	v_cmpx_gt_i32_e64 s13, v30
	s_cbranch_execz .LBB132_8
; %bb.7:
	v_add_nc_u32_e32 v30, s12, v30
	s_clause 0x1
	global_load_b128 v[34:37], v30, s[8:9] scale_offset
	global_load_b128 v[14:17], v30, s[10:11] scale_offset
.LBB132_8:
	s_wait_xcnt 0x0
	s_or_b32 exec_lo, exec_lo, s1
	v_mov_b64_e32 v[32:33], 0
	v_mov_b64_e32 v[40:41], 0
	;; [unrolled: 1-line block ×3, first 2 shown]
	s_and_saveexec_b32 s0, vcc_lo
	s_cbranch_execz .LBB132_10
; %bb.9:
	s_wait_loadcnt 0x1
	s_wait_kmcnt 0x0
	v_mul_f64_e32 v[30:31], s[4:5], v[12:13]
	v_mul_f64_e32 v[12:13], s[6:7], v[12:13]
	s_delay_alu instid0(VALU_DEP_2) | instskip(NEXT) | instid1(VALU_DEP_2)
	v_fmac_f64_e32 v[30:31], s[6:7], v[10:11]
	v_fma_f64 v[10:11], s[4:5], v[10:11], -v[12:13]
	s_wait_loadcnt 0x0
	s_delay_alu instid0(VALU_DEP_2) | instskip(SKIP_1) | instid1(VALU_DEP_2)
	v_mul_f64_e32 v[12:13], v[8:9], v[30:31]
	v_mul_f64_e32 v[40:41], v[6:7], v[30:31]
	v_fma_f64 v[38:39], v[6:7], v[10:11], -v[12:13]
	s_delay_alu instid0(VALU_DEP_2)
	v_fmac_f64_e32 v[40:41], v[8:9], v[10:11]
.LBB132_10:
	s_or_b32 exec_lo, exec_lo, s0
	v_mov_b64_e32 v[30:31], 0
	s_mov_b32 s1, exec_lo
	v_cmpx_gt_i32_e64 s13, v1
	s_cbranch_execz .LBB132_12
; %bb.11:
	s_wait_loadcnt 0x0
	s_wait_kmcnt 0x0
	v_mul_f64_e32 v[6:7], s[4:5], v[20:21]
	v_mul_f64_e32 v[8:9], s[6:7], v[20:21]
	s_delay_alu instid0(VALU_DEP_2) | instskip(NEXT) | instid1(VALU_DEP_2)
	v_fmac_f64_e32 v[6:7], s[6:7], v[18:19]
	v_fma_f64 v[8:9], s[4:5], v[18:19], -v[8:9]
	s_delay_alu instid0(VALU_DEP_2) | instskip(SKIP_1) | instid1(VALU_DEP_2)
	v_mul_f64_e32 v[10:11], v[4:5], v[6:7]
	v_mul_f64_e32 v[32:33], v[2:3], v[6:7]
	v_fma_f64 v[30:31], v[2:3], v[8:9], -v[10:11]
	s_delay_alu instid0(VALU_DEP_2)
	v_fmac_f64_e32 v[32:33], v[4:5], v[8:9]
.LBB132_12:
	s_or_b32 exec_lo, exec_lo, s1
	s_wait_loadcnt 0x0
	v_mov_b64_e32 v[4:5], 0
	v_mov_b64_e32 v[8:9], 0
	;; [unrolled: 1-line block ×3, first 2 shown]
	v_or_b32_e32 v2, 0x200, v0
	s_mov_b32 s1, exec_lo
	s_delay_alu instid0(VALU_DEP_1)
	v_cmpx_gt_i32_e64 s13, v2
	s_cbranch_execz .LBB132_14
; %bb.13:
	s_wait_kmcnt 0x0
	v_mul_f64_e32 v[2:3], s[4:5], v[28:29]
	v_mul_f64_e32 v[6:7], s[6:7], v[28:29]
	s_delay_alu instid0(VALU_DEP_2) | instskip(NEXT) | instid1(VALU_DEP_2)
	v_fmac_f64_e32 v[2:3], s[6:7], v[26:27]
	v_fma_f64 v[10:11], s[4:5], v[26:27], -v[6:7]
	s_delay_alu instid0(VALU_DEP_2) | instskip(SKIP_1) | instid1(VALU_DEP_2)
	v_mul_f64_e32 v[6:7], v[24:25], v[2:3]
	v_mul_f64_e32 v[8:9], v[22:23], v[2:3]
	v_fma_f64 v[6:7], v[22:23], v[10:11], -v[6:7]
	s_delay_alu instid0(VALU_DEP_2)
	v_fmac_f64_e32 v[8:9], v[24:25], v[10:11]
.LBB132_14:
	s_or_b32 exec_lo, exec_lo, s1
	v_mov_b64_e32 v[2:3], 0
	v_or_b32_e32 v10, 0x300, v0
	s_mov_b32 s1, exec_lo
	s_delay_alu instid0(VALU_DEP_1)
	v_cmpx_gt_i32_e64 s13, v10
	s_cbranch_execnz .LBB132_20
; %bb.15:
	s_or_b32 exec_lo, exec_lo, s1
	s_and_saveexec_b32 s0, vcc_lo
	s_delay_alu instid0(SALU_CYCLE_1)
	s_xor_b32 s0, exec_lo, s0
	s_cbranch_execnz .LBB132_21
.LBB132_16:
	s_or_b32 exec_lo, exec_lo, s0
	s_delay_alu instid0(SALU_CYCLE_1)
	s_mov_b32 s0, exec_lo
	v_cmpx_gt_i32_e64 s13, v0
	s_cbranch_execnz .LBB132_22
.LBB132_17:
	s_or_b32 exec_lo, exec_lo, s0
	s_delay_alu instid0(SALU_CYCLE_1)
	s_mov_b32 s0, exec_lo
	v_cmpx_gt_i32_e64 s13, v0
	s_cbranch_execnz .LBB132_23
.LBB132_18:
	s_or_b32 exec_lo, exec_lo, s0
	s_delay_alu instid0(SALU_CYCLE_1)
	s_mov_b32 s0, exec_lo
	v_cmpx_gt_i32_e64 s13, v0
	s_cbranch_execnz .LBB132_24
.LBB132_19:
	s_endpgm
.LBB132_20:
	s_wait_kmcnt 0x0
	v_mul_f64_e32 v[2:3], s[4:5], v[36:37]
	v_mul_f64_e32 v[4:5], s[6:7], v[36:37]
	s_delay_alu instid0(VALU_DEP_2) | instskip(NEXT) | instid1(VALU_DEP_2)
	v_fmac_f64_e32 v[2:3], s[6:7], v[34:35]
	v_fma_f64 v[10:11], s[4:5], v[34:35], -v[4:5]
	s_delay_alu instid0(VALU_DEP_2) | instskip(SKIP_1) | instid1(VALU_DEP_2)
	v_mul_f64_e32 v[12:13], v[16:17], v[2:3]
	v_mul_f64_e32 v[4:5], v[14:15], v[2:3]
	v_fma_f64 v[2:3], v[14:15], v[10:11], -v[12:13]
	s_delay_alu instid0(VALU_DEP_2) | instskip(SKIP_2) | instid1(SALU_CYCLE_1)
	v_fmac_f64_e32 v[4:5], v[16:17], v[10:11]
	s_or_b32 exec_lo, exec_lo, s1
	s_and_saveexec_b32 s0, vcc_lo
	s_xor_b32 s0, exec_lo, s0
	s_cbranch_execz .LBB132_16
.LBB132_21:
	v_mov_b32_e32 v0, v1
	s_wait_kmcnt 0x0
	global_store_b128 v42, v[38:41], s[2:3] scale_offset
	s_wait_xcnt 0x0
	s_or_b32 exec_lo, exec_lo, s0
	s_delay_alu instid0(SALU_CYCLE_1)
	s_mov_b32 s0, exec_lo
	v_cmpx_gt_i32_e64 s13, v0
	s_cbranch_execz .LBB132_17
.LBB132_22:
	v_add_nc_u32_e32 v1, 0x100, v0
	s_delay_alu instid0(VALU_DEP_1) | instskip(SKIP_4) | instid1(SALU_CYCLE_1)
	v_dual_add_nc_u32 v10, s12, v0 :: v_dual_mov_b32 v0, v1
	s_wait_kmcnt 0x0
	global_store_b128 v10, v[30:33], s[2:3] scale_offset
	s_wait_xcnt 0x0
	s_or_b32 exec_lo, exec_lo, s0
	s_mov_b32 s0, exec_lo
	v_cmpx_gt_i32_e64 s13, v0
	s_cbranch_execz .LBB132_18
.LBB132_23:
	v_add_nc_u32_e32 v1, 0x100, v0
	s_delay_alu instid0(VALU_DEP_1) | instskip(SKIP_4) | instid1(SALU_CYCLE_1)
	v_dual_add_nc_u32 v10, s12, v0 :: v_dual_mov_b32 v0, v1
	s_wait_kmcnt 0x0
	global_store_b128 v10, v[6:9], s[2:3] scale_offset
	s_wait_xcnt 0x0
	s_or_b32 exec_lo, exec_lo, s0
	s_mov_b32 s0, exec_lo
	v_cmpx_gt_i32_e64 s13, v0
	s_cbranch_execz .LBB132_19
.LBB132_24:
	v_add_nc_u32_e32 v0, s12, v0
	s_wait_kmcnt 0x0
	global_store_b128 v0, v[2:5], s[2:3] scale_offset
	s_endpgm
	.section	.rodata,"a",@progbits
	.p2align	6, 0x0
	.amdhsa_kernel _ZN2at6native27unrolled_elementwise_kernelIZZZNS0_12_GLOBAL__N_116addr_kernel_cudaERNS_14TensorIteratorERKN3c106ScalarES8_ENKUlvE_clEvENKUlvE6_clEvEUlNS5_7complexIdEESC_SC_E_St5arrayIPcLm4EELi4E23TrivialOffsetCalculatorILi3EjESH_ILi1EjENS0_6memory15LoadWithoutCastENSK_16StoreWithoutCastEEEviT_T0_T2_T3_T4_T5_
		.amdhsa_group_segment_fixed_size 0
		.amdhsa_private_segment_fixed_size 0
		.amdhsa_kernarg_size 68
		.amdhsa_user_sgpr_count 2
		.amdhsa_user_sgpr_dispatch_ptr 0
		.amdhsa_user_sgpr_queue_ptr 0
		.amdhsa_user_sgpr_kernarg_segment_ptr 1
		.amdhsa_user_sgpr_dispatch_id 0
		.amdhsa_user_sgpr_kernarg_preload_length 0
		.amdhsa_user_sgpr_kernarg_preload_offset 0
		.amdhsa_user_sgpr_private_segment_size 0
		.amdhsa_wavefront_size32 1
		.amdhsa_uses_dynamic_stack 0
		.amdhsa_enable_private_segment 0
		.amdhsa_system_sgpr_workgroup_id_x 1
		.amdhsa_system_sgpr_workgroup_id_y 0
		.amdhsa_system_sgpr_workgroup_id_z 0
		.amdhsa_system_sgpr_workgroup_info 0
		.amdhsa_system_vgpr_workitem_id 0
		.amdhsa_next_free_vgpr 43
		.amdhsa_next_free_sgpr 14
		.amdhsa_named_barrier_count 0
		.amdhsa_reserve_vcc 1
		.amdhsa_float_round_mode_32 0
		.amdhsa_float_round_mode_16_64 0
		.amdhsa_float_denorm_mode_32 3
		.amdhsa_float_denorm_mode_16_64 3
		.amdhsa_fp16_overflow 0
		.amdhsa_memory_ordered 1
		.amdhsa_forward_progress 1
		.amdhsa_inst_pref_size 9
		.amdhsa_round_robin_scheduling 0
		.amdhsa_exception_fp_ieee_invalid_op 0
		.amdhsa_exception_fp_denorm_src 0
		.amdhsa_exception_fp_ieee_div_zero 0
		.amdhsa_exception_fp_ieee_overflow 0
		.amdhsa_exception_fp_ieee_underflow 0
		.amdhsa_exception_fp_ieee_inexact 0
		.amdhsa_exception_int_div_zero 0
	.end_amdhsa_kernel
	.section	.text._ZN2at6native27unrolled_elementwise_kernelIZZZNS0_12_GLOBAL__N_116addr_kernel_cudaERNS_14TensorIteratorERKN3c106ScalarES8_ENKUlvE_clEvENKUlvE6_clEvEUlNS5_7complexIdEESC_SC_E_St5arrayIPcLm4EELi4E23TrivialOffsetCalculatorILi3EjESH_ILi1EjENS0_6memory15LoadWithoutCastENSK_16StoreWithoutCastEEEviT_T0_T2_T3_T4_T5_,"axG",@progbits,_ZN2at6native27unrolled_elementwise_kernelIZZZNS0_12_GLOBAL__N_116addr_kernel_cudaERNS_14TensorIteratorERKN3c106ScalarES8_ENKUlvE_clEvENKUlvE6_clEvEUlNS5_7complexIdEESC_SC_E_St5arrayIPcLm4EELi4E23TrivialOffsetCalculatorILi3EjESH_ILi1EjENS0_6memory15LoadWithoutCastENSK_16StoreWithoutCastEEEviT_T0_T2_T3_T4_T5_,comdat
.Lfunc_end132:
	.size	_ZN2at6native27unrolled_elementwise_kernelIZZZNS0_12_GLOBAL__N_116addr_kernel_cudaERNS_14TensorIteratorERKN3c106ScalarES8_ENKUlvE_clEvENKUlvE6_clEvEUlNS5_7complexIdEESC_SC_E_St5arrayIPcLm4EELi4E23TrivialOffsetCalculatorILi3EjESH_ILi1EjENS0_6memory15LoadWithoutCastENSK_16StoreWithoutCastEEEviT_T0_T2_T3_T4_T5_, .Lfunc_end132-_ZN2at6native27unrolled_elementwise_kernelIZZZNS0_12_GLOBAL__N_116addr_kernel_cudaERNS_14TensorIteratorERKN3c106ScalarES8_ENKUlvE_clEvENKUlvE6_clEvEUlNS5_7complexIdEESC_SC_E_St5arrayIPcLm4EELi4E23TrivialOffsetCalculatorILi3EjESH_ILi1EjENS0_6memory15LoadWithoutCastENSK_16StoreWithoutCastEEEviT_T0_T2_T3_T4_T5_
                                        ; -- End function
	.set _ZN2at6native27unrolled_elementwise_kernelIZZZNS0_12_GLOBAL__N_116addr_kernel_cudaERNS_14TensorIteratorERKN3c106ScalarES8_ENKUlvE_clEvENKUlvE6_clEvEUlNS5_7complexIdEESC_SC_E_St5arrayIPcLm4EELi4E23TrivialOffsetCalculatorILi3EjESH_ILi1EjENS0_6memory15LoadWithoutCastENSK_16StoreWithoutCastEEEviT_T0_T2_T3_T4_T5_.num_vgpr, 43
	.set _ZN2at6native27unrolled_elementwise_kernelIZZZNS0_12_GLOBAL__N_116addr_kernel_cudaERNS_14TensorIteratorERKN3c106ScalarES8_ENKUlvE_clEvENKUlvE6_clEvEUlNS5_7complexIdEESC_SC_E_St5arrayIPcLm4EELi4E23TrivialOffsetCalculatorILi3EjESH_ILi1EjENS0_6memory15LoadWithoutCastENSK_16StoreWithoutCastEEEviT_T0_T2_T3_T4_T5_.num_agpr, 0
	.set _ZN2at6native27unrolled_elementwise_kernelIZZZNS0_12_GLOBAL__N_116addr_kernel_cudaERNS_14TensorIteratorERKN3c106ScalarES8_ENKUlvE_clEvENKUlvE6_clEvEUlNS5_7complexIdEESC_SC_E_St5arrayIPcLm4EELi4E23TrivialOffsetCalculatorILi3EjESH_ILi1EjENS0_6memory15LoadWithoutCastENSK_16StoreWithoutCastEEEviT_T0_T2_T3_T4_T5_.numbered_sgpr, 14
	.set _ZN2at6native27unrolled_elementwise_kernelIZZZNS0_12_GLOBAL__N_116addr_kernel_cudaERNS_14TensorIteratorERKN3c106ScalarES8_ENKUlvE_clEvENKUlvE6_clEvEUlNS5_7complexIdEESC_SC_E_St5arrayIPcLm4EELi4E23TrivialOffsetCalculatorILi3EjESH_ILi1EjENS0_6memory15LoadWithoutCastENSK_16StoreWithoutCastEEEviT_T0_T2_T3_T4_T5_.num_named_barrier, 0
	.set _ZN2at6native27unrolled_elementwise_kernelIZZZNS0_12_GLOBAL__N_116addr_kernel_cudaERNS_14TensorIteratorERKN3c106ScalarES8_ENKUlvE_clEvENKUlvE6_clEvEUlNS5_7complexIdEESC_SC_E_St5arrayIPcLm4EELi4E23TrivialOffsetCalculatorILi3EjESH_ILi1EjENS0_6memory15LoadWithoutCastENSK_16StoreWithoutCastEEEviT_T0_T2_T3_T4_T5_.private_seg_size, 0
	.set _ZN2at6native27unrolled_elementwise_kernelIZZZNS0_12_GLOBAL__N_116addr_kernel_cudaERNS_14TensorIteratorERKN3c106ScalarES8_ENKUlvE_clEvENKUlvE6_clEvEUlNS5_7complexIdEESC_SC_E_St5arrayIPcLm4EELi4E23TrivialOffsetCalculatorILi3EjESH_ILi1EjENS0_6memory15LoadWithoutCastENSK_16StoreWithoutCastEEEviT_T0_T2_T3_T4_T5_.uses_vcc, 1
	.set _ZN2at6native27unrolled_elementwise_kernelIZZZNS0_12_GLOBAL__N_116addr_kernel_cudaERNS_14TensorIteratorERKN3c106ScalarES8_ENKUlvE_clEvENKUlvE6_clEvEUlNS5_7complexIdEESC_SC_E_St5arrayIPcLm4EELi4E23TrivialOffsetCalculatorILi3EjESH_ILi1EjENS0_6memory15LoadWithoutCastENSK_16StoreWithoutCastEEEviT_T0_T2_T3_T4_T5_.uses_flat_scratch, 0
	.set _ZN2at6native27unrolled_elementwise_kernelIZZZNS0_12_GLOBAL__N_116addr_kernel_cudaERNS_14TensorIteratorERKN3c106ScalarES8_ENKUlvE_clEvENKUlvE6_clEvEUlNS5_7complexIdEESC_SC_E_St5arrayIPcLm4EELi4E23TrivialOffsetCalculatorILi3EjESH_ILi1EjENS0_6memory15LoadWithoutCastENSK_16StoreWithoutCastEEEviT_T0_T2_T3_T4_T5_.has_dyn_sized_stack, 0
	.set _ZN2at6native27unrolled_elementwise_kernelIZZZNS0_12_GLOBAL__N_116addr_kernel_cudaERNS_14TensorIteratorERKN3c106ScalarES8_ENKUlvE_clEvENKUlvE6_clEvEUlNS5_7complexIdEESC_SC_E_St5arrayIPcLm4EELi4E23TrivialOffsetCalculatorILi3EjESH_ILi1EjENS0_6memory15LoadWithoutCastENSK_16StoreWithoutCastEEEviT_T0_T2_T3_T4_T5_.has_recursion, 0
	.set _ZN2at6native27unrolled_elementwise_kernelIZZZNS0_12_GLOBAL__N_116addr_kernel_cudaERNS_14TensorIteratorERKN3c106ScalarES8_ENKUlvE_clEvENKUlvE6_clEvEUlNS5_7complexIdEESC_SC_E_St5arrayIPcLm4EELi4E23TrivialOffsetCalculatorILi3EjESH_ILi1EjENS0_6memory15LoadWithoutCastENSK_16StoreWithoutCastEEEviT_T0_T2_T3_T4_T5_.has_indirect_call, 0
	.section	.AMDGPU.csdata,"",@progbits
; Kernel info:
; codeLenInByte = 1096
; TotalNumSgprs: 16
; NumVgprs: 43
; ScratchSize: 0
; MemoryBound: 1
; FloatMode: 240
; IeeeMode: 1
; LDSByteSize: 0 bytes/workgroup (compile time only)
; SGPRBlocks: 0
; VGPRBlocks: 2
; NumSGPRsForWavesPerEU: 16
; NumVGPRsForWavesPerEU: 43
; NamedBarCnt: 0
; Occupancy: 16
; WaveLimiterHint : 0
; COMPUTE_PGM_RSRC2:SCRATCH_EN: 0
; COMPUTE_PGM_RSRC2:USER_SGPR: 2
; COMPUTE_PGM_RSRC2:TRAP_HANDLER: 0
; COMPUTE_PGM_RSRC2:TGID_X_EN: 1
; COMPUTE_PGM_RSRC2:TGID_Y_EN: 0
; COMPUTE_PGM_RSRC2:TGID_Z_EN: 0
; COMPUTE_PGM_RSRC2:TIDIG_COMP_CNT: 0
	.section	.text._ZN2at6native32elementwise_kernel_manual_unrollILi128ELi4EZNS0_22gpu_kernel_impl_nocastIZZZNS0_12_GLOBAL__N_116addr_kernel_cudaERNS_14TensorIteratorERKN3c106ScalarES9_ENKUlvE_clEvENKUlvE6_clEvEUlNS6_7complexIdEESD_SD_E_EEvRNS_18TensorIteratorBaseERKT_EUlibE_EEviT1_,"axG",@progbits,_ZN2at6native32elementwise_kernel_manual_unrollILi128ELi4EZNS0_22gpu_kernel_impl_nocastIZZZNS0_12_GLOBAL__N_116addr_kernel_cudaERNS_14TensorIteratorERKN3c106ScalarES9_ENKUlvE_clEvENKUlvE6_clEvEUlNS6_7complexIdEESD_SD_E_EEvRNS_18TensorIteratorBaseERKT_EUlibE_EEviT1_,comdat
	.globl	_ZN2at6native32elementwise_kernel_manual_unrollILi128ELi4EZNS0_22gpu_kernel_impl_nocastIZZZNS0_12_GLOBAL__N_116addr_kernel_cudaERNS_14TensorIteratorERKN3c106ScalarES9_ENKUlvE_clEvENKUlvE6_clEvEUlNS6_7complexIdEESD_SD_E_EEvRNS_18TensorIteratorBaseERKT_EUlibE_EEviT1_ ; -- Begin function _ZN2at6native32elementwise_kernel_manual_unrollILi128ELi4EZNS0_22gpu_kernel_impl_nocastIZZZNS0_12_GLOBAL__N_116addr_kernel_cudaERNS_14TensorIteratorERKN3c106ScalarES9_ENKUlvE_clEvENKUlvE6_clEvEUlNS6_7complexIdEESD_SD_E_EEvRNS_18TensorIteratorBaseERKT_EUlibE_EEviT1_
	.p2align	8
	.type	_ZN2at6native32elementwise_kernel_manual_unrollILi128ELi4EZNS0_22gpu_kernel_impl_nocastIZZZNS0_12_GLOBAL__N_116addr_kernel_cudaERNS_14TensorIteratorERKN3c106ScalarES9_ENKUlvE_clEvENKUlvE6_clEvEUlNS6_7complexIdEESD_SD_E_EEvRNS_18TensorIteratorBaseERKT_EUlibE_EEviT1_,@function
_ZN2at6native32elementwise_kernel_manual_unrollILi128ELi4EZNS0_22gpu_kernel_impl_nocastIZZZNS0_12_GLOBAL__N_116addr_kernel_cudaERNS_14TensorIteratorERKN3c106ScalarES9_ENKUlvE_clEvENKUlvE6_clEvEUlNS6_7complexIdEESD_SD_E_EEvRNS_18TensorIteratorBaseERKT_EUlibE_EEviT1_: ; @_ZN2at6native32elementwise_kernel_manual_unrollILi128ELi4EZNS0_22gpu_kernel_impl_nocastIZZZNS0_12_GLOBAL__N_116addr_kernel_cudaERNS_14TensorIteratorERKN3c106ScalarES9_ENKUlvE_clEvENKUlvE6_clEvEUlNS6_7complexIdEESD_SD_E_EEvRNS_18TensorIteratorBaseERKT_EUlibE_EEviT1_
; %bb.0:
	s_clause 0x1
	s_load_b32 s15, s[0:1], 0x10
	s_load_b32 s39, s[0:1], 0x0
	s_bfe_u32 s2, ttmp6, 0x4000c
	s_and_b32 s3, ttmp6, 15
	s_add_co_i32 s2, s2, 1
	s_getreg_b32 s4, hwreg(HW_REG_IB_STS2, 6, 4)
	s_mul_i32 s2, ttmp9, s2
	s_add_nc_u64 s[16:17], s[0:1], 16
	s_add_co_i32 s3, s3, s2
	s_cmp_eq_u32 s4, 0
	s_mov_b32 s4, 0
	s_cselect_b32 s2, ttmp9, s3
                                        ; implicit-def: $vgpr4_vgpr5
                                        ; implicit-def: $vgpr6_vgpr7
	s_wait_xcnt 0x0
	s_mov_b32 s0, exec_lo
	v_lshl_or_b32 v0, s2, 9, v0
	s_delay_alu instid0(VALU_DEP_1) | instskip(SKIP_2) | instid1(SALU_CYCLE_1)
	v_or_b32_e32 v8, 0x180, v0
	s_wait_kmcnt 0x0
	s_add_co_i32 s33, s15, -1
	s_cmp_gt_u32 s33, 1
	s_cselect_b32 s34, -1, 0
	v_cmpx_le_i32_e64 s39, v8
	s_xor_b32 s35, exec_lo, s0
	s_cbranch_execnz .LBB133_4
; %bb.1:
	s_and_not1_saveexec_b32 s5, s35
	s_cbranch_execnz .LBB133_57
.LBB133_2:
	s_or_b32 exec_lo, exec_lo, s5
	s_and_saveexec_b32 s0, s4
	s_cbranch_execnz .LBB133_102
.LBB133_3:
	s_endpgm
.LBB133_4:
	s_clause 0x7
	s_load_b128 s[8:11], s[16:17], 0x4
	s_load_b64 s[20:21], s[16:17], 0x14
	s_load_b32 s36, s[16:17], 0xc4
	s_load_b96 s[12:14], s[16:17], 0xcc
	s_load_b64 s[22:23], s[16:17], 0xdc
	s_load_b64 s[18:19], s[16:17], 0x1c8
	s_load_b128 s[0:3], s[16:17], 0x1f0
	s_load_b128 s[4:7], s[16:17], 0x1d8
	s_cmp_lg_u32 s15, 0
	s_mov_b32 s27, 0
	s_cselect_b32 s40, -1, 0
	s_min_u32 s38, s33, 15
	s_cmp_gt_u32 s15, 1
	s_mov_b32 s25, s27
	s_cselect_b32 s37, -1, 0
	s_wait_kmcnt 0x0
	s_mov_b32 s26, s9
	s_mov_b32 s24, s20
	s_mov_b32 s9, exec_lo
	v_cmpx_gt_i32_e64 s39, v0
	s_cbranch_execnz .LBB133_7
; %bb.5:
	s_or_b32 exec_lo, exec_lo, s9
	s_delay_alu instid0(SALU_CYCLE_1)
	s_mov_b32 s9, exec_lo
	v_cmpx_gt_i32_e64 s39, v0
	s_cbranch_execnz .LBB133_19
.LBB133_6:
	s_or_b32 exec_lo, exec_lo, s9
	s_delay_alu instid0(SALU_CYCLE_1)
	s_mov_b32 s9, exec_lo
	v_cmpx_gt_i32_e64 s39, v0
	s_cbranch_execnz .LBB133_31
	s_branch .LBB133_43
.LBB133_7:
	s_and_not1_b32 vcc_lo, exec_lo, s34
	s_cbranch_vccnz .LBB133_13
; %bb.8:
	s_and_not1_b32 vcc_lo, exec_lo, s40
	s_cbranch_vccnz .LBB133_14
; %bb.9:
	v_dual_mov_b32 v4, 0 :: v_dual_mov_b32 v1, v0
	v_dual_mov_b32 v6, 0 :: v_dual_mov_b32 v5, 0
	s_add_co_i32 s20, s38, 1
	s_mov_b64 s[28:29], 0xffffffffffffffe0
	s_and_b32 s20, s20, 30
	s_add_nc_u64 s[28:29], s[16:17], s[28:29]
	s_mov_b64 s[30:31], s[16:17]
.LBB133_10:                             ; =>This Inner Loop Header: Depth=1
	s_clause 0x1
	s_load_b128 s[44:47], s[30:31], 0x4
	s_load_b64 s[42:43], s[30:31], 0x14
	s_load_b32 s41, s[28:29], 0xe4
	s_add_co_i32 s20, s20, -2
	s_wait_xcnt 0x0
	s_add_nc_u64 s[30:31], s[30:31], 24
	s_cmp_lg_u32 s20, 0
	s_wait_kmcnt 0x0
	v_mul_hi_u32 v2, s45, v1
	s_delay_alu instid0(VALU_DEP_1) | instskip(NEXT) | instid1(VALU_DEP_1)
	v_add_nc_u32_e32 v2, v1, v2
	v_lshrrev_b32_e32 v2, s46, v2
	s_delay_alu instid0(VALU_DEP_1) | instskip(SKIP_2) | instid1(VALU_DEP_2)
	v_mul_hi_u32 v3, s42, v2
	v_mul_lo_u32 v7, v2, s44
	s_load_b96 s[44:46], s[28:29], 0xec
	v_add_nc_u32_e32 v3, v2, v3
	s_delay_alu instid0(VALU_DEP_2) | instskip(NEXT) | instid1(VALU_DEP_2)
	v_sub_nc_u32_e32 v7, v1, v7
	v_lshrrev_b32_e32 v1, s43, v3
	s_load_b64 s[42:43], s[28:29], 0xfc
	s_delay_alu instid0(VALU_DEP_2)
	v_mad_u32 v4, v7, s41, v4
	s_wait_xcnt 0x0
	s_add_nc_u64 s[28:29], s[28:29], 32
	v_mul_lo_u32 v3, v1, s47
	s_wait_kmcnt 0x0
	v_mad_u32 v5, v7, s45, v5
	v_mad_u32 v6, v7, s44, v6
	s_delay_alu instid0(VALU_DEP_3) | instskip(NEXT) | instid1(VALU_DEP_1)
	v_sub_nc_u32_e32 v2, v2, v3
	v_mad_u32 v4, v2, s46, v4
	s_delay_alu instid0(VALU_DEP_4) | instskip(NEXT) | instid1(VALU_DEP_4)
	v_mad_u32 v5, v2, s43, v5
	v_mad_u32 v6, v2, s42, v6
	s_cbranch_scc1 .LBB133_10
; %bb.11:
	s_bitcmp1_b32 s38, 0
	s_cselect_b32 s20, -1, 0
	s_delay_alu instid0(SALU_CYCLE_1)
	s_and_b32 vcc_lo, exec_lo, s20
	s_cbranch_vccnz .LBB133_15
; %bb.12:
	s_load_b96 s[44:46], s[30:31], 0x4
	s_load_b32 s20, s[28:29], 0xe4
	s_wait_xcnt 0x0
	s_load_b64 s[30:31], s[28:29], 0xec
	s_wait_kmcnt 0x0
	v_mul_hi_u32 v2, s45, v1
	s_delay_alu instid0(VALU_DEP_1) | instskip(NEXT) | instid1(VALU_DEP_1)
	v_add_nc_u32_e32 v2, v1, v2
	v_lshrrev_b32_e32 v2, s46, v2
	s_delay_alu instid0(VALU_DEP_1) | instskip(NEXT) | instid1(VALU_DEP_1)
	v_mul_lo_u32 v2, v2, s44
	v_sub_nc_u32_e32 v1, v1, v2
	s_delay_alu instid0(VALU_DEP_1)
	v_mad_u32 v4, v1, s20, v4
	v_mad_u32 v6, v1, s30, v6
	;; [unrolled: 1-line block ×3, first 2 shown]
	s_cbranch_execz .LBB133_16
	s_branch .LBB133_18
.LBB133_13:
                                        ; implicit-def: $vgpr5
                                        ; implicit-def: $vgpr6
                                        ; implicit-def: $vgpr4
	s_branch .LBB133_16
.LBB133_14:
	v_dual_mov_b32 v5, 0 :: v_dual_mov_b32 v6, 0
	v_mov_b32_e32 v4, 0
.LBB133_15:
	s_cbranch_execnz .LBB133_18
.LBB133_16:
	v_mov_b32_e32 v1, 0
	s_and_not1_b32 vcc_lo, exec_lo, s37
	s_delay_alu instid0(VALU_DEP_1) | instskip(NEXT) | instid1(VALU_DEP_1)
	v_mul_u64_e32 v[2:3], s[26:27], v[0:1]
	v_add_nc_u32_e32 v2, v0, v3
	s_delay_alu instid0(VALU_DEP_1) | instskip(NEXT) | instid1(VALU_DEP_1)
	v_lshrrev_b32_e32 v2, s10, v2
	v_mul_lo_u32 v3, v2, s8
	s_delay_alu instid0(VALU_DEP_1) | instskip(NEXT) | instid1(VALU_DEP_1)
	v_sub_nc_u32_e32 v3, v0, v3
	v_mul_lo_u32 v4, v3, s36
	v_mul_lo_u32 v5, v3, s13
	;; [unrolled: 1-line block ×3, first 2 shown]
	s_cbranch_vccnz .LBB133_18
; %bb.17:
	v_mov_b32_e32 v3, v1
	s_delay_alu instid0(VALU_DEP_1) | instskip(NEXT) | instid1(VALU_DEP_1)
	v_mul_u64_e32 v[8:9], s[24:25], v[2:3]
	v_add_nc_u32_e32 v1, v2, v9
	s_delay_alu instid0(VALU_DEP_1) | instskip(NEXT) | instid1(VALU_DEP_1)
	v_lshrrev_b32_e32 v1, s21, v1
	v_mul_lo_u32 v1, v1, s11
	s_delay_alu instid0(VALU_DEP_1) | instskip(NEXT) | instid1(VALU_DEP_1)
	v_sub_nc_u32_e32 v1, v2, v1
	v_mad_u32 v4, v1, s14, v4
	v_mad_u32 v6, v1, s22, v6
	;; [unrolled: 1-line block ×3, first 2 shown]
.LBB133_18:
	global_load_b128 v[8:11], v6, s[4:5]
	global_load_b128 v[12:15], v5, s[6:7]
	v_add_nc_u32_e32 v0, 0x80, v0
	s_wait_loadcnt 0x1
	v_mul_f64_e32 v[2:3], s[0:1], v[10:11]
	v_mul_f64_e32 v[6:7], s[2:3], v[10:11]
	s_delay_alu instid0(VALU_DEP_2) | instskip(NEXT) | instid1(VALU_DEP_2)
	v_fmac_f64_e32 v[2:3], s[2:3], v[8:9]
	v_fma_f64 v[6:7], s[0:1], v[8:9], -v[6:7]
	s_wait_loadcnt 0x0
	s_delay_alu instid0(VALU_DEP_2) | instskip(NEXT) | instid1(VALU_DEP_2)
	v_mul_f64_e32 v[10:11], v[2:3], v[14:15]
	v_mul_f64_e32 v[8:9], v[6:7], v[14:15]
	s_delay_alu instid0(VALU_DEP_2) | instskip(NEXT) | instid1(VALU_DEP_2)
	v_fma_f64 v[6:7], v[12:13], v[6:7], -v[10:11]
	v_fmac_f64_e32 v[8:9], v[12:13], v[2:3]
	global_store_b128 v4, v[6:9], s[18:19]
	s_wait_xcnt 0x0
	s_or_b32 exec_lo, exec_lo, s9
	s_delay_alu instid0(SALU_CYCLE_1)
	s_mov_b32 s9, exec_lo
	v_cmpx_gt_i32_e64 s39, v0
	s_cbranch_execz .LBB133_6
.LBB133_19:
	s_and_not1_b32 vcc_lo, exec_lo, s34
	s_cbranch_vccnz .LBB133_25
; %bb.20:
	s_and_not1_b32 vcc_lo, exec_lo, s40
	s_cbranch_vccnz .LBB133_26
; %bb.21:
	v_dual_mov_b32 v4, 0 :: v_dual_mov_b32 v1, v0
	v_dual_mov_b32 v6, 0 :: v_dual_mov_b32 v5, 0
	s_add_co_i32 s20, s38, 1
	s_mov_b64 s[28:29], 0xffffffffffffffe0
	s_and_b32 s20, s20, 30
	s_add_nc_u64 s[28:29], s[16:17], s[28:29]
	s_mov_b64 s[30:31], s[16:17]
.LBB133_22:                             ; =>This Inner Loop Header: Depth=1
	s_clause 0x1
	s_load_b128 s[44:47], s[30:31], 0x4
	s_load_b64 s[42:43], s[30:31], 0x14
	s_load_b32 s41, s[28:29], 0xe4
	s_add_co_i32 s20, s20, -2
	s_wait_xcnt 0x0
	s_add_nc_u64 s[30:31], s[30:31], 24
	s_cmp_eq_u32 s20, 0
	s_wait_kmcnt 0x0
	v_mul_hi_u32 v2, s45, v1
	s_delay_alu instid0(VALU_DEP_1) | instskip(NEXT) | instid1(VALU_DEP_1)
	v_add_nc_u32_e32 v2, v1, v2
	v_lshrrev_b32_e32 v2, s46, v2
	s_delay_alu instid0(VALU_DEP_1) | instskip(SKIP_2) | instid1(VALU_DEP_2)
	v_mul_hi_u32 v3, s42, v2
	v_mul_lo_u32 v7, v2, s44
	s_load_b96 s[44:46], s[28:29], 0xec
	v_add_nc_u32_e32 v3, v2, v3
	s_delay_alu instid0(VALU_DEP_2) | instskip(NEXT) | instid1(VALU_DEP_2)
	v_sub_nc_u32_e32 v7, v1, v7
	v_lshrrev_b32_e32 v1, s43, v3
	s_load_b64 s[42:43], s[28:29], 0xfc
	s_delay_alu instid0(VALU_DEP_2)
	v_mad_u32 v4, v7, s41, v4
	s_wait_xcnt 0x0
	s_add_nc_u64 s[28:29], s[28:29], 32
	v_mul_lo_u32 v3, v1, s47
	s_wait_kmcnt 0x0
	v_mad_u32 v5, v7, s45, v5
	v_mad_u32 v6, v7, s44, v6
	s_delay_alu instid0(VALU_DEP_3) | instskip(NEXT) | instid1(VALU_DEP_1)
	v_sub_nc_u32_e32 v2, v2, v3
	v_mad_u32 v4, v2, s46, v4
	s_delay_alu instid0(VALU_DEP_4) | instskip(NEXT) | instid1(VALU_DEP_4)
	v_mad_u32 v5, v2, s43, v5
	v_mad_u32 v6, v2, s42, v6
	s_cbranch_scc0 .LBB133_22
; %bb.23:
	s_bitcmp1_b32 s38, 0
	s_cselect_b32 s20, -1, 0
	s_delay_alu instid0(SALU_CYCLE_1)
	s_and_b32 vcc_lo, exec_lo, s20
	s_cbranch_vccnz .LBB133_27
; %bb.24:
	s_load_b96 s[44:46], s[30:31], 0x4
	s_load_b32 s20, s[28:29], 0xe4
	s_wait_xcnt 0x0
	s_load_b64 s[30:31], s[28:29], 0xec
	s_wait_kmcnt 0x0
	v_mul_hi_u32 v2, s45, v1
	s_delay_alu instid0(VALU_DEP_1) | instskip(NEXT) | instid1(VALU_DEP_1)
	v_add_nc_u32_e32 v2, v1, v2
	v_lshrrev_b32_e32 v2, s46, v2
	s_delay_alu instid0(VALU_DEP_1) | instskip(NEXT) | instid1(VALU_DEP_1)
	v_mul_lo_u32 v2, v2, s44
	v_sub_nc_u32_e32 v1, v1, v2
	s_delay_alu instid0(VALU_DEP_1)
	v_mad_u32 v4, v1, s20, v4
	v_mad_u32 v6, v1, s30, v6
	;; [unrolled: 1-line block ×3, first 2 shown]
	s_branch .LBB133_27
.LBB133_25:
                                        ; implicit-def: $vgpr5
                                        ; implicit-def: $vgpr6
                                        ; implicit-def: $vgpr4
	s_branch .LBB133_28
.LBB133_26:
	v_dual_mov_b32 v5, 0 :: v_dual_mov_b32 v6, 0
	v_mov_b32_e32 v4, 0
.LBB133_27:
	s_cbranch_execnz .LBB133_30
.LBB133_28:
	v_mov_b32_e32 v1, 0
	s_and_not1_b32 vcc_lo, exec_lo, s37
	s_delay_alu instid0(VALU_DEP_1) | instskip(NEXT) | instid1(VALU_DEP_1)
	v_mul_u64_e32 v[2:3], s[26:27], v[0:1]
	v_add_nc_u32_e32 v2, v0, v3
	s_delay_alu instid0(VALU_DEP_1) | instskip(NEXT) | instid1(VALU_DEP_1)
	v_lshrrev_b32_e32 v2, s10, v2
	v_mul_lo_u32 v3, v2, s8
	s_delay_alu instid0(VALU_DEP_1) | instskip(NEXT) | instid1(VALU_DEP_1)
	v_sub_nc_u32_e32 v3, v0, v3
	v_mul_lo_u32 v4, v3, s36
	v_mul_lo_u32 v5, v3, s13
	;; [unrolled: 1-line block ×3, first 2 shown]
	s_cbranch_vccnz .LBB133_30
; %bb.29:
	v_mov_b32_e32 v3, v1
	s_delay_alu instid0(VALU_DEP_1) | instskip(NEXT) | instid1(VALU_DEP_1)
	v_mul_u64_e32 v[8:9], s[24:25], v[2:3]
	v_add_nc_u32_e32 v1, v2, v9
	s_delay_alu instid0(VALU_DEP_1) | instskip(NEXT) | instid1(VALU_DEP_1)
	v_lshrrev_b32_e32 v1, s21, v1
	v_mul_lo_u32 v1, v1, s11
	s_delay_alu instid0(VALU_DEP_1) | instskip(NEXT) | instid1(VALU_DEP_1)
	v_sub_nc_u32_e32 v1, v2, v1
	v_mad_u32 v4, v1, s14, v4
	v_mad_u32 v6, v1, s22, v6
	;; [unrolled: 1-line block ×3, first 2 shown]
.LBB133_30:
	global_load_b128 v[8:11], v6, s[4:5]
	global_load_b128 v[12:15], v5, s[6:7]
	v_add_nc_u32_e32 v0, 0x80, v0
	s_wait_loadcnt 0x1
	v_mul_f64_e32 v[2:3], s[0:1], v[10:11]
	s_wait_xcnt 0x1
	v_mul_f64_e32 v[6:7], s[2:3], v[10:11]
	s_delay_alu instid0(VALU_DEP_2) | instskip(NEXT) | instid1(VALU_DEP_2)
	v_fmac_f64_e32 v[2:3], s[2:3], v[8:9]
	v_fma_f64 v[6:7], s[0:1], v[8:9], -v[6:7]
	s_wait_loadcnt 0x0
	s_delay_alu instid0(VALU_DEP_2) | instskip(NEXT) | instid1(VALU_DEP_2)
	v_mul_f64_e32 v[10:11], v[2:3], v[14:15]
	v_mul_f64_e32 v[8:9], v[6:7], v[14:15]
	s_delay_alu instid0(VALU_DEP_2) | instskip(NEXT) | instid1(VALU_DEP_2)
	v_fma_f64 v[6:7], v[12:13], v[6:7], -v[10:11]
	v_fmac_f64_e32 v[8:9], v[12:13], v[2:3]
	global_store_b128 v4, v[6:9], s[18:19]
	s_wait_xcnt 0x0
	s_or_b32 exec_lo, exec_lo, s9
	s_delay_alu instid0(SALU_CYCLE_1)
	s_mov_b32 s9, exec_lo
	v_cmpx_gt_i32_e64 s39, v0
	s_cbranch_execz .LBB133_43
.LBB133_31:
	s_and_not1_b32 vcc_lo, exec_lo, s34
	s_cbranch_vccnz .LBB133_37
; %bb.32:
	s_and_not1_b32 vcc_lo, exec_lo, s40
	s_cbranch_vccnz .LBB133_38
; %bb.33:
	v_dual_mov_b32 v4, 0 :: v_dual_mov_b32 v1, v0
	v_dual_mov_b32 v6, 0 :: v_dual_mov_b32 v5, 0
	s_add_co_i32 s20, s38, 1
	s_mov_b64 s[28:29], 0xffffffffffffffe0
	s_and_b32 s20, s20, 30
	s_add_nc_u64 s[28:29], s[16:17], s[28:29]
	s_mov_b64 s[30:31], s[16:17]
.LBB133_34:                             ; =>This Inner Loop Header: Depth=1
	s_clause 0x1
	s_load_b128 s[44:47], s[30:31], 0x4
	s_load_b64 s[42:43], s[30:31], 0x14
	s_load_b32 s41, s[28:29], 0xe4
	s_add_co_i32 s20, s20, -2
	s_wait_xcnt 0x0
	s_add_nc_u64 s[30:31], s[30:31], 24
	s_cmp_eq_u32 s20, 0
	s_wait_kmcnt 0x0
	v_mul_hi_u32 v2, s45, v1
	s_delay_alu instid0(VALU_DEP_1) | instskip(NEXT) | instid1(VALU_DEP_1)
	v_add_nc_u32_e32 v2, v1, v2
	v_lshrrev_b32_e32 v2, s46, v2
	s_delay_alu instid0(VALU_DEP_1) | instskip(SKIP_2) | instid1(VALU_DEP_2)
	v_mul_hi_u32 v3, s42, v2
	v_mul_lo_u32 v7, v2, s44
	s_load_b96 s[44:46], s[28:29], 0xec
	v_add_nc_u32_e32 v3, v2, v3
	s_delay_alu instid0(VALU_DEP_2) | instskip(NEXT) | instid1(VALU_DEP_2)
	v_sub_nc_u32_e32 v7, v1, v7
	v_lshrrev_b32_e32 v1, s43, v3
	s_load_b64 s[42:43], s[28:29], 0xfc
	s_delay_alu instid0(VALU_DEP_2)
	v_mad_u32 v4, v7, s41, v4
	s_wait_xcnt 0x0
	s_add_nc_u64 s[28:29], s[28:29], 32
	v_mul_lo_u32 v3, v1, s47
	s_wait_kmcnt 0x0
	v_mad_u32 v5, v7, s45, v5
	v_mad_u32 v6, v7, s44, v6
	s_delay_alu instid0(VALU_DEP_3) | instskip(NEXT) | instid1(VALU_DEP_1)
	v_sub_nc_u32_e32 v2, v2, v3
	v_mad_u32 v4, v2, s46, v4
	s_delay_alu instid0(VALU_DEP_4) | instskip(NEXT) | instid1(VALU_DEP_4)
	v_mad_u32 v5, v2, s43, v5
	v_mad_u32 v6, v2, s42, v6
	s_cbranch_scc0 .LBB133_34
; %bb.35:
	s_bitcmp1_b32 s38, 0
	s_cselect_b32 s20, -1, 0
	s_delay_alu instid0(SALU_CYCLE_1)
	s_and_b32 vcc_lo, exec_lo, s20
	s_cbranch_vccnz .LBB133_39
; %bb.36:
	s_load_b96 s[44:46], s[30:31], 0x4
	s_load_b32 s20, s[28:29], 0xe4
	s_wait_xcnt 0x0
	s_load_b64 s[30:31], s[28:29], 0xec
	s_wait_kmcnt 0x0
	v_mul_hi_u32 v2, s45, v1
	s_delay_alu instid0(VALU_DEP_1) | instskip(NEXT) | instid1(VALU_DEP_1)
	v_add_nc_u32_e32 v2, v1, v2
	v_lshrrev_b32_e32 v2, s46, v2
	s_delay_alu instid0(VALU_DEP_1) | instskip(NEXT) | instid1(VALU_DEP_1)
	v_mul_lo_u32 v2, v2, s44
	v_sub_nc_u32_e32 v1, v1, v2
	s_delay_alu instid0(VALU_DEP_1)
	v_mad_u32 v4, v1, s20, v4
	v_mad_u32 v6, v1, s30, v6
	;; [unrolled: 1-line block ×3, first 2 shown]
	s_branch .LBB133_39
.LBB133_37:
                                        ; implicit-def: $vgpr5
                                        ; implicit-def: $vgpr6
                                        ; implicit-def: $vgpr4
	s_branch .LBB133_40
.LBB133_38:
	v_dual_mov_b32 v5, 0 :: v_dual_mov_b32 v6, 0
	v_mov_b32_e32 v4, 0
.LBB133_39:
	s_cbranch_execnz .LBB133_42
.LBB133_40:
	v_mov_b32_e32 v1, 0
	s_and_not1_b32 vcc_lo, exec_lo, s37
	s_delay_alu instid0(VALU_DEP_1) | instskip(NEXT) | instid1(VALU_DEP_1)
	v_mul_u64_e32 v[2:3], s[26:27], v[0:1]
	v_add_nc_u32_e32 v2, v0, v3
	s_delay_alu instid0(VALU_DEP_1) | instskip(NEXT) | instid1(VALU_DEP_1)
	v_lshrrev_b32_e32 v2, s10, v2
	v_mul_lo_u32 v3, v2, s8
	s_delay_alu instid0(VALU_DEP_1) | instskip(NEXT) | instid1(VALU_DEP_1)
	v_sub_nc_u32_e32 v3, v0, v3
	v_mul_lo_u32 v4, v3, s36
	v_mul_lo_u32 v5, v3, s13
	;; [unrolled: 1-line block ×3, first 2 shown]
	s_cbranch_vccnz .LBB133_42
; %bb.41:
	v_mov_b32_e32 v3, v1
	s_delay_alu instid0(VALU_DEP_1) | instskip(NEXT) | instid1(VALU_DEP_1)
	v_mul_u64_e32 v[8:9], s[24:25], v[2:3]
	v_add_nc_u32_e32 v1, v2, v9
	s_delay_alu instid0(VALU_DEP_1) | instskip(NEXT) | instid1(VALU_DEP_1)
	v_lshrrev_b32_e32 v1, s21, v1
	v_mul_lo_u32 v1, v1, s11
	s_delay_alu instid0(VALU_DEP_1) | instskip(NEXT) | instid1(VALU_DEP_1)
	v_sub_nc_u32_e32 v1, v2, v1
	v_mad_u32 v4, v1, s14, v4
	v_mad_u32 v6, v1, s22, v6
	;; [unrolled: 1-line block ×3, first 2 shown]
.LBB133_42:
	global_load_b128 v[8:11], v6, s[4:5]
	global_load_b128 v[12:15], v5, s[6:7]
	v_add_nc_u32_e32 v0, 0x80, v0
	s_wait_loadcnt 0x1
	v_mul_f64_e32 v[2:3], s[0:1], v[10:11]
	s_wait_xcnt 0x1
	v_mul_f64_e32 v[6:7], s[2:3], v[10:11]
	s_delay_alu instid0(VALU_DEP_2) | instskip(NEXT) | instid1(VALU_DEP_2)
	v_fmac_f64_e32 v[2:3], s[2:3], v[8:9]
	v_fma_f64 v[6:7], s[0:1], v[8:9], -v[6:7]
	s_wait_loadcnt 0x0
	s_delay_alu instid0(VALU_DEP_2) | instskip(NEXT) | instid1(VALU_DEP_2)
	v_mul_f64_e32 v[10:11], v[2:3], v[14:15]
	v_mul_f64_e32 v[8:9], v[6:7], v[14:15]
	s_delay_alu instid0(VALU_DEP_2) | instskip(NEXT) | instid1(VALU_DEP_2)
	v_fma_f64 v[6:7], v[12:13], v[6:7], -v[10:11]
	v_fmac_f64_e32 v[8:9], v[12:13], v[2:3]
	global_store_b128 v4, v[6:9], s[18:19]
.LBB133_43:
	s_wait_xcnt 0x0
	s_or_b32 exec_lo, exec_lo, s9
	s_mov_b32 s20, 0
	s_mov_b32 s9, exec_lo
                                        ; implicit-def: $vgpr4_vgpr5
                                        ; implicit-def: $vgpr6_vgpr7
	v_cmpx_gt_i32_e64 s39, v0
	s_cbranch_execz .LBB133_56
; %bb.44:
	s_and_not1_b32 vcc_lo, exec_lo, s34
	s_cbranch_vccnz .LBB133_50
; %bb.45:
	s_and_not1_b32 vcc_lo, exec_lo, s40
	s_cbranch_vccnz .LBB133_51
; %bb.46:
	v_dual_mov_b32 v2, 0 :: v_dual_mov_b32 v1, v0
	v_dual_mov_b32 v6, 0 :: v_dual_mov_b32 v3, 0
	s_add_co_i32 s20, s38, 1
	s_mov_b64 s[28:29], 0xffffffffffffffe0
	s_and_b32 s20, s20, 30
	s_add_nc_u64 s[28:29], s[16:17], s[28:29]
	s_mov_b64 s[30:31], s[16:17]
.LBB133_47:                             ; =>This Inner Loop Header: Depth=1
	s_clause 0x1
	s_load_b128 s[40:43], s[30:31], 0x4
	s_load_b64 s[44:45], s[30:31], 0x14
	s_load_b32 s39, s[28:29], 0xe4
	s_add_co_i32 s20, s20, -2
	s_wait_xcnt 0x0
	s_add_nc_u64 s[30:31], s[30:31], 24
	s_cmp_eq_u32 s20, 0
	s_wait_kmcnt 0x0
	v_mul_hi_u32 v4, s41, v1
	s_delay_alu instid0(VALU_DEP_1) | instskip(NEXT) | instid1(VALU_DEP_1)
	v_add_nc_u32_e32 v4, v1, v4
	v_lshrrev_b32_e32 v4, s42, v4
	s_delay_alu instid0(VALU_DEP_1) | instskip(SKIP_2) | instid1(VALU_DEP_1)
	v_mul_hi_u32 v5, s44, v4
	v_mul_lo_u32 v7, v4, s40
	s_load_b96 s[40:42], s[28:29], 0xec
	v_dual_add_nc_u32 v5, v4, v5 :: v_dual_sub_nc_u32 v7, v1, v7
	s_delay_alu instid0(VALU_DEP_1) | instskip(SKIP_1) | instid1(VALU_DEP_2)
	v_lshrrev_b32_e32 v1, s45, v5
	s_load_b64 s[44:45], s[28:29], 0xfc
	v_mad_u32 v2, v7, s39, v2
	s_wait_xcnt 0x0
	s_add_nc_u64 s[28:29], s[28:29], 32
	v_mul_lo_u32 v5, v1, s43
	s_wait_kmcnt 0x0
	v_mad_u32 v3, v7, s41, v3
	v_mad_u32 v6, v7, s40, v6
	s_delay_alu instid0(VALU_DEP_3) | instskip(NEXT) | instid1(VALU_DEP_1)
	v_sub_nc_u32_e32 v4, v4, v5
	v_mad_u32 v2, v4, s42, v2
	s_delay_alu instid0(VALU_DEP_4) | instskip(NEXT) | instid1(VALU_DEP_4)
	v_mad_u32 v3, v4, s45, v3
	v_mad_u32 v6, v4, s44, v6
	s_cbranch_scc0 .LBB133_47
; %bb.48:
	s_bitcmp1_b32 s38, 0
	s_cselect_b32 s20, -1, 0
	s_delay_alu instid0(SALU_CYCLE_1)
	s_and_b32 vcc_lo, exec_lo, s20
	s_cbranch_vccnz .LBB133_52
; %bb.49:
	s_load_b96 s[40:42], s[30:31], 0x4
	s_load_b32 s20, s[28:29], 0xe4
	s_wait_xcnt 0x0
	s_load_b64 s[30:31], s[28:29], 0xec
	s_wait_kmcnt 0x0
	v_mul_hi_u32 v4, s41, v1
	s_delay_alu instid0(VALU_DEP_1) | instskip(NEXT) | instid1(VALU_DEP_1)
	v_add_nc_u32_e32 v4, v1, v4
	v_lshrrev_b32_e32 v4, s42, v4
	s_delay_alu instid0(VALU_DEP_1) | instskip(NEXT) | instid1(VALU_DEP_1)
	v_mul_lo_u32 v4, v4, s40
	v_sub_nc_u32_e32 v1, v1, v4
	s_delay_alu instid0(VALU_DEP_1)
	v_mad_u32 v2, v1, s20, v2
	v_mad_u32 v6, v1, s30, v6
	;; [unrolled: 1-line block ×3, first 2 shown]
	s_branch .LBB133_52
.LBB133_50:
                                        ; implicit-def: $vgpr3
                                        ; implicit-def: $vgpr6
                                        ; implicit-def: $vgpr2
	s_branch .LBB133_53
.LBB133_51:
	v_dual_mov_b32 v3, 0 :: v_dual_mov_b32 v6, 0
	v_mov_b32_e32 v2, 0
.LBB133_52:
	s_cbranch_execnz .LBB133_55
.LBB133_53:
	v_mov_b32_e32 v1, 0
	s_and_not1_b32 vcc_lo, exec_lo, s37
	s_delay_alu instid0(VALU_DEP_1) | instskip(NEXT) | instid1(VALU_DEP_1)
	v_mul_u64_e32 v[2:3], s[26:27], v[0:1]
	v_add_nc_u32_e32 v2, v0, v3
	s_delay_alu instid0(VALU_DEP_1) | instskip(NEXT) | instid1(VALU_DEP_1)
	v_lshrrev_b32_e32 v4, s10, v2
	v_mul_lo_u32 v2, v4, s8
	s_delay_alu instid0(VALU_DEP_1) | instskip(NEXT) | instid1(VALU_DEP_1)
	v_sub_nc_u32_e32 v0, v0, v2
	v_mul_lo_u32 v2, v0, s36
	v_mul_lo_u32 v3, v0, s13
	;; [unrolled: 1-line block ×3, first 2 shown]
	s_cbranch_vccnz .LBB133_55
; %bb.54:
	v_mov_b32_e32 v5, v1
	s_delay_alu instid0(VALU_DEP_1) | instskip(NEXT) | instid1(VALU_DEP_1)
	v_mul_u64_e32 v[0:1], s[24:25], v[4:5]
	v_add_nc_u32_e32 v0, v4, v1
	s_delay_alu instid0(VALU_DEP_1) | instskip(NEXT) | instid1(VALU_DEP_1)
	v_lshrrev_b32_e32 v0, s21, v0
	v_mul_lo_u32 v0, v0, s11
	s_delay_alu instid0(VALU_DEP_1) | instskip(NEXT) | instid1(VALU_DEP_1)
	v_sub_nc_u32_e32 v0, v4, v0
	v_mad_u32 v2, v0, s14, v2
	v_mad_u32 v6, v0, s22, v6
	;; [unrolled: 1-line block ×3, first 2 shown]
.LBB133_55:
	global_load_b128 v[8:11], v6, s[4:5]
	global_load_b128 v[12:15], v3, s[6:7]
	s_mov_b32 s20, exec_lo
	s_wait_loadcnt 0x1
	s_wait_xcnt 0x0
	v_dual_mul_f64 v[0:1], s[0:1], v[10:11] :: v_dual_mov_b32 v3, 0
	v_mul_f64_e32 v[4:5], s[2:3], v[10:11]
	s_delay_alu instid0(VALU_DEP_2) | instskip(NEXT) | instid1(VALU_DEP_2)
	v_fmac_f64_e32 v[0:1], s[2:3], v[8:9]
	v_fma_f64 v[6:7], s[0:1], v[8:9], -v[4:5]
	s_wait_loadcnt 0x0
	s_delay_alu instid0(VALU_DEP_2) | instskip(NEXT) | instid1(VALU_DEP_2)
	v_mul_f64_e32 v[8:9], v[0:1], v[14:15]
	v_mul_f64_e32 v[4:5], v[6:7], v[14:15]
	s_delay_alu instid0(VALU_DEP_2) | instskip(NEXT) | instid1(VALU_DEP_2)
	v_fma_f64 v[8:9], v[12:13], v[6:7], -v[8:9]
	v_fmac_f64_e32 v[4:5], v[12:13], v[0:1]
	v_add_nc_u64_e32 v[6:7], s[18:19], v[2:3]
	global_store_b64 v2, v[8:9], s[18:19]
.LBB133_56:
	s_wait_xcnt 0x0
	s_or_b32 exec_lo, exec_lo, s9
	s_delay_alu instid0(SALU_CYCLE_1)
	s_and_b32 s4, s20, exec_lo
                                        ; implicit-def: $vgpr8
                                        ; implicit-def: $vgpr0
	s_and_not1_saveexec_b32 s5, s35
	s_cbranch_execz .LBB133_2
.LBB133_57:
	v_cndmask_b32_e64 v6, 0, 1, s34
	s_and_not1_b32 vcc_lo, exec_lo, s34
	s_cbranch_vccnz .LBB133_63
; %bb.58:
	s_cmp_lg_u32 s15, 0
	s_mov_b32 s6, 0
	s_cbranch_scc0 .LBB133_67
; %bb.59:
	s_min_u32 s7, s33, 15
	v_dual_mov_b32 v2, 0 :: v_dual_mov_b32 v4, v0
	v_dual_mov_b32 v3, 0 :: v_dual_mov_b32 v1, 0
	s_add_co_i32 s2, s7, 1
	s_mov_b64 s[0:1], 0xffffffffffffffe0
	s_and_b32 s8, s2, 30
	s_add_nc_u64 s[0:1], s[16:17], s[0:1]
	s_mov_b64 s[2:3], s[16:17]
.LBB133_60:                             ; =>This Inner Loop Header: Depth=1
	s_clause 0x1
	s_load_b128 s[20:23], s[2:3], 0x4
	s_load_b64 s[10:11], s[2:3], 0x14
	s_clause 0x1
	s_load_b32 s9, s[0:1], 0xe4
	s_load_b96 s[12:14], s[0:1], 0xec
	s_add_co_i32 s8, s8, -2
	s_wait_xcnt 0x0
	s_add_nc_u64 s[2:3], s[2:3], 24
	s_cmp_lg_u32 s8, 0
	s_wait_kmcnt 0x0
	v_mul_hi_u32 v5, s21, v4
	s_delay_alu instid0(VALU_DEP_1) | instskip(NEXT) | instid1(VALU_DEP_1)
	v_add_nc_u32_e32 v5, v4, v5
	v_lshrrev_b32_e32 v5, s22, v5
	s_delay_alu instid0(VALU_DEP_1) | instskip(SKIP_1) | instid1(VALU_DEP_1)
	v_mul_hi_u32 v7, s10, v5
	v_mul_lo_u32 v9, v5, s20
	v_dual_add_nc_u32 v7, v5, v7 :: v_dual_sub_nc_u32 v9, v4, v9
	s_delay_alu instid0(VALU_DEP_1) | instskip(SKIP_1) | instid1(VALU_DEP_2)
	v_lshrrev_b32_e32 v4, s11, v7
	s_load_b64 s[10:11], s[0:1], 0xfc
	v_mad_u32 v2, v9, s9, v2
	v_mad_u32 v1, v9, s13, v1
	;; [unrolled: 1-line block ×3, first 2 shown]
	v_mul_lo_u32 v7, v4, s23
	s_wait_xcnt 0x0
	s_add_nc_u64 s[0:1], s[0:1], 32
	s_delay_alu instid0(VALU_DEP_1) | instskip(NEXT) | instid1(VALU_DEP_1)
	v_sub_nc_u32_e32 v5, v5, v7
	v_mad_u32 v2, v5, s14, v2
	s_wait_kmcnt 0x0
	v_mad_u32 v1, v5, s11, v1
	v_mad_u32 v3, v5, s10, v3
	s_cbranch_scc1 .LBB133_60
; %bb.61:
	s_bitcmp1_b32 s7, 0
	s_cselect_b32 s7, -1, 0
	s_delay_alu instid0(SALU_CYCLE_1)
	s_and_b32 vcc_lo, exec_lo, s7
	s_cbranch_vccnz .LBB133_64
; %bb.62:
	s_load_b96 s[8:10], s[2:3], 0x4
	s_load_b32 s7, s[0:1], 0xe4
	s_wait_xcnt 0x0
	s_load_b64 s[2:3], s[0:1], 0xec
	s_wait_kmcnt 0x0
	v_mul_hi_u32 v5, s9, v4
	s_delay_alu instid0(VALU_DEP_1) | instskip(NEXT) | instid1(VALU_DEP_1)
	v_add_nc_u32_e32 v5, v4, v5
	v_lshrrev_b32_e32 v5, s10, v5
	s_delay_alu instid0(VALU_DEP_1) | instskip(NEXT) | instid1(VALU_DEP_1)
	v_mul_lo_u32 v5, v5, s8
	v_sub_nc_u32_e32 v4, v4, v5
	s_delay_alu instid0(VALU_DEP_1)
	v_mad_u32 v2, v4, s7, v2
	v_mad_u32 v3, v4, s2, v3
	;; [unrolled: 1-line block ×3, first 2 shown]
	s_and_not1_b32 vcc_lo, exec_lo, s6
	s_cbranch_vccz .LBB133_65
	s_branch .LBB133_68
.LBB133_63:
	s_mov_b32 s6, -1
                                        ; implicit-def: $vgpr1
                                        ; implicit-def: $vgpr3
                                        ; implicit-def: $vgpr2
.LBB133_64:
	s_delay_alu instid0(SALU_CYCLE_1)
	s_and_not1_b32 vcc_lo, exec_lo, s6
	s_cbranch_vccnz .LBB133_68
.LBB133_65:
	s_clause 0x2
	s_load_b96 s[0:2], s[16:17], 0x4
	s_load_b32 s3, s[16:17], 0xc4
	s_load_b64 s[6:7], s[16:17], 0xcc
	s_cmp_lt_u32 s15, 2
	s_wait_kmcnt 0x0
	v_mul_hi_u32 v1, s1, v0
	s_delay_alu instid0(VALU_DEP_1) | instskip(NEXT) | instid1(VALU_DEP_1)
	v_add_nc_u32_e32 v1, v0, v1
	v_lshrrev_b32_e32 v4, s2, v1
	s_delay_alu instid0(VALU_DEP_1) | instskip(NEXT) | instid1(VALU_DEP_1)
	v_mul_lo_u32 v1, v4, s0
	v_sub_nc_u32_e32 v3, v0, v1
	s_delay_alu instid0(VALU_DEP_1)
	v_mul_lo_u32 v2, v3, s3
	v_mul_lo_u32 v1, v3, s7
	;; [unrolled: 1-line block ×3, first 2 shown]
	s_cbranch_scc1 .LBB133_68
; %bb.66:
	s_clause 0x2
	s_load_b96 s[0:2], s[16:17], 0x10
	s_load_b32 s3, s[16:17], 0xd4
	s_load_b64 s[6:7], s[16:17], 0xdc
	s_wait_kmcnt 0x0
	v_mul_hi_u32 v5, s1, v4
	s_delay_alu instid0(VALU_DEP_1) | instskip(NEXT) | instid1(VALU_DEP_1)
	v_add_nc_u32_e32 v5, v4, v5
	v_lshrrev_b32_e32 v5, s2, v5
	s_delay_alu instid0(VALU_DEP_1) | instskip(NEXT) | instid1(VALU_DEP_1)
	v_mul_lo_u32 v5, v5, s0
	v_sub_nc_u32_e32 v4, v4, v5
	s_delay_alu instid0(VALU_DEP_1)
	v_mad_u32 v2, v4, s3, v2
	v_mad_u32 v3, v4, s6, v3
	;; [unrolled: 1-line block ×3, first 2 shown]
	s_branch .LBB133_68
.LBB133_67:
	v_dual_mov_b32 v1, 0 :: v_dual_mov_b32 v3, 0
	v_mov_b32_e32 v2, 0
	s_and_not1_b32 vcc_lo, exec_lo, s6
	s_cbranch_vccz .LBB133_65
.LBB133_68:
	v_cmp_ne_u32_e32 vcc_lo, 1, v6
	v_add_nc_u32_e32 v7, 0x80, v0
	s_cbranch_vccnz .LBB133_74
; %bb.69:
	s_cmp_lg_u32 s15, 0
	s_mov_b32 s6, 0
	s_cbranch_scc0 .LBB133_78
; %bb.70:
	s_min_u32 s7, s33, 15
	v_dual_mov_b32 v9, 0 :: v_dual_mov_b32 v10, v7
	v_dual_mov_b32 v4, 0 :: v_dual_mov_b32 v5, 0
	s_add_co_i32 s2, s7, 1
	s_mov_b64 s[0:1], 0xffffffffffffffe0
	s_and_b32 s8, s2, 30
	s_add_nc_u64 s[0:1], s[16:17], s[0:1]
	s_mov_b64 s[2:3], s[16:17]
.LBB133_71:                             ; =>This Inner Loop Header: Depth=1
	s_clause 0x1
	s_load_b128 s[20:23], s[2:3], 0x4
	s_load_b64 s[10:11], s[2:3], 0x14
	s_clause 0x1
	s_load_b32 s9, s[0:1], 0xe4
	s_load_b96 s[12:14], s[0:1], 0xec
	s_add_co_i32 s8, s8, -2
	s_wait_xcnt 0x0
	s_add_nc_u64 s[2:3], s[2:3], 24
	s_cmp_lg_u32 s8, 0
	s_wait_kmcnt 0x0
	v_mul_hi_u32 v11, s21, v10
	s_delay_alu instid0(VALU_DEP_1) | instskip(NEXT) | instid1(VALU_DEP_1)
	v_add_nc_u32_e32 v11, v10, v11
	v_lshrrev_b32_e32 v11, s22, v11
	s_delay_alu instid0(VALU_DEP_1) | instskip(SKIP_1) | instid1(VALU_DEP_1)
	v_mul_hi_u32 v12, s10, v11
	v_mul_lo_u32 v13, v11, s20
	v_dual_add_nc_u32 v12, v11, v12 :: v_dual_sub_nc_u32 v13, v10, v13
	s_delay_alu instid0(VALU_DEP_1) | instskip(SKIP_1) | instid1(VALU_DEP_2)
	v_lshrrev_b32_e32 v10, s11, v12
	s_load_b64 s[10:11], s[0:1], 0xfc
	v_mad_u32 v9, v13, s9, v9
	v_mad_u32 v5, v13, s13, v5
	;; [unrolled: 1-line block ×3, first 2 shown]
	v_mul_lo_u32 v12, v10, s23
	s_wait_xcnt 0x0
	s_add_nc_u64 s[0:1], s[0:1], 32
	s_delay_alu instid0(VALU_DEP_1) | instskip(NEXT) | instid1(VALU_DEP_1)
	v_sub_nc_u32_e32 v11, v11, v12
	v_mad_u32 v9, v11, s14, v9
	s_wait_kmcnt 0x0
	v_mad_u32 v5, v11, s11, v5
	v_mad_u32 v4, v11, s10, v4
	s_cbranch_scc1 .LBB133_71
; %bb.72:
	s_bitcmp1_b32 s7, 0
	s_cselect_b32 s7, -1, 0
	s_delay_alu instid0(SALU_CYCLE_1)
	s_and_b32 vcc_lo, exec_lo, s7
	s_cbranch_vccnz .LBB133_75
; %bb.73:
	s_load_b96 s[8:10], s[2:3], 0x4
	s_load_b32 s7, s[0:1], 0xe4
	s_wait_xcnt 0x0
	s_load_b64 s[2:3], s[0:1], 0xec
	s_wait_kmcnt 0x0
	v_mul_hi_u32 v11, s9, v10
	s_delay_alu instid0(VALU_DEP_1) | instskip(NEXT) | instid1(VALU_DEP_1)
	v_add_nc_u32_e32 v11, v10, v11
	v_lshrrev_b32_e32 v11, s10, v11
	s_delay_alu instid0(VALU_DEP_1) | instskip(NEXT) | instid1(VALU_DEP_1)
	v_mul_lo_u32 v11, v11, s8
	v_sub_nc_u32_e32 v10, v10, v11
	s_delay_alu instid0(VALU_DEP_1)
	v_mad_u32 v9, v10, s7, v9
	v_mad_u32 v4, v10, s2, v4
	;; [unrolled: 1-line block ×3, first 2 shown]
	s_and_not1_b32 vcc_lo, exec_lo, s6
	s_cbranch_vccz .LBB133_76
	s_branch .LBB133_79
.LBB133_74:
	s_mov_b32 s6, -1
                                        ; implicit-def: $vgpr5
                                        ; implicit-def: $vgpr4
                                        ; implicit-def: $vgpr9
.LBB133_75:
	s_delay_alu instid0(SALU_CYCLE_1)
	s_and_not1_b32 vcc_lo, exec_lo, s6
	s_cbranch_vccnz .LBB133_79
.LBB133_76:
	s_clause 0x2
	s_load_b96 s[0:2], s[16:17], 0x4
	s_load_b32 s3, s[16:17], 0xc4
	s_load_b64 s[6:7], s[16:17], 0xcc
	s_cmp_lt_u32 s15, 2
	s_wait_kmcnt 0x0
	v_mul_hi_u32 v4, s1, v7
	s_delay_alu instid0(VALU_DEP_1) | instskip(NEXT) | instid1(VALU_DEP_1)
	v_add_nc_u32_e32 v4, v7, v4
	v_lshrrev_b32_e32 v10, s2, v4
	s_delay_alu instid0(VALU_DEP_1) | instskip(NEXT) | instid1(VALU_DEP_1)
	v_mul_lo_u32 v4, v10, s0
	v_sub_nc_u32_e32 v4, v7, v4
	s_delay_alu instid0(VALU_DEP_1)
	v_mul_lo_u32 v9, v4, s3
	v_mul_lo_u32 v5, v4, s7
	;; [unrolled: 1-line block ×3, first 2 shown]
	s_cbranch_scc1 .LBB133_79
; %bb.77:
	s_clause 0x2
	s_load_b96 s[0:2], s[16:17], 0x10
	s_load_b32 s3, s[16:17], 0xd4
	s_load_b64 s[6:7], s[16:17], 0xdc
	s_wait_kmcnt 0x0
	v_mul_hi_u32 v7, s1, v10
	s_delay_alu instid0(VALU_DEP_1) | instskip(NEXT) | instid1(VALU_DEP_1)
	v_add_nc_u32_e32 v7, v10, v7
	v_lshrrev_b32_e32 v7, s2, v7
	s_delay_alu instid0(VALU_DEP_1) | instskip(NEXT) | instid1(VALU_DEP_1)
	v_mul_lo_u32 v7, v7, s0
	v_sub_nc_u32_e32 v7, v10, v7
	s_delay_alu instid0(VALU_DEP_1)
	v_mad_u32 v9, v7, s3, v9
	v_mad_u32 v4, v7, s6, v4
	;; [unrolled: 1-line block ×3, first 2 shown]
	s_branch .LBB133_79
.LBB133_78:
	v_dual_mov_b32 v5, 0 :: v_dual_mov_b32 v4, 0
	v_mov_b32_e32 v9, 0
	s_and_not1_b32 vcc_lo, exec_lo, s6
	s_cbranch_vccz .LBB133_76
.LBB133_79:
	v_cmp_ne_u32_e32 vcc_lo, 1, v6
	v_add_nc_u32_e32 v0, 0x100, v0
	s_cbranch_vccnz .LBB133_85
; %bb.80:
	s_cmp_lg_u32 s15, 0
	s_mov_b32 s6, 0
	s_cbranch_scc0 .LBB133_89
; %bb.81:
	s_min_u32 s7, s33, 15
	v_dual_mov_b32 v10, 0 :: v_dual_mov_b32 v12, v0
	v_dual_mov_b32 v11, 0 :: v_dual_mov_b32 v7, 0
	s_add_co_i32 s2, s7, 1
	s_mov_b64 s[0:1], 0xffffffffffffffe0
	s_and_b32 s8, s2, 30
	s_add_nc_u64 s[0:1], s[16:17], s[0:1]
	s_mov_b64 s[2:3], s[16:17]
.LBB133_82:                             ; =>This Inner Loop Header: Depth=1
	s_clause 0x1
	s_load_b128 s[20:23], s[2:3], 0x4
	s_load_b64 s[10:11], s[2:3], 0x14
	s_clause 0x1
	s_load_b32 s9, s[0:1], 0xe4
	s_load_b96 s[12:14], s[0:1], 0xec
	s_add_co_i32 s8, s8, -2
	s_wait_xcnt 0x0
	s_add_nc_u64 s[2:3], s[2:3], 24
	s_cmp_lg_u32 s8, 0
	s_wait_kmcnt 0x0
	v_mul_hi_u32 v13, s21, v12
	s_delay_alu instid0(VALU_DEP_1) | instskip(NEXT) | instid1(VALU_DEP_1)
	v_add_nc_u32_e32 v13, v12, v13
	v_lshrrev_b32_e32 v13, s22, v13
	s_delay_alu instid0(VALU_DEP_1) | instskip(SKIP_1) | instid1(VALU_DEP_1)
	v_mul_hi_u32 v14, s10, v13
	v_mul_lo_u32 v15, v13, s20
	v_dual_add_nc_u32 v14, v13, v14 :: v_dual_sub_nc_u32 v15, v12, v15
	s_delay_alu instid0(VALU_DEP_1) | instskip(SKIP_1) | instid1(VALU_DEP_2)
	v_lshrrev_b32_e32 v12, s11, v14
	s_load_b64 s[10:11], s[0:1], 0xfc
	v_mad_u32 v10, v15, s9, v10
	v_mad_u32 v7, v15, s13, v7
	;; [unrolled: 1-line block ×3, first 2 shown]
	v_mul_lo_u32 v14, v12, s23
	s_wait_xcnt 0x0
	s_add_nc_u64 s[0:1], s[0:1], 32
	s_delay_alu instid0(VALU_DEP_1) | instskip(NEXT) | instid1(VALU_DEP_1)
	v_sub_nc_u32_e32 v13, v13, v14
	v_mad_u32 v10, v13, s14, v10
	s_wait_kmcnt 0x0
	v_mad_u32 v7, v13, s11, v7
	v_mad_u32 v11, v13, s10, v11
	s_cbranch_scc1 .LBB133_82
; %bb.83:
	s_bitcmp1_b32 s7, 0
	s_cselect_b32 s7, -1, 0
	s_delay_alu instid0(SALU_CYCLE_1)
	s_and_b32 vcc_lo, exec_lo, s7
	s_cbranch_vccnz .LBB133_86
; %bb.84:
	s_load_b96 s[8:10], s[2:3], 0x4
	s_load_b32 s7, s[0:1], 0xe4
	s_wait_xcnt 0x0
	s_load_b64 s[2:3], s[0:1], 0xec
	s_wait_kmcnt 0x0
	v_mul_hi_u32 v13, s9, v12
	s_delay_alu instid0(VALU_DEP_1) | instskip(NEXT) | instid1(VALU_DEP_1)
	v_add_nc_u32_e32 v13, v12, v13
	v_lshrrev_b32_e32 v13, s10, v13
	s_delay_alu instid0(VALU_DEP_1) | instskip(NEXT) | instid1(VALU_DEP_1)
	v_mul_lo_u32 v13, v13, s8
	v_sub_nc_u32_e32 v12, v12, v13
	s_delay_alu instid0(VALU_DEP_1)
	v_mad_u32 v10, v12, s7, v10
	v_mad_u32 v11, v12, s2, v11
	;; [unrolled: 1-line block ×3, first 2 shown]
	s_and_not1_b32 vcc_lo, exec_lo, s6
	s_cbranch_vccz .LBB133_87
	s_branch .LBB133_90
.LBB133_85:
	s_mov_b32 s6, -1
                                        ; implicit-def: $vgpr7
                                        ; implicit-def: $vgpr11
                                        ; implicit-def: $vgpr10
.LBB133_86:
	s_delay_alu instid0(SALU_CYCLE_1)
	s_and_not1_b32 vcc_lo, exec_lo, s6
	s_cbranch_vccnz .LBB133_90
.LBB133_87:
	s_clause 0x2
	s_load_b96 s[0:2], s[16:17], 0x4
	s_load_b32 s3, s[16:17], 0xc4
	s_load_b64 s[6:7], s[16:17], 0xcc
	s_cmp_lt_u32 s15, 2
	s_wait_kmcnt 0x0
	v_mul_hi_u32 v7, s1, v0
	s_delay_alu instid0(VALU_DEP_1) | instskip(NEXT) | instid1(VALU_DEP_1)
	v_add_nc_u32_e32 v7, v0, v7
	v_lshrrev_b32_e32 v12, s2, v7
	s_delay_alu instid0(VALU_DEP_1) | instskip(NEXT) | instid1(VALU_DEP_1)
	v_mul_lo_u32 v7, v12, s0
	v_sub_nc_u32_e32 v0, v0, v7
	s_delay_alu instid0(VALU_DEP_1)
	v_mul_lo_u32 v10, v0, s3
	v_mul_lo_u32 v7, v0, s7
	;; [unrolled: 1-line block ×3, first 2 shown]
	s_cbranch_scc1 .LBB133_90
; %bb.88:
	s_clause 0x2
	s_load_b96 s[0:2], s[16:17], 0x10
	s_load_b32 s3, s[16:17], 0xd4
	s_load_b64 s[6:7], s[16:17], 0xdc
	s_wait_kmcnt 0x0
	v_mul_hi_u32 v0, s1, v12
	s_delay_alu instid0(VALU_DEP_1) | instskip(NEXT) | instid1(VALU_DEP_1)
	v_add_nc_u32_e32 v0, v12, v0
	v_lshrrev_b32_e32 v0, s2, v0
	s_delay_alu instid0(VALU_DEP_1) | instskip(NEXT) | instid1(VALU_DEP_1)
	v_mul_lo_u32 v0, v0, s0
	v_sub_nc_u32_e32 v0, v12, v0
	s_delay_alu instid0(VALU_DEP_1)
	v_mad_u32 v10, v0, s3, v10
	v_mad_u32 v11, v0, s6, v11
	;; [unrolled: 1-line block ×3, first 2 shown]
	s_branch .LBB133_90
.LBB133_89:
	v_dual_mov_b32 v7, 0 :: v_dual_mov_b32 v11, 0
	v_mov_b32_e32 v10, 0
	s_and_not1_b32 vcc_lo, exec_lo, s6
	s_cbranch_vccz .LBB133_87
.LBB133_90:
	v_cmp_ne_u32_e32 vcc_lo, 1, v6
	s_cbranch_vccnz .LBB133_96
; %bb.91:
	s_cmp_lg_u32 s15, 0
	s_mov_b32 s6, 0
	s_cbranch_scc0 .LBB133_100
; %bb.92:
	s_min_u32 s7, s33, 15
	v_dual_mov_b32 v0, 0 :: v_dual_mov_b32 v13, v8
	v_dual_mov_b32 v12, 0 :: v_dual_mov_b32 v6, 0
	s_add_co_i32 s2, s7, 1
	s_mov_b64 s[0:1], 0xffffffffffffffe0
	s_and_b32 s8, s2, 30
	s_add_nc_u64 s[0:1], s[16:17], s[0:1]
	s_mov_b64 s[2:3], s[16:17]
.LBB133_93:                             ; =>This Inner Loop Header: Depth=1
	s_clause 0x1
	s_load_b128 s[20:23], s[2:3], 0x4
	s_load_b64 s[10:11], s[2:3], 0x14
	s_clause 0x1
	s_load_b32 s9, s[0:1], 0xe4
	s_load_b96 s[12:14], s[0:1], 0xec
	s_add_co_i32 s8, s8, -2
	s_wait_xcnt 0x0
	s_add_nc_u64 s[2:3], s[2:3], 24
	s_cmp_lg_u32 s8, 0
	s_wait_kmcnt 0x0
	v_mul_hi_u32 v14, s21, v13
	s_delay_alu instid0(VALU_DEP_1) | instskip(NEXT) | instid1(VALU_DEP_1)
	v_add_nc_u32_e32 v14, v13, v14
	v_lshrrev_b32_e32 v14, s22, v14
	s_delay_alu instid0(VALU_DEP_1) | instskip(SKIP_1) | instid1(VALU_DEP_1)
	v_mul_hi_u32 v15, s10, v14
	v_mul_lo_u32 v16, v14, s20
	v_dual_add_nc_u32 v15, v14, v15 :: v_dual_sub_nc_u32 v16, v13, v16
	s_delay_alu instid0(VALU_DEP_1) | instskip(SKIP_1) | instid1(VALU_DEP_2)
	v_lshrrev_b32_e32 v13, s11, v15
	s_load_b64 s[10:11], s[0:1], 0xfc
	v_mad_u32 v0, v16, s9, v0
	v_mad_u32 v6, v16, s13, v6
	;; [unrolled: 1-line block ×3, first 2 shown]
	v_mul_lo_u32 v15, v13, s23
	s_wait_xcnt 0x0
	s_add_nc_u64 s[0:1], s[0:1], 32
	s_delay_alu instid0(VALU_DEP_1) | instskip(NEXT) | instid1(VALU_DEP_1)
	v_sub_nc_u32_e32 v14, v14, v15
	v_mad_u32 v0, v14, s14, v0
	s_wait_kmcnt 0x0
	v_mad_u32 v6, v14, s11, v6
	v_mad_u32 v12, v14, s10, v12
	s_cbranch_scc1 .LBB133_93
; %bb.94:
	s_bitcmp1_b32 s7, 0
	s_cselect_b32 s7, -1, 0
	s_delay_alu instid0(SALU_CYCLE_1)
	s_and_b32 vcc_lo, exec_lo, s7
	s_cbranch_vccnz .LBB133_97
; %bb.95:
	s_load_b96 s[8:10], s[2:3], 0x4
	s_load_b32 s7, s[0:1], 0xe4
	s_wait_xcnt 0x0
	s_load_b64 s[2:3], s[0:1], 0xec
	s_wait_kmcnt 0x0
	v_mul_hi_u32 v14, s9, v13
	s_delay_alu instid0(VALU_DEP_1) | instskip(NEXT) | instid1(VALU_DEP_1)
	v_add_nc_u32_e32 v14, v13, v14
	v_lshrrev_b32_e32 v14, s10, v14
	s_delay_alu instid0(VALU_DEP_1) | instskip(NEXT) | instid1(VALU_DEP_1)
	v_mul_lo_u32 v14, v14, s8
	v_sub_nc_u32_e32 v13, v13, v14
	s_delay_alu instid0(VALU_DEP_1)
	v_mad_u32 v0, v13, s7, v0
	v_mad_u32 v12, v13, s2, v12
	;; [unrolled: 1-line block ×3, first 2 shown]
	s_and_not1_b32 vcc_lo, exec_lo, s6
	s_cbranch_vccz .LBB133_98
	s_branch .LBB133_101
.LBB133_96:
	s_mov_b32 s6, -1
                                        ; implicit-def: $vgpr6
                                        ; implicit-def: $vgpr12
                                        ; implicit-def: $vgpr0
.LBB133_97:
	s_delay_alu instid0(SALU_CYCLE_1)
	s_and_not1_b32 vcc_lo, exec_lo, s6
	s_cbranch_vccnz .LBB133_101
.LBB133_98:
	s_clause 0x2
	s_load_b96 s[0:2], s[16:17], 0x4
	s_load_b32 s3, s[16:17], 0xc4
	s_load_b64 s[6:7], s[16:17], 0xcc
	s_cmp_lt_u32 s15, 2
	s_wait_kmcnt 0x0
	v_mul_hi_u32 v0, s1, v8
	s_delay_alu instid0(VALU_DEP_1) | instskip(NEXT) | instid1(VALU_DEP_1)
	v_add_nc_u32_e32 v0, v8, v0
	v_lshrrev_b32_e32 v13, s2, v0
	s_delay_alu instid0(VALU_DEP_1) | instskip(NEXT) | instid1(VALU_DEP_1)
	v_mul_lo_u32 v0, v13, s0
	v_sub_nc_u32_e32 v8, v8, v0
	s_delay_alu instid0(VALU_DEP_1)
	v_mul_lo_u32 v0, v8, s3
	v_mul_lo_u32 v6, v8, s7
	;; [unrolled: 1-line block ×3, first 2 shown]
	s_cbranch_scc1 .LBB133_101
; %bb.99:
	s_clause 0x2
	s_load_b96 s[0:2], s[16:17], 0x10
	s_load_b32 s3, s[16:17], 0xd4
	s_load_b64 s[6:7], s[16:17], 0xdc
	s_wait_kmcnt 0x0
	v_mul_hi_u32 v8, s1, v13
	s_delay_alu instid0(VALU_DEP_1) | instskip(NEXT) | instid1(VALU_DEP_1)
	v_add_nc_u32_e32 v8, v13, v8
	v_lshrrev_b32_e32 v8, s2, v8
	s_delay_alu instid0(VALU_DEP_1) | instskip(NEXT) | instid1(VALU_DEP_1)
	v_mul_lo_u32 v8, v8, s0
	v_sub_nc_u32_e32 v8, v13, v8
	s_delay_alu instid0(VALU_DEP_1)
	v_mad_u32 v0, v8, s3, v0
	v_mad_u32 v12, v8, s6, v12
	;; [unrolled: 1-line block ×3, first 2 shown]
	s_branch .LBB133_101
.LBB133_100:
	v_dual_mov_b32 v6, 0 :: v_dual_mov_b32 v12, 0
	v_mov_b32_e32 v0, 0
	s_and_not1_b32 vcc_lo, exec_lo, s6
	s_cbranch_vccz .LBB133_98
.LBB133_101:
	s_load_b128 s[0:3], s[16:17], 0x1d8
	s_or_b32 s4, s4, exec_lo
	s_wait_kmcnt 0x0
	s_clause 0x3
	global_load_b128 v[14:17], v3, s[0:1]
	global_load_b128 v[18:21], v4, s[0:1]
	;; [unrolled: 1-line block ×4, first 2 shown]
	s_clause 0x3
	global_load_b128 v[30:33], v1, s[2:3]
	global_load_b128 v[34:37], v5, s[2:3]
	;; [unrolled: 1-line block ×4, first 2 shown]
	s_wait_xcnt 0x0
	s_load_b128 s[0:3], s[16:17], 0x1f0
	s_wait_loadcnt 0x7
	s_wait_kmcnt 0x0
	v_dual_mul_f64 v[6:7], s[0:1], v[16:17] :: v_dual_mov_b32 v1, 0
	v_mul_f64_e32 v[4:5], s[2:3], v[16:17]
	s_wait_loadcnt 0x6
	v_mul_f64_e32 v[46:47], s[0:1], v[20:21]
	v_mul_f64_e32 v[12:13], s[2:3], v[20:21]
	s_wait_loadcnt 0x5
	v_mul_f64_e32 v[48:49], s[0:1], v[24:25]
	;; [unrolled: 3-line block ×3, first 2 shown]
	v_mul_f64_e32 v[20:21], s[2:3], v[28:29]
	v_fmac_f64_e32 v[6:7], s[2:3], v[14:15]
	v_fma_f64 v[28:29], s[0:1], v[14:15], -v[4:5]
	v_fmac_f64_e32 v[46:47], s[2:3], v[18:19]
	v_fma_f64 v[50:51], s[0:1], v[18:19], -v[12:13]
	;; [unrolled: 2-line block ×4, first 2 shown]
	s_load_b64 s[0:1], s[16:17], 0x1c8
	s_wait_loadcnt 0x3
	v_mul_f64_e32 v[12:13], v[6:7], v[32:33]
	v_mul_f64_e32 v[14:15], v[28:29], v[32:33]
	s_wait_loadcnt 0x2
	v_mul_f64_e32 v[16:17], v[46:47], v[36:37]
	v_mul_f64_e32 v[18:19], v[50:51], v[36:37]
	s_wait_loadcnt 0x1
	v_mul_f64_e32 v[20:21], v[48:49], v[40:41]
	v_mul_f64_e32 v[22:23], v[52:53], v[40:41]
	s_wait_loadcnt 0x0
	v_mul_f64_e32 v[32:33], v[24:25], v[44:45]
	v_mul_f64_e32 v[4:5], v[26:27], v[44:45]
	v_fma_f64 v[12:13], v[30:31], v[28:29], -v[12:13]
	v_fmac_f64_e32 v[14:15], v[30:31], v[6:7]
	v_fma_f64 v[16:17], v[34:35], v[50:51], -v[16:17]
	v_fmac_f64_e32 v[18:19], v[34:35], v[46:47]
	;; [unrolled: 2-line block ×4, first 2 shown]
	s_wait_kmcnt 0x0
	v_add_nc_u64_e32 v[6:7], s[0:1], v[0:1]
	s_clause 0x3
	global_store_b128 v2, v[12:15], s[0:1]
	global_store_b128 v9, v[16:19], s[0:1]
	;; [unrolled: 1-line block ×3, first 2 shown]
	global_store_b64 v0, v[26:27], s[0:1]
	s_wait_xcnt 0x0
	s_or_b32 exec_lo, exec_lo, s5
	s_and_saveexec_b32 s0, s4
	s_cbranch_execz .LBB133_3
.LBB133_102:
	global_store_b64 v[6:7], v[4:5], off offset:8
	s_endpgm
	.section	.rodata,"a",@progbits
	.p2align	6, 0x0
	.amdhsa_kernel _ZN2at6native32elementwise_kernel_manual_unrollILi128ELi4EZNS0_22gpu_kernel_impl_nocastIZZZNS0_12_GLOBAL__N_116addr_kernel_cudaERNS_14TensorIteratorERKN3c106ScalarES9_ENKUlvE_clEvENKUlvE6_clEvEUlNS6_7complexIdEESD_SD_E_EEvRNS_18TensorIteratorBaseERKT_EUlibE_EEviT1_
		.amdhsa_group_segment_fixed_size 0
		.amdhsa_private_segment_fixed_size 0
		.amdhsa_kernarg_size 528
		.amdhsa_user_sgpr_count 2
		.amdhsa_user_sgpr_dispatch_ptr 0
		.amdhsa_user_sgpr_queue_ptr 0
		.amdhsa_user_sgpr_kernarg_segment_ptr 1
		.amdhsa_user_sgpr_dispatch_id 0
		.amdhsa_user_sgpr_kernarg_preload_length 0
		.amdhsa_user_sgpr_kernarg_preload_offset 0
		.amdhsa_user_sgpr_private_segment_size 0
		.amdhsa_wavefront_size32 1
		.amdhsa_uses_dynamic_stack 0
		.amdhsa_enable_private_segment 0
		.amdhsa_system_sgpr_workgroup_id_x 1
		.amdhsa_system_sgpr_workgroup_id_y 0
		.amdhsa_system_sgpr_workgroup_id_z 0
		.amdhsa_system_sgpr_workgroup_info 0
		.amdhsa_system_vgpr_workitem_id 0
		.amdhsa_next_free_vgpr 54
		.amdhsa_next_free_sgpr 48
		.amdhsa_named_barrier_count 0
		.amdhsa_reserve_vcc 1
		.amdhsa_float_round_mode_32 0
		.amdhsa_float_round_mode_16_64 0
		.amdhsa_float_denorm_mode_32 3
		.amdhsa_float_denorm_mode_16_64 3
		.amdhsa_fp16_overflow 0
		.amdhsa_memory_ordered 1
		.amdhsa_forward_progress 1
		.amdhsa_inst_pref_size 48
		.amdhsa_round_robin_scheduling 0
		.amdhsa_exception_fp_ieee_invalid_op 0
		.amdhsa_exception_fp_denorm_src 0
		.amdhsa_exception_fp_ieee_div_zero 0
		.amdhsa_exception_fp_ieee_overflow 0
		.amdhsa_exception_fp_ieee_underflow 0
		.amdhsa_exception_fp_ieee_inexact 0
		.amdhsa_exception_int_div_zero 0
	.end_amdhsa_kernel
	.section	.text._ZN2at6native32elementwise_kernel_manual_unrollILi128ELi4EZNS0_22gpu_kernel_impl_nocastIZZZNS0_12_GLOBAL__N_116addr_kernel_cudaERNS_14TensorIteratorERKN3c106ScalarES9_ENKUlvE_clEvENKUlvE6_clEvEUlNS6_7complexIdEESD_SD_E_EEvRNS_18TensorIteratorBaseERKT_EUlibE_EEviT1_,"axG",@progbits,_ZN2at6native32elementwise_kernel_manual_unrollILi128ELi4EZNS0_22gpu_kernel_impl_nocastIZZZNS0_12_GLOBAL__N_116addr_kernel_cudaERNS_14TensorIteratorERKN3c106ScalarES9_ENKUlvE_clEvENKUlvE6_clEvEUlNS6_7complexIdEESD_SD_E_EEvRNS_18TensorIteratorBaseERKT_EUlibE_EEviT1_,comdat
.Lfunc_end133:
	.size	_ZN2at6native32elementwise_kernel_manual_unrollILi128ELi4EZNS0_22gpu_kernel_impl_nocastIZZZNS0_12_GLOBAL__N_116addr_kernel_cudaERNS_14TensorIteratorERKN3c106ScalarES9_ENKUlvE_clEvENKUlvE6_clEvEUlNS6_7complexIdEESD_SD_E_EEvRNS_18TensorIteratorBaseERKT_EUlibE_EEviT1_, .Lfunc_end133-_ZN2at6native32elementwise_kernel_manual_unrollILi128ELi4EZNS0_22gpu_kernel_impl_nocastIZZZNS0_12_GLOBAL__N_116addr_kernel_cudaERNS_14TensorIteratorERKN3c106ScalarES9_ENKUlvE_clEvENKUlvE6_clEvEUlNS6_7complexIdEESD_SD_E_EEvRNS_18TensorIteratorBaseERKT_EUlibE_EEviT1_
                                        ; -- End function
	.set _ZN2at6native32elementwise_kernel_manual_unrollILi128ELi4EZNS0_22gpu_kernel_impl_nocastIZZZNS0_12_GLOBAL__N_116addr_kernel_cudaERNS_14TensorIteratorERKN3c106ScalarES9_ENKUlvE_clEvENKUlvE6_clEvEUlNS6_7complexIdEESD_SD_E_EEvRNS_18TensorIteratorBaseERKT_EUlibE_EEviT1_.num_vgpr, 54
	.set _ZN2at6native32elementwise_kernel_manual_unrollILi128ELi4EZNS0_22gpu_kernel_impl_nocastIZZZNS0_12_GLOBAL__N_116addr_kernel_cudaERNS_14TensorIteratorERKN3c106ScalarES9_ENKUlvE_clEvENKUlvE6_clEvEUlNS6_7complexIdEESD_SD_E_EEvRNS_18TensorIteratorBaseERKT_EUlibE_EEviT1_.num_agpr, 0
	.set _ZN2at6native32elementwise_kernel_manual_unrollILi128ELi4EZNS0_22gpu_kernel_impl_nocastIZZZNS0_12_GLOBAL__N_116addr_kernel_cudaERNS_14TensorIteratorERKN3c106ScalarES9_ENKUlvE_clEvENKUlvE6_clEvEUlNS6_7complexIdEESD_SD_E_EEvRNS_18TensorIteratorBaseERKT_EUlibE_EEviT1_.numbered_sgpr, 48
	.set _ZN2at6native32elementwise_kernel_manual_unrollILi128ELi4EZNS0_22gpu_kernel_impl_nocastIZZZNS0_12_GLOBAL__N_116addr_kernel_cudaERNS_14TensorIteratorERKN3c106ScalarES9_ENKUlvE_clEvENKUlvE6_clEvEUlNS6_7complexIdEESD_SD_E_EEvRNS_18TensorIteratorBaseERKT_EUlibE_EEviT1_.num_named_barrier, 0
	.set _ZN2at6native32elementwise_kernel_manual_unrollILi128ELi4EZNS0_22gpu_kernel_impl_nocastIZZZNS0_12_GLOBAL__N_116addr_kernel_cudaERNS_14TensorIteratorERKN3c106ScalarES9_ENKUlvE_clEvENKUlvE6_clEvEUlNS6_7complexIdEESD_SD_E_EEvRNS_18TensorIteratorBaseERKT_EUlibE_EEviT1_.private_seg_size, 0
	.set _ZN2at6native32elementwise_kernel_manual_unrollILi128ELi4EZNS0_22gpu_kernel_impl_nocastIZZZNS0_12_GLOBAL__N_116addr_kernel_cudaERNS_14TensorIteratorERKN3c106ScalarES9_ENKUlvE_clEvENKUlvE6_clEvEUlNS6_7complexIdEESD_SD_E_EEvRNS_18TensorIteratorBaseERKT_EUlibE_EEviT1_.uses_vcc, 1
	.set _ZN2at6native32elementwise_kernel_manual_unrollILi128ELi4EZNS0_22gpu_kernel_impl_nocastIZZZNS0_12_GLOBAL__N_116addr_kernel_cudaERNS_14TensorIteratorERKN3c106ScalarES9_ENKUlvE_clEvENKUlvE6_clEvEUlNS6_7complexIdEESD_SD_E_EEvRNS_18TensorIteratorBaseERKT_EUlibE_EEviT1_.uses_flat_scratch, 0
	.set _ZN2at6native32elementwise_kernel_manual_unrollILi128ELi4EZNS0_22gpu_kernel_impl_nocastIZZZNS0_12_GLOBAL__N_116addr_kernel_cudaERNS_14TensorIteratorERKN3c106ScalarES9_ENKUlvE_clEvENKUlvE6_clEvEUlNS6_7complexIdEESD_SD_E_EEvRNS_18TensorIteratorBaseERKT_EUlibE_EEviT1_.has_dyn_sized_stack, 0
	.set _ZN2at6native32elementwise_kernel_manual_unrollILi128ELi4EZNS0_22gpu_kernel_impl_nocastIZZZNS0_12_GLOBAL__N_116addr_kernel_cudaERNS_14TensorIteratorERKN3c106ScalarES9_ENKUlvE_clEvENKUlvE6_clEvEUlNS6_7complexIdEESD_SD_E_EEvRNS_18TensorIteratorBaseERKT_EUlibE_EEviT1_.has_recursion, 0
	.set _ZN2at6native32elementwise_kernel_manual_unrollILi128ELi4EZNS0_22gpu_kernel_impl_nocastIZZZNS0_12_GLOBAL__N_116addr_kernel_cudaERNS_14TensorIteratorERKN3c106ScalarES9_ENKUlvE_clEvENKUlvE6_clEvEUlNS6_7complexIdEESD_SD_E_EEvRNS_18TensorIteratorBaseERKT_EUlibE_EEviT1_.has_indirect_call, 0
	.section	.AMDGPU.csdata,"",@progbits
; Kernel info:
; codeLenInByte = 6084
; TotalNumSgprs: 50
; NumVgprs: 54
; ScratchSize: 0
; MemoryBound: 0
; FloatMode: 240
; IeeeMode: 1
; LDSByteSize: 0 bytes/workgroup (compile time only)
; SGPRBlocks: 0
; VGPRBlocks: 3
; NumSGPRsForWavesPerEU: 50
; NumVGPRsForWavesPerEU: 54
; NamedBarCnt: 0
; Occupancy: 16
; WaveLimiterHint : 1
; COMPUTE_PGM_RSRC2:SCRATCH_EN: 0
; COMPUTE_PGM_RSRC2:USER_SGPR: 2
; COMPUTE_PGM_RSRC2:TRAP_HANDLER: 0
; COMPUTE_PGM_RSRC2:TGID_X_EN: 1
; COMPUTE_PGM_RSRC2:TGID_Y_EN: 0
; COMPUTE_PGM_RSRC2:TGID_Z_EN: 0
; COMPUTE_PGM_RSRC2:TIDIG_COMP_CNT: 0
	.section	.text._ZN2at6native32elementwise_kernel_manual_unrollILi128ELi4EZNS0_15gpu_kernel_implIZZZNS0_12_GLOBAL__N_116addr_kernel_cudaERNS_14TensorIteratorERKN3c106ScalarES9_ENKUlvE_clEvENKUlvE6_clEvEUlNS6_7complexIdEESD_SD_E_EEvRNS_18TensorIteratorBaseERKT_EUlibE_EEviT1_,"axG",@progbits,_ZN2at6native32elementwise_kernel_manual_unrollILi128ELi4EZNS0_15gpu_kernel_implIZZZNS0_12_GLOBAL__N_116addr_kernel_cudaERNS_14TensorIteratorERKN3c106ScalarES9_ENKUlvE_clEvENKUlvE6_clEvEUlNS6_7complexIdEESD_SD_E_EEvRNS_18TensorIteratorBaseERKT_EUlibE_EEviT1_,comdat
	.globl	_ZN2at6native32elementwise_kernel_manual_unrollILi128ELi4EZNS0_15gpu_kernel_implIZZZNS0_12_GLOBAL__N_116addr_kernel_cudaERNS_14TensorIteratorERKN3c106ScalarES9_ENKUlvE_clEvENKUlvE6_clEvEUlNS6_7complexIdEESD_SD_E_EEvRNS_18TensorIteratorBaseERKT_EUlibE_EEviT1_ ; -- Begin function _ZN2at6native32elementwise_kernel_manual_unrollILi128ELi4EZNS0_15gpu_kernel_implIZZZNS0_12_GLOBAL__N_116addr_kernel_cudaERNS_14TensorIteratorERKN3c106ScalarES9_ENKUlvE_clEvENKUlvE6_clEvEUlNS6_7complexIdEESD_SD_E_EEvRNS_18TensorIteratorBaseERKT_EUlibE_EEviT1_
	.p2align	8
	.type	_ZN2at6native32elementwise_kernel_manual_unrollILi128ELi4EZNS0_15gpu_kernel_implIZZZNS0_12_GLOBAL__N_116addr_kernel_cudaERNS_14TensorIteratorERKN3c106ScalarES9_ENKUlvE_clEvENKUlvE6_clEvEUlNS6_7complexIdEESD_SD_E_EEvRNS_18TensorIteratorBaseERKT_EUlibE_EEviT1_,@function
_ZN2at6native32elementwise_kernel_manual_unrollILi128ELi4EZNS0_15gpu_kernel_implIZZZNS0_12_GLOBAL__N_116addr_kernel_cudaERNS_14TensorIteratorERKN3c106ScalarES9_ENKUlvE_clEvENKUlvE6_clEvEUlNS6_7complexIdEESD_SD_E_EEvRNS_18TensorIteratorBaseERKT_EUlibE_EEviT1_: ; @_ZN2at6native32elementwise_kernel_manual_unrollILi128ELi4EZNS0_15gpu_kernel_implIZZZNS0_12_GLOBAL__N_116addr_kernel_cudaERNS_14TensorIteratorERKN3c106ScalarES9_ENKUlvE_clEvENKUlvE6_clEvEUlNS6_7complexIdEESD_SD_E_EEvRNS_18TensorIteratorBaseERKT_EUlibE_EEviT1_
; %bb.0:
	s_load_b32 s15, s[0:1], 0x50
	s_bfe_u32 s4, ttmp6, 0x4000c
	s_clause 0x3
	s_load_b32 s21, s[0:1], 0x0
	s_load_b64 s[2:3], s[0:1], 0x10
	s_load_b128 s[8:11], s[0:1], 0x20
	s_load_b32 s14, s[0:1], 0x30
	s_add_co_i32 s16, s4, 1
	s_clause 0x1
	s_load_b64 s[12:13], s[0:1], 0x38
	s_load_b128 s[4:7], s[0:1], 0x40
	s_and_b32 s17, ttmp6, 15
	s_wait_xcnt 0x0
	s_mul_i32 s0, ttmp9, s16
	s_getreg_b32 s19, hwreg(HW_REG_IB_STS2, 6, 4)
	s_add_co_i32 s17, s17, s0
	s_mov_b32 s20, 0
	s_wait_kmcnt 0x0
	s_lshr_b32 s16, s15, 16
	s_lshr_b32 s18, s15, 8
	s_lshr_b32 s1, s15, 24
	s_cmp_eq_u32 s19, 0
	s_cselect_b32 s0, ttmp9, s17
	s_mov_b32 s17, 0
	v_lshl_or_b32 v34, s0, 9, v0
	s_mov_b32 s0, exec_lo
	s_delay_alu instid0(VALU_DEP_1) | instskip(NEXT) | instid1(VALU_DEP_1)
	v_or_b32_e32 v0, 0x180, v34
	v_cmpx_le_i32_e64 s21, v0
	s_xor_b32 s19, exec_lo, s0
	s_cbranch_execz .LBB134_1664
; %bb.1:
	s_mov_b32 s0, -1
	s_mov_b32 s26, 0
	s_mov_b32 s24, 0
	;; [unrolled: 1-line block ×4, first 2 shown]
	s_mov_b32 s25, exec_lo
	v_cmpx_gt_i32_e64 s21, v34
	s_cbranch_execz .LBB134_412
; %bb.2:
	s_and_b32 s20, s18, 0xff
	s_delay_alu instid0(SALU_CYCLE_1)
	s_cmp_lt_i32 s20, 23
	s_cbranch_scc1 .LBB134_6
; %bb.3:
	s_and_b32 s22, 0xffff, s20
	s_delay_alu instid0(SALU_CYCLE_1)
	s_cmp_gt_i32 s22, 43
	s_cbranch_scc0 .LBB134_7
; %bb.4:
	s_cmp_gt_i32 s22, 45
	s_cbranch_scc0 .LBB134_8
; %bb.5:
	s_cmp_eq_u32 s22, 46
	s_mov_b32 s24, -1
	s_cselect_b32 s0, -1, 0
	s_branch .LBB134_9
.LBB134_6:
	s_mov_b32 s0, 0
	s_cbranch_execnz .LBB134_14
	s_branch .LBB134_18
.LBB134_7:
	s_mov_b32 s0, 0
	s_cbranch_execnz .LBB134_12
	s_branch .LBB134_13
.LBB134_8:
	s_mov_b32 s23, -1
	s_mov_b32 s0, 0
.LBB134_9:
	s_and_not1_b32 vcc_lo, exec_lo, s23
	s_cbranch_vccnz .LBB134_11
; %bb.10:
	s_cmp_eq_u32 s22, 44
	s_cselect_b32 s0, -1, 0
	s_cmp_lg_u32 s22, 44
	s_cselect_b32 s24, -1, 0
.LBB134_11:
	s_branch .LBB134_13
.LBB134_12:
	s_cmp_lt_i32 s22, 30
	s_cselect_b32 s0, -1, 0
	s_cmp_gt_i32 s22, 29
	s_cselect_b32 s24, -1, 0
.LBB134_13:
	s_branch .LBB134_18
.LBB134_14:
	s_and_b32 s20, 0xffff, s20
	s_mov_b32 s22, -1
	s_cmp_gt_i32 s20, 14
	s_cbranch_scc0 .LBB134_16
; %bb.15:
	s_cmp_eq_u32 s20, 15
	s_mov_b32 s22, 0
	s_cselect_b32 s0, -1, 0
	s_cmp_lg_u32 s20, 15
	s_cselect_b32 s24, -1, 0
.LBB134_16:
	s_and_not1_b32 vcc_lo, exec_lo, s22
	s_cbranch_vccnz .LBB134_18
; %bb.17:
	s_cmp_lt_i32 s20, 12
	s_cselect_b32 s0, -1, 0
	s_cmp_gt_i32 s20, 11
	s_cselect_b32 s24, -1, 0
.LBB134_18:
	s_and_b32 vcc_lo, exec_lo, s0
	s_cbranch_vccz .LBB134_26
; %bb.19:
	v_mul_lo_u32 v0, v34, s12
	s_and_b32 s0, s16, 0xff
	s_delay_alu instid0(SALU_CYCLE_1) | instskip(NEXT) | instid1(VALU_DEP_1)
	s_cmp_lt_i32 s0, 11
	v_ashrrev_i32_e32 v1, 31, v0
	s_delay_alu instid0(VALU_DEP_1)
	v_add_nc_u64_e32 v[4:5], s[8:9], v[0:1]
	s_cbranch_scc1 .LBB134_28
; %bb.20:
	s_and_b32 s20, 0xffff, s0
	s_delay_alu instid0(SALU_CYCLE_1)
	s_cmp_gt_i32 s20, 25
	s_cbranch_scc0 .LBB134_29
; %bb.21:
	s_cmp_gt_i32 s20, 28
	s_cbranch_scc0 .LBB134_30
; %bb.22:
	;; [unrolled: 3-line block ×4, first 2 shown]
	s_cmp_eq_u32 s20, 46
	s_mov_b32 s24, 0
	s_cbranch_scc0 .LBB134_33
; %bb.25:
	global_load_b32 v0, v[4:5], off
	s_mov_b32 s22, -1
	s_mov_b32 s23, 0
	s_wait_loadcnt 0x0
	v_lshlrev_b32_e32 v1, 16, v0
	v_and_b32_e32 v2, 0xffff0000, v0
	s_delay_alu instid0(VALU_DEP_2) | instskip(NEXT) | instid1(VALU_DEP_2)
	v_cvt_f64_f32_e32 v[0:1], v1
	v_cvt_f64_f32_e32 v[2:3], v2
	s_branch .LBB134_35
.LBB134_26:
	s_mov_b32 s0, 0
	s_mov_b32 s22, 0
	;; [unrolled: 1-line block ×3, first 2 shown]
.LBB134_27:
	s_mov_b32 s27, 0
                                        ; implicit-def: $vgpr34
	s_branch .LBB134_411
.LBB134_28:
	s_mov_b32 s23, 0
	s_mov_b32 s22, 0
                                        ; implicit-def: $vgpr2_vgpr3
	s_cbranch_execnz .LBB134_103
	s_branch .LBB134_153
.LBB134_29:
	s_mov_b32 s24, -1
	s_mov_b32 s23, 0
	s_mov_b32 s22, 0
                                        ; implicit-def: $vgpr2_vgpr3
	s_branch .LBB134_66
.LBB134_30:
	s_mov_b32 s24, -1
	s_mov_b32 s23, 0
	s_mov_b32 s22, 0
                                        ; implicit-def: $vgpr2_vgpr3
	s_branch .LBB134_47
.LBB134_31:
	s_mov_b32 s24, -1
	s_mov_b32 s23, 0
	s_mov_b32 s22, 0
                                        ; implicit-def: $vgpr2_vgpr3
	s_branch .LBB134_41
.LBB134_32:
	s_mov_b32 s24, -1
	s_mov_b32 s23, 0
	s_branch .LBB134_34
.LBB134_33:
	s_mov_b32 s23, -1
.LBB134_34:
	s_mov_b32 s22, 0
                                        ; implicit-def: $vgpr2_vgpr3
.LBB134_35:
	s_and_b32 vcc_lo, exec_lo, s24
	s_cbranch_vccz .LBB134_40
; %bb.36:
	s_cmp_eq_u32 s20, 44
	s_cbranch_scc0 .LBB134_38
; %bb.37:
	global_load_u8 v2, v[4:5], off
	s_mov_b32 s23, 0
	s_mov_b32 s22, -1
	s_wait_loadcnt 0x0
	v_cmp_ne_u32_e32 vcc_lo, 0xff, v2
	v_lshlrev_b32_e32 v0, 23, v2
	s_delay_alu instid0(VALU_DEP_1) | instskip(NEXT) | instid1(VALU_DEP_1)
	v_cvt_f64_f32_e32 v[0:1], v0
	v_cndmask_b32_e32 v0, 0x20000000, v0, vcc_lo
	s_delay_alu instid0(VALU_DEP_2) | instskip(SKIP_1) | instid1(VALU_DEP_2)
	v_cndmask_b32_e32 v1, 0x7ff80000, v1, vcc_lo
	v_cmp_ne_u32_e32 vcc_lo, 0, v2
	v_cndmask_b32_e32 v1, 0x38000000, v1, vcc_lo
	s_delay_alu instid0(VALU_DEP_4)
	v_cndmask_b32_e32 v0, 0, v0, vcc_lo
	s_branch .LBB134_39
.LBB134_38:
	s_mov_b32 s23, -1
                                        ; implicit-def: $vgpr0_vgpr1
.LBB134_39:
	v_mov_b64_e32 v[2:3], 0
.LBB134_40:
	s_mov_b32 s24, 0
.LBB134_41:
	s_delay_alu instid0(SALU_CYCLE_1)
	s_and_b32 vcc_lo, exec_lo, s24
	s_cbranch_vccz .LBB134_46
; %bb.42:
	s_cmp_eq_u32 s20, 29
	s_cbranch_scc0 .LBB134_44
; %bb.43:
	global_load_b64 v[0:1], v[4:5], off
	s_mov_b32 s22, -1
	s_mov_b32 s23, 0
	s_wait_loadcnt 0x0
	v_cvt_f64_u32_e32 v[2:3], v1
	v_cvt_f64_u32_e32 v[0:1], v0
	s_delay_alu instid0(VALU_DEP_2) | instskip(NEXT) | instid1(VALU_DEP_1)
	v_ldexp_f64 v[2:3], v[2:3], 32
	v_add_f64_e32 v[0:1], v[2:3], v[0:1]
	s_branch .LBB134_45
.LBB134_44:
	s_mov_b32 s23, -1
                                        ; implicit-def: $vgpr0_vgpr1
.LBB134_45:
	v_mov_b64_e32 v[2:3], 0
.LBB134_46:
	s_mov_b32 s24, 0
.LBB134_47:
	s_delay_alu instid0(SALU_CYCLE_1)
	s_and_b32 vcc_lo, exec_lo, s24
	s_cbranch_vccz .LBB134_65
; %bb.48:
	s_cmp_lt_i32 s20, 27
	s_cbranch_scc1 .LBB134_51
; %bb.49:
	s_cmp_gt_i32 s20, 27
	s_cbranch_scc0 .LBB134_52
; %bb.50:
	global_load_b32 v0, v[4:5], off
	s_mov_b32 s22, 0
	s_wait_loadcnt 0x0
	v_cvt_f64_u32_e32 v[0:1], v0
	s_branch .LBB134_53
.LBB134_51:
	s_mov_b32 s22, -1
                                        ; implicit-def: $vgpr0_vgpr1
	s_branch .LBB134_56
.LBB134_52:
	s_mov_b32 s22, -1
                                        ; implicit-def: $vgpr0_vgpr1
.LBB134_53:
	s_delay_alu instid0(SALU_CYCLE_1)
	s_and_not1_b32 vcc_lo, exec_lo, s22
	s_cbranch_vccnz .LBB134_55
; %bb.54:
	global_load_u16 v0, v[4:5], off
	s_wait_loadcnt 0x0
	v_cvt_f64_u32_e32 v[0:1], v0
.LBB134_55:
	s_mov_b32 s22, 0
.LBB134_56:
	s_delay_alu instid0(SALU_CYCLE_1)
	s_and_not1_b32 vcc_lo, exec_lo, s22
	s_cbranch_vccnz .LBB134_64
; %bb.57:
	global_load_u8 v2, v[4:5], off
	s_mov_b32 s22, 0
	s_mov_b32 s24, exec_lo
	s_wait_loadcnt 0x0
	v_cmpx_lt_i16_e32 0x7f, v2
	s_xor_b32 s24, exec_lo, s24
	s_cbranch_execz .LBB134_78
; %bb.58:
	s_mov_b32 s22, -1
	s_mov_b32 s27, exec_lo
	v_cmpx_eq_u16_e32 0x80, v2
; %bb.59:
	s_xor_b32 s22, exec_lo, -1
; %bb.60:
	s_or_b32 exec_lo, exec_lo, s27
	s_delay_alu instid0(SALU_CYCLE_1)
	s_and_b32 s22, s22, exec_lo
	s_or_saveexec_b32 s24, s24
	v_mov_b64_e32 v[0:1], 0x7ff8000020000000
	s_xor_b32 exec_lo, exec_lo, s24
	s_cbranch_execnz .LBB134_79
.LBB134_61:
	s_or_b32 exec_lo, exec_lo, s24
	s_and_saveexec_b32 s24, s22
	s_cbranch_execz .LBB134_63
.LBB134_62:
	v_and_b32_e32 v0, 0xffff, v2
	s_delay_alu instid0(VALU_DEP_1) | instskip(SKIP_1) | instid1(VALU_DEP_2)
	v_and_b32_e32 v1, 7, v0
	v_bfe_u32 v7, v0, 3, 4
	v_clz_i32_u32_e32 v3, v1
	s_delay_alu instid0(VALU_DEP_2) | instskip(NEXT) | instid1(VALU_DEP_2)
	v_cmp_eq_u32_e32 vcc_lo, 0, v7
	v_min_u32_e32 v3, 32, v3
	s_delay_alu instid0(VALU_DEP_1) | instskip(NEXT) | instid1(VALU_DEP_1)
	v_subrev_nc_u32_e32 v6, 28, v3
	v_dual_lshlrev_b32 v0, v6, v0 :: v_dual_sub_nc_u32 v3, 29, v3
	s_delay_alu instid0(VALU_DEP_1) | instskip(NEXT) | instid1(VALU_DEP_1)
	v_dual_lshlrev_b32 v2, 24, v2 :: v_dual_bitop2_b32 v0, 7, v0 bitop3:0x40
	v_dual_cndmask_b32 v3, v7, v3 :: v_dual_cndmask_b32 v0, v1, v0
	s_delay_alu instid0(VALU_DEP_2) | instskip(NEXT) | instid1(VALU_DEP_2)
	v_and_b32_e32 v1, 0x80000000, v2
	v_lshl_add_u32 v2, v3, 23, 0x3b800000
	s_delay_alu instid0(VALU_DEP_3) | instskip(NEXT) | instid1(VALU_DEP_1)
	v_lshlrev_b32_e32 v0, 20, v0
	v_or3_b32 v0, v1, v2, v0
	s_delay_alu instid0(VALU_DEP_1)
	v_cvt_f64_f32_e32 v[0:1], v0
.LBB134_63:
	s_or_b32 exec_lo, exec_lo, s24
.LBB134_64:
	v_mov_b64_e32 v[2:3], 0
	s_mov_b32 s22, -1
.LBB134_65:
	s_mov_b32 s24, 0
.LBB134_66:
	s_delay_alu instid0(SALU_CYCLE_1)
	s_and_b32 vcc_lo, exec_lo, s24
	s_cbranch_vccz .LBB134_102
; %bb.67:
	s_cmp_gt_i32 s20, 22
	s_cbranch_scc0 .LBB134_77
; %bb.68:
	s_cmp_lt_i32 s20, 24
	s_cbranch_scc1 .LBB134_80
; %bb.69:
	s_cmp_gt_i32 s20, 24
	s_cbranch_scc0 .LBB134_81
; %bb.70:
	global_load_u8 v2, v[4:5], off
	s_mov_b32 s22, 0
	s_mov_b32 s24, exec_lo
	s_wait_loadcnt 0x0
	v_cmpx_lt_i16_e32 0x7f, v2
	s_xor_b32 s24, exec_lo, s24
	s_cbranch_execz .LBB134_93
; %bb.71:
	s_mov_b32 s22, -1
	s_mov_b32 s27, exec_lo
	v_cmpx_eq_u16_e32 0x80, v2
; %bb.72:
	s_xor_b32 s22, exec_lo, -1
; %bb.73:
	s_or_b32 exec_lo, exec_lo, s27
	s_delay_alu instid0(SALU_CYCLE_1)
	s_and_b32 s22, s22, exec_lo
	s_or_saveexec_b32 s24, s24
	v_mov_b64_e32 v[0:1], 0x7ff8000020000000
	s_xor_b32 exec_lo, exec_lo, s24
	s_cbranch_execnz .LBB134_94
.LBB134_74:
	s_or_b32 exec_lo, exec_lo, s24
	s_and_saveexec_b32 s24, s22
	s_cbranch_execz .LBB134_76
.LBB134_75:
	v_and_b32_e32 v0, 0xffff, v2
	s_delay_alu instid0(VALU_DEP_1) | instskip(SKIP_1) | instid1(VALU_DEP_2)
	v_and_b32_e32 v1, 3, v0
	v_bfe_u32 v7, v0, 2, 5
	v_clz_i32_u32_e32 v3, v1
	s_delay_alu instid0(VALU_DEP_2) | instskip(NEXT) | instid1(VALU_DEP_2)
	v_cmp_eq_u32_e32 vcc_lo, 0, v7
	v_min_u32_e32 v3, 32, v3
	s_delay_alu instid0(VALU_DEP_1) | instskip(NEXT) | instid1(VALU_DEP_1)
	v_subrev_nc_u32_e32 v6, 29, v3
	v_dual_lshlrev_b32 v0, v6, v0 :: v_dual_sub_nc_u32 v3, 30, v3
	s_delay_alu instid0(VALU_DEP_1) | instskip(NEXT) | instid1(VALU_DEP_1)
	v_dual_lshlrev_b32 v2, 24, v2 :: v_dual_bitop2_b32 v0, 3, v0 bitop3:0x40
	v_dual_cndmask_b32 v3, v7, v3 :: v_dual_cndmask_b32 v0, v1, v0
	s_delay_alu instid0(VALU_DEP_2) | instskip(NEXT) | instid1(VALU_DEP_2)
	v_and_b32_e32 v1, 0x80000000, v2
	v_lshl_add_u32 v2, v3, 23, 0x37800000
	s_delay_alu instid0(VALU_DEP_3) | instskip(NEXT) | instid1(VALU_DEP_1)
	v_lshlrev_b32_e32 v0, 21, v0
	v_or3_b32 v0, v1, v2, v0
	s_delay_alu instid0(VALU_DEP_1)
	v_cvt_f64_f32_e32 v[0:1], v0
.LBB134_76:
	s_or_b32 exec_lo, exec_lo, s24
	s_mov_b32 s22, 0
	s_branch .LBB134_82
.LBB134_77:
	s_mov_b32 s24, -1
                                        ; implicit-def: $vgpr0_vgpr1
	s_branch .LBB134_88
.LBB134_78:
	s_or_saveexec_b32 s24, s24
	v_mov_b64_e32 v[0:1], 0x7ff8000020000000
	s_xor_b32 exec_lo, exec_lo, s24
	s_cbranch_execz .LBB134_61
.LBB134_79:
	v_cmp_ne_u16_e32 vcc_lo, 0, v2
	v_mov_b64_e32 v[0:1], 0
	s_and_not1_b32 s22, s22, exec_lo
	s_and_b32 s27, vcc_lo, exec_lo
	s_delay_alu instid0(SALU_CYCLE_1)
	s_or_b32 s22, s22, s27
	s_or_b32 exec_lo, exec_lo, s24
	s_and_saveexec_b32 s24, s22
	s_cbranch_execnz .LBB134_62
	s_branch .LBB134_63
.LBB134_80:
	s_mov_b32 s22, -1
                                        ; implicit-def: $vgpr0_vgpr1
	s_branch .LBB134_85
.LBB134_81:
	s_mov_b32 s22, -1
                                        ; implicit-def: $vgpr0_vgpr1
.LBB134_82:
	s_delay_alu instid0(SALU_CYCLE_1)
	s_and_b32 vcc_lo, exec_lo, s22
	s_cbranch_vccz .LBB134_84
; %bb.83:
	global_load_u8 v0, v[4:5], off
	s_wait_loadcnt 0x0
	v_lshlrev_b32_e32 v0, 24, v0
	s_delay_alu instid0(VALU_DEP_1) | instskip(NEXT) | instid1(VALU_DEP_1)
	v_and_b32_e32 v1, 0x7f000000, v0
	v_clz_i32_u32_e32 v2, v1
	v_cmp_ne_u32_e32 vcc_lo, 0, v1
	v_add_nc_u32_e32 v6, 0x1000000, v1
	s_delay_alu instid0(VALU_DEP_3) | instskip(NEXT) | instid1(VALU_DEP_1)
	v_min_u32_e32 v2, 32, v2
	v_sub_nc_u32_e64 v2, v2, 4 clamp
	s_delay_alu instid0(VALU_DEP_1) | instskip(NEXT) | instid1(VALU_DEP_1)
	v_dual_lshlrev_b32 v3, v2, v1 :: v_dual_lshlrev_b32 v2, 23, v2
	v_lshrrev_b32_e32 v3, 4, v3
	s_delay_alu instid0(VALU_DEP_1) | instskip(SKIP_1) | instid1(VALU_DEP_2)
	v_sub_nc_u32_e32 v2, v3, v2
	v_ashrrev_i32_e32 v3, 8, v6
	v_add_nc_u32_e32 v2, 0x3c000000, v2
	s_delay_alu instid0(VALU_DEP_1) | instskip(NEXT) | instid1(VALU_DEP_1)
	v_and_or_b32 v2, 0x7f800000, v3, v2
	v_cndmask_b32_e32 v1, 0, v2, vcc_lo
	s_delay_alu instid0(VALU_DEP_1) | instskip(NEXT) | instid1(VALU_DEP_1)
	v_and_or_b32 v0, 0x80000000, v0, v1
	v_cvt_f64_f32_e32 v[0:1], v0
.LBB134_84:
	s_mov_b32 s22, 0
.LBB134_85:
	s_delay_alu instid0(SALU_CYCLE_1)
	s_and_not1_b32 vcc_lo, exec_lo, s22
	s_cbranch_vccnz .LBB134_87
; %bb.86:
	global_load_u8 v0, v[4:5], off
	s_wait_loadcnt 0x0
	v_lshlrev_b32_e32 v1, 25, v0
	v_lshlrev_b16 v0, 8, v0
	s_delay_alu instid0(VALU_DEP_1) | instskip(SKIP_1) | instid1(VALU_DEP_2)
	v_and_or_b32 v3, 0x7f00, v0, 0.5
	v_bfe_i32 v0, v0, 0, 16
	v_dual_add_f32 v3, -0.5, v3 :: v_dual_lshrrev_b32 v2, 4, v1
	v_cmp_gt_u32_e32 vcc_lo, 0x8000000, v1
	s_delay_alu instid0(VALU_DEP_2) | instskip(NEXT) | instid1(VALU_DEP_1)
	v_or_b32_e32 v2, 0x70000000, v2
	v_mul_f32_e32 v2, 0x7800000, v2
	s_delay_alu instid0(VALU_DEP_1) | instskip(NEXT) | instid1(VALU_DEP_1)
	v_cndmask_b32_e32 v1, v2, v3, vcc_lo
	v_and_or_b32 v0, 0x80000000, v0, v1
	s_delay_alu instid0(VALU_DEP_1)
	v_cvt_f64_f32_e32 v[0:1], v0
.LBB134_87:
	s_mov_b32 s24, 0
	s_mov_b32 s22, -1
.LBB134_88:
	s_and_not1_b32 vcc_lo, exec_lo, s24
	s_cbranch_vccnz .LBB134_101
; %bb.89:
	s_cmp_gt_i32 s20, 14
	s_cbranch_scc0 .LBB134_92
; %bb.90:
	s_cmp_eq_u32 s20, 15
	s_cbranch_scc0 .LBB134_95
; %bb.91:
	global_load_u16 v0, v[4:5], off
	s_mov_b32 s22, -1
	s_mov_b32 s23, 0
	s_wait_loadcnt 0x0
	v_lshlrev_b32_e32 v0, 16, v0
	s_delay_alu instid0(VALU_DEP_1)
	v_cvt_f64_f32_e32 v[0:1], v0
	s_branch .LBB134_96
.LBB134_92:
	s_mov_b32 s24, -1
                                        ; implicit-def: $vgpr0_vgpr1
	s_branch .LBB134_97
.LBB134_93:
	s_or_saveexec_b32 s24, s24
	v_mov_b64_e32 v[0:1], 0x7ff8000020000000
	s_xor_b32 exec_lo, exec_lo, s24
	s_cbranch_execz .LBB134_74
.LBB134_94:
	v_cmp_ne_u16_e32 vcc_lo, 0, v2
	v_mov_b64_e32 v[0:1], 0
	s_and_not1_b32 s22, s22, exec_lo
	s_and_b32 s27, vcc_lo, exec_lo
	s_delay_alu instid0(SALU_CYCLE_1)
	s_or_b32 s22, s22, s27
	s_or_b32 exec_lo, exec_lo, s24
	s_and_saveexec_b32 s24, s22
	s_cbranch_execnz .LBB134_75
	s_branch .LBB134_76
.LBB134_95:
	s_mov_b32 s23, -1
                                        ; implicit-def: $vgpr0_vgpr1
.LBB134_96:
	s_mov_b32 s24, 0
.LBB134_97:
	s_delay_alu instid0(SALU_CYCLE_1)
	s_and_b32 vcc_lo, exec_lo, s24
	s_cbranch_vccz .LBB134_101
; %bb.98:
	s_cmp_eq_u32 s20, 11
	s_cbranch_scc0 .LBB134_100
; %bb.99:
	global_load_u8 v0, v[4:5], off
	s_mov_b32 s23, 0
	s_mov_b32 s22, -1
	v_mov_b64_e32 v[2:3], 0
	s_wait_loadcnt 0x0
	v_cmp_ne_u16_e32 vcc_lo, 0, v0
	v_mov_b32_e32 v0, 0
	v_cndmask_b32_e64 v1, 0, 0x3ff00000, vcc_lo
	s_branch .LBB134_102
.LBB134_100:
	s_mov_b32 s23, -1
                                        ; implicit-def: $vgpr0_vgpr1
.LBB134_101:
	v_mov_b64_e32 v[2:3], 0
.LBB134_102:
	s_branch .LBB134_153
.LBB134_103:
	s_and_b32 s0, 0xffff, s0
	s_delay_alu instid0(SALU_CYCLE_1)
	s_cmp_lt_i32 s0, 5
	s_cbranch_scc1 .LBB134_108
; %bb.104:
	s_cmp_lt_i32 s0, 8
	s_cbranch_scc1 .LBB134_109
; %bb.105:
	;; [unrolled: 3-line block ×3, first 2 shown]
	s_cmp_gt_i32 s0, 9
	s_cbranch_scc0 .LBB134_111
; %bb.107:
	global_load_b128 v[0:3], v[4:5], off
	s_mov_b32 s20, 0
	s_branch .LBB134_112
.LBB134_108:
	s_mov_b32 s20, -1
                                        ; implicit-def: $vgpr2_vgpr3
	s_branch .LBB134_131
.LBB134_109:
	s_mov_b32 s20, -1
                                        ; implicit-def: $vgpr2_vgpr3
	s_branch .LBB134_118
.LBB134_110:
	s_mov_b32 s20, -1
                                        ; implicit-def: $vgpr2_vgpr3
	s_branch .LBB134_115
.LBB134_111:
	s_mov_b32 s20, -1
                                        ; implicit-def: $vgpr2_vgpr3
.LBB134_112:
	s_delay_alu instid0(SALU_CYCLE_1)
	s_and_not1_b32 vcc_lo, exec_lo, s20
	s_cbranch_vccnz .LBB134_114
; %bb.113:
	s_wait_loadcnt 0x0
	global_load_b64 v[2:3], v[4:5], off
	s_wait_loadcnt 0x0
	v_cvt_f64_f32_e32 v[0:1], v2
	v_cvt_f64_f32_e32 v[2:3], v3
.LBB134_114:
	s_mov_b32 s20, 0
.LBB134_115:
	s_delay_alu instid0(SALU_CYCLE_1)
	s_and_not1_b32 vcc_lo, exec_lo, s20
	s_cbranch_vccnz .LBB134_117
; %bb.116:
	s_wait_loadcnt 0x0
	global_load_b32 v0, v[4:5], off
	s_wait_loadcnt 0x0
	v_lshrrev_b32_e32 v1, 16, v0
	v_cvt_f32_f16_e32 v0, v0
	s_delay_alu instid0(VALU_DEP_2) | instskip(NEXT) | instid1(VALU_DEP_2)
	v_cvt_f32_f16_e32 v2, v1
	v_cvt_f64_f32_e32 v[0:1], v0
	s_delay_alu instid0(VALU_DEP_2)
	v_cvt_f64_f32_e32 v[2:3], v2
.LBB134_117:
	s_mov_b32 s20, 0
.LBB134_118:
	s_delay_alu instid0(SALU_CYCLE_1)
	s_and_not1_b32 vcc_lo, exec_lo, s20
	s_cbranch_vccnz .LBB134_130
; %bb.119:
	s_cmp_lt_i32 s0, 6
	s_cbranch_scc1 .LBB134_122
; %bb.120:
	s_cmp_gt_i32 s0, 6
	s_cbranch_scc0 .LBB134_123
; %bb.121:
	s_wait_loadcnt 0x0
	global_load_b64 v[0:1], v[4:5], off
	s_mov_b32 s20, 0
	s_branch .LBB134_124
.LBB134_122:
	s_mov_b32 s20, -1
                                        ; implicit-def: $vgpr0_vgpr1
	s_branch .LBB134_127
.LBB134_123:
	s_mov_b32 s20, -1
                                        ; implicit-def: $vgpr0_vgpr1
.LBB134_124:
	s_delay_alu instid0(SALU_CYCLE_1)
	s_and_not1_b32 vcc_lo, exec_lo, s20
	s_cbranch_vccnz .LBB134_126
; %bb.125:
	s_wait_loadcnt 0x0
	global_load_b32 v0, v[4:5], off
	s_wait_loadcnt 0x0
	v_cvt_f64_f32_e32 v[0:1], v0
.LBB134_126:
	s_mov_b32 s20, 0
.LBB134_127:
	s_delay_alu instid0(SALU_CYCLE_1)
	s_and_not1_b32 vcc_lo, exec_lo, s20
	s_cbranch_vccnz .LBB134_129
; %bb.128:
	s_wait_loadcnt 0x0
	global_load_u16 v0, v[4:5], off
	s_wait_loadcnt 0x0
	v_cvt_f32_f16_e32 v0, v0
	s_delay_alu instid0(VALU_DEP_1)
	v_cvt_f64_f32_e32 v[0:1], v0
.LBB134_129:
	s_wait_loadcnt 0x0
	v_mov_b64_e32 v[2:3], 0
.LBB134_130:
	s_mov_b32 s20, 0
.LBB134_131:
	s_delay_alu instid0(SALU_CYCLE_1)
	s_and_not1_b32 vcc_lo, exec_lo, s20
	s_cbranch_vccnz .LBB134_152
; %bb.132:
	s_cmp_lt_i32 s0, 2
	s_cbranch_scc1 .LBB134_136
; %bb.133:
	s_cmp_lt_i32 s0, 3
	s_cbranch_scc1 .LBB134_137
; %bb.134:
	s_cmp_gt_i32 s0, 3
	s_cbranch_scc0 .LBB134_138
; %bb.135:
	s_wait_loadcnt 0x0
	global_load_b64 v[0:1], v[4:5], off
	s_mov_b32 s20, 0
	s_wait_loadcnt 0x0
	v_cvt_f64_i32_e32 v[2:3], v1
	v_cvt_f64_u32_e32 v[0:1], v0
	s_delay_alu instid0(VALU_DEP_2) | instskip(NEXT) | instid1(VALU_DEP_1)
	v_ldexp_f64 v[2:3], v[2:3], 32
	v_add_f64_e32 v[0:1], v[2:3], v[0:1]
	s_branch .LBB134_139
.LBB134_136:
	s_mov_b32 s20, -1
                                        ; implicit-def: $vgpr0_vgpr1
	s_branch .LBB134_145
.LBB134_137:
	s_mov_b32 s20, -1
                                        ; implicit-def: $vgpr0_vgpr1
	s_branch .LBB134_142
.LBB134_138:
	s_mov_b32 s20, -1
                                        ; implicit-def: $vgpr0_vgpr1
.LBB134_139:
	s_delay_alu instid0(SALU_CYCLE_1)
	s_and_not1_b32 vcc_lo, exec_lo, s20
	s_cbranch_vccnz .LBB134_141
; %bb.140:
	s_wait_loadcnt 0x0
	global_load_b32 v0, v[4:5], off
	s_wait_loadcnt 0x0
	v_cvt_f64_i32_e32 v[0:1], v0
.LBB134_141:
	s_mov_b32 s20, 0
.LBB134_142:
	s_delay_alu instid0(SALU_CYCLE_1)
	s_and_not1_b32 vcc_lo, exec_lo, s20
	s_cbranch_vccnz .LBB134_144
; %bb.143:
	s_wait_loadcnt 0x0
	global_load_i16 v0, v[4:5], off
	s_wait_loadcnt 0x0
	v_cvt_f64_i32_e32 v[0:1], v0
.LBB134_144:
	s_mov_b32 s20, 0
.LBB134_145:
	s_delay_alu instid0(SALU_CYCLE_1)
	s_and_not1_b32 vcc_lo, exec_lo, s20
	s_cbranch_vccnz .LBB134_151
; %bb.146:
	s_cmp_gt_i32 s0, 0
	s_mov_b32 s0, 0
	s_cbranch_scc0 .LBB134_148
; %bb.147:
	s_wait_loadcnt 0x0
	global_load_i8 v0, v[4:5], off
	s_wait_loadcnt 0x0
	v_cvt_f64_i32_e32 v[0:1], v0
	s_branch .LBB134_149
.LBB134_148:
	s_mov_b32 s0, -1
                                        ; implicit-def: $vgpr0_vgpr1
.LBB134_149:
	s_delay_alu instid0(SALU_CYCLE_1)
	s_and_not1_b32 vcc_lo, exec_lo, s0
	s_cbranch_vccnz .LBB134_151
; %bb.150:
	s_wait_loadcnt 0x0
	global_load_u8 v0, v[4:5], off
	s_wait_loadcnt 0x0
	v_cvt_f64_u32_e32 v[0:1], v0
.LBB134_151:
	s_wait_loadcnt 0x0
	v_mov_b64_e32 v[2:3], 0
.LBB134_152:
	s_mov_b32 s22, -1
.LBB134_153:
	s_mov_b32 s24, 0
	s_mov_b32 s0, 0
	s_and_not1_b32 vcc_lo, exec_lo, s22
	s_mov_b32 s22, 0
	s_mov_b32 s27, 0
	s_cbranch_vccnz .LBB134_411
; %bb.154:
	s_wait_xcnt 0x0
	v_mul_lo_u32 v4, v34, s13
	s_and_b32 s0, 0xffff, s1
	s_delay_alu instid0(SALU_CYCLE_1) | instskip(NEXT) | instid1(VALU_DEP_1)
	s_cmp_lt_i32 s0, 11
	v_ashrrev_i32_e32 v5, 31, v4
	s_delay_alu instid0(VALU_DEP_1)
	v_add_nc_u64_e32 v[8:9], s[10:11], v[4:5]
	s_cbranch_scc1 .LBB134_161
; %bb.155:
	s_cmp_gt_i32 s0, 25
	s_cbranch_scc0 .LBB134_162
; %bb.156:
	s_cmp_gt_i32 s0, 28
	s_cbranch_scc0 .LBB134_163
; %bb.157:
	s_cmp_gt_i32 s0, 43
	s_cbranch_scc0 .LBB134_164
; %bb.158:
	s_cmp_gt_i32 s0, 45
	s_cbranch_scc0 .LBB134_165
; %bb.159:
	s_cmp_eq_u32 s0, 46
	s_cbranch_scc0 .LBB134_166
; %bb.160:
	global_load_b32 v4, v[8:9], off
	s_mov_b32 s20, -1
	s_wait_loadcnt 0x0
	v_lshlrev_b32_e32 v5, 16, v4
	v_and_b32_e32 v6, 0xffff0000, v4
	s_delay_alu instid0(VALU_DEP_2) | instskip(NEXT) | instid1(VALU_DEP_2)
	v_cvt_f64_f32_e32 v[4:5], v5
	v_cvt_f64_f32_e32 v[6:7], v6
	s_branch .LBB134_168
.LBB134_161:
	s_mov_b32 s27, -1
	s_mov_b32 s20, 0
                                        ; implicit-def: $vgpr6_vgpr7
	s_branch .LBB134_236
.LBB134_162:
	s_mov_b32 s27, -1
	s_mov_b32 s20, 0
                                        ; implicit-def: $vgpr6_vgpr7
	s_branch .LBB134_199
.LBB134_163:
	s_mov_b32 s27, -1
	s_mov_b32 s20, 0
                                        ; implicit-def: $vgpr6_vgpr7
	s_branch .LBB134_180
.LBB134_164:
	s_mov_b32 s27, -1
	s_mov_b32 s20, 0
                                        ; implicit-def: $vgpr6_vgpr7
	s_branch .LBB134_174
.LBB134_165:
	s_mov_b32 s27, -1
	s_branch .LBB134_167
.LBB134_166:
	s_mov_b32 s22, -1
.LBB134_167:
	s_mov_b32 s20, 0
                                        ; implicit-def: $vgpr6_vgpr7
.LBB134_168:
	s_and_b32 vcc_lo, exec_lo, s27
	s_cbranch_vccz .LBB134_173
; %bb.169:
	s_cmp_eq_u32 s0, 44
	s_cbranch_scc0 .LBB134_171
; %bb.170:
	global_load_u8 v6, v[8:9], off
	s_mov_b32 s22, 0
	s_mov_b32 s20, -1
	s_wait_loadcnt 0x0
	v_cmp_ne_u32_e32 vcc_lo, 0xff, v6
	v_lshlrev_b32_e32 v4, 23, v6
	s_delay_alu instid0(VALU_DEP_1) | instskip(NEXT) | instid1(VALU_DEP_1)
	v_cvt_f64_f32_e32 v[4:5], v4
	v_cndmask_b32_e32 v4, 0x20000000, v4, vcc_lo
	s_delay_alu instid0(VALU_DEP_2) | instskip(SKIP_1) | instid1(VALU_DEP_2)
	v_cndmask_b32_e32 v5, 0x7ff80000, v5, vcc_lo
	v_cmp_ne_u32_e32 vcc_lo, 0, v6
	v_cndmask_b32_e32 v5, 0x38000000, v5, vcc_lo
	s_delay_alu instid0(VALU_DEP_4)
	v_cndmask_b32_e32 v4, 0, v4, vcc_lo
	s_branch .LBB134_172
.LBB134_171:
	s_mov_b32 s22, -1
                                        ; implicit-def: $vgpr4_vgpr5
.LBB134_172:
	v_mov_b64_e32 v[6:7], 0
.LBB134_173:
	s_mov_b32 s27, 0
.LBB134_174:
	s_delay_alu instid0(SALU_CYCLE_1)
	s_and_b32 vcc_lo, exec_lo, s27
	s_cbranch_vccz .LBB134_179
; %bb.175:
	s_cmp_eq_u32 s0, 29
	s_cbranch_scc0 .LBB134_177
; %bb.176:
	global_load_b64 v[4:5], v[8:9], off
	s_mov_b32 s20, -1
	s_mov_b32 s22, 0
	s_wait_loadcnt 0x0
	v_cvt_f64_u32_e32 v[6:7], v5
	v_cvt_f64_u32_e32 v[4:5], v4
	s_delay_alu instid0(VALU_DEP_2) | instskip(NEXT) | instid1(VALU_DEP_1)
	v_ldexp_f64 v[6:7], v[6:7], 32
	v_add_f64_e32 v[4:5], v[6:7], v[4:5]
	s_branch .LBB134_178
.LBB134_177:
	s_mov_b32 s22, -1
                                        ; implicit-def: $vgpr4_vgpr5
.LBB134_178:
	v_mov_b64_e32 v[6:7], 0
.LBB134_179:
	s_mov_b32 s27, 0
.LBB134_180:
	s_delay_alu instid0(SALU_CYCLE_1)
	s_and_b32 vcc_lo, exec_lo, s27
	s_cbranch_vccz .LBB134_198
; %bb.181:
	s_cmp_lt_i32 s0, 27
	s_cbranch_scc1 .LBB134_184
; %bb.182:
	s_cmp_gt_i32 s0, 27
	s_cbranch_scc0 .LBB134_185
; %bb.183:
	global_load_b32 v4, v[8:9], off
	s_mov_b32 s20, 0
	s_wait_loadcnt 0x0
	v_cvt_f64_u32_e32 v[4:5], v4
	s_branch .LBB134_186
.LBB134_184:
	s_mov_b32 s20, -1
                                        ; implicit-def: $vgpr4_vgpr5
	s_branch .LBB134_189
.LBB134_185:
	s_mov_b32 s20, -1
                                        ; implicit-def: $vgpr4_vgpr5
.LBB134_186:
	s_delay_alu instid0(SALU_CYCLE_1)
	s_and_not1_b32 vcc_lo, exec_lo, s20
	s_cbranch_vccnz .LBB134_188
; %bb.187:
	global_load_u16 v4, v[8:9], off
	s_wait_loadcnt 0x0
	v_cvt_f64_u32_e32 v[4:5], v4
.LBB134_188:
	s_mov_b32 s20, 0
.LBB134_189:
	s_delay_alu instid0(SALU_CYCLE_1)
	s_and_not1_b32 vcc_lo, exec_lo, s20
	s_cbranch_vccnz .LBB134_197
; %bb.190:
	global_load_u8 v6, v[8:9], off
	s_mov_b32 s20, 0
	s_mov_b32 s27, exec_lo
	s_wait_loadcnt 0x0
	v_cmpx_lt_i16_e32 0x7f, v6
	s_xor_b32 s27, exec_lo, s27
	s_cbranch_execz .LBB134_211
; %bb.191:
	s_mov_b32 s20, -1
	s_mov_b32 s28, exec_lo
	v_cmpx_eq_u16_e32 0x80, v6
; %bb.192:
	s_xor_b32 s20, exec_lo, -1
; %bb.193:
	s_or_b32 exec_lo, exec_lo, s28
	s_delay_alu instid0(SALU_CYCLE_1)
	s_and_b32 s20, s20, exec_lo
	s_or_saveexec_b32 s27, s27
	v_mov_b64_e32 v[4:5], 0x7ff8000020000000
	s_xor_b32 exec_lo, exec_lo, s27
	s_cbranch_execnz .LBB134_212
.LBB134_194:
	s_or_b32 exec_lo, exec_lo, s27
	s_and_saveexec_b32 s27, s20
	s_cbranch_execz .LBB134_196
.LBB134_195:
	v_and_b32_e32 v4, 0xffff, v6
	s_delay_alu instid0(VALU_DEP_1) | instskip(SKIP_1) | instid1(VALU_DEP_2)
	v_and_b32_e32 v5, 7, v4
	v_bfe_u32 v11, v4, 3, 4
	v_clz_i32_u32_e32 v7, v5
	s_delay_alu instid0(VALU_DEP_2) | instskip(NEXT) | instid1(VALU_DEP_2)
	v_cmp_eq_u32_e32 vcc_lo, 0, v11
	v_min_u32_e32 v7, 32, v7
	s_delay_alu instid0(VALU_DEP_1) | instskip(NEXT) | instid1(VALU_DEP_1)
	v_subrev_nc_u32_e32 v10, 28, v7
	v_dual_lshlrev_b32 v4, v10, v4 :: v_dual_sub_nc_u32 v7, 29, v7
	s_delay_alu instid0(VALU_DEP_1) | instskip(NEXT) | instid1(VALU_DEP_1)
	v_dual_lshlrev_b32 v6, 24, v6 :: v_dual_bitop2_b32 v4, 7, v4 bitop3:0x40
	v_dual_cndmask_b32 v7, v11, v7 :: v_dual_cndmask_b32 v4, v5, v4
	s_delay_alu instid0(VALU_DEP_2) | instskip(NEXT) | instid1(VALU_DEP_2)
	v_and_b32_e32 v5, 0x80000000, v6
	v_lshl_add_u32 v6, v7, 23, 0x3b800000
	s_delay_alu instid0(VALU_DEP_3) | instskip(NEXT) | instid1(VALU_DEP_1)
	v_lshlrev_b32_e32 v4, 20, v4
	v_or3_b32 v4, v5, v6, v4
	s_delay_alu instid0(VALU_DEP_1)
	v_cvt_f64_f32_e32 v[4:5], v4
.LBB134_196:
	s_or_b32 exec_lo, exec_lo, s27
.LBB134_197:
	v_mov_b64_e32 v[6:7], 0
	s_mov_b32 s20, -1
.LBB134_198:
	s_mov_b32 s27, 0
.LBB134_199:
	s_delay_alu instid0(SALU_CYCLE_1)
	s_and_b32 vcc_lo, exec_lo, s27
	s_cbranch_vccz .LBB134_235
; %bb.200:
	s_cmp_gt_i32 s0, 22
	s_cbranch_scc0 .LBB134_210
; %bb.201:
	s_cmp_lt_i32 s0, 24
	s_cbranch_scc1 .LBB134_213
; %bb.202:
	s_cmp_gt_i32 s0, 24
	s_cbranch_scc0 .LBB134_214
; %bb.203:
	global_load_u8 v6, v[8:9], off
	s_mov_b32 s20, 0
	s_mov_b32 s27, exec_lo
	s_wait_loadcnt 0x0
	v_cmpx_lt_i16_e32 0x7f, v6
	s_xor_b32 s27, exec_lo, s27
	s_cbranch_execz .LBB134_226
; %bb.204:
	s_mov_b32 s20, -1
	s_mov_b32 s28, exec_lo
	v_cmpx_eq_u16_e32 0x80, v6
; %bb.205:
	s_xor_b32 s20, exec_lo, -1
; %bb.206:
	s_or_b32 exec_lo, exec_lo, s28
	s_delay_alu instid0(SALU_CYCLE_1)
	s_and_b32 s20, s20, exec_lo
	s_or_saveexec_b32 s27, s27
	v_mov_b64_e32 v[4:5], 0x7ff8000020000000
	s_xor_b32 exec_lo, exec_lo, s27
	s_cbranch_execnz .LBB134_227
.LBB134_207:
	s_or_b32 exec_lo, exec_lo, s27
	s_and_saveexec_b32 s27, s20
	s_cbranch_execz .LBB134_209
.LBB134_208:
	v_and_b32_e32 v4, 0xffff, v6
	s_delay_alu instid0(VALU_DEP_1) | instskip(SKIP_1) | instid1(VALU_DEP_2)
	v_and_b32_e32 v5, 3, v4
	v_bfe_u32 v11, v4, 2, 5
	v_clz_i32_u32_e32 v7, v5
	s_delay_alu instid0(VALU_DEP_2) | instskip(NEXT) | instid1(VALU_DEP_2)
	v_cmp_eq_u32_e32 vcc_lo, 0, v11
	v_min_u32_e32 v7, 32, v7
	s_delay_alu instid0(VALU_DEP_1) | instskip(NEXT) | instid1(VALU_DEP_1)
	v_subrev_nc_u32_e32 v10, 29, v7
	v_dual_lshlrev_b32 v4, v10, v4 :: v_dual_sub_nc_u32 v7, 30, v7
	s_delay_alu instid0(VALU_DEP_1) | instskip(NEXT) | instid1(VALU_DEP_1)
	v_dual_lshlrev_b32 v6, 24, v6 :: v_dual_bitop2_b32 v4, 3, v4 bitop3:0x40
	v_dual_cndmask_b32 v7, v11, v7 :: v_dual_cndmask_b32 v4, v5, v4
	s_delay_alu instid0(VALU_DEP_2) | instskip(NEXT) | instid1(VALU_DEP_2)
	v_and_b32_e32 v5, 0x80000000, v6
	v_lshl_add_u32 v6, v7, 23, 0x37800000
	s_delay_alu instid0(VALU_DEP_3) | instskip(NEXT) | instid1(VALU_DEP_1)
	v_lshlrev_b32_e32 v4, 21, v4
	v_or3_b32 v4, v5, v6, v4
	s_delay_alu instid0(VALU_DEP_1)
	v_cvt_f64_f32_e32 v[4:5], v4
.LBB134_209:
	s_or_b32 exec_lo, exec_lo, s27
	s_mov_b32 s20, 0
	s_branch .LBB134_215
.LBB134_210:
	s_mov_b32 s27, -1
                                        ; implicit-def: $vgpr4_vgpr5
	s_branch .LBB134_221
.LBB134_211:
	s_or_saveexec_b32 s27, s27
	v_mov_b64_e32 v[4:5], 0x7ff8000020000000
	s_xor_b32 exec_lo, exec_lo, s27
	s_cbranch_execz .LBB134_194
.LBB134_212:
	v_cmp_ne_u16_e32 vcc_lo, 0, v6
	v_mov_b64_e32 v[4:5], 0
	s_and_not1_b32 s20, s20, exec_lo
	s_and_b32 s28, vcc_lo, exec_lo
	s_delay_alu instid0(SALU_CYCLE_1)
	s_or_b32 s20, s20, s28
	s_or_b32 exec_lo, exec_lo, s27
	s_and_saveexec_b32 s27, s20
	s_cbranch_execnz .LBB134_195
	s_branch .LBB134_196
.LBB134_213:
	s_mov_b32 s20, -1
                                        ; implicit-def: $vgpr4_vgpr5
	s_branch .LBB134_218
.LBB134_214:
	s_mov_b32 s20, -1
                                        ; implicit-def: $vgpr4_vgpr5
.LBB134_215:
	s_delay_alu instid0(SALU_CYCLE_1)
	s_and_b32 vcc_lo, exec_lo, s20
	s_cbranch_vccz .LBB134_217
; %bb.216:
	global_load_u8 v4, v[8:9], off
	s_wait_loadcnt 0x0
	v_lshlrev_b32_e32 v4, 24, v4
	s_delay_alu instid0(VALU_DEP_1) | instskip(NEXT) | instid1(VALU_DEP_1)
	v_and_b32_e32 v5, 0x7f000000, v4
	v_clz_i32_u32_e32 v6, v5
	v_cmp_ne_u32_e32 vcc_lo, 0, v5
	v_add_nc_u32_e32 v10, 0x1000000, v5
	s_delay_alu instid0(VALU_DEP_3) | instskip(NEXT) | instid1(VALU_DEP_1)
	v_min_u32_e32 v6, 32, v6
	v_sub_nc_u32_e64 v6, v6, 4 clamp
	s_delay_alu instid0(VALU_DEP_1) | instskip(NEXT) | instid1(VALU_DEP_1)
	v_dual_lshlrev_b32 v7, v6, v5 :: v_dual_lshlrev_b32 v6, 23, v6
	v_lshrrev_b32_e32 v7, 4, v7
	s_delay_alu instid0(VALU_DEP_1) | instskip(SKIP_1) | instid1(VALU_DEP_2)
	v_sub_nc_u32_e32 v6, v7, v6
	v_ashrrev_i32_e32 v7, 8, v10
	v_add_nc_u32_e32 v6, 0x3c000000, v6
	s_delay_alu instid0(VALU_DEP_1) | instskip(NEXT) | instid1(VALU_DEP_1)
	v_and_or_b32 v6, 0x7f800000, v7, v6
	v_cndmask_b32_e32 v5, 0, v6, vcc_lo
	s_delay_alu instid0(VALU_DEP_1) | instskip(NEXT) | instid1(VALU_DEP_1)
	v_and_or_b32 v4, 0x80000000, v4, v5
	v_cvt_f64_f32_e32 v[4:5], v4
.LBB134_217:
	s_mov_b32 s20, 0
.LBB134_218:
	s_delay_alu instid0(SALU_CYCLE_1)
	s_and_not1_b32 vcc_lo, exec_lo, s20
	s_cbranch_vccnz .LBB134_220
; %bb.219:
	global_load_u8 v4, v[8:9], off
	s_wait_loadcnt 0x0
	v_lshlrev_b32_e32 v5, 25, v4
	v_lshlrev_b16 v4, 8, v4
	s_delay_alu instid0(VALU_DEP_1) | instskip(SKIP_1) | instid1(VALU_DEP_2)
	v_and_or_b32 v7, 0x7f00, v4, 0.5
	v_bfe_i32 v4, v4, 0, 16
	v_dual_add_f32 v7, -0.5, v7 :: v_dual_lshrrev_b32 v6, 4, v5
	v_cmp_gt_u32_e32 vcc_lo, 0x8000000, v5
	s_delay_alu instid0(VALU_DEP_2) | instskip(NEXT) | instid1(VALU_DEP_1)
	v_or_b32_e32 v6, 0x70000000, v6
	v_mul_f32_e32 v6, 0x7800000, v6
	s_delay_alu instid0(VALU_DEP_1) | instskip(NEXT) | instid1(VALU_DEP_1)
	v_cndmask_b32_e32 v5, v6, v7, vcc_lo
	v_and_or_b32 v4, 0x80000000, v4, v5
	s_delay_alu instid0(VALU_DEP_1)
	v_cvt_f64_f32_e32 v[4:5], v4
.LBB134_220:
	s_mov_b32 s27, 0
	s_mov_b32 s20, -1
.LBB134_221:
	s_and_not1_b32 vcc_lo, exec_lo, s27
	s_cbranch_vccnz .LBB134_234
; %bb.222:
	s_cmp_gt_i32 s0, 14
	s_cbranch_scc0 .LBB134_225
; %bb.223:
	s_cmp_eq_u32 s0, 15
	s_cbranch_scc0 .LBB134_228
; %bb.224:
	global_load_u16 v4, v[8:9], off
	s_mov_b32 s20, -1
	s_mov_b32 s22, 0
	s_wait_loadcnt 0x0
	v_lshlrev_b32_e32 v4, 16, v4
	s_delay_alu instid0(VALU_DEP_1)
	v_cvt_f64_f32_e32 v[4:5], v4
	s_branch .LBB134_229
.LBB134_225:
	s_mov_b32 s27, -1
                                        ; implicit-def: $vgpr4_vgpr5
	s_branch .LBB134_230
.LBB134_226:
	s_or_saveexec_b32 s27, s27
	v_mov_b64_e32 v[4:5], 0x7ff8000020000000
	s_xor_b32 exec_lo, exec_lo, s27
	s_cbranch_execz .LBB134_207
.LBB134_227:
	v_cmp_ne_u16_e32 vcc_lo, 0, v6
	v_mov_b64_e32 v[4:5], 0
	s_and_not1_b32 s20, s20, exec_lo
	s_and_b32 s28, vcc_lo, exec_lo
	s_delay_alu instid0(SALU_CYCLE_1)
	s_or_b32 s20, s20, s28
	s_or_b32 exec_lo, exec_lo, s27
	s_and_saveexec_b32 s27, s20
	s_cbranch_execnz .LBB134_208
	s_branch .LBB134_209
.LBB134_228:
	s_mov_b32 s22, -1
                                        ; implicit-def: $vgpr4_vgpr5
.LBB134_229:
	s_mov_b32 s27, 0
.LBB134_230:
	s_delay_alu instid0(SALU_CYCLE_1)
	s_and_b32 vcc_lo, exec_lo, s27
	s_cbranch_vccz .LBB134_234
; %bb.231:
	s_cmp_eq_u32 s0, 11
	s_cbranch_scc0 .LBB134_233
; %bb.232:
	global_load_u8 v4, v[8:9], off
	s_mov_b32 s22, 0
	s_mov_b32 s20, -1
	v_mov_b64_e32 v[6:7], 0
	s_wait_loadcnt 0x0
	v_cmp_ne_u16_e32 vcc_lo, 0, v4
	v_mov_b32_e32 v4, 0
	v_cndmask_b32_e64 v5, 0, 0x3ff00000, vcc_lo
	s_branch .LBB134_235
.LBB134_233:
	s_mov_b32 s22, -1
                                        ; implicit-def: $vgpr4_vgpr5
.LBB134_234:
	v_mov_b64_e32 v[6:7], 0
.LBB134_235:
	s_mov_b32 s27, 0
.LBB134_236:
	s_delay_alu instid0(SALU_CYCLE_1)
	s_and_b32 vcc_lo, exec_lo, s27
	s_cbranch_vccz .LBB134_287
; %bb.237:
	s_cmp_lt_i32 s0, 5
	s_cbranch_scc1 .LBB134_242
; %bb.238:
	s_cmp_lt_i32 s0, 8
	s_cbranch_scc1 .LBB134_243
	;; [unrolled: 3-line block ×3, first 2 shown]
; %bb.240:
	s_cmp_gt_i32 s0, 9
	s_cbranch_scc0 .LBB134_245
; %bb.241:
	global_load_b128 v[4:7], v[8:9], off
	s_mov_b32 s20, 0
	s_branch .LBB134_246
.LBB134_242:
	s_mov_b32 s20, -1
                                        ; implicit-def: $vgpr6_vgpr7
	s_branch .LBB134_265
.LBB134_243:
	s_mov_b32 s20, -1
                                        ; implicit-def: $vgpr6_vgpr7
	s_branch .LBB134_252
.LBB134_244:
	s_mov_b32 s20, -1
                                        ; implicit-def: $vgpr6_vgpr7
	s_branch .LBB134_249
.LBB134_245:
	s_mov_b32 s20, -1
                                        ; implicit-def: $vgpr6_vgpr7
.LBB134_246:
	s_delay_alu instid0(SALU_CYCLE_1)
	s_and_not1_b32 vcc_lo, exec_lo, s20
	s_cbranch_vccnz .LBB134_248
; %bb.247:
	s_wait_loadcnt 0x0
	global_load_b64 v[6:7], v[8:9], off
	s_wait_loadcnt 0x0
	v_cvt_f64_f32_e32 v[4:5], v6
	v_cvt_f64_f32_e32 v[6:7], v7
.LBB134_248:
	s_mov_b32 s20, 0
.LBB134_249:
	s_delay_alu instid0(SALU_CYCLE_1)
	s_and_not1_b32 vcc_lo, exec_lo, s20
	s_cbranch_vccnz .LBB134_251
; %bb.250:
	s_wait_loadcnt 0x0
	global_load_b32 v4, v[8:9], off
	s_wait_loadcnt 0x0
	v_lshrrev_b32_e32 v5, 16, v4
	v_cvt_f32_f16_e32 v4, v4
	s_delay_alu instid0(VALU_DEP_2) | instskip(NEXT) | instid1(VALU_DEP_2)
	v_cvt_f32_f16_e32 v6, v5
	v_cvt_f64_f32_e32 v[4:5], v4
	s_delay_alu instid0(VALU_DEP_2)
	v_cvt_f64_f32_e32 v[6:7], v6
.LBB134_251:
	s_mov_b32 s20, 0
.LBB134_252:
	s_delay_alu instid0(SALU_CYCLE_1)
	s_and_not1_b32 vcc_lo, exec_lo, s20
	s_cbranch_vccnz .LBB134_264
; %bb.253:
	s_cmp_lt_i32 s0, 6
	s_cbranch_scc1 .LBB134_256
; %bb.254:
	s_cmp_gt_i32 s0, 6
	s_cbranch_scc0 .LBB134_257
; %bb.255:
	s_wait_loadcnt 0x0
	global_load_b64 v[4:5], v[8:9], off
	s_mov_b32 s20, 0
	s_branch .LBB134_258
.LBB134_256:
	s_mov_b32 s20, -1
                                        ; implicit-def: $vgpr4_vgpr5
	s_branch .LBB134_261
.LBB134_257:
	s_mov_b32 s20, -1
                                        ; implicit-def: $vgpr4_vgpr5
.LBB134_258:
	s_delay_alu instid0(SALU_CYCLE_1)
	s_and_not1_b32 vcc_lo, exec_lo, s20
	s_cbranch_vccnz .LBB134_260
; %bb.259:
	s_wait_loadcnt 0x0
	global_load_b32 v4, v[8:9], off
	s_wait_loadcnt 0x0
	v_cvt_f64_f32_e32 v[4:5], v4
.LBB134_260:
	s_mov_b32 s20, 0
.LBB134_261:
	s_delay_alu instid0(SALU_CYCLE_1)
	s_and_not1_b32 vcc_lo, exec_lo, s20
	s_cbranch_vccnz .LBB134_263
; %bb.262:
	s_wait_loadcnt 0x0
	global_load_u16 v4, v[8:9], off
	s_wait_loadcnt 0x0
	v_cvt_f32_f16_e32 v4, v4
	s_delay_alu instid0(VALU_DEP_1)
	v_cvt_f64_f32_e32 v[4:5], v4
.LBB134_263:
	s_wait_loadcnt 0x0
	v_mov_b64_e32 v[6:7], 0
.LBB134_264:
	s_mov_b32 s20, 0
.LBB134_265:
	s_delay_alu instid0(SALU_CYCLE_1)
	s_and_not1_b32 vcc_lo, exec_lo, s20
	s_cbranch_vccnz .LBB134_286
; %bb.266:
	s_cmp_lt_i32 s0, 2
	s_cbranch_scc1 .LBB134_270
; %bb.267:
	s_cmp_lt_i32 s0, 3
	s_cbranch_scc1 .LBB134_271
; %bb.268:
	s_cmp_gt_i32 s0, 3
	s_cbranch_scc0 .LBB134_272
; %bb.269:
	s_wait_loadcnt 0x0
	global_load_b64 v[4:5], v[8:9], off
	s_mov_b32 s20, 0
	s_wait_loadcnt 0x0
	v_cvt_f64_i32_e32 v[6:7], v5
	v_cvt_f64_u32_e32 v[4:5], v4
	s_delay_alu instid0(VALU_DEP_2) | instskip(NEXT) | instid1(VALU_DEP_1)
	v_ldexp_f64 v[6:7], v[6:7], 32
	v_add_f64_e32 v[4:5], v[6:7], v[4:5]
	s_branch .LBB134_273
.LBB134_270:
	s_mov_b32 s20, -1
                                        ; implicit-def: $vgpr4_vgpr5
	s_branch .LBB134_279
.LBB134_271:
	s_mov_b32 s20, -1
                                        ; implicit-def: $vgpr4_vgpr5
	s_branch .LBB134_276
.LBB134_272:
	s_mov_b32 s20, -1
                                        ; implicit-def: $vgpr4_vgpr5
.LBB134_273:
	s_delay_alu instid0(SALU_CYCLE_1)
	s_and_not1_b32 vcc_lo, exec_lo, s20
	s_cbranch_vccnz .LBB134_275
; %bb.274:
	s_wait_loadcnt 0x0
	global_load_b32 v4, v[8:9], off
	s_wait_loadcnt 0x0
	v_cvt_f64_i32_e32 v[4:5], v4
.LBB134_275:
	s_mov_b32 s20, 0
.LBB134_276:
	s_delay_alu instid0(SALU_CYCLE_1)
	s_and_not1_b32 vcc_lo, exec_lo, s20
	s_cbranch_vccnz .LBB134_278
; %bb.277:
	s_wait_loadcnt 0x0
	global_load_i16 v4, v[8:9], off
	s_wait_loadcnt 0x0
	v_cvt_f64_i32_e32 v[4:5], v4
.LBB134_278:
	s_mov_b32 s20, 0
.LBB134_279:
	s_delay_alu instid0(SALU_CYCLE_1)
	s_and_not1_b32 vcc_lo, exec_lo, s20
	s_cbranch_vccnz .LBB134_285
; %bb.280:
	s_cmp_gt_i32 s0, 0
	s_mov_b32 s0, 0
	s_cbranch_scc0 .LBB134_282
; %bb.281:
	s_wait_loadcnt 0x0
	global_load_i8 v4, v[8:9], off
	s_wait_loadcnt 0x0
	v_cvt_f64_i32_e32 v[4:5], v4
	s_branch .LBB134_283
.LBB134_282:
	s_mov_b32 s0, -1
                                        ; implicit-def: $vgpr4_vgpr5
.LBB134_283:
	s_delay_alu instid0(SALU_CYCLE_1)
	s_and_not1_b32 vcc_lo, exec_lo, s0
	s_cbranch_vccnz .LBB134_285
; %bb.284:
	s_wait_loadcnt 0x0
	global_load_u8 v4, v[8:9], off
	s_wait_loadcnt 0x0
	v_cvt_f64_u32_e32 v[4:5], v4
.LBB134_285:
	s_wait_loadcnt 0x0
	v_mov_b64_e32 v[6:7], 0
.LBB134_286:
	s_mov_b32 s20, -1
.LBB134_287:
	s_delay_alu instid0(SALU_CYCLE_1)
	s_and_not1_b32 vcc_lo, exec_lo, s20
	s_cbranch_vccnz .LBB134_295
; %bb.288:
	s_wait_loadcnt 0x0
	s_delay_alu instid0(VALU_DEP_4) | instskip(SKIP_2) | instid1(SALU_CYCLE_1)
	v_mul_f64_e32 v[8:9], s[4:5], v[2:3]
	v_mul_f64_e32 v[2:3], s[6:7], v[2:3]
	s_and_b32 s20, s15, 0xff
	s_cmp_lt_i32 s20, 11
	s_delay_alu instid0(VALU_DEP_2) | instskip(NEXT) | instid1(VALU_DEP_2)
	v_fmac_f64_e32 v[8:9], s[6:7], v[0:1]
	v_fma_f64 v[0:1], s[4:5], v[0:1], -v[2:3]
	s_delay_alu instid0(VALU_DEP_2) | instskip(NEXT) | instid1(VALU_DEP_2)
	v_mul_f64_e32 v[10:11], v[8:9], v[6:7]
	v_mul_f64_e32 v[2:3], v[0:1], v[6:7]
	s_delay_alu instid0(VALU_DEP_2) | instskip(NEXT) | instid1(VALU_DEP_2)
	v_fma_f64 v[0:1], v[0:1], v[4:5], -v[10:11]
	v_fmac_f64_e32 v[2:3], v[8:9], v[4:5]
	v_mul_lo_u32 v4, v34, s14
	s_delay_alu instid0(VALU_DEP_1) | instskip(NEXT) | instid1(VALU_DEP_1)
	v_ashrrev_i32_e32 v5, 31, v4
	v_add_nc_u64_e32 v[4:5], s[2:3], v[4:5]
	s_cbranch_scc1 .LBB134_296
; %bb.289:
	s_and_b32 s27, 0xffff, s20
	s_delay_alu instid0(SALU_CYCLE_1)
	s_cmp_gt_i32 s27, 25
	s_cbranch_scc0 .LBB134_297
; %bb.290:
	s_cmp_gt_i32 s27, 28
	s_cbranch_scc0 .LBB134_298
; %bb.291:
	s_cmp_gt_i32 s27, 43
	s_cbranch_scc0 .LBB134_299
; %bb.292:
	s_cmp_gt_i32 s27, 45
	s_cbranch_scc0 .LBB134_300
; %bb.293:
	s_mov_b32 s29, 0
	s_mov_b32 s0, -1
	s_cmp_eq_u32 s27, 46
	s_mov_b32 s28, 0
	s_cbranch_scc0 .LBB134_301
; %bb.294:
	s_delay_alu instid0(VALU_DEP_4) | instskip(SKIP_3) | instid1(VALU_DEP_2)
	v_cvt_f32_f64_e32 v6, v[2:3]
	v_cvt_f32_f64_e32 v7, v[0:1]
	s_mov_b32 s28, -1
	s_mov_b32 s0, 0
	v_bfe_u32 v8, v6, 16, 1
	s_delay_alu instid0(VALU_DEP_2) | instskip(SKIP_1) | instid1(VALU_DEP_3)
	v_bfe_u32 v9, v7, 16, 1
	v_cmp_o_f32_e32 vcc_lo, v6, v6
	v_add3_u32 v8, v6, v8, 0x7fff
	s_delay_alu instid0(VALU_DEP_3) | instskip(NEXT) | instid1(VALU_DEP_2)
	v_add3_u32 v9, v7, v9, 0x7fff
	v_and_b32_e32 v8, 0xffff0000, v8
	s_delay_alu instid0(VALU_DEP_1) | instskip(SKIP_1) | instid1(VALU_DEP_2)
	v_dual_cndmask_b32 v6, 0x7fc00000, v8 :: v_dual_lshrrev_b32 v9, 16, v9
	v_cmp_o_f32_e32 vcc_lo, v7, v7
	v_cndmask_b32_e32 v7, 0x7fc0, v9, vcc_lo
	s_delay_alu instid0(VALU_DEP_1)
	v_or_b32_e32 v6, v6, v7
	global_store_b32 v[4:5], v6, off
	s_branch .LBB134_301
.LBB134_295:
	s_mov_b32 s0, 0
	s_mov_b32 s27, 0
                                        ; implicit-def: $vgpr34
	s_branch .LBB134_411
.LBB134_296:
	s_mov_b32 s27, -1
	s_mov_b32 s0, 0
	s_mov_b32 s28, 0
	s_branch .LBB134_370
.LBB134_297:
	s_mov_b32 s29, -1
	s_mov_b32 s0, 0
	s_mov_b32 s28, 0
	s_branch .LBB134_328
.LBB134_298:
	s_mov_b32 s29, -1
	s_mov_b32 s0, 0
	s_mov_b32 s28, 0
	s_branch .LBB134_311
.LBB134_299:
	s_mov_b32 s29, -1
	s_mov_b32 s0, 0
	s_mov_b32 s28, 0
	s_branch .LBB134_307
.LBB134_300:
	s_mov_b32 s29, -1
	s_mov_b32 s0, 0
	s_mov_b32 s28, 0
.LBB134_301:
	s_and_b32 vcc_lo, exec_lo, s29
	s_cbranch_vccz .LBB134_306
; %bb.302:
	s_cmp_eq_u32 s27, 44
	s_mov_b32 s0, -1
	s_cbranch_scc0 .LBB134_306
; %bb.303:
	s_wait_xcnt 0x0
	v_cvt_f32_f64_e32 v6, v[0:1]
	v_mov_b32_e32 v7, 0xff
	s_mov_b32 s28, exec_lo
	s_delay_alu instid0(VALU_DEP_2) | instskip(NEXT) | instid1(VALU_DEP_1)
	v_bfe_u32 v8, v6, 23, 8
	v_cmpx_ne_u32_e32 0xff, v8
	s_cbranch_execz .LBB134_305
; %bb.304:
	v_and_b32_e32 v7, 0x400000, v6
	v_and_or_b32 v8, 0x3fffff, v6, v8
	v_lshrrev_b32_e32 v6, 23, v6
	s_delay_alu instid0(VALU_DEP_3) | instskip(NEXT) | instid1(VALU_DEP_3)
	v_cmp_ne_u32_e32 vcc_lo, 0, v7
	v_cmp_ne_u32_e64 s0, 0, v8
	s_and_b32 s0, vcc_lo, s0
	s_delay_alu instid0(SALU_CYCLE_1) | instskip(NEXT) | instid1(VALU_DEP_1)
	v_cndmask_b32_e64 v7, 0, 1, s0
	v_add_nc_u32_e32 v7, v6, v7
.LBB134_305:
	s_or_b32 exec_lo, exec_lo, s28
	s_mov_b32 s28, -1
	s_mov_b32 s0, 0
	global_store_b8 v[4:5], v7, off
.LBB134_306:
	s_mov_b32 s29, 0
.LBB134_307:
	s_delay_alu instid0(SALU_CYCLE_1)
	s_and_b32 vcc_lo, exec_lo, s29
	s_cbranch_vccz .LBB134_310
; %bb.308:
	s_cmp_eq_u32 s27, 29
	s_mov_b32 s0, -1
	s_cbranch_scc0 .LBB134_310
; %bb.309:
	s_wait_xcnt 0x0
	v_trunc_f64_e32 v[6:7], v[0:1]
	s_mov_b32 s28, -1
	s_mov_b32 s0, 0
	s_mov_b32 s29, 0
	s_delay_alu instid0(VALU_DEP_1) | instskip(NEXT) | instid1(VALU_DEP_1)
	v_ldexp_f64 v[8:9], v[6:7], 0xffffffe0
	v_floor_f64_e32 v[8:9], v[8:9]
	s_delay_alu instid0(VALU_DEP_1) | instskip(SKIP_1) | instid1(VALU_DEP_2)
	v_fmamk_f64 v[6:7], v[8:9], 0xc1f00000, v[6:7]
	v_cvt_u32_f64_e32 v9, v[8:9]
	v_cvt_u32_f64_e32 v8, v[6:7]
	global_store_b64 v[4:5], v[8:9], off
	s_branch .LBB134_311
.LBB134_310:
	s_mov_b32 s29, 0
.LBB134_311:
	s_delay_alu instid0(SALU_CYCLE_1)
	s_and_b32 vcc_lo, exec_lo, s29
	s_cbranch_vccz .LBB134_327
; %bb.312:
	s_cmp_lt_i32 s27, 27
	s_mov_b32 s28, -1
	s_cbranch_scc1 .LBB134_318
; %bb.313:
	s_wait_xcnt 0x0
	v_cvt_u32_f64_e32 v6, v[0:1]
	s_cmp_gt_i32 s27, 27
	s_cbranch_scc0 .LBB134_315
; %bb.314:
	s_mov_b32 s28, 0
	global_store_b32 v[4:5], v6, off
.LBB134_315:
	s_and_not1_b32 vcc_lo, exec_lo, s28
	s_cbranch_vccnz .LBB134_317
; %bb.316:
	global_store_b16 v[4:5], v6, off
.LBB134_317:
	s_mov_b32 s28, 0
.LBB134_318:
	s_delay_alu instid0(SALU_CYCLE_1)
	s_and_not1_b32 vcc_lo, exec_lo, s28
	s_cbranch_vccnz .LBB134_326
; %bb.319:
	s_wait_xcnt 0x0
	v_cvt_f32_f64_e32 v6, v[0:1]
	v_mov_b32_e32 v8, 0x80
	s_mov_b32 s28, exec_lo
	s_delay_alu instid0(VALU_DEP_2) | instskip(NEXT) | instid1(VALU_DEP_1)
	v_and_b32_e32 v7, 0x7fffffff, v6
	v_cmpx_gt_u32_e32 0x43800000, v7
	s_cbranch_execz .LBB134_325
; %bb.320:
	v_cmp_lt_u32_e32 vcc_lo, 0x3bffffff, v7
	s_mov_b32 s29, 0
                                        ; implicit-def: $vgpr7
	s_and_saveexec_b32 s30, vcc_lo
	s_delay_alu instid0(SALU_CYCLE_1)
	s_xor_b32 s30, exec_lo, s30
	s_cbranch_execz .LBB134_446
; %bb.321:
	v_bfe_u32 v7, v6, 20, 1
	s_mov_b32 s29, exec_lo
	s_delay_alu instid0(VALU_DEP_1) | instskip(NEXT) | instid1(VALU_DEP_1)
	v_add3_u32 v7, v6, v7, 0x487ffff
	v_lshrrev_b32_e32 v7, 20, v7
	s_and_not1_saveexec_b32 s30, s30
	s_cbranch_execnz .LBB134_447
.LBB134_322:
	s_or_b32 exec_lo, exec_lo, s30
	v_mov_b32_e32 v8, 0
	s_and_saveexec_b32 s30, s29
.LBB134_323:
	v_lshrrev_b32_e32 v6, 24, v6
	s_delay_alu instid0(VALU_DEP_1)
	v_and_or_b32 v8, 0x80, v6, v7
.LBB134_324:
	s_or_b32 exec_lo, exec_lo, s30
.LBB134_325:
	s_delay_alu instid0(SALU_CYCLE_1)
	s_or_b32 exec_lo, exec_lo, s28
	global_store_b8 v[4:5], v8, off
.LBB134_326:
	s_mov_b32 s28, -1
.LBB134_327:
	s_mov_b32 s29, 0
.LBB134_328:
	s_delay_alu instid0(SALU_CYCLE_1)
	s_and_b32 vcc_lo, exec_lo, s29
	s_cbranch_vccz .LBB134_369
; %bb.329:
	s_cmp_gt_i32 s27, 22
	s_mov_b32 s29, -1
	s_cbranch_scc0 .LBB134_361
; %bb.330:
	s_cmp_lt_i32 s27, 24
	s_mov_b32 s28, -1
	s_cbranch_scc1 .LBB134_350
; %bb.331:
	s_cmp_gt_i32 s27, 24
	s_cbranch_scc0 .LBB134_339
; %bb.332:
	s_wait_xcnt 0x0
	v_cvt_f32_f64_e32 v6, v[0:1]
	v_mov_b32_e32 v8, 0x80
	s_mov_b32 s28, exec_lo
	s_delay_alu instid0(VALU_DEP_2) | instskip(NEXT) | instid1(VALU_DEP_1)
	v_and_b32_e32 v7, 0x7fffffff, v6
	v_cmpx_gt_u32_e32 0x47800000, v7
	s_cbranch_execz .LBB134_338
; %bb.333:
	v_cmp_lt_u32_e32 vcc_lo, 0x37ffffff, v7
	s_mov_b32 s29, 0
                                        ; implicit-def: $vgpr7
	s_and_saveexec_b32 s30, vcc_lo
	s_delay_alu instid0(SALU_CYCLE_1)
	s_xor_b32 s30, exec_lo, s30
	s_cbranch_execz .LBB134_582
; %bb.334:
	v_bfe_u32 v7, v6, 21, 1
	s_mov_b32 s29, exec_lo
	s_delay_alu instid0(VALU_DEP_1) | instskip(NEXT) | instid1(VALU_DEP_1)
	v_add3_u32 v7, v6, v7, 0x88fffff
	v_lshrrev_b32_e32 v7, 21, v7
	s_and_not1_saveexec_b32 s30, s30
	s_cbranch_execnz .LBB134_583
.LBB134_335:
	s_or_b32 exec_lo, exec_lo, s30
	v_mov_b32_e32 v8, 0
	s_and_saveexec_b32 s30, s29
.LBB134_336:
	v_lshrrev_b32_e32 v6, 24, v6
	s_delay_alu instid0(VALU_DEP_1)
	v_and_or_b32 v8, 0x80, v6, v7
.LBB134_337:
	s_or_b32 exec_lo, exec_lo, s30
.LBB134_338:
	s_delay_alu instid0(SALU_CYCLE_1)
	s_or_b32 exec_lo, exec_lo, s28
	s_mov_b32 s28, 0
	global_store_b8 v[4:5], v8, off
.LBB134_339:
	s_and_b32 vcc_lo, exec_lo, s28
	s_cbranch_vccz .LBB134_349
; %bb.340:
	s_wait_xcnt 0x0
	v_cvt_f32_f64_e32 v6, v[0:1]
	s_mov_b32 s28, exec_lo
                                        ; implicit-def: $vgpr7
	s_delay_alu instid0(VALU_DEP_1) | instskip(NEXT) | instid1(VALU_DEP_1)
	v_and_b32_e32 v8, 0x7fffffff, v6
	v_cmpx_gt_u32_e32 0x43f00000, v8
	s_xor_b32 s28, exec_lo, s28
	s_cbranch_execz .LBB134_346
; %bb.341:
	s_mov_b32 s29, exec_lo
                                        ; implicit-def: $vgpr7
	v_cmpx_lt_u32_e32 0x3c7fffff, v8
	s_xor_b32 s29, exec_lo, s29
; %bb.342:
	v_bfe_u32 v7, v6, 20, 1
	s_delay_alu instid0(VALU_DEP_1) | instskip(NEXT) | instid1(VALU_DEP_1)
	v_add3_u32 v7, v6, v7, 0x407ffff
	v_and_b32_e32 v8, 0xff00000, v7
	v_lshrrev_b32_e32 v7, 20, v7
	s_delay_alu instid0(VALU_DEP_2) | instskip(NEXT) | instid1(VALU_DEP_2)
	v_cmp_ne_u32_e32 vcc_lo, 0x7f00000, v8
	v_cndmask_b32_e32 v7, 0x7e, v7, vcc_lo
; %bb.343:
	s_and_not1_saveexec_b32 s29, s29
; %bb.344:
	v_add_f32_e64 v7, 0x46800000, |v6|
; %bb.345:
	s_or_b32 exec_lo, exec_lo, s29
                                        ; implicit-def: $vgpr8
.LBB134_346:
	s_and_not1_saveexec_b32 s28, s28
; %bb.347:
	v_mov_b32_e32 v7, 0x7f
	v_cmp_lt_u32_e32 vcc_lo, 0x7f800000, v8
	s_delay_alu instid0(VALU_DEP_2)
	v_cndmask_b32_e32 v7, 0x7e, v7, vcc_lo
; %bb.348:
	s_or_b32 exec_lo, exec_lo, s28
	v_lshrrev_b32_e32 v6, 24, v6
	s_delay_alu instid0(VALU_DEP_1)
	v_and_or_b32 v6, 0x80, v6, v7
	global_store_b8 v[4:5], v6, off
.LBB134_349:
	s_mov_b32 s28, 0
.LBB134_350:
	s_delay_alu instid0(SALU_CYCLE_1)
	s_and_not1_b32 vcc_lo, exec_lo, s28
	s_cbranch_vccnz .LBB134_360
; %bb.351:
	s_wait_xcnt 0x0
	v_cvt_f32_f64_e32 v6, v[0:1]
	s_mov_b32 s28, exec_lo
                                        ; implicit-def: $vgpr7
	s_delay_alu instid0(VALU_DEP_1) | instskip(NEXT) | instid1(VALU_DEP_1)
	v_and_b32_e32 v8, 0x7fffffff, v6
	v_cmpx_gt_u32_e32 0x47800000, v8
	s_xor_b32 s28, exec_lo, s28
	s_cbranch_execz .LBB134_357
; %bb.352:
	s_mov_b32 s29, exec_lo
                                        ; implicit-def: $vgpr7
	v_cmpx_lt_u32_e32 0x387fffff, v8
	s_xor_b32 s29, exec_lo, s29
; %bb.353:
	v_bfe_u32 v7, v6, 21, 1
	s_delay_alu instid0(VALU_DEP_1) | instskip(NEXT) | instid1(VALU_DEP_1)
	v_add3_u32 v7, v6, v7, 0x80fffff
	v_lshrrev_b32_e32 v7, 21, v7
; %bb.354:
	s_and_not1_saveexec_b32 s29, s29
; %bb.355:
	v_add_f32_e64 v7, 0x43000000, |v6|
; %bb.356:
	s_or_b32 exec_lo, exec_lo, s29
                                        ; implicit-def: $vgpr8
.LBB134_357:
	s_and_not1_saveexec_b32 s28, s28
; %bb.358:
	v_mov_b32_e32 v7, 0x7f
	v_cmp_lt_u32_e32 vcc_lo, 0x7f800000, v8
	s_delay_alu instid0(VALU_DEP_2)
	v_cndmask_b32_e32 v7, 0x7c, v7, vcc_lo
; %bb.359:
	s_or_b32 exec_lo, exec_lo, s28
	v_lshrrev_b32_e32 v6, 24, v6
	s_delay_alu instid0(VALU_DEP_1)
	v_and_or_b32 v6, 0x80, v6, v7
	global_store_b8 v[4:5], v6, off
.LBB134_360:
	s_mov_b32 s29, 0
	s_mov_b32 s28, -1
.LBB134_361:
	s_and_not1_b32 vcc_lo, exec_lo, s29
	s_cbranch_vccnz .LBB134_369
; %bb.362:
	s_cmp_gt_i32 s27, 14
	s_mov_b32 s29, -1
	s_cbranch_scc0 .LBB134_366
; %bb.363:
	s_cmp_eq_u32 s27, 15
	s_mov_b32 s0, -1
	s_cbranch_scc0 .LBB134_365
; %bb.364:
	s_wait_xcnt 0x0
	v_cvt_f32_f64_e32 v6, v[0:1]
	s_mov_b32 s28, -1
	s_mov_b32 s0, 0
	s_delay_alu instid0(VALU_DEP_1) | instskip(SKIP_1) | instid1(VALU_DEP_2)
	v_bfe_u32 v7, v6, 16, 1
	v_cmp_o_f32_e32 vcc_lo, v6, v6
	v_add3_u32 v7, v6, v7, 0x7fff
	s_delay_alu instid0(VALU_DEP_1) | instskip(NEXT) | instid1(VALU_DEP_1)
	v_lshrrev_b32_e32 v7, 16, v7
	v_cndmask_b32_e32 v6, 0x7fc0, v7, vcc_lo
	global_store_b16 v[4:5], v6, off
.LBB134_365:
	s_mov_b32 s29, 0
.LBB134_366:
	s_delay_alu instid0(SALU_CYCLE_1)
	s_and_b32 vcc_lo, exec_lo, s29
	s_cbranch_vccz .LBB134_369
; %bb.367:
	s_cmp_eq_u32 s27, 11
	s_mov_b32 s0, -1
	s_cbranch_scc0 .LBB134_369
; %bb.368:
	v_cmp_neq_f64_e32 vcc_lo, 0, v[0:1]
	v_cmp_neq_f64_e64 s0, 0, v[2:3]
	s_mov_b32 s28, -1
	s_or_b32 s0, vcc_lo, s0
	s_wait_xcnt 0x0
	v_cndmask_b32_e64 v6, 0, 1, s0
	s_mov_b32 s0, 0
	global_store_b8 v[4:5], v6, off
.LBB134_369:
	s_mov_b32 s27, 0
.LBB134_370:
	s_delay_alu instid0(SALU_CYCLE_1)
	s_and_b32 vcc_lo, exec_lo, s27
	s_cbranch_vccz .LBB134_409
; %bb.371:
	s_and_b32 s20, 0xffff, s20
	s_mov_b32 s27, -1
	s_cmp_lt_i32 s20, 5
	s_cbranch_scc1 .LBB134_392
; %bb.372:
	s_cmp_lt_i32 s20, 8
	s_cbranch_scc1 .LBB134_382
; %bb.373:
	;; [unrolled: 3-line block ×3, first 2 shown]
	s_cmp_gt_i32 s20, 9
	s_cbranch_scc0 .LBB134_376
; %bb.375:
	s_mov_b32 s27, 0
	global_store_b128 v[4:5], v[0:3], off
.LBB134_376:
	s_and_not1_b32 vcc_lo, exec_lo, s27
	s_cbranch_vccnz .LBB134_378
; %bb.377:
	s_wait_xcnt 0x0
	v_cvt_f32_f64_e32 v6, v[0:1]
	v_cvt_f32_f64_e32 v7, v[2:3]
	global_store_b64 v[4:5], v[6:7], off
.LBB134_378:
	s_mov_b32 s27, 0
.LBB134_379:
	s_delay_alu instid0(SALU_CYCLE_1)
	s_and_not1_b32 vcc_lo, exec_lo, s27
	s_cbranch_vccnz .LBB134_381
; %bb.380:
	s_wait_xcnt 0x0
	v_and_or_b32 v6, 0x1ff, v1, v0
	v_and_or_b32 v2, 0x1ff, v3, v2
	v_dual_lshrrev_b32 v7, 8, v1 :: v_dual_lshrrev_b32 v10, 8, v3
	v_bfe_u32 v8, v1, 20, 11
	s_delay_alu instid0(VALU_DEP_4) | instskip(SKIP_2) | instid1(VALU_DEP_4)
	v_cmp_ne_u32_e32 vcc_lo, 0, v6
	v_bfe_u32 v9, v3, 20, 11
	v_dual_lshrrev_b32 v16, 16, v1 :: v_dual_lshrrev_b32 v3, 16, v3
	v_sub_nc_u32_e32 v11, 0x3f1, v8
	v_cndmask_b32_e64 v6, 0, 1, vcc_lo
	v_cmp_ne_u32_e32 vcc_lo, 0, v2
	v_add_nc_u32_e32 v8, 0xfffffc10, v8
	s_delay_alu instid0(VALU_DEP_3) | instskip(SKIP_1) | instid1(VALU_DEP_1)
	v_and_or_b32 v6, 0xffe, v7, v6
	v_cndmask_b32_e64 v2, 0, 1, vcc_lo
	v_and_or_b32 v2, 0xffe, v10, v2
	v_med3_i32 v10, v11, 0, 13
	s_delay_alu instid0(VALU_DEP_4) | instskip(NEXT) | instid1(VALU_DEP_3)
	v_or_b32_e32 v11, 0x1000, v6
	v_or_b32_e32 v12, 0x1000, v2
	s_delay_alu instid0(VALU_DEP_2) | instskip(NEXT) | instid1(VALU_DEP_1)
	v_lshrrev_b32_e32 v13, v10, v11
	v_lshlrev_b32_e32 v10, v10, v13
	s_delay_alu instid0(VALU_DEP_1) | instskip(SKIP_2) | instid1(VALU_DEP_1)
	v_cmp_ne_u32_e32 vcc_lo, v10, v11
	v_lshl_or_b32 v11, v8, 12, v6
	v_cndmask_b32_e64 v10, 0, 1, vcc_lo
	v_or_b32_e32 v10, v13, v10
	v_sub_nc_u32_e32 v7, 0x3f1, v9
	v_add_nc_u32_e32 v9, 0xfffffc10, v9
	s_delay_alu instid0(VALU_DEP_2) | instskip(NEXT) | instid1(VALU_DEP_1)
	v_med3_i32 v7, v7, 0, 13
	v_lshrrev_b32_e32 v14, v7, v12
	s_delay_alu instid0(VALU_DEP_1) | instskip(NEXT) | instid1(VALU_DEP_1)
	v_lshlrev_b32_e32 v7, v7, v14
	v_cmp_ne_u32_e32 vcc_lo, v7, v12
	v_lshl_or_b32 v12, v9, 12, v2
	v_cndmask_b32_e64 v7, 0, 1, vcc_lo
	v_cmp_gt_i32_e32 vcc_lo, 1, v8
	s_delay_alu instid0(VALU_DEP_2) | instskip(SKIP_1) | instid1(VALU_DEP_2)
	v_dual_cndmask_b32 v10, v11, v10, vcc_lo :: v_dual_bitop2_b32 v7, v14, v7 bitop3:0x54
	v_cmp_gt_i32_e32 vcc_lo, 1, v9
	v_dual_lshrrev_b32 v10, 2, v10 :: v_dual_bitop2_b32 v11, 7, v10 bitop3:0x40
	s_delay_alu instid0(VALU_DEP_3) | instskip(NEXT) | instid1(VALU_DEP_1)
	v_cndmask_b32_e32 v7, v12, v7, vcc_lo
	v_dual_lshrrev_b32 v7, 2, v7 :: v_dual_bitop2_b32 v12, 7, v7 bitop3:0x40
	s_delay_alu instid0(VALU_DEP_3) | instskip(SKIP_1) | instid1(VALU_DEP_3)
	v_cmp_lt_i32_e32 vcc_lo, 5, v11
	v_cndmask_b32_e64 v14, 0, 1, vcc_lo
	v_cmp_lt_i32_e32 vcc_lo, 5, v12
	v_cndmask_b32_e64 v15, 0, 1, vcc_lo
	v_cmp_eq_u32_e32 vcc_lo, 3, v12
	v_cndmask_b32_e64 v12, 0, 1, vcc_lo
	v_cmp_eq_u32_e32 vcc_lo, 3, v11
	s_delay_alu instid0(VALU_DEP_2) | instskip(SKIP_2) | instid1(VALU_DEP_3)
	v_or_b32_e32 v12, v12, v15
	v_cndmask_b32_e64 v11, 0, 1, vcc_lo
	v_cmp_ne_u32_e32 vcc_lo, 0, v6
	v_add_nc_u32_e32 v7, v7, v12
	s_delay_alu instid0(VALU_DEP_3) | instskip(NEXT) | instid1(VALU_DEP_1)
	v_or_b32_e32 v11, v11, v14
	v_dual_mov_b32 v13, 0x7e00 :: v_dual_add_nc_u32 v10, v10, v11
	s_delay_alu instid0(VALU_DEP_1)
	v_cndmask_b32_e32 v6, 0x7c00, v13, vcc_lo
	v_cmp_ne_u32_e32 vcc_lo, 0, v2
	v_and_b32_e32 v11, 0x8000, v16
	v_cndmask_b32_e32 v2, 0x7c00, v13, vcc_lo
	v_cmp_gt_i32_e32 vcc_lo, 31, v9
	v_cndmask_b32_e32 v7, 0x7c00, v7, vcc_lo
	v_cmp_gt_i32_e32 vcc_lo, 31, v8
	v_cndmask_b32_e32 v10, 0x7c00, v10, vcc_lo
	v_cmp_eq_u32_e32 vcc_lo, 0x40f, v9
	s_delay_alu instid0(VALU_DEP_4) | instskip(SKIP_1) | instid1(VALU_DEP_2)
	v_cndmask_b32_e32 v2, v7, v2, vcc_lo
	v_cmp_eq_u32_e32 vcc_lo, 0x40f, v8
	v_and_or_b32 v2, 0x8000, v3, v2
	v_cndmask_b32_e32 v6, v10, v6, vcc_lo
	s_delay_alu instid0(VALU_DEP_1) | instskip(NEXT) | instid1(VALU_DEP_1)
	v_bitop3_b32 v3, v11, 0xffff, v6 bitop3:0xc8
	v_lshl_or_b32 v2, v2, 16, v3
	global_store_b32 v[4:5], v2, off
.LBB134_381:
	s_mov_b32 s27, 0
.LBB134_382:
	s_delay_alu instid0(SALU_CYCLE_1)
	s_and_not1_b32 vcc_lo, exec_lo, s27
	s_cbranch_vccnz .LBB134_391
; %bb.383:
	s_cmp_lt_i32 s20, 6
	s_mov_b32 s27, -1
	s_cbranch_scc1 .LBB134_389
; %bb.384:
	s_cmp_gt_i32 s20, 6
	s_cbranch_scc0 .LBB134_386
; %bb.385:
	s_mov_b32 s27, 0
	global_store_b64 v[4:5], v[0:1], off
.LBB134_386:
	s_and_not1_b32 vcc_lo, exec_lo, s27
	s_cbranch_vccnz .LBB134_388
; %bb.387:
	s_wait_xcnt 0x0
	v_cvt_f32_f64_e32 v2, v[0:1]
	global_store_b32 v[4:5], v2, off
.LBB134_388:
	s_mov_b32 s27, 0
.LBB134_389:
	s_delay_alu instid0(SALU_CYCLE_1)
	s_and_not1_b32 vcc_lo, exec_lo, s27
	s_cbranch_vccnz .LBB134_391
; %bb.390:
	s_wait_xcnt 0x0
	v_and_or_b32 v2, 0x1ff, v1, v0
	v_lshrrev_b32_e32 v3, 8, v1
	v_bfe_u32 v6, v1, 20, 11
	s_delay_alu instid0(VALU_DEP_3) | instskip(NEXT) | instid1(VALU_DEP_2)
	v_cmp_ne_u32_e32 vcc_lo, 0, v2
	v_sub_nc_u32_e32 v7, 0x3f1, v6
	v_cndmask_b32_e64 v2, 0, 1, vcc_lo
	s_delay_alu instid0(VALU_DEP_1) | instskip(NEXT) | instid1(VALU_DEP_3)
	v_and_or_b32 v2, 0xffe, v3, v2
	v_med3_i32 v3, v7, 0, 13
	s_delay_alu instid0(VALU_DEP_2) | instskip(NEXT) | instid1(VALU_DEP_1)
	v_or_b32_e32 v7, 0x1000, v2
	v_lshrrev_b32_e32 v8, v3, v7
	s_delay_alu instid0(VALU_DEP_1) | instskip(NEXT) | instid1(VALU_DEP_1)
	v_lshlrev_b32_e32 v3, v3, v8
	v_cmp_ne_u32_e32 vcc_lo, v3, v7
	v_cndmask_b32_e64 v3, 0, 1, vcc_lo
	s_delay_alu instid0(VALU_DEP_1) | instskip(SKIP_1) | instid1(VALU_DEP_1)
	v_or_b32_e32 v3, v8, v3
	v_add_nc_u32_e32 v6, 0xfffffc10, v6
	v_lshl_or_b32 v7, v6, 12, v2
	v_cmp_gt_i32_e32 vcc_lo, 1, v6
	s_delay_alu instid0(VALU_DEP_2) | instskip(NEXT) | instid1(VALU_DEP_1)
	v_cndmask_b32_e32 v3, v7, v3, vcc_lo
	v_dual_lshrrev_b32 v3, 2, v3 :: v_dual_bitop2_b32 v7, 7, v3 bitop3:0x40
	s_delay_alu instid0(VALU_DEP_1) | instskip(SKIP_4) | instid1(VALU_DEP_2)
	v_cmp_lt_i32_e32 vcc_lo, 5, v7
	v_cndmask_b32_e64 v8, 0, 1, vcc_lo
	v_cmp_eq_u32_e32 vcc_lo, 3, v7
	v_cndmask_b32_e64 v7, 0, 1, vcc_lo
	v_cmp_ne_u32_e32 vcc_lo, 0, v2
	v_or_b32_e32 v7, v7, v8
	s_delay_alu instid0(VALU_DEP_1) | instskip(NEXT) | instid1(VALU_DEP_1)
	v_dual_mov_b32 v8, 0x7e00 :: v_dual_add_nc_u32 v3, v3, v7
	v_cndmask_b32_e32 v2, 0x7c00, v8, vcc_lo
	v_cmp_gt_i32_e32 vcc_lo, 31, v6
	s_delay_alu instid0(VALU_DEP_3) | instskip(SKIP_1) | instid1(VALU_DEP_2)
	v_cndmask_b32_e32 v3, 0x7c00, v3, vcc_lo
	v_cmp_eq_u32_e32 vcc_lo, 0x40f, v6
	v_dual_cndmask_b32 v2, v3, v2 :: v_dual_lshrrev_b32 v3, 16, v1
	s_delay_alu instid0(VALU_DEP_1)
	v_and_or_b32 v2, 0x8000, v3, v2
	global_store_b16 v[4:5], v2, off
.LBB134_391:
	s_mov_b32 s27, 0
.LBB134_392:
	s_delay_alu instid0(SALU_CYCLE_1)
	s_and_not1_b32 vcc_lo, exec_lo, s27
	s_cbranch_vccnz .LBB134_408
; %bb.393:
	s_cmp_lt_i32 s20, 2
	s_mov_b32 s27, -1
	s_cbranch_scc1 .LBB134_403
; %bb.394:
	s_cmp_lt_i32 s20, 3
	s_cbranch_scc1 .LBB134_400
; %bb.395:
	s_cmp_gt_i32 s20, 3
	s_cbranch_scc0 .LBB134_397
; %bb.396:
	s_wait_xcnt 0x0
	v_trunc_f64_e32 v[2:3], v[0:1]
	s_mov_b32 s27, 0
	s_delay_alu instid0(VALU_DEP_1) | instskip(NEXT) | instid1(VALU_DEP_1)
	v_ldexp_f64 v[6:7], v[2:3], 0xffffffe0
	v_floor_f64_e32 v[6:7], v[6:7]
	s_delay_alu instid0(VALU_DEP_1) | instskip(SKIP_1) | instid1(VALU_DEP_2)
	v_fmamk_f64 v[2:3], v[6:7], 0xc1f00000, v[2:3]
	v_cvt_i32_f64_e32 v7, v[6:7]
	v_cvt_u32_f64_e32 v6, v[2:3]
	global_store_b64 v[4:5], v[6:7], off
.LBB134_397:
	s_and_not1_b32 vcc_lo, exec_lo, s27
	s_cbranch_vccnz .LBB134_399
; %bb.398:
	s_wait_xcnt 0x0
	v_cvt_i32_f64_e32 v2, v[0:1]
	global_store_b32 v[4:5], v2, off
.LBB134_399:
	s_mov_b32 s27, 0
.LBB134_400:
	s_delay_alu instid0(SALU_CYCLE_1)
	s_and_not1_b32 vcc_lo, exec_lo, s27
	s_cbranch_vccnz .LBB134_402
; %bb.401:
	s_wait_xcnt 0x0
	v_cvt_i32_f64_e32 v2, v[0:1]
	global_store_b16 v[4:5], v2, off
.LBB134_402:
	s_mov_b32 s27, 0
.LBB134_403:
	s_delay_alu instid0(SALU_CYCLE_1)
	s_and_not1_b32 vcc_lo, exec_lo, s27
	s_cbranch_vccnz .LBB134_408
; %bb.404:
	s_cmp_gt_i32 s20, 0
	s_mov_b32 s20, -1
	s_cbranch_scc0 .LBB134_406
; %bb.405:
	s_wait_xcnt 0x0
	v_cvt_i32_f64_e32 v2, v[0:1]
	s_mov_b32 s20, 0
	global_store_b8 v[4:5], v2, off
.LBB134_406:
	s_and_not1_b32 vcc_lo, exec_lo, s20
	s_cbranch_vccnz .LBB134_408
; %bb.407:
	s_wait_xcnt 0x0
	v_trunc_f64_e32 v[0:1], v[0:1]
	s_delay_alu instid0(VALU_DEP_1) | instskip(NEXT) | instid1(VALU_DEP_1)
	v_ldexp_f64 v[2:3], v[0:1], 0xffffffe0
	v_floor_f64_e32 v[2:3], v[2:3]
	s_delay_alu instid0(VALU_DEP_1) | instskip(NEXT) | instid1(VALU_DEP_1)
	v_fmamk_f64 v[0:1], v[2:3], 0xc1f00000, v[0:1]
	v_cvt_u32_f64_e32 v0, v[0:1]
	global_store_b8 v[4:5], v0, off
.LBB134_408:
	s_mov_b32 s28, -1
.LBB134_409:
	s_delay_alu instid0(SALU_CYCLE_1)
	s_and_not1_b32 vcc_lo, exec_lo, s28
	s_cbranch_vccnz .LBB134_27
; %bb.410:
	v_add_nc_u32_e32 v34, 0x80, v34
	s_mov_b32 s27, -1
.LBB134_411:
	s_and_b32 s20, s0, exec_lo
	s_and_b32 s22, s22, exec_lo
	;; [unrolled: 1-line block ×4, first 2 shown]
	s_or_not1_b32 s0, s27, exec_lo
.LBB134_412:
	s_wait_xcnt 0x0
	s_or_b32 exec_lo, exec_lo, s25
	s_and_saveexec_b32 s25, s0
	s_cbranch_execz .LBB134_1275
; %bb.413:
	s_mov_b32 s31, -1
	s_mov_b32 s26, s24
	s_mov_b32 s29, s23
	;; [unrolled: 1-line block ×4, first 2 shown]
	s_mov_b32 s30, exec_lo
	v_cmpx_gt_i32_e64 s21, v34
	s_cbranch_execz .LBB134_830
; %bb.414:
	s_and_b32 s26, s18, 0xff
	s_delay_alu instid0(SALU_CYCLE_1)
	s_cmp_lt_i32 s26, 23
	s_cbranch_scc1 .LBB134_418
; %bb.415:
	s_and_b32 s27, 0xffff, s26
	s_delay_alu instid0(SALU_CYCLE_1)
	s_cmp_gt_i32 s27, 43
	s_cbranch_scc0 .LBB134_419
; %bb.416:
	s_cmp_gt_i32 s27, 45
	s_cbranch_scc0 .LBB134_420
; %bb.417:
	s_cmp_eq_u32 s27, 46
	s_mov_b32 s28, 0
	s_cselect_b32 s0, -1, 0
	s_or_b32 s29, s24, exec_lo
	s_branch .LBB134_421
.LBB134_418:
	s_mov_b32 s0, 0
	s_mov_b32 s29, s24
	s_cbranch_execnz .LBB134_427
	s_branch .LBB134_431
.LBB134_419:
	s_mov_b32 s28, -1
	s_mov_b32 s0, 0
	s_mov_b32 s29, s24
	s_branch .LBB134_424
.LBB134_420:
	s_mov_b32 s28, -1
	s_mov_b32 s0, 0
	s_mov_b32 s29, s24
.LBB134_421:
	s_and_not1_b32 vcc_lo, exec_lo, s28
	s_cbranch_vccnz .LBB134_423
; %bb.422:
	s_cmp_eq_u32 s27, 44
	s_cselect_b32 s0, -1, 0
	s_cmp_lg_u32 s27, 44
	s_cselect_b32 s28, -1, 0
	s_and_not1_b32 s29, s29, exec_lo
	s_and_b32 s28, s28, exec_lo
	s_delay_alu instid0(SALU_CYCLE_1)
	s_or_b32 s29, s29, s28
.LBB134_423:
	s_mov_b32 s28, 0
.LBB134_424:
	s_delay_alu instid0(SALU_CYCLE_1)
	s_and_b32 vcc_lo, exec_lo, s28
	s_cbranch_vccz .LBB134_426
; %bb.425:
	s_cmp_lt_i32 s27, 30
	s_cselect_b32 s0, -1, 0
	s_cmp_gt_i32 s27, 29
	s_cselect_b32 s27, -1, 0
	s_and_not1_b32 s28, s29, exec_lo
	s_and_b32 s27, s27, exec_lo
	s_delay_alu instid0(SALU_CYCLE_1)
	s_or_b32 s29, s28, s27
.LBB134_426:
	s_branch .LBB134_431
.LBB134_427:
	s_and_b32 s26, 0xffff, s26
	s_mov_b32 s27, -1
	s_cmp_gt_i32 s26, 14
	s_cbranch_scc0 .LBB134_429
; %bb.428:
	s_cmp_eq_u32 s26, 15
	s_cselect_b32 s0, -1, 0
	s_cmp_lg_u32 s26, 15
	s_cselect_b32 s27, -1, 0
	s_and_not1_b32 s28, s29, exec_lo
	s_and_b32 s29, s27, exec_lo
	s_mov_b32 s27, 0
	s_or_b32 s29, s28, s29
.LBB134_429:
	s_and_not1_b32 vcc_lo, exec_lo, s27
	s_cbranch_vccnz .LBB134_431
; %bb.430:
	s_cmp_lt_i32 s26, 12
	s_cselect_b32 s0, -1, 0
	s_cmp_gt_i32 s26, 11
	s_cselect_b32 s26, -1, 0
	s_and_not1_b32 s27, s29, exec_lo
	s_and_b32 s26, s26, exec_lo
	s_delay_alu instid0(SALU_CYCLE_1)
	s_or_b32 s29, s27, s26
.LBB134_431:
	s_and_b32 vcc_lo, exec_lo, s0
	s_cbranch_vccz .LBB134_439
; %bb.432:
	s_wait_loadcnt 0x0
	v_mul_lo_u32 v0, v34, s12
	s_and_b32 s0, s16, 0xff
	s_delay_alu instid0(SALU_CYCLE_1) | instskip(NEXT) | instid1(VALU_DEP_1)
	s_cmp_lt_i32 s0, 11
	v_ashrrev_i32_e32 v1, 31, v0
	s_delay_alu instid0(VALU_DEP_1)
	v_add_nc_u64_e32 v[4:5], s[8:9], v[0:1]
	s_cbranch_scc1 .LBB134_441
; %bb.433:
	s_and_b32 s27, 0xffff, s0
	s_delay_alu instid0(SALU_CYCLE_1)
	s_cmp_gt_i32 s27, 25
	s_cbranch_scc0 .LBB134_442
; %bb.434:
	s_cmp_gt_i32 s27, 28
	s_cbranch_scc0 .LBB134_443
; %bb.435:
	;; [unrolled: 3-line block ×4, first 2 shown]
	s_cmp_eq_u32 s27, 46
	s_mov_b32 s29, 0
	s_cbranch_scc0 .LBB134_448
; %bb.438:
	global_load_b32 v0, v[4:5], off
	s_mov_b32 s28, -1
	s_mov_b32 s26, 0
	s_wait_loadcnt 0x0
	v_lshlrev_b32_e32 v1, 16, v0
	v_and_b32_e32 v2, 0xffff0000, v0
	s_delay_alu instid0(VALU_DEP_2) | instskip(NEXT) | instid1(VALU_DEP_2)
	v_cvt_f64_f32_e32 v[0:1], v1
	v_cvt_f64_f32_e32 v[2:3], v2
	s_branch .LBB134_450
.LBB134_439:
	s_mov_b32 s31, 0
	s_mov_b32 s0, s20
	;; [unrolled: 1-line block ×4, first 2 shown]
.LBB134_440:
                                        ; implicit-def: $vgpr34
	s_branch .LBB134_829
.LBB134_441:
	s_mov_b32 s27, -1
	s_mov_b32 s28, 0
	s_mov_b32 s26, s23
                                        ; implicit-def: $vgpr2_vgpr3
	s_branch .LBB134_518
.LBB134_442:
	s_mov_b32 s29, -1
	s_mov_b32 s28, 0
	s_mov_b32 s26, s23
                                        ; implicit-def: $vgpr2_vgpr3
	s_branch .LBB134_481
.LBB134_443:
	s_mov_b32 s29, -1
	s_mov_b32 s28, 0
	s_mov_b32 s26, s23
                                        ; implicit-def: $vgpr2_vgpr3
	s_branch .LBB134_462
.LBB134_444:
	s_mov_b32 s29, -1
	s_mov_b32 s28, 0
	s_mov_b32 s26, s23
                                        ; implicit-def: $vgpr2_vgpr3
	s_branch .LBB134_456
.LBB134_445:
	s_mov_b32 s29, -1
	s_mov_b32 s28, 0
	s_mov_b32 s26, s23
	s_branch .LBB134_449
.LBB134_446:
	s_and_not1_saveexec_b32 s30, s30
	s_cbranch_execz .LBB134_322
.LBB134_447:
	v_add_f32_e64 v7, 0x46000000, |v6|
	s_and_not1_b32 s29, s29, exec_lo
	s_delay_alu instid0(VALU_DEP_1) | instskip(NEXT) | instid1(VALU_DEP_1)
	v_and_b32_e32 v7, 0xff, v7
	v_cmp_ne_u32_e32 vcc_lo, 0, v7
	s_and_b32 s31, vcc_lo, exec_lo
	s_delay_alu instid0(SALU_CYCLE_1)
	s_or_b32 s29, s29, s31
	s_or_b32 exec_lo, exec_lo, s30
	v_mov_b32_e32 v8, 0
	s_and_saveexec_b32 s30, s29
	s_cbranch_execnz .LBB134_323
	s_branch .LBB134_324
.LBB134_448:
	s_mov_b32 s26, -1
	s_mov_b32 s28, 0
.LBB134_449:
                                        ; implicit-def: $vgpr2_vgpr3
.LBB134_450:
	s_and_b32 vcc_lo, exec_lo, s29
	s_cbranch_vccz .LBB134_455
; %bb.451:
	s_cmp_eq_u32 s27, 44
	s_cbranch_scc0 .LBB134_453
; %bb.452:
	global_load_u8 v2, v[4:5], off
	s_mov_b32 s26, 0
	s_mov_b32 s28, -1
	s_wait_loadcnt 0x0
	v_cmp_ne_u32_e32 vcc_lo, 0xff, v2
	v_lshlrev_b32_e32 v0, 23, v2
	s_delay_alu instid0(VALU_DEP_1) | instskip(NEXT) | instid1(VALU_DEP_1)
	v_cvt_f64_f32_e32 v[0:1], v0
	v_cndmask_b32_e32 v0, 0x20000000, v0, vcc_lo
	s_delay_alu instid0(VALU_DEP_2) | instskip(SKIP_1) | instid1(VALU_DEP_2)
	v_cndmask_b32_e32 v1, 0x7ff80000, v1, vcc_lo
	v_cmp_ne_u32_e32 vcc_lo, 0, v2
	v_cndmask_b32_e32 v1, 0x38000000, v1, vcc_lo
	s_delay_alu instid0(VALU_DEP_4)
	v_cndmask_b32_e32 v0, 0, v0, vcc_lo
	s_branch .LBB134_454
.LBB134_453:
	s_mov_b32 s26, -1
                                        ; implicit-def: $vgpr0_vgpr1
.LBB134_454:
	v_mov_b64_e32 v[2:3], 0
.LBB134_455:
	s_mov_b32 s29, 0
.LBB134_456:
	s_delay_alu instid0(SALU_CYCLE_1)
	s_and_b32 vcc_lo, exec_lo, s29
	s_cbranch_vccz .LBB134_461
; %bb.457:
	s_cmp_eq_u32 s27, 29
	s_cbranch_scc0 .LBB134_459
; %bb.458:
	global_load_b64 v[0:1], v[4:5], off
	s_mov_b32 s28, -1
	s_mov_b32 s26, 0
	s_wait_loadcnt 0x0
	v_cvt_f64_u32_e32 v[2:3], v1
	v_cvt_f64_u32_e32 v[0:1], v0
	s_delay_alu instid0(VALU_DEP_2) | instskip(NEXT) | instid1(VALU_DEP_1)
	v_ldexp_f64 v[2:3], v[2:3], 32
	v_add_f64_e32 v[0:1], v[2:3], v[0:1]
	s_branch .LBB134_460
.LBB134_459:
	s_mov_b32 s26, -1
                                        ; implicit-def: $vgpr0_vgpr1
.LBB134_460:
	v_mov_b64_e32 v[2:3], 0
.LBB134_461:
	s_mov_b32 s29, 0
.LBB134_462:
	s_delay_alu instid0(SALU_CYCLE_1)
	s_and_b32 vcc_lo, exec_lo, s29
	s_cbranch_vccz .LBB134_480
; %bb.463:
	s_cmp_lt_i32 s27, 27
	s_cbranch_scc1 .LBB134_466
; %bb.464:
	s_cmp_gt_i32 s27, 27
	s_cbranch_scc0 .LBB134_467
; %bb.465:
	global_load_b32 v0, v[4:5], off
	s_mov_b32 s28, 0
	s_wait_loadcnt 0x0
	v_cvt_f64_u32_e32 v[0:1], v0
	s_branch .LBB134_468
.LBB134_466:
	s_mov_b32 s28, -1
                                        ; implicit-def: $vgpr0_vgpr1
	s_branch .LBB134_471
.LBB134_467:
	s_mov_b32 s28, -1
                                        ; implicit-def: $vgpr0_vgpr1
.LBB134_468:
	s_delay_alu instid0(SALU_CYCLE_1)
	s_and_not1_b32 vcc_lo, exec_lo, s28
	s_cbranch_vccnz .LBB134_470
; %bb.469:
	global_load_u16 v0, v[4:5], off
	s_wait_loadcnt 0x0
	v_cvt_f64_u32_e32 v[0:1], v0
.LBB134_470:
	s_mov_b32 s28, 0
.LBB134_471:
	s_delay_alu instid0(SALU_CYCLE_1)
	s_and_not1_b32 vcc_lo, exec_lo, s28
	s_cbranch_vccnz .LBB134_479
; %bb.472:
	global_load_u8 v2, v[4:5], off
	s_mov_b32 s28, 0
	s_mov_b32 s29, exec_lo
	s_wait_loadcnt 0x0
	v_cmpx_lt_i16_e32 0x7f, v2
	s_xor_b32 s29, exec_lo, s29
	s_cbranch_execz .LBB134_493
; %bb.473:
	s_mov_b32 s28, -1
	s_mov_b32 s31, exec_lo
	v_cmpx_eq_u16_e32 0x80, v2
; %bb.474:
	s_xor_b32 s28, exec_lo, -1
; %bb.475:
	s_or_b32 exec_lo, exec_lo, s31
	s_delay_alu instid0(SALU_CYCLE_1)
	s_and_b32 s28, s28, exec_lo
	s_or_saveexec_b32 s29, s29
	v_mov_b64_e32 v[0:1], 0x7ff8000020000000
	s_xor_b32 exec_lo, exec_lo, s29
	s_cbranch_execnz .LBB134_494
.LBB134_476:
	s_or_b32 exec_lo, exec_lo, s29
	s_and_saveexec_b32 s29, s28
	s_cbranch_execz .LBB134_478
.LBB134_477:
	v_and_b32_e32 v0, 0xffff, v2
	s_delay_alu instid0(VALU_DEP_1) | instskip(SKIP_1) | instid1(VALU_DEP_2)
	v_and_b32_e32 v1, 7, v0
	v_bfe_u32 v7, v0, 3, 4
	v_clz_i32_u32_e32 v3, v1
	s_delay_alu instid0(VALU_DEP_2) | instskip(NEXT) | instid1(VALU_DEP_2)
	v_cmp_eq_u32_e32 vcc_lo, 0, v7
	v_min_u32_e32 v3, 32, v3
	s_delay_alu instid0(VALU_DEP_1) | instskip(NEXT) | instid1(VALU_DEP_1)
	v_subrev_nc_u32_e32 v6, 28, v3
	v_dual_lshlrev_b32 v0, v6, v0 :: v_dual_sub_nc_u32 v3, 29, v3
	s_delay_alu instid0(VALU_DEP_1) | instskip(NEXT) | instid1(VALU_DEP_1)
	v_dual_lshlrev_b32 v2, 24, v2 :: v_dual_bitop2_b32 v0, 7, v0 bitop3:0x40
	v_dual_cndmask_b32 v3, v7, v3 :: v_dual_cndmask_b32 v0, v1, v0
	s_delay_alu instid0(VALU_DEP_2) | instskip(NEXT) | instid1(VALU_DEP_2)
	v_and_b32_e32 v1, 0x80000000, v2
	v_lshl_add_u32 v2, v3, 23, 0x3b800000
	s_delay_alu instid0(VALU_DEP_3) | instskip(NEXT) | instid1(VALU_DEP_1)
	v_lshlrev_b32_e32 v0, 20, v0
	v_or3_b32 v0, v1, v2, v0
	s_delay_alu instid0(VALU_DEP_1)
	v_cvt_f64_f32_e32 v[0:1], v0
.LBB134_478:
	s_or_b32 exec_lo, exec_lo, s29
.LBB134_479:
	v_mov_b64_e32 v[2:3], 0
	s_mov_b32 s28, -1
.LBB134_480:
	s_mov_b32 s29, 0
.LBB134_481:
	s_delay_alu instid0(SALU_CYCLE_1)
	s_and_b32 vcc_lo, exec_lo, s29
	s_cbranch_vccz .LBB134_517
; %bb.482:
	s_cmp_gt_i32 s27, 22
	s_cbranch_scc0 .LBB134_492
; %bb.483:
	s_cmp_lt_i32 s27, 24
	s_cbranch_scc1 .LBB134_495
; %bb.484:
	s_cmp_gt_i32 s27, 24
	s_cbranch_scc0 .LBB134_496
; %bb.485:
	global_load_u8 v2, v[4:5], off
	s_mov_b32 s28, 0
	s_mov_b32 s29, exec_lo
	s_wait_loadcnt 0x0
	v_cmpx_lt_i16_e32 0x7f, v2
	s_xor_b32 s29, exec_lo, s29
	s_cbranch_execz .LBB134_508
; %bb.486:
	s_mov_b32 s28, -1
	s_mov_b32 s31, exec_lo
	v_cmpx_eq_u16_e32 0x80, v2
; %bb.487:
	s_xor_b32 s28, exec_lo, -1
; %bb.488:
	s_or_b32 exec_lo, exec_lo, s31
	s_delay_alu instid0(SALU_CYCLE_1)
	s_and_b32 s28, s28, exec_lo
	s_or_saveexec_b32 s29, s29
	v_mov_b64_e32 v[0:1], 0x7ff8000020000000
	s_xor_b32 exec_lo, exec_lo, s29
	s_cbranch_execnz .LBB134_509
.LBB134_489:
	s_or_b32 exec_lo, exec_lo, s29
	s_and_saveexec_b32 s29, s28
	s_cbranch_execz .LBB134_491
.LBB134_490:
	v_and_b32_e32 v0, 0xffff, v2
	s_delay_alu instid0(VALU_DEP_1) | instskip(SKIP_1) | instid1(VALU_DEP_2)
	v_and_b32_e32 v1, 3, v0
	v_bfe_u32 v7, v0, 2, 5
	v_clz_i32_u32_e32 v3, v1
	s_delay_alu instid0(VALU_DEP_2) | instskip(NEXT) | instid1(VALU_DEP_2)
	v_cmp_eq_u32_e32 vcc_lo, 0, v7
	v_min_u32_e32 v3, 32, v3
	s_delay_alu instid0(VALU_DEP_1) | instskip(NEXT) | instid1(VALU_DEP_1)
	v_subrev_nc_u32_e32 v6, 29, v3
	v_dual_lshlrev_b32 v0, v6, v0 :: v_dual_sub_nc_u32 v3, 30, v3
	s_delay_alu instid0(VALU_DEP_1) | instskip(NEXT) | instid1(VALU_DEP_1)
	v_dual_lshlrev_b32 v2, 24, v2 :: v_dual_bitop2_b32 v0, 3, v0 bitop3:0x40
	v_dual_cndmask_b32 v3, v7, v3 :: v_dual_cndmask_b32 v0, v1, v0
	s_delay_alu instid0(VALU_DEP_2) | instskip(NEXT) | instid1(VALU_DEP_2)
	v_and_b32_e32 v1, 0x80000000, v2
	v_lshl_add_u32 v2, v3, 23, 0x37800000
	s_delay_alu instid0(VALU_DEP_3) | instskip(NEXT) | instid1(VALU_DEP_1)
	v_lshlrev_b32_e32 v0, 21, v0
	v_or3_b32 v0, v1, v2, v0
	s_delay_alu instid0(VALU_DEP_1)
	v_cvt_f64_f32_e32 v[0:1], v0
.LBB134_491:
	s_or_b32 exec_lo, exec_lo, s29
	s_mov_b32 s28, 0
	s_branch .LBB134_497
.LBB134_492:
	s_mov_b32 s29, -1
                                        ; implicit-def: $vgpr0_vgpr1
	s_branch .LBB134_503
.LBB134_493:
	s_or_saveexec_b32 s29, s29
	v_mov_b64_e32 v[0:1], 0x7ff8000020000000
	s_xor_b32 exec_lo, exec_lo, s29
	s_cbranch_execz .LBB134_476
.LBB134_494:
	v_cmp_ne_u16_e32 vcc_lo, 0, v2
	v_mov_b64_e32 v[0:1], 0
	s_and_not1_b32 s28, s28, exec_lo
	s_and_b32 s31, vcc_lo, exec_lo
	s_delay_alu instid0(SALU_CYCLE_1)
	s_or_b32 s28, s28, s31
	s_or_b32 exec_lo, exec_lo, s29
	s_and_saveexec_b32 s29, s28
	s_cbranch_execnz .LBB134_477
	s_branch .LBB134_478
.LBB134_495:
	s_mov_b32 s28, -1
                                        ; implicit-def: $vgpr0_vgpr1
	s_branch .LBB134_500
.LBB134_496:
	s_mov_b32 s28, -1
                                        ; implicit-def: $vgpr0_vgpr1
.LBB134_497:
	s_delay_alu instid0(SALU_CYCLE_1)
	s_and_b32 vcc_lo, exec_lo, s28
	s_cbranch_vccz .LBB134_499
; %bb.498:
	global_load_u8 v0, v[4:5], off
	s_wait_loadcnt 0x0
	v_lshlrev_b32_e32 v0, 24, v0
	s_delay_alu instid0(VALU_DEP_1) | instskip(NEXT) | instid1(VALU_DEP_1)
	v_and_b32_e32 v1, 0x7f000000, v0
	v_clz_i32_u32_e32 v2, v1
	v_cmp_ne_u32_e32 vcc_lo, 0, v1
	v_add_nc_u32_e32 v6, 0x1000000, v1
	s_delay_alu instid0(VALU_DEP_3) | instskip(NEXT) | instid1(VALU_DEP_1)
	v_min_u32_e32 v2, 32, v2
	v_sub_nc_u32_e64 v2, v2, 4 clamp
	s_delay_alu instid0(VALU_DEP_1) | instskip(NEXT) | instid1(VALU_DEP_1)
	v_dual_lshlrev_b32 v3, v2, v1 :: v_dual_lshlrev_b32 v2, 23, v2
	v_lshrrev_b32_e32 v3, 4, v3
	s_delay_alu instid0(VALU_DEP_1) | instskip(SKIP_1) | instid1(VALU_DEP_2)
	v_sub_nc_u32_e32 v2, v3, v2
	v_ashrrev_i32_e32 v3, 8, v6
	v_add_nc_u32_e32 v2, 0x3c000000, v2
	s_delay_alu instid0(VALU_DEP_1) | instskip(NEXT) | instid1(VALU_DEP_1)
	v_and_or_b32 v2, 0x7f800000, v3, v2
	v_cndmask_b32_e32 v1, 0, v2, vcc_lo
	s_delay_alu instid0(VALU_DEP_1) | instskip(NEXT) | instid1(VALU_DEP_1)
	v_and_or_b32 v0, 0x80000000, v0, v1
	v_cvt_f64_f32_e32 v[0:1], v0
.LBB134_499:
	s_mov_b32 s28, 0
.LBB134_500:
	s_delay_alu instid0(SALU_CYCLE_1)
	s_and_not1_b32 vcc_lo, exec_lo, s28
	s_cbranch_vccnz .LBB134_502
; %bb.501:
	global_load_u8 v0, v[4:5], off
	s_wait_loadcnt 0x0
	v_lshlrev_b32_e32 v1, 25, v0
	v_lshlrev_b16 v0, 8, v0
	s_delay_alu instid0(VALU_DEP_1) | instskip(SKIP_1) | instid1(VALU_DEP_2)
	v_and_or_b32 v3, 0x7f00, v0, 0.5
	v_bfe_i32 v0, v0, 0, 16
	v_dual_add_f32 v3, -0.5, v3 :: v_dual_lshrrev_b32 v2, 4, v1
	v_cmp_gt_u32_e32 vcc_lo, 0x8000000, v1
	s_delay_alu instid0(VALU_DEP_2) | instskip(NEXT) | instid1(VALU_DEP_1)
	v_or_b32_e32 v2, 0x70000000, v2
	v_mul_f32_e32 v2, 0x7800000, v2
	s_delay_alu instid0(VALU_DEP_1) | instskip(NEXT) | instid1(VALU_DEP_1)
	v_cndmask_b32_e32 v1, v2, v3, vcc_lo
	v_and_or_b32 v0, 0x80000000, v0, v1
	s_delay_alu instid0(VALU_DEP_1)
	v_cvt_f64_f32_e32 v[0:1], v0
.LBB134_502:
	s_mov_b32 s29, 0
	s_mov_b32 s28, -1
.LBB134_503:
	s_and_not1_b32 vcc_lo, exec_lo, s29
	s_cbranch_vccnz .LBB134_516
; %bb.504:
	s_cmp_gt_i32 s27, 14
	s_cbranch_scc0 .LBB134_507
; %bb.505:
	s_cmp_eq_u32 s27, 15
	s_cbranch_scc0 .LBB134_510
; %bb.506:
	global_load_u16 v0, v[4:5], off
	s_mov_b32 s28, -1
	s_mov_b32 s26, 0
	s_wait_loadcnt 0x0
	v_lshlrev_b32_e32 v0, 16, v0
	s_delay_alu instid0(VALU_DEP_1)
	v_cvt_f64_f32_e32 v[0:1], v0
	s_branch .LBB134_511
.LBB134_507:
	s_mov_b32 s29, -1
                                        ; implicit-def: $vgpr0_vgpr1
	s_branch .LBB134_512
.LBB134_508:
	s_or_saveexec_b32 s29, s29
	v_mov_b64_e32 v[0:1], 0x7ff8000020000000
	s_xor_b32 exec_lo, exec_lo, s29
	s_cbranch_execz .LBB134_489
.LBB134_509:
	v_cmp_ne_u16_e32 vcc_lo, 0, v2
	v_mov_b64_e32 v[0:1], 0
	s_and_not1_b32 s28, s28, exec_lo
	s_and_b32 s31, vcc_lo, exec_lo
	s_delay_alu instid0(SALU_CYCLE_1)
	s_or_b32 s28, s28, s31
	s_or_b32 exec_lo, exec_lo, s29
	s_and_saveexec_b32 s29, s28
	s_cbranch_execnz .LBB134_490
	s_branch .LBB134_491
.LBB134_510:
	s_mov_b32 s26, -1
                                        ; implicit-def: $vgpr0_vgpr1
.LBB134_511:
	s_mov_b32 s29, 0
.LBB134_512:
	s_delay_alu instid0(SALU_CYCLE_1)
	s_and_b32 vcc_lo, exec_lo, s29
	s_cbranch_vccz .LBB134_516
; %bb.513:
	s_cmp_eq_u32 s27, 11
	s_cbranch_scc0 .LBB134_515
; %bb.514:
	global_load_u8 v0, v[4:5], off
	s_mov_b32 s26, 0
	s_mov_b32 s28, -1
	v_mov_b64_e32 v[2:3], 0
	s_wait_loadcnt 0x0
	v_cmp_ne_u16_e32 vcc_lo, 0, v0
	v_mov_b32_e32 v0, 0
	v_cndmask_b32_e64 v1, 0, 0x3ff00000, vcc_lo
	s_branch .LBB134_517
.LBB134_515:
	s_mov_b32 s26, -1
                                        ; implicit-def: $vgpr0_vgpr1
.LBB134_516:
	v_mov_b64_e32 v[2:3], 0
.LBB134_517:
	s_mov_b32 s27, 0
.LBB134_518:
	s_delay_alu instid0(SALU_CYCLE_1)
	s_and_b32 vcc_lo, exec_lo, s27
	s_cbranch_vccz .LBB134_569
; %bb.519:
	s_and_b32 s0, 0xffff, s0
	s_delay_alu instid0(SALU_CYCLE_1)
	s_cmp_lt_i32 s0, 5
	s_cbranch_scc1 .LBB134_524
; %bb.520:
	s_cmp_lt_i32 s0, 8
	s_cbranch_scc1 .LBB134_525
; %bb.521:
	;; [unrolled: 3-line block ×3, first 2 shown]
	s_cmp_gt_i32 s0, 9
	s_cbranch_scc0 .LBB134_527
; %bb.523:
	global_load_b128 v[0:3], v[4:5], off
	s_mov_b32 s27, 0
	s_branch .LBB134_528
.LBB134_524:
	s_mov_b32 s27, -1
                                        ; implicit-def: $vgpr2_vgpr3
	s_branch .LBB134_547
.LBB134_525:
	s_mov_b32 s27, -1
                                        ; implicit-def: $vgpr2_vgpr3
	s_branch .LBB134_534
.LBB134_526:
	s_mov_b32 s27, -1
                                        ; implicit-def: $vgpr2_vgpr3
	s_branch .LBB134_531
.LBB134_527:
	s_mov_b32 s27, -1
                                        ; implicit-def: $vgpr2_vgpr3
.LBB134_528:
	s_delay_alu instid0(SALU_CYCLE_1)
	s_and_not1_b32 vcc_lo, exec_lo, s27
	s_cbranch_vccnz .LBB134_530
; %bb.529:
	s_wait_loadcnt 0x0
	global_load_b64 v[2:3], v[4:5], off
	s_wait_loadcnt 0x0
	v_cvt_f64_f32_e32 v[0:1], v2
	v_cvt_f64_f32_e32 v[2:3], v3
.LBB134_530:
	s_mov_b32 s27, 0
.LBB134_531:
	s_delay_alu instid0(SALU_CYCLE_1)
	s_and_not1_b32 vcc_lo, exec_lo, s27
	s_cbranch_vccnz .LBB134_533
; %bb.532:
	s_wait_loadcnt 0x0
	global_load_b32 v0, v[4:5], off
	s_wait_loadcnt 0x0
	v_lshrrev_b32_e32 v1, 16, v0
	v_cvt_f32_f16_e32 v0, v0
	s_delay_alu instid0(VALU_DEP_2) | instskip(NEXT) | instid1(VALU_DEP_2)
	v_cvt_f32_f16_e32 v2, v1
	v_cvt_f64_f32_e32 v[0:1], v0
	s_delay_alu instid0(VALU_DEP_2)
	v_cvt_f64_f32_e32 v[2:3], v2
.LBB134_533:
	s_mov_b32 s27, 0
.LBB134_534:
	s_delay_alu instid0(SALU_CYCLE_1)
	s_and_not1_b32 vcc_lo, exec_lo, s27
	s_cbranch_vccnz .LBB134_546
; %bb.535:
	s_cmp_lt_i32 s0, 6
	s_cbranch_scc1 .LBB134_538
; %bb.536:
	s_cmp_gt_i32 s0, 6
	s_cbranch_scc0 .LBB134_539
; %bb.537:
	s_wait_loadcnt 0x0
	global_load_b64 v[0:1], v[4:5], off
	s_mov_b32 s27, 0
	s_branch .LBB134_540
.LBB134_538:
	s_mov_b32 s27, -1
                                        ; implicit-def: $vgpr0_vgpr1
	s_branch .LBB134_543
.LBB134_539:
	s_mov_b32 s27, -1
                                        ; implicit-def: $vgpr0_vgpr1
.LBB134_540:
	s_delay_alu instid0(SALU_CYCLE_1)
	s_and_not1_b32 vcc_lo, exec_lo, s27
	s_cbranch_vccnz .LBB134_542
; %bb.541:
	s_wait_loadcnt 0x0
	global_load_b32 v0, v[4:5], off
	s_wait_loadcnt 0x0
	v_cvt_f64_f32_e32 v[0:1], v0
.LBB134_542:
	s_mov_b32 s27, 0
.LBB134_543:
	s_delay_alu instid0(SALU_CYCLE_1)
	s_and_not1_b32 vcc_lo, exec_lo, s27
	s_cbranch_vccnz .LBB134_545
; %bb.544:
	s_wait_loadcnt 0x0
	global_load_u16 v0, v[4:5], off
	s_wait_loadcnt 0x0
	v_cvt_f32_f16_e32 v0, v0
	s_delay_alu instid0(VALU_DEP_1)
	v_cvt_f64_f32_e32 v[0:1], v0
.LBB134_545:
	s_wait_loadcnt 0x0
	v_mov_b64_e32 v[2:3], 0
.LBB134_546:
	s_mov_b32 s27, 0
.LBB134_547:
	s_delay_alu instid0(SALU_CYCLE_1)
	s_and_not1_b32 vcc_lo, exec_lo, s27
	s_cbranch_vccnz .LBB134_568
; %bb.548:
	s_cmp_lt_i32 s0, 2
	s_cbranch_scc1 .LBB134_552
; %bb.549:
	s_cmp_lt_i32 s0, 3
	s_cbranch_scc1 .LBB134_553
; %bb.550:
	s_cmp_gt_i32 s0, 3
	s_cbranch_scc0 .LBB134_554
; %bb.551:
	s_wait_loadcnt 0x0
	global_load_b64 v[0:1], v[4:5], off
	s_mov_b32 s27, 0
	s_wait_loadcnt 0x0
	v_cvt_f64_i32_e32 v[2:3], v1
	v_cvt_f64_u32_e32 v[0:1], v0
	s_delay_alu instid0(VALU_DEP_2) | instskip(NEXT) | instid1(VALU_DEP_1)
	v_ldexp_f64 v[2:3], v[2:3], 32
	v_add_f64_e32 v[0:1], v[2:3], v[0:1]
	s_branch .LBB134_555
.LBB134_552:
	s_mov_b32 s27, -1
                                        ; implicit-def: $vgpr0_vgpr1
	s_branch .LBB134_561
.LBB134_553:
	s_mov_b32 s27, -1
                                        ; implicit-def: $vgpr0_vgpr1
	s_branch .LBB134_558
.LBB134_554:
	s_mov_b32 s27, -1
                                        ; implicit-def: $vgpr0_vgpr1
.LBB134_555:
	s_delay_alu instid0(SALU_CYCLE_1)
	s_and_not1_b32 vcc_lo, exec_lo, s27
	s_cbranch_vccnz .LBB134_557
; %bb.556:
	s_wait_loadcnt 0x0
	global_load_b32 v0, v[4:5], off
	s_wait_loadcnt 0x0
	v_cvt_f64_i32_e32 v[0:1], v0
.LBB134_557:
	s_mov_b32 s27, 0
.LBB134_558:
	s_delay_alu instid0(SALU_CYCLE_1)
	s_and_not1_b32 vcc_lo, exec_lo, s27
	s_cbranch_vccnz .LBB134_560
; %bb.559:
	s_wait_loadcnt 0x0
	global_load_i16 v0, v[4:5], off
	s_wait_loadcnt 0x0
	v_cvt_f64_i32_e32 v[0:1], v0
.LBB134_560:
	s_mov_b32 s27, 0
.LBB134_561:
	s_delay_alu instid0(SALU_CYCLE_1)
	s_and_not1_b32 vcc_lo, exec_lo, s27
	s_cbranch_vccnz .LBB134_567
; %bb.562:
	s_cmp_gt_i32 s0, 0
	s_mov_b32 s0, 0
	s_cbranch_scc0 .LBB134_564
; %bb.563:
	s_wait_loadcnt 0x0
	global_load_i8 v0, v[4:5], off
	s_wait_loadcnt 0x0
	v_cvt_f64_i32_e32 v[0:1], v0
	s_branch .LBB134_565
.LBB134_564:
	s_mov_b32 s0, -1
                                        ; implicit-def: $vgpr0_vgpr1
.LBB134_565:
	s_delay_alu instid0(SALU_CYCLE_1)
	s_and_not1_b32 vcc_lo, exec_lo, s0
	s_cbranch_vccnz .LBB134_567
; %bb.566:
	s_wait_loadcnt 0x0
	global_load_u8 v0, v[4:5], off
	s_wait_loadcnt 0x0
	v_cvt_f64_u32_e32 v[0:1], v0
.LBB134_567:
	s_wait_loadcnt 0x0
	v_mov_b64_e32 v[2:3], 0
.LBB134_568:
	s_mov_b32 s28, -1
.LBB134_569:
	s_mov_b32 s29, 0
	s_mov_b32 s0, s20
	s_and_not1_b32 vcc_lo, exec_lo, s28
	s_mov_b32 s27, s22
	s_mov_b32 s31, 0
	s_cbranch_vccnz .LBB134_829
; %bb.570:
	s_wait_xcnt 0x0
	v_mul_lo_u32 v4, v34, s13
	s_and_b32 s0, 0xffff, s1
	s_delay_alu instid0(SALU_CYCLE_1) | instskip(NEXT) | instid1(VALU_DEP_1)
	s_cmp_lt_i32 s0, 11
	v_ashrrev_i32_e32 v5, 31, v4
	s_delay_alu instid0(VALU_DEP_1)
	v_add_nc_u64_e32 v[8:9], s[10:11], v[4:5]
	s_cbranch_scc1 .LBB134_577
; %bb.571:
	s_cmp_gt_i32 s0, 25
	s_cbranch_scc0 .LBB134_578
; %bb.572:
	s_cmp_gt_i32 s0, 28
	s_cbranch_scc0 .LBB134_579
	;; [unrolled: 3-line block ×4, first 2 shown]
; %bb.575:
	s_cmp_eq_u32 s0, 46
	s_cbranch_scc0 .LBB134_584
; %bb.576:
	global_load_b32 v4, v[8:9], off
	s_mov_b32 s28, -1
	s_mov_b32 s27, 0
	s_wait_loadcnt 0x0
	v_lshlrev_b32_e32 v5, 16, v4
	v_and_b32_e32 v6, 0xffff0000, v4
	s_delay_alu instid0(VALU_DEP_2) | instskip(NEXT) | instid1(VALU_DEP_2)
	v_cvt_f64_f32_e32 v[4:5], v5
	v_cvt_f64_f32_e32 v[6:7], v6
	s_branch .LBB134_586
.LBB134_577:
	s_mov_b32 s31, -1
	s_mov_b32 s28, 0
	s_mov_b32 s27, s22
                                        ; implicit-def: $vgpr6_vgpr7
	s_branch .LBB134_654
.LBB134_578:
	s_mov_b32 s31, -1
	s_mov_b32 s28, 0
	s_mov_b32 s27, s22
                                        ; implicit-def: $vgpr6_vgpr7
	s_branch .LBB134_617
.LBB134_579:
	s_mov_b32 s31, -1
	s_mov_b32 s28, 0
	s_mov_b32 s27, s22
                                        ; implicit-def: $vgpr6_vgpr7
	s_branch .LBB134_598
.LBB134_580:
	s_mov_b32 s31, -1
	s_mov_b32 s28, 0
	s_mov_b32 s27, s22
                                        ; implicit-def: $vgpr6_vgpr7
	s_branch .LBB134_592
.LBB134_581:
	s_mov_b32 s31, -1
	s_mov_b32 s28, 0
	s_mov_b32 s27, s22
	s_branch .LBB134_585
.LBB134_582:
	s_and_not1_saveexec_b32 s30, s30
	s_cbranch_execz .LBB134_335
.LBB134_583:
	v_add_f32_e64 v7, 0x42800000, |v6|
	s_and_not1_b32 s29, s29, exec_lo
	s_delay_alu instid0(VALU_DEP_1) | instskip(NEXT) | instid1(VALU_DEP_1)
	v_and_b32_e32 v7, 0xff, v7
	v_cmp_ne_u32_e32 vcc_lo, 0, v7
	s_and_b32 s31, vcc_lo, exec_lo
	s_delay_alu instid0(SALU_CYCLE_1)
	s_or_b32 s29, s29, s31
	s_or_b32 exec_lo, exec_lo, s30
	v_mov_b32_e32 v8, 0
	s_and_saveexec_b32 s30, s29
	s_cbranch_execnz .LBB134_336
	s_branch .LBB134_337
.LBB134_584:
	s_mov_b32 s27, -1
	s_mov_b32 s28, 0
.LBB134_585:
                                        ; implicit-def: $vgpr6_vgpr7
.LBB134_586:
	s_and_b32 vcc_lo, exec_lo, s31
	s_cbranch_vccz .LBB134_591
; %bb.587:
	s_cmp_eq_u32 s0, 44
	s_cbranch_scc0 .LBB134_589
; %bb.588:
	global_load_u8 v6, v[8:9], off
	s_mov_b32 s27, 0
	s_mov_b32 s28, -1
	s_wait_loadcnt 0x0
	v_cmp_ne_u32_e32 vcc_lo, 0xff, v6
	v_lshlrev_b32_e32 v4, 23, v6
	s_delay_alu instid0(VALU_DEP_1) | instskip(NEXT) | instid1(VALU_DEP_1)
	v_cvt_f64_f32_e32 v[4:5], v4
	v_cndmask_b32_e32 v4, 0x20000000, v4, vcc_lo
	s_delay_alu instid0(VALU_DEP_2) | instskip(SKIP_1) | instid1(VALU_DEP_2)
	v_cndmask_b32_e32 v5, 0x7ff80000, v5, vcc_lo
	v_cmp_ne_u32_e32 vcc_lo, 0, v6
	v_cndmask_b32_e32 v5, 0x38000000, v5, vcc_lo
	s_delay_alu instid0(VALU_DEP_4)
	v_cndmask_b32_e32 v4, 0, v4, vcc_lo
	s_branch .LBB134_590
.LBB134_589:
	s_mov_b32 s27, -1
                                        ; implicit-def: $vgpr4_vgpr5
.LBB134_590:
	v_mov_b64_e32 v[6:7], 0
.LBB134_591:
	s_mov_b32 s31, 0
.LBB134_592:
	s_delay_alu instid0(SALU_CYCLE_1)
	s_and_b32 vcc_lo, exec_lo, s31
	s_cbranch_vccz .LBB134_597
; %bb.593:
	s_cmp_eq_u32 s0, 29
	s_cbranch_scc0 .LBB134_595
; %bb.594:
	global_load_b64 v[4:5], v[8:9], off
	s_mov_b32 s28, -1
	s_mov_b32 s27, 0
	s_wait_loadcnt 0x0
	v_cvt_f64_u32_e32 v[6:7], v5
	v_cvt_f64_u32_e32 v[4:5], v4
	s_delay_alu instid0(VALU_DEP_2) | instskip(NEXT) | instid1(VALU_DEP_1)
	v_ldexp_f64 v[6:7], v[6:7], 32
	v_add_f64_e32 v[4:5], v[6:7], v[4:5]
	s_branch .LBB134_596
.LBB134_595:
	s_mov_b32 s27, -1
                                        ; implicit-def: $vgpr4_vgpr5
.LBB134_596:
	v_mov_b64_e32 v[6:7], 0
.LBB134_597:
	s_mov_b32 s31, 0
.LBB134_598:
	s_delay_alu instid0(SALU_CYCLE_1)
	s_and_b32 vcc_lo, exec_lo, s31
	s_cbranch_vccz .LBB134_616
; %bb.599:
	s_cmp_lt_i32 s0, 27
	s_cbranch_scc1 .LBB134_602
; %bb.600:
	s_cmp_gt_i32 s0, 27
	s_cbranch_scc0 .LBB134_603
; %bb.601:
	global_load_b32 v4, v[8:9], off
	s_mov_b32 s28, 0
	s_wait_loadcnt 0x0
	v_cvt_f64_u32_e32 v[4:5], v4
	s_branch .LBB134_604
.LBB134_602:
	s_mov_b32 s28, -1
                                        ; implicit-def: $vgpr4_vgpr5
	s_branch .LBB134_607
.LBB134_603:
	s_mov_b32 s28, -1
                                        ; implicit-def: $vgpr4_vgpr5
.LBB134_604:
	s_delay_alu instid0(SALU_CYCLE_1)
	s_and_not1_b32 vcc_lo, exec_lo, s28
	s_cbranch_vccnz .LBB134_606
; %bb.605:
	global_load_u16 v4, v[8:9], off
	s_wait_loadcnt 0x0
	v_cvt_f64_u32_e32 v[4:5], v4
.LBB134_606:
	s_mov_b32 s28, 0
.LBB134_607:
	s_delay_alu instid0(SALU_CYCLE_1)
	s_and_not1_b32 vcc_lo, exec_lo, s28
	s_cbranch_vccnz .LBB134_615
; %bb.608:
	global_load_u8 v6, v[8:9], off
	s_mov_b32 s28, 0
	s_mov_b32 s31, exec_lo
	s_wait_loadcnt 0x0
	v_cmpx_lt_i16_e32 0x7f, v6
	s_xor_b32 s31, exec_lo, s31
	s_cbranch_execz .LBB134_629
; %bb.609:
	s_mov_b32 s28, -1
	s_mov_b32 s33, exec_lo
	v_cmpx_eq_u16_e32 0x80, v6
; %bb.610:
	s_xor_b32 s28, exec_lo, -1
; %bb.611:
	s_or_b32 exec_lo, exec_lo, s33
	s_delay_alu instid0(SALU_CYCLE_1)
	s_and_b32 s28, s28, exec_lo
	s_or_saveexec_b32 s31, s31
	v_mov_b64_e32 v[4:5], 0x7ff8000020000000
	s_xor_b32 exec_lo, exec_lo, s31
	s_cbranch_execnz .LBB134_630
.LBB134_612:
	s_or_b32 exec_lo, exec_lo, s31
	s_and_saveexec_b32 s31, s28
	s_cbranch_execz .LBB134_614
.LBB134_613:
	v_and_b32_e32 v4, 0xffff, v6
	s_delay_alu instid0(VALU_DEP_1) | instskip(SKIP_1) | instid1(VALU_DEP_2)
	v_and_b32_e32 v5, 7, v4
	v_bfe_u32 v11, v4, 3, 4
	v_clz_i32_u32_e32 v7, v5
	s_delay_alu instid0(VALU_DEP_2) | instskip(NEXT) | instid1(VALU_DEP_2)
	v_cmp_eq_u32_e32 vcc_lo, 0, v11
	v_min_u32_e32 v7, 32, v7
	s_delay_alu instid0(VALU_DEP_1) | instskip(NEXT) | instid1(VALU_DEP_1)
	v_subrev_nc_u32_e32 v10, 28, v7
	v_dual_lshlrev_b32 v4, v10, v4 :: v_dual_sub_nc_u32 v7, 29, v7
	s_delay_alu instid0(VALU_DEP_1) | instskip(NEXT) | instid1(VALU_DEP_1)
	v_dual_lshlrev_b32 v6, 24, v6 :: v_dual_bitop2_b32 v4, 7, v4 bitop3:0x40
	v_dual_cndmask_b32 v7, v11, v7 :: v_dual_cndmask_b32 v4, v5, v4
	s_delay_alu instid0(VALU_DEP_2) | instskip(NEXT) | instid1(VALU_DEP_2)
	v_and_b32_e32 v5, 0x80000000, v6
	v_lshl_add_u32 v6, v7, 23, 0x3b800000
	s_delay_alu instid0(VALU_DEP_3) | instskip(NEXT) | instid1(VALU_DEP_1)
	v_lshlrev_b32_e32 v4, 20, v4
	v_or3_b32 v4, v5, v6, v4
	s_delay_alu instid0(VALU_DEP_1)
	v_cvt_f64_f32_e32 v[4:5], v4
.LBB134_614:
	s_or_b32 exec_lo, exec_lo, s31
.LBB134_615:
	v_mov_b64_e32 v[6:7], 0
	s_mov_b32 s28, -1
.LBB134_616:
	s_mov_b32 s31, 0
.LBB134_617:
	s_delay_alu instid0(SALU_CYCLE_1)
	s_and_b32 vcc_lo, exec_lo, s31
	s_cbranch_vccz .LBB134_653
; %bb.618:
	s_cmp_gt_i32 s0, 22
	s_cbranch_scc0 .LBB134_628
; %bb.619:
	s_cmp_lt_i32 s0, 24
	s_cbranch_scc1 .LBB134_631
; %bb.620:
	s_cmp_gt_i32 s0, 24
	s_cbranch_scc0 .LBB134_632
; %bb.621:
	global_load_u8 v6, v[8:9], off
	s_mov_b32 s28, 0
	s_mov_b32 s31, exec_lo
	s_wait_loadcnt 0x0
	v_cmpx_lt_i16_e32 0x7f, v6
	s_xor_b32 s31, exec_lo, s31
	s_cbranch_execz .LBB134_644
; %bb.622:
	s_mov_b32 s28, -1
	s_mov_b32 s33, exec_lo
	v_cmpx_eq_u16_e32 0x80, v6
; %bb.623:
	s_xor_b32 s28, exec_lo, -1
; %bb.624:
	s_or_b32 exec_lo, exec_lo, s33
	s_delay_alu instid0(SALU_CYCLE_1)
	s_and_b32 s28, s28, exec_lo
	s_or_saveexec_b32 s31, s31
	v_mov_b64_e32 v[4:5], 0x7ff8000020000000
	s_xor_b32 exec_lo, exec_lo, s31
	s_cbranch_execnz .LBB134_645
.LBB134_625:
	s_or_b32 exec_lo, exec_lo, s31
	s_and_saveexec_b32 s31, s28
	s_cbranch_execz .LBB134_627
.LBB134_626:
	v_and_b32_e32 v4, 0xffff, v6
	s_delay_alu instid0(VALU_DEP_1) | instskip(SKIP_1) | instid1(VALU_DEP_2)
	v_and_b32_e32 v5, 3, v4
	v_bfe_u32 v11, v4, 2, 5
	v_clz_i32_u32_e32 v7, v5
	s_delay_alu instid0(VALU_DEP_2) | instskip(NEXT) | instid1(VALU_DEP_2)
	v_cmp_eq_u32_e32 vcc_lo, 0, v11
	v_min_u32_e32 v7, 32, v7
	s_delay_alu instid0(VALU_DEP_1) | instskip(NEXT) | instid1(VALU_DEP_1)
	v_subrev_nc_u32_e32 v10, 29, v7
	v_dual_lshlrev_b32 v4, v10, v4 :: v_dual_sub_nc_u32 v7, 30, v7
	s_delay_alu instid0(VALU_DEP_1) | instskip(NEXT) | instid1(VALU_DEP_1)
	v_dual_lshlrev_b32 v6, 24, v6 :: v_dual_bitop2_b32 v4, 3, v4 bitop3:0x40
	v_dual_cndmask_b32 v7, v11, v7 :: v_dual_cndmask_b32 v4, v5, v4
	s_delay_alu instid0(VALU_DEP_2) | instskip(NEXT) | instid1(VALU_DEP_2)
	v_and_b32_e32 v5, 0x80000000, v6
	v_lshl_add_u32 v6, v7, 23, 0x37800000
	s_delay_alu instid0(VALU_DEP_3) | instskip(NEXT) | instid1(VALU_DEP_1)
	v_lshlrev_b32_e32 v4, 21, v4
	v_or3_b32 v4, v5, v6, v4
	s_delay_alu instid0(VALU_DEP_1)
	v_cvt_f64_f32_e32 v[4:5], v4
.LBB134_627:
	s_or_b32 exec_lo, exec_lo, s31
	s_mov_b32 s28, 0
	s_branch .LBB134_633
.LBB134_628:
	s_mov_b32 s31, -1
                                        ; implicit-def: $vgpr4_vgpr5
	s_branch .LBB134_639
.LBB134_629:
	s_or_saveexec_b32 s31, s31
	v_mov_b64_e32 v[4:5], 0x7ff8000020000000
	s_xor_b32 exec_lo, exec_lo, s31
	s_cbranch_execz .LBB134_612
.LBB134_630:
	v_cmp_ne_u16_e32 vcc_lo, 0, v6
	v_mov_b64_e32 v[4:5], 0
	s_and_not1_b32 s28, s28, exec_lo
	s_and_b32 s33, vcc_lo, exec_lo
	s_delay_alu instid0(SALU_CYCLE_1)
	s_or_b32 s28, s28, s33
	s_or_b32 exec_lo, exec_lo, s31
	s_and_saveexec_b32 s31, s28
	s_cbranch_execnz .LBB134_613
	s_branch .LBB134_614
.LBB134_631:
	s_mov_b32 s28, -1
                                        ; implicit-def: $vgpr4_vgpr5
	s_branch .LBB134_636
.LBB134_632:
	s_mov_b32 s28, -1
                                        ; implicit-def: $vgpr4_vgpr5
.LBB134_633:
	s_delay_alu instid0(SALU_CYCLE_1)
	s_and_b32 vcc_lo, exec_lo, s28
	s_cbranch_vccz .LBB134_635
; %bb.634:
	global_load_u8 v4, v[8:9], off
	s_wait_loadcnt 0x0
	v_lshlrev_b32_e32 v4, 24, v4
	s_delay_alu instid0(VALU_DEP_1) | instskip(NEXT) | instid1(VALU_DEP_1)
	v_and_b32_e32 v5, 0x7f000000, v4
	v_clz_i32_u32_e32 v6, v5
	v_cmp_ne_u32_e32 vcc_lo, 0, v5
	v_add_nc_u32_e32 v10, 0x1000000, v5
	s_delay_alu instid0(VALU_DEP_3) | instskip(NEXT) | instid1(VALU_DEP_1)
	v_min_u32_e32 v6, 32, v6
	v_sub_nc_u32_e64 v6, v6, 4 clamp
	s_delay_alu instid0(VALU_DEP_1) | instskip(NEXT) | instid1(VALU_DEP_1)
	v_dual_lshlrev_b32 v7, v6, v5 :: v_dual_lshlrev_b32 v6, 23, v6
	v_lshrrev_b32_e32 v7, 4, v7
	s_delay_alu instid0(VALU_DEP_1) | instskip(SKIP_1) | instid1(VALU_DEP_2)
	v_sub_nc_u32_e32 v6, v7, v6
	v_ashrrev_i32_e32 v7, 8, v10
	v_add_nc_u32_e32 v6, 0x3c000000, v6
	s_delay_alu instid0(VALU_DEP_1) | instskip(NEXT) | instid1(VALU_DEP_1)
	v_and_or_b32 v6, 0x7f800000, v7, v6
	v_cndmask_b32_e32 v5, 0, v6, vcc_lo
	s_delay_alu instid0(VALU_DEP_1) | instskip(NEXT) | instid1(VALU_DEP_1)
	v_and_or_b32 v4, 0x80000000, v4, v5
	v_cvt_f64_f32_e32 v[4:5], v4
.LBB134_635:
	s_mov_b32 s28, 0
.LBB134_636:
	s_delay_alu instid0(SALU_CYCLE_1)
	s_and_not1_b32 vcc_lo, exec_lo, s28
	s_cbranch_vccnz .LBB134_638
; %bb.637:
	global_load_u8 v4, v[8:9], off
	s_wait_loadcnt 0x0
	v_lshlrev_b32_e32 v5, 25, v4
	v_lshlrev_b16 v4, 8, v4
	s_delay_alu instid0(VALU_DEP_1) | instskip(SKIP_1) | instid1(VALU_DEP_2)
	v_and_or_b32 v7, 0x7f00, v4, 0.5
	v_bfe_i32 v4, v4, 0, 16
	v_dual_add_f32 v7, -0.5, v7 :: v_dual_lshrrev_b32 v6, 4, v5
	v_cmp_gt_u32_e32 vcc_lo, 0x8000000, v5
	s_delay_alu instid0(VALU_DEP_2) | instskip(NEXT) | instid1(VALU_DEP_1)
	v_or_b32_e32 v6, 0x70000000, v6
	v_mul_f32_e32 v6, 0x7800000, v6
	s_delay_alu instid0(VALU_DEP_1) | instskip(NEXT) | instid1(VALU_DEP_1)
	v_cndmask_b32_e32 v5, v6, v7, vcc_lo
	v_and_or_b32 v4, 0x80000000, v4, v5
	s_delay_alu instid0(VALU_DEP_1)
	v_cvt_f64_f32_e32 v[4:5], v4
.LBB134_638:
	s_mov_b32 s31, 0
	s_mov_b32 s28, -1
.LBB134_639:
	s_and_not1_b32 vcc_lo, exec_lo, s31
	s_cbranch_vccnz .LBB134_652
; %bb.640:
	s_cmp_gt_i32 s0, 14
	s_cbranch_scc0 .LBB134_643
; %bb.641:
	s_cmp_eq_u32 s0, 15
	s_cbranch_scc0 .LBB134_646
; %bb.642:
	global_load_u16 v4, v[8:9], off
	s_mov_b32 s28, -1
	s_mov_b32 s27, 0
	s_wait_loadcnt 0x0
	v_lshlrev_b32_e32 v4, 16, v4
	s_delay_alu instid0(VALU_DEP_1)
	v_cvt_f64_f32_e32 v[4:5], v4
	s_branch .LBB134_647
.LBB134_643:
	s_mov_b32 s31, -1
                                        ; implicit-def: $vgpr4_vgpr5
	s_branch .LBB134_648
.LBB134_644:
	s_or_saveexec_b32 s31, s31
	v_mov_b64_e32 v[4:5], 0x7ff8000020000000
	s_xor_b32 exec_lo, exec_lo, s31
	s_cbranch_execz .LBB134_625
.LBB134_645:
	v_cmp_ne_u16_e32 vcc_lo, 0, v6
	v_mov_b64_e32 v[4:5], 0
	s_and_not1_b32 s28, s28, exec_lo
	s_and_b32 s33, vcc_lo, exec_lo
	s_delay_alu instid0(SALU_CYCLE_1)
	s_or_b32 s28, s28, s33
	s_or_b32 exec_lo, exec_lo, s31
	s_and_saveexec_b32 s31, s28
	s_cbranch_execnz .LBB134_626
	s_branch .LBB134_627
.LBB134_646:
	s_mov_b32 s27, -1
                                        ; implicit-def: $vgpr4_vgpr5
.LBB134_647:
	s_mov_b32 s31, 0
.LBB134_648:
	s_delay_alu instid0(SALU_CYCLE_1)
	s_and_b32 vcc_lo, exec_lo, s31
	s_cbranch_vccz .LBB134_652
; %bb.649:
	s_cmp_eq_u32 s0, 11
	s_cbranch_scc0 .LBB134_651
; %bb.650:
	global_load_u8 v4, v[8:9], off
	s_mov_b32 s27, 0
	s_mov_b32 s28, -1
	v_mov_b64_e32 v[6:7], 0
	s_wait_loadcnt 0x0
	v_cmp_ne_u16_e32 vcc_lo, 0, v4
	v_mov_b32_e32 v4, 0
	v_cndmask_b32_e64 v5, 0, 0x3ff00000, vcc_lo
	s_branch .LBB134_653
.LBB134_651:
	s_mov_b32 s27, -1
                                        ; implicit-def: $vgpr4_vgpr5
.LBB134_652:
	v_mov_b64_e32 v[6:7], 0
.LBB134_653:
	s_mov_b32 s31, 0
.LBB134_654:
	s_delay_alu instid0(SALU_CYCLE_1)
	s_and_b32 vcc_lo, exec_lo, s31
	s_cbranch_vccz .LBB134_705
; %bb.655:
	s_cmp_lt_i32 s0, 5
	s_cbranch_scc1 .LBB134_660
; %bb.656:
	s_cmp_lt_i32 s0, 8
	s_cbranch_scc1 .LBB134_661
	;; [unrolled: 3-line block ×3, first 2 shown]
; %bb.658:
	s_cmp_gt_i32 s0, 9
	s_cbranch_scc0 .LBB134_663
; %bb.659:
	global_load_b128 v[4:7], v[8:9], off
	s_mov_b32 s28, 0
	s_branch .LBB134_664
.LBB134_660:
	s_mov_b32 s28, -1
                                        ; implicit-def: $vgpr6_vgpr7
	s_branch .LBB134_683
.LBB134_661:
	s_mov_b32 s28, -1
                                        ; implicit-def: $vgpr6_vgpr7
	s_branch .LBB134_670
.LBB134_662:
	s_mov_b32 s28, -1
                                        ; implicit-def: $vgpr6_vgpr7
	s_branch .LBB134_667
.LBB134_663:
	s_mov_b32 s28, -1
                                        ; implicit-def: $vgpr6_vgpr7
.LBB134_664:
	s_delay_alu instid0(SALU_CYCLE_1)
	s_and_not1_b32 vcc_lo, exec_lo, s28
	s_cbranch_vccnz .LBB134_666
; %bb.665:
	s_wait_loadcnt 0x0
	global_load_b64 v[6:7], v[8:9], off
	s_wait_loadcnt 0x0
	v_cvt_f64_f32_e32 v[4:5], v6
	v_cvt_f64_f32_e32 v[6:7], v7
.LBB134_666:
	s_mov_b32 s28, 0
.LBB134_667:
	s_delay_alu instid0(SALU_CYCLE_1)
	s_and_not1_b32 vcc_lo, exec_lo, s28
	s_cbranch_vccnz .LBB134_669
; %bb.668:
	s_wait_loadcnt 0x0
	global_load_b32 v4, v[8:9], off
	s_wait_loadcnt 0x0
	v_lshrrev_b32_e32 v5, 16, v4
	v_cvt_f32_f16_e32 v4, v4
	s_delay_alu instid0(VALU_DEP_2) | instskip(NEXT) | instid1(VALU_DEP_2)
	v_cvt_f32_f16_e32 v6, v5
	v_cvt_f64_f32_e32 v[4:5], v4
	s_delay_alu instid0(VALU_DEP_2)
	v_cvt_f64_f32_e32 v[6:7], v6
.LBB134_669:
	s_mov_b32 s28, 0
.LBB134_670:
	s_delay_alu instid0(SALU_CYCLE_1)
	s_and_not1_b32 vcc_lo, exec_lo, s28
	s_cbranch_vccnz .LBB134_682
; %bb.671:
	s_cmp_lt_i32 s0, 6
	s_cbranch_scc1 .LBB134_674
; %bb.672:
	s_cmp_gt_i32 s0, 6
	s_cbranch_scc0 .LBB134_675
; %bb.673:
	s_wait_loadcnt 0x0
	global_load_b64 v[4:5], v[8:9], off
	s_mov_b32 s28, 0
	s_branch .LBB134_676
.LBB134_674:
	s_mov_b32 s28, -1
                                        ; implicit-def: $vgpr4_vgpr5
	s_branch .LBB134_679
.LBB134_675:
	s_mov_b32 s28, -1
                                        ; implicit-def: $vgpr4_vgpr5
.LBB134_676:
	s_delay_alu instid0(SALU_CYCLE_1)
	s_and_not1_b32 vcc_lo, exec_lo, s28
	s_cbranch_vccnz .LBB134_678
; %bb.677:
	s_wait_loadcnt 0x0
	global_load_b32 v4, v[8:9], off
	s_wait_loadcnt 0x0
	v_cvt_f64_f32_e32 v[4:5], v4
.LBB134_678:
	s_mov_b32 s28, 0
.LBB134_679:
	s_delay_alu instid0(SALU_CYCLE_1)
	s_and_not1_b32 vcc_lo, exec_lo, s28
	s_cbranch_vccnz .LBB134_681
; %bb.680:
	s_wait_loadcnt 0x0
	global_load_u16 v4, v[8:9], off
	s_wait_loadcnt 0x0
	v_cvt_f32_f16_e32 v4, v4
	s_delay_alu instid0(VALU_DEP_1)
	v_cvt_f64_f32_e32 v[4:5], v4
.LBB134_681:
	s_wait_loadcnt 0x0
	v_mov_b64_e32 v[6:7], 0
.LBB134_682:
	s_mov_b32 s28, 0
.LBB134_683:
	s_delay_alu instid0(SALU_CYCLE_1)
	s_and_not1_b32 vcc_lo, exec_lo, s28
	s_cbranch_vccnz .LBB134_704
; %bb.684:
	s_cmp_lt_i32 s0, 2
	s_cbranch_scc1 .LBB134_688
; %bb.685:
	s_cmp_lt_i32 s0, 3
	s_cbranch_scc1 .LBB134_689
; %bb.686:
	s_cmp_gt_i32 s0, 3
	s_cbranch_scc0 .LBB134_690
; %bb.687:
	s_wait_loadcnt 0x0
	global_load_b64 v[4:5], v[8:9], off
	s_mov_b32 s28, 0
	s_wait_loadcnt 0x0
	v_cvt_f64_i32_e32 v[6:7], v5
	v_cvt_f64_u32_e32 v[4:5], v4
	s_delay_alu instid0(VALU_DEP_2) | instskip(NEXT) | instid1(VALU_DEP_1)
	v_ldexp_f64 v[6:7], v[6:7], 32
	v_add_f64_e32 v[4:5], v[6:7], v[4:5]
	s_branch .LBB134_691
.LBB134_688:
	s_mov_b32 s28, -1
                                        ; implicit-def: $vgpr4_vgpr5
	s_branch .LBB134_697
.LBB134_689:
	s_mov_b32 s28, -1
                                        ; implicit-def: $vgpr4_vgpr5
	s_branch .LBB134_694
.LBB134_690:
	s_mov_b32 s28, -1
                                        ; implicit-def: $vgpr4_vgpr5
.LBB134_691:
	s_delay_alu instid0(SALU_CYCLE_1)
	s_and_not1_b32 vcc_lo, exec_lo, s28
	s_cbranch_vccnz .LBB134_693
; %bb.692:
	s_wait_loadcnt 0x0
	global_load_b32 v4, v[8:9], off
	s_wait_loadcnt 0x0
	v_cvt_f64_i32_e32 v[4:5], v4
.LBB134_693:
	s_mov_b32 s28, 0
.LBB134_694:
	s_delay_alu instid0(SALU_CYCLE_1)
	s_and_not1_b32 vcc_lo, exec_lo, s28
	s_cbranch_vccnz .LBB134_696
; %bb.695:
	s_wait_loadcnt 0x0
	global_load_i16 v4, v[8:9], off
	s_wait_loadcnt 0x0
	v_cvt_f64_i32_e32 v[4:5], v4
.LBB134_696:
	s_mov_b32 s28, 0
.LBB134_697:
	s_delay_alu instid0(SALU_CYCLE_1)
	s_and_not1_b32 vcc_lo, exec_lo, s28
	s_cbranch_vccnz .LBB134_703
; %bb.698:
	s_cmp_gt_i32 s0, 0
	s_mov_b32 s0, 0
	s_cbranch_scc0 .LBB134_700
; %bb.699:
	s_wait_loadcnt 0x0
	global_load_i8 v4, v[8:9], off
	s_wait_loadcnt 0x0
	v_cvt_f64_i32_e32 v[4:5], v4
	s_branch .LBB134_701
.LBB134_700:
	s_mov_b32 s0, -1
                                        ; implicit-def: $vgpr4_vgpr5
.LBB134_701:
	s_delay_alu instid0(SALU_CYCLE_1)
	s_and_not1_b32 vcc_lo, exec_lo, s0
	s_cbranch_vccnz .LBB134_703
; %bb.702:
	s_wait_loadcnt 0x0
	global_load_u8 v4, v[8:9], off
	s_wait_loadcnt 0x0
	v_cvt_f64_u32_e32 v[4:5], v4
.LBB134_703:
	s_wait_loadcnt 0x0
	v_mov_b64_e32 v[6:7], 0
.LBB134_704:
	s_mov_b32 s28, -1
.LBB134_705:
	s_delay_alu instid0(SALU_CYCLE_1)
	s_and_not1_b32 vcc_lo, exec_lo, s28
	s_cbranch_vccnz .LBB134_713
; %bb.706:
	s_wait_loadcnt 0x0
	s_delay_alu instid0(VALU_DEP_4) | instskip(SKIP_2) | instid1(SALU_CYCLE_1)
	v_mul_f64_e32 v[8:9], s[4:5], v[2:3]
	v_mul_f64_e32 v[2:3], s[6:7], v[2:3]
	s_and_b32 s28, s15, 0xff
	s_cmp_lt_i32 s28, 11
	s_delay_alu instid0(VALU_DEP_2) | instskip(NEXT) | instid1(VALU_DEP_2)
	v_fmac_f64_e32 v[8:9], s[6:7], v[0:1]
	v_fma_f64 v[0:1], s[4:5], v[0:1], -v[2:3]
	s_delay_alu instid0(VALU_DEP_2) | instskip(NEXT) | instid1(VALU_DEP_2)
	v_mul_f64_e32 v[10:11], v[8:9], v[6:7]
	v_mul_f64_e32 v[2:3], v[0:1], v[6:7]
	s_delay_alu instid0(VALU_DEP_2) | instskip(NEXT) | instid1(VALU_DEP_2)
	v_fma_f64 v[0:1], v[0:1], v[4:5], -v[10:11]
	v_fmac_f64_e32 v[2:3], v[8:9], v[4:5]
	v_mul_lo_u32 v4, v34, s14
	s_delay_alu instid0(VALU_DEP_1) | instskip(NEXT) | instid1(VALU_DEP_1)
	v_ashrrev_i32_e32 v5, 31, v4
	v_add_nc_u64_e32 v[4:5], s[2:3], v[4:5]
	s_cbranch_scc1 .LBB134_714
; %bb.707:
	s_and_b32 s31, 0xffff, s28
	s_delay_alu instid0(SALU_CYCLE_1)
	s_cmp_gt_i32 s31, 25
	s_cbranch_scc0 .LBB134_715
; %bb.708:
	s_cmp_gt_i32 s31, 28
	s_cbranch_scc0 .LBB134_716
; %bb.709:
	;; [unrolled: 3-line block ×4, first 2 shown]
	s_mov_b32 s34, 0
	s_mov_b32 s0, -1
	s_cmp_eq_u32 s31, 46
	s_mov_b32 s33, 0
	s_cbranch_scc0 .LBB134_719
; %bb.712:
	s_delay_alu instid0(VALU_DEP_4) | instskip(SKIP_3) | instid1(VALU_DEP_2)
	v_cvt_f32_f64_e32 v6, v[2:3]
	v_cvt_f32_f64_e32 v7, v[0:1]
	s_mov_b32 s33, -1
	s_mov_b32 s0, 0
	v_bfe_u32 v8, v6, 16, 1
	s_delay_alu instid0(VALU_DEP_2) | instskip(SKIP_1) | instid1(VALU_DEP_3)
	v_bfe_u32 v9, v7, 16, 1
	v_cmp_o_f32_e32 vcc_lo, v6, v6
	v_add3_u32 v8, v6, v8, 0x7fff
	s_delay_alu instid0(VALU_DEP_3) | instskip(NEXT) | instid1(VALU_DEP_2)
	v_add3_u32 v9, v7, v9, 0x7fff
	v_and_b32_e32 v8, 0xffff0000, v8
	s_delay_alu instid0(VALU_DEP_1) | instskip(SKIP_1) | instid1(VALU_DEP_2)
	v_dual_cndmask_b32 v6, 0x7fc00000, v8 :: v_dual_lshrrev_b32 v9, 16, v9
	v_cmp_o_f32_e32 vcc_lo, v7, v7
	v_cndmask_b32_e32 v7, 0x7fc0, v9, vcc_lo
	s_delay_alu instid0(VALU_DEP_1)
	v_or_b32_e32 v6, v6, v7
	global_store_b32 v[4:5], v6, off
	s_branch .LBB134_719
.LBB134_713:
	s_mov_b32 s31, 0
	s_mov_b32 s0, s20
	s_branch .LBB134_440
.LBB134_714:
	s_mov_b32 s31, -1
	s_mov_b32 s33, 0
	s_mov_b32 s0, s20
	s_branch .LBB134_788
.LBB134_715:
	s_mov_b32 s34, -1
	s_mov_b32 s33, 0
	s_mov_b32 s0, s20
	s_branch .LBB134_746
.LBB134_716:
	s_mov_b32 s34, -1
	s_mov_b32 s33, 0
	s_mov_b32 s0, s20
	s_branch .LBB134_729
.LBB134_717:
	s_mov_b32 s34, -1
	s_mov_b32 s33, 0
	s_mov_b32 s0, s20
	s_branch .LBB134_725
.LBB134_718:
	s_mov_b32 s34, -1
	s_mov_b32 s33, 0
	s_mov_b32 s0, s20
.LBB134_719:
	s_and_b32 vcc_lo, exec_lo, s34
	s_cbranch_vccz .LBB134_724
; %bb.720:
	s_cmp_eq_u32 s31, 44
	s_mov_b32 s0, -1
	s_cbranch_scc0 .LBB134_724
; %bb.721:
	s_wait_xcnt 0x0
	v_cvt_f32_f64_e32 v6, v[0:1]
	v_mov_b32_e32 v7, 0xff
	s_mov_b32 s33, exec_lo
	s_delay_alu instid0(VALU_DEP_2) | instskip(NEXT) | instid1(VALU_DEP_1)
	v_bfe_u32 v8, v6, 23, 8
	v_cmpx_ne_u32_e32 0xff, v8
	s_cbranch_execz .LBB134_723
; %bb.722:
	v_and_b32_e32 v7, 0x400000, v6
	v_and_or_b32 v8, 0x3fffff, v6, v8
	v_lshrrev_b32_e32 v6, 23, v6
	s_delay_alu instid0(VALU_DEP_3) | instskip(NEXT) | instid1(VALU_DEP_3)
	v_cmp_ne_u32_e32 vcc_lo, 0, v7
	v_cmp_ne_u32_e64 s0, 0, v8
	s_and_b32 s0, vcc_lo, s0
	s_delay_alu instid0(SALU_CYCLE_1) | instskip(NEXT) | instid1(VALU_DEP_1)
	v_cndmask_b32_e64 v7, 0, 1, s0
	v_add_nc_u32_e32 v7, v6, v7
.LBB134_723:
	s_or_b32 exec_lo, exec_lo, s33
	s_mov_b32 s33, -1
	s_mov_b32 s0, 0
	global_store_b8 v[4:5], v7, off
.LBB134_724:
	s_mov_b32 s34, 0
.LBB134_725:
	s_delay_alu instid0(SALU_CYCLE_1)
	s_and_b32 vcc_lo, exec_lo, s34
	s_cbranch_vccz .LBB134_728
; %bb.726:
	s_cmp_eq_u32 s31, 29
	s_mov_b32 s0, -1
	s_cbranch_scc0 .LBB134_728
; %bb.727:
	s_wait_xcnt 0x0
	v_trunc_f64_e32 v[6:7], v[0:1]
	s_mov_b32 s33, -1
	s_mov_b32 s0, 0
	s_mov_b32 s34, 0
	s_delay_alu instid0(VALU_DEP_1) | instskip(NEXT) | instid1(VALU_DEP_1)
	v_ldexp_f64 v[8:9], v[6:7], 0xffffffe0
	v_floor_f64_e32 v[8:9], v[8:9]
	s_delay_alu instid0(VALU_DEP_1) | instskip(SKIP_1) | instid1(VALU_DEP_2)
	v_fmamk_f64 v[6:7], v[8:9], 0xc1f00000, v[6:7]
	v_cvt_u32_f64_e32 v9, v[8:9]
	v_cvt_u32_f64_e32 v8, v[6:7]
	global_store_b64 v[4:5], v[8:9], off
	s_branch .LBB134_729
.LBB134_728:
	s_mov_b32 s34, 0
.LBB134_729:
	s_delay_alu instid0(SALU_CYCLE_1)
	s_and_b32 vcc_lo, exec_lo, s34
	s_cbranch_vccz .LBB134_745
; %bb.730:
	s_cmp_lt_i32 s31, 27
	s_mov_b32 s33, -1
	s_cbranch_scc1 .LBB134_736
; %bb.731:
	s_wait_xcnt 0x0
	v_cvt_u32_f64_e32 v6, v[0:1]
	s_cmp_gt_i32 s31, 27
	s_cbranch_scc0 .LBB134_733
; %bb.732:
	s_mov_b32 s33, 0
	global_store_b32 v[4:5], v6, off
.LBB134_733:
	s_and_not1_b32 vcc_lo, exec_lo, s33
	s_cbranch_vccnz .LBB134_735
; %bb.734:
	global_store_b16 v[4:5], v6, off
.LBB134_735:
	s_mov_b32 s33, 0
.LBB134_736:
	s_delay_alu instid0(SALU_CYCLE_1)
	s_and_not1_b32 vcc_lo, exec_lo, s33
	s_cbranch_vccnz .LBB134_744
; %bb.737:
	s_wait_xcnt 0x0
	v_cvt_f32_f64_e32 v6, v[0:1]
	v_mov_b32_e32 v8, 0x80
	s_mov_b32 s33, exec_lo
	s_delay_alu instid0(VALU_DEP_2) | instskip(NEXT) | instid1(VALU_DEP_1)
	v_and_b32_e32 v7, 0x7fffffff, v6
	v_cmpx_gt_u32_e32 0x43800000, v7
	s_cbranch_execz .LBB134_743
; %bb.738:
	v_cmp_lt_u32_e32 vcc_lo, 0x3bffffff, v7
	s_mov_b32 s34, 0
                                        ; implicit-def: $vgpr7
	s_and_saveexec_b32 s35, vcc_lo
	s_delay_alu instid0(SALU_CYCLE_1)
	s_xor_b32 s35, exec_lo, s35
	s_cbranch_execz .LBB134_866
; %bb.739:
	v_bfe_u32 v7, v6, 20, 1
	s_mov_b32 s34, exec_lo
	s_delay_alu instid0(VALU_DEP_1) | instskip(NEXT) | instid1(VALU_DEP_1)
	v_add3_u32 v7, v6, v7, 0x487ffff
	v_lshrrev_b32_e32 v7, 20, v7
	s_and_not1_saveexec_b32 s35, s35
	s_cbranch_execnz .LBB134_867
.LBB134_740:
	s_or_b32 exec_lo, exec_lo, s35
	v_mov_b32_e32 v8, 0
	s_and_saveexec_b32 s35, s34
.LBB134_741:
	v_lshrrev_b32_e32 v6, 24, v6
	s_delay_alu instid0(VALU_DEP_1)
	v_and_or_b32 v8, 0x80, v6, v7
.LBB134_742:
	s_or_b32 exec_lo, exec_lo, s35
.LBB134_743:
	s_delay_alu instid0(SALU_CYCLE_1)
	s_or_b32 exec_lo, exec_lo, s33
	global_store_b8 v[4:5], v8, off
.LBB134_744:
	s_mov_b32 s33, -1
.LBB134_745:
	s_mov_b32 s34, 0
.LBB134_746:
	s_delay_alu instid0(SALU_CYCLE_1)
	s_and_b32 vcc_lo, exec_lo, s34
	s_cbranch_vccz .LBB134_787
; %bb.747:
	s_cmp_gt_i32 s31, 22
	s_mov_b32 s34, -1
	s_cbranch_scc0 .LBB134_779
; %bb.748:
	s_cmp_lt_i32 s31, 24
	s_mov_b32 s33, -1
	s_cbranch_scc1 .LBB134_768
; %bb.749:
	s_cmp_gt_i32 s31, 24
	s_cbranch_scc0 .LBB134_757
; %bb.750:
	s_wait_xcnt 0x0
	v_cvt_f32_f64_e32 v6, v[0:1]
	v_mov_b32_e32 v8, 0x80
	s_mov_b32 s33, exec_lo
	s_delay_alu instid0(VALU_DEP_2) | instskip(NEXT) | instid1(VALU_DEP_1)
	v_and_b32_e32 v7, 0x7fffffff, v6
	v_cmpx_gt_u32_e32 0x47800000, v7
	s_cbranch_execz .LBB134_756
; %bb.751:
	v_cmp_lt_u32_e32 vcc_lo, 0x37ffffff, v7
	s_mov_b32 s34, 0
                                        ; implicit-def: $vgpr7
	s_and_saveexec_b32 s35, vcc_lo
	s_delay_alu instid0(SALU_CYCLE_1)
	s_xor_b32 s35, exec_lo, s35
	s_cbranch_execz .LBB134_1002
; %bb.752:
	v_bfe_u32 v7, v6, 21, 1
	s_mov_b32 s34, exec_lo
	s_delay_alu instid0(VALU_DEP_1) | instskip(NEXT) | instid1(VALU_DEP_1)
	v_add3_u32 v7, v6, v7, 0x88fffff
	v_lshrrev_b32_e32 v7, 21, v7
	s_and_not1_saveexec_b32 s35, s35
	s_cbranch_execnz .LBB134_1003
.LBB134_753:
	s_or_b32 exec_lo, exec_lo, s35
	v_mov_b32_e32 v8, 0
	s_and_saveexec_b32 s35, s34
.LBB134_754:
	v_lshrrev_b32_e32 v6, 24, v6
	s_delay_alu instid0(VALU_DEP_1)
	v_and_or_b32 v8, 0x80, v6, v7
.LBB134_755:
	s_or_b32 exec_lo, exec_lo, s35
.LBB134_756:
	s_delay_alu instid0(SALU_CYCLE_1)
	s_or_b32 exec_lo, exec_lo, s33
	s_mov_b32 s33, 0
	global_store_b8 v[4:5], v8, off
.LBB134_757:
	s_and_b32 vcc_lo, exec_lo, s33
	s_cbranch_vccz .LBB134_767
; %bb.758:
	s_wait_xcnt 0x0
	v_cvt_f32_f64_e32 v6, v[0:1]
	s_mov_b32 s33, exec_lo
                                        ; implicit-def: $vgpr7
	s_delay_alu instid0(VALU_DEP_1) | instskip(NEXT) | instid1(VALU_DEP_1)
	v_and_b32_e32 v8, 0x7fffffff, v6
	v_cmpx_gt_u32_e32 0x43f00000, v8
	s_xor_b32 s33, exec_lo, s33
	s_cbranch_execz .LBB134_764
; %bb.759:
	s_mov_b32 s34, exec_lo
                                        ; implicit-def: $vgpr7
	v_cmpx_lt_u32_e32 0x3c7fffff, v8
	s_xor_b32 s34, exec_lo, s34
; %bb.760:
	v_bfe_u32 v7, v6, 20, 1
	s_delay_alu instid0(VALU_DEP_1) | instskip(NEXT) | instid1(VALU_DEP_1)
	v_add3_u32 v7, v6, v7, 0x407ffff
	v_and_b32_e32 v8, 0xff00000, v7
	v_lshrrev_b32_e32 v7, 20, v7
	s_delay_alu instid0(VALU_DEP_2) | instskip(NEXT) | instid1(VALU_DEP_2)
	v_cmp_ne_u32_e32 vcc_lo, 0x7f00000, v8
	v_cndmask_b32_e32 v7, 0x7e, v7, vcc_lo
; %bb.761:
	s_and_not1_saveexec_b32 s34, s34
; %bb.762:
	v_add_f32_e64 v7, 0x46800000, |v6|
; %bb.763:
	s_or_b32 exec_lo, exec_lo, s34
                                        ; implicit-def: $vgpr8
.LBB134_764:
	s_and_not1_saveexec_b32 s33, s33
; %bb.765:
	v_mov_b32_e32 v7, 0x7f
	v_cmp_lt_u32_e32 vcc_lo, 0x7f800000, v8
	s_delay_alu instid0(VALU_DEP_2)
	v_cndmask_b32_e32 v7, 0x7e, v7, vcc_lo
; %bb.766:
	s_or_b32 exec_lo, exec_lo, s33
	v_lshrrev_b32_e32 v6, 24, v6
	s_delay_alu instid0(VALU_DEP_1)
	v_and_or_b32 v6, 0x80, v6, v7
	global_store_b8 v[4:5], v6, off
.LBB134_767:
	s_mov_b32 s33, 0
.LBB134_768:
	s_delay_alu instid0(SALU_CYCLE_1)
	s_and_not1_b32 vcc_lo, exec_lo, s33
	s_cbranch_vccnz .LBB134_778
; %bb.769:
	s_wait_xcnt 0x0
	v_cvt_f32_f64_e32 v6, v[0:1]
	s_mov_b32 s33, exec_lo
                                        ; implicit-def: $vgpr7
	s_delay_alu instid0(VALU_DEP_1) | instskip(NEXT) | instid1(VALU_DEP_1)
	v_and_b32_e32 v8, 0x7fffffff, v6
	v_cmpx_gt_u32_e32 0x47800000, v8
	s_xor_b32 s33, exec_lo, s33
	s_cbranch_execz .LBB134_775
; %bb.770:
	s_mov_b32 s34, exec_lo
                                        ; implicit-def: $vgpr7
	v_cmpx_lt_u32_e32 0x387fffff, v8
	s_xor_b32 s34, exec_lo, s34
; %bb.771:
	v_bfe_u32 v7, v6, 21, 1
	s_delay_alu instid0(VALU_DEP_1) | instskip(NEXT) | instid1(VALU_DEP_1)
	v_add3_u32 v7, v6, v7, 0x80fffff
	v_lshrrev_b32_e32 v7, 21, v7
; %bb.772:
	s_and_not1_saveexec_b32 s34, s34
; %bb.773:
	v_add_f32_e64 v7, 0x43000000, |v6|
; %bb.774:
	s_or_b32 exec_lo, exec_lo, s34
                                        ; implicit-def: $vgpr8
.LBB134_775:
	s_and_not1_saveexec_b32 s33, s33
; %bb.776:
	v_mov_b32_e32 v7, 0x7f
	v_cmp_lt_u32_e32 vcc_lo, 0x7f800000, v8
	s_delay_alu instid0(VALU_DEP_2)
	v_cndmask_b32_e32 v7, 0x7c, v7, vcc_lo
; %bb.777:
	s_or_b32 exec_lo, exec_lo, s33
	v_lshrrev_b32_e32 v6, 24, v6
	s_delay_alu instid0(VALU_DEP_1)
	v_and_or_b32 v6, 0x80, v6, v7
	global_store_b8 v[4:5], v6, off
.LBB134_778:
	s_mov_b32 s34, 0
	s_mov_b32 s33, -1
.LBB134_779:
	s_and_not1_b32 vcc_lo, exec_lo, s34
	s_cbranch_vccnz .LBB134_787
; %bb.780:
	s_cmp_gt_i32 s31, 14
	s_mov_b32 s34, -1
	s_cbranch_scc0 .LBB134_784
; %bb.781:
	s_cmp_eq_u32 s31, 15
	s_mov_b32 s0, -1
	s_cbranch_scc0 .LBB134_783
; %bb.782:
	s_wait_xcnt 0x0
	v_cvt_f32_f64_e32 v6, v[0:1]
	s_mov_b32 s33, -1
	s_mov_b32 s0, 0
	s_delay_alu instid0(VALU_DEP_1) | instskip(SKIP_1) | instid1(VALU_DEP_2)
	v_bfe_u32 v7, v6, 16, 1
	v_cmp_o_f32_e32 vcc_lo, v6, v6
	v_add3_u32 v7, v6, v7, 0x7fff
	s_delay_alu instid0(VALU_DEP_1) | instskip(NEXT) | instid1(VALU_DEP_1)
	v_lshrrev_b32_e32 v7, 16, v7
	v_cndmask_b32_e32 v6, 0x7fc0, v7, vcc_lo
	global_store_b16 v[4:5], v6, off
.LBB134_783:
	s_mov_b32 s34, 0
.LBB134_784:
	s_delay_alu instid0(SALU_CYCLE_1)
	s_and_b32 vcc_lo, exec_lo, s34
	s_cbranch_vccz .LBB134_787
; %bb.785:
	s_cmp_eq_u32 s31, 11
	s_mov_b32 s0, -1
	s_cbranch_scc0 .LBB134_787
; %bb.786:
	v_cmp_neq_f64_e32 vcc_lo, 0, v[0:1]
	v_cmp_neq_f64_e64 s0, 0, v[2:3]
	s_mov_b32 s33, -1
	s_or_b32 s0, vcc_lo, s0
	s_wait_xcnt 0x0
	v_cndmask_b32_e64 v6, 0, 1, s0
	s_mov_b32 s0, 0
	global_store_b8 v[4:5], v6, off
.LBB134_787:
	s_mov_b32 s31, 0
.LBB134_788:
	s_delay_alu instid0(SALU_CYCLE_1)
	s_and_b32 vcc_lo, exec_lo, s31
	s_cbranch_vccz .LBB134_827
; %bb.789:
	s_and_b32 s28, 0xffff, s28
	s_mov_b32 s31, -1
	s_cmp_lt_i32 s28, 5
	s_cbranch_scc1 .LBB134_810
; %bb.790:
	s_cmp_lt_i32 s28, 8
	s_cbranch_scc1 .LBB134_800
; %bb.791:
	;; [unrolled: 3-line block ×3, first 2 shown]
	s_cmp_gt_i32 s28, 9
	s_cbranch_scc0 .LBB134_794
; %bb.793:
	s_mov_b32 s31, 0
	global_store_b128 v[4:5], v[0:3], off
.LBB134_794:
	s_and_not1_b32 vcc_lo, exec_lo, s31
	s_cbranch_vccnz .LBB134_796
; %bb.795:
	s_wait_xcnt 0x0
	v_cvt_f32_f64_e32 v6, v[0:1]
	v_cvt_f32_f64_e32 v7, v[2:3]
	global_store_b64 v[4:5], v[6:7], off
.LBB134_796:
	s_mov_b32 s31, 0
.LBB134_797:
	s_delay_alu instid0(SALU_CYCLE_1)
	s_and_not1_b32 vcc_lo, exec_lo, s31
	s_cbranch_vccnz .LBB134_799
; %bb.798:
	s_wait_xcnt 0x0
	v_and_or_b32 v6, 0x1ff, v1, v0
	v_and_or_b32 v2, 0x1ff, v3, v2
	v_dual_lshrrev_b32 v7, 8, v1 :: v_dual_lshrrev_b32 v10, 8, v3
	v_bfe_u32 v8, v1, 20, 11
	s_delay_alu instid0(VALU_DEP_4) | instskip(SKIP_2) | instid1(VALU_DEP_4)
	v_cmp_ne_u32_e32 vcc_lo, 0, v6
	v_bfe_u32 v9, v3, 20, 11
	v_dual_lshrrev_b32 v16, 16, v1 :: v_dual_lshrrev_b32 v3, 16, v3
	v_sub_nc_u32_e32 v11, 0x3f1, v8
	v_cndmask_b32_e64 v6, 0, 1, vcc_lo
	v_cmp_ne_u32_e32 vcc_lo, 0, v2
	v_add_nc_u32_e32 v8, 0xfffffc10, v8
	s_delay_alu instid0(VALU_DEP_3) | instskip(SKIP_1) | instid1(VALU_DEP_1)
	v_and_or_b32 v6, 0xffe, v7, v6
	v_cndmask_b32_e64 v2, 0, 1, vcc_lo
	v_and_or_b32 v2, 0xffe, v10, v2
	v_med3_i32 v10, v11, 0, 13
	s_delay_alu instid0(VALU_DEP_4) | instskip(NEXT) | instid1(VALU_DEP_3)
	v_or_b32_e32 v11, 0x1000, v6
	v_or_b32_e32 v12, 0x1000, v2
	s_delay_alu instid0(VALU_DEP_2) | instskip(NEXT) | instid1(VALU_DEP_1)
	v_lshrrev_b32_e32 v13, v10, v11
	v_lshlrev_b32_e32 v10, v10, v13
	s_delay_alu instid0(VALU_DEP_1) | instskip(SKIP_2) | instid1(VALU_DEP_1)
	v_cmp_ne_u32_e32 vcc_lo, v10, v11
	v_lshl_or_b32 v11, v8, 12, v6
	v_cndmask_b32_e64 v10, 0, 1, vcc_lo
	v_or_b32_e32 v10, v13, v10
	v_sub_nc_u32_e32 v7, 0x3f1, v9
	v_add_nc_u32_e32 v9, 0xfffffc10, v9
	s_delay_alu instid0(VALU_DEP_2) | instskip(NEXT) | instid1(VALU_DEP_1)
	v_med3_i32 v7, v7, 0, 13
	v_lshrrev_b32_e32 v14, v7, v12
	s_delay_alu instid0(VALU_DEP_1) | instskip(NEXT) | instid1(VALU_DEP_1)
	v_lshlrev_b32_e32 v7, v7, v14
	v_cmp_ne_u32_e32 vcc_lo, v7, v12
	v_lshl_or_b32 v12, v9, 12, v2
	v_cndmask_b32_e64 v7, 0, 1, vcc_lo
	v_cmp_gt_i32_e32 vcc_lo, 1, v8
	s_delay_alu instid0(VALU_DEP_2) | instskip(SKIP_1) | instid1(VALU_DEP_2)
	v_dual_cndmask_b32 v10, v11, v10, vcc_lo :: v_dual_bitop2_b32 v7, v14, v7 bitop3:0x54
	v_cmp_gt_i32_e32 vcc_lo, 1, v9
	v_dual_lshrrev_b32 v10, 2, v10 :: v_dual_bitop2_b32 v11, 7, v10 bitop3:0x40
	s_delay_alu instid0(VALU_DEP_3) | instskip(NEXT) | instid1(VALU_DEP_1)
	v_cndmask_b32_e32 v7, v12, v7, vcc_lo
	v_dual_lshrrev_b32 v7, 2, v7 :: v_dual_bitop2_b32 v12, 7, v7 bitop3:0x40
	s_delay_alu instid0(VALU_DEP_3) | instskip(SKIP_1) | instid1(VALU_DEP_3)
	v_cmp_lt_i32_e32 vcc_lo, 5, v11
	v_cndmask_b32_e64 v14, 0, 1, vcc_lo
	v_cmp_lt_i32_e32 vcc_lo, 5, v12
	v_cndmask_b32_e64 v15, 0, 1, vcc_lo
	v_cmp_eq_u32_e32 vcc_lo, 3, v12
	v_cndmask_b32_e64 v12, 0, 1, vcc_lo
	v_cmp_eq_u32_e32 vcc_lo, 3, v11
	s_delay_alu instid0(VALU_DEP_2) | instskip(SKIP_2) | instid1(VALU_DEP_3)
	v_or_b32_e32 v12, v12, v15
	v_cndmask_b32_e64 v11, 0, 1, vcc_lo
	v_cmp_ne_u32_e32 vcc_lo, 0, v6
	v_add_nc_u32_e32 v7, v7, v12
	s_delay_alu instid0(VALU_DEP_3) | instskip(NEXT) | instid1(VALU_DEP_1)
	v_or_b32_e32 v11, v11, v14
	v_dual_mov_b32 v13, 0x7e00 :: v_dual_add_nc_u32 v10, v10, v11
	s_delay_alu instid0(VALU_DEP_1)
	v_cndmask_b32_e32 v6, 0x7c00, v13, vcc_lo
	v_cmp_ne_u32_e32 vcc_lo, 0, v2
	v_and_b32_e32 v11, 0x8000, v16
	v_cndmask_b32_e32 v2, 0x7c00, v13, vcc_lo
	v_cmp_gt_i32_e32 vcc_lo, 31, v9
	v_cndmask_b32_e32 v7, 0x7c00, v7, vcc_lo
	v_cmp_gt_i32_e32 vcc_lo, 31, v8
	v_cndmask_b32_e32 v10, 0x7c00, v10, vcc_lo
	v_cmp_eq_u32_e32 vcc_lo, 0x40f, v9
	s_delay_alu instid0(VALU_DEP_4) | instskip(SKIP_1) | instid1(VALU_DEP_2)
	v_cndmask_b32_e32 v2, v7, v2, vcc_lo
	v_cmp_eq_u32_e32 vcc_lo, 0x40f, v8
	v_and_or_b32 v2, 0x8000, v3, v2
	v_cndmask_b32_e32 v6, v10, v6, vcc_lo
	s_delay_alu instid0(VALU_DEP_1) | instskip(NEXT) | instid1(VALU_DEP_1)
	v_bitop3_b32 v3, v11, 0xffff, v6 bitop3:0xc8
	v_lshl_or_b32 v2, v2, 16, v3
	global_store_b32 v[4:5], v2, off
.LBB134_799:
	s_mov_b32 s31, 0
.LBB134_800:
	s_delay_alu instid0(SALU_CYCLE_1)
	s_and_not1_b32 vcc_lo, exec_lo, s31
	s_cbranch_vccnz .LBB134_809
; %bb.801:
	s_cmp_lt_i32 s28, 6
	s_mov_b32 s31, -1
	s_cbranch_scc1 .LBB134_807
; %bb.802:
	s_cmp_gt_i32 s28, 6
	s_cbranch_scc0 .LBB134_804
; %bb.803:
	s_mov_b32 s31, 0
	global_store_b64 v[4:5], v[0:1], off
.LBB134_804:
	s_and_not1_b32 vcc_lo, exec_lo, s31
	s_cbranch_vccnz .LBB134_806
; %bb.805:
	s_wait_xcnt 0x0
	v_cvt_f32_f64_e32 v2, v[0:1]
	global_store_b32 v[4:5], v2, off
.LBB134_806:
	s_mov_b32 s31, 0
.LBB134_807:
	s_delay_alu instid0(SALU_CYCLE_1)
	s_and_not1_b32 vcc_lo, exec_lo, s31
	s_cbranch_vccnz .LBB134_809
; %bb.808:
	s_wait_xcnt 0x0
	v_and_or_b32 v2, 0x1ff, v1, v0
	v_lshrrev_b32_e32 v3, 8, v1
	v_bfe_u32 v6, v1, 20, 11
	s_delay_alu instid0(VALU_DEP_3) | instskip(NEXT) | instid1(VALU_DEP_2)
	v_cmp_ne_u32_e32 vcc_lo, 0, v2
	v_sub_nc_u32_e32 v7, 0x3f1, v6
	v_cndmask_b32_e64 v2, 0, 1, vcc_lo
	s_delay_alu instid0(VALU_DEP_1) | instskip(NEXT) | instid1(VALU_DEP_3)
	v_and_or_b32 v2, 0xffe, v3, v2
	v_med3_i32 v3, v7, 0, 13
	s_delay_alu instid0(VALU_DEP_2) | instskip(NEXT) | instid1(VALU_DEP_1)
	v_or_b32_e32 v7, 0x1000, v2
	v_lshrrev_b32_e32 v8, v3, v7
	s_delay_alu instid0(VALU_DEP_1) | instskip(NEXT) | instid1(VALU_DEP_1)
	v_lshlrev_b32_e32 v3, v3, v8
	v_cmp_ne_u32_e32 vcc_lo, v3, v7
	v_cndmask_b32_e64 v3, 0, 1, vcc_lo
	s_delay_alu instid0(VALU_DEP_1) | instskip(SKIP_1) | instid1(VALU_DEP_1)
	v_or_b32_e32 v3, v8, v3
	v_add_nc_u32_e32 v6, 0xfffffc10, v6
	v_lshl_or_b32 v7, v6, 12, v2
	v_cmp_gt_i32_e32 vcc_lo, 1, v6
	s_delay_alu instid0(VALU_DEP_2) | instskip(NEXT) | instid1(VALU_DEP_1)
	v_cndmask_b32_e32 v3, v7, v3, vcc_lo
	v_dual_lshrrev_b32 v3, 2, v3 :: v_dual_bitop2_b32 v7, 7, v3 bitop3:0x40
	s_delay_alu instid0(VALU_DEP_1) | instskip(SKIP_4) | instid1(VALU_DEP_2)
	v_cmp_lt_i32_e32 vcc_lo, 5, v7
	v_cndmask_b32_e64 v8, 0, 1, vcc_lo
	v_cmp_eq_u32_e32 vcc_lo, 3, v7
	v_cndmask_b32_e64 v7, 0, 1, vcc_lo
	v_cmp_ne_u32_e32 vcc_lo, 0, v2
	v_or_b32_e32 v7, v7, v8
	s_delay_alu instid0(VALU_DEP_1) | instskip(NEXT) | instid1(VALU_DEP_1)
	v_dual_mov_b32 v8, 0x7e00 :: v_dual_add_nc_u32 v3, v3, v7
	v_cndmask_b32_e32 v2, 0x7c00, v8, vcc_lo
	v_cmp_gt_i32_e32 vcc_lo, 31, v6
	s_delay_alu instid0(VALU_DEP_3) | instskip(SKIP_1) | instid1(VALU_DEP_2)
	v_cndmask_b32_e32 v3, 0x7c00, v3, vcc_lo
	v_cmp_eq_u32_e32 vcc_lo, 0x40f, v6
	v_dual_cndmask_b32 v2, v3, v2 :: v_dual_lshrrev_b32 v3, 16, v1
	s_delay_alu instid0(VALU_DEP_1)
	v_and_or_b32 v2, 0x8000, v3, v2
	global_store_b16 v[4:5], v2, off
.LBB134_809:
	s_mov_b32 s31, 0
.LBB134_810:
	s_delay_alu instid0(SALU_CYCLE_1)
	s_and_not1_b32 vcc_lo, exec_lo, s31
	s_cbranch_vccnz .LBB134_826
; %bb.811:
	s_cmp_lt_i32 s28, 2
	s_mov_b32 s31, -1
	s_cbranch_scc1 .LBB134_821
; %bb.812:
	s_cmp_lt_i32 s28, 3
	s_cbranch_scc1 .LBB134_818
; %bb.813:
	s_cmp_gt_i32 s28, 3
	s_cbranch_scc0 .LBB134_815
; %bb.814:
	s_wait_xcnt 0x0
	v_trunc_f64_e32 v[2:3], v[0:1]
	s_mov_b32 s31, 0
	s_delay_alu instid0(VALU_DEP_1) | instskip(NEXT) | instid1(VALU_DEP_1)
	v_ldexp_f64 v[6:7], v[2:3], 0xffffffe0
	v_floor_f64_e32 v[6:7], v[6:7]
	s_delay_alu instid0(VALU_DEP_1) | instskip(SKIP_1) | instid1(VALU_DEP_2)
	v_fmamk_f64 v[2:3], v[6:7], 0xc1f00000, v[2:3]
	v_cvt_i32_f64_e32 v7, v[6:7]
	v_cvt_u32_f64_e32 v6, v[2:3]
	global_store_b64 v[4:5], v[6:7], off
.LBB134_815:
	s_and_not1_b32 vcc_lo, exec_lo, s31
	s_cbranch_vccnz .LBB134_817
; %bb.816:
	s_wait_xcnt 0x0
	v_cvt_i32_f64_e32 v2, v[0:1]
	global_store_b32 v[4:5], v2, off
.LBB134_817:
	s_mov_b32 s31, 0
.LBB134_818:
	s_delay_alu instid0(SALU_CYCLE_1)
	s_and_not1_b32 vcc_lo, exec_lo, s31
	s_cbranch_vccnz .LBB134_820
; %bb.819:
	s_wait_xcnt 0x0
	v_cvt_i32_f64_e32 v2, v[0:1]
	global_store_b16 v[4:5], v2, off
.LBB134_820:
	s_mov_b32 s31, 0
.LBB134_821:
	s_delay_alu instid0(SALU_CYCLE_1)
	s_and_not1_b32 vcc_lo, exec_lo, s31
	s_cbranch_vccnz .LBB134_826
; %bb.822:
	s_cmp_gt_i32 s28, 0
	s_mov_b32 s28, -1
	s_cbranch_scc0 .LBB134_824
; %bb.823:
	s_wait_xcnt 0x0
	v_cvt_i32_f64_e32 v2, v[0:1]
	s_mov_b32 s28, 0
	global_store_b8 v[4:5], v2, off
.LBB134_824:
	s_and_not1_b32 vcc_lo, exec_lo, s28
	s_cbranch_vccnz .LBB134_826
; %bb.825:
	s_wait_xcnt 0x0
	v_trunc_f64_e32 v[0:1], v[0:1]
	s_delay_alu instid0(VALU_DEP_1) | instskip(NEXT) | instid1(VALU_DEP_1)
	v_ldexp_f64 v[2:3], v[0:1], 0xffffffe0
	v_floor_f64_e32 v[2:3], v[2:3]
	s_delay_alu instid0(VALU_DEP_1) | instskip(NEXT) | instid1(VALU_DEP_1)
	v_fmamk_f64 v[0:1], v[2:3], 0xc1f00000, v[0:1]
	v_cvt_u32_f64_e32 v0, v[0:1]
	global_store_b8 v[4:5], v0, off
.LBB134_826:
	s_mov_b32 s33, -1
.LBB134_827:
	s_delay_alu instid0(SALU_CYCLE_1)
	s_and_not1_b32 vcc_lo, exec_lo, s33
	s_cbranch_vccnz .LBB134_838
; %bb.828:
	v_add_nc_u32_e32 v34, 0x80, v34
	s_mov_b32 s31, -1
.LBB134_829:
	s_and_not1_b32 s28, s20, exec_lo
	s_and_b32 s0, s0, exec_lo
	s_and_not1_b32 s33, s22, exec_lo
	s_and_b32 s34, s27, exec_lo
	s_or_b32 s27, s28, s0
	s_or_b32 s28, s33, s34
	s_and_not1_b32 s0, s23, exec_lo
	s_and_b32 s26, s26, exec_lo
	s_and_not1_b32 s33, s24, exec_lo
	s_and_b32 s34, s29, exec_lo
	s_or_b32 s29, s0, s26
	s_or_b32 s26, s33, s34
	s_or_not1_b32 s31, s31, exec_lo
.LBB134_830:
	s_wait_xcnt 0x0
	s_or_b32 exec_lo, exec_lo, s30
	s_mov_b32 s0, 0
	s_and_saveexec_b32 s30, s31
	s_cbranch_execz .LBB134_1274
; %bb.831:
	s_mov_b32 s34, -1
	s_mov_b32 s0, s26
	s_mov_b32 s33, s29
	;; [unrolled: 1-line block ×4, first 2 shown]
	s_mov_b32 s31, exec_lo
	v_cmpx_gt_i32_e64 s21, v34
	s_cbranch_execz .LBB134_1250
; %bb.832:
	s_and_b32 s33, s18, 0xff
	s_delay_alu instid0(SALU_CYCLE_1)
	s_cmp_lt_i32 s33, 23
	s_cbranch_scc1 .LBB134_836
; %bb.833:
	s_and_b32 s35, 0xffff, s33
	s_delay_alu instid0(SALU_CYCLE_1)
	s_cmp_gt_i32 s35, 43
	s_cbranch_scc0 .LBB134_837
; %bb.834:
	s_cmp_gt_i32 s35, 45
	s_cbranch_scc0 .LBB134_839
; %bb.835:
	s_cmp_eq_u32 s35, 46
	s_mov_b32 s36, 0
	s_cselect_b32 s0, -1, 0
	s_or_b32 s34, s26, exec_lo
	s_branch .LBB134_840
.LBB134_836:
	s_mov_b32 s35, -1
	s_mov_b32 s0, 0
	s_mov_b32 s34, s26
	s_branch .LBB134_846
.LBB134_837:
	s_mov_b32 s36, -1
	s_mov_b32 s0, 0
	s_mov_b32 s34, s26
	s_branch .LBB134_843
.LBB134_838:
	s_mov_b32 s31, 0
	s_branch .LBB134_440
.LBB134_839:
	s_mov_b32 s36, -1
	s_mov_b32 s0, 0
	s_mov_b32 s34, s26
.LBB134_840:
	s_and_not1_b32 vcc_lo, exec_lo, s36
	s_cbranch_vccnz .LBB134_842
; %bb.841:
	s_cmp_eq_u32 s35, 44
	s_cselect_b32 s0, -1, 0
	s_cmp_lg_u32 s35, 44
	s_cselect_b32 s36, -1, 0
	s_and_not1_b32 s34, s34, exec_lo
	s_and_b32 s36, s36, exec_lo
	s_delay_alu instid0(SALU_CYCLE_1)
	s_or_b32 s34, s34, s36
.LBB134_842:
	s_mov_b32 s36, 0
.LBB134_843:
	s_delay_alu instid0(SALU_CYCLE_1)
	s_and_b32 vcc_lo, exec_lo, s36
	s_cbranch_vccz .LBB134_845
; %bb.844:
	s_cmp_lt_i32 s35, 30
	s_cselect_b32 s0, -1, 0
	s_cmp_gt_i32 s35, 29
	s_cselect_b32 s35, -1, 0
	s_and_not1_b32 s34, s34, exec_lo
	s_and_b32 s35, s35, exec_lo
	s_delay_alu instid0(SALU_CYCLE_1)
	s_or_b32 s34, s34, s35
.LBB134_845:
	s_mov_b32 s35, 0
.LBB134_846:
	s_delay_alu instid0(SALU_CYCLE_1)
	s_and_b32 vcc_lo, exec_lo, s35
	s_cbranch_vccz .LBB134_851
; %bb.847:
	s_and_b32 s33, 0xffff, s33
	s_mov_b32 s35, -1
	s_cmp_gt_i32 s33, 14
	s_cbranch_scc0 .LBB134_849
; %bb.848:
	s_cmp_eq_u32 s33, 15
	s_cselect_b32 s0, -1, 0
	s_cmp_lg_u32 s33, 15
	s_cselect_b32 s35, -1, 0
	s_and_not1_b32 s34, s34, exec_lo
	s_and_b32 s36, s35, exec_lo
	s_mov_b32 s35, 0
	s_or_b32 s34, s34, s36
.LBB134_849:
	s_and_not1_b32 vcc_lo, exec_lo, s35
	s_cbranch_vccnz .LBB134_851
; %bb.850:
	s_cmp_lt_i32 s33, 12
	s_cselect_b32 s0, -1, 0
	s_cmp_gt_i32 s33, 11
	s_cselect_b32 s33, -1, 0
	s_and_not1_b32 s34, s34, exec_lo
	s_and_b32 s33, s33, exec_lo
	s_delay_alu instid0(SALU_CYCLE_1)
	s_or_b32 s34, s34, s33
.LBB134_851:
	s_and_b32 vcc_lo, exec_lo, s0
	s_cbranch_vccz .LBB134_859
; %bb.852:
	s_wait_loadcnt 0x0
	v_mul_lo_u32 v0, v34, s12
	s_and_b32 s0, s16, 0xff
	s_delay_alu instid0(SALU_CYCLE_1) | instskip(NEXT) | instid1(VALU_DEP_1)
	s_cmp_lt_i32 s0, 11
	v_ashrrev_i32_e32 v1, 31, v0
	s_delay_alu instid0(VALU_DEP_1)
	v_add_nc_u64_e32 v[4:5], s[8:9], v[0:1]
	s_cbranch_scc1 .LBB134_861
; %bb.853:
	s_and_b32 s34, 0xffff, s0
	s_delay_alu instid0(SALU_CYCLE_1)
	s_cmp_gt_i32 s34, 25
	s_cbranch_scc0 .LBB134_862
; %bb.854:
	s_cmp_gt_i32 s34, 28
	s_cbranch_scc0 .LBB134_863
; %bb.855:
	;; [unrolled: 3-line block ×4, first 2 shown]
	s_cmp_eq_u32 s34, 46
	s_mov_b32 s36, 0
	s_cbranch_scc0 .LBB134_868
; %bb.858:
	global_load_b32 v0, v[4:5], off
	s_mov_b32 s35, -1
	s_mov_b32 s33, 0
	s_wait_loadcnt 0x0
	v_lshlrev_b32_e32 v1, 16, v0
	v_and_b32_e32 v2, 0xffff0000, v0
	s_delay_alu instid0(VALU_DEP_2) | instskip(NEXT) | instid1(VALU_DEP_2)
	v_cvt_f64_f32_e32 v[0:1], v1
	v_cvt_f64_f32_e32 v[2:3], v2
	s_branch .LBB134_870
.LBB134_859:
	s_mov_b32 s37, 0
	s_mov_b32 s0, s27
	;; [unrolled: 1-line block ×4, first 2 shown]
.LBB134_860:
                                        ; implicit-def: $vgpr34
	s_branch .LBB134_1249
.LBB134_861:
	s_mov_b32 s34, -1
	s_mov_b32 s35, 0
	s_mov_b32 s33, s29
                                        ; implicit-def: $vgpr2_vgpr3
	s_branch .LBB134_938
.LBB134_862:
	s_mov_b32 s36, -1
	s_mov_b32 s35, 0
	s_mov_b32 s33, s29
                                        ; implicit-def: $vgpr2_vgpr3
	s_branch .LBB134_901
.LBB134_863:
	s_mov_b32 s36, -1
	s_mov_b32 s35, 0
	s_mov_b32 s33, s29
                                        ; implicit-def: $vgpr2_vgpr3
	s_branch .LBB134_882
.LBB134_864:
	s_mov_b32 s36, -1
	s_mov_b32 s35, 0
	s_mov_b32 s33, s29
                                        ; implicit-def: $vgpr2_vgpr3
	s_branch .LBB134_876
.LBB134_865:
	s_mov_b32 s36, -1
	s_mov_b32 s35, 0
	s_mov_b32 s33, s29
	s_branch .LBB134_869
.LBB134_866:
	s_and_not1_saveexec_b32 s35, s35
	s_cbranch_execz .LBB134_740
.LBB134_867:
	v_add_f32_e64 v7, 0x46000000, |v6|
	s_and_not1_b32 s34, s34, exec_lo
	s_delay_alu instid0(VALU_DEP_1) | instskip(NEXT) | instid1(VALU_DEP_1)
	v_and_b32_e32 v7, 0xff, v7
	v_cmp_ne_u32_e32 vcc_lo, 0, v7
	s_and_b32 s36, vcc_lo, exec_lo
	s_delay_alu instid0(SALU_CYCLE_1)
	s_or_b32 s34, s34, s36
	s_or_b32 exec_lo, exec_lo, s35
	v_mov_b32_e32 v8, 0
	s_and_saveexec_b32 s35, s34
	s_cbranch_execnz .LBB134_741
	s_branch .LBB134_742
.LBB134_868:
	s_mov_b32 s33, -1
	s_mov_b32 s35, 0
.LBB134_869:
                                        ; implicit-def: $vgpr2_vgpr3
.LBB134_870:
	s_and_b32 vcc_lo, exec_lo, s36
	s_cbranch_vccz .LBB134_875
; %bb.871:
	s_cmp_eq_u32 s34, 44
	s_cbranch_scc0 .LBB134_873
; %bb.872:
	global_load_u8 v2, v[4:5], off
	s_mov_b32 s33, 0
	s_mov_b32 s35, -1
	s_wait_loadcnt 0x0
	v_cmp_ne_u32_e32 vcc_lo, 0xff, v2
	v_lshlrev_b32_e32 v0, 23, v2
	s_delay_alu instid0(VALU_DEP_1) | instskip(NEXT) | instid1(VALU_DEP_1)
	v_cvt_f64_f32_e32 v[0:1], v0
	v_cndmask_b32_e32 v0, 0x20000000, v0, vcc_lo
	s_delay_alu instid0(VALU_DEP_2) | instskip(SKIP_1) | instid1(VALU_DEP_2)
	v_cndmask_b32_e32 v1, 0x7ff80000, v1, vcc_lo
	v_cmp_ne_u32_e32 vcc_lo, 0, v2
	v_cndmask_b32_e32 v1, 0x38000000, v1, vcc_lo
	s_delay_alu instid0(VALU_DEP_4)
	v_cndmask_b32_e32 v0, 0, v0, vcc_lo
	s_branch .LBB134_874
.LBB134_873:
	s_mov_b32 s33, -1
                                        ; implicit-def: $vgpr0_vgpr1
.LBB134_874:
	v_mov_b64_e32 v[2:3], 0
.LBB134_875:
	s_mov_b32 s36, 0
.LBB134_876:
	s_delay_alu instid0(SALU_CYCLE_1)
	s_and_b32 vcc_lo, exec_lo, s36
	s_cbranch_vccz .LBB134_881
; %bb.877:
	s_cmp_eq_u32 s34, 29
	s_cbranch_scc0 .LBB134_879
; %bb.878:
	global_load_b64 v[0:1], v[4:5], off
	s_mov_b32 s35, -1
	s_mov_b32 s33, 0
	s_wait_loadcnt 0x0
	v_cvt_f64_u32_e32 v[2:3], v1
	v_cvt_f64_u32_e32 v[0:1], v0
	s_delay_alu instid0(VALU_DEP_2) | instskip(NEXT) | instid1(VALU_DEP_1)
	v_ldexp_f64 v[2:3], v[2:3], 32
	v_add_f64_e32 v[0:1], v[2:3], v[0:1]
	s_branch .LBB134_880
.LBB134_879:
	s_mov_b32 s33, -1
                                        ; implicit-def: $vgpr0_vgpr1
.LBB134_880:
	v_mov_b64_e32 v[2:3], 0
.LBB134_881:
	s_mov_b32 s36, 0
.LBB134_882:
	s_delay_alu instid0(SALU_CYCLE_1)
	s_and_b32 vcc_lo, exec_lo, s36
	s_cbranch_vccz .LBB134_900
; %bb.883:
	s_cmp_lt_i32 s34, 27
	s_cbranch_scc1 .LBB134_886
; %bb.884:
	s_cmp_gt_i32 s34, 27
	s_cbranch_scc0 .LBB134_887
; %bb.885:
	global_load_b32 v0, v[4:5], off
	s_mov_b32 s35, 0
	s_wait_loadcnt 0x0
	v_cvt_f64_u32_e32 v[0:1], v0
	s_branch .LBB134_888
.LBB134_886:
	s_mov_b32 s35, -1
                                        ; implicit-def: $vgpr0_vgpr1
	s_branch .LBB134_891
.LBB134_887:
	s_mov_b32 s35, -1
                                        ; implicit-def: $vgpr0_vgpr1
.LBB134_888:
	s_delay_alu instid0(SALU_CYCLE_1)
	s_and_not1_b32 vcc_lo, exec_lo, s35
	s_cbranch_vccnz .LBB134_890
; %bb.889:
	global_load_u16 v0, v[4:5], off
	s_wait_loadcnt 0x0
	v_cvt_f64_u32_e32 v[0:1], v0
.LBB134_890:
	s_mov_b32 s35, 0
.LBB134_891:
	s_delay_alu instid0(SALU_CYCLE_1)
	s_and_not1_b32 vcc_lo, exec_lo, s35
	s_cbranch_vccnz .LBB134_899
; %bb.892:
	global_load_u8 v2, v[4:5], off
	s_mov_b32 s35, 0
	s_mov_b32 s36, exec_lo
	s_wait_loadcnt 0x0
	v_cmpx_lt_i16_e32 0x7f, v2
	s_xor_b32 s36, exec_lo, s36
	s_cbranch_execz .LBB134_913
; %bb.893:
	s_mov_b32 s35, -1
	s_mov_b32 s37, exec_lo
	v_cmpx_eq_u16_e32 0x80, v2
; %bb.894:
	s_xor_b32 s35, exec_lo, -1
; %bb.895:
	s_or_b32 exec_lo, exec_lo, s37
	s_delay_alu instid0(SALU_CYCLE_1)
	s_and_b32 s35, s35, exec_lo
	s_or_saveexec_b32 s36, s36
	v_mov_b64_e32 v[0:1], 0x7ff8000020000000
	s_xor_b32 exec_lo, exec_lo, s36
	s_cbranch_execnz .LBB134_914
.LBB134_896:
	s_or_b32 exec_lo, exec_lo, s36
	s_and_saveexec_b32 s36, s35
	s_cbranch_execz .LBB134_898
.LBB134_897:
	v_and_b32_e32 v0, 0xffff, v2
	s_delay_alu instid0(VALU_DEP_1) | instskip(SKIP_1) | instid1(VALU_DEP_2)
	v_and_b32_e32 v1, 7, v0
	v_bfe_u32 v7, v0, 3, 4
	v_clz_i32_u32_e32 v3, v1
	s_delay_alu instid0(VALU_DEP_2) | instskip(NEXT) | instid1(VALU_DEP_2)
	v_cmp_eq_u32_e32 vcc_lo, 0, v7
	v_min_u32_e32 v3, 32, v3
	s_delay_alu instid0(VALU_DEP_1) | instskip(NEXT) | instid1(VALU_DEP_1)
	v_subrev_nc_u32_e32 v6, 28, v3
	v_dual_lshlrev_b32 v0, v6, v0 :: v_dual_sub_nc_u32 v3, 29, v3
	s_delay_alu instid0(VALU_DEP_1) | instskip(NEXT) | instid1(VALU_DEP_1)
	v_dual_lshlrev_b32 v2, 24, v2 :: v_dual_bitop2_b32 v0, 7, v0 bitop3:0x40
	v_dual_cndmask_b32 v3, v7, v3 :: v_dual_cndmask_b32 v0, v1, v0
	s_delay_alu instid0(VALU_DEP_2) | instskip(NEXT) | instid1(VALU_DEP_2)
	v_and_b32_e32 v1, 0x80000000, v2
	v_lshl_add_u32 v2, v3, 23, 0x3b800000
	s_delay_alu instid0(VALU_DEP_3) | instskip(NEXT) | instid1(VALU_DEP_1)
	v_lshlrev_b32_e32 v0, 20, v0
	v_or3_b32 v0, v1, v2, v0
	s_delay_alu instid0(VALU_DEP_1)
	v_cvt_f64_f32_e32 v[0:1], v0
.LBB134_898:
	s_or_b32 exec_lo, exec_lo, s36
.LBB134_899:
	v_mov_b64_e32 v[2:3], 0
	s_mov_b32 s35, -1
.LBB134_900:
	s_mov_b32 s36, 0
.LBB134_901:
	s_delay_alu instid0(SALU_CYCLE_1)
	s_and_b32 vcc_lo, exec_lo, s36
	s_cbranch_vccz .LBB134_937
; %bb.902:
	s_cmp_gt_i32 s34, 22
	s_cbranch_scc0 .LBB134_912
; %bb.903:
	s_cmp_lt_i32 s34, 24
	s_cbranch_scc1 .LBB134_915
; %bb.904:
	s_cmp_gt_i32 s34, 24
	s_cbranch_scc0 .LBB134_916
; %bb.905:
	global_load_u8 v2, v[4:5], off
	s_mov_b32 s35, 0
	s_mov_b32 s36, exec_lo
	s_wait_loadcnt 0x0
	v_cmpx_lt_i16_e32 0x7f, v2
	s_xor_b32 s36, exec_lo, s36
	s_cbranch_execz .LBB134_928
; %bb.906:
	s_mov_b32 s35, -1
	s_mov_b32 s37, exec_lo
	v_cmpx_eq_u16_e32 0x80, v2
; %bb.907:
	s_xor_b32 s35, exec_lo, -1
; %bb.908:
	s_or_b32 exec_lo, exec_lo, s37
	s_delay_alu instid0(SALU_CYCLE_1)
	s_and_b32 s35, s35, exec_lo
	s_or_saveexec_b32 s36, s36
	v_mov_b64_e32 v[0:1], 0x7ff8000020000000
	s_xor_b32 exec_lo, exec_lo, s36
	s_cbranch_execnz .LBB134_929
.LBB134_909:
	s_or_b32 exec_lo, exec_lo, s36
	s_and_saveexec_b32 s36, s35
	s_cbranch_execz .LBB134_911
.LBB134_910:
	v_and_b32_e32 v0, 0xffff, v2
	s_delay_alu instid0(VALU_DEP_1) | instskip(SKIP_1) | instid1(VALU_DEP_2)
	v_and_b32_e32 v1, 3, v0
	v_bfe_u32 v7, v0, 2, 5
	v_clz_i32_u32_e32 v3, v1
	s_delay_alu instid0(VALU_DEP_2) | instskip(NEXT) | instid1(VALU_DEP_2)
	v_cmp_eq_u32_e32 vcc_lo, 0, v7
	v_min_u32_e32 v3, 32, v3
	s_delay_alu instid0(VALU_DEP_1) | instskip(NEXT) | instid1(VALU_DEP_1)
	v_subrev_nc_u32_e32 v6, 29, v3
	v_dual_lshlrev_b32 v0, v6, v0 :: v_dual_sub_nc_u32 v3, 30, v3
	s_delay_alu instid0(VALU_DEP_1) | instskip(NEXT) | instid1(VALU_DEP_1)
	v_dual_lshlrev_b32 v2, 24, v2 :: v_dual_bitop2_b32 v0, 3, v0 bitop3:0x40
	v_dual_cndmask_b32 v3, v7, v3 :: v_dual_cndmask_b32 v0, v1, v0
	s_delay_alu instid0(VALU_DEP_2) | instskip(NEXT) | instid1(VALU_DEP_2)
	v_and_b32_e32 v1, 0x80000000, v2
	v_lshl_add_u32 v2, v3, 23, 0x37800000
	s_delay_alu instid0(VALU_DEP_3) | instskip(NEXT) | instid1(VALU_DEP_1)
	v_lshlrev_b32_e32 v0, 21, v0
	v_or3_b32 v0, v1, v2, v0
	s_delay_alu instid0(VALU_DEP_1)
	v_cvt_f64_f32_e32 v[0:1], v0
.LBB134_911:
	s_or_b32 exec_lo, exec_lo, s36
	s_mov_b32 s35, 0
	s_branch .LBB134_917
.LBB134_912:
	s_mov_b32 s36, -1
                                        ; implicit-def: $vgpr0_vgpr1
	s_branch .LBB134_923
.LBB134_913:
	s_or_saveexec_b32 s36, s36
	v_mov_b64_e32 v[0:1], 0x7ff8000020000000
	s_xor_b32 exec_lo, exec_lo, s36
	s_cbranch_execz .LBB134_896
.LBB134_914:
	v_cmp_ne_u16_e32 vcc_lo, 0, v2
	v_mov_b64_e32 v[0:1], 0
	s_and_not1_b32 s35, s35, exec_lo
	s_and_b32 s37, vcc_lo, exec_lo
	s_delay_alu instid0(SALU_CYCLE_1)
	s_or_b32 s35, s35, s37
	s_or_b32 exec_lo, exec_lo, s36
	s_and_saveexec_b32 s36, s35
	s_cbranch_execnz .LBB134_897
	s_branch .LBB134_898
.LBB134_915:
	s_mov_b32 s35, -1
                                        ; implicit-def: $vgpr0_vgpr1
	s_branch .LBB134_920
.LBB134_916:
	s_mov_b32 s35, -1
                                        ; implicit-def: $vgpr0_vgpr1
.LBB134_917:
	s_delay_alu instid0(SALU_CYCLE_1)
	s_and_b32 vcc_lo, exec_lo, s35
	s_cbranch_vccz .LBB134_919
; %bb.918:
	global_load_u8 v0, v[4:5], off
	s_wait_loadcnt 0x0
	v_lshlrev_b32_e32 v0, 24, v0
	s_delay_alu instid0(VALU_DEP_1) | instskip(NEXT) | instid1(VALU_DEP_1)
	v_and_b32_e32 v1, 0x7f000000, v0
	v_clz_i32_u32_e32 v2, v1
	v_cmp_ne_u32_e32 vcc_lo, 0, v1
	v_add_nc_u32_e32 v6, 0x1000000, v1
	s_delay_alu instid0(VALU_DEP_3) | instskip(NEXT) | instid1(VALU_DEP_1)
	v_min_u32_e32 v2, 32, v2
	v_sub_nc_u32_e64 v2, v2, 4 clamp
	s_delay_alu instid0(VALU_DEP_1) | instskip(NEXT) | instid1(VALU_DEP_1)
	v_dual_lshlrev_b32 v3, v2, v1 :: v_dual_lshlrev_b32 v2, 23, v2
	v_lshrrev_b32_e32 v3, 4, v3
	s_delay_alu instid0(VALU_DEP_1) | instskip(SKIP_1) | instid1(VALU_DEP_2)
	v_sub_nc_u32_e32 v2, v3, v2
	v_ashrrev_i32_e32 v3, 8, v6
	v_add_nc_u32_e32 v2, 0x3c000000, v2
	s_delay_alu instid0(VALU_DEP_1) | instskip(NEXT) | instid1(VALU_DEP_1)
	v_and_or_b32 v2, 0x7f800000, v3, v2
	v_cndmask_b32_e32 v1, 0, v2, vcc_lo
	s_delay_alu instid0(VALU_DEP_1) | instskip(NEXT) | instid1(VALU_DEP_1)
	v_and_or_b32 v0, 0x80000000, v0, v1
	v_cvt_f64_f32_e32 v[0:1], v0
.LBB134_919:
	s_mov_b32 s35, 0
.LBB134_920:
	s_delay_alu instid0(SALU_CYCLE_1)
	s_and_not1_b32 vcc_lo, exec_lo, s35
	s_cbranch_vccnz .LBB134_922
; %bb.921:
	global_load_u8 v0, v[4:5], off
	s_wait_loadcnt 0x0
	v_lshlrev_b32_e32 v1, 25, v0
	v_lshlrev_b16 v0, 8, v0
	s_delay_alu instid0(VALU_DEP_1) | instskip(SKIP_1) | instid1(VALU_DEP_2)
	v_and_or_b32 v3, 0x7f00, v0, 0.5
	v_bfe_i32 v0, v0, 0, 16
	v_dual_add_f32 v3, -0.5, v3 :: v_dual_lshrrev_b32 v2, 4, v1
	v_cmp_gt_u32_e32 vcc_lo, 0x8000000, v1
	s_delay_alu instid0(VALU_DEP_2) | instskip(NEXT) | instid1(VALU_DEP_1)
	v_or_b32_e32 v2, 0x70000000, v2
	v_mul_f32_e32 v2, 0x7800000, v2
	s_delay_alu instid0(VALU_DEP_1) | instskip(NEXT) | instid1(VALU_DEP_1)
	v_cndmask_b32_e32 v1, v2, v3, vcc_lo
	v_and_or_b32 v0, 0x80000000, v0, v1
	s_delay_alu instid0(VALU_DEP_1)
	v_cvt_f64_f32_e32 v[0:1], v0
.LBB134_922:
	s_mov_b32 s36, 0
	s_mov_b32 s35, -1
.LBB134_923:
	s_and_not1_b32 vcc_lo, exec_lo, s36
	s_cbranch_vccnz .LBB134_936
; %bb.924:
	s_cmp_gt_i32 s34, 14
	s_cbranch_scc0 .LBB134_927
; %bb.925:
	s_cmp_eq_u32 s34, 15
	s_cbranch_scc0 .LBB134_930
; %bb.926:
	global_load_u16 v0, v[4:5], off
	s_mov_b32 s35, -1
	s_mov_b32 s33, 0
	s_wait_loadcnt 0x0
	v_lshlrev_b32_e32 v0, 16, v0
	s_delay_alu instid0(VALU_DEP_1)
	v_cvt_f64_f32_e32 v[0:1], v0
	s_branch .LBB134_931
.LBB134_927:
	s_mov_b32 s36, -1
                                        ; implicit-def: $vgpr0_vgpr1
	s_branch .LBB134_932
.LBB134_928:
	s_or_saveexec_b32 s36, s36
	v_mov_b64_e32 v[0:1], 0x7ff8000020000000
	s_xor_b32 exec_lo, exec_lo, s36
	s_cbranch_execz .LBB134_909
.LBB134_929:
	v_cmp_ne_u16_e32 vcc_lo, 0, v2
	v_mov_b64_e32 v[0:1], 0
	s_and_not1_b32 s35, s35, exec_lo
	s_and_b32 s37, vcc_lo, exec_lo
	s_delay_alu instid0(SALU_CYCLE_1)
	s_or_b32 s35, s35, s37
	s_or_b32 exec_lo, exec_lo, s36
	s_and_saveexec_b32 s36, s35
	s_cbranch_execnz .LBB134_910
	s_branch .LBB134_911
.LBB134_930:
	s_mov_b32 s33, -1
                                        ; implicit-def: $vgpr0_vgpr1
.LBB134_931:
	s_mov_b32 s36, 0
.LBB134_932:
	s_delay_alu instid0(SALU_CYCLE_1)
	s_and_b32 vcc_lo, exec_lo, s36
	s_cbranch_vccz .LBB134_936
; %bb.933:
	s_cmp_eq_u32 s34, 11
	s_cbranch_scc0 .LBB134_935
; %bb.934:
	global_load_u8 v0, v[4:5], off
	s_mov_b32 s33, 0
	s_mov_b32 s35, -1
	v_mov_b64_e32 v[2:3], 0
	s_wait_loadcnt 0x0
	v_cmp_ne_u16_e32 vcc_lo, 0, v0
	v_mov_b32_e32 v0, 0
	v_cndmask_b32_e64 v1, 0, 0x3ff00000, vcc_lo
	s_branch .LBB134_937
.LBB134_935:
	s_mov_b32 s33, -1
                                        ; implicit-def: $vgpr0_vgpr1
.LBB134_936:
	v_mov_b64_e32 v[2:3], 0
.LBB134_937:
	s_mov_b32 s34, 0
.LBB134_938:
	s_delay_alu instid0(SALU_CYCLE_1)
	s_and_b32 vcc_lo, exec_lo, s34
	s_cbranch_vccz .LBB134_989
; %bb.939:
	s_and_b32 s0, 0xffff, s0
	s_delay_alu instid0(SALU_CYCLE_1)
	s_cmp_lt_i32 s0, 5
	s_cbranch_scc1 .LBB134_944
; %bb.940:
	s_cmp_lt_i32 s0, 8
	s_cbranch_scc1 .LBB134_945
; %bb.941:
	;; [unrolled: 3-line block ×3, first 2 shown]
	s_cmp_gt_i32 s0, 9
	s_cbranch_scc0 .LBB134_947
; %bb.943:
	global_load_b128 v[0:3], v[4:5], off
	s_mov_b32 s34, 0
	s_branch .LBB134_948
.LBB134_944:
	s_mov_b32 s34, -1
                                        ; implicit-def: $vgpr2_vgpr3
	s_branch .LBB134_967
.LBB134_945:
	s_mov_b32 s34, -1
                                        ; implicit-def: $vgpr2_vgpr3
	s_branch .LBB134_954
.LBB134_946:
	s_mov_b32 s34, -1
                                        ; implicit-def: $vgpr2_vgpr3
	s_branch .LBB134_951
.LBB134_947:
	s_mov_b32 s34, -1
                                        ; implicit-def: $vgpr2_vgpr3
.LBB134_948:
	s_delay_alu instid0(SALU_CYCLE_1)
	s_and_not1_b32 vcc_lo, exec_lo, s34
	s_cbranch_vccnz .LBB134_950
; %bb.949:
	s_wait_loadcnt 0x0
	global_load_b64 v[2:3], v[4:5], off
	s_wait_loadcnt 0x0
	v_cvt_f64_f32_e32 v[0:1], v2
	v_cvt_f64_f32_e32 v[2:3], v3
.LBB134_950:
	s_mov_b32 s34, 0
.LBB134_951:
	s_delay_alu instid0(SALU_CYCLE_1)
	s_and_not1_b32 vcc_lo, exec_lo, s34
	s_cbranch_vccnz .LBB134_953
; %bb.952:
	s_wait_loadcnt 0x0
	global_load_b32 v0, v[4:5], off
	s_wait_loadcnt 0x0
	v_lshrrev_b32_e32 v1, 16, v0
	v_cvt_f32_f16_e32 v0, v0
	s_delay_alu instid0(VALU_DEP_2) | instskip(NEXT) | instid1(VALU_DEP_2)
	v_cvt_f32_f16_e32 v2, v1
	v_cvt_f64_f32_e32 v[0:1], v0
	s_delay_alu instid0(VALU_DEP_2)
	v_cvt_f64_f32_e32 v[2:3], v2
.LBB134_953:
	s_mov_b32 s34, 0
.LBB134_954:
	s_delay_alu instid0(SALU_CYCLE_1)
	s_and_not1_b32 vcc_lo, exec_lo, s34
	s_cbranch_vccnz .LBB134_966
; %bb.955:
	s_cmp_lt_i32 s0, 6
	s_cbranch_scc1 .LBB134_958
; %bb.956:
	s_cmp_gt_i32 s0, 6
	s_cbranch_scc0 .LBB134_959
; %bb.957:
	s_wait_loadcnt 0x0
	global_load_b64 v[0:1], v[4:5], off
	s_mov_b32 s34, 0
	s_branch .LBB134_960
.LBB134_958:
	s_mov_b32 s34, -1
                                        ; implicit-def: $vgpr0_vgpr1
	s_branch .LBB134_963
.LBB134_959:
	s_mov_b32 s34, -1
                                        ; implicit-def: $vgpr0_vgpr1
.LBB134_960:
	s_delay_alu instid0(SALU_CYCLE_1)
	s_and_not1_b32 vcc_lo, exec_lo, s34
	s_cbranch_vccnz .LBB134_962
; %bb.961:
	s_wait_loadcnt 0x0
	global_load_b32 v0, v[4:5], off
	s_wait_loadcnt 0x0
	v_cvt_f64_f32_e32 v[0:1], v0
.LBB134_962:
	s_mov_b32 s34, 0
.LBB134_963:
	s_delay_alu instid0(SALU_CYCLE_1)
	s_and_not1_b32 vcc_lo, exec_lo, s34
	s_cbranch_vccnz .LBB134_965
; %bb.964:
	s_wait_loadcnt 0x0
	global_load_u16 v0, v[4:5], off
	s_wait_loadcnt 0x0
	v_cvt_f32_f16_e32 v0, v0
	s_delay_alu instid0(VALU_DEP_1)
	v_cvt_f64_f32_e32 v[0:1], v0
.LBB134_965:
	s_wait_loadcnt 0x0
	v_mov_b64_e32 v[2:3], 0
.LBB134_966:
	s_mov_b32 s34, 0
.LBB134_967:
	s_delay_alu instid0(SALU_CYCLE_1)
	s_and_not1_b32 vcc_lo, exec_lo, s34
	s_cbranch_vccnz .LBB134_988
; %bb.968:
	s_cmp_lt_i32 s0, 2
	s_cbranch_scc1 .LBB134_972
; %bb.969:
	s_cmp_lt_i32 s0, 3
	s_cbranch_scc1 .LBB134_973
; %bb.970:
	s_cmp_gt_i32 s0, 3
	s_cbranch_scc0 .LBB134_974
; %bb.971:
	s_wait_loadcnt 0x0
	global_load_b64 v[0:1], v[4:5], off
	s_mov_b32 s34, 0
	s_wait_loadcnt 0x0
	v_cvt_f64_i32_e32 v[2:3], v1
	v_cvt_f64_u32_e32 v[0:1], v0
	s_delay_alu instid0(VALU_DEP_2) | instskip(NEXT) | instid1(VALU_DEP_1)
	v_ldexp_f64 v[2:3], v[2:3], 32
	v_add_f64_e32 v[0:1], v[2:3], v[0:1]
	s_branch .LBB134_975
.LBB134_972:
	s_mov_b32 s34, -1
                                        ; implicit-def: $vgpr0_vgpr1
	s_branch .LBB134_981
.LBB134_973:
	s_mov_b32 s34, -1
                                        ; implicit-def: $vgpr0_vgpr1
	s_branch .LBB134_978
.LBB134_974:
	s_mov_b32 s34, -1
                                        ; implicit-def: $vgpr0_vgpr1
.LBB134_975:
	s_delay_alu instid0(SALU_CYCLE_1)
	s_and_not1_b32 vcc_lo, exec_lo, s34
	s_cbranch_vccnz .LBB134_977
; %bb.976:
	s_wait_loadcnt 0x0
	global_load_b32 v0, v[4:5], off
	s_wait_loadcnt 0x0
	v_cvt_f64_i32_e32 v[0:1], v0
.LBB134_977:
	s_mov_b32 s34, 0
.LBB134_978:
	s_delay_alu instid0(SALU_CYCLE_1)
	s_and_not1_b32 vcc_lo, exec_lo, s34
	s_cbranch_vccnz .LBB134_980
; %bb.979:
	s_wait_loadcnt 0x0
	global_load_i16 v0, v[4:5], off
	s_wait_loadcnt 0x0
	v_cvt_f64_i32_e32 v[0:1], v0
.LBB134_980:
	s_mov_b32 s34, 0
.LBB134_981:
	s_delay_alu instid0(SALU_CYCLE_1)
	s_and_not1_b32 vcc_lo, exec_lo, s34
	s_cbranch_vccnz .LBB134_987
; %bb.982:
	s_cmp_gt_i32 s0, 0
	s_mov_b32 s0, 0
	s_cbranch_scc0 .LBB134_984
; %bb.983:
	s_wait_loadcnt 0x0
	global_load_i8 v0, v[4:5], off
	s_wait_loadcnt 0x0
	v_cvt_f64_i32_e32 v[0:1], v0
	s_branch .LBB134_985
.LBB134_984:
	s_mov_b32 s0, -1
                                        ; implicit-def: $vgpr0_vgpr1
.LBB134_985:
	s_delay_alu instid0(SALU_CYCLE_1)
	s_and_not1_b32 vcc_lo, exec_lo, s0
	s_cbranch_vccnz .LBB134_987
; %bb.986:
	s_wait_loadcnt 0x0
	global_load_u8 v0, v[4:5], off
	s_wait_loadcnt 0x0
	v_cvt_f64_u32_e32 v[0:1], v0
.LBB134_987:
	s_wait_loadcnt 0x0
	v_mov_b64_e32 v[2:3], 0
.LBB134_988:
	s_mov_b32 s35, -1
.LBB134_989:
	s_mov_b32 s34, 0
	s_mov_b32 s0, s27
	s_and_not1_b32 vcc_lo, exec_lo, s35
	s_mov_b32 s35, s28
	s_mov_b32 s37, 0
	s_cbranch_vccnz .LBB134_1249
; %bb.990:
	s_wait_xcnt 0x0
	v_mul_lo_u32 v4, v34, s13
	s_and_b32 s0, 0xffff, s1
	s_delay_alu instid0(SALU_CYCLE_1) | instskip(NEXT) | instid1(VALU_DEP_1)
	s_cmp_lt_i32 s0, 11
	v_ashrrev_i32_e32 v5, 31, v4
	s_delay_alu instid0(VALU_DEP_1)
	v_add_nc_u64_e32 v[8:9], s[10:11], v[4:5]
	s_cbranch_scc1 .LBB134_997
; %bb.991:
	s_cmp_gt_i32 s0, 25
	s_cbranch_scc0 .LBB134_998
; %bb.992:
	s_cmp_gt_i32 s0, 28
	s_cbranch_scc0 .LBB134_999
	;; [unrolled: 3-line block ×4, first 2 shown]
; %bb.995:
	s_cmp_eq_u32 s0, 46
	s_cbranch_scc0 .LBB134_1004
; %bb.996:
	global_load_b32 v4, v[8:9], off
	s_mov_b32 s36, -1
	s_mov_b32 s35, 0
	s_wait_loadcnt 0x0
	v_lshlrev_b32_e32 v5, 16, v4
	v_and_b32_e32 v6, 0xffff0000, v4
	s_delay_alu instid0(VALU_DEP_2) | instskip(NEXT) | instid1(VALU_DEP_2)
	v_cvt_f64_f32_e32 v[4:5], v5
	v_cvt_f64_f32_e32 v[6:7], v6
	s_branch .LBB134_1006
.LBB134_997:
	s_mov_b32 s37, -1
	s_mov_b32 s36, 0
	s_mov_b32 s35, s28
                                        ; implicit-def: $vgpr6_vgpr7
	s_branch .LBB134_1074
.LBB134_998:
	s_mov_b32 s37, -1
	s_mov_b32 s36, 0
	s_mov_b32 s35, s28
                                        ; implicit-def: $vgpr6_vgpr7
	s_branch .LBB134_1037
.LBB134_999:
	s_mov_b32 s37, -1
	s_mov_b32 s36, 0
	s_mov_b32 s35, s28
                                        ; implicit-def: $vgpr6_vgpr7
	s_branch .LBB134_1018
.LBB134_1000:
	s_mov_b32 s37, -1
	s_mov_b32 s36, 0
	s_mov_b32 s35, s28
                                        ; implicit-def: $vgpr6_vgpr7
	s_branch .LBB134_1012
.LBB134_1001:
	s_mov_b32 s37, -1
	s_mov_b32 s36, 0
	s_mov_b32 s35, s28
	s_branch .LBB134_1005
.LBB134_1002:
	s_and_not1_saveexec_b32 s35, s35
	s_cbranch_execz .LBB134_753
.LBB134_1003:
	v_add_f32_e64 v7, 0x42800000, |v6|
	s_and_not1_b32 s34, s34, exec_lo
	s_delay_alu instid0(VALU_DEP_1) | instskip(NEXT) | instid1(VALU_DEP_1)
	v_and_b32_e32 v7, 0xff, v7
	v_cmp_ne_u32_e32 vcc_lo, 0, v7
	s_and_b32 s36, vcc_lo, exec_lo
	s_delay_alu instid0(SALU_CYCLE_1)
	s_or_b32 s34, s34, s36
	s_or_b32 exec_lo, exec_lo, s35
	v_mov_b32_e32 v8, 0
	s_and_saveexec_b32 s35, s34
	s_cbranch_execnz .LBB134_754
	s_branch .LBB134_755
.LBB134_1004:
	s_mov_b32 s35, -1
	s_mov_b32 s36, 0
.LBB134_1005:
                                        ; implicit-def: $vgpr6_vgpr7
.LBB134_1006:
	s_and_b32 vcc_lo, exec_lo, s37
	s_cbranch_vccz .LBB134_1011
; %bb.1007:
	s_cmp_eq_u32 s0, 44
	s_cbranch_scc0 .LBB134_1009
; %bb.1008:
	global_load_u8 v6, v[8:9], off
	s_mov_b32 s35, 0
	s_mov_b32 s36, -1
	s_wait_loadcnt 0x0
	v_cmp_ne_u32_e32 vcc_lo, 0xff, v6
	v_lshlrev_b32_e32 v4, 23, v6
	s_delay_alu instid0(VALU_DEP_1) | instskip(NEXT) | instid1(VALU_DEP_1)
	v_cvt_f64_f32_e32 v[4:5], v4
	v_cndmask_b32_e32 v4, 0x20000000, v4, vcc_lo
	s_delay_alu instid0(VALU_DEP_2) | instskip(SKIP_1) | instid1(VALU_DEP_2)
	v_cndmask_b32_e32 v5, 0x7ff80000, v5, vcc_lo
	v_cmp_ne_u32_e32 vcc_lo, 0, v6
	v_cndmask_b32_e32 v5, 0x38000000, v5, vcc_lo
	s_delay_alu instid0(VALU_DEP_4)
	v_cndmask_b32_e32 v4, 0, v4, vcc_lo
	s_branch .LBB134_1010
.LBB134_1009:
	s_mov_b32 s35, -1
                                        ; implicit-def: $vgpr4_vgpr5
.LBB134_1010:
	v_mov_b64_e32 v[6:7], 0
.LBB134_1011:
	s_mov_b32 s37, 0
.LBB134_1012:
	s_delay_alu instid0(SALU_CYCLE_1)
	s_and_b32 vcc_lo, exec_lo, s37
	s_cbranch_vccz .LBB134_1017
; %bb.1013:
	s_cmp_eq_u32 s0, 29
	s_cbranch_scc0 .LBB134_1015
; %bb.1014:
	global_load_b64 v[4:5], v[8:9], off
	s_mov_b32 s36, -1
	s_mov_b32 s35, 0
	s_wait_loadcnt 0x0
	v_cvt_f64_u32_e32 v[6:7], v5
	v_cvt_f64_u32_e32 v[4:5], v4
	s_delay_alu instid0(VALU_DEP_2) | instskip(NEXT) | instid1(VALU_DEP_1)
	v_ldexp_f64 v[6:7], v[6:7], 32
	v_add_f64_e32 v[4:5], v[6:7], v[4:5]
	s_branch .LBB134_1016
.LBB134_1015:
	s_mov_b32 s35, -1
                                        ; implicit-def: $vgpr4_vgpr5
.LBB134_1016:
	v_mov_b64_e32 v[6:7], 0
.LBB134_1017:
	s_mov_b32 s37, 0
.LBB134_1018:
	s_delay_alu instid0(SALU_CYCLE_1)
	s_and_b32 vcc_lo, exec_lo, s37
	s_cbranch_vccz .LBB134_1036
; %bb.1019:
	s_cmp_lt_i32 s0, 27
	s_cbranch_scc1 .LBB134_1022
; %bb.1020:
	s_cmp_gt_i32 s0, 27
	s_cbranch_scc0 .LBB134_1023
; %bb.1021:
	global_load_b32 v4, v[8:9], off
	s_mov_b32 s36, 0
	s_wait_loadcnt 0x0
	v_cvt_f64_u32_e32 v[4:5], v4
	s_branch .LBB134_1024
.LBB134_1022:
	s_mov_b32 s36, -1
                                        ; implicit-def: $vgpr4_vgpr5
	s_branch .LBB134_1027
.LBB134_1023:
	s_mov_b32 s36, -1
                                        ; implicit-def: $vgpr4_vgpr5
.LBB134_1024:
	s_delay_alu instid0(SALU_CYCLE_1)
	s_and_not1_b32 vcc_lo, exec_lo, s36
	s_cbranch_vccnz .LBB134_1026
; %bb.1025:
	global_load_u16 v4, v[8:9], off
	s_wait_loadcnt 0x0
	v_cvt_f64_u32_e32 v[4:5], v4
.LBB134_1026:
	s_mov_b32 s36, 0
.LBB134_1027:
	s_delay_alu instid0(SALU_CYCLE_1)
	s_and_not1_b32 vcc_lo, exec_lo, s36
	s_cbranch_vccnz .LBB134_1035
; %bb.1028:
	global_load_u8 v6, v[8:9], off
	s_mov_b32 s36, 0
	s_mov_b32 s37, exec_lo
	s_wait_loadcnt 0x0
	v_cmpx_lt_i16_e32 0x7f, v6
	s_xor_b32 s37, exec_lo, s37
	s_cbranch_execz .LBB134_1049
; %bb.1029:
	s_mov_b32 s36, -1
	s_mov_b32 s38, exec_lo
	v_cmpx_eq_u16_e32 0x80, v6
; %bb.1030:
	s_xor_b32 s36, exec_lo, -1
; %bb.1031:
	s_or_b32 exec_lo, exec_lo, s38
	s_delay_alu instid0(SALU_CYCLE_1)
	s_and_b32 s36, s36, exec_lo
	s_or_saveexec_b32 s37, s37
	v_mov_b64_e32 v[4:5], 0x7ff8000020000000
	s_xor_b32 exec_lo, exec_lo, s37
	s_cbranch_execnz .LBB134_1050
.LBB134_1032:
	s_or_b32 exec_lo, exec_lo, s37
	s_and_saveexec_b32 s37, s36
	s_cbranch_execz .LBB134_1034
.LBB134_1033:
	v_and_b32_e32 v4, 0xffff, v6
	s_delay_alu instid0(VALU_DEP_1) | instskip(SKIP_1) | instid1(VALU_DEP_2)
	v_and_b32_e32 v5, 7, v4
	v_bfe_u32 v11, v4, 3, 4
	v_clz_i32_u32_e32 v7, v5
	s_delay_alu instid0(VALU_DEP_2) | instskip(NEXT) | instid1(VALU_DEP_2)
	v_cmp_eq_u32_e32 vcc_lo, 0, v11
	v_min_u32_e32 v7, 32, v7
	s_delay_alu instid0(VALU_DEP_1) | instskip(NEXT) | instid1(VALU_DEP_1)
	v_subrev_nc_u32_e32 v10, 28, v7
	v_dual_lshlrev_b32 v4, v10, v4 :: v_dual_sub_nc_u32 v7, 29, v7
	s_delay_alu instid0(VALU_DEP_1) | instskip(NEXT) | instid1(VALU_DEP_1)
	v_dual_lshlrev_b32 v6, 24, v6 :: v_dual_bitop2_b32 v4, 7, v4 bitop3:0x40
	v_dual_cndmask_b32 v7, v11, v7 :: v_dual_cndmask_b32 v4, v5, v4
	s_delay_alu instid0(VALU_DEP_2) | instskip(NEXT) | instid1(VALU_DEP_2)
	v_and_b32_e32 v5, 0x80000000, v6
	v_lshl_add_u32 v6, v7, 23, 0x3b800000
	s_delay_alu instid0(VALU_DEP_3) | instskip(NEXT) | instid1(VALU_DEP_1)
	v_lshlrev_b32_e32 v4, 20, v4
	v_or3_b32 v4, v5, v6, v4
	s_delay_alu instid0(VALU_DEP_1)
	v_cvt_f64_f32_e32 v[4:5], v4
.LBB134_1034:
	s_or_b32 exec_lo, exec_lo, s37
.LBB134_1035:
	v_mov_b64_e32 v[6:7], 0
	s_mov_b32 s36, -1
.LBB134_1036:
	s_mov_b32 s37, 0
.LBB134_1037:
	s_delay_alu instid0(SALU_CYCLE_1)
	s_and_b32 vcc_lo, exec_lo, s37
	s_cbranch_vccz .LBB134_1073
; %bb.1038:
	s_cmp_gt_i32 s0, 22
	s_cbranch_scc0 .LBB134_1048
; %bb.1039:
	s_cmp_lt_i32 s0, 24
	s_cbranch_scc1 .LBB134_1051
; %bb.1040:
	s_cmp_gt_i32 s0, 24
	s_cbranch_scc0 .LBB134_1052
; %bb.1041:
	global_load_u8 v6, v[8:9], off
	s_mov_b32 s36, 0
	s_mov_b32 s37, exec_lo
	s_wait_loadcnt 0x0
	v_cmpx_lt_i16_e32 0x7f, v6
	s_xor_b32 s37, exec_lo, s37
	s_cbranch_execz .LBB134_1064
; %bb.1042:
	s_mov_b32 s36, -1
	s_mov_b32 s38, exec_lo
	v_cmpx_eq_u16_e32 0x80, v6
; %bb.1043:
	s_xor_b32 s36, exec_lo, -1
; %bb.1044:
	s_or_b32 exec_lo, exec_lo, s38
	s_delay_alu instid0(SALU_CYCLE_1)
	s_and_b32 s36, s36, exec_lo
	s_or_saveexec_b32 s37, s37
	v_mov_b64_e32 v[4:5], 0x7ff8000020000000
	s_xor_b32 exec_lo, exec_lo, s37
	s_cbranch_execnz .LBB134_1065
.LBB134_1045:
	s_or_b32 exec_lo, exec_lo, s37
	s_and_saveexec_b32 s37, s36
	s_cbranch_execz .LBB134_1047
.LBB134_1046:
	v_and_b32_e32 v4, 0xffff, v6
	s_delay_alu instid0(VALU_DEP_1) | instskip(SKIP_1) | instid1(VALU_DEP_2)
	v_and_b32_e32 v5, 3, v4
	v_bfe_u32 v11, v4, 2, 5
	v_clz_i32_u32_e32 v7, v5
	s_delay_alu instid0(VALU_DEP_2) | instskip(NEXT) | instid1(VALU_DEP_2)
	v_cmp_eq_u32_e32 vcc_lo, 0, v11
	v_min_u32_e32 v7, 32, v7
	s_delay_alu instid0(VALU_DEP_1) | instskip(NEXT) | instid1(VALU_DEP_1)
	v_subrev_nc_u32_e32 v10, 29, v7
	v_dual_lshlrev_b32 v4, v10, v4 :: v_dual_sub_nc_u32 v7, 30, v7
	s_delay_alu instid0(VALU_DEP_1) | instskip(NEXT) | instid1(VALU_DEP_1)
	v_dual_lshlrev_b32 v6, 24, v6 :: v_dual_bitop2_b32 v4, 3, v4 bitop3:0x40
	v_dual_cndmask_b32 v7, v11, v7 :: v_dual_cndmask_b32 v4, v5, v4
	s_delay_alu instid0(VALU_DEP_2) | instskip(NEXT) | instid1(VALU_DEP_2)
	v_and_b32_e32 v5, 0x80000000, v6
	v_lshl_add_u32 v6, v7, 23, 0x37800000
	s_delay_alu instid0(VALU_DEP_3) | instskip(NEXT) | instid1(VALU_DEP_1)
	v_lshlrev_b32_e32 v4, 21, v4
	v_or3_b32 v4, v5, v6, v4
	s_delay_alu instid0(VALU_DEP_1)
	v_cvt_f64_f32_e32 v[4:5], v4
.LBB134_1047:
	s_or_b32 exec_lo, exec_lo, s37
	s_mov_b32 s36, 0
	s_branch .LBB134_1053
.LBB134_1048:
	s_mov_b32 s37, -1
                                        ; implicit-def: $vgpr4_vgpr5
	s_branch .LBB134_1059
.LBB134_1049:
	s_or_saveexec_b32 s37, s37
	v_mov_b64_e32 v[4:5], 0x7ff8000020000000
	s_xor_b32 exec_lo, exec_lo, s37
	s_cbranch_execz .LBB134_1032
.LBB134_1050:
	v_cmp_ne_u16_e32 vcc_lo, 0, v6
	v_mov_b64_e32 v[4:5], 0
	s_and_not1_b32 s36, s36, exec_lo
	s_and_b32 s38, vcc_lo, exec_lo
	s_delay_alu instid0(SALU_CYCLE_1)
	s_or_b32 s36, s36, s38
	s_or_b32 exec_lo, exec_lo, s37
	s_and_saveexec_b32 s37, s36
	s_cbranch_execnz .LBB134_1033
	s_branch .LBB134_1034
.LBB134_1051:
	s_mov_b32 s36, -1
                                        ; implicit-def: $vgpr4_vgpr5
	s_branch .LBB134_1056
.LBB134_1052:
	s_mov_b32 s36, -1
                                        ; implicit-def: $vgpr4_vgpr5
.LBB134_1053:
	s_delay_alu instid0(SALU_CYCLE_1)
	s_and_b32 vcc_lo, exec_lo, s36
	s_cbranch_vccz .LBB134_1055
; %bb.1054:
	global_load_u8 v4, v[8:9], off
	s_wait_loadcnt 0x0
	v_lshlrev_b32_e32 v4, 24, v4
	s_delay_alu instid0(VALU_DEP_1) | instskip(NEXT) | instid1(VALU_DEP_1)
	v_and_b32_e32 v5, 0x7f000000, v4
	v_clz_i32_u32_e32 v6, v5
	v_cmp_ne_u32_e32 vcc_lo, 0, v5
	v_add_nc_u32_e32 v10, 0x1000000, v5
	s_delay_alu instid0(VALU_DEP_3) | instskip(NEXT) | instid1(VALU_DEP_1)
	v_min_u32_e32 v6, 32, v6
	v_sub_nc_u32_e64 v6, v6, 4 clamp
	s_delay_alu instid0(VALU_DEP_1) | instskip(NEXT) | instid1(VALU_DEP_1)
	v_dual_lshlrev_b32 v7, v6, v5 :: v_dual_lshlrev_b32 v6, 23, v6
	v_lshrrev_b32_e32 v7, 4, v7
	s_delay_alu instid0(VALU_DEP_1) | instskip(SKIP_1) | instid1(VALU_DEP_2)
	v_sub_nc_u32_e32 v6, v7, v6
	v_ashrrev_i32_e32 v7, 8, v10
	v_add_nc_u32_e32 v6, 0x3c000000, v6
	s_delay_alu instid0(VALU_DEP_1) | instskip(NEXT) | instid1(VALU_DEP_1)
	v_and_or_b32 v6, 0x7f800000, v7, v6
	v_cndmask_b32_e32 v5, 0, v6, vcc_lo
	s_delay_alu instid0(VALU_DEP_1) | instskip(NEXT) | instid1(VALU_DEP_1)
	v_and_or_b32 v4, 0x80000000, v4, v5
	v_cvt_f64_f32_e32 v[4:5], v4
.LBB134_1055:
	s_mov_b32 s36, 0
.LBB134_1056:
	s_delay_alu instid0(SALU_CYCLE_1)
	s_and_not1_b32 vcc_lo, exec_lo, s36
	s_cbranch_vccnz .LBB134_1058
; %bb.1057:
	global_load_u8 v4, v[8:9], off
	s_wait_loadcnt 0x0
	v_lshlrev_b32_e32 v5, 25, v4
	v_lshlrev_b16 v4, 8, v4
	s_delay_alu instid0(VALU_DEP_1) | instskip(SKIP_1) | instid1(VALU_DEP_2)
	v_and_or_b32 v7, 0x7f00, v4, 0.5
	v_bfe_i32 v4, v4, 0, 16
	v_dual_add_f32 v7, -0.5, v7 :: v_dual_lshrrev_b32 v6, 4, v5
	v_cmp_gt_u32_e32 vcc_lo, 0x8000000, v5
	s_delay_alu instid0(VALU_DEP_2) | instskip(NEXT) | instid1(VALU_DEP_1)
	v_or_b32_e32 v6, 0x70000000, v6
	v_mul_f32_e32 v6, 0x7800000, v6
	s_delay_alu instid0(VALU_DEP_1) | instskip(NEXT) | instid1(VALU_DEP_1)
	v_cndmask_b32_e32 v5, v6, v7, vcc_lo
	v_and_or_b32 v4, 0x80000000, v4, v5
	s_delay_alu instid0(VALU_DEP_1)
	v_cvt_f64_f32_e32 v[4:5], v4
.LBB134_1058:
	s_mov_b32 s37, 0
	s_mov_b32 s36, -1
.LBB134_1059:
	s_and_not1_b32 vcc_lo, exec_lo, s37
	s_cbranch_vccnz .LBB134_1072
; %bb.1060:
	s_cmp_gt_i32 s0, 14
	s_cbranch_scc0 .LBB134_1063
; %bb.1061:
	s_cmp_eq_u32 s0, 15
	s_cbranch_scc0 .LBB134_1066
; %bb.1062:
	global_load_u16 v4, v[8:9], off
	s_mov_b32 s36, -1
	s_mov_b32 s35, 0
	s_wait_loadcnt 0x0
	v_lshlrev_b32_e32 v4, 16, v4
	s_delay_alu instid0(VALU_DEP_1)
	v_cvt_f64_f32_e32 v[4:5], v4
	s_branch .LBB134_1067
.LBB134_1063:
	s_mov_b32 s37, -1
                                        ; implicit-def: $vgpr4_vgpr5
	s_branch .LBB134_1068
.LBB134_1064:
	s_or_saveexec_b32 s37, s37
	v_mov_b64_e32 v[4:5], 0x7ff8000020000000
	s_xor_b32 exec_lo, exec_lo, s37
	s_cbranch_execz .LBB134_1045
.LBB134_1065:
	v_cmp_ne_u16_e32 vcc_lo, 0, v6
	v_mov_b64_e32 v[4:5], 0
	s_and_not1_b32 s36, s36, exec_lo
	s_and_b32 s38, vcc_lo, exec_lo
	s_delay_alu instid0(SALU_CYCLE_1)
	s_or_b32 s36, s36, s38
	s_or_b32 exec_lo, exec_lo, s37
	s_and_saveexec_b32 s37, s36
	s_cbranch_execnz .LBB134_1046
	s_branch .LBB134_1047
.LBB134_1066:
	s_mov_b32 s35, -1
                                        ; implicit-def: $vgpr4_vgpr5
.LBB134_1067:
	s_mov_b32 s37, 0
.LBB134_1068:
	s_delay_alu instid0(SALU_CYCLE_1)
	s_and_b32 vcc_lo, exec_lo, s37
	s_cbranch_vccz .LBB134_1072
; %bb.1069:
	s_cmp_eq_u32 s0, 11
	s_cbranch_scc0 .LBB134_1071
; %bb.1070:
	global_load_u8 v4, v[8:9], off
	s_mov_b32 s35, 0
	s_mov_b32 s36, -1
	v_mov_b64_e32 v[6:7], 0
	s_wait_loadcnt 0x0
	v_cmp_ne_u16_e32 vcc_lo, 0, v4
	v_mov_b32_e32 v4, 0
	v_cndmask_b32_e64 v5, 0, 0x3ff00000, vcc_lo
	s_branch .LBB134_1073
.LBB134_1071:
	s_mov_b32 s35, -1
                                        ; implicit-def: $vgpr4_vgpr5
.LBB134_1072:
	v_mov_b64_e32 v[6:7], 0
.LBB134_1073:
	s_mov_b32 s37, 0
.LBB134_1074:
	s_delay_alu instid0(SALU_CYCLE_1)
	s_and_b32 vcc_lo, exec_lo, s37
	s_cbranch_vccz .LBB134_1125
; %bb.1075:
	s_cmp_lt_i32 s0, 5
	s_cbranch_scc1 .LBB134_1080
; %bb.1076:
	s_cmp_lt_i32 s0, 8
	s_cbranch_scc1 .LBB134_1081
	;; [unrolled: 3-line block ×3, first 2 shown]
; %bb.1078:
	s_cmp_gt_i32 s0, 9
	s_cbranch_scc0 .LBB134_1083
; %bb.1079:
	global_load_b128 v[4:7], v[8:9], off
	s_mov_b32 s36, 0
	s_branch .LBB134_1084
.LBB134_1080:
	s_mov_b32 s36, -1
                                        ; implicit-def: $vgpr6_vgpr7
	s_branch .LBB134_1103
.LBB134_1081:
	s_mov_b32 s36, -1
                                        ; implicit-def: $vgpr6_vgpr7
	s_branch .LBB134_1090
.LBB134_1082:
	s_mov_b32 s36, -1
                                        ; implicit-def: $vgpr6_vgpr7
	s_branch .LBB134_1087
.LBB134_1083:
	s_mov_b32 s36, -1
                                        ; implicit-def: $vgpr6_vgpr7
.LBB134_1084:
	s_delay_alu instid0(SALU_CYCLE_1)
	s_and_not1_b32 vcc_lo, exec_lo, s36
	s_cbranch_vccnz .LBB134_1086
; %bb.1085:
	s_wait_loadcnt 0x0
	global_load_b64 v[6:7], v[8:9], off
	s_wait_loadcnt 0x0
	v_cvt_f64_f32_e32 v[4:5], v6
	v_cvt_f64_f32_e32 v[6:7], v7
.LBB134_1086:
	s_mov_b32 s36, 0
.LBB134_1087:
	s_delay_alu instid0(SALU_CYCLE_1)
	s_and_not1_b32 vcc_lo, exec_lo, s36
	s_cbranch_vccnz .LBB134_1089
; %bb.1088:
	s_wait_loadcnt 0x0
	global_load_b32 v4, v[8:9], off
	s_wait_loadcnt 0x0
	v_lshrrev_b32_e32 v5, 16, v4
	v_cvt_f32_f16_e32 v4, v4
	s_delay_alu instid0(VALU_DEP_2) | instskip(NEXT) | instid1(VALU_DEP_2)
	v_cvt_f32_f16_e32 v6, v5
	v_cvt_f64_f32_e32 v[4:5], v4
	s_delay_alu instid0(VALU_DEP_2)
	v_cvt_f64_f32_e32 v[6:7], v6
.LBB134_1089:
	s_mov_b32 s36, 0
.LBB134_1090:
	s_delay_alu instid0(SALU_CYCLE_1)
	s_and_not1_b32 vcc_lo, exec_lo, s36
	s_cbranch_vccnz .LBB134_1102
; %bb.1091:
	s_cmp_lt_i32 s0, 6
	s_cbranch_scc1 .LBB134_1094
; %bb.1092:
	s_cmp_gt_i32 s0, 6
	s_cbranch_scc0 .LBB134_1095
; %bb.1093:
	s_wait_loadcnt 0x0
	global_load_b64 v[4:5], v[8:9], off
	s_mov_b32 s36, 0
	s_branch .LBB134_1096
.LBB134_1094:
	s_mov_b32 s36, -1
                                        ; implicit-def: $vgpr4_vgpr5
	s_branch .LBB134_1099
.LBB134_1095:
	s_mov_b32 s36, -1
                                        ; implicit-def: $vgpr4_vgpr5
.LBB134_1096:
	s_delay_alu instid0(SALU_CYCLE_1)
	s_and_not1_b32 vcc_lo, exec_lo, s36
	s_cbranch_vccnz .LBB134_1098
; %bb.1097:
	s_wait_loadcnt 0x0
	global_load_b32 v4, v[8:9], off
	s_wait_loadcnt 0x0
	v_cvt_f64_f32_e32 v[4:5], v4
.LBB134_1098:
	s_mov_b32 s36, 0
.LBB134_1099:
	s_delay_alu instid0(SALU_CYCLE_1)
	s_and_not1_b32 vcc_lo, exec_lo, s36
	s_cbranch_vccnz .LBB134_1101
; %bb.1100:
	s_wait_loadcnt 0x0
	global_load_u16 v4, v[8:9], off
	s_wait_loadcnt 0x0
	v_cvt_f32_f16_e32 v4, v4
	s_delay_alu instid0(VALU_DEP_1)
	v_cvt_f64_f32_e32 v[4:5], v4
.LBB134_1101:
	s_wait_loadcnt 0x0
	v_mov_b64_e32 v[6:7], 0
.LBB134_1102:
	s_mov_b32 s36, 0
.LBB134_1103:
	s_delay_alu instid0(SALU_CYCLE_1)
	s_and_not1_b32 vcc_lo, exec_lo, s36
	s_cbranch_vccnz .LBB134_1124
; %bb.1104:
	s_cmp_lt_i32 s0, 2
	s_cbranch_scc1 .LBB134_1108
; %bb.1105:
	s_cmp_lt_i32 s0, 3
	s_cbranch_scc1 .LBB134_1109
; %bb.1106:
	s_cmp_gt_i32 s0, 3
	s_cbranch_scc0 .LBB134_1110
; %bb.1107:
	s_wait_loadcnt 0x0
	global_load_b64 v[4:5], v[8:9], off
	s_mov_b32 s36, 0
	s_wait_loadcnt 0x0
	v_cvt_f64_i32_e32 v[6:7], v5
	v_cvt_f64_u32_e32 v[4:5], v4
	s_delay_alu instid0(VALU_DEP_2) | instskip(NEXT) | instid1(VALU_DEP_1)
	v_ldexp_f64 v[6:7], v[6:7], 32
	v_add_f64_e32 v[4:5], v[6:7], v[4:5]
	s_branch .LBB134_1111
.LBB134_1108:
	s_mov_b32 s36, -1
                                        ; implicit-def: $vgpr4_vgpr5
	s_branch .LBB134_1117
.LBB134_1109:
	s_mov_b32 s36, -1
                                        ; implicit-def: $vgpr4_vgpr5
	s_branch .LBB134_1114
.LBB134_1110:
	s_mov_b32 s36, -1
                                        ; implicit-def: $vgpr4_vgpr5
.LBB134_1111:
	s_delay_alu instid0(SALU_CYCLE_1)
	s_and_not1_b32 vcc_lo, exec_lo, s36
	s_cbranch_vccnz .LBB134_1113
; %bb.1112:
	s_wait_loadcnt 0x0
	global_load_b32 v4, v[8:9], off
	s_wait_loadcnt 0x0
	v_cvt_f64_i32_e32 v[4:5], v4
.LBB134_1113:
	s_mov_b32 s36, 0
.LBB134_1114:
	s_delay_alu instid0(SALU_CYCLE_1)
	s_and_not1_b32 vcc_lo, exec_lo, s36
	s_cbranch_vccnz .LBB134_1116
; %bb.1115:
	s_wait_loadcnt 0x0
	global_load_i16 v4, v[8:9], off
	s_wait_loadcnt 0x0
	v_cvt_f64_i32_e32 v[4:5], v4
.LBB134_1116:
	s_mov_b32 s36, 0
.LBB134_1117:
	s_delay_alu instid0(SALU_CYCLE_1)
	s_and_not1_b32 vcc_lo, exec_lo, s36
	s_cbranch_vccnz .LBB134_1123
; %bb.1118:
	s_cmp_gt_i32 s0, 0
	s_mov_b32 s0, 0
	s_cbranch_scc0 .LBB134_1120
; %bb.1119:
	s_wait_loadcnt 0x0
	global_load_i8 v4, v[8:9], off
	s_wait_loadcnt 0x0
	v_cvt_f64_i32_e32 v[4:5], v4
	s_branch .LBB134_1121
.LBB134_1120:
	s_mov_b32 s0, -1
                                        ; implicit-def: $vgpr4_vgpr5
.LBB134_1121:
	s_delay_alu instid0(SALU_CYCLE_1)
	s_and_not1_b32 vcc_lo, exec_lo, s0
	s_cbranch_vccnz .LBB134_1123
; %bb.1122:
	s_wait_loadcnt 0x0
	global_load_u8 v4, v[8:9], off
	s_wait_loadcnt 0x0
	v_cvt_f64_u32_e32 v[4:5], v4
.LBB134_1123:
	s_wait_loadcnt 0x0
	v_mov_b64_e32 v[6:7], 0
.LBB134_1124:
	s_mov_b32 s36, -1
.LBB134_1125:
	s_delay_alu instid0(SALU_CYCLE_1)
	s_and_not1_b32 vcc_lo, exec_lo, s36
	s_cbranch_vccnz .LBB134_1133
; %bb.1126:
	s_wait_loadcnt 0x0
	s_delay_alu instid0(VALU_DEP_4) | instskip(SKIP_2) | instid1(SALU_CYCLE_1)
	v_mul_f64_e32 v[8:9], s[4:5], v[2:3]
	v_mul_f64_e32 v[2:3], s[6:7], v[2:3]
	s_and_b32 s36, s15, 0xff
	s_cmp_lt_i32 s36, 11
	s_delay_alu instid0(VALU_DEP_2) | instskip(NEXT) | instid1(VALU_DEP_2)
	v_fmac_f64_e32 v[8:9], s[6:7], v[0:1]
	v_fma_f64 v[0:1], s[4:5], v[0:1], -v[2:3]
	s_delay_alu instid0(VALU_DEP_2) | instskip(NEXT) | instid1(VALU_DEP_2)
	v_mul_f64_e32 v[10:11], v[8:9], v[6:7]
	v_mul_f64_e32 v[2:3], v[0:1], v[6:7]
	s_delay_alu instid0(VALU_DEP_2) | instskip(NEXT) | instid1(VALU_DEP_2)
	v_fma_f64 v[0:1], v[0:1], v[4:5], -v[10:11]
	v_fmac_f64_e32 v[2:3], v[8:9], v[4:5]
	v_mul_lo_u32 v4, v34, s14
	s_delay_alu instid0(VALU_DEP_1) | instskip(NEXT) | instid1(VALU_DEP_1)
	v_ashrrev_i32_e32 v5, 31, v4
	v_add_nc_u64_e32 v[4:5], s[2:3], v[4:5]
	s_cbranch_scc1 .LBB134_1134
; %bb.1127:
	s_and_b32 s37, 0xffff, s36
	s_delay_alu instid0(SALU_CYCLE_1)
	s_cmp_gt_i32 s37, 25
	s_cbranch_scc0 .LBB134_1135
; %bb.1128:
	s_cmp_gt_i32 s37, 28
	s_cbranch_scc0 .LBB134_1136
; %bb.1129:
	;; [unrolled: 3-line block ×4, first 2 shown]
	s_mov_b32 s39, 0
	s_mov_b32 s0, -1
	s_cmp_eq_u32 s37, 46
	s_mov_b32 s38, 0
	s_cbranch_scc0 .LBB134_1139
; %bb.1132:
	s_delay_alu instid0(VALU_DEP_4) | instskip(SKIP_3) | instid1(VALU_DEP_2)
	v_cvt_f32_f64_e32 v6, v[2:3]
	v_cvt_f32_f64_e32 v7, v[0:1]
	s_mov_b32 s38, -1
	s_mov_b32 s0, 0
	v_bfe_u32 v8, v6, 16, 1
	s_delay_alu instid0(VALU_DEP_2) | instskip(SKIP_1) | instid1(VALU_DEP_3)
	v_bfe_u32 v9, v7, 16, 1
	v_cmp_o_f32_e32 vcc_lo, v6, v6
	v_add3_u32 v8, v6, v8, 0x7fff
	s_delay_alu instid0(VALU_DEP_3) | instskip(NEXT) | instid1(VALU_DEP_2)
	v_add3_u32 v9, v7, v9, 0x7fff
	v_and_b32_e32 v8, 0xffff0000, v8
	s_delay_alu instid0(VALU_DEP_1) | instskip(SKIP_1) | instid1(VALU_DEP_2)
	v_dual_cndmask_b32 v6, 0x7fc00000, v8 :: v_dual_lshrrev_b32 v9, 16, v9
	v_cmp_o_f32_e32 vcc_lo, v7, v7
	v_cndmask_b32_e32 v7, 0x7fc0, v9, vcc_lo
	s_delay_alu instid0(VALU_DEP_1)
	v_or_b32_e32 v6, v6, v7
	global_store_b32 v[4:5], v6, off
	s_branch .LBB134_1139
.LBB134_1133:
	s_mov_b32 s37, 0
	s_mov_b32 s0, s27
	s_branch .LBB134_860
.LBB134_1134:
	s_mov_b32 s37, -1
	s_mov_b32 s38, 0
	s_mov_b32 s0, s27
	s_branch .LBB134_1208
.LBB134_1135:
	s_mov_b32 s39, -1
	s_mov_b32 s38, 0
	s_mov_b32 s0, s27
	s_branch .LBB134_1166
.LBB134_1136:
	s_mov_b32 s39, -1
	s_mov_b32 s38, 0
	s_mov_b32 s0, s27
	s_branch .LBB134_1149
.LBB134_1137:
	s_mov_b32 s39, -1
	s_mov_b32 s38, 0
	s_mov_b32 s0, s27
	s_branch .LBB134_1145
.LBB134_1138:
	s_mov_b32 s39, -1
	s_mov_b32 s38, 0
	s_mov_b32 s0, s27
.LBB134_1139:
	s_and_b32 vcc_lo, exec_lo, s39
	s_cbranch_vccz .LBB134_1144
; %bb.1140:
	s_cmp_eq_u32 s37, 44
	s_mov_b32 s0, -1
	s_cbranch_scc0 .LBB134_1144
; %bb.1141:
	s_wait_xcnt 0x0
	v_cvt_f32_f64_e32 v6, v[0:1]
	v_mov_b32_e32 v7, 0xff
	s_mov_b32 s38, exec_lo
	s_delay_alu instid0(VALU_DEP_2) | instskip(NEXT) | instid1(VALU_DEP_1)
	v_bfe_u32 v8, v6, 23, 8
	v_cmpx_ne_u32_e32 0xff, v8
	s_cbranch_execz .LBB134_1143
; %bb.1142:
	v_and_b32_e32 v7, 0x400000, v6
	v_and_or_b32 v8, 0x3fffff, v6, v8
	v_lshrrev_b32_e32 v6, 23, v6
	s_delay_alu instid0(VALU_DEP_3) | instskip(NEXT) | instid1(VALU_DEP_3)
	v_cmp_ne_u32_e32 vcc_lo, 0, v7
	v_cmp_ne_u32_e64 s0, 0, v8
	s_and_b32 s0, vcc_lo, s0
	s_delay_alu instid0(SALU_CYCLE_1) | instskip(NEXT) | instid1(VALU_DEP_1)
	v_cndmask_b32_e64 v7, 0, 1, s0
	v_add_nc_u32_e32 v7, v6, v7
.LBB134_1143:
	s_or_b32 exec_lo, exec_lo, s38
	s_mov_b32 s38, -1
	s_mov_b32 s0, 0
	global_store_b8 v[4:5], v7, off
.LBB134_1144:
	s_mov_b32 s39, 0
.LBB134_1145:
	s_delay_alu instid0(SALU_CYCLE_1)
	s_and_b32 vcc_lo, exec_lo, s39
	s_cbranch_vccz .LBB134_1148
; %bb.1146:
	s_cmp_eq_u32 s37, 29
	s_mov_b32 s0, -1
	s_cbranch_scc0 .LBB134_1148
; %bb.1147:
	s_wait_xcnt 0x0
	v_trunc_f64_e32 v[6:7], v[0:1]
	s_mov_b32 s38, -1
	s_mov_b32 s0, 0
	s_mov_b32 s39, 0
	s_delay_alu instid0(VALU_DEP_1) | instskip(NEXT) | instid1(VALU_DEP_1)
	v_ldexp_f64 v[8:9], v[6:7], 0xffffffe0
	v_floor_f64_e32 v[8:9], v[8:9]
	s_delay_alu instid0(VALU_DEP_1) | instskip(SKIP_1) | instid1(VALU_DEP_2)
	v_fmamk_f64 v[6:7], v[8:9], 0xc1f00000, v[6:7]
	v_cvt_u32_f64_e32 v9, v[8:9]
	v_cvt_u32_f64_e32 v8, v[6:7]
	global_store_b64 v[4:5], v[8:9], off
	s_branch .LBB134_1149
.LBB134_1148:
	s_mov_b32 s39, 0
.LBB134_1149:
	s_delay_alu instid0(SALU_CYCLE_1)
	s_and_b32 vcc_lo, exec_lo, s39
	s_cbranch_vccz .LBB134_1165
; %bb.1150:
	s_cmp_lt_i32 s37, 27
	s_mov_b32 s38, -1
	s_cbranch_scc1 .LBB134_1156
; %bb.1151:
	s_wait_xcnt 0x0
	v_cvt_u32_f64_e32 v6, v[0:1]
	s_cmp_gt_i32 s37, 27
	s_cbranch_scc0 .LBB134_1153
; %bb.1152:
	s_mov_b32 s38, 0
	global_store_b32 v[4:5], v6, off
.LBB134_1153:
	s_and_not1_b32 vcc_lo, exec_lo, s38
	s_cbranch_vccnz .LBB134_1155
; %bb.1154:
	global_store_b16 v[4:5], v6, off
.LBB134_1155:
	s_mov_b32 s38, 0
.LBB134_1156:
	s_delay_alu instid0(SALU_CYCLE_1)
	s_and_not1_b32 vcc_lo, exec_lo, s38
	s_cbranch_vccnz .LBB134_1164
; %bb.1157:
	s_wait_xcnt 0x0
	v_cvt_f32_f64_e32 v6, v[0:1]
	v_mov_b32_e32 v8, 0x80
	s_mov_b32 s38, exec_lo
	s_delay_alu instid0(VALU_DEP_2) | instskip(NEXT) | instid1(VALU_DEP_1)
	v_and_b32_e32 v7, 0x7fffffff, v6
	v_cmpx_gt_u32_e32 0x43800000, v7
	s_cbranch_execz .LBB134_1163
; %bb.1158:
	v_cmp_lt_u32_e32 vcc_lo, 0x3bffffff, v7
	s_mov_b32 s39, 0
                                        ; implicit-def: $vgpr7
	s_and_saveexec_b32 s40, vcc_lo
	s_delay_alu instid0(SALU_CYCLE_1)
	s_xor_b32 s40, exec_lo, s40
	s_cbranch_execz .LBB134_2123
; %bb.1159:
	v_bfe_u32 v7, v6, 20, 1
	s_mov_b32 s39, exec_lo
	s_delay_alu instid0(VALU_DEP_1) | instskip(NEXT) | instid1(VALU_DEP_1)
	v_add3_u32 v7, v6, v7, 0x487ffff
	v_lshrrev_b32_e32 v7, 20, v7
	s_and_not1_saveexec_b32 s40, s40
	s_cbranch_execnz .LBB134_2124
.LBB134_1160:
	s_or_b32 exec_lo, exec_lo, s40
	v_mov_b32_e32 v8, 0
	s_and_saveexec_b32 s40, s39
.LBB134_1161:
	v_lshrrev_b32_e32 v6, 24, v6
	s_delay_alu instid0(VALU_DEP_1)
	v_and_or_b32 v8, 0x80, v6, v7
.LBB134_1162:
	s_or_b32 exec_lo, exec_lo, s40
.LBB134_1163:
	s_delay_alu instid0(SALU_CYCLE_1)
	s_or_b32 exec_lo, exec_lo, s38
	global_store_b8 v[4:5], v8, off
.LBB134_1164:
	s_mov_b32 s38, -1
.LBB134_1165:
	s_mov_b32 s39, 0
.LBB134_1166:
	s_delay_alu instid0(SALU_CYCLE_1)
	s_and_b32 vcc_lo, exec_lo, s39
	s_cbranch_vccz .LBB134_1207
; %bb.1167:
	s_cmp_gt_i32 s37, 22
	s_mov_b32 s39, -1
	s_cbranch_scc0 .LBB134_1199
; %bb.1168:
	s_cmp_lt_i32 s37, 24
	s_mov_b32 s38, -1
	s_cbranch_scc1 .LBB134_1188
; %bb.1169:
	s_cmp_gt_i32 s37, 24
	s_cbranch_scc0 .LBB134_1177
; %bb.1170:
	s_wait_xcnt 0x0
	v_cvt_f32_f64_e32 v6, v[0:1]
	v_mov_b32_e32 v8, 0x80
	s_mov_b32 s38, exec_lo
	s_delay_alu instid0(VALU_DEP_2) | instskip(NEXT) | instid1(VALU_DEP_1)
	v_and_b32_e32 v7, 0x7fffffff, v6
	v_cmpx_gt_u32_e32 0x47800000, v7
	s_cbranch_execz .LBB134_1176
; %bb.1171:
	v_cmp_lt_u32_e32 vcc_lo, 0x37ffffff, v7
	s_mov_b32 s39, 0
                                        ; implicit-def: $vgpr7
	s_and_saveexec_b32 s40, vcc_lo
	s_delay_alu instid0(SALU_CYCLE_1)
	s_xor_b32 s40, exec_lo, s40
	s_cbranch_execz .LBB134_2281
; %bb.1172:
	v_bfe_u32 v7, v6, 21, 1
	s_mov_b32 s39, exec_lo
	s_delay_alu instid0(VALU_DEP_1) | instskip(NEXT) | instid1(VALU_DEP_1)
	v_add3_u32 v7, v6, v7, 0x88fffff
	v_lshrrev_b32_e32 v7, 21, v7
	s_and_not1_saveexec_b32 s40, s40
	s_cbranch_execnz .LBB134_2282
.LBB134_1173:
	s_or_b32 exec_lo, exec_lo, s40
	v_mov_b32_e32 v8, 0
	s_and_saveexec_b32 s40, s39
.LBB134_1174:
	v_lshrrev_b32_e32 v6, 24, v6
	s_delay_alu instid0(VALU_DEP_1)
	v_and_or_b32 v8, 0x80, v6, v7
.LBB134_1175:
	s_or_b32 exec_lo, exec_lo, s40
.LBB134_1176:
	s_delay_alu instid0(SALU_CYCLE_1)
	s_or_b32 exec_lo, exec_lo, s38
	s_mov_b32 s38, 0
	global_store_b8 v[4:5], v8, off
.LBB134_1177:
	s_and_b32 vcc_lo, exec_lo, s38
	s_cbranch_vccz .LBB134_1187
; %bb.1178:
	s_wait_xcnt 0x0
	v_cvt_f32_f64_e32 v6, v[0:1]
	s_mov_b32 s38, exec_lo
                                        ; implicit-def: $vgpr7
	s_delay_alu instid0(VALU_DEP_1) | instskip(NEXT) | instid1(VALU_DEP_1)
	v_and_b32_e32 v8, 0x7fffffff, v6
	v_cmpx_gt_u32_e32 0x43f00000, v8
	s_xor_b32 s38, exec_lo, s38
	s_cbranch_execz .LBB134_1184
; %bb.1179:
	s_mov_b32 s39, exec_lo
                                        ; implicit-def: $vgpr7
	v_cmpx_lt_u32_e32 0x3c7fffff, v8
	s_xor_b32 s39, exec_lo, s39
; %bb.1180:
	v_bfe_u32 v7, v6, 20, 1
	s_delay_alu instid0(VALU_DEP_1) | instskip(NEXT) | instid1(VALU_DEP_1)
	v_add3_u32 v7, v6, v7, 0x407ffff
	v_and_b32_e32 v8, 0xff00000, v7
	v_lshrrev_b32_e32 v7, 20, v7
	s_delay_alu instid0(VALU_DEP_2) | instskip(NEXT) | instid1(VALU_DEP_2)
	v_cmp_ne_u32_e32 vcc_lo, 0x7f00000, v8
	v_cndmask_b32_e32 v7, 0x7e, v7, vcc_lo
; %bb.1181:
	s_and_not1_saveexec_b32 s39, s39
; %bb.1182:
	v_add_f32_e64 v7, 0x46800000, |v6|
; %bb.1183:
	s_or_b32 exec_lo, exec_lo, s39
                                        ; implicit-def: $vgpr8
.LBB134_1184:
	s_and_not1_saveexec_b32 s38, s38
; %bb.1185:
	v_mov_b32_e32 v7, 0x7f
	v_cmp_lt_u32_e32 vcc_lo, 0x7f800000, v8
	s_delay_alu instid0(VALU_DEP_2)
	v_cndmask_b32_e32 v7, 0x7e, v7, vcc_lo
; %bb.1186:
	s_or_b32 exec_lo, exec_lo, s38
	v_lshrrev_b32_e32 v6, 24, v6
	s_delay_alu instid0(VALU_DEP_1)
	v_and_or_b32 v6, 0x80, v6, v7
	global_store_b8 v[4:5], v6, off
.LBB134_1187:
	s_mov_b32 s38, 0
.LBB134_1188:
	s_delay_alu instid0(SALU_CYCLE_1)
	s_and_not1_b32 vcc_lo, exec_lo, s38
	s_cbranch_vccnz .LBB134_1198
; %bb.1189:
	s_wait_xcnt 0x0
	v_cvt_f32_f64_e32 v6, v[0:1]
	s_mov_b32 s38, exec_lo
                                        ; implicit-def: $vgpr7
	s_delay_alu instid0(VALU_DEP_1) | instskip(NEXT) | instid1(VALU_DEP_1)
	v_and_b32_e32 v8, 0x7fffffff, v6
	v_cmpx_gt_u32_e32 0x47800000, v8
	s_xor_b32 s38, exec_lo, s38
	s_cbranch_execz .LBB134_1195
; %bb.1190:
	s_mov_b32 s39, exec_lo
                                        ; implicit-def: $vgpr7
	v_cmpx_lt_u32_e32 0x387fffff, v8
	s_xor_b32 s39, exec_lo, s39
; %bb.1191:
	v_bfe_u32 v7, v6, 21, 1
	s_delay_alu instid0(VALU_DEP_1) | instskip(NEXT) | instid1(VALU_DEP_1)
	v_add3_u32 v7, v6, v7, 0x80fffff
	v_lshrrev_b32_e32 v7, 21, v7
; %bb.1192:
	s_and_not1_saveexec_b32 s39, s39
; %bb.1193:
	v_add_f32_e64 v7, 0x43000000, |v6|
; %bb.1194:
	s_or_b32 exec_lo, exec_lo, s39
                                        ; implicit-def: $vgpr8
.LBB134_1195:
	s_and_not1_saveexec_b32 s38, s38
; %bb.1196:
	v_mov_b32_e32 v7, 0x7f
	v_cmp_lt_u32_e32 vcc_lo, 0x7f800000, v8
	s_delay_alu instid0(VALU_DEP_2)
	v_cndmask_b32_e32 v7, 0x7c, v7, vcc_lo
; %bb.1197:
	s_or_b32 exec_lo, exec_lo, s38
	v_lshrrev_b32_e32 v6, 24, v6
	s_delay_alu instid0(VALU_DEP_1)
	v_and_or_b32 v6, 0x80, v6, v7
	global_store_b8 v[4:5], v6, off
.LBB134_1198:
	s_mov_b32 s39, 0
	s_mov_b32 s38, -1
.LBB134_1199:
	s_and_not1_b32 vcc_lo, exec_lo, s39
	s_cbranch_vccnz .LBB134_1207
; %bb.1200:
	s_cmp_gt_i32 s37, 14
	s_mov_b32 s39, -1
	s_cbranch_scc0 .LBB134_1204
; %bb.1201:
	s_cmp_eq_u32 s37, 15
	s_mov_b32 s0, -1
	s_cbranch_scc0 .LBB134_1203
; %bb.1202:
	s_wait_xcnt 0x0
	v_cvt_f32_f64_e32 v6, v[0:1]
	s_mov_b32 s38, -1
	s_mov_b32 s0, 0
	s_delay_alu instid0(VALU_DEP_1) | instskip(SKIP_1) | instid1(VALU_DEP_2)
	v_bfe_u32 v7, v6, 16, 1
	v_cmp_o_f32_e32 vcc_lo, v6, v6
	v_add3_u32 v7, v6, v7, 0x7fff
	s_delay_alu instid0(VALU_DEP_1) | instskip(NEXT) | instid1(VALU_DEP_1)
	v_lshrrev_b32_e32 v7, 16, v7
	v_cndmask_b32_e32 v6, 0x7fc0, v7, vcc_lo
	global_store_b16 v[4:5], v6, off
.LBB134_1203:
	s_mov_b32 s39, 0
.LBB134_1204:
	s_delay_alu instid0(SALU_CYCLE_1)
	s_and_b32 vcc_lo, exec_lo, s39
	s_cbranch_vccz .LBB134_1207
; %bb.1205:
	s_cmp_eq_u32 s37, 11
	s_mov_b32 s0, -1
	s_cbranch_scc0 .LBB134_1207
; %bb.1206:
	v_cmp_neq_f64_e32 vcc_lo, 0, v[0:1]
	v_cmp_neq_f64_e64 s0, 0, v[2:3]
	s_mov_b32 s38, -1
	s_or_b32 s0, vcc_lo, s0
	s_wait_xcnt 0x0
	v_cndmask_b32_e64 v6, 0, 1, s0
	s_mov_b32 s0, 0
	global_store_b8 v[4:5], v6, off
.LBB134_1207:
	s_mov_b32 s37, 0
.LBB134_1208:
	s_delay_alu instid0(SALU_CYCLE_1)
	s_and_b32 vcc_lo, exec_lo, s37
	s_cbranch_vccz .LBB134_1247
; %bb.1209:
	s_and_b32 s36, 0xffff, s36
	s_mov_b32 s37, -1
	s_cmp_lt_i32 s36, 5
	s_cbranch_scc1 .LBB134_1230
; %bb.1210:
	s_cmp_lt_i32 s36, 8
	s_cbranch_scc1 .LBB134_1220
; %bb.1211:
	;; [unrolled: 3-line block ×3, first 2 shown]
	s_cmp_gt_i32 s36, 9
	s_cbranch_scc0 .LBB134_1214
; %bb.1213:
	s_mov_b32 s37, 0
	global_store_b128 v[4:5], v[0:3], off
.LBB134_1214:
	s_and_not1_b32 vcc_lo, exec_lo, s37
	s_cbranch_vccnz .LBB134_1216
; %bb.1215:
	s_wait_xcnt 0x0
	v_cvt_f32_f64_e32 v6, v[0:1]
	v_cvt_f32_f64_e32 v7, v[2:3]
	global_store_b64 v[4:5], v[6:7], off
.LBB134_1216:
	s_mov_b32 s37, 0
.LBB134_1217:
	s_delay_alu instid0(SALU_CYCLE_1)
	s_and_not1_b32 vcc_lo, exec_lo, s37
	s_cbranch_vccnz .LBB134_1219
; %bb.1218:
	s_wait_xcnt 0x0
	v_and_or_b32 v6, 0x1ff, v1, v0
	v_and_or_b32 v2, 0x1ff, v3, v2
	v_dual_lshrrev_b32 v7, 8, v1 :: v_dual_lshrrev_b32 v10, 8, v3
	v_bfe_u32 v8, v1, 20, 11
	s_delay_alu instid0(VALU_DEP_4) | instskip(SKIP_2) | instid1(VALU_DEP_4)
	v_cmp_ne_u32_e32 vcc_lo, 0, v6
	v_bfe_u32 v9, v3, 20, 11
	v_dual_lshrrev_b32 v16, 16, v1 :: v_dual_lshrrev_b32 v3, 16, v3
	v_sub_nc_u32_e32 v11, 0x3f1, v8
	v_cndmask_b32_e64 v6, 0, 1, vcc_lo
	v_cmp_ne_u32_e32 vcc_lo, 0, v2
	v_add_nc_u32_e32 v8, 0xfffffc10, v8
	s_delay_alu instid0(VALU_DEP_3) | instskip(SKIP_1) | instid1(VALU_DEP_1)
	v_and_or_b32 v6, 0xffe, v7, v6
	v_cndmask_b32_e64 v2, 0, 1, vcc_lo
	v_and_or_b32 v2, 0xffe, v10, v2
	v_med3_i32 v10, v11, 0, 13
	s_delay_alu instid0(VALU_DEP_4) | instskip(NEXT) | instid1(VALU_DEP_3)
	v_or_b32_e32 v11, 0x1000, v6
	v_or_b32_e32 v12, 0x1000, v2
	s_delay_alu instid0(VALU_DEP_2) | instskip(NEXT) | instid1(VALU_DEP_1)
	v_lshrrev_b32_e32 v13, v10, v11
	v_lshlrev_b32_e32 v10, v10, v13
	s_delay_alu instid0(VALU_DEP_1) | instskip(SKIP_2) | instid1(VALU_DEP_1)
	v_cmp_ne_u32_e32 vcc_lo, v10, v11
	v_lshl_or_b32 v11, v8, 12, v6
	v_cndmask_b32_e64 v10, 0, 1, vcc_lo
	v_or_b32_e32 v10, v13, v10
	v_sub_nc_u32_e32 v7, 0x3f1, v9
	v_add_nc_u32_e32 v9, 0xfffffc10, v9
	s_delay_alu instid0(VALU_DEP_2) | instskip(NEXT) | instid1(VALU_DEP_1)
	v_med3_i32 v7, v7, 0, 13
	v_lshrrev_b32_e32 v14, v7, v12
	s_delay_alu instid0(VALU_DEP_1) | instskip(NEXT) | instid1(VALU_DEP_1)
	v_lshlrev_b32_e32 v7, v7, v14
	v_cmp_ne_u32_e32 vcc_lo, v7, v12
	v_lshl_or_b32 v12, v9, 12, v2
	v_cndmask_b32_e64 v7, 0, 1, vcc_lo
	v_cmp_gt_i32_e32 vcc_lo, 1, v8
	s_delay_alu instid0(VALU_DEP_2) | instskip(SKIP_1) | instid1(VALU_DEP_2)
	v_dual_cndmask_b32 v10, v11, v10, vcc_lo :: v_dual_bitop2_b32 v7, v14, v7 bitop3:0x54
	v_cmp_gt_i32_e32 vcc_lo, 1, v9
	v_dual_lshrrev_b32 v10, 2, v10 :: v_dual_bitop2_b32 v11, 7, v10 bitop3:0x40
	s_delay_alu instid0(VALU_DEP_3) | instskip(NEXT) | instid1(VALU_DEP_1)
	v_cndmask_b32_e32 v7, v12, v7, vcc_lo
	v_dual_lshrrev_b32 v7, 2, v7 :: v_dual_bitop2_b32 v12, 7, v7 bitop3:0x40
	s_delay_alu instid0(VALU_DEP_3) | instskip(SKIP_1) | instid1(VALU_DEP_3)
	v_cmp_lt_i32_e32 vcc_lo, 5, v11
	v_cndmask_b32_e64 v14, 0, 1, vcc_lo
	v_cmp_lt_i32_e32 vcc_lo, 5, v12
	v_cndmask_b32_e64 v15, 0, 1, vcc_lo
	v_cmp_eq_u32_e32 vcc_lo, 3, v12
	v_cndmask_b32_e64 v12, 0, 1, vcc_lo
	v_cmp_eq_u32_e32 vcc_lo, 3, v11
	s_delay_alu instid0(VALU_DEP_2) | instskip(SKIP_2) | instid1(VALU_DEP_3)
	v_or_b32_e32 v12, v12, v15
	v_cndmask_b32_e64 v11, 0, 1, vcc_lo
	v_cmp_ne_u32_e32 vcc_lo, 0, v6
	v_add_nc_u32_e32 v7, v7, v12
	s_delay_alu instid0(VALU_DEP_3) | instskip(NEXT) | instid1(VALU_DEP_1)
	v_or_b32_e32 v11, v11, v14
	v_dual_mov_b32 v13, 0x7e00 :: v_dual_add_nc_u32 v10, v10, v11
	s_delay_alu instid0(VALU_DEP_1)
	v_cndmask_b32_e32 v6, 0x7c00, v13, vcc_lo
	v_cmp_ne_u32_e32 vcc_lo, 0, v2
	v_and_b32_e32 v11, 0x8000, v16
	v_cndmask_b32_e32 v2, 0x7c00, v13, vcc_lo
	v_cmp_gt_i32_e32 vcc_lo, 31, v9
	v_cndmask_b32_e32 v7, 0x7c00, v7, vcc_lo
	v_cmp_gt_i32_e32 vcc_lo, 31, v8
	v_cndmask_b32_e32 v10, 0x7c00, v10, vcc_lo
	v_cmp_eq_u32_e32 vcc_lo, 0x40f, v9
	s_delay_alu instid0(VALU_DEP_4) | instskip(SKIP_1) | instid1(VALU_DEP_2)
	v_cndmask_b32_e32 v2, v7, v2, vcc_lo
	v_cmp_eq_u32_e32 vcc_lo, 0x40f, v8
	v_and_or_b32 v2, 0x8000, v3, v2
	v_cndmask_b32_e32 v6, v10, v6, vcc_lo
	s_delay_alu instid0(VALU_DEP_1) | instskip(NEXT) | instid1(VALU_DEP_1)
	v_bitop3_b32 v3, v11, 0xffff, v6 bitop3:0xc8
	v_lshl_or_b32 v2, v2, 16, v3
	global_store_b32 v[4:5], v2, off
.LBB134_1219:
	s_mov_b32 s37, 0
.LBB134_1220:
	s_delay_alu instid0(SALU_CYCLE_1)
	s_and_not1_b32 vcc_lo, exec_lo, s37
	s_cbranch_vccnz .LBB134_1229
; %bb.1221:
	s_cmp_lt_i32 s36, 6
	s_mov_b32 s37, -1
	s_cbranch_scc1 .LBB134_1227
; %bb.1222:
	s_cmp_gt_i32 s36, 6
	s_cbranch_scc0 .LBB134_1224
; %bb.1223:
	s_mov_b32 s37, 0
	global_store_b64 v[4:5], v[0:1], off
.LBB134_1224:
	s_and_not1_b32 vcc_lo, exec_lo, s37
	s_cbranch_vccnz .LBB134_1226
; %bb.1225:
	s_wait_xcnt 0x0
	v_cvt_f32_f64_e32 v2, v[0:1]
	global_store_b32 v[4:5], v2, off
.LBB134_1226:
	s_mov_b32 s37, 0
.LBB134_1227:
	s_delay_alu instid0(SALU_CYCLE_1)
	s_and_not1_b32 vcc_lo, exec_lo, s37
	s_cbranch_vccnz .LBB134_1229
; %bb.1228:
	s_wait_xcnt 0x0
	v_and_or_b32 v2, 0x1ff, v1, v0
	v_lshrrev_b32_e32 v3, 8, v1
	v_bfe_u32 v6, v1, 20, 11
	s_delay_alu instid0(VALU_DEP_3) | instskip(NEXT) | instid1(VALU_DEP_2)
	v_cmp_ne_u32_e32 vcc_lo, 0, v2
	v_sub_nc_u32_e32 v7, 0x3f1, v6
	v_cndmask_b32_e64 v2, 0, 1, vcc_lo
	s_delay_alu instid0(VALU_DEP_1) | instskip(NEXT) | instid1(VALU_DEP_3)
	v_and_or_b32 v2, 0xffe, v3, v2
	v_med3_i32 v3, v7, 0, 13
	s_delay_alu instid0(VALU_DEP_2) | instskip(NEXT) | instid1(VALU_DEP_1)
	v_or_b32_e32 v7, 0x1000, v2
	v_lshrrev_b32_e32 v8, v3, v7
	s_delay_alu instid0(VALU_DEP_1) | instskip(NEXT) | instid1(VALU_DEP_1)
	v_lshlrev_b32_e32 v3, v3, v8
	v_cmp_ne_u32_e32 vcc_lo, v3, v7
	v_cndmask_b32_e64 v3, 0, 1, vcc_lo
	s_delay_alu instid0(VALU_DEP_1) | instskip(SKIP_1) | instid1(VALU_DEP_1)
	v_or_b32_e32 v3, v8, v3
	v_add_nc_u32_e32 v6, 0xfffffc10, v6
	v_lshl_or_b32 v7, v6, 12, v2
	v_cmp_gt_i32_e32 vcc_lo, 1, v6
	s_delay_alu instid0(VALU_DEP_2) | instskip(NEXT) | instid1(VALU_DEP_1)
	v_cndmask_b32_e32 v3, v7, v3, vcc_lo
	v_dual_lshrrev_b32 v3, 2, v3 :: v_dual_bitop2_b32 v7, 7, v3 bitop3:0x40
	s_delay_alu instid0(VALU_DEP_1) | instskip(SKIP_4) | instid1(VALU_DEP_2)
	v_cmp_lt_i32_e32 vcc_lo, 5, v7
	v_cndmask_b32_e64 v8, 0, 1, vcc_lo
	v_cmp_eq_u32_e32 vcc_lo, 3, v7
	v_cndmask_b32_e64 v7, 0, 1, vcc_lo
	v_cmp_ne_u32_e32 vcc_lo, 0, v2
	v_or_b32_e32 v7, v7, v8
	s_delay_alu instid0(VALU_DEP_1) | instskip(NEXT) | instid1(VALU_DEP_1)
	v_dual_mov_b32 v8, 0x7e00 :: v_dual_add_nc_u32 v3, v3, v7
	v_cndmask_b32_e32 v2, 0x7c00, v8, vcc_lo
	v_cmp_gt_i32_e32 vcc_lo, 31, v6
	s_delay_alu instid0(VALU_DEP_3) | instskip(SKIP_1) | instid1(VALU_DEP_2)
	v_cndmask_b32_e32 v3, 0x7c00, v3, vcc_lo
	v_cmp_eq_u32_e32 vcc_lo, 0x40f, v6
	v_dual_cndmask_b32 v2, v3, v2 :: v_dual_lshrrev_b32 v3, 16, v1
	s_delay_alu instid0(VALU_DEP_1)
	v_and_or_b32 v2, 0x8000, v3, v2
	global_store_b16 v[4:5], v2, off
.LBB134_1229:
	s_mov_b32 s37, 0
.LBB134_1230:
	s_delay_alu instid0(SALU_CYCLE_1)
	s_and_not1_b32 vcc_lo, exec_lo, s37
	s_cbranch_vccnz .LBB134_1246
; %bb.1231:
	s_cmp_lt_i32 s36, 2
	s_mov_b32 s37, -1
	s_cbranch_scc1 .LBB134_1241
; %bb.1232:
	s_cmp_lt_i32 s36, 3
	s_cbranch_scc1 .LBB134_1238
; %bb.1233:
	s_cmp_gt_i32 s36, 3
	s_cbranch_scc0 .LBB134_1235
; %bb.1234:
	s_wait_xcnt 0x0
	v_trunc_f64_e32 v[2:3], v[0:1]
	s_mov_b32 s37, 0
	s_delay_alu instid0(VALU_DEP_1) | instskip(NEXT) | instid1(VALU_DEP_1)
	v_ldexp_f64 v[6:7], v[2:3], 0xffffffe0
	v_floor_f64_e32 v[6:7], v[6:7]
	s_delay_alu instid0(VALU_DEP_1) | instskip(SKIP_1) | instid1(VALU_DEP_2)
	v_fmamk_f64 v[2:3], v[6:7], 0xc1f00000, v[2:3]
	v_cvt_i32_f64_e32 v7, v[6:7]
	v_cvt_u32_f64_e32 v6, v[2:3]
	global_store_b64 v[4:5], v[6:7], off
.LBB134_1235:
	s_and_not1_b32 vcc_lo, exec_lo, s37
	s_cbranch_vccnz .LBB134_1237
; %bb.1236:
	s_wait_xcnt 0x0
	v_cvt_i32_f64_e32 v2, v[0:1]
	global_store_b32 v[4:5], v2, off
.LBB134_1237:
	s_mov_b32 s37, 0
.LBB134_1238:
	s_delay_alu instid0(SALU_CYCLE_1)
	s_and_not1_b32 vcc_lo, exec_lo, s37
	s_cbranch_vccnz .LBB134_1240
; %bb.1239:
	s_wait_xcnt 0x0
	v_cvt_i32_f64_e32 v2, v[0:1]
	global_store_b16 v[4:5], v2, off
.LBB134_1240:
	s_mov_b32 s37, 0
.LBB134_1241:
	s_delay_alu instid0(SALU_CYCLE_1)
	s_and_not1_b32 vcc_lo, exec_lo, s37
	s_cbranch_vccnz .LBB134_1246
; %bb.1242:
	s_cmp_gt_i32 s36, 0
	s_mov_b32 s36, -1
	s_cbranch_scc0 .LBB134_1244
; %bb.1243:
	s_wait_xcnt 0x0
	v_cvt_i32_f64_e32 v2, v[0:1]
	s_mov_b32 s36, 0
	global_store_b8 v[4:5], v2, off
.LBB134_1244:
	s_and_not1_b32 vcc_lo, exec_lo, s36
	s_cbranch_vccnz .LBB134_1246
; %bb.1245:
	s_wait_xcnt 0x0
	v_trunc_f64_e32 v[0:1], v[0:1]
	s_delay_alu instid0(VALU_DEP_1) | instskip(NEXT) | instid1(VALU_DEP_1)
	v_ldexp_f64 v[2:3], v[0:1], 0xffffffe0
	v_floor_f64_e32 v[2:3], v[2:3]
	s_delay_alu instid0(VALU_DEP_1) | instskip(NEXT) | instid1(VALU_DEP_1)
	v_fmamk_f64 v[0:1], v[2:3], 0xc1f00000, v[0:1]
	v_cvt_u32_f64_e32 v0, v[0:1]
	global_store_b8 v[4:5], v0, off
.LBB134_1246:
	s_mov_b32 s38, -1
.LBB134_1247:
	s_delay_alu instid0(SALU_CYCLE_1)
	s_and_not1_b32 vcc_lo, exec_lo, s38
	s_cbranch_vccnz .LBB134_1258
; %bb.1248:
	v_add_nc_u32_e32 v34, 0x80, v34
	s_mov_b32 s37, -1
.LBB134_1249:
	s_and_not1_b32 s36, s27, exec_lo
	s_and_b32 s0, s0, exec_lo
	s_and_not1_b32 s38, s28, exec_lo
	s_and_b32 s35, s35, exec_lo
	s_or_b32 s36, s36, s0
	s_or_b32 s35, s38, s35
	s_and_not1_b32 s0, s29, exec_lo
	s_and_b32 s33, s33, exec_lo
	s_and_not1_b32 s38, s26, exec_lo
	s_and_b32 s34, s34, exec_lo
	s_or_b32 s33, s0, s33
	s_or_b32 s0, s38, s34
	s_or_not1_b32 s34, s37, exec_lo
.LBB134_1250:
	s_wait_xcnt 0x0
	s_or_b32 exec_lo, exec_lo, s31
	s_mov_b32 s37, 0
	s_and_saveexec_b32 s31, s34
	s_cbranch_execz .LBB134_1273
; %bb.1251:
	v_cmp_gt_i32_e32 vcc_lo, s21, v34
	s_mov_b32 s34, 0
	s_mov_b32 s37, s0
	s_and_saveexec_b32 s21, vcc_lo
	s_cbranch_execz .LBB134_1272
; %bb.1252:
	s_and_b32 s38, s18, 0xff
	s_delay_alu instid0(SALU_CYCLE_1)
	s_cmp_lt_i32 s38, 23
	s_cbranch_scc1 .LBB134_1256
; %bb.1253:
	s_and_b32 s39, 0xffff, s38
	s_delay_alu instid0(SALU_CYCLE_1)
	s_cmp_gt_i32 s39, 43
	s_cbranch_scc0 .LBB134_1257
; %bb.1254:
	s_cmp_gt_i32 s39, 45
	s_cbranch_scc0 .LBB134_1259
; %bb.1255:
	s_cmp_lg_u32 s39, 46
	s_mov_b32 s40, 0
	s_cselect_b32 s34, -1, 0
	s_and_not1_b32 s37, s0, exec_lo
	s_and_b32 s41, s34, exec_lo
	s_mov_b32 s34, -1
	s_or_b32 s37, s37, s41
	s_branch .LBB134_1260
.LBB134_1256:
	s_mov_b32 s39, -1
	s_mov_b32 s37, s0
	s_branch .LBB134_1266
.LBB134_1257:
	s_mov_b32 s40, -1
	s_mov_b32 s37, s0
	s_branch .LBB134_1263
.LBB134_1258:
	s_mov_b32 s37, 0
	s_branch .LBB134_860
.LBB134_1259:
	s_mov_b32 s40, -1
	s_mov_b32 s37, s0
.LBB134_1260:
	s_and_not1_b32 vcc_lo, exec_lo, s40
	s_cbranch_vccnz .LBB134_1262
; %bb.1261:
	s_cmp_eq_u32 s39, 44
	s_cselect_b32 s34, -1, 0
	s_cmp_lg_u32 s39, 44
	s_cselect_b32 s40, -1, 0
	s_and_not1_b32 s37, s37, exec_lo
	s_and_b32 s40, s40, exec_lo
	s_delay_alu instid0(SALU_CYCLE_1)
	s_or_b32 s37, s37, s40
.LBB134_1262:
	s_mov_b32 s40, 0
.LBB134_1263:
	s_delay_alu instid0(SALU_CYCLE_1)
	s_and_b32 vcc_lo, exec_lo, s40
	s_cbranch_vccz .LBB134_1265
; %bb.1264:
	s_cmp_lt_i32 s39, 30
	s_cselect_b32 s34, -1, 0
	s_cmp_gt_i32 s39, 29
	s_cselect_b32 s39, -1, 0
	s_and_not1_b32 s37, s37, exec_lo
	s_and_b32 s39, s39, exec_lo
	s_delay_alu instid0(SALU_CYCLE_1)
	s_or_b32 s37, s37, s39
.LBB134_1265:
	s_mov_b32 s39, 0
.LBB134_1266:
	s_delay_alu instid0(SALU_CYCLE_1)
	s_and_b32 vcc_lo, exec_lo, s39
	s_cbranch_vccz .LBB134_1271
; %bb.1267:
	s_and_b32 s38, 0xffff, s38
	s_mov_b32 s39, -1
	s_cmp_gt_i32 s38, 14
	s_cbranch_scc0 .LBB134_1269
; %bb.1268:
	s_cmp_eq_u32 s38, 15
	s_cselect_b32 s34, -1, 0
	s_cmp_lg_u32 s38, 15
	s_cselect_b32 s39, -1, 0
	s_and_not1_b32 s37, s37, exec_lo
	s_and_b32 s40, s39, exec_lo
	s_mov_b32 s39, 0
	s_or_b32 s37, s37, s40
.LBB134_1269:
	s_and_not1_b32 vcc_lo, exec_lo, s39
	s_cbranch_vccnz .LBB134_1271
; %bb.1270:
	s_cmp_lt_i32 s38, 12
	s_cselect_b32 s34, -1, 0
	s_cmp_gt_i32 s38, 11
	s_cselect_b32 s38, -1, 0
	s_and_not1_b32 s37, s37, exec_lo
	s_and_b32 s38, s38, exec_lo
	s_delay_alu instid0(SALU_CYCLE_1)
	s_or_b32 s37, s37, s38
.LBB134_1271:
	s_and_not1_b32 s38, s0, exec_lo
	s_and_b32 s37, s37, exec_lo
	s_and_b32 s34, s34, exec_lo
	s_or_b32 s37, s38, s37
.LBB134_1272:
	s_or_b32 exec_lo, exec_lo, s21
	s_delay_alu instid0(SALU_CYCLE_1)
	s_and_not1_b32 s0, s0, exec_lo
	s_and_b32 s21, s37, exec_lo
	s_and_b32 s37, s34, exec_lo
	s_or_b32 s0, s0, s21
.LBB134_1273:
	s_or_b32 exec_lo, exec_lo, s31
	s_delay_alu instid0(SALU_CYCLE_1)
	s_and_not1_b32 s21, s27, exec_lo
	s_and_b32 s27, s36, exec_lo
	s_and_not1_b32 s29, s29, exec_lo
	s_or_b32 s27, s21, s27
	s_and_not1_b32 s21, s28, exec_lo
	s_and_b32 s28, s35, exec_lo
	s_and_b32 s31, s33, exec_lo
	s_or_b32 s28, s21, s28
	s_and_not1_b32 s21, s26, exec_lo
	s_and_b32 s26, s0, exec_lo
	s_or_b32 s29, s29, s31
	s_and_b32 s0, s37, exec_lo
	s_or_b32 s26, s21, s26
.LBB134_1274:
	s_or_b32 exec_lo, exec_lo, s30
	s_delay_alu instid0(SALU_CYCLE_1)
	s_and_not1_b32 s20, s20, exec_lo
	s_and_b32 s21, s27, exec_lo
	s_and_not1_b32 s23, s23, exec_lo
	s_or_b32 s20, s20, s21
	s_and_not1_b32 s21, s22, exec_lo
	s_and_b32 s22, s28, exec_lo
	s_and_b32 s27, s29, exec_lo
	s_or_b32 s22, s21, s22
	s_and_not1_b32 s21, s24, exec_lo
	s_and_b32 s24, s26, exec_lo
	s_or_b32 s23, s23, s27
	s_and_b32 s26, s0, exec_lo
	s_or_b32 s24, s21, s24
.LBB134_1275:
	s_or_b32 exec_lo, exec_lo, s25
	s_mov_b32 s27, 0
	s_mov_b32 s21, 0
	s_and_saveexec_b32 s0, s24
	s_cbranch_execnz .LBB134_1290
.LBB134_1276:
	s_or_b32 exec_lo, exec_lo, s0
	s_mov_b32 s28, 0
	s_mov_b32 s25, 0
                                        ; implicit-def: $sgpr0
                                        ; implicit-def: $vgpr4_vgpr5
                                        ; implicit-def: $vgpr2_vgpr3
	s_and_saveexec_b32 s24, s26
	s_cbranch_execz .LBB134_1284
; %bb.1277:
	s_wait_loadcnt 0x0
	v_mul_lo_u32 v0, v34, s12
	s_and_b32 s0, s16, 0xff
	s_delay_alu instid0(SALU_CYCLE_1) | instskip(NEXT) | instid1(VALU_DEP_1)
	s_cmp_lt_i32 s0, 11
	v_ashrrev_i32_e32 v1, 31, v0
	s_delay_alu instid0(VALU_DEP_1)
	v_add_nc_u64_e32 v[4:5], s[8:9], v[0:1]
	s_cbranch_scc1 .LBB134_1287
; %bb.1278:
	s_and_b32 s25, 0xffff, s0
	s_delay_alu instid0(SALU_CYCLE_1)
	s_cmp_gt_i32 s25, 25
	s_cbranch_scc0 .LBB134_1288
; %bb.1279:
	s_cmp_gt_i32 s25, 28
	s_cbranch_scc0 .LBB134_1289
; %bb.1280:
	;; [unrolled: 3-line block ×4, first 2 shown]
	s_cmp_eq_u32 s25, 46
	s_mov_b32 s29, 0
	s_cbranch_scc0 .LBB134_1293
; %bb.1283:
	global_load_b32 v0, v[4:5], off
	s_mov_b32 s26, 0
	s_mov_b32 s28, -1
	s_wait_loadcnt 0x0
	v_lshlrev_b32_e32 v1, 16, v0
	v_and_b32_e32 v2, 0xffff0000, v0
	s_delay_alu instid0(VALU_DEP_2) | instskip(NEXT) | instid1(VALU_DEP_2)
	v_cvt_f64_f32_e32 v[0:1], v1
	v_cvt_f64_f32_e32 v[2:3], v2
	s_branch .LBB134_1295
.LBB134_1284:
	s_or_b32 exec_lo, exec_lo, s24
	s_and_saveexec_b32 s24, s23
	s_cbranch_execnz .LBB134_1361
.LBB134_1285:
	s_or_b32 exec_lo, exec_lo, s24
	s_and_saveexec_b32 s23, s27
	s_delay_alu instid0(SALU_CYCLE_1)
	s_xor_b32 s23, exec_lo, s23
	s_cbranch_execz .LBB134_1362
.LBB134_1286:
	s_wait_loadcnt 0x0
	global_load_u8 v0, v[4:5], off
	v_mov_b64_e32 v[2:3], 0
	s_or_b32 s25, s25, exec_lo
	s_wait_loadcnt 0x0
	v_cmp_ne_u16_e32 vcc_lo, 0, v0
	v_mov_b32_e32 v0, 0
	v_cndmask_b32_e64 v1, 0, 0x3ff00000, vcc_lo
	s_wait_xcnt 0x0
	s_or_b32 exec_lo, exec_lo, s23
	s_and_saveexec_b32 s23, s28
	s_cbranch_execz .LBB134_1410
	s_branch .LBB134_1363
.LBB134_1287:
	s_mov_b32 s29, -1
	s_mov_b32 s26, s23
                                        ; implicit-def: $vgpr2_vgpr3
	s_branch .LBB134_1360
.LBB134_1288:
	s_mov_b32 s26, s23
                                        ; implicit-def: $vgpr2_vgpr3
	s_cbranch_execnz .LBB134_1326
	s_branch .LBB134_1359
.LBB134_1289:
	s_mov_b32 s29, -1
	s_mov_b32 s26, s23
                                        ; implicit-def: $vgpr2_vgpr3
	s_branch .LBB134_1307
.LBB134_1290:
	s_mov_b32 s21, exec_lo
	s_and_not1_b32 s26, s26, exec_lo
	s_trap 2
	s_branch .LBB134_1276
.LBB134_1291:
	s_mov_b32 s29, -1
	s_mov_b32 s26, s23
                                        ; implicit-def: $vgpr2_vgpr3
	s_branch .LBB134_1301
.LBB134_1292:
	s_mov_b32 s29, -1
	s_mov_b32 s26, s23
	s_branch .LBB134_1294
.LBB134_1293:
	s_mov_b32 s26, -1
.LBB134_1294:
                                        ; implicit-def: $vgpr2_vgpr3
.LBB134_1295:
	s_and_b32 vcc_lo, exec_lo, s29
	s_cbranch_vccz .LBB134_1300
; %bb.1296:
	s_cmp_eq_u32 s25, 44
	s_cbranch_scc0 .LBB134_1298
; %bb.1297:
	global_load_u8 v2, v[4:5], off
	s_mov_b32 s26, 0
	s_mov_b32 s28, -1
	s_wait_loadcnt 0x0
	v_cmp_ne_u32_e32 vcc_lo, 0xff, v2
	v_lshlrev_b32_e32 v0, 23, v2
	s_delay_alu instid0(VALU_DEP_1) | instskip(NEXT) | instid1(VALU_DEP_1)
	v_cvt_f64_f32_e32 v[0:1], v0
	v_cndmask_b32_e32 v0, 0x20000000, v0, vcc_lo
	s_delay_alu instid0(VALU_DEP_2) | instskip(SKIP_1) | instid1(VALU_DEP_2)
	v_cndmask_b32_e32 v1, 0x7ff80000, v1, vcc_lo
	v_cmp_ne_u32_e32 vcc_lo, 0, v2
	v_cndmask_b32_e32 v1, 0x38000000, v1, vcc_lo
	s_delay_alu instid0(VALU_DEP_4)
	v_cndmask_b32_e32 v0, 0, v0, vcc_lo
	s_branch .LBB134_1299
.LBB134_1298:
	s_mov_b32 s26, -1
                                        ; implicit-def: $vgpr0_vgpr1
.LBB134_1299:
	v_mov_b64_e32 v[2:3], 0
.LBB134_1300:
	s_mov_b32 s29, 0
.LBB134_1301:
	s_delay_alu instid0(SALU_CYCLE_1)
	s_and_b32 vcc_lo, exec_lo, s29
	s_cbranch_vccz .LBB134_1306
; %bb.1302:
	s_cmp_eq_u32 s25, 29
	s_cbranch_scc0 .LBB134_1304
; %bb.1303:
	global_load_b64 v[0:1], v[4:5], off
	s_mov_b32 s26, 0
	s_mov_b32 s28, -1
	s_wait_loadcnt 0x0
	v_cvt_f64_u32_e32 v[2:3], v1
	v_cvt_f64_u32_e32 v[0:1], v0
	s_delay_alu instid0(VALU_DEP_2) | instskip(NEXT) | instid1(VALU_DEP_1)
	v_ldexp_f64 v[2:3], v[2:3], 32
	v_add_f64_e32 v[0:1], v[2:3], v[0:1]
	s_branch .LBB134_1305
.LBB134_1304:
	s_mov_b32 s26, -1
                                        ; implicit-def: $vgpr0_vgpr1
.LBB134_1305:
	v_mov_b64_e32 v[2:3], 0
.LBB134_1306:
	s_mov_b32 s29, 0
.LBB134_1307:
	s_delay_alu instid0(SALU_CYCLE_1)
	s_and_b32 vcc_lo, exec_lo, s29
	s_cbranch_vccz .LBB134_1325
; %bb.1308:
	s_cmp_lt_i32 s25, 27
	s_cbranch_scc1 .LBB134_1311
; %bb.1309:
	s_cmp_gt_i32 s25, 27
	s_cbranch_scc0 .LBB134_1312
; %bb.1310:
	global_load_b32 v0, v[4:5], off
	s_mov_b32 s28, 0
	s_wait_loadcnt 0x0
	v_cvt_f64_u32_e32 v[0:1], v0
	s_branch .LBB134_1313
.LBB134_1311:
	s_mov_b32 s28, -1
                                        ; implicit-def: $vgpr0_vgpr1
	s_branch .LBB134_1316
.LBB134_1312:
	s_mov_b32 s28, -1
                                        ; implicit-def: $vgpr0_vgpr1
.LBB134_1313:
	s_delay_alu instid0(SALU_CYCLE_1)
	s_and_not1_b32 vcc_lo, exec_lo, s28
	s_cbranch_vccnz .LBB134_1315
; %bb.1314:
	global_load_u16 v0, v[4:5], off
	s_wait_loadcnt 0x0
	v_cvt_f64_u32_e32 v[0:1], v0
.LBB134_1315:
	s_mov_b32 s28, 0
.LBB134_1316:
	s_delay_alu instid0(SALU_CYCLE_1)
	s_and_not1_b32 vcc_lo, exec_lo, s28
	s_cbranch_vccnz .LBB134_1324
; %bb.1317:
	global_load_u8 v2, v[4:5], off
	s_mov_b32 s28, 0
	s_mov_b32 s29, exec_lo
	s_wait_loadcnt 0x0
	v_cmpx_lt_i16_e32 0x7f, v2
	s_xor_b32 s29, exec_lo, s29
	s_cbranch_execz .LBB134_1337
; %bb.1318:
	s_mov_b32 s28, -1
	s_mov_b32 s30, exec_lo
	v_cmpx_eq_u16_e32 0x80, v2
; %bb.1319:
	s_xor_b32 s28, exec_lo, -1
; %bb.1320:
	s_or_b32 exec_lo, exec_lo, s30
	s_delay_alu instid0(SALU_CYCLE_1)
	s_and_b32 s28, s28, exec_lo
	s_or_saveexec_b32 s29, s29
	v_mov_b64_e32 v[0:1], 0x7ff8000020000000
	s_xor_b32 exec_lo, exec_lo, s29
	s_cbranch_execnz .LBB134_1338
.LBB134_1321:
	s_or_b32 exec_lo, exec_lo, s29
	s_and_saveexec_b32 s29, s28
	s_cbranch_execz .LBB134_1323
.LBB134_1322:
	v_and_b32_e32 v0, 0xffff, v2
	s_delay_alu instid0(VALU_DEP_1) | instskip(SKIP_1) | instid1(VALU_DEP_2)
	v_and_b32_e32 v1, 7, v0
	v_bfe_u32 v7, v0, 3, 4
	v_clz_i32_u32_e32 v3, v1
	s_delay_alu instid0(VALU_DEP_2) | instskip(NEXT) | instid1(VALU_DEP_2)
	v_cmp_eq_u32_e32 vcc_lo, 0, v7
	v_min_u32_e32 v3, 32, v3
	s_delay_alu instid0(VALU_DEP_1) | instskip(NEXT) | instid1(VALU_DEP_1)
	v_subrev_nc_u32_e32 v6, 28, v3
	v_dual_lshlrev_b32 v0, v6, v0 :: v_dual_sub_nc_u32 v3, 29, v3
	s_delay_alu instid0(VALU_DEP_1) | instskip(NEXT) | instid1(VALU_DEP_1)
	v_dual_lshlrev_b32 v2, 24, v2 :: v_dual_bitop2_b32 v0, 7, v0 bitop3:0x40
	v_dual_cndmask_b32 v3, v7, v3 :: v_dual_cndmask_b32 v0, v1, v0
	s_delay_alu instid0(VALU_DEP_2) | instskip(NEXT) | instid1(VALU_DEP_2)
	v_and_b32_e32 v1, 0x80000000, v2
	v_lshl_add_u32 v2, v3, 23, 0x3b800000
	s_delay_alu instid0(VALU_DEP_3) | instskip(NEXT) | instid1(VALU_DEP_1)
	v_lshlrev_b32_e32 v0, 20, v0
	v_or3_b32 v0, v1, v2, v0
	s_delay_alu instid0(VALU_DEP_1)
	v_cvt_f64_f32_e32 v[0:1], v0
.LBB134_1323:
	s_or_b32 exec_lo, exec_lo, s29
.LBB134_1324:
	v_mov_b64_e32 v[2:3], 0
	s_mov_b32 s28, -1
.LBB134_1325:
	s_branch .LBB134_1359
.LBB134_1326:
	s_cmp_gt_i32 s25, 22
	s_cbranch_scc0 .LBB134_1336
; %bb.1327:
	s_cmp_lt_i32 s25, 24
	s_cbranch_scc1 .LBB134_1339
; %bb.1328:
	s_cmp_gt_i32 s25, 24
	s_cbranch_scc0 .LBB134_1340
; %bb.1329:
	global_load_u8 v2, v[4:5], off
	s_mov_b32 s28, exec_lo
	s_wait_loadcnt 0x0
	v_cmpx_lt_i16_e32 0x7f, v2
	s_xor_b32 s28, exec_lo, s28
	s_cbranch_execz .LBB134_1352
; %bb.1330:
	s_mov_b32 s27, -1
	s_mov_b32 s29, exec_lo
	v_cmpx_eq_u16_e32 0x80, v2
; %bb.1331:
	s_xor_b32 s27, exec_lo, -1
; %bb.1332:
	s_or_b32 exec_lo, exec_lo, s29
	s_delay_alu instid0(SALU_CYCLE_1)
	s_and_b32 s27, s27, exec_lo
	s_or_saveexec_b32 s28, s28
	v_mov_b64_e32 v[0:1], 0x7ff8000020000000
	s_xor_b32 exec_lo, exec_lo, s28
	s_cbranch_execnz .LBB134_1353
.LBB134_1333:
	s_or_b32 exec_lo, exec_lo, s28
	s_and_saveexec_b32 s28, s27
	s_cbranch_execz .LBB134_1335
.LBB134_1334:
	v_and_b32_e32 v0, 0xffff, v2
	s_delay_alu instid0(VALU_DEP_1) | instskip(SKIP_1) | instid1(VALU_DEP_2)
	v_and_b32_e32 v1, 3, v0
	v_bfe_u32 v7, v0, 2, 5
	v_clz_i32_u32_e32 v3, v1
	s_delay_alu instid0(VALU_DEP_2) | instskip(NEXT) | instid1(VALU_DEP_2)
	v_cmp_eq_u32_e32 vcc_lo, 0, v7
	v_min_u32_e32 v3, 32, v3
	s_delay_alu instid0(VALU_DEP_1) | instskip(NEXT) | instid1(VALU_DEP_1)
	v_subrev_nc_u32_e32 v6, 29, v3
	v_dual_lshlrev_b32 v0, v6, v0 :: v_dual_sub_nc_u32 v3, 30, v3
	s_delay_alu instid0(VALU_DEP_1) | instskip(NEXT) | instid1(VALU_DEP_1)
	v_dual_lshlrev_b32 v2, 24, v2 :: v_dual_bitop2_b32 v0, 3, v0 bitop3:0x40
	v_dual_cndmask_b32 v3, v7, v3 :: v_dual_cndmask_b32 v0, v1, v0
	s_delay_alu instid0(VALU_DEP_2) | instskip(NEXT) | instid1(VALU_DEP_2)
	v_and_b32_e32 v1, 0x80000000, v2
	v_lshl_add_u32 v2, v3, 23, 0x37800000
	s_delay_alu instid0(VALU_DEP_3) | instskip(NEXT) | instid1(VALU_DEP_1)
	v_lshlrev_b32_e32 v0, 21, v0
	v_or3_b32 v0, v1, v2, v0
	s_delay_alu instid0(VALU_DEP_1)
	v_cvt_f64_f32_e32 v[0:1], v0
.LBB134_1335:
	s_or_b32 exec_lo, exec_lo, s28
	s_mov_b32 s27, 0
	s_branch .LBB134_1341
.LBB134_1336:
	s_mov_b32 s27, -1
                                        ; implicit-def: $vgpr0_vgpr1
	s_branch .LBB134_1347
.LBB134_1337:
	s_or_saveexec_b32 s29, s29
	v_mov_b64_e32 v[0:1], 0x7ff8000020000000
	s_xor_b32 exec_lo, exec_lo, s29
	s_cbranch_execz .LBB134_1321
.LBB134_1338:
	v_cmp_ne_u16_e32 vcc_lo, 0, v2
	v_mov_b64_e32 v[0:1], 0
	s_and_not1_b32 s28, s28, exec_lo
	s_and_b32 s30, vcc_lo, exec_lo
	s_delay_alu instid0(SALU_CYCLE_1)
	s_or_b32 s28, s28, s30
	s_or_b32 exec_lo, exec_lo, s29
	s_and_saveexec_b32 s29, s28
	s_cbranch_execnz .LBB134_1322
	s_branch .LBB134_1323
.LBB134_1339:
	s_mov_b32 s27, -1
                                        ; implicit-def: $vgpr0_vgpr1
	s_branch .LBB134_1344
.LBB134_1340:
	s_mov_b32 s27, -1
                                        ; implicit-def: $vgpr0_vgpr1
.LBB134_1341:
	s_delay_alu instid0(SALU_CYCLE_1)
	s_and_b32 vcc_lo, exec_lo, s27
	s_cbranch_vccz .LBB134_1343
; %bb.1342:
	global_load_u8 v0, v[4:5], off
	s_wait_loadcnt 0x0
	v_lshlrev_b32_e32 v0, 24, v0
	s_delay_alu instid0(VALU_DEP_1) | instskip(NEXT) | instid1(VALU_DEP_1)
	v_and_b32_e32 v1, 0x7f000000, v0
	v_clz_i32_u32_e32 v2, v1
	v_cmp_ne_u32_e32 vcc_lo, 0, v1
	v_add_nc_u32_e32 v6, 0x1000000, v1
	s_delay_alu instid0(VALU_DEP_3) | instskip(NEXT) | instid1(VALU_DEP_1)
	v_min_u32_e32 v2, 32, v2
	v_sub_nc_u32_e64 v2, v2, 4 clamp
	s_delay_alu instid0(VALU_DEP_1) | instskip(NEXT) | instid1(VALU_DEP_1)
	v_dual_lshlrev_b32 v3, v2, v1 :: v_dual_lshlrev_b32 v2, 23, v2
	v_lshrrev_b32_e32 v3, 4, v3
	s_delay_alu instid0(VALU_DEP_1) | instskip(SKIP_1) | instid1(VALU_DEP_2)
	v_sub_nc_u32_e32 v2, v3, v2
	v_ashrrev_i32_e32 v3, 8, v6
	v_add_nc_u32_e32 v2, 0x3c000000, v2
	s_delay_alu instid0(VALU_DEP_1) | instskip(NEXT) | instid1(VALU_DEP_1)
	v_and_or_b32 v2, 0x7f800000, v3, v2
	v_cndmask_b32_e32 v1, 0, v2, vcc_lo
	s_delay_alu instid0(VALU_DEP_1) | instskip(NEXT) | instid1(VALU_DEP_1)
	v_and_or_b32 v0, 0x80000000, v0, v1
	v_cvt_f64_f32_e32 v[0:1], v0
.LBB134_1343:
	s_mov_b32 s27, 0
.LBB134_1344:
	s_delay_alu instid0(SALU_CYCLE_1)
	s_and_not1_b32 vcc_lo, exec_lo, s27
	s_cbranch_vccnz .LBB134_1346
; %bb.1345:
	global_load_u8 v0, v[4:5], off
	s_wait_loadcnt 0x0
	v_lshlrev_b32_e32 v1, 25, v0
	v_lshlrev_b16 v0, 8, v0
	s_delay_alu instid0(VALU_DEP_1) | instskip(SKIP_1) | instid1(VALU_DEP_2)
	v_and_or_b32 v3, 0x7f00, v0, 0.5
	v_bfe_i32 v0, v0, 0, 16
	v_dual_add_f32 v3, -0.5, v3 :: v_dual_lshrrev_b32 v2, 4, v1
	v_cmp_gt_u32_e32 vcc_lo, 0x8000000, v1
	s_delay_alu instid0(VALU_DEP_2) | instskip(NEXT) | instid1(VALU_DEP_1)
	v_or_b32_e32 v2, 0x70000000, v2
	v_mul_f32_e32 v2, 0x7800000, v2
	s_delay_alu instid0(VALU_DEP_1) | instskip(NEXT) | instid1(VALU_DEP_1)
	v_cndmask_b32_e32 v1, v2, v3, vcc_lo
	v_and_or_b32 v0, 0x80000000, v0, v1
	s_delay_alu instid0(VALU_DEP_1)
	v_cvt_f64_f32_e32 v[0:1], v0
.LBB134_1346:
	s_mov_b32 s27, 0
	s_mov_b32 s28, -1
.LBB134_1347:
	s_and_not1_b32 vcc_lo, exec_lo, s27
	s_mov_b32 s27, 0
	s_cbranch_vccnz .LBB134_1358
; %bb.1348:
	s_cmp_gt_i32 s25, 14
	s_cbranch_scc0 .LBB134_1351
; %bb.1349:
	s_cmp_eq_u32 s25, 15
	s_cbranch_scc0 .LBB134_1354
; %bb.1350:
	global_load_u16 v0, v[4:5], off
	s_mov_b32 s26, 0
	s_mov_b32 s28, -1
	s_wait_loadcnt 0x0
	v_lshlrev_b32_e32 v0, 16, v0
	s_delay_alu instid0(VALU_DEP_1)
	v_cvt_f64_f32_e32 v[0:1], v0
	s_branch .LBB134_1356
.LBB134_1351:
	s_mov_b32 s27, -1
	s_branch .LBB134_1355
.LBB134_1352:
	s_or_saveexec_b32 s28, s28
	v_mov_b64_e32 v[0:1], 0x7ff8000020000000
	s_xor_b32 exec_lo, exec_lo, s28
	s_cbranch_execz .LBB134_1333
.LBB134_1353:
	v_cmp_ne_u16_e32 vcc_lo, 0, v2
	v_mov_b64_e32 v[0:1], 0
	s_and_not1_b32 s27, s27, exec_lo
	s_and_b32 s29, vcc_lo, exec_lo
	s_delay_alu instid0(SALU_CYCLE_1)
	s_or_b32 s27, s27, s29
	s_or_b32 exec_lo, exec_lo, s28
	s_and_saveexec_b32 s28, s27
	s_cbranch_execnz .LBB134_1334
	s_branch .LBB134_1335
.LBB134_1354:
	s_mov_b32 s26, -1
.LBB134_1355:
                                        ; implicit-def: $vgpr0_vgpr1
.LBB134_1356:
	s_and_b32 vcc_lo, exec_lo, s27
	s_mov_b32 s27, 0
	s_cbranch_vccz .LBB134_1358
; %bb.1357:
	s_cmp_lg_u32 s25, 11
	s_mov_b32 s27, -1
	s_cselect_b32 s25, -1, 0
	s_and_not1_b32 s26, s26, exec_lo
	s_and_b32 s25, s25, exec_lo
	s_delay_alu instid0(SALU_CYCLE_1)
	s_or_b32 s26, s26, s25
.LBB134_1358:
	v_mov_b64_e32 v[2:3], 0
.LBB134_1359:
	s_mov_b32 s29, 0
.LBB134_1360:
	s_and_not1_b32 s23, s23, exec_lo
	s_and_b32 s26, s26, exec_lo
	s_and_b32 s25, s28, exec_lo
	s_and_b32 s28, s29, exec_lo
	s_and_b32 s27, s27, exec_lo
	s_or_b32 s23, s23, s26
	s_wait_xcnt 0x0
	s_or_b32 exec_lo, exec_lo, s24
	s_and_saveexec_b32 s24, s23
	s_cbranch_execz .LBB134_1285
.LBB134_1361:
	s_or_b32 s21, s21, exec_lo
	s_and_not1_b32 s27, s27, exec_lo
	s_trap 2
	s_or_b32 exec_lo, exec_lo, s24
	s_and_saveexec_b32 s23, s27
	s_delay_alu instid0(SALU_CYCLE_1)
	s_xor_b32 s23, exec_lo, s23
	s_cbranch_execnz .LBB134_1286
.LBB134_1362:
	s_or_b32 exec_lo, exec_lo, s23
	s_and_saveexec_b32 s23, s28
	s_cbranch_execz .LBB134_1410
.LBB134_1363:
	s_sext_i32_i16 s24, s0
	s_delay_alu instid0(SALU_CYCLE_1)
	s_cmp_lt_i32 s24, 5
	s_cbranch_scc1 .LBB134_1368
; %bb.1364:
	s_cmp_lt_i32 s24, 8
	s_cbranch_scc1 .LBB134_1369
; %bb.1365:
	;; [unrolled: 3-line block ×3, first 2 shown]
	s_cmp_gt_i32 s24, 9
	s_cbranch_scc0 .LBB134_1371
; %bb.1367:
	s_wait_loadcnt 0x0
	global_load_b128 v[0:3], v[4:5], off
	s_mov_b32 s24, 0
	s_branch .LBB134_1372
.LBB134_1368:
                                        ; implicit-def: $vgpr2_vgpr3
	s_branch .LBB134_1390
.LBB134_1369:
                                        ; implicit-def: $vgpr2_vgpr3
	s_branch .LBB134_1378
.LBB134_1370:
	s_mov_b32 s24, -1
                                        ; implicit-def: $vgpr2_vgpr3
	s_branch .LBB134_1375
.LBB134_1371:
	s_mov_b32 s24, -1
                                        ; implicit-def: $vgpr2_vgpr3
.LBB134_1372:
	s_delay_alu instid0(SALU_CYCLE_1)
	s_and_not1_b32 vcc_lo, exec_lo, s24
	s_cbranch_vccnz .LBB134_1374
; %bb.1373:
	s_wait_loadcnt 0x0
	global_load_b64 v[2:3], v[4:5], off
	s_wait_loadcnt 0x0
	v_cvt_f64_f32_e32 v[0:1], v2
	v_cvt_f64_f32_e32 v[2:3], v3
.LBB134_1374:
	s_mov_b32 s24, 0
.LBB134_1375:
	s_delay_alu instid0(SALU_CYCLE_1)
	s_and_not1_b32 vcc_lo, exec_lo, s24
	s_cbranch_vccnz .LBB134_1377
; %bb.1376:
	s_wait_loadcnt 0x0
	global_load_b32 v0, v[4:5], off
	s_wait_loadcnt 0x0
	v_lshrrev_b32_e32 v1, 16, v0
	v_cvt_f32_f16_e32 v0, v0
	s_delay_alu instid0(VALU_DEP_2) | instskip(NEXT) | instid1(VALU_DEP_2)
	v_cvt_f32_f16_e32 v2, v1
	v_cvt_f64_f32_e32 v[0:1], v0
	s_delay_alu instid0(VALU_DEP_2)
	v_cvt_f64_f32_e32 v[2:3], v2
.LBB134_1377:
	s_cbranch_execnz .LBB134_1389
.LBB134_1378:
	s_sext_i32_i16 s24, s0
	s_delay_alu instid0(SALU_CYCLE_1)
	s_cmp_lt_i32 s24, 6
	s_cbranch_scc1 .LBB134_1381
; %bb.1379:
	s_cmp_gt_i32 s24, 6
	s_cbranch_scc0 .LBB134_1382
; %bb.1380:
	s_wait_loadcnt 0x0
	global_load_b64 v[0:1], v[4:5], off
	s_mov_b32 s24, 0
	s_branch .LBB134_1383
.LBB134_1381:
	s_mov_b32 s24, -1
                                        ; implicit-def: $vgpr0_vgpr1
	s_branch .LBB134_1386
.LBB134_1382:
	s_mov_b32 s24, -1
                                        ; implicit-def: $vgpr0_vgpr1
.LBB134_1383:
	s_delay_alu instid0(SALU_CYCLE_1)
	s_and_not1_b32 vcc_lo, exec_lo, s24
	s_cbranch_vccnz .LBB134_1385
; %bb.1384:
	s_wait_loadcnt 0x0
	global_load_b32 v0, v[4:5], off
	s_wait_loadcnt 0x0
	v_cvt_f64_f32_e32 v[0:1], v0
.LBB134_1385:
	s_mov_b32 s24, 0
.LBB134_1386:
	s_delay_alu instid0(SALU_CYCLE_1)
	s_and_not1_b32 vcc_lo, exec_lo, s24
	s_cbranch_vccnz .LBB134_1388
; %bb.1387:
	s_wait_loadcnt 0x0
	global_load_u16 v0, v[4:5], off
	s_wait_loadcnt 0x0
	v_cvt_f32_f16_e32 v0, v0
	s_delay_alu instid0(VALU_DEP_1)
	v_cvt_f64_f32_e32 v[0:1], v0
.LBB134_1388:
	s_wait_loadcnt 0x0
	v_mov_b64_e32 v[2:3], 0
.LBB134_1389:
	s_cbranch_execnz .LBB134_1409
.LBB134_1390:
	s_sext_i32_i16 s24, s0
	s_delay_alu instid0(SALU_CYCLE_1)
	s_cmp_lt_i32 s24, 2
	s_cbranch_scc1 .LBB134_1394
; %bb.1391:
	s_cmp_lt_i32 s24, 3
	s_cbranch_scc1 .LBB134_1395
; %bb.1392:
	s_cmp_gt_i32 s24, 3
	s_cbranch_scc0 .LBB134_1396
; %bb.1393:
	s_wait_loadcnt 0x0
	global_load_b64 v[0:1], v[4:5], off
	s_mov_b32 s24, 0
	s_wait_loadcnt 0x0
	v_cvt_f64_i32_e32 v[2:3], v1
	v_cvt_f64_u32_e32 v[0:1], v0
	s_delay_alu instid0(VALU_DEP_2) | instskip(NEXT) | instid1(VALU_DEP_1)
	v_ldexp_f64 v[2:3], v[2:3], 32
	v_add_f64_e32 v[0:1], v[2:3], v[0:1]
	s_branch .LBB134_1397
.LBB134_1394:
                                        ; implicit-def: $vgpr0_vgpr1
	s_branch .LBB134_1403
.LBB134_1395:
	s_mov_b32 s24, -1
                                        ; implicit-def: $vgpr0_vgpr1
	s_branch .LBB134_1400
.LBB134_1396:
	s_mov_b32 s24, -1
                                        ; implicit-def: $vgpr0_vgpr1
.LBB134_1397:
	s_delay_alu instid0(SALU_CYCLE_1)
	s_and_not1_b32 vcc_lo, exec_lo, s24
	s_cbranch_vccnz .LBB134_1399
; %bb.1398:
	s_wait_loadcnt 0x0
	global_load_b32 v0, v[4:5], off
	s_wait_loadcnt 0x0
	v_cvt_f64_i32_e32 v[0:1], v0
.LBB134_1399:
	s_mov_b32 s24, 0
.LBB134_1400:
	s_delay_alu instid0(SALU_CYCLE_1)
	s_and_not1_b32 vcc_lo, exec_lo, s24
	s_cbranch_vccnz .LBB134_1402
; %bb.1401:
	s_wait_loadcnt 0x0
	global_load_i16 v0, v[4:5], off
	s_wait_loadcnt 0x0
	v_cvt_f64_i32_e32 v[0:1], v0
.LBB134_1402:
	s_cbranch_execnz .LBB134_1408
.LBB134_1403:
	s_sext_i32_i16 s0, s0
	s_delay_alu instid0(SALU_CYCLE_1)
	s_cmp_gt_i32 s0, 0
	s_mov_b32 s0, 0
	s_cbranch_scc0 .LBB134_1405
; %bb.1404:
	s_wait_loadcnt 0x0
	global_load_i8 v0, v[4:5], off
	s_wait_loadcnt 0x0
	v_cvt_f64_i32_e32 v[0:1], v0
	s_branch .LBB134_1406
.LBB134_1405:
	s_mov_b32 s0, -1
                                        ; implicit-def: $vgpr0_vgpr1
.LBB134_1406:
	s_delay_alu instid0(SALU_CYCLE_1)
	s_and_not1_b32 vcc_lo, exec_lo, s0
	s_cbranch_vccnz .LBB134_1408
; %bb.1407:
	s_wait_loadcnt 0x0
	global_load_u8 v0, v[4:5], off
	s_wait_loadcnt 0x0
	v_cvt_f64_u32_e32 v[0:1], v0
.LBB134_1408:
	s_wait_loadcnt 0x0
	v_mov_b64_e32 v[2:3], 0
.LBB134_1409:
	s_or_b32 s25, s25, exec_lo
.LBB134_1410:
	s_wait_xcnt 0x0
	s_or_b32 exec_lo, exec_lo, s23
	s_mov_b32 s24, 0
	s_mov_b32 s23, 0
	;; [unrolled: 1-line block ×3, first 2 shown]
                                        ; implicit-def: $vgpr4_vgpr5
                                        ; implicit-def: $vgpr8_vgpr9
	s_and_saveexec_b32 s0, s25
	s_cbranch_execz .LBB134_1418
; %bb.1411:
	s_wait_loadcnt 0x0
	v_mul_lo_u32 v4, v34, s13
	s_and_b32 s23, 0xffff, s1
	s_delay_alu instid0(SALU_CYCLE_1) | instskip(NEXT) | instid1(VALU_DEP_1)
	s_cmp_lt_i32 s23, 11
	v_ashrrev_i32_e32 v5, 31, v4
	s_delay_alu instid0(VALU_DEP_1)
	v_add_nc_u64_e32 v[4:5], s[10:11], v[4:5]
	s_cbranch_scc1 .LBB134_1421
; %bb.1412:
	s_cmp_gt_i32 s23, 25
	s_mov_b32 s25, 0
	s_cbranch_scc0 .LBB134_1422
; %bb.1413:
	s_cmp_gt_i32 s23, 28
	s_cbranch_scc0 .LBB134_1423
; %bb.1414:
	s_cmp_gt_i32 s23, 43
	s_cbranch_scc0 .LBB134_1424
; %bb.1415:
	s_cmp_gt_i32 s23, 45
	s_cbranch_scc0 .LBB134_1425
; %bb.1416:
	s_cmp_eq_u32 s23, 46
	s_mov_b32 s27, 0
	s_cbranch_scc0 .LBB134_1426
; %bb.1417:
	global_load_b32 v6, v[4:5], off
	s_mov_b32 s26, -1
	s_wait_loadcnt 0x0
	v_lshlrev_b32_e32 v7, 16, v6
	v_and_b32_e32 v8, 0xffff0000, v6
	s_delay_alu instid0(VALU_DEP_2) | instskip(NEXT) | instid1(VALU_DEP_2)
	v_cvt_f64_f32_e32 v[6:7], v7
	v_cvt_f64_f32_e32 v[8:9], v8
	s_branch .LBB134_1428
.LBB134_1418:
	s_or_b32 exec_lo, exec_lo, s0
	s_and_saveexec_b32 s0, s22
	s_cbranch_execnz .LBB134_1494
.LBB134_1419:
	s_or_b32 exec_lo, exec_lo, s0
	s_and_saveexec_b32 s0, s24
	s_delay_alu instid0(SALU_CYCLE_1)
	s_xor_b32 s0, exec_lo, s0
	s_cbranch_execz .LBB134_1495
.LBB134_1420:
	s_wait_loadcnt 0x0
	global_load_u8 v6, v[4:5], off
	v_mov_b64_e32 v[8:9], 0
	s_or_b32 s26, s26, exec_lo
	s_wait_loadcnt 0x0
	v_cmp_ne_u16_e32 vcc_lo, 0, v6
	v_mov_b32_e32 v6, 0
	v_cndmask_b32_e64 v7, 0, 0x3ff00000, vcc_lo
	s_wait_xcnt 0x0
	s_or_b32 exec_lo, exec_lo, s0
	s_and_saveexec_b32 s0, s23
	s_cbranch_execz .LBB134_1543
	s_branch .LBB134_1496
.LBB134_1421:
	s_mov_b32 s23, -1
	s_mov_b32 s25, 0
	s_mov_b32 s24, s22
                                        ; implicit-def: $vgpr8_vgpr9
	s_branch .LBB134_1493
.LBB134_1422:
	s_mov_b32 s24, s22
                                        ; implicit-def: $vgpr8_vgpr9
	s_cbranch_execnz .LBB134_1459
	s_branch .LBB134_1492
.LBB134_1423:
	s_mov_b32 s27, -1
	s_mov_b32 s24, s22
                                        ; implicit-def: $vgpr8_vgpr9
	s_branch .LBB134_1440
.LBB134_1424:
	s_mov_b32 s27, -1
	s_mov_b32 s24, s22
                                        ; implicit-def: $vgpr8_vgpr9
	s_branch .LBB134_1434
.LBB134_1425:
	s_mov_b32 s27, -1
	s_mov_b32 s24, s22
	s_branch .LBB134_1427
.LBB134_1426:
	s_mov_b32 s24, -1
.LBB134_1427:
                                        ; implicit-def: $vgpr8_vgpr9
.LBB134_1428:
	s_and_b32 vcc_lo, exec_lo, s27
	s_cbranch_vccz .LBB134_1433
; %bb.1429:
	s_cmp_eq_u32 s23, 44
	s_cbranch_scc0 .LBB134_1431
; %bb.1430:
	global_load_u8 v8, v[4:5], off
	s_mov_b32 s24, 0
	s_mov_b32 s26, -1
	s_wait_loadcnt 0x0
	v_cmp_ne_u32_e32 vcc_lo, 0xff, v8
	v_lshlrev_b32_e32 v6, 23, v8
	s_delay_alu instid0(VALU_DEP_1) | instskip(NEXT) | instid1(VALU_DEP_1)
	v_cvt_f64_f32_e32 v[6:7], v6
	v_cndmask_b32_e32 v6, 0x20000000, v6, vcc_lo
	s_delay_alu instid0(VALU_DEP_2) | instskip(SKIP_1) | instid1(VALU_DEP_2)
	v_cndmask_b32_e32 v7, 0x7ff80000, v7, vcc_lo
	v_cmp_ne_u32_e32 vcc_lo, 0, v8
	v_cndmask_b32_e32 v7, 0x38000000, v7, vcc_lo
	s_delay_alu instid0(VALU_DEP_4)
	v_cndmask_b32_e32 v6, 0, v6, vcc_lo
	s_branch .LBB134_1432
.LBB134_1431:
	s_mov_b32 s24, -1
                                        ; implicit-def: $vgpr6_vgpr7
.LBB134_1432:
	v_mov_b64_e32 v[8:9], 0
.LBB134_1433:
	s_mov_b32 s27, 0
.LBB134_1434:
	s_delay_alu instid0(SALU_CYCLE_1)
	s_and_b32 vcc_lo, exec_lo, s27
	s_cbranch_vccz .LBB134_1439
; %bb.1435:
	s_cmp_eq_u32 s23, 29
	s_cbranch_scc0 .LBB134_1437
; %bb.1436:
	global_load_b64 v[6:7], v[4:5], off
	s_mov_b32 s24, 0
	s_mov_b32 s26, -1
	s_wait_loadcnt 0x0
	v_cvt_f64_u32_e32 v[8:9], v7
	v_cvt_f64_u32_e32 v[6:7], v6
	s_delay_alu instid0(VALU_DEP_2) | instskip(NEXT) | instid1(VALU_DEP_1)
	v_ldexp_f64 v[8:9], v[8:9], 32
	v_add_f64_e32 v[6:7], v[8:9], v[6:7]
	s_branch .LBB134_1438
.LBB134_1437:
	s_mov_b32 s24, -1
                                        ; implicit-def: $vgpr6_vgpr7
.LBB134_1438:
	v_mov_b64_e32 v[8:9], 0
.LBB134_1439:
	s_mov_b32 s27, 0
.LBB134_1440:
	s_delay_alu instid0(SALU_CYCLE_1)
	s_and_b32 vcc_lo, exec_lo, s27
	s_cbranch_vccz .LBB134_1458
; %bb.1441:
	s_cmp_lt_i32 s23, 27
	s_cbranch_scc1 .LBB134_1444
; %bb.1442:
	s_cmp_gt_i32 s23, 27
	s_cbranch_scc0 .LBB134_1445
; %bb.1443:
	global_load_b32 v6, v[4:5], off
	s_mov_b32 s26, 0
	s_wait_loadcnt 0x0
	v_cvt_f64_u32_e32 v[6:7], v6
	s_branch .LBB134_1446
.LBB134_1444:
	s_mov_b32 s26, -1
                                        ; implicit-def: $vgpr6_vgpr7
	s_branch .LBB134_1449
.LBB134_1445:
	s_mov_b32 s26, -1
                                        ; implicit-def: $vgpr6_vgpr7
.LBB134_1446:
	s_delay_alu instid0(SALU_CYCLE_1)
	s_and_not1_b32 vcc_lo, exec_lo, s26
	s_cbranch_vccnz .LBB134_1448
; %bb.1447:
	global_load_u16 v6, v[4:5], off
	s_wait_loadcnt 0x0
	v_cvt_f64_u32_e32 v[6:7], v6
.LBB134_1448:
	s_mov_b32 s26, 0
.LBB134_1449:
	s_delay_alu instid0(SALU_CYCLE_1)
	s_and_not1_b32 vcc_lo, exec_lo, s26
	s_cbranch_vccnz .LBB134_1457
; %bb.1450:
	global_load_u8 v8, v[4:5], off
	s_mov_b32 s26, 0
	s_mov_b32 s27, exec_lo
	s_wait_loadcnt 0x0
	v_cmpx_lt_i16_e32 0x7f, v8
	s_xor_b32 s27, exec_lo, s27
	s_cbranch_execz .LBB134_1470
; %bb.1451:
	s_mov_b32 s26, -1
	s_mov_b32 s28, exec_lo
	v_cmpx_eq_u16_e32 0x80, v8
; %bb.1452:
	s_xor_b32 s26, exec_lo, -1
; %bb.1453:
	s_or_b32 exec_lo, exec_lo, s28
	s_delay_alu instid0(SALU_CYCLE_1)
	s_and_b32 s26, s26, exec_lo
	s_or_saveexec_b32 s27, s27
	v_mov_b64_e32 v[6:7], 0x7ff8000020000000
	s_xor_b32 exec_lo, exec_lo, s27
	s_cbranch_execnz .LBB134_1471
.LBB134_1454:
	s_or_b32 exec_lo, exec_lo, s27
	s_and_saveexec_b32 s27, s26
	s_cbranch_execz .LBB134_1456
.LBB134_1455:
	v_and_b32_e32 v6, 0xffff, v8
	s_delay_alu instid0(VALU_DEP_1) | instskip(SKIP_1) | instid1(VALU_DEP_2)
	v_and_b32_e32 v7, 7, v6
	v_bfe_u32 v11, v6, 3, 4
	v_clz_i32_u32_e32 v9, v7
	s_delay_alu instid0(VALU_DEP_2) | instskip(NEXT) | instid1(VALU_DEP_2)
	v_cmp_eq_u32_e32 vcc_lo, 0, v11
	v_min_u32_e32 v9, 32, v9
	s_delay_alu instid0(VALU_DEP_1) | instskip(NEXT) | instid1(VALU_DEP_1)
	v_subrev_nc_u32_e32 v10, 28, v9
	v_dual_lshlrev_b32 v6, v10, v6 :: v_dual_sub_nc_u32 v9, 29, v9
	s_delay_alu instid0(VALU_DEP_1) | instskip(NEXT) | instid1(VALU_DEP_2)
	v_dual_lshlrev_b32 v8, 24, v8 :: v_dual_bitop2_b32 v6, 7, v6 bitop3:0x40
	v_cndmask_b32_e32 v9, v11, v9, vcc_lo
	s_delay_alu instid0(VALU_DEP_2) | instskip(NEXT) | instid1(VALU_DEP_3)
	v_cndmask_b32_e32 v6, v7, v6, vcc_lo
	v_and_b32_e32 v7, 0x80000000, v8
	s_delay_alu instid0(VALU_DEP_3) | instskip(NEXT) | instid1(VALU_DEP_3)
	v_lshl_add_u32 v8, v9, 23, 0x3b800000
	v_lshlrev_b32_e32 v6, 20, v6
	s_delay_alu instid0(VALU_DEP_1) | instskip(NEXT) | instid1(VALU_DEP_1)
	v_or3_b32 v6, v7, v8, v6
	v_cvt_f64_f32_e32 v[6:7], v6
.LBB134_1456:
	s_or_b32 exec_lo, exec_lo, s27
.LBB134_1457:
	v_mov_b64_e32 v[8:9], 0
	s_mov_b32 s26, -1
.LBB134_1458:
	s_branch .LBB134_1492
.LBB134_1459:
	s_cmp_gt_i32 s23, 22
	s_cbranch_scc0 .LBB134_1469
; %bb.1460:
	s_cmp_lt_i32 s23, 24
	s_cbranch_scc1 .LBB134_1472
; %bb.1461:
	s_cmp_gt_i32 s23, 24
	s_cbranch_scc0 .LBB134_1473
; %bb.1462:
	global_load_u8 v8, v[4:5], off
	s_mov_b32 s26, exec_lo
	s_wait_loadcnt 0x0
	v_cmpx_lt_i16_e32 0x7f, v8
	s_xor_b32 s26, exec_lo, s26
	s_cbranch_execz .LBB134_1485
; %bb.1463:
	s_mov_b32 s25, -1
	s_mov_b32 s27, exec_lo
	v_cmpx_eq_u16_e32 0x80, v8
; %bb.1464:
	s_xor_b32 s25, exec_lo, -1
; %bb.1465:
	s_or_b32 exec_lo, exec_lo, s27
	s_delay_alu instid0(SALU_CYCLE_1)
	s_and_b32 s25, s25, exec_lo
	s_or_saveexec_b32 s26, s26
	v_mov_b64_e32 v[6:7], 0x7ff8000020000000
	s_xor_b32 exec_lo, exec_lo, s26
	s_cbranch_execnz .LBB134_1486
.LBB134_1466:
	s_or_b32 exec_lo, exec_lo, s26
	s_and_saveexec_b32 s26, s25
	s_cbranch_execz .LBB134_1468
.LBB134_1467:
	v_and_b32_e32 v6, 0xffff, v8
	s_delay_alu instid0(VALU_DEP_1) | instskip(SKIP_1) | instid1(VALU_DEP_2)
	v_and_b32_e32 v7, 3, v6
	v_bfe_u32 v11, v6, 2, 5
	v_clz_i32_u32_e32 v9, v7
	s_delay_alu instid0(VALU_DEP_2) | instskip(NEXT) | instid1(VALU_DEP_2)
	v_cmp_eq_u32_e32 vcc_lo, 0, v11
	v_min_u32_e32 v9, 32, v9
	s_delay_alu instid0(VALU_DEP_1) | instskip(NEXT) | instid1(VALU_DEP_1)
	v_subrev_nc_u32_e32 v10, 29, v9
	v_dual_lshlrev_b32 v6, v10, v6 :: v_dual_sub_nc_u32 v9, 30, v9
	s_delay_alu instid0(VALU_DEP_1) | instskip(NEXT) | instid1(VALU_DEP_2)
	v_dual_lshlrev_b32 v8, 24, v8 :: v_dual_bitop2_b32 v6, 3, v6 bitop3:0x40
	v_cndmask_b32_e32 v9, v11, v9, vcc_lo
	s_delay_alu instid0(VALU_DEP_2) | instskip(NEXT) | instid1(VALU_DEP_3)
	v_cndmask_b32_e32 v6, v7, v6, vcc_lo
	v_and_b32_e32 v7, 0x80000000, v8
	s_delay_alu instid0(VALU_DEP_3) | instskip(NEXT) | instid1(VALU_DEP_3)
	v_lshl_add_u32 v8, v9, 23, 0x37800000
	v_lshlrev_b32_e32 v6, 21, v6
	s_delay_alu instid0(VALU_DEP_1) | instskip(NEXT) | instid1(VALU_DEP_1)
	v_or3_b32 v6, v7, v8, v6
	v_cvt_f64_f32_e32 v[6:7], v6
.LBB134_1468:
	s_or_b32 exec_lo, exec_lo, s26
	s_mov_b32 s25, 0
	s_branch .LBB134_1474
.LBB134_1469:
	s_mov_b32 s25, -1
                                        ; implicit-def: $vgpr6_vgpr7
	s_branch .LBB134_1480
.LBB134_1470:
	s_or_saveexec_b32 s27, s27
	v_mov_b64_e32 v[6:7], 0x7ff8000020000000
	s_xor_b32 exec_lo, exec_lo, s27
	s_cbranch_execz .LBB134_1454
.LBB134_1471:
	v_cmp_ne_u16_e32 vcc_lo, 0, v8
	v_mov_b64_e32 v[6:7], 0
	s_and_not1_b32 s26, s26, exec_lo
	s_and_b32 s28, vcc_lo, exec_lo
	s_delay_alu instid0(SALU_CYCLE_1)
	s_or_b32 s26, s26, s28
	s_or_b32 exec_lo, exec_lo, s27
	s_and_saveexec_b32 s27, s26
	s_cbranch_execnz .LBB134_1455
	s_branch .LBB134_1456
.LBB134_1472:
	s_mov_b32 s25, -1
                                        ; implicit-def: $vgpr6_vgpr7
	s_branch .LBB134_1477
.LBB134_1473:
	s_mov_b32 s25, -1
                                        ; implicit-def: $vgpr6_vgpr7
.LBB134_1474:
	s_delay_alu instid0(SALU_CYCLE_1)
	s_and_b32 vcc_lo, exec_lo, s25
	s_cbranch_vccz .LBB134_1476
; %bb.1475:
	global_load_u8 v6, v[4:5], off
	s_wait_loadcnt 0x0
	v_lshlrev_b32_e32 v6, 24, v6
	s_delay_alu instid0(VALU_DEP_1) | instskip(NEXT) | instid1(VALU_DEP_1)
	v_and_b32_e32 v7, 0x7f000000, v6
	v_clz_i32_u32_e32 v8, v7
	v_cmp_ne_u32_e32 vcc_lo, 0, v7
	v_add_nc_u32_e32 v10, 0x1000000, v7
	s_delay_alu instid0(VALU_DEP_3) | instskip(NEXT) | instid1(VALU_DEP_1)
	v_min_u32_e32 v8, 32, v8
	v_sub_nc_u32_e64 v8, v8, 4 clamp
	s_delay_alu instid0(VALU_DEP_1) | instskip(NEXT) | instid1(VALU_DEP_1)
	v_dual_lshlrev_b32 v9, v8, v7 :: v_dual_lshlrev_b32 v8, 23, v8
	v_lshrrev_b32_e32 v9, 4, v9
	s_delay_alu instid0(VALU_DEP_1) | instskip(NEXT) | instid1(VALU_DEP_1)
	v_dual_sub_nc_u32 v8, v9, v8 :: v_dual_ashrrev_i32 v9, 8, v10
	v_add_nc_u32_e32 v8, 0x3c000000, v8
	s_delay_alu instid0(VALU_DEP_1) | instskip(NEXT) | instid1(VALU_DEP_1)
	v_and_or_b32 v8, 0x7f800000, v9, v8
	v_cndmask_b32_e32 v7, 0, v8, vcc_lo
	s_delay_alu instid0(VALU_DEP_1) | instskip(NEXT) | instid1(VALU_DEP_1)
	v_and_or_b32 v6, 0x80000000, v6, v7
	v_cvt_f64_f32_e32 v[6:7], v6
.LBB134_1476:
	s_mov_b32 s25, 0
.LBB134_1477:
	s_delay_alu instid0(SALU_CYCLE_1)
	s_and_not1_b32 vcc_lo, exec_lo, s25
	s_cbranch_vccnz .LBB134_1479
; %bb.1478:
	global_load_u8 v6, v[4:5], off
	s_wait_loadcnt 0x0
	v_lshlrev_b32_e32 v7, 25, v6
	v_lshlrev_b16 v6, 8, v6
	s_delay_alu instid0(VALU_DEP_1) | instskip(SKIP_1) | instid1(VALU_DEP_2)
	v_and_or_b32 v9, 0x7f00, v6, 0.5
	v_bfe_i32 v6, v6, 0, 16
	v_dual_add_f32 v9, -0.5, v9 :: v_dual_lshrrev_b32 v8, 4, v7
	v_cmp_gt_u32_e32 vcc_lo, 0x8000000, v7
	s_delay_alu instid0(VALU_DEP_2) | instskip(NEXT) | instid1(VALU_DEP_1)
	v_or_b32_e32 v8, 0x70000000, v8
	v_mul_f32_e32 v8, 0x7800000, v8
	s_delay_alu instid0(VALU_DEP_1) | instskip(NEXT) | instid1(VALU_DEP_1)
	v_cndmask_b32_e32 v7, v8, v9, vcc_lo
	v_and_or_b32 v6, 0x80000000, v6, v7
	s_delay_alu instid0(VALU_DEP_1)
	v_cvt_f64_f32_e32 v[6:7], v6
.LBB134_1479:
	s_mov_b32 s25, 0
	s_mov_b32 s26, -1
.LBB134_1480:
	s_and_not1_b32 vcc_lo, exec_lo, s25
	s_mov_b32 s25, 0
	s_cbranch_vccnz .LBB134_1491
; %bb.1481:
	s_cmp_gt_i32 s23, 14
	s_cbranch_scc0 .LBB134_1484
; %bb.1482:
	s_cmp_eq_u32 s23, 15
	s_cbranch_scc0 .LBB134_1487
; %bb.1483:
	global_load_u16 v6, v[4:5], off
	s_mov_b32 s24, 0
	s_mov_b32 s26, -1
	s_wait_loadcnt 0x0
	v_lshlrev_b32_e32 v6, 16, v6
	s_delay_alu instid0(VALU_DEP_1)
	v_cvt_f64_f32_e32 v[6:7], v6
	s_branch .LBB134_1489
.LBB134_1484:
	s_mov_b32 s25, -1
	s_branch .LBB134_1488
.LBB134_1485:
	s_or_saveexec_b32 s26, s26
	v_mov_b64_e32 v[6:7], 0x7ff8000020000000
	s_xor_b32 exec_lo, exec_lo, s26
	s_cbranch_execz .LBB134_1466
.LBB134_1486:
	v_cmp_ne_u16_e32 vcc_lo, 0, v8
	v_mov_b64_e32 v[6:7], 0
	s_and_not1_b32 s25, s25, exec_lo
	s_and_b32 s27, vcc_lo, exec_lo
	s_delay_alu instid0(SALU_CYCLE_1)
	s_or_b32 s25, s25, s27
	s_or_b32 exec_lo, exec_lo, s26
	s_and_saveexec_b32 s26, s25
	s_cbranch_execnz .LBB134_1467
	s_branch .LBB134_1468
.LBB134_1487:
	s_mov_b32 s24, -1
.LBB134_1488:
                                        ; implicit-def: $vgpr6_vgpr7
.LBB134_1489:
	s_and_b32 vcc_lo, exec_lo, s25
	s_mov_b32 s25, 0
	s_cbranch_vccz .LBB134_1491
; %bb.1490:
	s_cmp_lg_u32 s23, 11
	s_mov_b32 s25, -1
	s_cselect_b32 s23, -1, 0
	s_and_not1_b32 s24, s24, exec_lo
	s_and_b32 s23, s23, exec_lo
	s_delay_alu instid0(SALU_CYCLE_1)
	s_or_b32 s24, s24, s23
.LBB134_1491:
	v_mov_b64_e32 v[8:9], 0
.LBB134_1492:
	s_mov_b32 s23, 0
.LBB134_1493:
	s_and_not1_b32 s22, s22, exec_lo
	s_and_b32 s27, s24, exec_lo
	s_and_b32 s26, s26, exec_lo
	;; [unrolled: 1-line block ×4, first 2 shown]
	s_or_b32 s22, s22, s27
	s_wait_xcnt 0x0
	s_or_b32 exec_lo, exec_lo, s0
	s_and_saveexec_b32 s0, s22
	s_cbranch_execz .LBB134_1419
.LBB134_1494:
	s_or_b32 s21, s21, exec_lo
	s_and_not1_b32 s24, s24, exec_lo
	s_trap 2
	s_or_b32 exec_lo, exec_lo, s0
	s_and_saveexec_b32 s0, s24
	s_delay_alu instid0(SALU_CYCLE_1)
	s_xor_b32 s0, exec_lo, s0
	s_cbranch_execnz .LBB134_1420
.LBB134_1495:
	s_or_b32 exec_lo, exec_lo, s0
	s_and_saveexec_b32 s0, s23
	s_cbranch_execz .LBB134_1543
.LBB134_1496:
	s_sext_i32_i16 s22, s1
	s_delay_alu instid0(SALU_CYCLE_1)
	s_cmp_lt_i32 s22, 5
	s_cbranch_scc1 .LBB134_1501
; %bb.1497:
	s_cmp_lt_i32 s22, 8
	s_cbranch_scc1 .LBB134_1502
; %bb.1498:
	;; [unrolled: 3-line block ×3, first 2 shown]
	s_cmp_gt_i32 s22, 9
	s_cbranch_scc0 .LBB134_1504
; %bb.1500:
	s_wait_loadcnt 0x0
	global_load_b128 v[6:9], v[4:5], off
	s_mov_b32 s22, 0
	s_branch .LBB134_1505
.LBB134_1501:
                                        ; implicit-def: $vgpr8_vgpr9
	s_branch .LBB134_1523
.LBB134_1502:
                                        ; implicit-def: $vgpr8_vgpr9
	s_branch .LBB134_1511
.LBB134_1503:
	s_mov_b32 s22, -1
                                        ; implicit-def: $vgpr8_vgpr9
	s_branch .LBB134_1508
.LBB134_1504:
	s_mov_b32 s22, -1
                                        ; implicit-def: $vgpr8_vgpr9
.LBB134_1505:
	s_delay_alu instid0(SALU_CYCLE_1)
	s_and_not1_b32 vcc_lo, exec_lo, s22
	s_cbranch_vccnz .LBB134_1507
; %bb.1506:
	s_wait_loadcnt 0x0
	global_load_b64 v[8:9], v[4:5], off
	s_wait_loadcnt 0x0
	v_cvt_f64_f32_e32 v[6:7], v8
	v_cvt_f64_f32_e32 v[8:9], v9
.LBB134_1507:
	s_mov_b32 s22, 0
.LBB134_1508:
	s_delay_alu instid0(SALU_CYCLE_1)
	s_and_not1_b32 vcc_lo, exec_lo, s22
	s_cbranch_vccnz .LBB134_1510
; %bb.1509:
	s_wait_loadcnt 0x0
	global_load_b32 v6, v[4:5], off
	s_wait_loadcnt 0x0
	v_lshrrev_b32_e32 v7, 16, v6
	v_cvt_f32_f16_e32 v6, v6
	s_delay_alu instid0(VALU_DEP_2) | instskip(NEXT) | instid1(VALU_DEP_2)
	v_cvt_f32_f16_e32 v8, v7
	v_cvt_f64_f32_e32 v[6:7], v6
	s_delay_alu instid0(VALU_DEP_2)
	v_cvt_f64_f32_e32 v[8:9], v8
.LBB134_1510:
	s_cbranch_execnz .LBB134_1522
.LBB134_1511:
	s_sext_i32_i16 s22, s1
	s_delay_alu instid0(SALU_CYCLE_1)
	s_cmp_lt_i32 s22, 6
	s_cbranch_scc1 .LBB134_1514
; %bb.1512:
	s_cmp_gt_i32 s22, 6
	s_cbranch_scc0 .LBB134_1515
; %bb.1513:
	s_wait_loadcnt 0x0
	global_load_b64 v[6:7], v[4:5], off
	s_mov_b32 s22, 0
	s_branch .LBB134_1516
.LBB134_1514:
	s_mov_b32 s22, -1
                                        ; implicit-def: $vgpr6_vgpr7
	s_branch .LBB134_1519
.LBB134_1515:
	s_mov_b32 s22, -1
                                        ; implicit-def: $vgpr6_vgpr7
.LBB134_1516:
	s_delay_alu instid0(SALU_CYCLE_1)
	s_and_not1_b32 vcc_lo, exec_lo, s22
	s_cbranch_vccnz .LBB134_1518
; %bb.1517:
	s_wait_loadcnt 0x0
	global_load_b32 v6, v[4:5], off
	s_wait_loadcnt 0x0
	v_cvt_f64_f32_e32 v[6:7], v6
.LBB134_1518:
	s_mov_b32 s22, 0
.LBB134_1519:
	s_delay_alu instid0(SALU_CYCLE_1)
	s_and_not1_b32 vcc_lo, exec_lo, s22
	s_cbranch_vccnz .LBB134_1521
; %bb.1520:
	s_wait_loadcnt 0x0
	global_load_u16 v6, v[4:5], off
	s_wait_loadcnt 0x0
	v_cvt_f32_f16_e32 v6, v6
	s_delay_alu instid0(VALU_DEP_1)
	v_cvt_f64_f32_e32 v[6:7], v6
.LBB134_1521:
	s_wait_loadcnt 0x0
	v_mov_b64_e32 v[8:9], 0
.LBB134_1522:
	s_cbranch_execnz .LBB134_1542
.LBB134_1523:
	s_sext_i32_i16 s22, s1
	s_delay_alu instid0(SALU_CYCLE_1)
	s_cmp_lt_i32 s22, 2
	s_cbranch_scc1 .LBB134_1527
; %bb.1524:
	s_cmp_lt_i32 s22, 3
	s_cbranch_scc1 .LBB134_1528
; %bb.1525:
	s_cmp_gt_i32 s22, 3
	s_cbranch_scc0 .LBB134_1529
; %bb.1526:
	s_wait_loadcnt 0x0
	global_load_b64 v[6:7], v[4:5], off
	s_mov_b32 s22, 0
	s_wait_loadcnt 0x0
	v_cvt_f64_i32_e32 v[8:9], v7
	v_cvt_f64_u32_e32 v[6:7], v6
	s_delay_alu instid0(VALU_DEP_2) | instskip(NEXT) | instid1(VALU_DEP_1)
	v_ldexp_f64 v[8:9], v[8:9], 32
	v_add_f64_e32 v[6:7], v[8:9], v[6:7]
	s_branch .LBB134_1530
.LBB134_1527:
                                        ; implicit-def: $vgpr6_vgpr7
	s_branch .LBB134_1536
.LBB134_1528:
	s_mov_b32 s22, -1
                                        ; implicit-def: $vgpr6_vgpr7
	s_branch .LBB134_1533
.LBB134_1529:
	s_mov_b32 s22, -1
                                        ; implicit-def: $vgpr6_vgpr7
.LBB134_1530:
	s_delay_alu instid0(SALU_CYCLE_1)
	s_and_not1_b32 vcc_lo, exec_lo, s22
	s_cbranch_vccnz .LBB134_1532
; %bb.1531:
	s_wait_loadcnt 0x0
	global_load_b32 v6, v[4:5], off
	s_wait_loadcnt 0x0
	v_cvt_f64_i32_e32 v[6:7], v6
.LBB134_1532:
	s_mov_b32 s22, 0
.LBB134_1533:
	s_delay_alu instid0(SALU_CYCLE_1)
	s_and_not1_b32 vcc_lo, exec_lo, s22
	s_cbranch_vccnz .LBB134_1535
; %bb.1534:
	s_wait_loadcnt 0x0
	global_load_i16 v6, v[4:5], off
	s_wait_loadcnt 0x0
	v_cvt_f64_i32_e32 v[6:7], v6
.LBB134_1535:
	s_cbranch_execnz .LBB134_1541
.LBB134_1536:
	s_sext_i32_i16 s22, s1
	s_delay_alu instid0(SALU_CYCLE_1)
	s_cmp_gt_i32 s22, 0
	s_mov_b32 s22, 0
	s_cbranch_scc0 .LBB134_1538
; %bb.1537:
	s_wait_loadcnt 0x0
	global_load_i8 v6, v[4:5], off
	s_wait_loadcnt 0x0
	v_cvt_f64_i32_e32 v[6:7], v6
	s_branch .LBB134_1539
.LBB134_1538:
	s_mov_b32 s22, -1
                                        ; implicit-def: $vgpr6_vgpr7
.LBB134_1539:
	s_delay_alu instid0(SALU_CYCLE_1)
	s_and_not1_b32 vcc_lo, exec_lo, s22
	s_cbranch_vccnz .LBB134_1541
; %bb.1540:
	s_wait_loadcnt 0x0
	global_load_u8 v4, v[4:5], off
	s_wait_loadcnt 0x0
	v_cvt_f64_u32_e32 v[6:7], v4
.LBB134_1541:
	s_wait_loadcnt 0x0
	v_mov_b64_e32 v[8:9], 0
.LBB134_1542:
	s_or_b32 s26, s26, exec_lo
.LBB134_1543:
	s_wait_xcnt 0x0
	s_or_b32 exec_lo, exec_lo, s0
	s_mov_b32 s0, 0
	s_mov_b32 s24, 0
                                        ; implicit-def: $sgpr22
                                        ; implicit-def: $vgpr10_vgpr11
                                        ; implicit-def: $vgpr4_vgpr5
	s_and_saveexec_b32 s23, s26
	s_cbranch_execz .LBB134_1551
; %bb.1544:
	s_wait_loadcnt 0x0
	s_delay_alu instid0(VALU_DEP_1) | instskip(SKIP_2) | instid1(SALU_CYCLE_1)
	v_mul_f64_e32 v[10:11], s[4:5], v[2:3]
	v_mul_f64_e32 v[2:3], s[6:7], v[2:3]
	s_and_b32 s22, s15, 0xff
	s_cmp_lt_i32 s22, 11
	s_delay_alu instid0(VALU_DEP_2) | instskip(NEXT) | instid1(VALU_DEP_2)
	v_fmac_f64_e32 v[10:11], s[6:7], v[0:1]
	v_fma_f64 v[0:1], s[4:5], v[0:1], -v[2:3]
	s_delay_alu instid0(VALU_DEP_2) | instskip(NEXT) | instid1(VALU_DEP_2)
	v_mul_f64_e32 v[2:3], v[10:11], v[8:9]
	v_mul_f64_e32 v[4:5], v[0:1], v[8:9]
	s_delay_alu instid0(VALU_DEP_2) | instskip(NEXT) | instid1(VALU_DEP_2)
	v_fma_f64 v[2:3], v[0:1], v[6:7], -v[2:3]
	v_fmac_f64_e32 v[4:5], v[10:11], v[6:7]
	v_mul_lo_u32 v0, v34, s14
	s_delay_alu instid0(VALU_DEP_1) | instskip(NEXT) | instid1(VALU_DEP_1)
	v_ashrrev_i32_e32 v1, 31, v0
	v_add_nc_u64_e32 v[10:11], s[2:3], v[0:1]
	s_cbranch_scc1 .LBB134_1554
; %bb.1545:
	s_and_b32 s24, 0xffff, s22
	s_mov_b32 s25, -1
	s_cmp_gt_i32 s24, 25
	s_mov_b32 s0, s20
	s_cbranch_scc0 .LBB134_1582
; %bb.1546:
	s_cmp_gt_i32 s24, 28
	s_mov_b32 s0, s20
	s_cbranch_scc0 .LBB134_1566
; %bb.1547:
	;; [unrolled: 4-line block ×4, first 2 shown]
	s_cmp_eq_u32 s24, 46
	s_mov_b32 s0, -1
	s_cbranch_scc0 .LBB134_1555
; %bb.1550:
	s_delay_alu instid0(VALU_DEP_4) | instskip(SKIP_3) | instid1(VALU_DEP_2)
	v_cvt_f32_f64_e32 v0, v[4:5]
	v_cvt_f32_f64_e32 v1, v[2:3]
	s_mov_b32 s0, 0
	s_mov_b32 s25, 0
	v_bfe_u32 v6, v0, 16, 1
	s_delay_alu instid0(VALU_DEP_2) | instskip(SKIP_1) | instid1(VALU_DEP_3)
	v_bfe_u32 v7, v1, 16, 1
	v_cmp_o_f32_e32 vcc_lo, v0, v0
	v_add3_u32 v6, v0, v6, 0x7fff
	s_delay_alu instid0(VALU_DEP_3) | instskip(NEXT) | instid1(VALU_DEP_2)
	v_add3_u32 v7, v1, v7, 0x7fff
	v_and_b32_e32 v6, 0xffff0000, v6
	s_delay_alu instid0(VALU_DEP_1) | instskip(SKIP_1) | instid1(VALU_DEP_2)
	v_dual_cndmask_b32 v0, 0x7fc00000, v6 :: v_dual_lshrrev_b32 v7, 16, v7
	v_cmp_o_f32_e32 vcc_lo, v1, v1
	v_cndmask_b32_e32 v1, 0x7fc0, v7, vcc_lo
	s_delay_alu instid0(VALU_DEP_1)
	v_or_b32_e32 v0, v0, v1
	global_store_b32 v[10:11], v0, off
	s_branch .LBB134_1556
.LBB134_1551:
	s_or_b32 exec_lo, exec_lo, s23
	s_and_saveexec_b32 s23, s20
	s_cbranch_execnz .LBB134_1624
.LBB134_1552:
	s_or_b32 exec_lo, exec_lo, s23
	s_and_saveexec_b32 s20, s0
	s_delay_alu instid0(SALU_CYCLE_1)
	s_xor_b32 s20, exec_lo, s20
	s_cbranch_execz .LBB134_1625
.LBB134_1553:
	s_wait_loadcnt 0x0
	v_cmp_neq_f64_e32 vcc_lo, 0, v[2:3]
	v_cmp_neq_f64_e64 s0, 0, v[4:5]
	s_or_b32 s0, vcc_lo, s0
	s_delay_alu instid0(SALU_CYCLE_1) | instskip(SKIP_4) | instid1(SALU_CYCLE_1)
	v_cndmask_b32_e64 v0, 0, 1, s0
	global_store_b8 v[10:11], v0, off
	s_wait_xcnt 0x0
	s_or_b32 exec_lo, exec_lo, s20
	s_and_saveexec_b32 s0, s24
	s_xor_b32 s0, exec_lo, s0
	s_cbranch_execz .LBB134_1663
	s_branch .LBB134_1626
.LBB134_1554:
	s_mov_b32 s26, 0
	s_mov_b32 s25, -1
	s_mov_b32 s0, s20
	s_branch .LBB134_1623
.LBB134_1555:
	s_mov_b32 s25, 0
.LBB134_1556:
	s_delay_alu instid0(SALU_CYCLE_1)
	s_and_b32 vcc_lo, exec_lo, s25
	s_cbranch_vccz .LBB134_1561
; %bb.1557:
	s_cmp_eq_u32 s24, 44
	s_mov_b32 s0, -1
	s_cbranch_scc0 .LBB134_1561
; %bb.1558:
	s_wait_xcnt 0x0
	v_cvt_f32_f64_e32 v0, v[2:3]
	v_mov_b32_e32 v1, 0xff
	s_mov_b32 s25, exec_lo
	s_delay_alu instid0(VALU_DEP_2) | instskip(NEXT) | instid1(VALU_DEP_1)
	v_bfe_u32 v6, v0, 23, 8
	v_cmpx_ne_u32_e32 0xff, v6
	s_cbranch_execz .LBB134_1560
; %bb.1559:
	v_and_b32_e32 v1, 0x400000, v0
	v_and_or_b32 v6, 0x3fffff, v0, v6
	v_lshrrev_b32_e32 v0, 23, v0
	s_delay_alu instid0(VALU_DEP_3) | instskip(NEXT) | instid1(VALU_DEP_3)
	v_cmp_ne_u32_e32 vcc_lo, 0, v1
	v_cmp_ne_u32_e64 s0, 0, v6
	s_and_b32 s0, vcc_lo, s0
	s_delay_alu instid0(SALU_CYCLE_1) | instskip(NEXT) | instid1(VALU_DEP_1)
	v_cndmask_b32_e64 v1, 0, 1, s0
	v_add_nc_u32_e32 v1, v0, v1
.LBB134_1560:
	s_or_b32 exec_lo, exec_lo, s25
	s_mov_b32 s0, 0
	global_store_b8 v[10:11], v1, off
.LBB134_1561:
	s_mov_b32 s25, 0
.LBB134_1562:
	s_delay_alu instid0(SALU_CYCLE_1)
	s_and_b32 vcc_lo, exec_lo, s25
	s_cbranch_vccz .LBB134_1565
; %bb.1563:
	s_cmp_eq_u32 s24, 29
	s_mov_b32 s0, -1
	s_cbranch_scc0 .LBB134_1565
; %bb.1564:
	s_wait_xcnt 0x0
	v_trunc_f64_e32 v[0:1], v[2:3]
	s_mov_b32 s0, 0
	s_mov_b32 s25, 0
	s_delay_alu instid0(VALU_DEP_1) | instskip(NEXT) | instid1(VALU_DEP_1)
	v_ldexp_f64 v[6:7], v[0:1], 0xffffffe0
	v_floor_f64_e32 v[6:7], v[6:7]
	s_delay_alu instid0(VALU_DEP_1) | instskip(SKIP_1) | instid1(VALU_DEP_2)
	v_fmamk_f64 v[0:1], v[6:7], 0xc1f00000, v[0:1]
	v_cvt_u32_f64_e32 v7, v[6:7]
	v_cvt_u32_f64_e32 v6, v[0:1]
	global_store_b64 v[10:11], v[6:7], off
	s_branch .LBB134_1566
.LBB134_1565:
	s_mov_b32 s25, 0
.LBB134_1566:
	s_delay_alu instid0(SALU_CYCLE_1)
	s_and_b32 vcc_lo, exec_lo, s25
	s_cbranch_vccz .LBB134_1581
; %bb.1567:
	s_cmp_lt_i32 s24, 27
	s_mov_b32 s25, -1
	s_cbranch_scc1 .LBB134_1573
; %bb.1568:
	s_wait_xcnt 0x0
	v_cvt_u32_f64_e32 v0, v[2:3]
	s_cmp_gt_i32 s24, 27
	s_cbranch_scc0 .LBB134_1570
; %bb.1569:
	s_mov_b32 s25, 0
	global_store_b32 v[10:11], v0, off
.LBB134_1570:
	s_and_not1_b32 vcc_lo, exec_lo, s25
	s_cbranch_vccnz .LBB134_1572
; %bb.1571:
	global_store_b16 v[10:11], v0, off
.LBB134_1572:
	s_mov_b32 s25, 0
.LBB134_1573:
	s_delay_alu instid0(SALU_CYCLE_1)
	s_and_not1_b32 vcc_lo, exec_lo, s25
	s_cbranch_vccnz .LBB134_1581
; %bb.1574:
	s_wait_xcnt 0x0
	v_cvt_f32_f64_e32 v0, v[2:3]
	v_mov_b32_e32 v6, 0x80
	s_mov_b32 s25, exec_lo
	s_delay_alu instid0(VALU_DEP_2) | instskip(NEXT) | instid1(VALU_DEP_1)
	v_and_b32_e32 v1, 0x7fffffff, v0
	v_cmpx_gt_u32_e32 0x43800000, v1
	s_cbranch_execz .LBB134_1580
; %bb.1575:
	v_cmp_lt_u32_e32 vcc_lo, 0x3bffffff, v1
	s_mov_b32 s26, 0
                                        ; implicit-def: $vgpr1
	s_and_saveexec_b32 s27, vcc_lo
	s_delay_alu instid0(SALU_CYCLE_1)
	s_xor_b32 s27, exec_lo, s27
	s_cbranch_execz .LBB134_1695
; %bb.1576:
	v_bfe_u32 v1, v0, 20, 1
	s_mov_b32 s26, exec_lo
	s_delay_alu instid0(VALU_DEP_1) | instskip(NEXT) | instid1(VALU_DEP_1)
	v_add3_u32 v1, v0, v1, 0x487ffff
	v_lshrrev_b32_e32 v1, 20, v1
	s_and_not1_saveexec_b32 s27, s27
	s_cbranch_execnz .LBB134_1696
.LBB134_1577:
	s_or_b32 exec_lo, exec_lo, s27
	v_mov_b32_e32 v6, 0
	s_and_saveexec_b32 s27, s26
.LBB134_1578:
	v_lshrrev_b32_e32 v0, 24, v0
	s_delay_alu instid0(VALU_DEP_1)
	v_and_or_b32 v6, 0x80, v0, v1
.LBB134_1579:
	s_or_b32 exec_lo, exec_lo, s27
.LBB134_1580:
	s_delay_alu instid0(SALU_CYCLE_1)
	s_or_b32 exec_lo, exec_lo, s25
	global_store_b8 v[10:11], v6, off
.LBB134_1581:
	s_mov_b32 s25, 0
.LBB134_1582:
	s_delay_alu instid0(SALU_CYCLE_1)
	s_and_b32 vcc_lo, exec_lo, s25
	s_mov_b32 s25, 0
	s_cbranch_vccz .LBB134_1622
; %bb.1583:
	s_cmp_gt_i32 s24, 22
	s_mov_b32 s26, -1
	s_cbranch_scc0 .LBB134_1615
; %bb.1584:
	s_cmp_lt_i32 s24, 24
	s_cbranch_scc1 .LBB134_1604
; %bb.1585:
	s_cmp_gt_i32 s24, 24
	s_cbranch_scc0 .LBB134_1593
; %bb.1586:
	s_wait_xcnt 0x0
	v_cvt_f32_f64_e32 v0, v[2:3]
	v_mov_b32_e32 v6, 0x80
	s_mov_b32 s26, exec_lo
	s_delay_alu instid0(VALU_DEP_2) | instskip(NEXT) | instid1(VALU_DEP_1)
	v_and_b32_e32 v1, 0x7fffffff, v0
	v_cmpx_gt_u32_e32 0x47800000, v1
	s_cbranch_execz .LBB134_1592
; %bb.1587:
	v_cmp_lt_u32_e32 vcc_lo, 0x37ffffff, v1
	s_mov_b32 s27, 0
                                        ; implicit-def: $vgpr1
	s_and_saveexec_b32 s28, vcc_lo
	s_delay_alu instid0(SALU_CYCLE_1)
	s_xor_b32 s28, exec_lo, s28
	s_cbranch_execz .LBB134_1698
; %bb.1588:
	v_bfe_u32 v1, v0, 21, 1
	s_mov_b32 s27, exec_lo
	s_delay_alu instid0(VALU_DEP_1) | instskip(NEXT) | instid1(VALU_DEP_1)
	v_add3_u32 v1, v0, v1, 0x88fffff
	v_lshrrev_b32_e32 v1, 21, v1
	s_and_not1_saveexec_b32 s28, s28
	s_cbranch_execnz .LBB134_1699
.LBB134_1589:
	s_or_b32 exec_lo, exec_lo, s28
	v_mov_b32_e32 v6, 0
	s_and_saveexec_b32 s28, s27
.LBB134_1590:
	v_lshrrev_b32_e32 v0, 24, v0
	s_delay_alu instid0(VALU_DEP_1)
	v_and_or_b32 v6, 0x80, v0, v1
.LBB134_1591:
	s_or_b32 exec_lo, exec_lo, s28
.LBB134_1592:
	s_delay_alu instid0(SALU_CYCLE_1)
	s_or_b32 exec_lo, exec_lo, s26
	s_mov_b32 s26, 0
	global_store_b8 v[10:11], v6, off
.LBB134_1593:
	s_and_b32 vcc_lo, exec_lo, s26
	s_cbranch_vccz .LBB134_1603
; %bb.1594:
	s_wait_xcnt 0x0
	v_cvt_f32_f64_e32 v0, v[2:3]
	s_mov_b32 s26, exec_lo
                                        ; implicit-def: $vgpr1
	s_delay_alu instid0(VALU_DEP_1) | instskip(NEXT) | instid1(VALU_DEP_1)
	v_and_b32_e32 v6, 0x7fffffff, v0
	v_cmpx_gt_u32_e32 0x43f00000, v6
	s_xor_b32 s26, exec_lo, s26
	s_cbranch_execz .LBB134_1600
; %bb.1595:
	s_mov_b32 s27, exec_lo
                                        ; implicit-def: $vgpr1
	v_cmpx_lt_u32_e32 0x3c7fffff, v6
	s_xor_b32 s27, exec_lo, s27
; %bb.1596:
	v_bfe_u32 v1, v0, 20, 1
	s_delay_alu instid0(VALU_DEP_1) | instskip(NEXT) | instid1(VALU_DEP_1)
	v_add3_u32 v1, v0, v1, 0x407ffff
	v_and_b32_e32 v6, 0xff00000, v1
	v_lshrrev_b32_e32 v1, 20, v1
	s_delay_alu instid0(VALU_DEP_2) | instskip(NEXT) | instid1(VALU_DEP_2)
	v_cmp_ne_u32_e32 vcc_lo, 0x7f00000, v6
	v_cndmask_b32_e32 v1, 0x7e, v1, vcc_lo
; %bb.1597:
	s_and_not1_saveexec_b32 s27, s27
; %bb.1598:
	v_add_f32_e64 v1, 0x46800000, |v0|
; %bb.1599:
	s_or_b32 exec_lo, exec_lo, s27
                                        ; implicit-def: $vgpr6
.LBB134_1600:
	s_and_not1_saveexec_b32 s26, s26
; %bb.1601:
	v_mov_b32_e32 v1, 0x7f
	v_cmp_lt_u32_e32 vcc_lo, 0x7f800000, v6
	s_delay_alu instid0(VALU_DEP_2)
	v_cndmask_b32_e32 v1, 0x7e, v1, vcc_lo
; %bb.1602:
	s_or_b32 exec_lo, exec_lo, s26
	v_lshrrev_b32_e32 v0, 24, v0
	s_delay_alu instid0(VALU_DEP_1)
	v_and_or_b32 v0, 0x80, v0, v1
	global_store_b8 v[10:11], v0, off
.LBB134_1603:
	s_mov_b32 s26, 0
.LBB134_1604:
	s_delay_alu instid0(SALU_CYCLE_1)
	s_and_not1_b32 vcc_lo, exec_lo, s26
	s_cbranch_vccnz .LBB134_1614
; %bb.1605:
	s_wait_xcnt 0x0
	v_cvt_f32_f64_e32 v0, v[2:3]
	s_mov_b32 s26, exec_lo
                                        ; implicit-def: $vgpr1
	s_delay_alu instid0(VALU_DEP_1) | instskip(NEXT) | instid1(VALU_DEP_1)
	v_and_b32_e32 v6, 0x7fffffff, v0
	v_cmpx_gt_u32_e32 0x47800000, v6
	s_xor_b32 s26, exec_lo, s26
	s_cbranch_execz .LBB134_1611
; %bb.1606:
	s_mov_b32 s27, exec_lo
                                        ; implicit-def: $vgpr1
	v_cmpx_lt_u32_e32 0x387fffff, v6
	s_xor_b32 s27, exec_lo, s27
; %bb.1607:
	v_bfe_u32 v1, v0, 21, 1
	s_delay_alu instid0(VALU_DEP_1) | instskip(NEXT) | instid1(VALU_DEP_1)
	v_add3_u32 v1, v0, v1, 0x80fffff
	v_lshrrev_b32_e32 v1, 21, v1
; %bb.1608:
	s_and_not1_saveexec_b32 s27, s27
; %bb.1609:
	v_add_f32_e64 v1, 0x43000000, |v0|
; %bb.1610:
	s_or_b32 exec_lo, exec_lo, s27
                                        ; implicit-def: $vgpr6
.LBB134_1611:
	s_and_not1_saveexec_b32 s26, s26
; %bb.1612:
	v_mov_b32_e32 v1, 0x7f
	v_cmp_lt_u32_e32 vcc_lo, 0x7f800000, v6
	s_delay_alu instid0(VALU_DEP_2)
	v_cndmask_b32_e32 v1, 0x7c, v1, vcc_lo
; %bb.1613:
	s_or_b32 exec_lo, exec_lo, s26
	v_lshrrev_b32_e32 v0, 24, v0
	s_delay_alu instid0(VALU_DEP_1)
	v_and_or_b32 v0, 0x80, v0, v1
	global_store_b8 v[10:11], v0, off
.LBB134_1614:
	s_mov_b32 s26, 0
.LBB134_1615:
	s_delay_alu instid0(SALU_CYCLE_1)
	s_and_not1_b32 vcc_lo, exec_lo, s26
	s_mov_b32 s26, 0
	s_cbranch_vccnz .LBB134_1623
; %bb.1616:
	s_cmp_gt_i32 s24, 14
	s_mov_b32 s26, -1
	s_cbranch_scc0 .LBB134_1620
; %bb.1617:
	s_cmp_eq_u32 s24, 15
	s_mov_b32 s0, -1
	s_cbranch_scc0 .LBB134_1619
; %bb.1618:
	s_wait_xcnt 0x0
	v_cvt_f32_f64_e32 v0, v[2:3]
	s_mov_b32 s0, 0
	s_delay_alu instid0(VALU_DEP_1) | instskip(SKIP_1) | instid1(VALU_DEP_2)
	v_bfe_u32 v1, v0, 16, 1
	v_cmp_o_f32_e32 vcc_lo, v0, v0
	v_add3_u32 v1, v0, v1, 0x7fff
	s_delay_alu instid0(VALU_DEP_1) | instskip(NEXT) | instid1(VALU_DEP_1)
	v_lshrrev_b32_e32 v1, 16, v1
	v_cndmask_b32_e32 v0, 0x7fc0, v1, vcc_lo
	global_store_b16 v[10:11], v0, off
.LBB134_1619:
	s_mov_b32 s26, 0
.LBB134_1620:
	s_delay_alu instid0(SALU_CYCLE_1)
	s_and_b32 vcc_lo, exec_lo, s26
	s_mov_b32 s26, 0
	s_cbranch_vccz .LBB134_1623
; %bb.1621:
	s_cmp_lg_u32 s24, 11
	s_mov_b32 s26, -1
	s_cselect_b32 s24, -1, 0
	s_and_not1_b32 s0, s0, exec_lo
	s_and_b32 s24, s24, exec_lo
	s_delay_alu instid0(SALU_CYCLE_1)
	s_or_b32 s0, s0, s24
	s_branch .LBB134_1623
.LBB134_1622:
	s_mov_b32 s26, 0
.LBB134_1623:
	s_and_b32 s24, s25, exec_lo
	s_and_not1_b32 s20, s20, exec_lo
	s_and_b32 s25, s0, exec_lo
	s_and_b32 s0, s26, exec_lo
	s_or_b32 s20, s20, s25
	s_wait_xcnt 0x0
	s_or_b32 exec_lo, exec_lo, s23
	s_and_saveexec_b32 s23, s20
	s_cbranch_execz .LBB134_1552
.LBB134_1624:
	s_or_b32 s21, s21, exec_lo
	s_and_not1_b32 s0, s0, exec_lo
	s_trap 2
	s_or_b32 exec_lo, exec_lo, s23
	s_and_saveexec_b32 s20, s0
	s_delay_alu instid0(SALU_CYCLE_1)
	s_xor_b32 s20, exec_lo, s20
	s_cbranch_execnz .LBB134_1553
.LBB134_1625:
	s_or_b32 exec_lo, exec_lo, s20
	s_and_saveexec_b32 s0, s24
	s_delay_alu instid0(SALU_CYCLE_1)
	s_xor_b32 s0, exec_lo, s0
	s_cbranch_execz .LBB134_1663
.LBB134_1626:
	s_sext_i32_i16 s23, s22
	s_mov_b32 s20, -1
	s_cmp_lt_i32 s23, 5
	s_cbranch_scc1 .LBB134_1647
; %bb.1627:
	s_cmp_lt_i32 s23, 8
	s_cbranch_scc1 .LBB134_1637
; %bb.1628:
	;; [unrolled: 3-line block ×3, first 2 shown]
	s_cmp_gt_i32 s23, 9
	s_cbranch_scc0 .LBB134_1631
; %bb.1630:
	s_mov_b32 s20, 0
	s_wait_loadcnt 0x0
	global_store_b128 v[10:11], v[2:5], off
.LBB134_1631:
	s_and_not1_b32 vcc_lo, exec_lo, s20
	s_cbranch_vccnz .LBB134_1633
; %bb.1632:
	s_wait_loadcnt 0x0
	v_cvt_f32_f64_e32 v0, v[2:3]
	v_cvt_f32_f64_e32 v1, v[4:5]
	global_store_b64 v[10:11], v[0:1], off
.LBB134_1633:
	s_mov_b32 s20, 0
.LBB134_1634:
	s_delay_alu instid0(SALU_CYCLE_1)
	s_and_not1_b32 vcc_lo, exec_lo, s20
	s_cbranch_vccnz .LBB134_1636
; %bb.1635:
	s_wait_loadcnt 0x0
	v_and_or_b32 v0, 0x1ff, v3, v2
	v_and_or_b32 v1, 0x1ff, v5, v4
	v_dual_lshrrev_b32 v4, 8, v3 :: v_dual_lshrrev_b32 v8, 8, v5
	v_bfe_u32 v6, v3, 20, 11
	s_delay_alu instid0(VALU_DEP_4) | instskip(SKIP_2) | instid1(VALU_DEP_4)
	v_cmp_ne_u32_e32 vcc_lo, 0, v0
	v_bfe_u32 v7, v5, 20, 11
	v_lshrrev_b32_e32 v16, 16, v3
	v_sub_nc_u32_e32 v9, 0x3f1, v6
	v_cndmask_b32_e64 v0, 0, 1, vcc_lo
	v_cmp_ne_u32_e32 vcc_lo, 0, v1
	v_add_nc_u32_e32 v6, 0xfffffc10, v6
	s_delay_alu instid0(VALU_DEP_3) | instskip(SKIP_2) | instid1(VALU_DEP_2)
	v_and_or_b32 v0, 0xffe, v4, v0
	v_cndmask_b32_e64 v1, 0, 1, vcc_lo
	v_sub_nc_u32_e32 v4, 0x3f1, v7
	v_and_or_b32 v1, 0xffe, v8, v1
	v_med3_i32 v8, v9, 0, 13
	v_or_b32_e32 v9, 0x1000, v0
	s_delay_alu instid0(VALU_DEP_4) | instskip(NEXT) | instid1(VALU_DEP_4)
	v_med3_i32 v4, v4, 0, 13
	v_or_b32_e32 v12, 0x1000, v1
	s_delay_alu instid0(VALU_DEP_1) | instskip(NEXT) | instid1(VALU_DEP_4)
	v_lshrrev_b32_e32 v14, v4, v12
	v_lshrrev_b32_e32 v13, v8, v9
	s_delay_alu instid0(VALU_DEP_1) | instskip(NEXT) | instid1(VALU_DEP_1)
	v_lshlrev_b32_e32 v8, v8, v13
	v_cmp_ne_u32_e32 vcc_lo, v8, v9
	v_lshl_or_b32 v9, v6, 12, v0
	v_cndmask_b32_e64 v8, 0, 1, vcc_lo
	v_lshlrev_b32_e32 v4, v4, v14
	s_delay_alu instid0(VALU_DEP_1) | instskip(SKIP_2) | instid1(VALU_DEP_2)
	v_cmp_ne_u32_e32 vcc_lo, v4, v12
	v_cndmask_b32_e64 v4, 0, 1, vcc_lo
	v_cmp_gt_i32_e32 vcc_lo, 1, v6
	v_or_b32_e32 v4, v14, v4
	v_or_b32_e32 v8, v13, v8
	v_add_nc_u32_e32 v7, 0xfffffc10, v7
	s_delay_alu instid0(VALU_DEP_2) | instskip(NEXT) | instid1(VALU_DEP_2)
	v_dual_mov_b32 v13, 0x7e00 :: v_dual_cndmask_b32 v8, v9, v8
	v_lshl_or_b32 v12, v7, 12, v1
	v_cmp_gt_i32_e32 vcc_lo, 1, v7
	s_delay_alu instid0(VALU_DEP_3) | instskip(NEXT) | instid1(VALU_DEP_3)
	v_and_b32_e32 v9, 7, v8
	v_cndmask_b32_e32 v4, v12, v4, vcc_lo
	s_delay_alu instid0(VALU_DEP_2) | instskip(NEXT) | instid1(VALU_DEP_2)
	v_cmp_lt_i32_e32 vcc_lo, 5, v9
	v_and_b32_e32 v12, 7, v4
	v_cndmask_b32_e64 v14, 0, 1, vcc_lo
	s_delay_alu instid0(VALU_DEP_2) | instskip(SKIP_4) | instid1(VALU_DEP_2)
	v_cmp_lt_i32_e32 vcc_lo, 5, v12
	v_cndmask_b32_e64 v15, 0, 1, vcc_lo
	v_cmp_eq_u32_e32 vcc_lo, 3, v12
	v_cndmask_b32_e64 v12, 0, 1, vcc_lo
	v_cmp_eq_u32_e32 vcc_lo, 3, v9
	v_dual_lshrrev_b32 v8, 2, v8 :: v_dual_bitop2_b32 v12, v12, v15 bitop3:0x54
	v_cndmask_b32_e64 v9, 0, 1, vcc_lo
	v_cmp_ne_u32_e32 vcc_lo, 0, v0
	s_delay_alu instid0(VALU_DEP_2) | instskip(SKIP_2) | instid1(VALU_DEP_3)
	v_dual_lshrrev_b32 v4, 2, v4 :: v_dual_bitop2_b32 v9, v9, v14 bitop3:0x54
	v_cndmask_b32_e32 v0, 0x7c00, v13, vcc_lo
	v_cmp_ne_u32_e32 vcc_lo, 0, v1
	v_dual_lshrrev_b32 v5, 16, v5 :: v_dual_add_nc_u32 v4, v4, v12
	s_delay_alu instid0(VALU_DEP_4)
	v_add_nc_u32_e32 v8, v8, v9
	v_and_b32_e32 v9, 0x8000, v16
	v_cndmask_b32_e32 v1, 0x7c00, v13, vcc_lo
	v_cmp_gt_i32_e32 vcc_lo, 31, v7
	v_cndmask_b32_e32 v4, 0x7c00, v4, vcc_lo
	v_cmp_gt_i32_e32 vcc_lo, 31, v6
	v_cndmask_b32_e32 v8, 0x7c00, v8, vcc_lo
	v_cmp_eq_u32_e32 vcc_lo, 0x40f, v7
	s_delay_alu instid0(VALU_DEP_4) | instskip(SKIP_1) | instid1(VALU_DEP_2)
	v_cndmask_b32_e32 v1, v4, v1, vcc_lo
	v_cmp_eq_u32_e32 vcc_lo, 0x40f, v6
	v_and_or_b32 v1, 0x8000, v5, v1
	v_cndmask_b32_e32 v0, v8, v0, vcc_lo
	s_delay_alu instid0(VALU_DEP_1) | instskip(NEXT) | instid1(VALU_DEP_1)
	v_bitop3_b32 v0, v9, 0xffff, v0 bitop3:0xc8
	v_lshl_or_b32 v0, v1, 16, v0
	global_store_b32 v[10:11], v0, off
.LBB134_1636:
	s_mov_b32 s20, 0
.LBB134_1637:
	s_delay_alu instid0(SALU_CYCLE_1)
	s_and_not1_b32 vcc_lo, exec_lo, s20
	s_cbranch_vccnz .LBB134_1646
; %bb.1638:
	s_sext_i32_i16 s23, s22
	s_mov_b32 s20, -1
	s_cmp_lt_i32 s23, 6
	s_cbranch_scc1 .LBB134_1644
; %bb.1639:
	s_cmp_gt_i32 s23, 6
	s_cbranch_scc0 .LBB134_1641
; %bb.1640:
	s_mov_b32 s20, 0
	s_wait_loadcnt 0x0
	global_store_b64 v[10:11], v[2:3], off
.LBB134_1641:
	s_and_not1_b32 vcc_lo, exec_lo, s20
	s_cbranch_vccnz .LBB134_1643
; %bb.1642:
	s_wait_loadcnt 0x0
	v_cvt_f32_f64_e32 v0, v[2:3]
	global_store_b32 v[10:11], v0, off
.LBB134_1643:
	s_mov_b32 s20, 0
.LBB134_1644:
	s_delay_alu instid0(SALU_CYCLE_1)
	s_and_not1_b32 vcc_lo, exec_lo, s20
	s_cbranch_vccnz .LBB134_1646
; %bb.1645:
	s_wait_loadcnt 0x0
	v_and_or_b32 v0, 0x1ff, v3, v2
	v_lshrrev_b32_e32 v1, 8, v3
	v_bfe_u32 v4, v3, 20, 11
	s_delay_alu instid0(VALU_DEP_3) | instskip(NEXT) | instid1(VALU_DEP_2)
	v_cmp_ne_u32_e32 vcc_lo, 0, v0
	v_sub_nc_u32_e32 v5, 0x3f1, v4
	v_cndmask_b32_e64 v0, 0, 1, vcc_lo
	s_delay_alu instid0(VALU_DEP_1) | instskip(NEXT) | instid1(VALU_DEP_3)
	v_and_or_b32 v0, 0xffe, v1, v0
	v_med3_i32 v1, v5, 0, 13
	s_delay_alu instid0(VALU_DEP_2) | instskip(NEXT) | instid1(VALU_DEP_1)
	v_or_b32_e32 v5, 0x1000, v0
	v_lshrrev_b32_e32 v6, v1, v5
	s_delay_alu instid0(VALU_DEP_1) | instskip(NEXT) | instid1(VALU_DEP_1)
	v_lshlrev_b32_e32 v1, v1, v6
	v_cmp_ne_u32_e32 vcc_lo, v1, v5
	v_cndmask_b32_e64 v1, 0, 1, vcc_lo
	s_delay_alu instid0(VALU_DEP_1) | instskip(SKIP_1) | instid1(VALU_DEP_1)
	v_or_b32_e32 v1, v6, v1
	v_add_nc_u32_e32 v4, 0xfffffc10, v4
	v_lshl_or_b32 v5, v4, 12, v0
	v_cmp_gt_i32_e32 vcc_lo, 1, v4
	s_delay_alu instid0(VALU_DEP_2) | instskip(NEXT) | instid1(VALU_DEP_1)
	v_cndmask_b32_e32 v1, v5, v1, vcc_lo
	v_dual_lshrrev_b32 v1, 2, v1 :: v_dual_bitop2_b32 v5, 7, v1 bitop3:0x40
	s_delay_alu instid0(VALU_DEP_1) | instskip(SKIP_4) | instid1(VALU_DEP_2)
	v_cmp_lt_i32_e32 vcc_lo, 5, v5
	v_cndmask_b32_e64 v6, 0, 1, vcc_lo
	v_cmp_eq_u32_e32 vcc_lo, 3, v5
	v_cndmask_b32_e64 v5, 0, 1, vcc_lo
	v_cmp_ne_u32_e32 vcc_lo, 0, v0
	v_or_b32_e32 v5, v5, v6
	s_delay_alu instid0(VALU_DEP_1) | instskip(NEXT) | instid1(VALU_DEP_1)
	v_dual_mov_b32 v6, 0x7e00 :: v_dual_add_nc_u32 v1, v1, v5
	v_cndmask_b32_e32 v0, 0x7c00, v6, vcc_lo
	v_cmp_gt_i32_e32 vcc_lo, 31, v4
	s_delay_alu instid0(VALU_DEP_3) | instskip(SKIP_1) | instid1(VALU_DEP_2)
	v_cndmask_b32_e32 v1, 0x7c00, v1, vcc_lo
	v_cmp_eq_u32_e32 vcc_lo, 0x40f, v4
	v_dual_cndmask_b32 v0, v1, v0 :: v_dual_lshrrev_b32 v1, 16, v3
	s_delay_alu instid0(VALU_DEP_1)
	v_and_or_b32 v0, 0x8000, v1, v0
	global_store_b16 v[10:11], v0, off
.LBB134_1646:
	s_mov_b32 s20, 0
.LBB134_1647:
	s_delay_alu instid0(SALU_CYCLE_1)
	s_and_not1_b32 vcc_lo, exec_lo, s20
	s_cbranch_vccnz .LBB134_1663
; %bb.1648:
	s_sext_i32_i16 s23, s22
	s_mov_b32 s20, -1
	s_cmp_lt_i32 s23, 2
	s_cbranch_scc1 .LBB134_1658
; %bb.1649:
	s_cmp_lt_i32 s23, 3
	s_cbranch_scc1 .LBB134_1655
; %bb.1650:
	s_cmp_gt_i32 s23, 3
	s_cbranch_scc0 .LBB134_1652
; %bb.1651:
	s_wait_loadcnt 0x0
	v_trunc_f64_e32 v[0:1], v[2:3]
	s_mov_b32 s20, 0
	s_delay_alu instid0(VALU_DEP_1) | instskip(NEXT) | instid1(VALU_DEP_1)
	v_ldexp_f64 v[4:5], v[0:1], 0xffffffe0
	v_floor_f64_e32 v[4:5], v[4:5]
	s_delay_alu instid0(VALU_DEP_1) | instskip(SKIP_1) | instid1(VALU_DEP_2)
	v_fmamk_f64 v[0:1], v[4:5], 0xc1f00000, v[0:1]
	v_cvt_i32_f64_e32 v5, v[4:5]
	v_cvt_u32_f64_e32 v4, v[0:1]
	global_store_b64 v[10:11], v[4:5], off
.LBB134_1652:
	s_and_not1_b32 vcc_lo, exec_lo, s20
	s_cbranch_vccnz .LBB134_1654
; %bb.1653:
	s_wait_loadcnt 0x0
	v_cvt_i32_f64_e32 v0, v[2:3]
	global_store_b32 v[10:11], v0, off
.LBB134_1654:
	s_mov_b32 s20, 0
.LBB134_1655:
	s_delay_alu instid0(SALU_CYCLE_1)
	s_and_not1_b32 vcc_lo, exec_lo, s20
	s_cbranch_vccnz .LBB134_1657
; %bb.1656:
	s_wait_loadcnt 0x0
	v_cvt_i32_f64_e32 v0, v[2:3]
	global_store_b16 v[10:11], v0, off
.LBB134_1657:
	s_mov_b32 s20, 0
.LBB134_1658:
	s_delay_alu instid0(SALU_CYCLE_1)
	s_and_not1_b32 vcc_lo, exec_lo, s20
	s_cbranch_vccnz .LBB134_1663
; %bb.1659:
	s_sext_i32_i16 s20, s22
	s_delay_alu instid0(SALU_CYCLE_1)
	s_cmp_gt_i32 s20, 0
	s_mov_b32 s20, -1
	s_cbranch_scc0 .LBB134_1661
; %bb.1660:
	s_wait_loadcnt 0x0
	v_cvt_i32_f64_e32 v0, v[2:3]
	s_mov_b32 s20, 0
	global_store_b8 v[10:11], v0, off
.LBB134_1661:
	s_and_not1_b32 vcc_lo, exec_lo, s20
	s_cbranch_vccnz .LBB134_1663
; %bb.1662:
	s_wait_loadcnt 0x0
	v_trunc_f64_e32 v[0:1], v[2:3]
	s_delay_alu instid0(VALU_DEP_1) | instskip(NEXT) | instid1(VALU_DEP_1)
	v_ldexp_f64 v[2:3], v[0:1], 0xffffffe0
	v_floor_f64_e32 v[2:3], v[2:3]
	s_delay_alu instid0(VALU_DEP_1) | instskip(NEXT) | instid1(VALU_DEP_1)
	v_fmamk_f64 v[0:1], v[2:3], 0xc1f00000, v[0:1]
	v_cvt_u32_f64_e32 v0, v[0:1]
	global_store_b8 v[10:11], v0, off
.LBB134_1663:
	s_wait_xcnt 0x0
	s_or_b32 exec_lo, exec_lo, s0
	s_delay_alu instid0(SALU_CYCLE_1)
	s_and_b32 s20, s21, exec_lo
                                        ; implicit-def: $vgpr34
.LBB134_1664:
	s_or_saveexec_b32 s19, s19
	s_mov_b32 s22, 0
                                        ; implicit-def: $sgpr21
                                        ; implicit-def: $vgpr4_vgpr5
                                        ; implicit-def: $vgpr2_vgpr3
	s_xor_b32 exec_lo, exec_lo, s19
	s_cbranch_execz .LBB134_3272
; %bb.1665:
	s_and_b32 s18, s18, 0xff
	s_delay_alu instid0(SALU_CYCLE_1)
	s_cmp_lt_i32 s18, 23
	s_cbranch_scc1 .LBB134_1669
; %bb.1666:
	s_and_b32 s21, 0xffff, s18
	s_delay_alu instid0(SALU_CYCLE_1)
	s_cmp_gt_i32 s21, 43
	s_cbranch_scc0 .LBB134_1670
; %bb.1667:
	s_cmp_gt_i32 s21, 45
	s_cbranch_scc0 .LBB134_1671
; %bb.1668:
	s_cmp_lg_u32 s21, 46
	s_mov_b32 s0, -1
	s_cselect_b32 s17, -1, 0
	s_and_not1_b32 vcc_lo, exec_lo, s22
	s_cbranch_vccz .LBB134_1672
	s_branch .LBB134_1673
.LBB134_1669:
	s_mov_b32 s0, 0
	s_cbranch_execnz .LBB134_1676
	s_branch .LBB134_1680
.LBB134_1670:
	s_mov_b32 s0, 0
	s_cbranch_execnz .LBB134_1674
	s_branch .LBB134_1675
.LBB134_1671:
	s_mov_b32 s0, 0
.LBB134_1672:
	s_cmp_eq_u32 s21, 44
	s_cselect_b32 s0, -1, 0
	s_cmp_lg_u32 s21, 44
	s_cselect_b32 s17, -1, 0
.LBB134_1673:
	s_branch .LBB134_1675
.LBB134_1674:
	s_cmp_lt_i32 s21, 30
	s_cselect_b32 s0, -1, 0
	s_cmp_gt_i32 s21, 29
	s_cselect_b32 s17, -1, 0
.LBB134_1675:
	s_branch .LBB134_1680
.LBB134_1676:
	s_and_b32 s21, 0xffff, s18
	s_mov_b32 s22, -1
	s_cmp_gt_i32 s21, 14
	s_cbranch_scc0 .LBB134_1678
; %bb.1677:
	s_cmp_eq_u32 s21, 15
	s_mov_b32 s22, 0
	s_cselect_b32 s0, -1, 0
	s_cmp_lg_u32 s21, 15
	s_cselect_b32 s17, -1, 0
.LBB134_1678:
	s_and_not1_b32 vcc_lo, exec_lo, s22
	s_cbranch_vccnz .LBB134_1680
; %bb.1679:
	s_cmp_lt_i32 s21, 12
	s_cselect_b32 s0, -1, 0
	s_cmp_gt_i32 s21, 11
	s_cselect_b32 s17, -1, 0
.LBB134_1680:
	s_delay_alu instid0(SALU_CYCLE_1)
	s_and_b32 vcc_lo, exec_lo, s17
	s_mov_b32 s17, s20
	s_cbranch_vccnz .LBB134_1693
; %bb.1681:
	s_and_not1_b32 vcc_lo, exec_lo, s0
	s_cbranch_vccnz .LBB134_3270
.LBB134_1682:
	s_wait_loadcnt 0x0
	v_mul_lo_u32 v8, s12, v34
	s_and_b32 s16, s16, 0xff
	s_delay_alu instid0(SALU_CYCLE_1) | instskip(NEXT) | instid1(VALU_DEP_1)
	s_cmp_lt_i32 s16, 11
	v_ashrrev_i32_e32 v9, 31, v8
	s_delay_alu instid0(VALU_DEP_1)
	v_add_nc_u64_e32 v[4:5], s[8:9], v[8:9]
	s_cbranch_scc1 .LBB134_1689
; %bb.1683:
	s_and_b32 s0, 0xffff, s16
	s_mov_b32 s22, 0
	s_cmp_gt_i32 s0, 25
	s_cbranch_scc0 .LBB134_1691
; %bb.1684:
	s_cmp_gt_i32 s0, 28
	s_cbranch_scc0 .LBB134_1692
; %bb.1685:
	s_cmp_gt_i32 s0, 43
	s_cbranch_scc0 .LBB134_1694
; %bb.1686:
	s_cmp_gt_i32 s0, 45
	s_cbranch_scc0 .LBB134_1697
; %bb.1687:
	s_cmp_eq_u32 s0, 46
	s_mov_b32 s24, 0
	s_cbranch_scc0 .LBB134_1700
; %bb.1688:
	global_load_b32 v0, v[4:5], off
	s_mov_b32 s21, 0
	s_mov_b32 s23, -1
	s_wait_loadcnt 0x0
	v_lshlrev_b32_e32 v1, 16, v0
	v_and_b32_e32 v2, 0xffff0000, v0
	s_delay_alu instid0(VALU_DEP_2) | instskip(NEXT) | instid1(VALU_DEP_2)
	v_cvt_f64_f32_e32 v[0:1], v1
	v_cvt_f64_f32_e32 v[2:3], v2
	s_branch .LBB134_1702
.LBB134_1689:
	s_mov_b32 s23, 0
                                        ; implicit-def: $vgpr2_vgpr3
	s_cbranch_execnz .LBB134_1770
.LBB134_1690:
	s_and_not1_b32 vcc_lo, exec_lo, s23
	s_cbranch_vccz .LBB134_1819
	s_branch .LBB134_3270
.LBB134_1691:
	s_mov_b32 s23, 0
	s_mov_b32 s21, 0
                                        ; implicit-def: $vgpr2_vgpr3
	s_cbranch_execnz .LBB134_1733
	s_branch .LBB134_1766
.LBB134_1692:
	s_mov_b32 s24, -1
	s_mov_b32 s23, 0
	s_mov_b32 s21, 0
                                        ; implicit-def: $vgpr2_vgpr3
	s_branch .LBB134_1714
.LBB134_1693:
	s_or_b32 s17, s20, exec_lo
	s_trap 2
	s_cbranch_execz .LBB134_1682
	s_branch .LBB134_3270
.LBB134_1694:
	s_mov_b32 s24, -1
	s_mov_b32 s23, 0
	s_mov_b32 s21, 0
                                        ; implicit-def: $vgpr2_vgpr3
	s_branch .LBB134_1708
.LBB134_1695:
	s_and_not1_saveexec_b32 s27, s27
	s_cbranch_execz .LBB134_1577
.LBB134_1696:
	v_add_f32_e64 v1, 0x46000000, |v0|
	s_and_not1_b32 s26, s26, exec_lo
	s_delay_alu instid0(VALU_DEP_1) | instskip(NEXT) | instid1(VALU_DEP_1)
	v_and_b32_e32 v1, 0xff, v1
	v_cmp_ne_u32_e32 vcc_lo, 0, v1
	s_and_b32 s28, vcc_lo, exec_lo
	s_delay_alu instid0(SALU_CYCLE_1)
	s_or_b32 s26, s26, s28
	s_or_b32 exec_lo, exec_lo, s27
	v_mov_b32_e32 v6, 0
	s_and_saveexec_b32 s27, s26
	s_cbranch_execnz .LBB134_1578
	s_branch .LBB134_1579
.LBB134_1697:
	s_mov_b32 s24, -1
	s_mov_b32 s23, 0
	s_mov_b32 s21, 0
	s_branch .LBB134_1701
.LBB134_1698:
	s_and_not1_saveexec_b32 s28, s28
	s_cbranch_execz .LBB134_1589
.LBB134_1699:
	v_add_f32_e64 v1, 0x42800000, |v0|
	s_and_not1_b32 s27, s27, exec_lo
	s_delay_alu instid0(VALU_DEP_1) | instskip(NEXT) | instid1(VALU_DEP_1)
	v_and_b32_e32 v1, 0xff, v1
	v_cmp_ne_u32_e32 vcc_lo, 0, v1
	s_and_b32 s29, vcc_lo, exec_lo
	s_delay_alu instid0(SALU_CYCLE_1)
	s_or_b32 s27, s27, s29
	s_or_b32 exec_lo, exec_lo, s28
	v_mov_b32_e32 v6, 0
	s_and_saveexec_b32 s28, s27
	s_cbranch_execnz .LBB134_1590
	s_branch .LBB134_1591
.LBB134_1700:
	s_mov_b32 s21, -1
	s_mov_b32 s23, 0
.LBB134_1701:
                                        ; implicit-def: $vgpr2_vgpr3
.LBB134_1702:
	s_and_b32 vcc_lo, exec_lo, s24
	s_cbranch_vccz .LBB134_1707
; %bb.1703:
	s_cmp_eq_u32 s0, 44
	s_cbranch_scc0 .LBB134_1705
; %bb.1704:
	global_load_u8 v2, v[4:5], off
	s_mov_b32 s21, 0
	s_mov_b32 s23, -1
	s_wait_loadcnt 0x0
	v_cmp_ne_u32_e32 vcc_lo, 0xff, v2
	v_lshlrev_b32_e32 v0, 23, v2
	s_delay_alu instid0(VALU_DEP_1) | instskip(NEXT) | instid1(VALU_DEP_1)
	v_cvt_f64_f32_e32 v[0:1], v0
	v_cndmask_b32_e32 v0, 0x20000000, v0, vcc_lo
	s_delay_alu instid0(VALU_DEP_2) | instskip(SKIP_1) | instid1(VALU_DEP_2)
	v_cndmask_b32_e32 v1, 0x7ff80000, v1, vcc_lo
	v_cmp_ne_u32_e32 vcc_lo, 0, v2
	v_cndmask_b32_e32 v1, 0x38000000, v1, vcc_lo
	s_delay_alu instid0(VALU_DEP_4)
	v_cndmask_b32_e32 v0, 0, v0, vcc_lo
	s_branch .LBB134_1706
.LBB134_1705:
	s_mov_b32 s21, -1
                                        ; implicit-def: $vgpr0_vgpr1
.LBB134_1706:
	v_mov_b64_e32 v[2:3], 0
.LBB134_1707:
	s_mov_b32 s24, 0
.LBB134_1708:
	s_delay_alu instid0(SALU_CYCLE_1)
	s_and_b32 vcc_lo, exec_lo, s24
	s_cbranch_vccz .LBB134_1713
; %bb.1709:
	s_cmp_eq_u32 s0, 29
	s_cbranch_scc0 .LBB134_1711
; %bb.1710:
	global_load_b64 v[0:1], v[4:5], off
	s_mov_b32 s21, 0
	s_mov_b32 s23, -1
	s_wait_loadcnt 0x0
	v_cvt_f64_u32_e32 v[2:3], v1
	v_cvt_f64_u32_e32 v[0:1], v0
	s_delay_alu instid0(VALU_DEP_2) | instskip(NEXT) | instid1(VALU_DEP_1)
	v_ldexp_f64 v[2:3], v[2:3], 32
	v_add_f64_e32 v[0:1], v[2:3], v[0:1]
	s_branch .LBB134_1712
.LBB134_1711:
	s_mov_b32 s21, -1
                                        ; implicit-def: $vgpr0_vgpr1
.LBB134_1712:
	v_mov_b64_e32 v[2:3], 0
.LBB134_1713:
	s_mov_b32 s24, 0
.LBB134_1714:
	s_delay_alu instid0(SALU_CYCLE_1)
	s_and_b32 vcc_lo, exec_lo, s24
	s_cbranch_vccz .LBB134_1732
; %bb.1715:
	s_cmp_lt_i32 s0, 27
	s_cbranch_scc1 .LBB134_1718
; %bb.1716:
	s_cmp_gt_i32 s0, 27
	s_cbranch_scc0 .LBB134_1719
; %bb.1717:
	global_load_b32 v0, v[4:5], off
	s_mov_b32 s23, 0
	s_wait_loadcnt 0x0
	v_cvt_f64_u32_e32 v[0:1], v0
	s_branch .LBB134_1720
.LBB134_1718:
	s_mov_b32 s23, -1
                                        ; implicit-def: $vgpr0_vgpr1
	s_branch .LBB134_1723
.LBB134_1719:
	s_mov_b32 s23, -1
                                        ; implicit-def: $vgpr0_vgpr1
.LBB134_1720:
	s_delay_alu instid0(SALU_CYCLE_1)
	s_and_not1_b32 vcc_lo, exec_lo, s23
	s_cbranch_vccnz .LBB134_1722
; %bb.1721:
	global_load_u16 v0, v[4:5], off
	s_wait_loadcnt 0x0
	v_cvt_f64_u32_e32 v[0:1], v0
.LBB134_1722:
	s_mov_b32 s23, 0
.LBB134_1723:
	s_delay_alu instid0(SALU_CYCLE_1)
	s_and_not1_b32 vcc_lo, exec_lo, s23
	s_cbranch_vccnz .LBB134_1731
; %bb.1724:
	global_load_u8 v2, v[4:5], off
	s_mov_b32 s23, 0
	s_mov_b32 s24, exec_lo
	s_wait_loadcnt 0x0
	v_cmpx_lt_i16_e32 0x7f, v2
	s_xor_b32 s24, exec_lo, s24
	s_cbranch_execz .LBB134_1744
; %bb.1725:
	s_mov_b32 s23, -1
	s_mov_b32 s25, exec_lo
	v_cmpx_eq_u16_e32 0x80, v2
; %bb.1726:
	s_xor_b32 s23, exec_lo, -1
; %bb.1727:
	s_or_b32 exec_lo, exec_lo, s25
	s_delay_alu instid0(SALU_CYCLE_1)
	s_and_b32 s23, s23, exec_lo
	s_or_saveexec_b32 s24, s24
	v_mov_b64_e32 v[0:1], 0x7ff8000020000000
	s_xor_b32 exec_lo, exec_lo, s24
	s_cbranch_execnz .LBB134_1745
.LBB134_1728:
	s_or_b32 exec_lo, exec_lo, s24
	s_and_saveexec_b32 s24, s23
	s_cbranch_execz .LBB134_1730
.LBB134_1729:
	v_and_b32_e32 v0, 0xffff, v2
	s_delay_alu instid0(VALU_DEP_1) | instskip(SKIP_1) | instid1(VALU_DEP_2)
	v_and_b32_e32 v1, 7, v0
	v_bfe_u32 v7, v0, 3, 4
	v_clz_i32_u32_e32 v3, v1
	s_delay_alu instid0(VALU_DEP_2) | instskip(NEXT) | instid1(VALU_DEP_2)
	v_cmp_eq_u32_e32 vcc_lo, 0, v7
	v_min_u32_e32 v3, 32, v3
	s_delay_alu instid0(VALU_DEP_1) | instskip(NEXT) | instid1(VALU_DEP_1)
	v_subrev_nc_u32_e32 v6, 28, v3
	v_dual_lshlrev_b32 v0, v6, v0 :: v_dual_sub_nc_u32 v3, 29, v3
	s_delay_alu instid0(VALU_DEP_1) | instskip(NEXT) | instid1(VALU_DEP_1)
	v_dual_lshlrev_b32 v2, 24, v2 :: v_dual_bitop2_b32 v0, 7, v0 bitop3:0x40
	v_dual_cndmask_b32 v3, v7, v3 :: v_dual_cndmask_b32 v0, v1, v0
	s_delay_alu instid0(VALU_DEP_2) | instskip(NEXT) | instid1(VALU_DEP_2)
	v_and_b32_e32 v1, 0x80000000, v2
	v_lshl_add_u32 v2, v3, 23, 0x3b800000
	s_delay_alu instid0(VALU_DEP_3) | instskip(NEXT) | instid1(VALU_DEP_1)
	v_lshlrev_b32_e32 v0, 20, v0
	v_or3_b32 v0, v1, v2, v0
	s_delay_alu instid0(VALU_DEP_1)
	v_cvt_f64_f32_e32 v[0:1], v0
.LBB134_1730:
	s_or_b32 exec_lo, exec_lo, s24
.LBB134_1731:
	v_mov_b64_e32 v[2:3], 0
	s_mov_b32 s23, -1
.LBB134_1732:
	s_branch .LBB134_1766
.LBB134_1733:
	s_cmp_gt_i32 s0, 22
	s_cbranch_scc0 .LBB134_1743
; %bb.1734:
	s_cmp_lt_i32 s0, 24
	s_cbranch_scc1 .LBB134_1746
; %bb.1735:
	s_cmp_gt_i32 s0, 24
	s_cbranch_scc0 .LBB134_1747
; %bb.1736:
	global_load_u8 v2, v[4:5], off
	s_mov_b32 s23, exec_lo
	s_wait_loadcnt 0x0
	v_cmpx_lt_i16_e32 0x7f, v2
	s_xor_b32 s23, exec_lo, s23
	s_cbranch_execz .LBB134_1759
; %bb.1737:
	s_mov_b32 s22, -1
	s_mov_b32 s24, exec_lo
	v_cmpx_eq_u16_e32 0x80, v2
; %bb.1738:
	s_xor_b32 s22, exec_lo, -1
; %bb.1739:
	s_or_b32 exec_lo, exec_lo, s24
	s_delay_alu instid0(SALU_CYCLE_1)
	s_and_b32 s22, s22, exec_lo
	s_or_saveexec_b32 s23, s23
	v_mov_b64_e32 v[0:1], 0x7ff8000020000000
	s_xor_b32 exec_lo, exec_lo, s23
	s_cbranch_execnz .LBB134_1760
.LBB134_1740:
	s_or_b32 exec_lo, exec_lo, s23
	s_and_saveexec_b32 s23, s22
	s_cbranch_execz .LBB134_1742
.LBB134_1741:
	v_and_b32_e32 v0, 0xffff, v2
	s_delay_alu instid0(VALU_DEP_1) | instskip(SKIP_1) | instid1(VALU_DEP_2)
	v_and_b32_e32 v1, 3, v0
	v_bfe_u32 v7, v0, 2, 5
	v_clz_i32_u32_e32 v3, v1
	s_delay_alu instid0(VALU_DEP_2) | instskip(NEXT) | instid1(VALU_DEP_2)
	v_cmp_eq_u32_e32 vcc_lo, 0, v7
	v_min_u32_e32 v3, 32, v3
	s_delay_alu instid0(VALU_DEP_1) | instskip(NEXT) | instid1(VALU_DEP_1)
	v_subrev_nc_u32_e32 v6, 29, v3
	v_dual_lshlrev_b32 v0, v6, v0 :: v_dual_sub_nc_u32 v3, 30, v3
	s_delay_alu instid0(VALU_DEP_1) | instskip(NEXT) | instid1(VALU_DEP_1)
	v_dual_lshlrev_b32 v2, 24, v2 :: v_dual_bitop2_b32 v0, 3, v0 bitop3:0x40
	v_dual_cndmask_b32 v3, v7, v3 :: v_dual_cndmask_b32 v0, v1, v0
	s_delay_alu instid0(VALU_DEP_2) | instskip(NEXT) | instid1(VALU_DEP_2)
	v_and_b32_e32 v1, 0x80000000, v2
	v_lshl_add_u32 v2, v3, 23, 0x37800000
	s_delay_alu instid0(VALU_DEP_3) | instskip(NEXT) | instid1(VALU_DEP_1)
	v_lshlrev_b32_e32 v0, 21, v0
	v_or3_b32 v0, v1, v2, v0
	s_delay_alu instid0(VALU_DEP_1)
	v_cvt_f64_f32_e32 v[0:1], v0
.LBB134_1742:
	s_or_b32 exec_lo, exec_lo, s23
	s_mov_b32 s22, 0
	s_branch .LBB134_1748
.LBB134_1743:
	s_mov_b32 s22, -1
                                        ; implicit-def: $vgpr0_vgpr1
	s_branch .LBB134_1754
.LBB134_1744:
	s_or_saveexec_b32 s24, s24
	v_mov_b64_e32 v[0:1], 0x7ff8000020000000
	s_xor_b32 exec_lo, exec_lo, s24
	s_cbranch_execz .LBB134_1728
.LBB134_1745:
	v_cmp_ne_u16_e32 vcc_lo, 0, v2
	v_mov_b64_e32 v[0:1], 0
	s_and_not1_b32 s23, s23, exec_lo
	s_and_b32 s25, vcc_lo, exec_lo
	s_delay_alu instid0(SALU_CYCLE_1)
	s_or_b32 s23, s23, s25
	s_or_b32 exec_lo, exec_lo, s24
	s_and_saveexec_b32 s24, s23
	s_cbranch_execnz .LBB134_1729
	s_branch .LBB134_1730
.LBB134_1746:
	s_mov_b32 s22, -1
                                        ; implicit-def: $vgpr0_vgpr1
	s_branch .LBB134_1751
.LBB134_1747:
	s_mov_b32 s22, -1
                                        ; implicit-def: $vgpr0_vgpr1
.LBB134_1748:
	s_delay_alu instid0(SALU_CYCLE_1)
	s_and_b32 vcc_lo, exec_lo, s22
	s_cbranch_vccz .LBB134_1750
; %bb.1749:
	global_load_u8 v0, v[4:5], off
	s_wait_loadcnt 0x0
	v_lshlrev_b32_e32 v0, 24, v0
	s_delay_alu instid0(VALU_DEP_1) | instskip(NEXT) | instid1(VALU_DEP_1)
	v_and_b32_e32 v1, 0x7f000000, v0
	v_clz_i32_u32_e32 v2, v1
	v_cmp_ne_u32_e32 vcc_lo, 0, v1
	v_add_nc_u32_e32 v6, 0x1000000, v1
	s_delay_alu instid0(VALU_DEP_3) | instskip(NEXT) | instid1(VALU_DEP_1)
	v_min_u32_e32 v2, 32, v2
	v_sub_nc_u32_e64 v2, v2, 4 clamp
	s_delay_alu instid0(VALU_DEP_1) | instskip(NEXT) | instid1(VALU_DEP_1)
	v_dual_lshlrev_b32 v3, v2, v1 :: v_dual_lshlrev_b32 v2, 23, v2
	v_lshrrev_b32_e32 v3, 4, v3
	s_delay_alu instid0(VALU_DEP_1) | instskip(SKIP_1) | instid1(VALU_DEP_2)
	v_sub_nc_u32_e32 v2, v3, v2
	v_ashrrev_i32_e32 v3, 8, v6
	v_add_nc_u32_e32 v2, 0x3c000000, v2
	s_delay_alu instid0(VALU_DEP_1) | instskip(NEXT) | instid1(VALU_DEP_1)
	v_and_or_b32 v2, 0x7f800000, v3, v2
	v_cndmask_b32_e32 v1, 0, v2, vcc_lo
	s_delay_alu instid0(VALU_DEP_1) | instskip(NEXT) | instid1(VALU_DEP_1)
	v_and_or_b32 v0, 0x80000000, v0, v1
	v_cvt_f64_f32_e32 v[0:1], v0
.LBB134_1750:
	s_mov_b32 s22, 0
.LBB134_1751:
	s_delay_alu instid0(SALU_CYCLE_1)
	s_and_not1_b32 vcc_lo, exec_lo, s22
	s_cbranch_vccnz .LBB134_1753
; %bb.1752:
	global_load_u8 v0, v[4:5], off
	s_wait_loadcnt 0x0
	v_lshlrev_b32_e32 v1, 25, v0
	v_lshlrev_b16 v0, 8, v0
	s_delay_alu instid0(VALU_DEP_1) | instskip(SKIP_1) | instid1(VALU_DEP_2)
	v_and_or_b32 v3, 0x7f00, v0, 0.5
	v_bfe_i32 v0, v0, 0, 16
	v_dual_add_f32 v3, -0.5, v3 :: v_dual_lshrrev_b32 v2, 4, v1
	v_cmp_gt_u32_e32 vcc_lo, 0x8000000, v1
	s_delay_alu instid0(VALU_DEP_2) | instskip(NEXT) | instid1(VALU_DEP_1)
	v_or_b32_e32 v2, 0x70000000, v2
	v_mul_f32_e32 v2, 0x7800000, v2
	s_delay_alu instid0(VALU_DEP_1) | instskip(NEXT) | instid1(VALU_DEP_1)
	v_cndmask_b32_e32 v1, v2, v3, vcc_lo
	v_and_or_b32 v0, 0x80000000, v0, v1
	s_delay_alu instid0(VALU_DEP_1)
	v_cvt_f64_f32_e32 v[0:1], v0
.LBB134_1753:
	s_mov_b32 s22, 0
	s_mov_b32 s23, -1
.LBB134_1754:
	s_and_not1_b32 vcc_lo, exec_lo, s22
	s_mov_b32 s22, 0
	s_cbranch_vccnz .LBB134_1765
; %bb.1755:
	s_cmp_gt_i32 s0, 14
	s_cbranch_scc0 .LBB134_1758
; %bb.1756:
	s_cmp_eq_u32 s0, 15
	s_cbranch_scc0 .LBB134_1761
; %bb.1757:
	global_load_u16 v0, v[4:5], off
	s_mov_b32 s21, 0
	s_mov_b32 s23, -1
	s_wait_loadcnt 0x0
	v_lshlrev_b32_e32 v0, 16, v0
	s_delay_alu instid0(VALU_DEP_1)
	v_cvt_f64_f32_e32 v[0:1], v0
	s_branch .LBB134_1763
.LBB134_1758:
	s_mov_b32 s22, -1
	s_branch .LBB134_1762
.LBB134_1759:
	s_or_saveexec_b32 s23, s23
	v_mov_b64_e32 v[0:1], 0x7ff8000020000000
	s_xor_b32 exec_lo, exec_lo, s23
	s_cbranch_execz .LBB134_1740
.LBB134_1760:
	v_cmp_ne_u16_e32 vcc_lo, 0, v2
	v_mov_b64_e32 v[0:1], 0
	s_and_not1_b32 s22, s22, exec_lo
	s_and_b32 s24, vcc_lo, exec_lo
	s_delay_alu instid0(SALU_CYCLE_1)
	s_or_b32 s22, s22, s24
	s_or_b32 exec_lo, exec_lo, s23
	s_and_saveexec_b32 s23, s22
	s_cbranch_execnz .LBB134_1741
	s_branch .LBB134_1742
.LBB134_1761:
	s_mov_b32 s21, -1
.LBB134_1762:
                                        ; implicit-def: $vgpr0_vgpr1
.LBB134_1763:
	s_and_b32 vcc_lo, exec_lo, s22
	s_mov_b32 s22, 0
	s_cbranch_vccz .LBB134_1765
; %bb.1764:
	s_cmp_lg_u32 s0, 11
	s_mov_b32 s22, -1
	s_cselect_b32 s21, -1, 0
.LBB134_1765:
	v_mov_b64_e32 v[2:3], 0
.LBB134_1766:
	s_and_b32 vcc_lo, exec_lo, s21
	s_cbranch_vccnz .LBB134_1843
; %bb.1767:
	s_and_not1_b32 vcc_lo, exec_lo, s22
	s_cbranch_vccnz .LBB134_1769
.LBB134_1768:
	global_load_u8 v0, v[4:5], off
	v_mov_b64_e32 v[2:3], 0
	s_mov_b32 s23, -1
	s_wait_loadcnt 0x0
	v_cmp_ne_u16_e32 vcc_lo, 0, v0
	v_mov_b32_e32 v0, 0
	v_cndmask_b32_e64 v1, 0, 0x3ff00000, vcc_lo
.LBB134_1769:
	s_branch .LBB134_1690
.LBB134_1770:
	s_and_b32 s0, 0xffff, s16
	s_delay_alu instid0(SALU_CYCLE_1)
	s_cmp_lt_i32 s0, 5
	s_cbranch_scc1 .LBB134_1775
; %bb.1771:
	s_cmp_lt_i32 s0, 8
	s_cbranch_scc1 .LBB134_1777
; %bb.1772:
	s_cmp_lt_i32 s0, 9
	s_cbranch_scc1 .LBB134_1778
; %bb.1773:
	s_cmp_gt_i32 s0, 9
	s_cbranch_scc0 .LBB134_1779
; %bb.1774:
	global_load_b128 v[0:3], v[4:5], off
	s_mov_b32 s21, 0
	s_branch .LBB134_1780
.LBB134_1775:
                                        ; implicit-def: $vgpr2_vgpr3
	s_branch .LBB134_1799
.LBB134_1776:
	s_branch .LBB134_1819
.LBB134_1777:
	s_mov_b32 s21, -1
                                        ; implicit-def: $vgpr2_vgpr3
	s_branch .LBB134_1786
.LBB134_1778:
	s_mov_b32 s21, -1
                                        ; implicit-def: $vgpr2_vgpr3
	s_branch .LBB134_1783
.LBB134_1779:
	s_mov_b32 s21, -1
                                        ; implicit-def: $vgpr2_vgpr3
.LBB134_1780:
	s_delay_alu instid0(SALU_CYCLE_1)
	s_and_not1_b32 vcc_lo, exec_lo, s21
	s_cbranch_vccnz .LBB134_1782
; %bb.1781:
	s_wait_loadcnt 0x0
	global_load_b64 v[2:3], v[4:5], off
	s_wait_loadcnt 0x0
	v_cvt_f64_f32_e32 v[0:1], v2
	v_cvt_f64_f32_e32 v[2:3], v3
.LBB134_1782:
	s_mov_b32 s21, 0
.LBB134_1783:
	s_delay_alu instid0(SALU_CYCLE_1)
	s_and_not1_b32 vcc_lo, exec_lo, s21
	s_cbranch_vccnz .LBB134_1785
; %bb.1784:
	s_wait_loadcnt 0x0
	global_load_b32 v0, v[4:5], off
	s_wait_loadcnt 0x0
	v_lshrrev_b32_e32 v1, 16, v0
	v_cvt_f32_f16_e32 v0, v0
	s_delay_alu instid0(VALU_DEP_2) | instskip(NEXT) | instid1(VALU_DEP_2)
	v_cvt_f32_f16_e32 v2, v1
	v_cvt_f64_f32_e32 v[0:1], v0
	s_delay_alu instid0(VALU_DEP_2)
	v_cvt_f64_f32_e32 v[2:3], v2
.LBB134_1785:
	s_mov_b32 s21, 0
.LBB134_1786:
	s_delay_alu instid0(SALU_CYCLE_1)
	s_and_not1_b32 vcc_lo, exec_lo, s21
	s_cbranch_vccnz .LBB134_1798
; %bb.1787:
	s_cmp_lt_i32 s0, 6
	s_cbranch_scc1 .LBB134_1790
; %bb.1788:
	s_cmp_gt_i32 s0, 6
	s_cbranch_scc0 .LBB134_1791
; %bb.1789:
	s_wait_loadcnt 0x0
	global_load_b64 v[0:1], v[4:5], off
	s_mov_b32 s21, 0
	s_branch .LBB134_1792
.LBB134_1790:
	s_mov_b32 s21, -1
                                        ; implicit-def: $vgpr0_vgpr1
	s_branch .LBB134_1795
.LBB134_1791:
	s_mov_b32 s21, -1
                                        ; implicit-def: $vgpr0_vgpr1
.LBB134_1792:
	s_delay_alu instid0(SALU_CYCLE_1)
	s_and_not1_b32 vcc_lo, exec_lo, s21
	s_cbranch_vccnz .LBB134_1794
; %bb.1793:
	s_wait_loadcnt 0x0
	global_load_b32 v0, v[4:5], off
	s_wait_loadcnt 0x0
	v_cvt_f64_f32_e32 v[0:1], v0
.LBB134_1794:
	s_mov_b32 s21, 0
.LBB134_1795:
	s_delay_alu instid0(SALU_CYCLE_1)
	s_and_not1_b32 vcc_lo, exec_lo, s21
	s_cbranch_vccnz .LBB134_1797
; %bb.1796:
	s_wait_loadcnt 0x0
	global_load_u16 v0, v[4:5], off
	s_wait_loadcnt 0x0
	v_cvt_f32_f16_e32 v0, v0
	s_delay_alu instid0(VALU_DEP_1)
	v_cvt_f64_f32_e32 v[0:1], v0
.LBB134_1797:
	s_wait_loadcnt 0x0
	v_mov_b64_e32 v[2:3], 0
.LBB134_1798:
	s_cbranch_execnz .LBB134_1776
.LBB134_1799:
	s_cmp_lt_i32 s0, 2
	s_cbranch_scc1 .LBB134_1803
; %bb.1800:
	s_cmp_lt_i32 s0, 3
	s_cbranch_scc1 .LBB134_1804
; %bb.1801:
	s_cmp_gt_i32 s0, 3
	s_cbranch_scc0 .LBB134_1805
; %bb.1802:
	s_wait_loadcnt 0x0
	global_load_b64 v[0:1], v[4:5], off
	s_mov_b32 s21, 0
	s_wait_loadcnt 0x0
	v_cvt_f64_i32_e32 v[2:3], v1
	v_cvt_f64_u32_e32 v[0:1], v0
	s_delay_alu instid0(VALU_DEP_2) | instskip(NEXT) | instid1(VALU_DEP_1)
	v_ldexp_f64 v[2:3], v[2:3], 32
	v_add_f64_e32 v[0:1], v[2:3], v[0:1]
	s_branch .LBB134_1806
.LBB134_1803:
	s_mov_b32 s21, -1
                                        ; implicit-def: $vgpr0_vgpr1
	s_branch .LBB134_1812
.LBB134_1804:
	s_mov_b32 s21, -1
                                        ; implicit-def: $vgpr0_vgpr1
	s_branch .LBB134_1809
.LBB134_1805:
	s_mov_b32 s21, -1
                                        ; implicit-def: $vgpr0_vgpr1
.LBB134_1806:
	s_delay_alu instid0(SALU_CYCLE_1)
	s_and_not1_b32 vcc_lo, exec_lo, s21
	s_cbranch_vccnz .LBB134_1808
; %bb.1807:
	s_wait_loadcnt 0x0
	global_load_b32 v0, v[4:5], off
	s_wait_loadcnt 0x0
	v_cvt_f64_i32_e32 v[0:1], v0
.LBB134_1808:
	s_mov_b32 s21, 0
.LBB134_1809:
	s_delay_alu instid0(SALU_CYCLE_1)
	s_and_not1_b32 vcc_lo, exec_lo, s21
	s_cbranch_vccnz .LBB134_1811
; %bb.1810:
	s_wait_loadcnt 0x0
	global_load_i16 v0, v[4:5], off
	s_wait_loadcnt 0x0
	v_cvt_f64_i32_e32 v[0:1], v0
.LBB134_1811:
	s_mov_b32 s21, 0
.LBB134_1812:
	s_delay_alu instid0(SALU_CYCLE_1)
	s_and_not1_b32 vcc_lo, exec_lo, s21
	s_cbranch_vccnz .LBB134_1818
; %bb.1813:
	s_cmp_gt_i32 s0, 0
	s_mov_b32 s0, 0
	s_cbranch_scc0 .LBB134_1815
; %bb.1814:
	s_wait_loadcnt 0x0
	global_load_i8 v0, v[4:5], off
	s_wait_loadcnt 0x0
	v_cvt_f64_i32_e32 v[0:1], v0
	s_branch .LBB134_1816
.LBB134_1815:
	s_mov_b32 s0, -1
                                        ; implicit-def: $vgpr0_vgpr1
.LBB134_1816:
	s_delay_alu instid0(SALU_CYCLE_1)
	s_and_not1_b32 vcc_lo, exec_lo, s0
	s_cbranch_vccnz .LBB134_1818
; %bb.1817:
	s_wait_loadcnt 0x0
	global_load_u8 v0, v[4:5], off
	s_wait_loadcnt 0x0
	v_cvt_f64_u32_e32 v[0:1], v0
.LBB134_1818:
	s_wait_loadcnt 0x0
	v_mov_b64_e32 v[2:3], 0
.LBB134_1819:
	v_mul_lo_u32 v12, s13, v34
	s_and_b32 s0, 0xffff, s1
	s_delay_alu instid0(SALU_CYCLE_1) | instskip(NEXT) | instid1(VALU_DEP_1)
	s_cmp_lt_i32 s0, 11
	v_ashrrev_i32_e32 v13, 31, v12
	s_delay_alu instid0(VALU_DEP_1)
	v_add_nc_u64_e32 v[10:11], s[10:11], v[12:13]
	s_cbranch_scc1 .LBB134_1826
; %bb.1820:
	s_cmp_gt_i32 s0, 25
	s_mov_b32 s21, 0
	s_cbranch_scc0 .LBB134_1828
; %bb.1821:
	s_cmp_gt_i32 s0, 28
	s_cbranch_scc0 .LBB134_1839
; %bb.1822:
	s_cmp_gt_i32 s0, 43
	;; [unrolled: 3-line block ×3, first 2 shown]
	s_cbranch_scc0 .LBB134_1844
; %bb.1824:
	s_cmp_eq_u32 s0, 46
	s_mov_b32 s23, 0
	s_cbranch_scc0 .LBB134_1918
; %bb.1825:
	global_load_b32 v4, v[10:11], off
	s_mov_b32 s1, 0
	s_mov_b32 s22, -1
	s_wait_loadcnt 0x0
	v_lshlrev_b32_e32 v5, 16, v4
	v_and_b32_e32 v6, 0xffff0000, v4
	s_delay_alu instid0(VALU_DEP_2) | instskip(NEXT) | instid1(VALU_DEP_2)
	v_cvt_f64_f32_e32 v[4:5], v5
	v_cvt_f64_f32_e32 v[6:7], v6
	s_branch .LBB134_1920
.LBB134_1826:
	s_mov_b32 s22, 0
                                        ; implicit-def: $vgpr6_vgpr7
	s_cbranch_execnz .LBB134_1833
.LBB134_1827:
	s_and_not1_b32 vcc_lo, exec_lo, s22
	s_cbranch_vccz .LBB134_1887
	s_branch .LBB134_3270
.LBB134_1828:
	s_mov_b32 s22, 0
	s_mov_b32 s1, 0
                                        ; implicit-def: $vgpr6_vgpr7
	s_cbranch_execnz .LBB134_1952
.LBB134_1829:
	s_and_b32 vcc_lo, exec_lo, s1
	s_cbranch_vccnz .LBB134_1985
.LBB134_1830:
	s_and_not1_b32 vcc_lo, exec_lo, s21
	s_cbranch_vccnz .LBB134_1832
.LBB134_1831:
	global_load_u8 v4, v[10:11], off
	v_mov_b64_e32 v[6:7], 0
	s_mov_b32 s22, -1
	s_wait_loadcnt 0x0
	v_cmp_ne_u16_e32 vcc_lo, 0, v4
	v_mov_b32_e32 v4, 0
	v_cndmask_b32_e64 v5, 0, 0x3ff00000, vcc_lo
.LBB134_1832:
	s_branch .LBB134_1827
.LBB134_1833:
	s_cmp_lt_i32 s0, 5
	s_cbranch_scc1 .LBB134_1838
; %bb.1834:
	s_cmp_lt_i32 s0, 8
	s_cbranch_scc1 .LBB134_1840
; %bb.1835:
	;; [unrolled: 3-line block ×3, first 2 shown]
	s_cmp_gt_i32 s0, 9
	s_cbranch_scc0 .LBB134_1845
; %bb.1837:
	global_load_b128 v[4:7], v[10:11], off
	s_mov_b32 s1, 0
	s_branch .LBB134_1846
.LBB134_1838:
	s_mov_b32 s1, -1
                                        ; implicit-def: $vgpr6_vgpr7
	s_branch .LBB134_1865
.LBB134_1839:
	s_mov_b32 s23, -1
	s_mov_b32 s22, 0
	s_mov_b32 s1, 0
                                        ; implicit-def: $vgpr6_vgpr7
	s_branch .LBB134_1933
.LBB134_1840:
	s_mov_b32 s1, -1
                                        ; implicit-def: $vgpr6_vgpr7
	s_branch .LBB134_1852
.LBB134_1841:
	s_mov_b32 s23, -1
	s_mov_b32 s22, 0
	s_mov_b32 s1, 0
                                        ; implicit-def: $vgpr6_vgpr7
	s_branch .LBB134_1927
.LBB134_1842:
	s_mov_b32 s1, -1
                                        ; implicit-def: $vgpr6_vgpr7
	s_branch .LBB134_1849
.LBB134_1843:
	s_or_b32 s17, s17, exec_lo
	s_trap 2
	s_cbranch_execz .LBB134_1768
	s_branch .LBB134_1769
.LBB134_1844:
	s_mov_b32 s23, -1
	s_mov_b32 s22, 0
	s_mov_b32 s1, 0
	s_branch .LBB134_1919
.LBB134_1845:
	s_mov_b32 s1, -1
                                        ; implicit-def: $vgpr6_vgpr7
.LBB134_1846:
	s_delay_alu instid0(SALU_CYCLE_1)
	s_and_not1_b32 vcc_lo, exec_lo, s1
	s_cbranch_vccnz .LBB134_1848
; %bb.1847:
	s_wait_loadcnt 0x0
	global_load_b64 v[6:7], v[10:11], off
	s_wait_loadcnt 0x0
	s_wait_xcnt 0x1
	v_cvt_f64_f32_e32 v[4:5], v6
	v_cvt_f64_f32_e32 v[6:7], v7
.LBB134_1848:
	s_mov_b32 s1, 0
.LBB134_1849:
	s_delay_alu instid0(SALU_CYCLE_1)
	s_and_not1_b32 vcc_lo, exec_lo, s1
	s_cbranch_vccnz .LBB134_1851
; %bb.1850:
	s_wait_loadcnt 0x0
	global_load_b32 v4, v[10:11], off
	s_wait_loadcnt 0x0
	v_lshrrev_b32_e32 v5, 16, v4
	v_cvt_f32_f16_e32 v4, v4
	s_delay_alu instid0(VALU_DEP_2) | instskip(NEXT) | instid1(VALU_DEP_2)
	v_cvt_f32_f16_e32 v6, v5
	v_cvt_f64_f32_e32 v[4:5], v4
	s_delay_alu instid0(VALU_DEP_2)
	v_cvt_f64_f32_e32 v[6:7], v6
.LBB134_1851:
	s_mov_b32 s1, 0
.LBB134_1852:
	s_delay_alu instid0(SALU_CYCLE_1)
	s_and_not1_b32 vcc_lo, exec_lo, s1
	s_cbranch_vccnz .LBB134_1864
; %bb.1853:
	s_cmp_lt_i32 s0, 6
	s_cbranch_scc1 .LBB134_1856
; %bb.1854:
	s_cmp_gt_i32 s0, 6
	s_cbranch_scc0 .LBB134_1857
; %bb.1855:
	s_wait_loadcnt 0x0
	global_load_b64 v[4:5], v[10:11], off
	s_mov_b32 s1, 0
	s_branch .LBB134_1858
.LBB134_1856:
	s_mov_b32 s1, -1
                                        ; implicit-def: $vgpr4_vgpr5
	s_branch .LBB134_1861
.LBB134_1857:
	s_mov_b32 s1, -1
                                        ; implicit-def: $vgpr4_vgpr5
.LBB134_1858:
	s_delay_alu instid0(SALU_CYCLE_1)
	s_and_not1_b32 vcc_lo, exec_lo, s1
	s_cbranch_vccnz .LBB134_1860
; %bb.1859:
	s_wait_loadcnt 0x0
	global_load_b32 v4, v[10:11], off
	s_wait_loadcnt 0x0
	v_cvt_f64_f32_e32 v[4:5], v4
.LBB134_1860:
	s_mov_b32 s1, 0
.LBB134_1861:
	s_delay_alu instid0(SALU_CYCLE_1)
	s_and_not1_b32 vcc_lo, exec_lo, s1
	s_cbranch_vccnz .LBB134_1863
; %bb.1862:
	s_wait_loadcnt 0x0
	global_load_u16 v4, v[10:11], off
	s_wait_loadcnt 0x0
	v_cvt_f32_f16_e32 v4, v4
	s_delay_alu instid0(VALU_DEP_1)
	v_cvt_f64_f32_e32 v[4:5], v4
.LBB134_1863:
	s_wait_loadcnt 0x0
	v_mov_b64_e32 v[6:7], 0
.LBB134_1864:
	s_mov_b32 s1, 0
.LBB134_1865:
	s_delay_alu instid0(SALU_CYCLE_1)
	s_and_not1_b32 vcc_lo, exec_lo, s1
	s_cbranch_vccnz .LBB134_1886
; %bb.1866:
	s_cmp_lt_i32 s0, 2
	s_cbranch_scc1 .LBB134_1870
; %bb.1867:
	s_cmp_lt_i32 s0, 3
	s_cbranch_scc1 .LBB134_1871
; %bb.1868:
	s_cmp_gt_i32 s0, 3
	s_cbranch_scc0 .LBB134_1872
; %bb.1869:
	s_wait_loadcnt 0x0
	global_load_b64 v[4:5], v[10:11], off
	s_mov_b32 s1, 0
	s_wait_loadcnt 0x0
	v_cvt_f64_i32_e32 v[6:7], v5
	v_cvt_f64_u32_e32 v[4:5], v4
	s_delay_alu instid0(VALU_DEP_2) | instskip(NEXT) | instid1(VALU_DEP_1)
	v_ldexp_f64 v[6:7], v[6:7], 32
	v_add_f64_e32 v[4:5], v[6:7], v[4:5]
	s_branch .LBB134_1873
.LBB134_1870:
	s_mov_b32 s1, -1
                                        ; implicit-def: $vgpr4_vgpr5
	s_branch .LBB134_1879
.LBB134_1871:
	s_mov_b32 s1, -1
                                        ; implicit-def: $vgpr4_vgpr5
	s_branch .LBB134_1876
.LBB134_1872:
	s_mov_b32 s1, -1
                                        ; implicit-def: $vgpr4_vgpr5
.LBB134_1873:
	s_delay_alu instid0(SALU_CYCLE_1)
	s_and_not1_b32 vcc_lo, exec_lo, s1
	s_cbranch_vccnz .LBB134_1875
; %bb.1874:
	s_wait_loadcnt 0x0
	global_load_b32 v4, v[10:11], off
	s_wait_loadcnt 0x0
	v_cvt_f64_i32_e32 v[4:5], v4
.LBB134_1875:
	s_mov_b32 s1, 0
.LBB134_1876:
	s_delay_alu instid0(SALU_CYCLE_1)
	s_and_not1_b32 vcc_lo, exec_lo, s1
	s_cbranch_vccnz .LBB134_1878
; %bb.1877:
	s_wait_loadcnt 0x0
	global_load_i16 v4, v[10:11], off
	s_wait_loadcnt 0x0
	v_cvt_f64_i32_e32 v[4:5], v4
.LBB134_1878:
	s_mov_b32 s1, 0
.LBB134_1879:
	s_delay_alu instid0(SALU_CYCLE_1)
	s_and_not1_b32 vcc_lo, exec_lo, s1
	s_cbranch_vccnz .LBB134_1885
; %bb.1880:
	s_cmp_gt_i32 s0, 0
	s_mov_b32 s1, 0
	s_cbranch_scc0 .LBB134_1882
; %bb.1881:
	s_wait_loadcnt 0x0
	global_load_i8 v4, v[10:11], off
	s_wait_loadcnt 0x0
	v_cvt_f64_i32_e32 v[4:5], v4
	s_branch .LBB134_1883
.LBB134_1882:
	s_mov_b32 s1, -1
                                        ; implicit-def: $vgpr4_vgpr5
.LBB134_1883:
	s_delay_alu instid0(SALU_CYCLE_1)
	s_and_not1_b32 vcc_lo, exec_lo, s1
	s_cbranch_vccnz .LBB134_1885
; %bb.1884:
	s_wait_loadcnt 0x0
	global_load_u8 v4, v[10:11], off
	s_wait_loadcnt 0x0
	v_cvt_f64_u32_e32 v[4:5], v4
.LBB134_1885:
	s_wait_loadcnt 0x0
	v_mov_b64_e32 v[6:7], 0
.LBB134_1886:
.LBB134_1887:
	s_cmp_lt_i32 s18, 23
	s_cbranch_scc1 .LBB134_1891
; %bb.1888:
	s_and_b32 s22, 0xffff, s18
	s_delay_alu instid0(SALU_CYCLE_1)
	s_cmp_gt_i32 s22, 43
	s_cbranch_scc0 .LBB134_1892
; %bb.1889:
	s_cmp_gt_i32 s22, 45
	s_cbranch_scc0 .LBB134_1893
; %bb.1890:
	s_cmp_lg_u32 s22, 46
	s_mov_b32 s23, 0
	s_mov_b32 s1, -1
	s_cselect_b32 s21, -1, 0
	s_branch .LBB134_1894
.LBB134_1891:
	s_mov_b32 s22, -1
	s_mov_b32 s1, 0
	s_mov_b32 s21, 0
	s_branch .LBB134_1900
.LBB134_1892:
	s_mov_b32 s23, -1
	s_mov_b32 s1, 0
	s_mov_b32 s21, 0
	s_branch .LBB134_1897
.LBB134_1893:
	s_mov_b32 s23, -1
	s_mov_b32 s1, 0
	s_mov_b32 s21, 0
.LBB134_1894:
	s_and_not1_b32 vcc_lo, exec_lo, s23
	s_cbranch_vccnz .LBB134_1896
; %bb.1895:
	s_cmp_eq_u32 s22, 44
	s_cselect_b32 s1, -1, 0
	s_cmp_lg_u32 s22, 44
	s_cselect_b32 s21, -1, 0
.LBB134_1896:
	s_mov_b32 s23, 0
.LBB134_1897:
	s_delay_alu instid0(SALU_CYCLE_1)
	s_and_b32 vcc_lo, exec_lo, s23
	s_cbranch_vccz .LBB134_1899
; %bb.1898:
	s_cmp_lt_i32 s22, 30
	s_cselect_b32 s1, -1, 0
	s_cmp_gt_i32 s22, 29
	s_cselect_b32 s21, -1, 0
.LBB134_1899:
	s_mov_b32 s22, 0
.LBB134_1900:
	s_delay_alu instid0(SALU_CYCLE_1)
	s_and_b32 vcc_lo, exec_lo, s22
	s_cbranch_vccz .LBB134_1905
; %bb.1901:
	s_and_b32 s22, 0xffff, s18
	s_mov_b32 s23, -1
	s_cmp_gt_i32 s22, 14
	s_cbranch_scc0 .LBB134_1903
; %bb.1902:
	s_cmp_eq_u32 s22, 15
	s_mov_b32 s23, 0
	s_cselect_b32 s1, -1, 0
	s_cmp_lg_u32 s22, 15
	s_cselect_b32 s21, -1, 0
.LBB134_1903:
	s_and_not1_b32 vcc_lo, exec_lo, s23
	s_cbranch_vccnz .LBB134_1905
; %bb.1904:
	s_cmp_lt_i32 s22, 12
	s_cselect_b32 s1, -1, 0
	s_cmp_gt_i32 s22, 11
	s_cselect_b32 s21, -1, 0
.LBB134_1905:
	s_delay_alu instid0(SALU_CYCLE_1)
	s_and_b32 vcc_lo, exec_lo, s21
	s_cbranch_vccnz .LBB134_1917
; %bb.1906:
	s_and_not1_b32 vcc_lo, exec_lo, s1
	s_cbranch_vccnz .LBB134_3270
.LBB134_1907:
	s_lshl_b32 s1, s12, 7
	s_cmp_lt_i32 s16, 11
	v_add_nc_u32_e32 v16, s1, v8
	s_delay_alu instid0(VALU_DEP_1) | instskip(NEXT) | instid1(VALU_DEP_1)
	v_ashrrev_i32_e32 v17, 31, v16
	v_add_nc_u64_e32 v[14:15], s[8:9], v[16:17]
	s_cbranch_scc1 .LBB134_1914
; %bb.1908:
	s_and_b32 s12, 0xffff, s16
	s_mov_b32 s22, 0
	s_cmp_gt_i32 s12, 25
	s_cbranch_scc0 .LBB134_1915
; %bb.1909:
	s_cmp_gt_i32 s12, 28
	s_cbranch_scc0 .LBB134_1916
; %bb.1910:
	;; [unrolled: 3-line block ×4, first 2 shown]
	s_cmp_eq_u32 s12, 46
	s_mov_b32 s24, 0
	s_cbranch_scc0 .LBB134_1987
; %bb.1913:
	global_load_b32 v8, v[14:15], off
	s_mov_b32 s21, 0
	s_mov_b32 s23, -1
	s_wait_loadcnt 0x0
	v_lshlrev_b32_e32 v9, 16, v8
	s_wait_xcnt 0x1
	v_and_b32_e32 v10, 0xffff0000, v8
	s_delay_alu instid0(VALU_DEP_2) | instskip(NEXT) | instid1(VALU_DEP_2)
	v_cvt_f64_f32_e32 v[8:9], v9
	v_cvt_f64_f32_e32 v[10:11], v10
	s_branch .LBB134_1989
.LBB134_1914:
	s_mov_b32 s12, -1
	s_mov_b32 s23, 0
                                        ; implicit-def: $vgpr10_vgpr11
	s_branch .LBB134_2035
.LBB134_1915:
	s_mov_b32 s24, -1
	s_mov_b32 s23, 0
	s_mov_b32 s21, 0
                                        ; implicit-def: $vgpr10_vgpr11
	s_branch .LBB134_2020
.LBB134_1916:
	s_mov_b32 s24, -1
	s_mov_b32 s23, 0
	s_mov_b32 s21, 0
                                        ; implicit-def: $vgpr10_vgpr11
	s_branch .LBB134_2001
.LBB134_1917:
	s_or_b32 s17, s17, exec_lo
	s_trap 2
	s_cbranch_execz .LBB134_1907
	s_branch .LBB134_3270
.LBB134_1918:
	s_mov_b32 s1, -1
	s_mov_b32 s22, 0
.LBB134_1919:
                                        ; implicit-def: $vgpr6_vgpr7
.LBB134_1920:
	s_and_b32 vcc_lo, exec_lo, s23
	s_cbranch_vccz .LBB134_1926
; %bb.1921:
	s_cmp_eq_u32 s0, 44
	s_cbranch_scc0 .LBB134_1924
; %bb.1922:
	global_load_u8 v6, v[10:11], off
	s_mov_b32 s1, 0
	s_mov_b32 s22, -1
	s_wait_loadcnt 0x0
	v_cmp_ne_u32_e32 vcc_lo, 0xff, v6
	s_wait_xcnt 0x1
	v_lshlrev_b32_e32 v4, 23, v6
	s_delay_alu instid0(VALU_DEP_1) | instskip(NEXT) | instid1(VALU_DEP_1)
	v_cvt_f64_f32_e32 v[4:5], v4
	v_cndmask_b32_e32 v4, 0x20000000, v4, vcc_lo
	s_delay_alu instid0(VALU_DEP_2) | instskip(SKIP_1) | instid1(VALU_DEP_2)
	v_cndmask_b32_e32 v5, 0x7ff80000, v5, vcc_lo
	v_cmp_ne_u32_e32 vcc_lo, 0, v6
	v_cndmask_b32_e32 v5, 0x38000000, v5, vcc_lo
	s_delay_alu instid0(VALU_DEP_4)
	v_cndmask_b32_e32 v4, 0, v4, vcc_lo
	s_branch .LBB134_1925
.LBB134_1923:
	s_mov_b32 s24, -1
	s_mov_b32 s23, 0
	s_mov_b32 s21, 0
                                        ; implicit-def: $vgpr10_vgpr11
	s_branch .LBB134_1995
.LBB134_1924:
	s_mov_b32 s1, -1
                                        ; implicit-def: $vgpr4_vgpr5
.LBB134_1925:
	v_mov_b64_e32 v[6:7], 0
.LBB134_1926:
	s_mov_b32 s23, 0
.LBB134_1927:
	s_delay_alu instid0(SALU_CYCLE_1)
	s_and_b32 vcc_lo, exec_lo, s23
	s_cbranch_vccz .LBB134_1932
; %bb.1928:
	s_cmp_eq_u32 s0, 29
	s_cbranch_scc0 .LBB134_1930
; %bb.1929:
	global_load_b64 v[4:5], v[10:11], off
	s_mov_b32 s1, 0
	s_mov_b32 s22, -1
	s_wait_loadcnt 0x0
	v_cvt_f64_u32_e32 v[6:7], v5
	v_cvt_f64_u32_e32 v[4:5], v4
	s_delay_alu instid0(VALU_DEP_2) | instskip(NEXT) | instid1(VALU_DEP_1)
	v_ldexp_f64 v[6:7], v[6:7], 32
	v_add_f64_e32 v[4:5], v[6:7], v[4:5]
	s_branch .LBB134_1931
.LBB134_1930:
	s_mov_b32 s1, -1
                                        ; implicit-def: $vgpr4_vgpr5
.LBB134_1931:
	v_mov_b64_e32 v[6:7], 0
.LBB134_1932:
	s_mov_b32 s23, 0
.LBB134_1933:
	s_delay_alu instid0(SALU_CYCLE_1)
	s_and_b32 vcc_lo, exec_lo, s23
	s_cbranch_vccz .LBB134_1951
; %bb.1934:
	s_cmp_lt_i32 s0, 27
	s_cbranch_scc1 .LBB134_1937
; %bb.1935:
	s_cmp_gt_i32 s0, 27
	s_cbranch_scc0 .LBB134_1938
; %bb.1936:
	global_load_b32 v4, v[10:11], off
	s_mov_b32 s22, 0
	s_wait_loadcnt 0x0
	v_cvt_f64_u32_e32 v[4:5], v4
	s_branch .LBB134_1939
.LBB134_1937:
	s_mov_b32 s22, -1
                                        ; implicit-def: $vgpr4_vgpr5
	s_branch .LBB134_1942
.LBB134_1938:
	s_mov_b32 s22, -1
                                        ; implicit-def: $vgpr4_vgpr5
.LBB134_1939:
	s_delay_alu instid0(SALU_CYCLE_1)
	s_and_not1_b32 vcc_lo, exec_lo, s22
	s_cbranch_vccnz .LBB134_1941
; %bb.1940:
	global_load_u16 v4, v[10:11], off
	s_wait_loadcnt 0x0
	v_cvt_f64_u32_e32 v[4:5], v4
.LBB134_1941:
	s_mov_b32 s22, 0
.LBB134_1942:
	s_delay_alu instid0(SALU_CYCLE_1)
	s_and_not1_b32 vcc_lo, exec_lo, s22
	s_cbranch_vccnz .LBB134_1950
; %bb.1943:
	global_load_u8 v6, v[10:11], off
	s_mov_b32 s22, 0
	s_mov_b32 s23, exec_lo
	s_wait_loadcnt 0x0
	v_cmpx_lt_i16_e32 0x7f, v6
	s_xor_b32 s23, exec_lo, s23
	s_cbranch_execz .LBB134_1963
; %bb.1944:
	s_mov_b32 s22, -1
	s_mov_b32 s24, exec_lo
	v_cmpx_eq_u16_e32 0x80, v6
; %bb.1945:
	s_xor_b32 s22, exec_lo, -1
; %bb.1946:
	s_or_b32 exec_lo, exec_lo, s24
	s_delay_alu instid0(SALU_CYCLE_1)
	s_and_b32 s22, s22, exec_lo
	s_or_saveexec_b32 s23, s23
	v_mov_b64_e32 v[4:5], 0x7ff8000020000000
	s_xor_b32 exec_lo, exec_lo, s23
	s_cbranch_execnz .LBB134_1964
.LBB134_1947:
	s_or_b32 exec_lo, exec_lo, s23
	s_and_saveexec_b32 s23, s22
	s_cbranch_execz .LBB134_1949
.LBB134_1948:
	v_and_b32_e32 v4, 0xffff, v6
	s_delay_alu instid0(VALU_DEP_1) | instskip(SKIP_1) | instid1(VALU_DEP_2)
	v_and_b32_e32 v5, 7, v4
	v_bfe_u32 v13, v4, 3, 4
	v_clz_i32_u32_e32 v7, v5
	s_delay_alu instid0(VALU_DEP_2) | instskip(NEXT) | instid1(VALU_DEP_2)
	v_cmp_eq_u32_e32 vcc_lo, 0, v13
	v_min_u32_e32 v7, 32, v7
	s_delay_alu instid0(VALU_DEP_1) | instskip(NEXT) | instid1(VALU_DEP_1)
	v_subrev_nc_u32_e32 v9, 28, v7
	v_dual_lshlrev_b32 v4, v9, v4 :: v_dual_sub_nc_u32 v7, 29, v7
	s_delay_alu instid0(VALU_DEP_1) | instskip(NEXT) | instid1(VALU_DEP_2)
	v_dual_lshlrev_b32 v6, 24, v6 :: v_dual_bitop2_b32 v4, 7, v4 bitop3:0x40
	v_cndmask_b32_e32 v7, v13, v7, vcc_lo
	s_delay_alu instid0(VALU_DEP_2) | instskip(NEXT) | instid1(VALU_DEP_3)
	v_cndmask_b32_e32 v4, v5, v4, vcc_lo
	v_and_b32_e32 v5, 0x80000000, v6
	s_delay_alu instid0(VALU_DEP_3) | instskip(NEXT) | instid1(VALU_DEP_3)
	v_lshl_add_u32 v6, v7, 23, 0x3b800000
	v_lshlrev_b32_e32 v4, 20, v4
	s_delay_alu instid0(VALU_DEP_1) | instskip(NEXT) | instid1(VALU_DEP_1)
	v_or3_b32 v4, v5, v6, v4
	v_cvt_f64_f32_e32 v[4:5], v4
.LBB134_1949:
	s_or_b32 exec_lo, exec_lo, s23
.LBB134_1950:
	v_mov_b64_e32 v[6:7], 0
	s_mov_b32 s22, -1
.LBB134_1951:
	s_branch .LBB134_1829
.LBB134_1952:
	s_cmp_gt_i32 s0, 22
	s_cbranch_scc0 .LBB134_1962
; %bb.1953:
	s_cmp_lt_i32 s0, 24
	s_cbranch_scc1 .LBB134_1965
; %bb.1954:
	s_cmp_gt_i32 s0, 24
	s_cbranch_scc0 .LBB134_1966
; %bb.1955:
	global_load_u8 v6, v[10:11], off
	s_mov_b32 s22, exec_lo
	s_wait_loadcnt 0x0
	v_cmpx_lt_i16_e32 0x7f, v6
	s_xor_b32 s22, exec_lo, s22
	s_cbranch_execz .LBB134_1978
; %bb.1956:
	s_mov_b32 s21, -1
	s_mov_b32 s23, exec_lo
	v_cmpx_eq_u16_e32 0x80, v6
; %bb.1957:
	s_xor_b32 s21, exec_lo, -1
; %bb.1958:
	s_or_b32 exec_lo, exec_lo, s23
	s_delay_alu instid0(SALU_CYCLE_1)
	s_and_b32 s21, s21, exec_lo
	s_or_saveexec_b32 s22, s22
	v_mov_b64_e32 v[4:5], 0x7ff8000020000000
	s_xor_b32 exec_lo, exec_lo, s22
	s_cbranch_execnz .LBB134_1979
.LBB134_1959:
	s_or_b32 exec_lo, exec_lo, s22
	s_and_saveexec_b32 s22, s21
	s_cbranch_execz .LBB134_1961
.LBB134_1960:
	v_and_b32_e32 v4, 0xffff, v6
	s_delay_alu instid0(VALU_DEP_1) | instskip(SKIP_1) | instid1(VALU_DEP_2)
	v_and_b32_e32 v5, 3, v4
	v_bfe_u32 v13, v4, 2, 5
	v_clz_i32_u32_e32 v7, v5
	s_delay_alu instid0(VALU_DEP_2) | instskip(NEXT) | instid1(VALU_DEP_2)
	v_cmp_eq_u32_e32 vcc_lo, 0, v13
	v_min_u32_e32 v7, 32, v7
	s_delay_alu instid0(VALU_DEP_1) | instskip(NEXT) | instid1(VALU_DEP_1)
	v_subrev_nc_u32_e32 v9, 29, v7
	v_dual_lshlrev_b32 v4, v9, v4 :: v_dual_sub_nc_u32 v7, 30, v7
	s_delay_alu instid0(VALU_DEP_1) | instskip(NEXT) | instid1(VALU_DEP_2)
	v_dual_lshlrev_b32 v6, 24, v6 :: v_dual_bitop2_b32 v4, 3, v4 bitop3:0x40
	v_cndmask_b32_e32 v7, v13, v7, vcc_lo
	s_delay_alu instid0(VALU_DEP_2) | instskip(NEXT) | instid1(VALU_DEP_3)
	v_cndmask_b32_e32 v4, v5, v4, vcc_lo
	v_and_b32_e32 v5, 0x80000000, v6
	s_delay_alu instid0(VALU_DEP_3) | instskip(NEXT) | instid1(VALU_DEP_3)
	v_lshl_add_u32 v6, v7, 23, 0x37800000
	v_lshlrev_b32_e32 v4, 21, v4
	s_delay_alu instid0(VALU_DEP_1) | instskip(NEXT) | instid1(VALU_DEP_1)
	v_or3_b32 v4, v5, v6, v4
	v_cvt_f64_f32_e32 v[4:5], v4
.LBB134_1961:
	s_or_b32 exec_lo, exec_lo, s22
	s_mov_b32 s21, 0
	s_branch .LBB134_1967
.LBB134_1962:
	s_mov_b32 s21, -1
                                        ; implicit-def: $vgpr4_vgpr5
	s_branch .LBB134_1973
.LBB134_1963:
	s_or_saveexec_b32 s23, s23
	v_mov_b64_e32 v[4:5], 0x7ff8000020000000
	s_xor_b32 exec_lo, exec_lo, s23
	s_cbranch_execz .LBB134_1947
.LBB134_1964:
	v_cmp_ne_u16_e32 vcc_lo, 0, v6
	v_mov_b64_e32 v[4:5], 0
	s_and_not1_b32 s22, s22, exec_lo
	s_and_b32 s24, vcc_lo, exec_lo
	s_delay_alu instid0(SALU_CYCLE_1)
	s_or_b32 s22, s22, s24
	s_or_b32 exec_lo, exec_lo, s23
	s_and_saveexec_b32 s23, s22
	s_cbranch_execnz .LBB134_1948
	s_branch .LBB134_1949
.LBB134_1965:
	s_mov_b32 s21, -1
                                        ; implicit-def: $vgpr4_vgpr5
	s_branch .LBB134_1970
.LBB134_1966:
	s_mov_b32 s21, -1
                                        ; implicit-def: $vgpr4_vgpr5
.LBB134_1967:
	s_delay_alu instid0(SALU_CYCLE_1)
	s_and_b32 vcc_lo, exec_lo, s21
	s_cbranch_vccz .LBB134_1969
; %bb.1968:
	global_load_u8 v4, v[10:11], off
	s_wait_loadcnt 0x0
	v_lshlrev_b32_e32 v4, 24, v4
	s_delay_alu instid0(VALU_DEP_1) | instskip(NEXT) | instid1(VALU_DEP_1)
	v_and_b32_e32 v5, 0x7f000000, v4
	v_clz_i32_u32_e32 v6, v5
	v_add_nc_u32_e32 v9, 0x1000000, v5
	v_cmp_ne_u32_e32 vcc_lo, 0, v5
	s_delay_alu instid0(VALU_DEP_3) | instskip(NEXT) | instid1(VALU_DEP_1)
	v_min_u32_e32 v6, 32, v6
	v_sub_nc_u32_e64 v6, v6, 4 clamp
	s_delay_alu instid0(VALU_DEP_1) | instskip(NEXT) | instid1(VALU_DEP_1)
	v_dual_lshlrev_b32 v7, v6, v5 :: v_dual_lshlrev_b32 v6, 23, v6
	v_lshrrev_b32_e32 v7, 4, v7
	s_delay_alu instid0(VALU_DEP_1) | instskip(NEXT) | instid1(VALU_DEP_1)
	v_dual_sub_nc_u32 v6, v7, v6 :: v_dual_ashrrev_i32 v7, 8, v9
	v_add_nc_u32_e32 v6, 0x3c000000, v6
	s_delay_alu instid0(VALU_DEP_1) | instskip(NEXT) | instid1(VALU_DEP_1)
	v_and_or_b32 v6, 0x7f800000, v7, v6
	v_cndmask_b32_e32 v5, 0, v6, vcc_lo
	s_delay_alu instid0(VALU_DEP_1) | instskip(NEXT) | instid1(VALU_DEP_1)
	v_and_or_b32 v4, 0x80000000, v4, v5
	v_cvt_f64_f32_e32 v[4:5], v4
.LBB134_1969:
	s_mov_b32 s21, 0
.LBB134_1970:
	s_delay_alu instid0(SALU_CYCLE_1)
	s_and_not1_b32 vcc_lo, exec_lo, s21
	s_cbranch_vccnz .LBB134_1972
; %bb.1971:
	global_load_u8 v4, v[10:11], off
	s_wait_loadcnt 0x0
	v_lshlrev_b32_e32 v5, 25, v4
	v_lshlrev_b16 v4, 8, v4
	s_delay_alu instid0(VALU_DEP_1) | instskip(SKIP_1) | instid1(VALU_DEP_2)
	v_and_or_b32 v7, 0x7f00, v4, 0.5
	v_bfe_i32 v4, v4, 0, 16
	v_dual_add_f32 v7, -0.5, v7 :: v_dual_lshrrev_b32 v6, 4, v5
	v_cmp_gt_u32_e32 vcc_lo, 0x8000000, v5
	s_delay_alu instid0(VALU_DEP_2) | instskip(NEXT) | instid1(VALU_DEP_1)
	v_or_b32_e32 v6, 0x70000000, v6
	v_mul_f32_e32 v6, 0x7800000, v6
	s_delay_alu instid0(VALU_DEP_1) | instskip(NEXT) | instid1(VALU_DEP_1)
	v_cndmask_b32_e32 v5, v6, v7, vcc_lo
	v_and_or_b32 v4, 0x80000000, v4, v5
	s_delay_alu instid0(VALU_DEP_1)
	v_cvt_f64_f32_e32 v[4:5], v4
.LBB134_1972:
	s_mov_b32 s21, 0
	s_mov_b32 s22, -1
.LBB134_1973:
	s_and_not1_b32 vcc_lo, exec_lo, s21
	s_mov_b32 s21, 0
	s_cbranch_vccnz .LBB134_1984
; %bb.1974:
	s_cmp_gt_i32 s0, 14
	s_cbranch_scc0 .LBB134_1977
; %bb.1975:
	s_cmp_eq_u32 s0, 15
	s_cbranch_scc0 .LBB134_1980
; %bb.1976:
	global_load_u16 v4, v[10:11], off
	s_mov_b32 s1, 0
	s_mov_b32 s22, -1
	s_wait_loadcnt 0x0
	v_lshlrev_b32_e32 v4, 16, v4
	s_delay_alu instid0(VALU_DEP_1)
	v_cvt_f64_f32_e32 v[4:5], v4
	s_branch .LBB134_1982
.LBB134_1977:
	s_mov_b32 s21, -1
	s_branch .LBB134_1981
.LBB134_1978:
	s_or_saveexec_b32 s22, s22
	v_mov_b64_e32 v[4:5], 0x7ff8000020000000
	s_xor_b32 exec_lo, exec_lo, s22
	s_cbranch_execz .LBB134_1959
.LBB134_1979:
	v_cmp_ne_u16_e32 vcc_lo, 0, v6
	v_mov_b64_e32 v[4:5], 0
	s_and_not1_b32 s21, s21, exec_lo
	s_and_b32 s23, vcc_lo, exec_lo
	s_delay_alu instid0(SALU_CYCLE_1)
	s_or_b32 s21, s21, s23
	s_or_b32 exec_lo, exec_lo, s22
	s_and_saveexec_b32 s22, s21
	s_cbranch_execnz .LBB134_1960
	s_branch .LBB134_1961
.LBB134_1980:
	s_mov_b32 s1, -1
.LBB134_1981:
                                        ; implicit-def: $vgpr4_vgpr5
.LBB134_1982:
	s_and_b32 vcc_lo, exec_lo, s21
	s_mov_b32 s21, 0
	s_cbranch_vccz .LBB134_1984
; %bb.1983:
	s_cmp_lg_u32 s0, 11
	s_mov_b32 s21, -1
	s_cselect_b32 s1, -1, 0
.LBB134_1984:
	v_mov_b64_e32 v[6:7], 0
	s_and_b32 vcc_lo, exec_lo, s1
	s_cbranch_vccz .LBB134_1830
.LBB134_1985:
	s_or_b32 s17, s17, exec_lo
	s_trap 2
	s_cbranch_execz .LBB134_1831
	s_branch .LBB134_1832
.LBB134_1986:
	s_mov_b32 s24, -1
	s_mov_b32 s23, 0
	s_mov_b32 s21, 0
	s_branch .LBB134_1988
.LBB134_1987:
	s_mov_b32 s21, -1
	s_mov_b32 s23, 0
.LBB134_1988:
                                        ; implicit-def: $vgpr10_vgpr11
.LBB134_1989:
	s_and_b32 vcc_lo, exec_lo, s24
	s_cbranch_vccz .LBB134_1994
; %bb.1990:
	s_cmp_eq_u32 s12, 44
	s_cbranch_scc0 .LBB134_1992
; %bb.1991:
	global_load_u8 v10, v[14:15], off
	s_mov_b32 s21, 0
	s_mov_b32 s23, -1
	s_wait_loadcnt 0x0
	v_cmp_ne_u32_e32 vcc_lo, 0xff, v10
	v_lshlrev_b32_e32 v8, 23, v10
	s_delay_alu instid0(VALU_DEP_1) | instskip(NEXT) | instid1(VALU_DEP_1)
	v_cvt_f64_f32_e32 v[8:9], v8
	v_cndmask_b32_e32 v8, 0x20000000, v8, vcc_lo
	s_delay_alu instid0(VALU_DEP_2) | instskip(SKIP_1) | instid1(VALU_DEP_2)
	v_cndmask_b32_e32 v9, 0x7ff80000, v9, vcc_lo
	v_cmp_ne_u32_e32 vcc_lo, 0, v10
	v_cndmask_b32_e32 v9, 0x38000000, v9, vcc_lo
	s_delay_alu instid0(VALU_DEP_4)
	v_cndmask_b32_e32 v8, 0, v8, vcc_lo
	s_branch .LBB134_1993
.LBB134_1992:
	s_mov_b32 s21, -1
                                        ; implicit-def: $vgpr8_vgpr9
.LBB134_1993:
	s_wait_xcnt 0x0
	v_mov_b64_e32 v[10:11], 0
.LBB134_1994:
	s_mov_b32 s24, 0
.LBB134_1995:
	s_delay_alu instid0(SALU_CYCLE_1)
	s_and_b32 vcc_lo, exec_lo, s24
	s_cbranch_vccz .LBB134_2000
; %bb.1996:
	s_cmp_eq_u32 s12, 29
	s_cbranch_scc0 .LBB134_1998
; %bb.1997:
	global_load_b64 v[8:9], v[14:15], off
	s_mov_b32 s21, 0
	s_mov_b32 s23, -1
	s_wait_loadcnt 0x0
	s_wait_xcnt 0x1
	v_cvt_f64_u32_e32 v[10:11], v9
	v_cvt_f64_u32_e32 v[8:9], v8
	s_delay_alu instid0(VALU_DEP_2) | instskip(NEXT) | instid1(VALU_DEP_1)
	v_ldexp_f64 v[10:11], v[10:11], 32
	v_add_f64_e32 v[8:9], v[10:11], v[8:9]
	s_branch .LBB134_1999
.LBB134_1998:
	s_mov_b32 s21, -1
                                        ; implicit-def: $vgpr8_vgpr9
.LBB134_1999:
	s_wait_xcnt 0x0
	v_mov_b64_e32 v[10:11], 0
.LBB134_2000:
	s_mov_b32 s24, 0
.LBB134_2001:
	s_delay_alu instid0(SALU_CYCLE_1)
	s_and_b32 vcc_lo, exec_lo, s24
	s_cbranch_vccz .LBB134_2019
; %bb.2002:
	s_cmp_lt_i32 s12, 27
	s_cbranch_scc1 .LBB134_2005
; %bb.2003:
	s_cmp_gt_i32 s12, 27
	s_cbranch_scc0 .LBB134_2006
; %bb.2004:
	global_load_b32 v8, v[14:15], off
	s_mov_b32 s23, 0
	s_wait_loadcnt 0x0
	v_cvt_f64_u32_e32 v[8:9], v8
	s_branch .LBB134_2007
.LBB134_2005:
	s_mov_b32 s23, -1
                                        ; implicit-def: $vgpr8_vgpr9
	s_branch .LBB134_2010
.LBB134_2006:
	s_mov_b32 s23, -1
                                        ; implicit-def: $vgpr8_vgpr9
.LBB134_2007:
	s_delay_alu instid0(SALU_CYCLE_1)
	s_and_not1_b32 vcc_lo, exec_lo, s23
	s_cbranch_vccnz .LBB134_2009
; %bb.2008:
	global_load_u16 v8, v[14:15], off
	s_wait_loadcnt 0x0
	v_cvt_f64_u32_e32 v[8:9], v8
.LBB134_2009:
	s_mov_b32 s23, 0
.LBB134_2010:
	s_delay_alu instid0(SALU_CYCLE_1)
	s_and_not1_b32 vcc_lo, exec_lo, s23
	s_cbranch_vccnz .LBB134_2018
; %bb.2011:
	global_load_u8 v10, v[14:15], off
	s_mov_b32 s23, 0
	s_mov_b32 s24, exec_lo
	s_wait_loadcnt 0x0
	v_cmpx_lt_i16_e32 0x7f, v10
	s_xor_b32 s24, exec_lo, s24
	s_cbranch_execz .LBB134_2044
; %bb.2012:
	s_mov_b32 s23, -1
	s_mov_b32 s25, exec_lo
	v_cmpx_eq_u16_e32 0x80, v10
; %bb.2013:
	s_xor_b32 s23, exec_lo, -1
; %bb.2014:
	s_or_b32 exec_lo, exec_lo, s25
	s_delay_alu instid0(SALU_CYCLE_1)
	s_and_b32 s23, s23, exec_lo
	s_or_saveexec_b32 s24, s24
	v_mov_b64_e32 v[8:9], 0x7ff8000020000000
	s_xor_b32 exec_lo, exec_lo, s24
	s_cbranch_execnz .LBB134_2045
.LBB134_2015:
	s_or_b32 exec_lo, exec_lo, s24
	s_and_saveexec_b32 s24, s23
	s_cbranch_execz .LBB134_2017
.LBB134_2016:
	v_and_b32_e32 v8, 0xffff, v10
	s_delay_alu instid0(VALU_DEP_1) | instskip(SKIP_1) | instid1(VALU_DEP_2)
	v_and_b32_e32 v9, 7, v8
	v_bfe_u32 v17, v8, 3, 4
	v_clz_i32_u32_e32 v11, v9
	s_delay_alu instid0(VALU_DEP_2) | instskip(NEXT) | instid1(VALU_DEP_2)
	v_cmp_eq_u32_e32 vcc_lo, 0, v17
	v_min_u32_e32 v11, 32, v11
	s_delay_alu instid0(VALU_DEP_1) | instskip(NEXT) | instid1(VALU_DEP_1)
	v_subrev_nc_u32_e32 v13, 28, v11
	v_dual_lshlrev_b32 v8, v13, v8 :: v_dual_sub_nc_u32 v11, 29, v11
	s_delay_alu instid0(VALU_DEP_1) | instskip(NEXT) | instid1(VALU_DEP_2)
	v_dual_lshlrev_b32 v10, 24, v10 :: v_dual_bitop2_b32 v8, 7, v8 bitop3:0x40
	v_cndmask_b32_e32 v11, v17, v11, vcc_lo
	s_delay_alu instid0(VALU_DEP_2) | instskip(NEXT) | instid1(VALU_DEP_3)
	v_cndmask_b32_e32 v8, v9, v8, vcc_lo
	v_and_b32_e32 v9, 0x80000000, v10
	s_delay_alu instid0(VALU_DEP_3) | instskip(NEXT) | instid1(VALU_DEP_3)
	v_lshl_add_u32 v10, v11, 23, 0x3b800000
	v_lshlrev_b32_e32 v8, 20, v8
	s_delay_alu instid0(VALU_DEP_1) | instskip(NEXT) | instid1(VALU_DEP_1)
	v_or3_b32 v8, v9, v10, v8
	v_cvt_f64_f32_e32 v[8:9], v8
.LBB134_2017:
	s_or_b32 exec_lo, exec_lo, s24
.LBB134_2018:
	s_wait_xcnt 0x0
	v_mov_b64_e32 v[10:11], 0
	s_mov_b32 s23, -1
.LBB134_2019:
	s_mov_b32 s24, 0
.LBB134_2020:
	s_delay_alu instid0(SALU_CYCLE_1)
	s_and_b32 vcc_lo, exec_lo, s24
	s_cbranch_vccz .LBB134_2031
; %bb.2021:
	s_cmp_gt_i32 s12, 22
	s_cbranch_scc0 .LBB134_2042
; %bb.2022:
	s_cmp_lt_i32 s12, 24
	s_cbranch_scc1 .LBB134_2046
; %bb.2023:
	s_cmp_gt_i32 s12, 24
	s_cbranch_scc0 .LBB134_2048
; %bb.2024:
	global_load_u8 v10, v[14:15], off
	s_mov_b32 s23, exec_lo
	s_wait_loadcnt 0x0
	v_cmpx_lt_i16_e32 0x7f, v10
	s_xor_b32 s23, exec_lo, s23
	s_cbranch_execz .LBB134_2060
; %bb.2025:
	s_mov_b32 s22, -1
	s_mov_b32 s24, exec_lo
	v_cmpx_eq_u16_e32 0x80, v10
; %bb.2026:
	s_xor_b32 s22, exec_lo, -1
; %bb.2027:
	s_or_b32 exec_lo, exec_lo, s24
	s_delay_alu instid0(SALU_CYCLE_1)
	s_and_b32 s22, s22, exec_lo
	s_or_saveexec_b32 s23, s23
	v_mov_b64_e32 v[8:9], 0x7ff8000020000000
	s_xor_b32 exec_lo, exec_lo, s23
	s_cbranch_execnz .LBB134_2061
.LBB134_2028:
	s_or_b32 exec_lo, exec_lo, s23
	s_and_saveexec_b32 s23, s22
	s_cbranch_execz .LBB134_2030
.LBB134_2029:
	v_and_b32_e32 v8, 0xffff, v10
	s_delay_alu instid0(VALU_DEP_1) | instskip(SKIP_1) | instid1(VALU_DEP_2)
	v_and_b32_e32 v9, 3, v8
	v_bfe_u32 v17, v8, 2, 5
	v_clz_i32_u32_e32 v11, v9
	s_delay_alu instid0(VALU_DEP_2) | instskip(NEXT) | instid1(VALU_DEP_2)
	v_cmp_eq_u32_e32 vcc_lo, 0, v17
	v_min_u32_e32 v11, 32, v11
	s_delay_alu instid0(VALU_DEP_1) | instskip(NEXT) | instid1(VALU_DEP_1)
	v_subrev_nc_u32_e32 v13, 29, v11
	v_dual_lshlrev_b32 v8, v13, v8 :: v_dual_sub_nc_u32 v11, 30, v11
	s_delay_alu instid0(VALU_DEP_1) | instskip(NEXT) | instid1(VALU_DEP_2)
	v_dual_lshlrev_b32 v10, 24, v10 :: v_dual_bitop2_b32 v8, 3, v8 bitop3:0x40
	v_cndmask_b32_e32 v11, v17, v11, vcc_lo
	s_delay_alu instid0(VALU_DEP_2) | instskip(NEXT) | instid1(VALU_DEP_3)
	v_cndmask_b32_e32 v8, v9, v8, vcc_lo
	v_and_b32_e32 v9, 0x80000000, v10
	s_delay_alu instid0(VALU_DEP_3) | instskip(NEXT) | instid1(VALU_DEP_3)
	v_lshl_add_u32 v10, v11, 23, 0x37800000
	v_lshlrev_b32_e32 v8, 21, v8
	s_delay_alu instid0(VALU_DEP_1) | instskip(NEXT) | instid1(VALU_DEP_1)
	v_or3_b32 v8, v9, v10, v8
	v_cvt_f64_f32_e32 v[8:9], v8
.LBB134_2030:
	s_or_b32 exec_lo, exec_lo, s23
	s_mov_b32 s22, 0
	s_branch .LBB134_2049
.LBB134_2031:
	s_and_b32 vcc_lo, exec_lo, s21
	s_cbranch_vccnz .LBB134_2079
.LBB134_2032:
	s_and_not1_b32 vcc_lo, exec_lo, s22
	s_cbranch_vccnz .LBB134_2034
.LBB134_2033:
	global_load_u8 v8, v[14:15], off
	s_wait_xcnt 0x1
	v_mov_b64_e32 v[10:11], 0
	s_mov_b32 s23, -1
	s_wait_loadcnt 0x0
	v_cmp_ne_u16_e32 vcc_lo, 0, v8
	v_mov_b32_e32 v8, 0
	v_cndmask_b32_e64 v9, 0, 0x3ff00000, vcc_lo
.LBB134_2034:
	s_mov_b32 s12, 0
.LBB134_2035:
	s_delay_alu instid0(SALU_CYCLE_1)
	s_and_b32 vcc_lo, exec_lo, s12
	s_cbranch_vccz .LBB134_2110
; %bb.2036:
	s_and_b32 s12, 0xffff, s16
	s_delay_alu instid0(SALU_CYCLE_1)
	s_cmp_lt_i32 s12, 5
	s_cbranch_scc1 .LBB134_2041
; %bb.2037:
	s_cmp_lt_i32 s12, 8
	s_cbranch_scc1 .LBB134_2043
; %bb.2038:
	;; [unrolled: 3-line block ×3, first 2 shown]
	s_cmp_gt_i32 s12, 9
	s_cbranch_scc0 .LBB134_2062
; %bb.2040:
	global_load_b128 v[8:11], v[14:15], off
	s_mov_b32 s21, 0
	s_branch .LBB134_2063
.LBB134_2041:
	s_mov_b32 s21, -1
                                        ; implicit-def: $vgpr10_vgpr11
	s_branch .LBB134_2088
.LBB134_2042:
	s_mov_b32 s22, -1
                                        ; implicit-def: $vgpr8_vgpr9
	s_branch .LBB134_2055
.LBB134_2043:
	s_mov_b32 s21, -1
                                        ; implicit-def: $vgpr10_vgpr11
	s_branch .LBB134_2069
.LBB134_2044:
	s_or_saveexec_b32 s24, s24
	v_mov_b64_e32 v[8:9], 0x7ff8000020000000
	s_xor_b32 exec_lo, exec_lo, s24
	s_cbranch_execz .LBB134_2015
.LBB134_2045:
	v_cmp_ne_u16_e32 vcc_lo, 0, v10
	v_mov_b64_e32 v[8:9], 0
	s_and_not1_b32 s23, s23, exec_lo
	s_and_b32 s25, vcc_lo, exec_lo
	s_delay_alu instid0(SALU_CYCLE_1)
	s_or_b32 s23, s23, s25
	s_or_b32 exec_lo, exec_lo, s24
	s_and_saveexec_b32 s24, s23
	s_cbranch_execnz .LBB134_2016
	s_branch .LBB134_2017
.LBB134_2046:
	s_mov_b32 s22, -1
                                        ; implicit-def: $vgpr8_vgpr9
	s_branch .LBB134_2052
.LBB134_2047:
	s_mov_b32 s21, -1
                                        ; implicit-def: $vgpr10_vgpr11
	s_branch .LBB134_2066
.LBB134_2048:
	s_mov_b32 s22, -1
                                        ; implicit-def: $vgpr8_vgpr9
.LBB134_2049:
	s_delay_alu instid0(SALU_CYCLE_1)
	s_and_b32 vcc_lo, exec_lo, s22
	s_cbranch_vccz .LBB134_2051
; %bb.2050:
	global_load_u8 v8, v[14:15], off
	s_wait_loadcnt 0x0
	v_lshlrev_b32_e32 v8, 24, v8
	s_delay_alu instid0(VALU_DEP_1) | instskip(SKIP_1) | instid1(VALU_DEP_1)
	v_and_b32_e32 v9, 0x7f000000, v8
	s_wait_xcnt 0x1
	v_clz_i32_u32_e32 v10, v9
	v_add_nc_u32_e32 v13, 0x1000000, v9
	v_cmp_ne_u32_e32 vcc_lo, 0, v9
	s_delay_alu instid0(VALU_DEP_3) | instskip(NEXT) | instid1(VALU_DEP_1)
	v_min_u32_e32 v10, 32, v10
	v_sub_nc_u32_e64 v10, v10, 4 clamp
	s_delay_alu instid0(VALU_DEP_1) | instskip(NEXT) | instid1(VALU_DEP_1)
	v_dual_lshlrev_b32 v11, v10, v9 :: v_dual_lshlrev_b32 v10, 23, v10
	v_lshrrev_b32_e32 v11, 4, v11
	s_delay_alu instid0(VALU_DEP_1) | instskip(NEXT) | instid1(VALU_DEP_1)
	v_dual_sub_nc_u32 v10, v11, v10 :: v_dual_ashrrev_i32 v11, 8, v13
	v_add_nc_u32_e32 v10, 0x3c000000, v10
	s_delay_alu instid0(VALU_DEP_1) | instskip(NEXT) | instid1(VALU_DEP_1)
	v_and_or_b32 v10, 0x7f800000, v11, v10
	v_cndmask_b32_e32 v9, 0, v10, vcc_lo
	s_delay_alu instid0(VALU_DEP_1) | instskip(NEXT) | instid1(VALU_DEP_1)
	v_and_or_b32 v8, 0x80000000, v8, v9
	v_cvt_f64_f32_e32 v[8:9], v8
.LBB134_2051:
	s_mov_b32 s22, 0
.LBB134_2052:
	s_delay_alu instid0(SALU_CYCLE_1)
	s_and_not1_b32 vcc_lo, exec_lo, s22
	s_cbranch_vccnz .LBB134_2054
; %bb.2053:
	global_load_u8 v8, v[14:15], off
	s_wait_loadcnt 0x0
	v_lshlrev_b32_e32 v9, 25, v8
	v_lshlrev_b16 v8, 8, v8
	s_wait_xcnt 0x1
	s_delay_alu instid0(VALU_DEP_1) | instskip(SKIP_1) | instid1(VALU_DEP_2)
	v_and_or_b32 v11, 0x7f00, v8, 0.5
	v_bfe_i32 v8, v8, 0, 16
	v_dual_add_f32 v11, -0.5, v11 :: v_dual_lshrrev_b32 v10, 4, v9
	v_cmp_gt_u32_e32 vcc_lo, 0x8000000, v9
	s_delay_alu instid0(VALU_DEP_2) | instskip(NEXT) | instid1(VALU_DEP_1)
	v_or_b32_e32 v10, 0x70000000, v10
	v_mul_f32_e32 v10, 0x7800000, v10
	s_delay_alu instid0(VALU_DEP_1) | instskip(NEXT) | instid1(VALU_DEP_1)
	v_cndmask_b32_e32 v9, v10, v11, vcc_lo
	v_and_or_b32 v8, 0x80000000, v8, v9
	s_delay_alu instid0(VALU_DEP_1)
	v_cvt_f64_f32_e32 v[8:9], v8
.LBB134_2054:
	s_mov_b32 s22, 0
	s_mov_b32 s23, -1
.LBB134_2055:
	s_and_not1_b32 vcc_lo, exec_lo, s22
	s_mov_b32 s22, 0
	s_cbranch_vccnz .LBB134_2078
; %bb.2056:
	s_cmp_gt_i32 s12, 14
	s_cbranch_scc0 .LBB134_2059
; %bb.2057:
	s_cmp_eq_u32 s12, 15
	s_cbranch_scc0 .LBB134_2074
; %bb.2058:
	global_load_u16 v8, v[14:15], off
	s_mov_b32 s21, 0
	s_mov_b32 s23, -1
	s_wait_loadcnt 0x0
	v_lshlrev_b32_e32 v8, 16, v8
	s_delay_alu instid0(VALU_DEP_1)
	v_cvt_f64_f32_e32 v[8:9], v8
	s_branch .LBB134_2076
.LBB134_2059:
	s_mov_b32 s22, -1
	s_branch .LBB134_2075
.LBB134_2060:
	s_or_saveexec_b32 s23, s23
	v_mov_b64_e32 v[8:9], 0x7ff8000020000000
	s_xor_b32 exec_lo, exec_lo, s23
	s_cbranch_execz .LBB134_2028
.LBB134_2061:
	v_cmp_ne_u16_e32 vcc_lo, 0, v10
	v_mov_b64_e32 v[8:9], 0
	s_and_not1_b32 s22, s22, exec_lo
	s_and_b32 s24, vcc_lo, exec_lo
	s_delay_alu instid0(SALU_CYCLE_1)
	s_or_b32 s22, s22, s24
	s_or_b32 exec_lo, exec_lo, s23
	s_and_saveexec_b32 s23, s22
	s_cbranch_execnz .LBB134_2029
	s_branch .LBB134_2030
.LBB134_2062:
	s_mov_b32 s21, -1
                                        ; implicit-def: $vgpr10_vgpr11
.LBB134_2063:
	s_delay_alu instid0(SALU_CYCLE_1)
	s_and_not1_b32 vcc_lo, exec_lo, s21
	s_cbranch_vccnz .LBB134_2065
; %bb.2064:
	s_wait_loadcnt 0x0
	global_load_b64 v[10:11], v[14:15], off
	s_wait_loadcnt 0x0
	v_cvt_f64_f32_e32 v[8:9], v10
	v_cvt_f64_f32_e32 v[10:11], v11
.LBB134_2065:
	s_mov_b32 s21, 0
.LBB134_2066:
	s_delay_alu instid0(SALU_CYCLE_1)
	s_and_not1_b32 vcc_lo, exec_lo, s21
	s_cbranch_vccnz .LBB134_2068
; %bb.2067:
	s_wait_loadcnt 0x0
	global_load_b32 v8, v[14:15], off
	s_wait_loadcnt 0x0
	v_lshrrev_b32_e32 v9, 16, v8
	v_cvt_f32_f16_e32 v8, v8
	s_wait_xcnt 0x1
	s_delay_alu instid0(VALU_DEP_2) | instskip(NEXT) | instid1(VALU_DEP_2)
	v_cvt_f32_f16_e32 v10, v9
	v_cvt_f64_f32_e32 v[8:9], v8
	s_delay_alu instid0(VALU_DEP_2)
	v_cvt_f64_f32_e32 v[10:11], v10
.LBB134_2068:
	s_mov_b32 s21, 0
.LBB134_2069:
	s_delay_alu instid0(SALU_CYCLE_1)
	s_and_not1_b32 vcc_lo, exec_lo, s21
	s_cbranch_vccnz .LBB134_2087
; %bb.2070:
	s_cmp_lt_i32 s12, 6
	s_cbranch_scc1 .LBB134_2073
; %bb.2071:
	s_cmp_gt_i32 s12, 6
	s_cbranch_scc0 .LBB134_2080
; %bb.2072:
	s_wait_loadcnt 0x0
	global_load_b64 v[8:9], v[14:15], off
	s_mov_b32 s21, 0
	s_branch .LBB134_2081
.LBB134_2073:
	s_mov_b32 s21, -1
                                        ; implicit-def: $vgpr8_vgpr9
	s_branch .LBB134_2084
.LBB134_2074:
	s_mov_b32 s21, -1
.LBB134_2075:
                                        ; implicit-def: $vgpr8_vgpr9
.LBB134_2076:
	s_and_b32 vcc_lo, exec_lo, s22
	s_mov_b32 s22, 0
	s_cbranch_vccz .LBB134_2078
; %bb.2077:
	s_cmp_lg_u32 s12, 11
	s_mov_b32 s22, -1
	s_cselect_b32 s21, -1, 0
.LBB134_2078:
	s_wait_xcnt 0x0
	v_mov_b64_e32 v[10:11], 0
	s_and_b32 vcc_lo, exec_lo, s21
	s_cbranch_vccz .LBB134_2032
.LBB134_2079:
	s_or_b32 s17, s17, exec_lo
	s_trap 2
	s_cbranch_execz .LBB134_2033
	s_branch .LBB134_2034
.LBB134_2080:
	s_mov_b32 s21, -1
                                        ; implicit-def: $vgpr8_vgpr9
.LBB134_2081:
	s_delay_alu instid0(SALU_CYCLE_1)
	s_and_not1_b32 vcc_lo, exec_lo, s21
	s_cbranch_vccnz .LBB134_2083
; %bb.2082:
	s_wait_loadcnt 0x0
	global_load_b32 v8, v[14:15], off
	s_wait_loadcnt 0x0
	v_cvt_f64_f32_e32 v[8:9], v8
.LBB134_2083:
	s_mov_b32 s21, 0
.LBB134_2084:
	s_delay_alu instid0(SALU_CYCLE_1)
	s_and_not1_b32 vcc_lo, exec_lo, s21
	s_cbranch_vccnz .LBB134_2086
; %bb.2085:
	s_wait_loadcnt 0x0
	global_load_u16 v8, v[14:15], off
	s_wait_loadcnt 0x0
	v_cvt_f32_f16_e32 v8, v8
	s_delay_alu instid0(VALU_DEP_1)
	v_cvt_f64_f32_e32 v[8:9], v8
.LBB134_2086:
	s_wait_loadcnt 0x0
	v_mov_b64_e32 v[10:11], 0
.LBB134_2087:
	s_mov_b32 s21, 0
.LBB134_2088:
	s_delay_alu instid0(SALU_CYCLE_1)
	s_and_not1_b32 vcc_lo, exec_lo, s21
	s_cbranch_vccnz .LBB134_2109
; %bb.2089:
	s_cmp_lt_i32 s12, 2
	s_cbranch_scc1 .LBB134_2093
; %bb.2090:
	s_cmp_lt_i32 s12, 3
	s_cbranch_scc1 .LBB134_2094
; %bb.2091:
	s_cmp_gt_i32 s12, 3
	s_cbranch_scc0 .LBB134_2095
; %bb.2092:
	s_wait_loadcnt 0x0
	global_load_b64 v[8:9], v[14:15], off
	s_mov_b32 s21, 0
	s_wait_loadcnt 0x0
	s_wait_xcnt 0x1
	v_cvt_f64_i32_e32 v[10:11], v9
	v_cvt_f64_u32_e32 v[8:9], v8
	s_delay_alu instid0(VALU_DEP_2) | instskip(NEXT) | instid1(VALU_DEP_1)
	v_ldexp_f64 v[10:11], v[10:11], 32
	v_add_f64_e32 v[8:9], v[10:11], v[8:9]
	s_branch .LBB134_2096
.LBB134_2093:
	s_mov_b32 s21, -1
                                        ; implicit-def: $vgpr8_vgpr9
	s_branch .LBB134_2102
.LBB134_2094:
	s_mov_b32 s21, -1
                                        ; implicit-def: $vgpr8_vgpr9
	s_branch .LBB134_2099
.LBB134_2095:
	s_mov_b32 s21, -1
                                        ; implicit-def: $vgpr8_vgpr9
.LBB134_2096:
	s_delay_alu instid0(SALU_CYCLE_1)
	s_and_not1_b32 vcc_lo, exec_lo, s21
	s_cbranch_vccnz .LBB134_2098
; %bb.2097:
	s_wait_loadcnt 0x0
	global_load_b32 v8, v[14:15], off
	s_wait_loadcnt 0x0
	v_cvt_f64_i32_e32 v[8:9], v8
.LBB134_2098:
	s_mov_b32 s21, 0
.LBB134_2099:
	s_delay_alu instid0(SALU_CYCLE_1)
	s_and_not1_b32 vcc_lo, exec_lo, s21
	s_cbranch_vccnz .LBB134_2101
; %bb.2100:
	s_wait_loadcnt 0x0
	global_load_i16 v8, v[14:15], off
	s_wait_loadcnt 0x0
	v_cvt_f64_i32_e32 v[8:9], v8
.LBB134_2101:
	s_mov_b32 s21, 0
.LBB134_2102:
	s_delay_alu instid0(SALU_CYCLE_1)
	s_and_not1_b32 vcc_lo, exec_lo, s21
	s_cbranch_vccnz .LBB134_2108
; %bb.2103:
	s_cmp_gt_i32 s12, 0
	s_mov_b32 s12, 0
	s_cbranch_scc0 .LBB134_2105
; %bb.2104:
	s_wait_loadcnt 0x0
	global_load_i8 v8, v[14:15], off
	s_wait_loadcnt 0x0
	v_cvt_f64_i32_e32 v[8:9], v8
	s_branch .LBB134_2106
.LBB134_2105:
	s_mov_b32 s12, -1
                                        ; implicit-def: $vgpr8_vgpr9
.LBB134_2106:
	s_delay_alu instid0(SALU_CYCLE_1)
	s_and_not1_b32 vcc_lo, exec_lo, s12
	s_cbranch_vccnz .LBB134_2108
; %bb.2107:
	s_wait_loadcnt 0x0
	global_load_u8 v8, v[14:15], off
	s_wait_loadcnt 0x0
	v_cvt_f64_u32_e32 v[8:9], v8
.LBB134_2108:
	s_wait_loadcnt 0x0
	v_mov_b64_e32 v[10:11], 0
.LBB134_2109:
	s_mov_b32 s23, -1
.LBB134_2110:
	s_delay_alu instid0(SALU_CYCLE_1)
	s_and_not1_b32 vcc_lo, exec_lo, s23
	s_cbranch_vccnz .LBB134_3270
; %bb.2111:
	s_lshl_b32 s12, s13, 7
	s_cmp_lt_i32 s0, 11
	v_add_nc_u32_e32 v20, s12, v12
	s_delay_alu instid0(VALU_DEP_1) | instskip(NEXT) | instid1(VALU_DEP_1)
	v_ashrrev_i32_e32 v21, 31, v20
	v_add_nc_u64_e32 v[18:19], s[10:11], v[20:21]
	s_cbranch_scc1 .LBB134_2118
; %bb.2112:
	s_cmp_gt_i32 s0, 25
	s_mov_b32 s21, 0
	s_cbranch_scc0 .LBB134_2119
; %bb.2113:
	s_cmp_gt_i32 s0, 28
	s_cbranch_scc0 .LBB134_2120
; %bb.2114:
	s_cmp_gt_i32 s0, 43
	;; [unrolled: 3-line block ×3, first 2 shown]
	s_cbranch_scc0 .LBB134_2122
; %bb.2116:
	s_cmp_eq_u32 s0, 46
	s_mov_b32 s23, 0
	s_cbranch_scc0 .LBB134_2125
; %bb.2117:
	global_load_b32 v12, v[18:19], off
	s_mov_b32 s13, 0
	s_mov_b32 s22, -1
	s_wait_loadcnt 0x0
	v_lshlrev_b32_e32 v13, 16, v12
	s_wait_xcnt 0x1
	v_and_b32_e32 v14, 0xffff0000, v12
	s_delay_alu instid0(VALU_DEP_2) | instskip(NEXT) | instid1(VALU_DEP_2)
	v_cvt_f64_f32_e32 v[12:13], v13
	v_cvt_f64_f32_e32 v[14:15], v14
	s_branch .LBB134_2127
.LBB134_2118:
	s_mov_b32 s13, -1
	s_mov_b32 s22, 0
                                        ; implicit-def: $vgpr14_vgpr15
	s_branch .LBB134_2173
.LBB134_2119:
	s_mov_b32 s23, -1
	s_mov_b32 s22, 0
	s_mov_b32 s13, 0
                                        ; implicit-def: $vgpr14_vgpr15
	s_branch .LBB134_2158
.LBB134_2120:
	s_mov_b32 s23, -1
	s_mov_b32 s22, 0
	s_mov_b32 s13, 0
                                        ; implicit-def: $vgpr14_vgpr15
	s_branch .LBB134_2139
.LBB134_2121:
	s_mov_b32 s23, -1
	s_mov_b32 s22, 0
	s_mov_b32 s13, 0
                                        ; implicit-def: $vgpr14_vgpr15
	s_branch .LBB134_2133
.LBB134_2122:
	s_mov_b32 s23, -1
	s_mov_b32 s22, 0
	s_mov_b32 s13, 0
	s_branch .LBB134_2126
.LBB134_2123:
	s_and_not1_saveexec_b32 s40, s40
	s_cbranch_execz .LBB134_1160
.LBB134_2124:
	v_add_f32_e64 v7, 0x46000000, |v6|
	s_and_not1_b32 s39, s39, exec_lo
	s_delay_alu instid0(VALU_DEP_1) | instskip(NEXT) | instid1(VALU_DEP_1)
	v_and_b32_e32 v7, 0xff, v7
	v_cmp_ne_u32_e32 vcc_lo, 0, v7
	s_and_b32 s41, vcc_lo, exec_lo
	s_delay_alu instid0(SALU_CYCLE_1)
	s_or_b32 s39, s39, s41
	s_or_b32 exec_lo, exec_lo, s40
	v_mov_b32_e32 v8, 0
	s_and_saveexec_b32 s40, s39
	s_cbranch_execnz .LBB134_1161
	s_branch .LBB134_1162
.LBB134_2125:
	s_mov_b32 s13, -1
	s_mov_b32 s22, 0
.LBB134_2126:
                                        ; implicit-def: $vgpr14_vgpr15
.LBB134_2127:
	s_and_b32 vcc_lo, exec_lo, s23
	s_cbranch_vccz .LBB134_2132
; %bb.2128:
	s_cmp_eq_u32 s0, 44
	s_cbranch_scc0 .LBB134_2130
; %bb.2129:
	global_load_u8 v14, v[18:19], off
	s_mov_b32 s13, 0
	s_mov_b32 s22, -1
	s_wait_loadcnt 0x0
	v_cmp_ne_u32_e32 vcc_lo, 0xff, v14
	v_lshlrev_b32_e32 v12, 23, v14
	s_delay_alu instid0(VALU_DEP_1) | instskip(NEXT) | instid1(VALU_DEP_1)
	v_cvt_f64_f32_e32 v[12:13], v12
	v_cndmask_b32_e32 v12, 0x20000000, v12, vcc_lo
	s_delay_alu instid0(VALU_DEP_2) | instskip(SKIP_1) | instid1(VALU_DEP_2)
	v_cndmask_b32_e32 v13, 0x7ff80000, v13, vcc_lo
	v_cmp_ne_u32_e32 vcc_lo, 0, v14
	v_cndmask_b32_e32 v13, 0x38000000, v13, vcc_lo
	s_delay_alu instid0(VALU_DEP_4)
	v_cndmask_b32_e32 v12, 0, v12, vcc_lo
	s_branch .LBB134_2131
.LBB134_2130:
	s_mov_b32 s13, -1
                                        ; implicit-def: $vgpr12_vgpr13
.LBB134_2131:
	s_wait_xcnt 0x0
	v_mov_b64_e32 v[14:15], 0
.LBB134_2132:
	s_mov_b32 s23, 0
.LBB134_2133:
	s_delay_alu instid0(SALU_CYCLE_1)
	s_and_b32 vcc_lo, exec_lo, s23
	s_cbranch_vccz .LBB134_2138
; %bb.2134:
	s_cmp_eq_u32 s0, 29
	s_cbranch_scc0 .LBB134_2136
; %bb.2135:
	global_load_b64 v[12:13], v[18:19], off
	s_mov_b32 s13, 0
	s_mov_b32 s22, -1
	s_wait_loadcnt 0x0
	s_wait_xcnt 0x1
	v_cvt_f64_u32_e32 v[14:15], v13
	v_cvt_f64_u32_e32 v[12:13], v12
	s_delay_alu instid0(VALU_DEP_2) | instskip(NEXT) | instid1(VALU_DEP_1)
	v_ldexp_f64 v[14:15], v[14:15], 32
	v_add_f64_e32 v[12:13], v[14:15], v[12:13]
	s_branch .LBB134_2137
.LBB134_2136:
	s_mov_b32 s13, -1
                                        ; implicit-def: $vgpr12_vgpr13
.LBB134_2137:
	s_wait_xcnt 0x0
	v_mov_b64_e32 v[14:15], 0
.LBB134_2138:
	s_mov_b32 s23, 0
.LBB134_2139:
	s_delay_alu instid0(SALU_CYCLE_1)
	s_and_b32 vcc_lo, exec_lo, s23
	s_cbranch_vccz .LBB134_2157
; %bb.2140:
	s_cmp_lt_i32 s0, 27
	s_cbranch_scc1 .LBB134_2143
; %bb.2141:
	s_cmp_gt_i32 s0, 27
	s_cbranch_scc0 .LBB134_2144
; %bb.2142:
	global_load_b32 v12, v[18:19], off
	s_mov_b32 s22, 0
	s_wait_loadcnt 0x0
	v_cvt_f64_u32_e32 v[12:13], v12
	s_branch .LBB134_2145
.LBB134_2143:
	s_mov_b32 s22, -1
                                        ; implicit-def: $vgpr12_vgpr13
	s_branch .LBB134_2148
.LBB134_2144:
	s_mov_b32 s22, -1
                                        ; implicit-def: $vgpr12_vgpr13
.LBB134_2145:
	s_delay_alu instid0(SALU_CYCLE_1)
	s_and_not1_b32 vcc_lo, exec_lo, s22
	s_cbranch_vccnz .LBB134_2147
; %bb.2146:
	global_load_u16 v12, v[18:19], off
	s_wait_loadcnt 0x0
	v_cvt_f64_u32_e32 v[12:13], v12
.LBB134_2147:
	s_mov_b32 s22, 0
.LBB134_2148:
	s_delay_alu instid0(SALU_CYCLE_1)
	s_and_not1_b32 vcc_lo, exec_lo, s22
	s_cbranch_vccnz .LBB134_2156
; %bb.2149:
	global_load_u8 v14, v[18:19], off
	s_mov_b32 s22, 0
	s_mov_b32 s23, exec_lo
	s_wait_loadcnt 0x0
	v_cmpx_lt_i16_e32 0x7f, v14
	s_xor_b32 s23, exec_lo, s23
	s_cbranch_execz .LBB134_2182
; %bb.2150:
	s_mov_b32 s22, -1
	s_mov_b32 s24, exec_lo
	v_cmpx_eq_u16_e32 0x80, v14
; %bb.2151:
	s_xor_b32 s22, exec_lo, -1
; %bb.2152:
	s_or_b32 exec_lo, exec_lo, s24
	s_delay_alu instid0(SALU_CYCLE_1)
	s_and_b32 s22, s22, exec_lo
	s_or_saveexec_b32 s23, s23
	v_mov_b64_e32 v[12:13], 0x7ff8000020000000
	s_xor_b32 exec_lo, exec_lo, s23
	s_cbranch_execnz .LBB134_2183
.LBB134_2153:
	s_or_b32 exec_lo, exec_lo, s23
	s_and_saveexec_b32 s23, s22
	s_cbranch_execz .LBB134_2155
.LBB134_2154:
	v_and_b32_e32 v12, 0xffff, v14
	s_delay_alu instid0(VALU_DEP_1) | instskip(SKIP_1) | instid1(VALU_DEP_2)
	v_and_b32_e32 v13, 7, v12
	v_bfe_u32 v21, v12, 3, 4
	v_clz_i32_u32_e32 v15, v13
	s_delay_alu instid0(VALU_DEP_2) | instskip(NEXT) | instid1(VALU_DEP_2)
	v_cmp_eq_u32_e32 vcc_lo, 0, v21
	v_min_u32_e32 v15, 32, v15
	s_delay_alu instid0(VALU_DEP_1) | instskip(NEXT) | instid1(VALU_DEP_1)
	v_subrev_nc_u32_e32 v17, 28, v15
	v_dual_lshlrev_b32 v12, v17, v12 :: v_dual_sub_nc_u32 v15, 29, v15
	s_delay_alu instid0(VALU_DEP_1) | instskip(NEXT) | instid1(VALU_DEP_2)
	v_dual_lshlrev_b32 v14, 24, v14 :: v_dual_bitop2_b32 v12, 7, v12 bitop3:0x40
	v_cndmask_b32_e32 v15, v21, v15, vcc_lo
	s_delay_alu instid0(VALU_DEP_2) | instskip(NEXT) | instid1(VALU_DEP_3)
	v_cndmask_b32_e32 v12, v13, v12, vcc_lo
	v_and_b32_e32 v13, 0x80000000, v14
	s_delay_alu instid0(VALU_DEP_3) | instskip(NEXT) | instid1(VALU_DEP_3)
	v_lshl_add_u32 v14, v15, 23, 0x3b800000
	v_lshlrev_b32_e32 v12, 20, v12
	s_delay_alu instid0(VALU_DEP_1) | instskip(NEXT) | instid1(VALU_DEP_1)
	v_or3_b32 v12, v13, v14, v12
	v_cvt_f64_f32_e32 v[12:13], v12
.LBB134_2155:
	s_or_b32 exec_lo, exec_lo, s23
.LBB134_2156:
	s_wait_xcnt 0x0
	v_mov_b64_e32 v[14:15], 0
	s_mov_b32 s22, -1
.LBB134_2157:
	s_mov_b32 s23, 0
.LBB134_2158:
	s_delay_alu instid0(SALU_CYCLE_1)
	s_and_b32 vcc_lo, exec_lo, s23
	s_cbranch_vccz .LBB134_2169
; %bb.2159:
	s_cmp_gt_i32 s0, 22
	s_cbranch_scc0 .LBB134_2180
; %bb.2160:
	s_cmp_lt_i32 s0, 24
	s_cbranch_scc1 .LBB134_2184
; %bb.2161:
	s_cmp_gt_i32 s0, 24
	s_cbranch_scc0 .LBB134_2186
; %bb.2162:
	global_load_u8 v14, v[18:19], off
	s_mov_b32 s22, exec_lo
	s_wait_loadcnt 0x0
	v_cmpx_lt_i16_e32 0x7f, v14
	s_xor_b32 s22, exec_lo, s22
	s_cbranch_execz .LBB134_2198
; %bb.2163:
	s_mov_b32 s21, -1
	s_mov_b32 s23, exec_lo
	v_cmpx_eq_u16_e32 0x80, v14
; %bb.2164:
	s_xor_b32 s21, exec_lo, -1
; %bb.2165:
	s_or_b32 exec_lo, exec_lo, s23
	s_delay_alu instid0(SALU_CYCLE_1)
	s_and_b32 s21, s21, exec_lo
	s_or_saveexec_b32 s22, s22
	v_mov_b64_e32 v[12:13], 0x7ff8000020000000
	s_xor_b32 exec_lo, exec_lo, s22
	s_cbranch_execnz .LBB134_2199
.LBB134_2166:
	s_or_b32 exec_lo, exec_lo, s22
	s_and_saveexec_b32 s22, s21
	s_cbranch_execz .LBB134_2168
.LBB134_2167:
	v_and_b32_e32 v12, 0xffff, v14
	s_delay_alu instid0(VALU_DEP_1) | instskip(SKIP_1) | instid1(VALU_DEP_2)
	v_and_b32_e32 v13, 3, v12
	v_bfe_u32 v21, v12, 2, 5
	v_clz_i32_u32_e32 v15, v13
	s_delay_alu instid0(VALU_DEP_2) | instskip(NEXT) | instid1(VALU_DEP_2)
	v_cmp_eq_u32_e32 vcc_lo, 0, v21
	v_min_u32_e32 v15, 32, v15
	s_delay_alu instid0(VALU_DEP_1) | instskip(NEXT) | instid1(VALU_DEP_1)
	v_subrev_nc_u32_e32 v17, 29, v15
	v_dual_lshlrev_b32 v12, v17, v12 :: v_dual_sub_nc_u32 v15, 30, v15
	s_delay_alu instid0(VALU_DEP_1) | instskip(NEXT) | instid1(VALU_DEP_2)
	v_dual_lshlrev_b32 v14, 24, v14 :: v_dual_bitop2_b32 v12, 3, v12 bitop3:0x40
	v_cndmask_b32_e32 v15, v21, v15, vcc_lo
	s_delay_alu instid0(VALU_DEP_2) | instskip(NEXT) | instid1(VALU_DEP_3)
	v_cndmask_b32_e32 v12, v13, v12, vcc_lo
	v_and_b32_e32 v13, 0x80000000, v14
	s_delay_alu instid0(VALU_DEP_3) | instskip(NEXT) | instid1(VALU_DEP_3)
	v_lshl_add_u32 v14, v15, 23, 0x37800000
	v_lshlrev_b32_e32 v12, 21, v12
	s_delay_alu instid0(VALU_DEP_1) | instskip(NEXT) | instid1(VALU_DEP_1)
	v_or3_b32 v12, v13, v14, v12
	v_cvt_f64_f32_e32 v[12:13], v12
.LBB134_2168:
	s_or_b32 exec_lo, exec_lo, s22
	s_mov_b32 s21, 0
	s_branch .LBB134_2187
.LBB134_2169:
	s_and_b32 vcc_lo, exec_lo, s13
	s_cbranch_vccnz .LBB134_2217
.LBB134_2170:
	s_and_not1_b32 vcc_lo, exec_lo, s21
	s_cbranch_vccnz .LBB134_2172
.LBB134_2171:
	global_load_u8 v12, v[18:19], off
	s_wait_xcnt 0x1
	v_mov_b64_e32 v[14:15], 0
	s_mov_b32 s22, -1
	s_wait_loadcnt 0x0
	v_cmp_ne_u16_e32 vcc_lo, 0, v12
	v_mov_b32_e32 v12, 0
	v_cndmask_b32_e64 v13, 0, 0x3ff00000, vcc_lo
.LBB134_2172:
	s_mov_b32 s13, 0
.LBB134_2173:
	s_delay_alu instid0(SALU_CYCLE_1)
	s_and_b32 vcc_lo, exec_lo, s13
	s_cbranch_vccz .LBB134_2248
; %bb.2174:
	s_cmp_lt_i32 s0, 5
	s_cbranch_scc1 .LBB134_2179
; %bb.2175:
	s_cmp_lt_i32 s0, 8
	s_cbranch_scc1 .LBB134_2181
	;; [unrolled: 3-line block ×3, first 2 shown]
; %bb.2177:
	s_cmp_gt_i32 s0, 9
	s_cbranch_scc0 .LBB134_2200
; %bb.2178:
	global_load_b128 v[12:15], v[18:19], off
	s_mov_b32 s13, 0
	s_branch .LBB134_2201
.LBB134_2179:
	s_mov_b32 s13, -1
                                        ; implicit-def: $vgpr14_vgpr15
	s_branch .LBB134_2226
.LBB134_2180:
	s_mov_b32 s21, -1
                                        ; implicit-def: $vgpr12_vgpr13
	s_branch .LBB134_2193
.LBB134_2181:
	s_mov_b32 s13, -1
                                        ; implicit-def: $vgpr14_vgpr15
	s_branch .LBB134_2207
.LBB134_2182:
	s_or_saveexec_b32 s23, s23
	v_mov_b64_e32 v[12:13], 0x7ff8000020000000
	s_xor_b32 exec_lo, exec_lo, s23
	s_cbranch_execz .LBB134_2153
.LBB134_2183:
	v_cmp_ne_u16_e32 vcc_lo, 0, v14
	v_mov_b64_e32 v[12:13], 0
	s_and_not1_b32 s22, s22, exec_lo
	s_and_b32 s24, vcc_lo, exec_lo
	s_delay_alu instid0(SALU_CYCLE_1)
	s_or_b32 s22, s22, s24
	s_or_b32 exec_lo, exec_lo, s23
	s_and_saveexec_b32 s23, s22
	s_cbranch_execnz .LBB134_2154
	s_branch .LBB134_2155
.LBB134_2184:
	s_mov_b32 s21, -1
                                        ; implicit-def: $vgpr12_vgpr13
	s_branch .LBB134_2190
.LBB134_2185:
	s_mov_b32 s13, -1
                                        ; implicit-def: $vgpr14_vgpr15
	s_branch .LBB134_2204
.LBB134_2186:
	s_mov_b32 s21, -1
                                        ; implicit-def: $vgpr12_vgpr13
.LBB134_2187:
	s_delay_alu instid0(SALU_CYCLE_1)
	s_and_b32 vcc_lo, exec_lo, s21
	s_cbranch_vccz .LBB134_2189
; %bb.2188:
	global_load_u8 v12, v[18:19], off
	s_wait_loadcnt 0x0
	v_lshlrev_b32_e32 v12, 24, v12
	s_delay_alu instid0(VALU_DEP_1) | instskip(SKIP_1) | instid1(VALU_DEP_1)
	v_and_b32_e32 v13, 0x7f000000, v12
	s_wait_xcnt 0x1
	v_clz_i32_u32_e32 v14, v13
	v_add_nc_u32_e32 v17, 0x1000000, v13
	v_cmp_ne_u32_e32 vcc_lo, 0, v13
	s_delay_alu instid0(VALU_DEP_3) | instskip(NEXT) | instid1(VALU_DEP_1)
	v_min_u32_e32 v14, 32, v14
	v_sub_nc_u32_e64 v14, v14, 4 clamp
	s_delay_alu instid0(VALU_DEP_1) | instskip(NEXT) | instid1(VALU_DEP_1)
	v_dual_lshlrev_b32 v15, v14, v13 :: v_dual_lshlrev_b32 v14, 23, v14
	v_lshrrev_b32_e32 v15, 4, v15
	s_delay_alu instid0(VALU_DEP_1) | instskip(NEXT) | instid1(VALU_DEP_1)
	v_dual_sub_nc_u32 v14, v15, v14 :: v_dual_ashrrev_i32 v15, 8, v17
	v_add_nc_u32_e32 v14, 0x3c000000, v14
	s_delay_alu instid0(VALU_DEP_1) | instskip(NEXT) | instid1(VALU_DEP_1)
	v_and_or_b32 v14, 0x7f800000, v15, v14
	v_cndmask_b32_e32 v13, 0, v14, vcc_lo
	s_delay_alu instid0(VALU_DEP_1) | instskip(NEXT) | instid1(VALU_DEP_1)
	v_and_or_b32 v12, 0x80000000, v12, v13
	v_cvt_f64_f32_e32 v[12:13], v12
.LBB134_2189:
	s_mov_b32 s21, 0
.LBB134_2190:
	s_delay_alu instid0(SALU_CYCLE_1)
	s_and_not1_b32 vcc_lo, exec_lo, s21
	s_cbranch_vccnz .LBB134_2192
; %bb.2191:
	global_load_u8 v12, v[18:19], off
	s_wait_loadcnt 0x0
	v_lshlrev_b32_e32 v13, 25, v12
	v_lshlrev_b16 v12, 8, v12
	s_wait_xcnt 0x1
	s_delay_alu instid0(VALU_DEP_1) | instskip(SKIP_1) | instid1(VALU_DEP_2)
	v_and_or_b32 v15, 0x7f00, v12, 0.5
	v_bfe_i32 v12, v12, 0, 16
	v_dual_add_f32 v15, -0.5, v15 :: v_dual_lshrrev_b32 v14, 4, v13
	v_cmp_gt_u32_e32 vcc_lo, 0x8000000, v13
	s_delay_alu instid0(VALU_DEP_2) | instskip(NEXT) | instid1(VALU_DEP_1)
	v_or_b32_e32 v14, 0x70000000, v14
	v_mul_f32_e32 v14, 0x7800000, v14
	s_delay_alu instid0(VALU_DEP_1) | instskip(NEXT) | instid1(VALU_DEP_1)
	v_cndmask_b32_e32 v13, v14, v15, vcc_lo
	v_and_or_b32 v12, 0x80000000, v12, v13
	s_delay_alu instid0(VALU_DEP_1)
	v_cvt_f64_f32_e32 v[12:13], v12
.LBB134_2192:
	s_mov_b32 s21, 0
	s_mov_b32 s22, -1
.LBB134_2193:
	s_and_not1_b32 vcc_lo, exec_lo, s21
	s_mov_b32 s21, 0
	s_cbranch_vccnz .LBB134_2216
; %bb.2194:
	s_cmp_gt_i32 s0, 14
	s_cbranch_scc0 .LBB134_2197
; %bb.2195:
	s_cmp_eq_u32 s0, 15
	s_cbranch_scc0 .LBB134_2212
; %bb.2196:
	global_load_u16 v12, v[18:19], off
	s_mov_b32 s13, 0
	s_mov_b32 s22, -1
	s_wait_loadcnt 0x0
	v_lshlrev_b32_e32 v12, 16, v12
	s_delay_alu instid0(VALU_DEP_1)
	v_cvt_f64_f32_e32 v[12:13], v12
	s_branch .LBB134_2214
.LBB134_2197:
	s_mov_b32 s21, -1
	s_branch .LBB134_2213
.LBB134_2198:
	s_or_saveexec_b32 s22, s22
	v_mov_b64_e32 v[12:13], 0x7ff8000020000000
	s_xor_b32 exec_lo, exec_lo, s22
	s_cbranch_execz .LBB134_2166
.LBB134_2199:
	v_cmp_ne_u16_e32 vcc_lo, 0, v14
	v_mov_b64_e32 v[12:13], 0
	s_and_not1_b32 s21, s21, exec_lo
	s_and_b32 s23, vcc_lo, exec_lo
	s_delay_alu instid0(SALU_CYCLE_1)
	s_or_b32 s21, s21, s23
	s_or_b32 exec_lo, exec_lo, s22
	s_and_saveexec_b32 s22, s21
	s_cbranch_execnz .LBB134_2167
	s_branch .LBB134_2168
.LBB134_2200:
	s_mov_b32 s13, -1
                                        ; implicit-def: $vgpr14_vgpr15
.LBB134_2201:
	s_delay_alu instid0(SALU_CYCLE_1)
	s_and_not1_b32 vcc_lo, exec_lo, s13
	s_cbranch_vccnz .LBB134_2203
; %bb.2202:
	s_wait_loadcnt 0x0
	global_load_b64 v[14:15], v[18:19], off
	s_wait_loadcnt 0x0
	v_cvt_f64_f32_e32 v[12:13], v14
	v_cvt_f64_f32_e32 v[14:15], v15
.LBB134_2203:
	s_mov_b32 s13, 0
.LBB134_2204:
	s_delay_alu instid0(SALU_CYCLE_1)
	s_and_not1_b32 vcc_lo, exec_lo, s13
	s_cbranch_vccnz .LBB134_2206
; %bb.2205:
	s_wait_loadcnt 0x0
	global_load_b32 v12, v[18:19], off
	s_wait_loadcnt 0x0
	v_lshrrev_b32_e32 v13, 16, v12
	v_cvt_f32_f16_e32 v12, v12
	s_wait_xcnt 0x1
	s_delay_alu instid0(VALU_DEP_2) | instskip(NEXT) | instid1(VALU_DEP_2)
	v_cvt_f32_f16_e32 v14, v13
	v_cvt_f64_f32_e32 v[12:13], v12
	s_delay_alu instid0(VALU_DEP_2)
	v_cvt_f64_f32_e32 v[14:15], v14
.LBB134_2206:
	s_mov_b32 s13, 0
.LBB134_2207:
	s_delay_alu instid0(SALU_CYCLE_1)
	s_and_not1_b32 vcc_lo, exec_lo, s13
	s_cbranch_vccnz .LBB134_2225
; %bb.2208:
	s_cmp_lt_i32 s0, 6
	s_cbranch_scc1 .LBB134_2211
; %bb.2209:
	s_cmp_gt_i32 s0, 6
	s_cbranch_scc0 .LBB134_2218
; %bb.2210:
	s_wait_loadcnt 0x0
	global_load_b64 v[12:13], v[18:19], off
	s_mov_b32 s13, 0
	s_branch .LBB134_2219
.LBB134_2211:
	s_mov_b32 s13, -1
                                        ; implicit-def: $vgpr12_vgpr13
	s_branch .LBB134_2222
.LBB134_2212:
	s_mov_b32 s13, -1
.LBB134_2213:
                                        ; implicit-def: $vgpr12_vgpr13
.LBB134_2214:
	s_and_b32 vcc_lo, exec_lo, s21
	s_mov_b32 s21, 0
	s_cbranch_vccz .LBB134_2216
; %bb.2215:
	s_cmp_lg_u32 s0, 11
	s_mov_b32 s21, -1
	s_cselect_b32 s13, -1, 0
.LBB134_2216:
	s_wait_xcnt 0x0
	v_mov_b64_e32 v[14:15], 0
	s_and_b32 vcc_lo, exec_lo, s13
	s_cbranch_vccz .LBB134_2170
.LBB134_2217:
	s_or_b32 s17, s17, exec_lo
	s_trap 2
	s_cbranch_execz .LBB134_2171
	s_branch .LBB134_2172
.LBB134_2218:
	s_mov_b32 s13, -1
                                        ; implicit-def: $vgpr12_vgpr13
.LBB134_2219:
	s_delay_alu instid0(SALU_CYCLE_1)
	s_and_not1_b32 vcc_lo, exec_lo, s13
	s_cbranch_vccnz .LBB134_2221
; %bb.2220:
	s_wait_loadcnt 0x0
	global_load_b32 v12, v[18:19], off
	s_wait_loadcnt 0x0
	v_cvt_f64_f32_e32 v[12:13], v12
.LBB134_2221:
	s_mov_b32 s13, 0
.LBB134_2222:
	s_delay_alu instid0(SALU_CYCLE_1)
	s_and_not1_b32 vcc_lo, exec_lo, s13
	s_cbranch_vccnz .LBB134_2224
; %bb.2223:
	s_wait_loadcnt 0x0
	global_load_u16 v12, v[18:19], off
	s_wait_loadcnt 0x0
	v_cvt_f32_f16_e32 v12, v12
	s_delay_alu instid0(VALU_DEP_1)
	v_cvt_f64_f32_e32 v[12:13], v12
.LBB134_2224:
	s_wait_loadcnt 0x0
	v_mov_b64_e32 v[14:15], 0
.LBB134_2225:
	s_mov_b32 s13, 0
.LBB134_2226:
	s_delay_alu instid0(SALU_CYCLE_1)
	s_and_not1_b32 vcc_lo, exec_lo, s13
	s_cbranch_vccnz .LBB134_2247
; %bb.2227:
	s_cmp_lt_i32 s0, 2
	s_cbranch_scc1 .LBB134_2231
; %bb.2228:
	s_cmp_lt_i32 s0, 3
	s_cbranch_scc1 .LBB134_2232
; %bb.2229:
	s_cmp_gt_i32 s0, 3
	s_cbranch_scc0 .LBB134_2233
; %bb.2230:
	s_wait_loadcnt 0x0
	global_load_b64 v[12:13], v[18:19], off
	s_mov_b32 s13, 0
	s_wait_loadcnt 0x0
	s_wait_xcnt 0x1
	v_cvt_f64_i32_e32 v[14:15], v13
	v_cvt_f64_u32_e32 v[12:13], v12
	s_delay_alu instid0(VALU_DEP_2) | instskip(NEXT) | instid1(VALU_DEP_1)
	v_ldexp_f64 v[14:15], v[14:15], 32
	v_add_f64_e32 v[12:13], v[14:15], v[12:13]
	s_branch .LBB134_2234
.LBB134_2231:
	s_mov_b32 s13, -1
                                        ; implicit-def: $vgpr12_vgpr13
	s_branch .LBB134_2240
.LBB134_2232:
	s_mov_b32 s13, -1
                                        ; implicit-def: $vgpr12_vgpr13
	s_branch .LBB134_2237
.LBB134_2233:
	s_mov_b32 s13, -1
                                        ; implicit-def: $vgpr12_vgpr13
.LBB134_2234:
	s_delay_alu instid0(SALU_CYCLE_1)
	s_and_not1_b32 vcc_lo, exec_lo, s13
	s_cbranch_vccnz .LBB134_2236
; %bb.2235:
	s_wait_loadcnt 0x0
	global_load_b32 v12, v[18:19], off
	s_wait_loadcnt 0x0
	v_cvt_f64_i32_e32 v[12:13], v12
.LBB134_2236:
	s_mov_b32 s13, 0
.LBB134_2237:
	s_delay_alu instid0(SALU_CYCLE_1)
	s_and_not1_b32 vcc_lo, exec_lo, s13
	s_cbranch_vccnz .LBB134_2239
; %bb.2238:
	s_wait_loadcnt 0x0
	global_load_i16 v12, v[18:19], off
	s_wait_loadcnt 0x0
	v_cvt_f64_i32_e32 v[12:13], v12
.LBB134_2239:
	s_mov_b32 s13, 0
.LBB134_2240:
	s_delay_alu instid0(SALU_CYCLE_1)
	s_and_not1_b32 vcc_lo, exec_lo, s13
	s_cbranch_vccnz .LBB134_2246
; %bb.2241:
	s_cmp_gt_i32 s0, 0
	s_mov_b32 s13, 0
	s_cbranch_scc0 .LBB134_2243
; %bb.2242:
	s_wait_loadcnt 0x0
	global_load_i8 v12, v[18:19], off
	s_wait_loadcnt 0x0
	v_cvt_f64_i32_e32 v[12:13], v12
	s_branch .LBB134_2244
.LBB134_2243:
	s_mov_b32 s13, -1
                                        ; implicit-def: $vgpr12_vgpr13
.LBB134_2244:
	s_delay_alu instid0(SALU_CYCLE_1)
	s_and_not1_b32 vcc_lo, exec_lo, s13
	s_cbranch_vccnz .LBB134_2246
; %bb.2245:
	s_wait_loadcnt 0x0
	global_load_u8 v12, v[18:19], off
	s_wait_loadcnt 0x0
	v_cvt_f64_u32_e32 v[12:13], v12
.LBB134_2246:
	s_wait_loadcnt 0x0
	v_mov_b64_e32 v[14:15], 0
.LBB134_2247:
	s_mov_b32 s22, -1
.LBB134_2248:
	s_delay_alu instid0(SALU_CYCLE_1)
	s_and_not1_b32 vcc_lo, exec_lo, s22
	s_cbranch_vccnz .LBB134_3270
; %bb.2249:
	s_cmp_lt_i32 s18, 23
	s_cbranch_scc1 .LBB134_2253
; %bb.2250:
	s_and_b32 s22, 0xffff, s18
	s_delay_alu instid0(SALU_CYCLE_1)
	s_cmp_gt_i32 s22, 43
	s_cbranch_scc0 .LBB134_2254
; %bb.2251:
	s_cmp_gt_i32 s22, 45
	s_cbranch_scc0 .LBB134_2255
; %bb.2252:
	s_cmp_lg_u32 s22, 46
	s_mov_b32 s23, 0
	s_mov_b32 s13, -1
	s_cselect_b32 s21, -1, 0
	s_branch .LBB134_2256
.LBB134_2253:
	s_mov_b32 s22, -1
	s_mov_b32 s13, 0
	s_mov_b32 s21, 0
	s_branch .LBB134_2262
.LBB134_2254:
	s_mov_b32 s23, -1
	s_mov_b32 s13, 0
	s_mov_b32 s21, 0
	s_branch .LBB134_2259
.LBB134_2255:
	s_mov_b32 s23, -1
	s_mov_b32 s13, 0
	s_mov_b32 s21, 0
.LBB134_2256:
	s_and_not1_b32 vcc_lo, exec_lo, s23
	s_cbranch_vccnz .LBB134_2258
; %bb.2257:
	s_cmp_eq_u32 s22, 44
	s_cselect_b32 s13, -1, 0
	s_cmp_lg_u32 s22, 44
	s_cselect_b32 s21, -1, 0
.LBB134_2258:
	s_mov_b32 s23, 0
.LBB134_2259:
	s_delay_alu instid0(SALU_CYCLE_1)
	s_and_b32 vcc_lo, exec_lo, s23
	s_cbranch_vccz .LBB134_2261
; %bb.2260:
	s_cmp_lt_i32 s22, 30
	s_cselect_b32 s13, -1, 0
	s_cmp_gt_i32 s22, 29
	s_cselect_b32 s21, -1, 0
.LBB134_2261:
	s_mov_b32 s22, 0
.LBB134_2262:
	s_delay_alu instid0(SALU_CYCLE_1)
	s_and_b32 vcc_lo, exec_lo, s22
	s_cbranch_vccz .LBB134_2267
; %bb.2263:
	s_and_b32 s22, 0xffff, s18
	s_mov_b32 s23, -1
	s_cmp_gt_i32 s22, 14
	s_cbranch_scc0 .LBB134_2265
; %bb.2264:
	s_cmp_eq_u32 s22, 15
	s_mov_b32 s23, 0
	s_cselect_b32 s13, -1, 0
	s_cmp_lg_u32 s22, 15
	s_cselect_b32 s21, -1, 0
.LBB134_2265:
	s_and_not1_b32 vcc_lo, exec_lo, s23
	s_cbranch_vccnz .LBB134_2267
; %bb.2266:
	s_cmp_lt_i32 s22, 12
	s_cselect_b32 s13, -1, 0
	s_cmp_gt_i32 s22, 11
	s_cselect_b32 s21, -1, 0
.LBB134_2267:
	s_delay_alu instid0(SALU_CYCLE_1)
	s_and_b32 vcc_lo, exec_lo, s21
	s_cbranch_vccnz .LBB134_2279
; %bb.2268:
	s_and_not1_b32 vcc_lo, exec_lo, s13
	s_cbranch_vccnz .LBB134_3270
.LBB134_2269:
	v_add_nc_u32_e32 v24, s1, v16
	s_cmp_lt_i32 s16, 11
	s_delay_alu instid0(VALU_DEP_1) | instskip(NEXT) | instid1(VALU_DEP_1)
	v_ashrrev_i32_e32 v25, 31, v24
	v_add_nc_u64_e32 v[22:23], s[8:9], v[24:25]
	s_cbranch_scc1 .LBB134_2276
; %bb.2270:
	s_and_b32 s13, 0xffff, s16
	s_mov_b32 s22, 0
	s_cmp_gt_i32 s13, 25
	s_cbranch_scc0 .LBB134_2277
; %bb.2271:
	s_cmp_gt_i32 s13, 28
	s_cbranch_scc0 .LBB134_2278
; %bb.2272:
	;; [unrolled: 3-line block ×4, first 2 shown]
	s_cmp_eq_u32 s13, 46
	s_mov_b32 s24, 0
	s_cbranch_scc0 .LBB134_2284
; %bb.2275:
	global_load_b32 v16, v[22:23], off
	s_mov_b32 s21, 0
	s_mov_b32 s23, -1
	s_wait_loadcnt 0x0
	v_lshlrev_b32_e32 v17, 16, v16
	s_wait_xcnt 0x1
	v_and_b32_e32 v18, 0xffff0000, v16
	s_delay_alu instid0(VALU_DEP_2) | instskip(NEXT) | instid1(VALU_DEP_2)
	v_cvt_f64_f32_e32 v[16:17], v17
	v_cvt_f64_f32_e32 v[18:19], v18
	s_branch .LBB134_2286
.LBB134_2276:
	s_mov_b32 s13, -1
	s_mov_b32 s23, 0
                                        ; implicit-def: $vgpr18_vgpr19
	s_branch .LBB134_2332
.LBB134_2277:
	s_mov_b32 s24, -1
	s_mov_b32 s23, 0
	s_mov_b32 s21, 0
                                        ; implicit-def: $vgpr18_vgpr19
	s_branch .LBB134_2317
.LBB134_2278:
	s_mov_b32 s24, -1
	s_mov_b32 s23, 0
	s_mov_b32 s21, 0
                                        ; implicit-def: $vgpr18_vgpr19
	s_branch .LBB134_2298
.LBB134_2279:
	s_or_b32 s17, s17, exec_lo
	s_trap 2
	s_cbranch_execz .LBB134_2269
	s_branch .LBB134_3270
.LBB134_2280:
	s_mov_b32 s24, -1
	s_mov_b32 s23, 0
	s_mov_b32 s21, 0
                                        ; implicit-def: $vgpr18_vgpr19
	s_branch .LBB134_2292
.LBB134_2281:
	s_and_not1_saveexec_b32 s40, s40
	s_cbranch_execz .LBB134_1173
.LBB134_2282:
	v_add_f32_e64 v7, 0x42800000, |v6|
	s_and_not1_b32 s39, s39, exec_lo
	s_delay_alu instid0(VALU_DEP_1) | instskip(NEXT) | instid1(VALU_DEP_1)
	v_and_b32_e32 v7, 0xff, v7
	v_cmp_ne_u32_e32 vcc_lo, 0, v7
	s_and_b32 s41, vcc_lo, exec_lo
	s_delay_alu instid0(SALU_CYCLE_1)
	s_or_b32 s39, s39, s41
	s_or_b32 exec_lo, exec_lo, s40
	v_mov_b32_e32 v8, 0
	s_and_saveexec_b32 s40, s39
	s_cbranch_execnz .LBB134_1174
	s_branch .LBB134_1175
.LBB134_2283:
	s_mov_b32 s24, -1
	s_mov_b32 s23, 0
	s_mov_b32 s21, 0
	s_branch .LBB134_2285
.LBB134_2284:
	s_mov_b32 s21, -1
	s_mov_b32 s23, 0
.LBB134_2285:
                                        ; implicit-def: $vgpr18_vgpr19
.LBB134_2286:
	s_and_b32 vcc_lo, exec_lo, s24
	s_cbranch_vccz .LBB134_2291
; %bb.2287:
	s_cmp_eq_u32 s13, 44
	s_cbranch_scc0 .LBB134_2289
; %bb.2288:
	global_load_u8 v18, v[22:23], off
	s_mov_b32 s21, 0
	s_mov_b32 s23, -1
	s_wait_loadcnt 0x0
	v_cmp_ne_u32_e32 vcc_lo, 0xff, v18
	v_lshlrev_b32_e32 v16, 23, v18
	s_delay_alu instid0(VALU_DEP_1) | instskip(NEXT) | instid1(VALU_DEP_1)
	v_cvt_f64_f32_e32 v[16:17], v16
	v_cndmask_b32_e32 v16, 0x20000000, v16, vcc_lo
	s_delay_alu instid0(VALU_DEP_2) | instskip(SKIP_1) | instid1(VALU_DEP_2)
	v_cndmask_b32_e32 v17, 0x7ff80000, v17, vcc_lo
	v_cmp_ne_u32_e32 vcc_lo, 0, v18
	v_cndmask_b32_e32 v17, 0x38000000, v17, vcc_lo
	s_delay_alu instid0(VALU_DEP_4)
	v_cndmask_b32_e32 v16, 0, v16, vcc_lo
	s_branch .LBB134_2290
.LBB134_2289:
	s_mov_b32 s21, -1
                                        ; implicit-def: $vgpr16_vgpr17
.LBB134_2290:
	s_wait_xcnt 0x0
	v_mov_b64_e32 v[18:19], 0
.LBB134_2291:
	s_mov_b32 s24, 0
.LBB134_2292:
	s_delay_alu instid0(SALU_CYCLE_1)
	s_and_b32 vcc_lo, exec_lo, s24
	s_cbranch_vccz .LBB134_2297
; %bb.2293:
	s_cmp_eq_u32 s13, 29
	s_cbranch_scc0 .LBB134_2295
; %bb.2294:
	global_load_b64 v[16:17], v[22:23], off
	s_mov_b32 s21, 0
	s_mov_b32 s23, -1
	s_wait_loadcnt 0x0
	s_wait_xcnt 0x1
	v_cvt_f64_u32_e32 v[18:19], v17
	v_cvt_f64_u32_e32 v[16:17], v16
	s_delay_alu instid0(VALU_DEP_2) | instskip(NEXT) | instid1(VALU_DEP_1)
	v_ldexp_f64 v[18:19], v[18:19], 32
	v_add_f64_e32 v[16:17], v[18:19], v[16:17]
	s_branch .LBB134_2296
.LBB134_2295:
	s_mov_b32 s21, -1
                                        ; implicit-def: $vgpr16_vgpr17
.LBB134_2296:
	s_wait_xcnt 0x0
	v_mov_b64_e32 v[18:19], 0
.LBB134_2297:
	s_mov_b32 s24, 0
.LBB134_2298:
	s_delay_alu instid0(SALU_CYCLE_1)
	s_and_b32 vcc_lo, exec_lo, s24
	s_cbranch_vccz .LBB134_2316
; %bb.2299:
	s_cmp_lt_i32 s13, 27
	s_cbranch_scc1 .LBB134_2302
; %bb.2300:
	s_cmp_gt_i32 s13, 27
	s_cbranch_scc0 .LBB134_2303
; %bb.2301:
	global_load_b32 v16, v[22:23], off
	s_mov_b32 s23, 0
	s_wait_loadcnt 0x0
	v_cvt_f64_u32_e32 v[16:17], v16
	s_branch .LBB134_2304
.LBB134_2302:
	s_mov_b32 s23, -1
                                        ; implicit-def: $vgpr16_vgpr17
	s_branch .LBB134_2307
.LBB134_2303:
	s_mov_b32 s23, -1
                                        ; implicit-def: $vgpr16_vgpr17
.LBB134_2304:
	s_delay_alu instid0(SALU_CYCLE_1)
	s_and_not1_b32 vcc_lo, exec_lo, s23
	s_cbranch_vccnz .LBB134_2306
; %bb.2305:
	global_load_u16 v16, v[22:23], off
	s_wait_loadcnt 0x0
	v_cvt_f64_u32_e32 v[16:17], v16
.LBB134_2306:
	s_mov_b32 s23, 0
.LBB134_2307:
	s_delay_alu instid0(SALU_CYCLE_1)
	s_and_not1_b32 vcc_lo, exec_lo, s23
	s_cbranch_vccnz .LBB134_2315
; %bb.2308:
	global_load_u8 v18, v[22:23], off
	s_mov_b32 s23, 0
	s_mov_b32 s24, exec_lo
	s_wait_loadcnt 0x0
	v_cmpx_lt_i16_e32 0x7f, v18
	s_xor_b32 s24, exec_lo, s24
	s_cbranch_execz .LBB134_2341
; %bb.2309:
	s_mov_b32 s23, -1
	s_mov_b32 s25, exec_lo
	v_cmpx_eq_u16_e32 0x80, v18
; %bb.2310:
	s_xor_b32 s23, exec_lo, -1
; %bb.2311:
	s_or_b32 exec_lo, exec_lo, s25
	s_delay_alu instid0(SALU_CYCLE_1)
	s_and_b32 s23, s23, exec_lo
	s_or_saveexec_b32 s24, s24
	v_mov_b64_e32 v[16:17], 0x7ff8000020000000
	s_xor_b32 exec_lo, exec_lo, s24
	s_cbranch_execnz .LBB134_2342
.LBB134_2312:
	s_or_b32 exec_lo, exec_lo, s24
	s_and_saveexec_b32 s24, s23
	s_cbranch_execz .LBB134_2314
.LBB134_2313:
	v_and_b32_e32 v16, 0xffff, v18
	s_delay_alu instid0(VALU_DEP_1) | instskip(SKIP_1) | instid1(VALU_DEP_2)
	v_and_b32_e32 v17, 7, v16
	v_bfe_u32 v25, v16, 3, 4
	v_clz_i32_u32_e32 v19, v17
	s_delay_alu instid0(VALU_DEP_2) | instskip(NEXT) | instid1(VALU_DEP_2)
	v_cmp_eq_u32_e32 vcc_lo, 0, v25
	v_min_u32_e32 v19, 32, v19
	s_delay_alu instid0(VALU_DEP_1) | instskip(NEXT) | instid1(VALU_DEP_1)
	v_subrev_nc_u32_e32 v21, 28, v19
	v_dual_lshlrev_b32 v16, v21, v16 :: v_dual_sub_nc_u32 v19, 29, v19
	s_delay_alu instid0(VALU_DEP_1) | instskip(NEXT) | instid1(VALU_DEP_2)
	v_dual_lshlrev_b32 v18, 24, v18 :: v_dual_bitop2_b32 v16, 7, v16 bitop3:0x40
	v_cndmask_b32_e32 v19, v25, v19, vcc_lo
	s_delay_alu instid0(VALU_DEP_2) | instskip(NEXT) | instid1(VALU_DEP_3)
	v_cndmask_b32_e32 v16, v17, v16, vcc_lo
	v_and_b32_e32 v17, 0x80000000, v18
	s_delay_alu instid0(VALU_DEP_3) | instskip(NEXT) | instid1(VALU_DEP_3)
	v_lshl_add_u32 v18, v19, 23, 0x3b800000
	v_lshlrev_b32_e32 v16, 20, v16
	s_delay_alu instid0(VALU_DEP_1) | instskip(NEXT) | instid1(VALU_DEP_1)
	v_or3_b32 v16, v17, v18, v16
	v_cvt_f64_f32_e32 v[16:17], v16
.LBB134_2314:
	s_or_b32 exec_lo, exec_lo, s24
.LBB134_2315:
	s_wait_xcnt 0x0
	v_mov_b64_e32 v[18:19], 0
	s_mov_b32 s23, -1
.LBB134_2316:
	s_mov_b32 s24, 0
.LBB134_2317:
	s_delay_alu instid0(SALU_CYCLE_1)
	s_and_b32 vcc_lo, exec_lo, s24
	s_cbranch_vccz .LBB134_2328
; %bb.2318:
	s_cmp_gt_i32 s13, 22
	s_cbranch_scc0 .LBB134_2339
; %bb.2319:
	s_cmp_lt_i32 s13, 24
	s_cbranch_scc1 .LBB134_2343
; %bb.2320:
	s_cmp_gt_i32 s13, 24
	s_cbranch_scc0 .LBB134_2345
; %bb.2321:
	global_load_u8 v18, v[22:23], off
	s_mov_b32 s23, exec_lo
	s_wait_loadcnt 0x0
	v_cmpx_lt_i16_e32 0x7f, v18
	s_xor_b32 s23, exec_lo, s23
	s_cbranch_execz .LBB134_2357
; %bb.2322:
	s_mov_b32 s22, -1
	s_mov_b32 s24, exec_lo
	v_cmpx_eq_u16_e32 0x80, v18
; %bb.2323:
	s_xor_b32 s22, exec_lo, -1
; %bb.2324:
	s_or_b32 exec_lo, exec_lo, s24
	s_delay_alu instid0(SALU_CYCLE_1)
	s_and_b32 s22, s22, exec_lo
	s_or_saveexec_b32 s23, s23
	v_mov_b64_e32 v[16:17], 0x7ff8000020000000
	s_xor_b32 exec_lo, exec_lo, s23
	s_cbranch_execnz .LBB134_2358
.LBB134_2325:
	s_or_b32 exec_lo, exec_lo, s23
	s_and_saveexec_b32 s23, s22
	s_cbranch_execz .LBB134_2327
.LBB134_2326:
	v_and_b32_e32 v16, 0xffff, v18
	s_delay_alu instid0(VALU_DEP_1) | instskip(SKIP_1) | instid1(VALU_DEP_2)
	v_and_b32_e32 v17, 3, v16
	v_bfe_u32 v25, v16, 2, 5
	v_clz_i32_u32_e32 v19, v17
	s_delay_alu instid0(VALU_DEP_2) | instskip(NEXT) | instid1(VALU_DEP_2)
	v_cmp_eq_u32_e32 vcc_lo, 0, v25
	v_min_u32_e32 v19, 32, v19
	s_delay_alu instid0(VALU_DEP_1) | instskip(NEXT) | instid1(VALU_DEP_1)
	v_subrev_nc_u32_e32 v21, 29, v19
	v_dual_lshlrev_b32 v16, v21, v16 :: v_dual_sub_nc_u32 v19, 30, v19
	s_delay_alu instid0(VALU_DEP_1) | instskip(NEXT) | instid1(VALU_DEP_2)
	v_dual_lshlrev_b32 v18, 24, v18 :: v_dual_bitop2_b32 v16, 3, v16 bitop3:0x40
	v_cndmask_b32_e32 v19, v25, v19, vcc_lo
	s_delay_alu instid0(VALU_DEP_2) | instskip(NEXT) | instid1(VALU_DEP_3)
	v_cndmask_b32_e32 v16, v17, v16, vcc_lo
	v_and_b32_e32 v17, 0x80000000, v18
	s_delay_alu instid0(VALU_DEP_3) | instskip(NEXT) | instid1(VALU_DEP_3)
	v_lshl_add_u32 v18, v19, 23, 0x37800000
	v_lshlrev_b32_e32 v16, 21, v16
	s_delay_alu instid0(VALU_DEP_1) | instskip(NEXT) | instid1(VALU_DEP_1)
	v_or3_b32 v16, v17, v18, v16
	v_cvt_f64_f32_e32 v[16:17], v16
.LBB134_2327:
	s_or_b32 exec_lo, exec_lo, s23
	s_mov_b32 s22, 0
	s_branch .LBB134_2346
.LBB134_2328:
	s_and_b32 vcc_lo, exec_lo, s21
	s_cbranch_vccnz .LBB134_2376
.LBB134_2329:
	s_and_not1_b32 vcc_lo, exec_lo, s22
	s_cbranch_vccnz .LBB134_2331
.LBB134_2330:
	global_load_u8 v16, v[22:23], off
	s_wait_xcnt 0x1
	v_mov_b64_e32 v[18:19], 0
	s_mov_b32 s23, -1
	s_wait_loadcnt 0x0
	v_cmp_ne_u16_e32 vcc_lo, 0, v16
	v_mov_b32_e32 v16, 0
	v_cndmask_b32_e64 v17, 0, 0x3ff00000, vcc_lo
.LBB134_2331:
	s_mov_b32 s13, 0
.LBB134_2332:
	s_delay_alu instid0(SALU_CYCLE_1)
	s_and_b32 vcc_lo, exec_lo, s13
	s_cbranch_vccz .LBB134_2407
; %bb.2333:
	s_and_b32 s13, 0xffff, s16
	s_delay_alu instid0(SALU_CYCLE_1)
	s_cmp_lt_i32 s13, 5
	s_cbranch_scc1 .LBB134_2338
; %bb.2334:
	s_cmp_lt_i32 s13, 8
	s_cbranch_scc1 .LBB134_2340
; %bb.2335:
	;; [unrolled: 3-line block ×3, first 2 shown]
	s_cmp_gt_i32 s13, 9
	s_cbranch_scc0 .LBB134_2359
; %bb.2337:
	global_load_b128 v[16:19], v[22:23], off
	s_mov_b32 s21, 0
	s_branch .LBB134_2360
.LBB134_2338:
	s_mov_b32 s21, -1
                                        ; implicit-def: $vgpr18_vgpr19
	s_branch .LBB134_2385
.LBB134_2339:
	s_mov_b32 s22, -1
                                        ; implicit-def: $vgpr16_vgpr17
	s_branch .LBB134_2352
.LBB134_2340:
	s_mov_b32 s21, -1
                                        ; implicit-def: $vgpr18_vgpr19
	s_branch .LBB134_2366
.LBB134_2341:
	s_or_saveexec_b32 s24, s24
	v_mov_b64_e32 v[16:17], 0x7ff8000020000000
	s_xor_b32 exec_lo, exec_lo, s24
	s_cbranch_execz .LBB134_2312
.LBB134_2342:
	v_cmp_ne_u16_e32 vcc_lo, 0, v18
	v_mov_b64_e32 v[16:17], 0
	s_and_not1_b32 s23, s23, exec_lo
	s_and_b32 s25, vcc_lo, exec_lo
	s_delay_alu instid0(SALU_CYCLE_1)
	s_or_b32 s23, s23, s25
	s_or_b32 exec_lo, exec_lo, s24
	s_and_saveexec_b32 s24, s23
	s_cbranch_execnz .LBB134_2313
	s_branch .LBB134_2314
.LBB134_2343:
	s_mov_b32 s22, -1
                                        ; implicit-def: $vgpr16_vgpr17
	s_branch .LBB134_2349
.LBB134_2344:
	s_mov_b32 s21, -1
                                        ; implicit-def: $vgpr18_vgpr19
	s_branch .LBB134_2363
.LBB134_2345:
	s_mov_b32 s22, -1
                                        ; implicit-def: $vgpr16_vgpr17
.LBB134_2346:
	s_delay_alu instid0(SALU_CYCLE_1)
	s_and_b32 vcc_lo, exec_lo, s22
	s_cbranch_vccz .LBB134_2348
; %bb.2347:
	global_load_u8 v16, v[22:23], off
	s_wait_loadcnt 0x0
	v_lshlrev_b32_e32 v16, 24, v16
	s_delay_alu instid0(VALU_DEP_1) | instskip(SKIP_1) | instid1(VALU_DEP_1)
	v_and_b32_e32 v17, 0x7f000000, v16
	s_wait_xcnt 0x1
	v_clz_i32_u32_e32 v18, v17
	v_add_nc_u32_e32 v21, 0x1000000, v17
	v_cmp_ne_u32_e32 vcc_lo, 0, v17
	s_delay_alu instid0(VALU_DEP_3) | instskip(NEXT) | instid1(VALU_DEP_1)
	v_min_u32_e32 v18, 32, v18
	v_sub_nc_u32_e64 v18, v18, 4 clamp
	s_delay_alu instid0(VALU_DEP_1) | instskip(NEXT) | instid1(VALU_DEP_1)
	v_dual_lshlrev_b32 v19, v18, v17 :: v_dual_lshlrev_b32 v18, 23, v18
	v_lshrrev_b32_e32 v19, 4, v19
	s_delay_alu instid0(VALU_DEP_1) | instskip(NEXT) | instid1(VALU_DEP_1)
	v_dual_sub_nc_u32 v18, v19, v18 :: v_dual_ashrrev_i32 v19, 8, v21
	v_add_nc_u32_e32 v18, 0x3c000000, v18
	s_delay_alu instid0(VALU_DEP_1) | instskip(NEXT) | instid1(VALU_DEP_1)
	v_and_or_b32 v18, 0x7f800000, v19, v18
	v_cndmask_b32_e32 v17, 0, v18, vcc_lo
	s_delay_alu instid0(VALU_DEP_1) | instskip(NEXT) | instid1(VALU_DEP_1)
	v_and_or_b32 v16, 0x80000000, v16, v17
	v_cvt_f64_f32_e32 v[16:17], v16
.LBB134_2348:
	s_mov_b32 s22, 0
.LBB134_2349:
	s_delay_alu instid0(SALU_CYCLE_1)
	s_and_not1_b32 vcc_lo, exec_lo, s22
	s_cbranch_vccnz .LBB134_2351
; %bb.2350:
	global_load_u8 v16, v[22:23], off
	s_wait_loadcnt 0x0
	v_lshlrev_b32_e32 v17, 25, v16
	v_lshlrev_b16 v16, 8, v16
	s_wait_xcnt 0x1
	s_delay_alu instid0(VALU_DEP_1) | instskip(SKIP_1) | instid1(VALU_DEP_2)
	v_and_or_b32 v19, 0x7f00, v16, 0.5
	v_bfe_i32 v16, v16, 0, 16
	v_dual_add_f32 v19, -0.5, v19 :: v_dual_lshrrev_b32 v18, 4, v17
	v_cmp_gt_u32_e32 vcc_lo, 0x8000000, v17
	s_delay_alu instid0(VALU_DEP_2) | instskip(NEXT) | instid1(VALU_DEP_1)
	v_or_b32_e32 v18, 0x70000000, v18
	v_mul_f32_e32 v18, 0x7800000, v18
	s_delay_alu instid0(VALU_DEP_1) | instskip(NEXT) | instid1(VALU_DEP_1)
	v_cndmask_b32_e32 v17, v18, v19, vcc_lo
	v_and_or_b32 v16, 0x80000000, v16, v17
	s_delay_alu instid0(VALU_DEP_1)
	v_cvt_f64_f32_e32 v[16:17], v16
.LBB134_2351:
	s_mov_b32 s22, 0
	s_mov_b32 s23, -1
.LBB134_2352:
	s_and_not1_b32 vcc_lo, exec_lo, s22
	s_mov_b32 s22, 0
	s_cbranch_vccnz .LBB134_2375
; %bb.2353:
	s_cmp_gt_i32 s13, 14
	s_cbranch_scc0 .LBB134_2356
; %bb.2354:
	s_cmp_eq_u32 s13, 15
	s_cbranch_scc0 .LBB134_2371
; %bb.2355:
	global_load_u16 v16, v[22:23], off
	s_mov_b32 s21, 0
	s_mov_b32 s23, -1
	s_wait_loadcnt 0x0
	v_lshlrev_b32_e32 v16, 16, v16
	s_delay_alu instid0(VALU_DEP_1)
	v_cvt_f64_f32_e32 v[16:17], v16
	s_branch .LBB134_2373
.LBB134_2356:
	s_mov_b32 s22, -1
	s_branch .LBB134_2372
.LBB134_2357:
	s_or_saveexec_b32 s23, s23
	v_mov_b64_e32 v[16:17], 0x7ff8000020000000
	s_xor_b32 exec_lo, exec_lo, s23
	s_cbranch_execz .LBB134_2325
.LBB134_2358:
	v_cmp_ne_u16_e32 vcc_lo, 0, v18
	v_mov_b64_e32 v[16:17], 0
	s_and_not1_b32 s22, s22, exec_lo
	s_and_b32 s24, vcc_lo, exec_lo
	s_delay_alu instid0(SALU_CYCLE_1)
	s_or_b32 s22, s22, s24
	s_or_b32 exec_lo, exec_lo, s23
	s_and_saveexec_b32 s23, s22
	s_cbranch_execnz .LBB134_2326
	s_branch .LBB134_2327
.LBB134_2359:
	s_mov_b32 s21, -1
                                        ; implicit-def: $vgpr18_vgpr19
.LBB134_2360:
	s_delay_alu instid0(SALU_CYCLE_1)
	s_and_not1_b32 vcc_lo, exec_lo, s21
	s_cbranch_vccnz .LBB134_2362
; %bb.2361:
	s_wait_loadcnt 0x0
	global_load_b64 v[18:19], v[22:23], off
	s_wait_loadcnt 0x0
	v_cvt_f64_f32_e32 v[16:17], v18
	v_cvt_f64_f32_e32 v[18:19], v19
.LBB134_2362:
	s_mov_b32 s21, 0
.LBB134_2363:
	s_delay_alu instid0(SALU_CYCLE_1)
	s_and_not1_b32 vcc_lo, exec_lo, s21
	s_cbranch_vccnz .LBB134_2365
; %bb.2364:
	s_wait_loadcnt 0x0
	global_load_b32 v16, v[22:23], off
	s_wait_loadcnt 0x0
	v_lshrrev_b32_e32 v17, 16, v16
	v_cvt_f32_f16_e32 v16, v16
	s_wait_xcnt 0x1
	s_delay_alu instid0(VALU_DEP_2) | instskip(NEXT) | instid1(VALU_DEP_2)
	v_cvt_f32_f16_e32 v18, v17
	v_cvt_f64_f32_e32 v[16:17], v16
	s_delay_alu instid0(VALU_DEP_2)
	v_cvt_f64_f32_e32 v[18:19], v18
.LBB134_2365:
	s_mov_b32 s21, 0
.LBB134_2366:
	s_delay_alu instid0(SALU_CYCLE_1)
	s_and_not1_b32 vcc_lo, exec_lo, s21
	s_cbranch_vccnz .LBB134_2384
; %bb.2367:
	s_cmp_lt_i32 s13, 6
	s_cbranch_scc1 .LBB134_2370
; %bb.2368:
	s_cmp_gt_i32 s13, 6
	s_cbranch_scc0 .LBB134_2377
; %bb.2369:
	s_wait_loadcnt 0x0
	global_load_b64 v[16:17], v[22:23], off
	s_mov_b32 s21, 0
	s_branch .LBB134_2378
.LBB134_2370:
	s_mov_b32 s21, -1
                                        ; implicit-def: $vgpr16_vgpr17
	s_branch .LBB134_2381
.LBB134_2371:
	s_mov_b32 s21, -1
.LBB134_2372:
                                        ; implicit-def: $vgpr16_vgpr17
.LBB134_2373:
	s_and_b32 vcc_lo, exec_lo, s22
	s_mov_b32 s22, 0
	s_cbranch_vccz .LBB134_2375
; %bb.2374:
	s_cmp_lg_u32 s13, 11
	s_mov_b32 s22, -1
	s_cselect_b32 s21, -1, 0
.LBB134_2375:
	s_wait_xcnt 0x0
	v_mov_b64_e32 v[18:19], 0
	s_and_b32 vcc_lo, exec_lo, s21
	s_cbranch_vccz .LBB134_2329
.LBB134_2376:
	s_or_b32 s17, s17, exec_lo
	s_trap 2
	s_cbranch_execz .LBB134_2330
	s_branch .LBB134_2331
.LBB134_2377:
	s_mov_b32 s21, -1
                                        ; implicit-def: $vgpr16_vgpr17
.LBB134_2378:
	s_delay_alu instid0(SALU_CYCLE_1)
	s_and_not1_b32 vcc_lo, exec_lo, s21
	s_cbranch_vccnz .LBB134_2380
; %bb.2379:
	s_wait_loadcnt 0x0
	global_load_b32 v16, v[22:23], off
	s_wait_loadcnt 0x0
	v_cvt_f64_f32_e32 v[16:17], v16
.LBB134_2380:
	s_mov_b32 s21, 0
.LBB134_2381:
	s_delay_alu instid0(SALU_CYCLE_1)
	s_and_not1_b32 vcc_lo, exec_lo, s21
	s_cbranch_vccnz .LBB134_2383
; %bb.2382:
	s_wait_loadcnt 0x0
	global_load_u16 v16, v[22:23], off
	s_wait_loadcnt 0x0
	v_cvt_f32_f16_e32 v16, v16
	s_delay_alu instid0(VALU_DEP_1)
	v_cvt_f64_f32_e32 v[16:17], v16
.LBB134_2383:
	s_wait_loadcnt 0x0
	v_mov_b64_e32 v[18:19], 0
.LBB134_2384:
	s_mov_b32 s21, 0
.LBB134_2385:
	s_delay_alu instid0(SALU_CYCLE_1)
	s_and_not1_b32 vcc_lo, exec_lo, s21
	s_cbranch_vccnz .LBB134_2406
; %bb.2386:
	s_cmp_lt_i32 s13, 2
	s_cbranch_scc1 .LBB134_2390
; %bb.2387:
	s_cmp_lt_i32 s13, 3
	s_cbranch_scc1 .LBB134_2391
; %bb.2388:
	s_cmp_gt_i32 s13, 3
	s_cbranch_scc0 .LBB134_2392
; %bb.2389:
	s_wait_loadcnt 0x0
	global_load_b64 v[16:17], v[22:23], off
	s_mov_b32 s21, 0
	s_wait_loadcnt 0x0
	s_wait_xcnt 0x1
	v_cvt_f64_i32_e32 v[18:19], v17
	v_cvt_f64_u32_e32 v[16:17], v16
	s_delay_alu instid0(VALU_DEP_2) | instskip(NEXT) | instid1(VALU_DEP_1)
	v_ldexp_f64 v[18:19], v[18:19], 32
	v_add_f64_e32 v[16:17], v[18:19], v[16:17]
	s_branch .LBB134_2393
.LBB134_2390:
	s_mov_b32 s21, -1
                                        ; implicit-def: $vgpr16_vgpr17
	s_branch .LBB134_2399
.LBB134_2391:
	s_mov_b32 s21, -1
                                        ; implicit-def: $vgpr16_vgpr17
	s_branch .LBB134_2396
.LBB134_2392:
	s_mov_b32 s21, -1
                                        ; implicit-def: $vgpr16_vgpr17
.LBB134_2393:
	s_delay_alu instid0(SALU_CYCLE_1)
	s_and_not1_b32 vcc_lo, exec_lo, s21
	s_cbranch_vccnz .LBB134_2395
; %bb.2394:
	s_wait_loadcnt 0x0
	global_load_b32 v16, v[22:23], off
	s_wait_loadcnt 0x0
	v_cvt_f64_i32_e32 v[16:17], v16
.LBB134_2395:
	s_mov_b32 s21, 0
.LBB134_2396:
	s_delay_alu instid0(SALU_CYCLE_1)
	s_and_not1_b32 vcc_lo, exec_lo, s21
	s_cbranch_vccnz .LBB134_2398
; %bb.2397:
	s_wait_loadcnt 0x0
	global_load_i16 v16, v[22:23], off
	s_wait_loadcnt 0x0
	v_cvt_f64_i32_e32 v[16:17], v16
.LBB134_2398:
	s_mov_b32 s21, 0
.LBB134_2399:
	s_delay_alu instid0(SALU_CYCLE_1)
	s_and_not1_b32 vcc_lo, exec_lo, s21
	s_cbranch_vccnz .LBB134_2405
; %bb.2400:
	s_cmp_gt_i32 s13, 0
	s_mov_b32 s13, 0
	s_cbranch_scc0 .LBB134_2402
; %bb.2401:
	s_wait_loadcnt 0x0
	global_load_i8 v16, v[22:23], off
	s_wait_loadcnt 0x0
	v_cvt_f64_i32_e32 v[16:17], v16
	s_branch .LBB134_2403
.LBB134_2402:
	s_mov_b32 s13, -1
                                        ; implicit-def: $vgpr16_vgpr17
.LBB134_2403:
	s_delay_alu instid0(SALU_CYCLE_1)
	s_and_not1_b32 vcc_lo, exec_lo, s13
	s_cbranch_vccnz .LBB134_2405
; %bb.2404:
	s_wait_loadcnt 0x0
	global_load_u8 v16, v[22:23], off
	s_wait_loadcnt 0x0
	v_cvt_f64_u32_e32 v[16:17], v16
.LBB134_2405:
	s_wait_loadcnt 0x0
	v_mov_b64_e32 v[18:19], 0
.LBB134_2406:
	s_mov_b32 s23, -1
.LBB134_2407:
	s_delay_alu instid0(SALU_CYCLE_1)
	s_and_not1_b32 vcc_lo, exec_lo, s23
	s_cbranch_vccnz .LBB134_3270
; %bb.2408:
	v_add_nc_u32_e32 v28, s12, v20
	s_cmp_lt_i32 s0, 11
	s_delay_alu instid0(VALU_DEP_1) | instskip(NEXT) | instid1(VALU_DEP_1)
	v_ashrrev_i32_e32 v29, 31, v28
	v_add_nc_u64_e32 v[26:27], s[10:11], v[28:29]
	s_cbranch_scc1 .LBB134_2415
; %bb.2409:
	s_cmp_gt_i32 s0, 25
	s_mov_b32 s21, 0
	s_cbranch_scc0 .LBB134_2416
; %bb.2410:
	s_cmp_gt_i32 s0, 28
	s_cbranch_scc0 .LBB134_2417
; %bb.2411:
	s_cmp_gt_i32 s0, 43
	s_cbranch_scc0 .LBB134_2418
; %bb.2412:
	s_cmp_gt_i32 s0, 45
	s_cbranch_scc0 .LBB134_2419
; %bb.2413:
	s_cmp_eq_u32 s0, 46
	s_mov_b32 s23, 0
	s_cbranch_scc0 .LBB134_2420
; %bb.2414:
	global_load_b32 v20, v[26:27], off
	s_mov_b32 s13, 0
	s_mov_b32 s22, -1
	s_wait_loadcnt 0x0
	v_lshlrev_b32_e32 v21, 16, v20
	s_wait_xcnt 0x1
	v_and_b32_e32 v22, 0xffff0000, v20
	s_delay_alu instid0(VALU_DEP_2) | instskip(NEXT) | instid1(VALU_DEP_2)
	v_cvt_f64_f32_e32 v[20:21], v21
	v_cvt_f64_f32_e32 v[22:23], v22
	s_branch .LBB134_2422
.LBB134_2415:
	s_mov_b32 s13, -1
	s_mov_b32 s22, 0
                                        ; implicit-def: $vgpr22_vgpr23
	s_branch .LBB134_2468
.LBB134_2416:
	s_mov_b32 s23, -1
	s_mov_b32 s22, 0
	s_mov_b32 s13, 0
                                        ; implicit-def: $vgpr22_vgpr23
	s_branch .LBB134_2453
.LBB134_2417:
	s_mov_b32 s23, -1
	s_mov_b32 s22, 0
	s_mov_b32 s13, 0
                                        ; implicit-def: $vgpr22_vgpr23
	s_branch .LBB134_2434
.LBB134_2418:
	s_mov_b32 s23, -1
	s_mov_b32 s22, 0
	s_mov_b32 s13, 0
                                        ; implicit-def: $vgpr22_vgpr23
	s_branch .LBB134_2428
.LBB134_2419:
	s_mov_b32 s23, -1
	s_mov_b32 s22, 0
	s_mov_b32 s13, 0
	s_branch .LBB134_2421
.LBB134_2420:
	s_mov_b32 s13, -1
	s_mov_b32 s22, 0
.LBB134_2421:
                                        ; implicit-def: $vgpr22_vgpr23
.LBB134_2422:
	s_and_b32 vcc_lo, exec_lo, s23
	s_cbranch_vccz .LBB134_2427
; %bb.2423:
	s_cmp_eq_u32 s0, 44
	s_cbranch_scc0 .LBB134_2425
; %bb.2424:
	global_load_u8 v22, v[26:27], off
	s_mov_b32 s13, 0
	s_mov_b32 s22, -1
	s_wait_loadcnt 0x0
	v_cmp_ne_u32_e32 vcc_lo, 0xff, v22
	v_lshlrev_b32_e32 v20, 23, v22
	s_delay_alu instid0(VALU_DEP_1) | instskip(NEXT) | instid1(VALU_DEP_1)
	v_cvt_f64_f32_e32 v[20:21], v20
	v_cndmask_b32_e32 v20, 0x20000000, v20, vcc_lo
	s_delay_alu instid0(VALU_DEP_2) | instskip(SKIP_1) | instid1(VALU_DEP_2)
	v_cndmask_b32_e32 v21, 0x7ff80000, v21, vcc_lo
	v_cmp_ne_u32_e32 vcc_lo, 0, v22
	v_cndmask_b32_e32 v21, 0x38000000, v21, vcc_lo
	s_delay_alu instid0(VALU_DEP_4)
	v_cndmask_b32_e32 v20, 0, v20, vcc_lo
	s_branch .LBB134_2426
.LBB134_2425:
	s_mov_b32 s13, -1
                                        ; implicit-def: $vgpr20_vgpr21
.LBB134_2426:
	s_wait_xcnt 0x0
	v_mov_b64_e32 v[22:23], 0
.LBB134_2427:
	s_mov_b32 s23, 0
.LBB134_2428:
	s_delay_alu instid0(SALU_CYCLE_1)
	s_and_b32 vcc_lo, exec_lo, s23
	s_cbranch_vccz .LBB134_2433
; %bb.2429:
	s_cmp_eq_u32 s0, 29
	s_cbranch_scc0 .LBB134_2431
; %bb.2430:
	global_load_b64 v[20:21], v[26:27], off
	s_mov_b32 s13, 0
	s_mov_b32 s22, -1
	s_wait_loadcnt 0x0
	s_wait_xcnt 0x1
	v_cvt_f64_u32_e32 v[22:23], v21
	v_cvt_f64_u32_e32 v[20:21], v20
	s_delay_alu instid0(VALU_DEP_2) | instskip(NEXT) | instid1(VALU_DEP_1)
	v_ldexp_f64 v[22:23], v[22:23], 32
	v_add_f64_e32 v[20:21], v[22:23], v[20:21]
	s_branch .LBB134_2432
.LBB134_2431:
	s_mov_b32 s13, -1
                                        ; implicit-def: $vgpr20_vgpr21
.LBB134_2432:
	s_wait_xcnt 0x0
	v_mov_b64_e32 v[22:23], 0
.LBB134_2433:
	s_mov_b32 s23, 0
.LBB134_2434:
	s_delay_alu instid0(SALU_CYCLE_1)
	s_and_b32 vcc_lo, exec_lo, s23
	s_cbranch_vccz .LBB134_2452
; %bb.2435:
	s_cmp_lt_i32 s0, 27
	s_cbranch_scc1 .LBB134_2438
; %bb.2436:
	s_cmp_gt_i32 s0, 27
	s_cbranch_scc0 .LBB134_2439
; %bb.2437:
	global_load_b32 v20, v[26:27], off
	s_mov_b32 s22, 0
	s_wait_loadcnt 0x0
	v_cvt_f64_u32_e32 v[20:21], v20
	s_branch .LBB134_2440
.LBB134_2438:
	s_mov_b32 s22, -1
                                        ; implicit-def: $vgpr20_vgpr21
	s_branch .LBB134_2443
.LBB134_2439:
	s_mov_b32 s22, -1
                                        ; implicit-def: $vgpr20_vgpr21
.LBB134_2440:
	s_delay_alu instid0(SALU_CYCLE_1)
	s_and_not1_b32 vcc_lo, exec_lo, s22
	s_cbranch_vccnz .LBB134_2442
; %bb.2441:
	global_load_u16 v20, v[26:27], off
	s_wait_loadcnt 0x0
	v_cvt_f64_u32_e32 v[20:21], v20
.LBB134_2442:
	s_mov_b32 s22, 0
.LBB134_2443:
	s_delay_alu instid0(SALU_CYCLE_1)
	s_and_not1_b32 vcc_lo, exec_lo, s22
	s_cbranch_vccnz .LBB134_2451
; %bb.2444:
	global_load_u8 v22, v[26:27], off
	s_mov_b32 s22, 0
	s_mov_b32 s23, exec_lo
	s_wait_loadcnt 0x0
	v_cmpx_lt_i16_e32 0x7f, v22
	s_xor_b32 s23, exec_lo, s23
	s_cbranch_execz .LBB134_2477
; %bb.2445:
	s_mov_b32 s22, -1
	s_mov_b32 s24, exec_lo
	v_cmpx_eq_u16_e32 0x80, v22
; %bb.2446:
	s_xor_b32 s22, exec_lo, -1
; %bb.2447:
	s_or_b32 exec_lo, exec_lo, s24
	s_delay_alu instid0(SALU_CYCLE_1)
	s_and_b32 s22, s22, exec_lo
	s_or_saveexec_b32 s23, s23
	v_mov_b64_e32 v[20:21], 0x7ff8000020000000
	s_xor_b32 exec_lo, exec_lo, s23
	s_cbranch_execnz .LBB134_2478
.LBB134_2448:
	s_or_b32 exec_lo, exec_lo, s23
	s_and_saveexec_b32 s23, s22
	s_cbranch_execz .LBB134_2450
.LBB134_2449:
	v_and_b32_e32 v20, 0xffff, v22
	s_delay_alu instid0(VALU_DEP_1) | instskip(SKIP_1) | instid1(VALU_DEP_2)
	v_and_b32_e32 v21, 7, v20
	v_bfe_u32 v29, v20, 3, 4
	v_clz_i32_u32_e32 v23, v21
	s_delay_alu instid0(VALU_DEP_2) | instskip(NEXT) | instid1(VALU_DEP_2)
	v_cmp_eq_u32_e32 vcc_lo, 0, v29
	v_min_u32_e32 v23, 32, v23
	s_delay_alu instid0(VALU_DEP_1) | instskip(NEXT) | instid1(VALU_DEP_1)
	v_subrev_nc_u32_e32 v25, 28, v23
	v_dual_lshlrev_b32 v20, v25, v20 :: v_dual_sub_nc_u32 v23, 29, v23
	s_delay_alu instid0(VALU_DEP_1) | instskip(NEXT) | instid1(VALU_DEP_2)
	v_dual_lshlrev_b32 v22, 24, v22 :: v_dual_bitop2_b32 v20, 7, v20 bitop3:0x40
	v_cndmask_b32_e32 v23, v29, v23, vcc_lo
	s_delay_alu instid0(VALU_DEP_2) | instskip(NEXT) | instid1(VALU_DEP_3)
	v_cndmask_b32_e32 v20, v21, v20, vcc_lo
	v_and_b32_e32 v21, 0x80000000, v22
	s_delay_alu instid0(VALU_DEP_3) | instskip(NEXT) | instid1(VALU_DEP_3)
	v_lshl_add_u32 v22, v23, 23, 0x3b800000
	v_lshlrev_b32_e32 v20, 20, v20
	s_delay_alu instid0(VALU_DEP_1) | instskip(NEXT) | instid1(VALU_DEP_1)
	v_or3_b32 v20, v21, v22, v20
	v_cvt_f64_f32_e32 v[20:21], v20
.LBB134_2450:
	s_or_b32 exec_lo, exec_lo, s23
.LBB134_2451:
	s_wait_xcnt 0x0
	v_mov_b64_e32 v[22:23], 0
	s_mov_b32 s22, -1
.LBB134_2452:
	s_mov_b32 s23, 0
.LBB134_2453:
	s_delay_alu instid0(SALU_CYCLE_1)
	s_and_b32 vcc_lo, exec_lo, s23
	s_cbranch_vccz .LBB134_2464
; %bb.2454:
	s_cmp_gt_i32 s0, 22
	s_cbranch_scc0 .LBB134_2475
; %bb.2455:
	s_cmp_lt_i32 s0, 24
	s_cbranch_scc1 .LBB134_2479
; %bb.2456:
	s_cmp_gt_i32 s0, 24
	s_cbranch_scc0 .LBB134_2481
; %bb.2457:
	global_load_u8 v22, v[26:27], off
	s_mov_b32 s22, exec_lo
	s_wait_loadcnt 0x0
	v_cmpx_lt_i16_e32 0x7f, v22
	s_xor_b32 s22, exec_lo, s22
	s_cbranch_execz .LBB134_2493
; %bb.2458:
	s_mov_b32 s21, -1
	s_mov_b32 s23, exec_lo
	v_cmpx_eq_u16_e32 0x80, v22
; %bb.2459:
	s_xor_b32 s21, exec_lo, -1
; %bb.2460:
	s_or_b32 exec_lo, exec_lo, s23
	s_delay_alu instid0(SALU_CYCLE_1)
	s_and_b32 s21, s21, exec_lo
	s_or_saveexec_b32 s22, s22
	v_mov_b64_e32 v[20:21], 0x7ff8000020000000
	s_xor_b32 exec_lo, exec_lo, s22
	s_cbranch_execnz .LBB134_2494
.LBB134_2461:
	s_or_b32 exec_lo, exec_lo, s22
	s_and_saveexec_b32 s22, s21
	s_cbranch_execz .LBB134_2463
.LBB134_2462:
	v_and_b32_e32 v20, 0xffff, v22
	s_delay_alu instid0(VALU_DEP_1) | instskip(SKIP_1) | instid1(VALU_DEP_2)
	v_and_b32_e32 v21, 3, v20
	v_bfe_u32 v29, v20, 2, 5
	v_clz_i32_u32_e32 v23, v21
	s_delay_alu instid0(VALU_DEP_2) | instskip(NEXT) | instid1(VALU_DEP_2)
	v_cmp_eq_u32_e32 vcc_lo, 0, v29
	v_min_u32_e32 v23, 32, v23
	s_delay_alu instid0(VALU_DEP_1) | instskip(NEXT) | instid1(VALU_DEP_1)
	v_subrev_nc_u32_e32 v25, 29, v23
	v_dual_lshlrev_b32 v20, v25, v20 :: v_dual_sub_nc_u32 v23, 30, v23
	s_delay_alu instid0(VALU_DEP_1) | instskip(NEXT) | instid1(VALU_DEP_2)
	v_dual_lshlrev_b32 v22, 24, v22 :: v_dual_bitop2_b32 v20, 3, v20 bitop3:0x40
	v_cndmask_b32_e32 v23, v29, v23, vcc_lo
	s_delay_alu instid0(VALU_DEP_2) | instskip(NEXT) | instid1(VALU_DEP_3)
	v_cndmask_b32_e32 v20, v21, v20, vcc_lo
	v_and_b32_e32 v21, 0x80000000, v22
	s_delay_alu instid0(VALU_DEP_3) | instskip(NEXT) | instid1(VALU_DEP_3)
	v_lshl_add_u32 v22, v23, 23, 0x37800000
	v_lshlrev_b32_e32 v20, 21, v20
	s_delay_alu instid0(VALU_DEP_1) | instskip(NEXT) | instid1(VALU_DEP_1)
	v_or3_b32 v20, v21, v22, v20
	v_cvt_f64_f32_e32 v[20:21], v20
.LBB134_2463:
	s_or_b32 exec_lo, exec_lo, s22
	s_mov_b32 s21, 0
	s_branch .LBB134_2482
.LBB134_2464:
	s_and_b32 vcc_lo, exec_lo, s13
	s_cbranch_vccnz .LBB134_2512
.LBB134_2465:
	s_and_not1_b32 vcc_lo, exec_lo, s21
	s_cbranch_vccnz .LBB134_2467
.LBB134_2466:
	global_load_u8 v20, v[26:27], off
	s_wait_xcnt 0x1
	v_mov_b64_e32 v[22:23], 0
	s_mov_b32 s22, -1
	s_wait_loadcnt 0x0
	v_cmp_ne_u16_e32 vcc_lo, 0, v20
	v_mov_b32_e32 v20, 0
	v_cndmask_b32_e64 v21, 0, 0x3ff00000, vcc_lo
.LBB134_2467:
	s_mov_b32 s13, 0
.LBB134_2468:
	s_delay_alu instid0(SALU_CYCLE_1)
	s_and_b32 vcc_lo, exec_lo, s13
	s_cbranch_vccz .LBB134_2543
; %bb.2469:
	s_cmp_lt_i32 s0, 5
	s_cbranch_scc1 .LBB134_2474
; %bb.2470:
	s_cmp_lt_i32 s0, 8
	s_cbranch_scc1 .LBB134_2476
	;; [unrolled: 3-line block ×3, first 2 shown]
; %bb.2472:
	s_cmp_gt_i32 s0, 9
	s_cbranch_scc0 .LBB134_2495
; %bb.2473:
	global_load_b128 v[20:23], v[26:27], off
	s_mov_b32 s13, 0
	s_branch .LBB134_2496
.LBB134_2474:
	s_mov_b32 s13, -1
                                        ; implicit-def: $vgpr22_vgpr23
	s_branch .LBB134_2521
.LBB134_2475:
	s_mov_b32 s21, -1
                                        ; implicit-def: $vgpr20_vgpr21
	s_branch .LBB134_2488
.LBB134_2476:
	s_mov_b32 s13, -1
                                        ; implicit-def: $vgpr22_vgpr23
	s_branch .LBB134_2502
.LBB134_2477:
	s_or_saveexec_b32 s23, s23
	v_mov_b64_e32 v[20:21], 0x7ff8000020000000
	s_xor_b32 exec_lo, exec_lo, s23
	s_cbranch_execz .LBB134_2448
.LBB134_2478:
	v_cmp_ne_u16_e32 vcc_lo, 0, v22
	v_mov_b64_e32 v[20:21], 0
	s_and_not1_b32 s22, s22, exec_lo
	s_and_b32 s24, vcc_lo, exec_lo
	s_delay_alu instid0(SALU_CYCLE_1)
	s_or_b32 s22, s22, s24
	s_or_b32 exec_lo, exec_lo, s23
	s_and_saveexec_b32 s23, s22
	s_cbranch_execnz .LBB134_2449
	s_branch .LBB134_2450
.LBB134_2479:
	s_mov_b32 s21, -1
                                        ; implicit-def: $vgpr20_vgpr21
	s_branch .LBB134_2485
.LBB134_2480:
	s_mov_b32 s13, -1
                                        ; implicit-def: $vgpr22_vgpr23
	s_branch .LBB134_2499
.LBB134_2481:
	s_mov_b32 s21, -1
                                        ; implicit-def: $vgpr20_vgpr21
.LBB134_2482:
	s_delay_alu instid0(SALU_CYCLE_1)
	s_and_b32 vcc_lo, exec_lo, s21
	s_cbranch_vccz .LBB134_2484
; %bb.2483:
	global_load_u8 v20, v[26:27], off
	s_wait_loadcnt 0x0
	v_lshlrev_b32_e32 v20, 24, v20
	s_delay_alu instid0(VALU_DEP_1) | instskip(SKIP_1) | instid1(VALU_DEP_1)
	v_and_b32_e32 v21, 0x7f000000, v20
	s_wait_xcnt 0x1
	v_clz_i32_u32_e32 v22, v21
	v_add_nc_u32_e32 v25, 0x1000000, v21
	v_cmp_ne_u32_e32 vcc_lo, 0, v21
	s_delay_alu instid0(VALU_DEP_3) | instskip(NEXT) | instid1(VALU_DEP_1)
	v_min_u32_e32 v22, 32, v22
	v_sub_nc_u32_e64 v22, v22, 4 clamp
	s_delay_alu instid0(VALU_DEP_1) | instskip(NEXT) | instid1(VALU_DEP_1)
	v_dual_lshlrev_b32 v23, v22, v21 :: v_dual_lshlrev_b32 v22, 23, v22
	v_lshrrev_b32_e32 v23, 4, v23
	s_delay_alu instid0(VALU_DEP_1) | instskip(NEXT) | instid1(VALU_DEP_1)
	v_dual_sub_nc_u32 v22, v23, v22 :: v_dual_ashrrev_i32 v23, 8, v25
	v_add_nc_u32_e32 v22, 0x3c000000, v22
	s_delay_alu instid0(VALU_DEP_1) | instskip(NEXT) | instid1(VALU_DEP_1)
	v_and_or_b32 v22, 0x7f800000, v23, v22
	v_cndmask_b32_e32 v21, 0, v22, vcc_lo
	s_delay_alu instid0(VALU_DEP_1) | instskip(NEXT) | instid1(VALU_DEP_1)
	v_and_or_b32 v20, 0x80000000, v20, v21
	v_cvt_f64_f32_e32 v[20:21], v20
.LBB134_2484:
	s_mov_b32 s21, 0
.LBB134_2485:
	s_delay_alu instid0(SALU_CYCLE_1)
	s_and_not1_b32 vcc_lo, exec_lo, s21
	s_cbranch_vccnz .LBB134_2487
; %bb.2486:
	global_load_u8 v20, v[26:27], off
	s_wait_loadcnt 0x0
	v_lshlrev_b32_e32 v21, 25, v20
	v_lshlrev_b16 v20, 8, v20
	s_wait_xcnt 0x1
	s_delay_alu instid0(VALU_DEP_1) | instskip(SKIP_1) | instid1(VALU_DEP_2)
	v_and_or_b32 v23, 0x7f00, v20, 0.5
	v_bfe_i32 v20, v20, 0, 16
	v_dual_add_f32 v23, -0.5, v23 :: v_dual_lshrrev_b32 v22, 4, v21
	v_cmp_gt_u32_e32 vcc_lo, 0x8000000, v21
	s_delay_alu instid0(VALU_DEP_2) | instskip(NEXT) | instid1(VALU_DEP_1)
	v_or_b32_e32 v22, 0x70000000, v22
	v_mul_f32_e32 v22, 0x7800000, v22
	s_delay_alu instid0(VALU_DEP_1) | instskip(NEXT) | instid1(VALU_DEP_1)
	v_cndmask_b32_e32 v21, v22, v23, vcc_lo
	v_and_or_b32 v20, 0x80000000, v20, v21
	s_delay_alu instid0(VALU_DEP_1)
	v_cvt_f64_f32_e32 v[20:21], v20
.LBB134_2487:
	s_mov_b32 s21, 0
	s_mov_b32 s22, -1
.LBB134_2488:
	s_and_not1_b32 vcc_lo, exec_lo, s21
	s_mov_b32 s21, 0
	s_cbranch_vccnz .LBB134_2511
; %bb.2489:
	s_cmp_gt_i32 s0, 14
	s_cbranch_scc0 .LBB134_2492
; %bb.2490:
	s_cmp_eq_u32 s0, 15
	s_cbranch_scc0 .LBB134_2507
; %bb.2491:
	global_load_u16 v20, v[26:27], off
	s_mov_b32 s13, 0
	s_mov_b32 s22, -1
	s_wait_loadcnt 0x0
	v_lshlrev_b32_e32 v20, 16, v20
	s_delay_alu instid0(VALU_DEP_1)
	v_cvt_f64_f32_e32 v[20:21], v20
	s_branch .LBB134_2509
.LBB134_2492:
	s_mov_b32 s21, -1
	s_branch .LBB134_2508
.LBB134_2493:
	s_or_saveexec_b32 s22, s22
	v_mov_b64_e32 v[20:21], 0x7ff8000020000000
	s_xor_b32 exec_lo, exec_lo, s22
	s_cbranch_execz .LBB134_2461
.LBB134_2494:
	v_cmp_ne_u16_e32 vcc_lo, 0, v22
	v_mov_b64_e32 v[20:21], 0
	s_and_not1_b32 s21, s21, exec_lo
	s_and_b32 s23, vcc_lo, exec_lo
	s_delay_alu instid0(SALU_CYCLE_1)
	s_or_b32 s21, s21, s23
	s_or_b32 exec_lo, exec_lo, s22
	s_and_saveexec_b32 s22, s21
	s_cbranch_execnz .LBB134_2462
	s_branch .LBB134_2463
.LBB134_2495:
	s_mov_b32 s13, -1
                                        ; implicit-def: $vgpr22_vgpr23
.LBB134_2496:
	s_delay_alu instid0(SALU_CYCLE_1)
	s_and_not1_b32 vcc_lo, exec_lo, s13
	s_cbranch_vccnz .LBB134_2498
; %bb.2497:
	s_wait_loadcnt 0x0
	global_load_b64 v[22:23], v[26:27], off
	s_wait_loadcnt 0x0
	v_cvt_f64_f32_e32 v[20:21], v22
	v_cvt_f64_f32_e32 v[22:23], v23
.LBB134_2498:
	s_mov_b32 s13, 0
.LBB134_2499:
	s_delay_alu instid0(SALU_CYCLE_1)
	s_and_not1_b32 vcc_lo, exec_lo, s13
	s_cbranch_vccnz .LBB134_2501
; %bb.2500:
	s_wait_loadcnt 0x0
	global_load_b32 v20, v[26:27], off
	s_wait_loadcnt 0x0
	v_lshrrev_b32_e32 v21, 16, v20
	v_cvt_f32_f16_e32 v20, v20
	s_wait_xcnt 0x1
	s_delay_alu instid0(VALU_DEP_2) | instskip(NEXT) | instid1(VALU_DEP_2)
	v_cvt_f32_f16_e32 v22, v21
	v_cvt_f64_f32_e32 v[20:21], v20
	s_delay_alu instid0(VALU_DEP_2)
	v_cvt_f64_f32_e32 v[22:23], v22
.LBB134_2501:
	s_mov_b32 s13, 0
.LBB134_2502:
	s_delay_alu instid0(SALU_CYCLE_1)
	s_and_not1_b32 vcc_lo, exec_lo, s13
	s_cbranch_vccnz .LBB134_2520
; %bb.2503:
	s_cmp_lt_i32 s0, 6
	s_cbranch_scc1 .LBB134_2506
; %bb.2504:
	s_cmp_gt_i32 s0, 6
	s_cbranch_scc0 .LBB134_2513
; %bb.2505:
	s_wait_loadcnt 0x0
	global_load_b64 v[20:21], v[26:27], off
	s_mov_b32 s13, 0
	s_branch .LBB134_2514
.LBB134_2506:
	s_mov_b32 s13, -1
                                        ; implicit-def: $vgpr20_vgpr21
	s_branch .LBB134_2517
.LBB134_2507:
	s_mov_b32 s13, -1
.LBB134_2508:
                                        ; implicit-def: $vgpr20_vgpr21
.LBB134_2509:
	s_and_b32 vcc_lo, exec_lo, s21
	s_mov_b32 s21, 0
	s_cbranch_vccz .LBB134_2511
; %bb.2510:
	s_cmp_lg_u32 s0, 11
	s_mov_b32 s21, -1
	s_cselect_b32 s13, -1, 0
.LBB134_2511:
	s_wait_xcnt 0x0
	v_mov_b64_e32 v[22:23], 0
	s_and_b32 vcc_lo, exec_lo, s13
	s_cbranch_vccz .LBB134_2465
.LBB134_2512:
	s_or_b32 s17, s17, exec_lo
	s_trap 2
	s_cbranch_execz .LBB134_2466
	s_branch .LBB134_2467
.LBB134_2513:
	s_mov_b32 s13, -1
                                        ; implicit-def: $vgpr20_vgpr21
.LBB134_2514:
	s_delay_alu instid0(SALU_CYCLE_1)
	s_and_not1_b32 vcc_lo, exec_lo, s13
	s_cbranch_vccnz .LBB134_2516
; %bb.2515:
	s_wait_loadcnt 0x0
	global_load_b32 v20, v[26:27], off
	s_wait_loadcnt 0x0
	v_cvt_f64_f32_e32 v[20:21], v20
.LBB134_2516:
	s_mov_b32 s13, 0
.LBB134_2517:
	s_delay_alu instid0(SALU_CYCLE_1)
	s_and_not1_b32 vcc_lo, exec_lo, s13
	s_cbranch_vccnz .LBB134_2519
; %bb.2518:
	s_wait_loadcnt 0x0
	global_load_u16 v20, v[26:27], off
	s_wait_loadcnt 0x0
	v_cvt_f32_f16_e32 v20, v20
	s_delay_alu instid0(VALU_DEP_1)
	v_cvt_f64_f32_e32 v[20:21], v20
.LBB134_2519:
	s_wait_loadcnt 0x0
	v_mov_b64_e32 v[22:23], 0
.LBB134_2520:
	s_mov_b32 s13, 0
.LBB134_2521:
	s_delay_alu instid0(SALU_CYCLE_1)
	s_and_not1_b32 vcc_lo, exec_lo, s13
	s_cbranch_vccnz .LBB134_2542
; %bb.2522:
	s_cmp_lt_i32 s0, 2
	s_cbranch_scc1 .LBB134_2526
; %bb.2523:
	s_cmp_lt_i32 s0, 3
	s_cbranch_scc1 .LBB134_2527
; %bb.2524:
	s_cmp_gt_i32 s0, 3
	s_cbranch_scc0 .LBB134_2528
; %bb.2525:
	s_wait_loadcnt 0x0
	global_load_b64 v[20:21], v[26:27], off
	s_mov_b32 s13, 0
	s_wait_loadcnt 0x0
	s_wait_xcnt 0x1
	v_cvt_f64_i32_e32 v[22:23], v21
	v_cvt_f64_u32_e32 v[20:21], v20
	s_delay_alu instid0(VALU_DEP_2) | instskip(NEXT) | instid1(VALU_DEP_1)
	v_ldexp_f64 v[22:23], v[22:23], 32
	v_add_f64_e32 v[20:21], v[22:23], v[20:21]
	s_branch .LBB134_2529
.LBB134_2526:
	s_mov_b32 s13, -1
                                        ; implicit-def: $vgpr20_vgpr21
	s_branch .LBB134_2535
.LBB134_2527:
	s_mov_b32 s13, -1
                                        ; implicit-def: $vgpr20_vgpr21
	s_branch .LBB134_2532
.LBB134_2528:
	s_mov_b32 s13, -1
                                        ; implicit-def: $vgpr20_vgpr21
.LBB134_2529:
	s_delay_alu instid0(SALU_CYCLE_1)
	s_and_not1_b32 vcc_lo, exec_lo, s13
	s_cbranch_vccnz .LBB134_2531
; %bb.2530:
	s_wait_loadcnt 0x0
	global_load_b32 v20, v[26:27], off
	s_wait_loadcnt 0x0
	v_cvt_f64_i32_e32 v[20:21], v20
.LBB134_2531:
	s_mov_b32 s13, 0
.LBB134_2532:
	s_delay_alu instid0(SALU_CYCLE_1)
	s_and_not1_b32 vcc_lo, exec_lo, s13
	s_cbranch_vccnz .LBB134_2534
; %bb.2533:
	s_wait_loadcnt 0x0
	global_load_i16 v20, v[26:27], off
	s_wait_loadcnt 0x0
	v_cvt_f64_i32_e32 v[20:21], v20
.LBB134_2534:
	s_mov_b32 s13, 0
.LBB134_2535:
	s_delay_alu instid0(SALU_CYCLE_1)
	s_and_not1_b32 vcc_lo, exec_lo, s13
	s_cbranch_vccnz .LBB134_2541
; %bb.2536:
	s_cmp_gt_i32 s0, 0
	s_mov_b32 s13, 0
	s_cbranch_scc0 .LBB134_2538
; %bb.2537:
	s_wait_loadcnt 0x0
	global_load_i8 v20, v[26:27], off
	s_wait_loadcnt 0x0
	v_cvt_f64_i32_e32 v[20:21], v20
	s_branch .LBB134_2539
.LBB134_2538:
	s_mov_b32 s13, -1
                                        ; implicit-def: $vgpr20_vgpr21
.LBB134_2539:
	s_delay_alu instid0(SALU_CYCLE_1)
	s_and_not1_b32 vcc_lo, exec_lo, s13
	s_cbranch_vccnz .LBB134_2541
; %bb.2540:
	s_wait_loadcnt 0x0
	global_load_u8 v20, v[26:27], off
	s_wait_loadcnt 0x0
	v_cvt_f64_u32_e32 v[20:21], v20
.LBB134_2541:
	s_wait_loadcnt 0x0
	v_mov_b64_e32 v[22:23], 0
.LBB134_2542:
	s_mov_b32 s22, -1
.LBB134_2543:
	s_delay_alu instid0(SALU_CYCLE_1)
	s_and_not1_b32 vcc_lo, exec_lo, s22
	s_cbranch_vccnz .LBB134_3270
; %bb.2544:
	s_cmp_lt_i32 s18, 23
	s_cbranch_scc1 .LBB134_2548
; %bb.2545:
	s_and_b32 s22, 0xffff, s18
	s_delay_alu instid0(SALU_CYCLE_1)
	s_cmp_gt_i32 s22, 43
	s_cbranch_scc0 .LBB134_2549
; %bb.2546:
	s_cmp_gt_i32 s22, 45
	s_cbranch_scc0 .LBB134_2550
; %bb.2547:
	s_cmp_lg_u32 s22, 46
	s_mov_b32 s23, 0
	s_mov_b32 s13, -1
	s_cselect_b32 s21, -1, 0
	s_branch .LBB134_2551
.LBB134_2548:
	s_mov_b32 s22, -1
	s_mov_b32 s13, 0
	s_mov_b32 s21, 0
	s_branch .LBB134_2557
.LBB134_2549:
	s_mov_b32 s23, -1
	s_mov_b32 s13, 0
	s_mov_b32 s21, 0
	s_branch .LBB134_2554
.LBB134_2550:
	s_mov_b32 s23, -1
	s_mov_b32 s13, 0
	s_mov_b32 s21, 0
.LBB134_2551:
	s_and_not1_b32 vcc_lo, exec_lo, s23
	s_cbranch_vccnz .LBB134_2553
; %bb.2552:
	s_cmp_eq_u32 s22, 44
	s_cselect_b32 s13, -1, 0
	s_cmp_lg_u32 s22, 44
	s_cselect_b32 s21, -1, 0
.LBB134_2553:
	s_mov_b32 s23, 0
.LBB134_2554:
	s_delay_alu instid0(SALU_CYCLE_1)
	s_and_b32 vcc_lo, exec_lo, s23
	s_cbranch_vccz .LBB134_2556
; %bb.2555:
	s_cmp_lt_i32 s22, 30
	s_cselect_b32 s13, -1, 0
	s_cmp_gt_i32 s22, 29
	s_cselect_b32 s21, -1, 0
.LBB134_2556:
	s_mov_b32 s22, 0
.LBB134_2557:
	s_delay_alu instid0(SALU_CYCLE_1)
	s_and_b32 vcc_lo, exec_lo, s22
	s_cbranch_vccz .LBB134_2562
; %bb.2558:
	s_and_b32 s18, 0xffff, s18
	s_mov_b32 s22, -1
	s_cmp_gt_i32 s18, 14
	s_cbranch_scc0 .LBB134_2560
; %bb.2559:
	s_cmp_eq_u32 s18, 15
	s_mov_b32 s22, 0
	s_cselect_b32 s13, -1, 0
	s_cmp_lg_u32 s18, 15
	s_cselect_b32 s21, -1, 0
.LBB134_2560:
	s_and_not1_b32 vcc_lo, exec_lo, s22
	s_cbranch_vccnz .LBB134_2562
; %bb.2561:
	s_cmp_lt_i32 s18, 12
	s_cselect_b32 s13, -1, 0
	s_cmp_gt_i32 s18, 11
	s_cselect_b32 s21, -1, 0
.LBB134_2562:
	s_delay_alu instid0(SALU_CYCLE_1)
	s_and_b32 vcc_lo, exec_lo, s21
	s_cbranch_vccnz .LBB134_2574
; %bb.2563:
	s_and_not1_b32 vcc_lo, exec_lo, s13
	s_cbranch_vccnz .LBB134_3270
.LBB134_2564:
	v_add_nc_u32_e32 v24, s1, v24
	s_cmp_lt_i32 s16, 11
	s_delay_alu instid0(VALU_DEP_1) | instskip(NEXT) | instid1(VALU_DEP_1)
	v_ashrrev_i32_e32 v25, 31, v24
	v_add_nc_u64_e32 v[30:31], s[8:9], v[24:25]
	s_cbranch_scc1 .LBB134_2571
; %bb.2565:
	s_and_b32 s1, 0xffff, s16
	s_mov_b32 s9, 0
	s_cmp_gt_i32 s1, 25
	s_cbranch_scc0 .LBB134_2572
; %bb.2566:
	s_cmp_gt_i32 s1, 28
	s_cbranch_scc0 .LBB134_2573
; %bb.2567:
	;; [unrolled: 3-line block ×4, first 2 shown]
	s_cmp_eq_u32 s1, 46
	s_mov_b32 s18, 0
	s_cbranch_scc0 .LBB134_2577
; %bb.2570:
	global_load_b32 v24, v[30:31], off
	s_mov_b32 s8, 0
	s_mov_b32 s13, -1
	s_wait_loadcnt 0x0
	v_lshlrev_b32_e32 v25, 16, v24
	s_wait_xcnt 0x1
	v_and_b32_e32 v26, 0xffff0000, v24
	s_delay_alu instid0(VALU_DEP_2) | instskip(NEXT) | instid1(VALU_DEP_2)
	v_cvt_f64_f32_e32 v[24:25], v25
	v_cvt_f64_f32_e32 v[26:27], v26
	s_branch .LBB134_2579
.LBB134_2571:
	s_mov_b32 s1, -1
	s_mov_b32 s13, 0
                                        ; implicit-def: $vgpr26_vgpr27
	s_branch .LBB134_2625
.LBB134_2572:
	s_mov_b32 s18, -1
	s_mov_b32 s13, 0
	s_mov_b32 s8, 0
                                        ; implicit-def: $vgpr26_vgpr27
	s_branch .LBB134_2610
.LBB134_2573:
	s_mov_b32 s18, -1
	s_mov_b32 s13, 0
	s_mov_b32 s8, 0
                                        ; implicit-def: $vgpr26_vgpr27
	s_branch .LBB134_2591
.LBB134_2574:
	s_or_b32 s17, s17, exec_lo
	s_trap 2
	s_cbranch_execz .LBB134_2564
	s_branch .LBB134_3270
.LBB134_2575:
	s_mov_b32 s18, -1
	s_mov_b32 s13, 0
	s_mov_b32 s8, 0
                                        ; implicit-def: $vgpr26_vgpr27
	s_branch .LBB134_2585
.LBB134_2576:
	s_mov_b32 s18, -1
	s_mov_b32 s13, 0
	s_mov_b32 s8, 0
	s_branch .LBB134_2578
.LBB134_2577:
	s_mov_b32 s8, -1
	s_mov_b32 s13, 0
.LBB134_2578:
                                        ; implicit-def: $vgpr26_vgpr27
.LBB134_2579:
	s_and_b32 vcc_lo, exec_lo, s18
	s_cbranch_vccz .LBB134_2584
; %bb.2580:
	s_cmp_eq_u32 s1, 44
	s_cbranch_scc0 .LBB134_2582
; %bb.2581:
	global_load_u8 v26, v[30:31], off
	s_mov_b32 s8, 0
	s_mov_b32 s13, -1
	s_wait_loadcnt 0x0
	v_cmp_ne_u32_e32 vcc_lo, 0xff, v26
	v_lshlrev_b32_e32 v24, 23, v26
	s_delay_alu instid0(VALU_DEP_1) | instskip(NEXT) | instid1(VALU_DEP_1)
	v_cvt_f64_f32_e32 v[24:25], v24
	v_cndmask_b32_e32 v24, 0x20000000, v24, vcc_lo
	s_delay_alu instid0(VALU_DEP_2) | instskip(SKIP_1) | instid1(VALU_DEP_2)
	v_cndmask_b32_e32 v25, 0x7ff80000, v25, vcc_lo
	v_cmp_ne_u32_e32 vcc_lo, 0, v26
	v_cndmask_b32_e32 v25, 0x38000000, v25, vcc_lo
	s_delay_alu instid0(VALU_DEP_4)
	v_cndmask_b32_e32 v24, 0, v24, vcc_lo
	s_branch .LBB134_2583
.LBB134_2582:
	s_mov_b32 s8, -1
                                        ; implicit-def: $vgpr24_vgpr25
.LBB134_2583:
	s_wait_xcnt 0x0
	v_mov_b64_e32 v[26:27], 0
.LBB134_2584:
	s_mov_b32 s18, 0
.LBB134_2585:
	s_delay_alu instid0(SALU_CYCLE_1)
	s_and_b32 vcc_lo, exec_lo, s18
	s_cbranch_vccz .LBB134_2590
; %bb.2586:
	s_cmp_eq_u32 s1, 29
	s_cbranch_scc0 .LBB134_2588
; %bb.2587:
	global_load_b64 v[24:25], v[30:31], off
	s_mov_b32 s8, 0
	s_mov_b32 s13, -1
	s_wait_loadcnt 0x0
	s_wait_xcnt 0x1
	v_cvt_f64_u32_e32 v[26:27], v25
	v_cvt_f64_u32_e32 v[24:25], v24
	s_delay_alu instid0(VALU_DEP_2) | instskip(NEXT) | instid1(VALU_DEP_1)
	v_ldexp_f64 v[26:27], v[26:27], 32
	v_add_f64_e32 v[24:25], v[26:27], v[24:25]
	s_branch .LBB134_2589
.LBB134_2588:
	s_mov_b32 s8, -1
                                        ; implicit-def: $vgpr24_vgpr25
.LBB134_2589:
	s_wait_xcnt 0x0
	v_mov_b64_e32 v[26:27], 0
.LBB134_2590:
	s_mov_b32 s18, 0
.LBB134_2591:
	s_delay_alu instid0(SALU_CYCLE_1)
	s_and_b32 vcc_lo, exec_lo, s18
	s_cbranch_vccz .LBB134_2609
; %bb.2592:
	s_cmp_lt_i32 s1, 27
	s_cbranch_scc1 .LBB134_2595
; %bb.2593:
	s_cmp_gt_i32 s1, 27
	s_cbranch_scc0 .LBB134_2596
; %bb.2594:
	global_load_b32 v24, v[30:31], off
	s_mov_b32 s13, 0
	s_wait_loadcnt 0x0
	v_cvt_f64_u32_e32 v[24:25], v24
	s_branch .LBB134_2597
.LBB134_2595:
	s_mov_b32 s13, -1
                                        ; implicit-def: $vgpr24_vgpr25
	s_branch .LBB134_2600
.LBB134_2596:
	s_mov_b32 s13, -1
                                        ; implicit-def: $vgpr24_vgpr25
.LBB134_2597:
	s_delay_alu instid0(SALU_CYCLE_1)
	s_and_not1_b32 vcc_lo, exec_lo, s13
	s_cbranch_vccnz .LBB134_2599
; %bb.2598:
	global_load_u16 v24, v[30:31], off
	s_wait_loadcnt 0x0
	v_cvt_f64_u32_e32 v[24:25], v24
.LBB134_2599:
	s_mov_b32 s13, 0
.LBB134_2600:
	s_delay_alu instid0(SALU_CYCLE_1)
	s_and_not1_b32 vcc_lo, exec_lo, s13
	s_cbranch_vccnz .LBB134_2608
; %bb.2601:
	global_load_u8 v26, v[30:31], off
	s_mov_b32 s13, 0
	s_mov_b32 s18, exec_lo
	s_wait_loadcnt 0x0
	v_cmpx_lt_i16_e32 0x7f, v26
	s_xor_b32 s18, exec_lo, s18
	s_cbranch_execz .LBB134_2634
; %bb.2602:
	s_mov_b32 s13, -1
	s_mov_b32 s21, exec_lo
	v_cmpx_eq_u16_e32 0x80, v26
; %bb.2603:
	s_xor_b32 s13, exec_lo, -1
; %bb.2604:
	s_or_b32 exec_lo, exec_lo, s21
	s_delay_alu instid0(SALU_CYCLE_1)
	s_and_b32 s13, s13, exec_lo
	s_or_saveexec_b32 s18, s18
	v_mov_b64_e32 v[24:25], 0x7ff8000020000000
	s_xor_b32 exec_lo, exec_lo, s18
	s_cbranch_execnz .LBB134_2635
.LBB134_2605:
	s_or_b32 exec_lo, exec_lo, s18
	s_and_saveexec_b32 s18, s13
	s_cbranch_execz .LBB134_2607
.LBB134_2606:
	v_and_b32_e32 v24, 0xffff, v26
	s_delay_alu instid0(VALU_DEP_1) | instskip(SKIP_1) | instid1(VALU_DEP_2)
	v_and_b32_e32 v25, 7, v24
	v_bfe_u32 v32, v24, 3, 4
	v_clz_i32_u32_e32 v27, v25
	s_delay_alu instid0(VALU_DEP_2) | instskip(NEXT) | instid1(VALU_DEP_2)
	v_cmp_eq_u32_e32 vcc_lo, 0, v32
	v_min_u32_e32 v27, 32, v27
	s_delay_alu instid0(VALU_DEP_1) | instskip(NEXT) | instid1(VALU_DEP_1)
	v_subrev_nc_u32_e32 v29, 28, v27
	v_dual_lshlrev_b32 v24, v29, v24 :: v_dual_sub_nc_u32 v27, 29, v27
	s_delay_alu instid0(VALU_DEP_1) | instskip(NEXT) | instid1(VALU_DEP_1)
	v_dual_lshlrev_b32 v26, 24, v26 :: v_dual_bitop2_b32 v24, 7, v24 bitop3:0x40
	v_dual_cndmask_b32 v27, v32, v27 :: v_dual_cndmask_b32 v24, v25, v24
	s_delay_alu instid0(VALU_DEP_2) | instskip(NEXT) | instid1(VALU_DEP_2)
	v_and_b32_e32 v25, 0x80000000, v26
	v_lshl_add_u32 v26, v27, 23, 0x3b800000
	s_delay_alu instid0(VALU_DEP_3) | instskip(NEXT) | instid1(VALU_DEP_1)
	v_lshlrev_b32_e32 v24, 20, v24
	v_or3_b32 v24, v25, v26, v24
	s_delay_alu instid0(VALU_DEP_1)
	v_cvt_f64_f32_e32 v[24:25], v24
.LBB134_2607:
	s_or_b32 exec_lo, exec_lo, s18
.LBB134_2608:
	s_wait_xcnt 0x0
	v_mov_b64_e32 v[26:27], 0
	s_mov_b32 s13, -1
.LBB134_2609:
	s_mov_b32 s18, 0
.LBB134_2610:
	s_delay_alu instid0(SALU_CYCLE_1)
	s_and_b32 vcc_lo, exec_lo, s18
	s_cbranch_vccz .LBB134_2621
; %bb.2611:
	s_cmp_gt_i32 s1, 22
	s_cbranch_scc0 .LBB134_2632
; %bb.2612:
	s_cmp_lt_i32 s1, 24
	s_cbranch_scc1 .LBB134_2636
; %bb.2613:
	s_cmp_gt_i32 s1, 24
	s_cbranch_scc0 .LBB134_2638
; %bb.2614:
	global_load_u8 v26, v[30:31], off
	s_mov_b32 s13, exec_lo
	s_wait_loadcnt 0x0
	v_cmpx_lt_i16_e32 0x7f, v26
	s_xor_b32 s13, exec_lo, s13
	s_cbranch_execz .LBB134_2650
; %bb.2615:
	s_mov_b32 s9, -1
	s_mov_b32 s18, exec_lo
	v_cmpx_eq_u16_e32 0x80, v26
; %bb.2616:
	s_xor_b32 s9, exec_lo, -1
; %bb.2617:
	s_or_b32 exec_lo, exec_lo, s18
	s_delay_alu instid0(SALU_CYCLE_1)
	s_and_b32 s9, s9, exec_lo
	s_or_saveexec_b32 s13, s13
	v_mov_b64_e32 v[24:25], 0x7ff8000020000000
	s_xor_b32 exec_lo, exec_lo, s13
	s_cbranch_execnz .LBB134_2651
.LBB134_2618:
	s_or_b32 exec_lo, exec_lo, s13
	s_and_saveexec_b32 s13, s9
	s_cbranch_execz .LBB134_2620
.LBB134_2619:
	v_and_b32_e32 v24, 0xffff, v26
	s_delay_alu instid0(VALU_DEP_1) | instskip(SKIP_1) | instid1(VALU_DEP_2)
	v_and_b32_e32 v25, 3, v24
	v_bfe_u32 v32, v24, 2, 5
	v_clz_i32_u32_e32 v27, v25
	s_delay_alu instid0(VALU_DEP_2) | instskip(NEXT) | instid1(VALU_DEP_2)
	v_cmp_eq_u32_e32 vcc_lo, 0, v32
	v_min_u32_e32 v27, 32, v27
	s_delay_alu instid0(VALU_DEP_1) | instskip(NEXT) | instid1(VALU_DEP_1)
	v_subrev_nc_u32_e32 v29, 29, v27
	v_dual_lshlrev_b32 v24, v29, v24 :: v_dual_sub_nc_u32 v27, 30, v27
	s_delay_alu instid0(VALU_DEP_1) | instskip(NEXT) | instid1(VALU_DEP_1)
	v_dual_lshlrev_b32 v26, 24, v26 :: v_dual_bitop2_b32 v24, 3, v24 bitop3:0x40
	v_dual_cndmask_b32 v27, v32, v27 :: v_dual_cndmask_b32 v24, v25, v24
	s_delay_alu instid0(VALU_DEP_2) | instskip(NEXT) | instid1(VALU_DEP_2)
	v_and_b32_e32 v25, 0x80000000, v26
	v_lshl_add_u32 v26, v27, 23, 0x37800000
	s_delay_alu instid0(VALU_DEP_3) | instskip(NEXT) | instid1(VALU_DEP_1)
	v_lshlrev_b32_e32 v24, 21, v24
	v_or3_b32 v24, v25, v26, v24
	s_delay_alu instid0(VALU_DEP_1)
	v_cvt_f64_f32_e32 v[24:25], v24
.LBB134_2620:
	s_or_b32 exec_lo, exec_lo, s13
	s_mov_b32 s9, 0
	s_branch .LBB134_2639
.LBB134_2621:
	s_and_b32 vcc_lo, exec_lo, s8
	s_cbranch_vccnz .LBB134_2669
.LBB134_2622:
	s_and_not1_b32 vcc_lo, exec_lo, s9
	s_cbranch_vccnz .LBB134_2624
.LBB134_2623:
	global_load_u8 v24, v[30:31], off
	s_wait_xcnt 0x1
	v_mov_b64_e32 v[26:27], 0
	s_mov_b32 s13, -1
	s_wait_loadcnt 0x0
	v_cmp_ne_u16_e32 vcc_lo, 0, v24
	v_mov_b32_e32 v24, 0
	v_cndmask_b32_e64 v25, 0, 0x3ff00000, vcc_lo
.LBB134_2624:
	s_mov_b32 s1, 0
.LBB134_2625:
	s_delay_alu instid0(SALU_CYCLE_1)
	s_and_b32 vcc_lo, exec_lo, s1
	s_cbranch_vccz .LBB134_2700
; %bb.2626:
	s_and_b32 s1, 0xffff, s16
	s_delay_alu instid0(SALU_CYCLE_1)
	s_cmp_lt_i32 s1, 5
	s_cbranch_scc1 .LBB134_2631
; %bb.2627:
	s_cmp_lt_i32 s1, 8
	s_cbranch_scc1 .LBB134_2633
; %bb.2628:
	s_cmp_lt_i32 s1, 9
	s_cbranch_scc1 .LBB134_2637
; %bb.2629:
	s_cmp_gt_i32 s1, 9
	s_cbranch_scc0 .LBB134_2652
; %bb.2630:
	global_load_b128 v[24:27], v[30:31], off
	s_mov_b32 s8, 0
	s_branch .LBB134_2653
.LBB134_2631:
	s_mov_b32 s8, -1
                                        ; implicit-def: $vgpr26_vgpr27
	s_branch .LBB134_2678
.LBB134_2632:
	s_mov_b32 s9, -1
                                        ; implicit-def: $vgpr24_vgpr25
	s_branch .LBB134_2645
.LBB134_2633:
	s_mov_b32 s8, -1
                                        ; implicit-def: $vgpr26_vgpr27
	s_branch .LBB134_2659
.LBB134_2634:
	s_or_saveexec_b32 s18, s18
	v_mov_b64_e32 v[24:25], 0x7ff8000020000000
	s_xor_b32 exec_lo, exec_lo, s18
	s_cbranch_execz .LBB134_2605
.LBB134_2635:
	v_cmp_ne_u16_e32 vcc_lo, 0, v26
	v_mov_b64_e32 v[24:25], 0
	s_and_not1_b32 s13, s13, exec_lo
	s_and_b32 s21, vcc_lo, exec_lo
	s_delay_alu instid0(SALU_CYCLE_1)
	s_or_b32 s13, s13, s21
	s_or_b32 exec_lo, exec_lo, s18
	s_and_saveexec_b32 s18, s13
	s_cbranch_execnz .LBB134_2606
	s_branch .LBB134_2607
.LBB134_2636:
	s_mov_b32 s9, -1
                                        ; implicit-def: $vgpr24_vgpr25
	s_branch .LBB134_2642
.LBB134_2637:
	s_mov_b32 s8, -1
                                        ; implicit-def: $vgpr26_vgpr27
	s_branch .LBB134_2656
.LBB134_2638:
	s_mov_b32 s9, -1
                                        ; implicit-def: $vgpr24_vgpr25
.LBB134_2639:
	s_delay_alu instid0(SALU_CYCLE_1)
	s_and_b32 vcc_lo, exec_lo, s9
	s_cbranch_vccz .LBB134_2641
; %bb.2640:
	global_load_u8 v24, v[30:31], off
	s_wait_loadcnt 0x0
	v_lshlrev_b32_e32 v24, 24, v24
	s_delay_alu instid0(VALU_DEP_1) | instskip(SKIP_1) | instid1(VALU_DEP_1)
	v_and_b32_e32 v25, 0x7f000000, v24
	s_wait_xcnt 0x1
	v_clz_i32_u32_e32 v26, v25
	v_add_nc_u32_e32 v29, 0x1000000, v25
	v_cmp_ne_u32_e32 vcc_lo, 0, v25
	s_delay_alu instid0(VALU_DEP_3) | instskip(NEXT) | instid1(VALU_DEP_1)
	v_min_u32_e32 v26, 32, v26
	v_sub_nc_u32_e64 v26, v26, 4 clamp
	s_delay_alu instid0(VALU_DEP_1) | instskip(NEXT) | instid1(VALU_DEP_1)
	v_dual_lshlrev_b32 v27, v26, v25 :: v_dual_lshlrev_b32 v26, 23, v26
	v_lshrrev_b32_e32 v27, 4, v27
	s_delay_alu instid0(VALU_DEP_1) | instskip(NEXT) | instid1(VALU_DEP_1)
	v_dual_sub_nc_u32 v26, v27, v26 :: v_dual_ashrrev_i32 v27, 8, v29
	v_add_nc_u32_e32 v26, 0x3c000000, v26
	s_delay_alu instid0(VALU_DEP_1) | instskip(NEXT) | instid1(VALU_DEP_1)
	v_and_or_b32 v26, 0x7f800000, v27, v26
	v_cndmask_b32_e32 v25, 0, v26, vcc_lo
	s_delay_alu instid0(VALU_DEP_1) | instskip(NEXT) | instid1(VALU_DEP_1)
	v_and_or_b32 v24, 0x80000000, v24, v25
	v_cvt_f64_f32_e32 v[24:25], v24
.LBB134_2641:
	s_mov_b32 s9, 0
.LBB134_2642:
	s_delay_alu instid0(SALU_CYCLE_1)
	s_and_not1_b32 vcc_lo, exec_lo, s9
	s_cbranch_vccnz .LBB134_2644
; %bb.2643:
	global_load_u8 v24, v[30:31], off
	s_wait_loadcnt 0x0
	v_lshlrev_b32_e32 v25, 25, v24
	v_lshlrev_b16 v24, 8, v24
	s_wait_xcnt 0x1
	s_delay_alu instid0(VALU_DEP_1) | instskip(SKIP_1) | instid1(VALU_DEP_2)
	v_and_or_b32 v27, 0x7f00, v24, 0.5
	v_bfe_i32 v24, v24, 0, 16
	v_dual_add_f32 v27, -0.5, v27 :: v_dual_lshrrev_b32 v26, 4, v25
	v_cmp_gt_u32_e32 vcc_lo, 0x8000000, v25
	s_delay_alu instid0(VALU_DEP_2) | instskip(NEXT) | instid1(VALU_DEP_1)
	v_or_b32_e32 v26, 0x70000000, v26
	v_mul_f32_e32 v26, 0x7800000, v26
	s_delay_alu instid0(VALU_DEP_1) | instskip(NEXT) | instid1(VALU_DEP_1)
	v_cndmask_b32_e32 v25, v26, v27, vcc_lo
	v_and_or_b32 v24, 0x80000000, v24, v25
	s_delay_alu instid0(VALU_DEP_1)
	v_cvt_f64_f32_e32 v[24:25], v24
.LBB134_2644:
	s_mov_b32 s9, 0
	s_mov_b32 s13, -1
.LBB134_2645:
	s_and_not1_b32 vcc_lo, exec_lo, s9
	s_mov_b32 s9, 0
	s_cbranch_vccnz .LBB134_2668
; %bb.2646:
	s_cmp_gt_i32 s1, 14
	s_cbranch_scc0 .LBB134_2649
; %bb.2647:
	s_cmp_eq_u32 s1, 15
	s_cbranch_scc0 .LBB134_2664
; %bb.2648:
	global_load_u16 v24, v[30:31], off
	s_mov_b32 s8, 0
	s_mov_b32 s13, -1
	s_wait_loadcnt 0x0
	v_lshlrev_b32_e32 v24, 16, v24
	s_delay_alu instid0(VALU_DEP_1)
	v_cvt_f64_f32_e32 v[24:25], v24
	s_branch .LBB134_2666
.LBB134_2649:
	s_mov_b32 s9, -1
	s_branch .LBB134_2665
.LBB134_2650:
	s_or_saveexec_b32 s13, s13
	v_mov_b64_e32 v[24:25], 0x7ff8000020000000
	s_xor_b32 exec_lo, exec_lo, s13
	s_cbranch_execz .LBB134_2618
.LBB134_2651:
	v_cmp_ne_u16_e32 vcc_lo, 0, v26
	v_mov_b64_e32 v[24:25], 0
	s_and_not1_b32 s9, s9, exec_lo
	s_and_b32 s18, vcc_lo, exec_lo
	s_delay_alu instid0(SALU_CYCLE_1)
	s_or_b32 s9, s9, s18
	s_or_b32 exec_lo, exec_lo, s13
	s_and_saveexec_b32 s13, s9
	s_cbranch_execnz .LBB134_2619
	s_branch .LBB134_2620
.LBB134_2652:
	s_mov_b32 s8, -1
                                        ; implicit-def: $vgpr26_vgpr27
.LBB134_2653:
	s_delay_alu instid0(SALU_CYCLE_1)
	s_and_not1_b32 vcc_lo, exec_lo, s8
	s_cbranch_vccnz .LBB134_2655
; %bb.2654:
	s_wait_loadcnt 0x0
	global_load_b64 v[26:27], v[30:31], off
	s_wait_loadcnt 0x0
	v_cvt_f64_f32_e32 v[24:25], v26
	v_cvt_f64_f32_e32 v[26:27], v27
.LBB134_2655:
	s_mov_b32 s8, 0
.LBB134_2656:
	s_delay_alu instid0(SALU_CYCLE_1)
	s_and_not1_b32 vcc_lo, exec_lo, s8
	s_cbranch_vccnz .LBB134_2658
; %bb.2657:
	s_wait_loadcnt 0x0
	global_load_b32 v24, v[30:31], off
	s_wait_loadcnt 0x0
	v_lshrrev_b32_e32 v25, 16, v24
	v_cvt_f32_f16_e32 v24, v24
	s_wait_xcnt 0x1
	s_delay_alu instid0(VALU_DEP_2) | instskip(NEXT) | instid1(VALU_DEP_2)
	v_cvt_f32_f16_e32 v26, v25
	v_cvt_f64_f32_e32 v[24:25], v24
	s_delay_alu instid0(VALU_DEP_2)
	v_cvt_f64_f32_e32 v[26:27], v26
.LBB134_2658:
	s_mov_b32 s8, 0
.LBB134_2659:
	s_delay_alu instid0(SALU_CYCLE_1)
	s_and_not1_b32 vcc_lo, exec_lo, s8
	s_cbranch_vccnz .LBB134_2677
; %bb.2660:
	s_cmp_lt_i32 s1, 6
	s_cbranch_scc1 .LBB134_2663
; %bb.2661:
	s_cmp_gt_i32 s1, 6
	s_cbranch_scc0 .LBB134_2670
; %bb.2662:
	s_wait_loadcnt 0x0
	global_load_b64 v[24:25], v[30:31], off
	s_mov_b32 s8, 0
	s_branch .LBB134_2671
.LBB134_2663:
	s_mov_b32 s8, -1
                                        ; implicit-def: $vgpr24_vgpr25
	s_branch .LBB134_2674
.LBB134_2664:
	s_mov_b32 s8, -1
.LBB134_2665:
                                        ; implicit-def: $vgpr24_vgpr25
.LBB134_2666:
	s_and_b32 vcc_lo, exec_lo, s9
	s_mov_b32 s9, 0
	s_cbranch_vccz .LBB134_2668
; %bb.2667:
	s_cmp_lg_u32 s1, 11
	s_mov_b32 s9, -1
	s_cselect_b32 s8, -1, 0
.LBB134_2668:
	s_wait_xcnt 0x0
	v_mov_b64_e32 v[26:27], 0
	s_and_b32 vcc_lo, exec_lo, s8
	s_cbranch_vccz .LBB134_2622
.LBB134_2669:
	s_or_b32 s17, s17, exec_lo
	s_trap 2
	s_cbranch_execz .LBB134_2623
	s_branch .LBB134_2624
.LBB134_2670:
	s_mov_b32 s8, -1
                                        ; implicit-def: $vgpr24_vgpr25
.LBB134_2671:
	s_delay_alu instid0(SALU_CYCLE_1)
	s_and_not1_b32 vcc_lo, exec_lo, s8
	s_cbranch_vccnz .LBB134_2673
; %bb.2672:
	s_wait_loadcnt 0x0
	global_load_b32 v24, v[30:31], off
	s_wait_loadcnt 0x0
	v_cvt_f64_f32_e32 v[24:25], v24
.LBB134_2673:
	s_mov_b32 s8, 0
.LBB134_2674:
	s_delay_alu instid0(SALU_CYCLE_1)
	s_and_not1_b32 vcc_lo, exec_lo, s8
	s_cbranch_vccnz .LBB134_2676
; %bb.2675:
	s_wait_loadcnt 0x0
	global_load_u16 v24, v[30:31], off
	s_wait_loadcnt 0x0
	v_cvt_f32_f16_e32 v24, v24
	s_delay_alu instid0(VALU_DEP_1)
	v_cvt_f64_f32_e32 v[24:25], v24
.LBB134_2676:
	s_wait_loadcnt 0x0
	v_mov_b64_e32 v[26:27], 0
.LBB134_2677:
	s_mov_b32 s8, 0
.LBB134_2678:
	s_delay_alu instid0(SALU_CYCLE_1)
	s_and_not1_b32 vcc_lo, exec_lo, s8
	s_cbranch_vccnz .LBB134_2699
; %bb.2679:
	s_cmp_lt_i32 s1, 2
	s_cbranch_scc1 .LBB134_2683
; %bb.2680:
	s_cmp_lt_i32 s1, 3
	s_cbranch_scc1 .LBB134_2684
; %bb.2681:
	s_cmp_gt_i32 s1, 3
	s_cbranch_scc0 .LBB134_2685
; %bb.2682:
	s_wait_loadcnt 0x0
	global_load_b64 v[24:25], v[30:31], off
	s_mov_b32 s8, 0
	s_wait_loadcnt 0x0
	s_wait_xcnt 0x1
	v_cvt_f64_i32_e32 v[26:27], v25
	v_cvt_f64_u32_e32 v[24:25], v24
	s_delay_alu instid0(VALU_DEP_2) | instskip(NEXT) | instid1(VALU_DEP_1)
	v_ldexp_f64 v[26:27], v[26:27], 32
	v_add_f64_e32 v[24:25], v[26:27], v[24:25]
	s_branch .LBB134_2686
.LBB134_2683:
	s_mov_b32 s8, -1
                                        ; implicit-def: $vgpr24_vgpr25
	s_branch .LBB134_2692
.LBB134_2684:
	s_mov_b32 s8, -1
                                        ; implicit-def: $vgpr24_vgpr25
	s_branch .LBB134_2689
.LBB134_2685:
	s_mov_b32 s8, -1
                                        ; implicit-def: $vgpr24_vgpr25
.LBB134_2686:
	s_delay_alu instid0(SALU_CYCLE_1)
	s_and_not1_b32 vcc_lo, exec_lo, s8
	s_cbranch_vccnz .LBB134_2688
; %bb.2687:
	s_wait_loadcnt 0x0
	global_load_b32 v24, v[30:31], off
	s_wait_loadcnt 0x0
	v_cvt_f64_i32_e32 v[24:25], v24
.LBB134_2688:
	s_mov_b32 s8, 0
.LBB134_2689:
	s_delay_alu instid0(SALU_CYCLE_1)
	s_and_not1_b32 vcc_lo, exec_lo, s8
	s_cbranch_vccnz .LBB134_2691
; %bb.2690:
	s_wait_loadcnt 0x0
	global_load_i16 v24, v[30:31], off
	s_wait_loadcnt 0x0
	v_cvt_f64_i32_e32 v[24:25], v24
.LBB134_2691:
	s_mov_b32 s8, 0
.LBB134_2692:
	s_delay_alu instid0(SALU_CYCLE_1)
	s_and_not1_b32 vcc_lo, exec_lo, s8
	s_cbranch_vccnz .LBB134_2698
; %bb.2693:
	s_cmp_gt_i32 s1, 0
	s_mov_b32 s1, 0
	s_cbranch_scc0 .LBB134_2695
; %bb.2694:
	s_wait_loadcnt 0x0
	global_load_i8 v24, v[30:31], off
	s_wait_loadcnt 0x0
	v_cvt_f64_i32_e32 v[24:25], v24
	s_branch .LBB134_2696
.LBB134_2695:
	s_mov_b32 s1, -1
                                        ; implicit-def: $vgpr24_vgpr25
.LBB134_2696:
	s_delay_alu instid0(SALU_CYCLE_1)
	s_and_not1_b32 vcc_lo, exec_lo, s1
	s_cbranch_vccnz .LBB134_2698
; %bb.2697:
	s_wait_loadcnt 0x0
	global_load_u8 v24, v[30:31], off
	s_wait_loadcnt 0x0
	v_cvt_f64_u32_e32 v[24:25], v24
.LBB134_2698:
	s_wait_loadcnt 0x0
	v_mov_b64_e32 v[26:27], 0
.LBB134_2699:
	s_mov_b32 s13, -1
.LBB134_2700:
	s_delay_alu instid0(SALU_CYCLE_1)
	s_and_not1_b32 vcc_lo, exec_lo, s13
	s_cbranch_vccnz .LBB134_3270
; %bb.2701:
	v_add_nc_u32_e32 v28, s12, v28
	s_cmp_lt_i32 s0, 11
	s_delay_alu instid0(VALU_DEP_1) | instskip(NEXT) | instid1(VALU_DEP_1)
	v_ashrrev_i32_e32 v29, 31, v28
	v_add_nc_u64_e32 v[32:33], s[10:11], v[28:29]
	s_cbranch_scc1 .LBB134_2708
; %bb.2702:
	s_cmp_gt_i32 s0, 25
	s_mov_b32 s8, 0
	s_cbranch_scc0 .LBB134_2709
; %bb.2703:
	s_cmp_gt_i32 s0, 28
	s_cbranch_scc0 .LBB134_2710
; %bb.2704:
	s_cmp_gt_i32 s0, 43
	;; [unrolled: 3-line block ×3, first 2 shown]
	s_cbranch_scc0 .LBB134_2712
; %bb.2706:
	s_cmp_eq_u32 s0, 46
	s_mov_b32 s10, 0
	s_cbranch_scc0 .LBB134_2713
; %bb.2707:
	global_load_b32 v28, v[32:33], off
	s_mov_b32 s1, 0
	s_mov_b32 s9, -1
	s_wait_loadcnt 0x0
	v_lshlrev_b32_e32 v29, 16, v28
	s_wait_xcnt 0x1
	v_and_b32_e32 v30, 0xffff0000, v28
	s_delay_alu instid0(VALU_DEP_2) | instskip(NEXT) | instid1(VALU_DEP_2)
	v_cvt_f64_f32_e32 v[28:29], v29
	v_cvt_f64_f32_e32 v[30:31], v30
	s_branch .LBB134_2715
.LBB134_2708:
	s_mov_b32 s1, -1
	s_mov_b32 s9, 0
                                        ; implicit-def: $vgpr30_vgpr31
	s_branch .LBB134_2761
.LBB134_2709:
	s_mov_b32 s10, -1
	s_mov_b32 s9, 0
	s_mov_b32 s1, 0
                                        ; implicit-def: $vgpr30_vgpr31
	s_branch .LBB134_2746
.LBB134_2710:
	s_mov_b32 s10, -1
	s_mov_b32 s9, 0
	s_mov_b32 s1, 0
                                        ; implicit-def: $vgpr30_vgpr31
	s_branch .LBB134_2727
.LBB134_2711:
	s_mov_b32 s10, -1
	s_mov_b32 s9, 0
	s_mov_b32 s1, 0
                                        ; implicit-def: $vgpr30_vgpr31
	s_branch .LBB134_2721
.LBB134_2712:
	s_mov_b32 s10, -1
	s_mov_b32 s9, 0
	s_mov_b32 s1, 0
	s_branch .LBB134_2714
.LBB134_2713:
	s_mov_b32 s1, -1
	s_mov_b32 s9, 0
.LBB134_2714:
                                        ; implicit-def: $vgpr30_vgpr31
.LBB134_2715:
	s_and_b32 vcc_lo, exec_lo, s10
	s_cbranch_vccz .LBB134_2720
; %bb.2716:
	s_cmp_eq_u32 s0, 44
	s_cbranch_scc0 .LBB134_2718
; %bb.2717:
	global_load_u8 v30, v[32:33], off
	s_mov_b32 s1, 0
	s_mov_b32 s9, -1
	s_wait_loadcnt 0x0
	v_cmp_ne_u32_e32 vcc_lo, 0xff, v30
	v_lshlrev_b32_e32 v28, 23, v30
	s_delay_alu instid0(VALU_DEP_1) | instskip(NEXT) | instid1(VALU_DEP_1)
	v_cvt_f64_f32_e32 v[28:29], v28
	v_cndmask_b32_e32 v28, 0x20000000, v28, vcc_lo
	s_delay_alu instid0(VALU_DEP_2) | instskip(SKIP_1) | instid1(VALU_DEP_2)
	v_cndmask_b32_e32 v29, 0x7ff80000, v29, vcc_lo
	v_cmp_ne_u32_e32 vcc_lo, 0, v30
	v_cndmask_b32_e32 v29, 0x38000000, v29, vcc_lo
	s_delay_alu instid0(VALU_DEP_4)
	v_cndmask_b32_e32 v28, 0, v28, vcc_lo
	s_branch .LBB134_2719
.LBB134_2718:
	s_mov_b32 s1, -1
                                        ; implicit-def: $vgpr28_vgpr29
.LBB134_2719:
	s_wait_xcnt 0x0
	v_mov_b64_e32 v[30:31], 0
.LBB134_2720:
	s_mov_b32 s10, 0
.LBB134_2721:
	s_delay_alu instid0(SALU_CYCLE_1)
	s_and_b32 vcc_lo, exec_lo, s10
	s_cbranch_vccz .LBB134_2726
; %bb.2722:
	s_cmp_eq_u32 s0, 29
	s_cbranch_scc0 .LBB134_2724
; %bb.2723:
	global_load_b64 v[28:29], v[32:33], off
	s_mov_b32 s1, 0
	s_mov_b32 s9, -1
	s_wait_loadcnt 0x0
	s_wait_xcnt 0x1
	v_cvt_f64_u32_e32 v[30:31], v29
	v_cvt_f64_u32_e32 v[28:29], v28
	s_delay_alu instid0(VALU_DEP_2) | instskip(NEXT) | instid1(VALU_DEP_1)
	v_ldexp_f64 v[30:31], v[30:31], 32
	v_add_f64_e32 v[28:29], v[30:31], v[28:29]
	s_branch .LBB134_2725
.LBB134_2724:
	s_mov_b32 s1, -1
                                        ; implicit-def: $vgpr28_vgpr29
.LBB134_2725:
	s_wait_xcnt 0x0
	v_mov_b64_e32 v[30:31], 0
.LBB134_2726:
	s_mov_b32 s10, 0
.LBB134_2727:
	s_delay_alu instid0(SALU_CYCLE_1)
	s_and_b32 vcc_lo, exec_lo, s10
	s_cbranch_vccz .LBB134_2745
; %bb.2728:
	s_cmp_lt_i32 s0, 27
	s_cbranch_scc1 .LBB134_2731
; %bb.2729:
	s_cmp_gt_i32 s0, 27
	s_cbranch_scc0 .LBB134_2732
; %bb.2730:
	global_load_b32 v28, v[32:33], off
	s_mov_b32 s9, 0
	s_wait_loadcnt 0x0
	v_cvt_f64_u32_e32 v[28:29], v28
	s_branch .LBB134_2733
.LBB134_2731:
	s_mov_b32 s9, -1
                                        ; implicit-def: $vgpr28_vgpr29
	s_branch .LBB134_2736
.LBB134_2732:
	s_mov_b32 s9, -1
                                        ; implicit-def: $vgpr28_vgpr29
.LBB134_2733:
	s_delay_alu instid0(SALU_CYCLE_1)
	s_and_not1_b32 vcc_lo, exec_lo, s9
	s_cbranch_vccnz .LBB134_2735
; %bb.2734:
	global_load_u16 v28, v[32:33], off
	s_wait_loadcnt 0x0
	v_cvt_f64_u32_e32 v[28:29], v28
.LBB134_2735:
	s_mov_b32 s9, 0
.LBB134_2736:
	s_delay_alu instid0(SALU_CYCLE_1)
	s_and_not1_b32 vcc_lo, exec_lo, s9
	s_cbranch_vccnz .LBB134_2744
; %bb.2737:
	global_load_u8 v30, v[32:33], off
	s_mov_b32 s9, 0
	s_mov_b32 s10, exec_lo
	s_wait_loadcnt 0x0
	v_cmpx_lt_i16_e32 0x7f, v30
	s_xor_b32 s10, exec_lo, s10
	s_cbranch_execz .LBB134_2770
; %bb.2738:
	s_mov_b32 s9, -1
	s_mov_b32 s11, exec_lo
	v_cmpx_eq_u16_e32 0x80, v30
; %bb.2739:
	s_xor_b32 s9, exec_lo, -1
; %bb.2740:
	s_or_b32 exec_lo, exec_lo, s11
	s_delay_alu instid0(SALU_CYCLE_1)
	s_and_b32 s9, s9, exec_lo
	s_or_saveexec_b32 s10, s10
	v_mov_b64_e32 v[28:29], 0x7ff8000020000000
	s_xor_b32 exec_lo, exec_lo, s10
	s_cbranch_execnz .LBB134_2771
.LBB134_2741:
	s_or_b32 exec_lo, exec_lo, s10
	s_and_saveexec_b32 s10, s9
	s_cbranch_execz .LBB134_2743
.LBB134_2742:
	v_and_b32_e32 v28, 0xffff, v30
	s_delay_alu instid0(VALU_DEP_1) | instskip(SKIP_1) | instid1(VALU_DEP_2)
	v_and_b32_e32 v29, 7, v28
	v_bfe_u32 v36, v28, 3, 4
	v_clz_i32_u32_e32 v31, v29
	s_delay_alu instid0(VALU_DEP_2) | instskip(NEXT) | instid1(VALU_DEP_2)
	v_cmp_eq_u32_e32 vcc_lo, 0, v36
	v_min_u32_e32 v31, 32, v31
	s_delay_alu instid0(VALU_DEP_1) | instskip(NEXT) | instid1(VALU_DEP_1)
	v_subrev_nc_u32_e32 v35, 28, v31
	v_dual_lshlrev_b32 v28, v35, v28 :: v_dual_sub_nc_u32 v31, 29, v31
	s_delay_alu instid0(VALU_DEP_1) | instskip(NEXT) | instid1(VALU_DEP_1)
	v_dual_lshlrev_b32 v30, 24, v30 :: v_dual_bitop2_b32 v28, 7, v28 bitop3:0x40
	v_dual_cndmask_b32 v31, v36, v31 :: v_dual_cndmask_b32 v28, v29, v28
	s_delay_alu instid0(VALU_DEP_2) | instskip(NEXT) | instid1(VALU_DEP_2)
	v_and_b32_e32 v29, 0x80000000, v30
	v_lshl_add_u32 v30, v31, 23, 0x3b800000
	s_delay_alu instid0(VALU_DEP_3) | instskip(NEXT) | instid1(VALU_DEP_1)
	v_lshlrev_b32_e32 v28, 20, v28
	v_or3_b32 v28, v29, v30, v28
	s_delay_alu instid0(VALU_DEP_1)
	v_cvt_f64_f32_e32 v[28:29], v28
.LBB134_2743:
	s_or_b32 exec_lo, exec_lo, s10
.LBB134_2744:
	s_wait_xcnt 0x0
	v_mov_b64_e32 v[30:31], 0
	s_mov_b32 s9, -1
.LBB134_2745:
	s_mov_b32 s10, 0
.LBB134_2746:
	s_delay_alu instid0(SALU_CYCLE_1)
	s_and_b32 vcc_lo, exec_lo, s10
	s_cbranch_vccz .LBB134_2757
; %bb.2747:
	s_cmp_gt_i32 s0, 22
	s_cbranch_scc0 .LBB134_2768
; %bb.2748:
	s_cmp_lt_i32 s0, 24
	s_cbranch_scc1 .LBB134_2772
; %bb.2749:
	s_cmp_gt_i32 s0, 24
	s_cbranch_scc0 .LBB134_2774
; %bb.2750:
	global_load_u8 v30, v[32:33], off
	s_mov_b32 s9, exec_lo
	s_wait_loadcnt 0x0
	v_cmpx_lt_i16_e32 0x7f, v30
	s_xor_b32 s9, exec_lo, s9
	s_cbranch_execz .LBB134_2786
; %bb.2751:
	s_mov_b32 s8, -1
	s_mov_b32 s10, exec_lo
	v_cmpx_eq_u16_e32 0x80, v30
; %bb.2752:
	s_xor_b32 s8, exec_lo, -1
; %bb.2753:
	s_or_b32 exec_lo, exec_lo, s10
	s_delay_alu instid0(SALU_CYCLE_1)
	s_and_b32 s8, s8, exec_lo
	s_or_saveexec_b32 s9, s9
	v_mov_b64_e32 v[28:29], 0x7ff8000020000000
	s_xor_b32 exec_lo, exec_lo, s9
	s_cbranch_execnz .LBB134_2787
.LBB134_2754:
	s_or_b32 exec_lo, exec_lo, s9
	s_and_saveexec_b32 s9, s8
	s_cbranch_execz .LBB134_2756
.LBB134_2755:
	v_and_b32_e32 v28, 0xffff, v30
	s_delay_alu instid0(VALU_DEP_1) | instskip(SKIP_1) | instid1(VALU_DEP_2)
	v_and_b32_e32 v29, 3, v28
	v_bfe_u32 v36, v28, 2, 5
	v_clz_i32_u32_e32 v31, v29
	s_delay_alu instid0(VALU_DEP_2) | instskip(NEXT) | instid1(VALU_DEP_2)
	v_cmp_eq_u32_e32 vcc_lo, 0, v36
	v_min_u32_e32 v31, 32, v31
	s_delay_alu instid0(VALU_DEP_1) | instskip(NEXT) | instid1(VALU_DEP_1)
	v_subrev_nc_u32_e32 v35, 29, v31
	v_dual_lshlrev_b32 v28, v35, v28 :: v_dual_sub_nc_u32 v31, 30, v31
	s_delay_alu instid0(VALU_DEP_1) | instskip(NEXT) | instid1(VALU_DEP_1)
	v_dual_lshlrev_b32 v30, 24, v30 :: v_dual_bitop2_b32 v28, 3, v28 bitop3:0x40
	v_dual_cndmask_b32 v31, v36, v31 :: v_dual_cndmask_b32 v28, v29, v28
	s_delay_alu instid0(VALU_DEP_2) | instskip(NEXT) | instid1(VALU_DEP_2)
	v_and_b32_e32 v29, 0x80000000, v30
	v_lshl_add_u32 v30, v31, 23, 0x37800000
	s_delay_alu instid0(VALU_DEP_3) | instskip(NEXT) | instid1(VALU_DEP_1)
	v_lshlrev_b32_e32 v28, 21, v28
	v_or3_b32 v28, v29, v30, v28
	s_delay_alu instid0(VALU_DEP_1)
	v_cvt_f64_f32_e32 v[28:29], v28
.LBB134_2756:
	s_or_b32 exec_lo, exec_lo, s9
	s_mov_b32 s8, 0
	s_branch .LBB134_2775
.LBB134_2757:
	s_and_b32 vcc_lo, exec_lo, s1
	s_cbranch_vccnz .LBB134_2805
.LBB134_2758:
	s_and_not1_b32 vcc_lo, exec_lo, s8
	s_cbranch_vccnz .LBB134_2760
.LBB134_2759:
	global_load_u8 v28, v[32:33], off
	s_wait_xcnt 0x1
	v_mov_b64_e32 v[30:31], 0
	s_mov_b32 s9, -1
	s_wait_loadcnt 0x0
	v_cmp_ne_u16_e32 vcc_lo, 0, v28
	v_mov_b32_e32 v28, 0
	v_cndmask_b32_e64 v29, 0, 0x3ff00000, vcc_lo
.LBB134_2760:
	s_mov_b32 s1, 0
.LBB134_2761:
	s_delay_alu instid0(SALU_CYCLE_1)
	s_and_b32 vcc_lo, exec_lo, s1
	s_cbranch_vccz .LBB134_2836
; %bb.2762:
	s_cmp_lt_i32 s0, 5
	s_cbranch_scc1 .LBB134_2767
; %bb.2763:
	s_cmp_lt_i32 s0, 8
	s_cbranch_scc1 .LBB134_2769
	;; [unrolled: 3-line block ×3, first 2 shown]
; %bb.2765:
	s_cmp_gt_i32 s0, 9
	s_cbranch_scc0 .LBB134_2788
; %bb.2766:
	global_load_b128 v[28:31], v[32:33], off
	s_mov_b32 s1, 0
	s_branch .LBB134_2789
.LBB134_2767:
	s_mov_b32 s1, -1
                                        ; implicit-def: $vgpr30_vgpr31
	s_branch .LBB134_2814
.LBB134_2768:
	s_mov_b32 s8, -1
                                        ; implicit-def: $vgpr28_vgpr29
	s_branch .LBB134_2781
.LBB134_2769:
	s_mov_b32 s1, -1
                                        ; implicit-def: $vgpr30_vgpr31
	s_branch .LBB134_2795
.LBB134_2770:
	s_or_saveexec_b32 s10, s10
	v_mov_b64_e32 v[28:29], 0x7ff8000020000000
	s_xor_b32 exec_lo, exec_lo, s10
	s_cbranch_execz .LBB134_2741
.LBB134_2771:
	v_cmp_ne_u16_e32 vcc_lo, 0, v30
	v_mov_b64_e32 v[28:29], 0
	s_and_not1_b32 s9, s9, exec_lo
	s_and_b32 s11, vcc_lo, exec_lo
	s_delay_alu instid0(SALU_CYCLE_1)
	s_or_b32 s9, s9, s11
	s_or_b32 exec_lo, exec_lo, s10
	s_and_saveexec_b32 s10, s9
	s_cbranch_execnz .LBB134_2742
	s_branch .LBB134_2743
.LBB134_2772:
	s_mov_b32 s8, -1
                                        ; implicit-def: $vgpr28_vgpr29
	s_branch .LBB134_2778
.LBB134_2773:
	s_mov_b32 s1, -1
                                        ; implicit-def: $vgpr30_vgpr31
	s_branch .LBB134_2792
.LBB134_2774:
	s_mov_b32 s8, -1
                                        ; implicit-def: $vgpr28_vgpr29
.LBB134_2775:
	s_delay_alu instid0(SALU_CYCLE_1)
	s_and_b32 vcc_lo, exec_lo, s8
	s_cbranch_vccz .LBB134_2777
; %bb.2776:
	global_load_u8 v28, v[32:33], off
	s_wait_loadcnt 0x0
	v_lshlrev_b32_e32 v28, 24, v28
	s_delay_alu instid0(VALU_DEP_1) | instskip(SKIP_1) | instid1(VALU_DEP_1)
	v_and_b32_e32 v29, 0x7f000000, v28
	s_wait_xcnt 0x1
	v_clz_i32_u32_e32 v30, v29
	v_add_nc_u32_e32 v35, 0x1000000, v29
	v_cmp_ne_u32_e32 vcc_lo, 0, v29
	s_delay_alu instid0(VALU_DEP_3) | instskip(NEXT) | instid1(VALU_DEP_1)
	v_min_u32_e32 v30, 32, v30
	v_sub_nc_u32_e64 v30, v30, 4 clamp
	s_delay_alu instid0(VALU_DEP_1) | instskip(NEXT) | instid1(VALU_DEP_1)
	v_dual_lshlrev_b32 v31, v30, v29 :: v_dual_lshlrev_b32 v30, 23, v30
	v_lshrrev_b32_e32 v31, 4, v31
	s_delay_alu instid0(VALU_DEP_1) | instskip(NEXT) | instid1(VALU_DEP_1)
	v_dual_sub_nc_u32 v30, v31, v30 :: v_dual_ashrrev_i32 v31, 8, v35
	v_add_nc_u32_e32 v30, 0x3c000000, v30
	s_delay_alu instid0(VALU_DEP_1) | instskip(NEXT) | instid1(VALU_DEP_1)
	v_and_or_b32 v30, 0x7f800000, v31, v30
	v_cndmask_b32_e32 v29, 0, v30, vcc_lo
	s_delay_alu instid0(VALU_DEP_1) | instskip(NEXT) | instid1(VALU_DEP_1)
	v_and_or_b32 v28, 0x80000000, v28, v29
	v_cvt_f64_f32_e32 v[28:29], v28
.LBB134_2777:
	s_mov_b32 s8, 0
.LBB134_2778:
	s_delay_alu instid0(SALU_CYCLE_1)
	s_and_not1_b32 vcc_lo, exec_lo, s8
	s_cbranch_vccnz .LBB134_2780
; %bb.2779:
	global_load_u8 v28, v[32:33], off
	s_wait_loadcnt 0x0
	v_lshlrev_b32_e32 v29, 25, v28
	v_lshlrev_b16 v28, 8, v28
	s_wait_xcnt 0x1
	s_delay_alu instid0(VALU_DEP_1) | instskip(SKIP_1) | instid1(VALU_DEP_2)
	v_and_or_b32 v31, 0x7f00, v28, 0.5
	v_bfe_i32 v28, v28, 0, 16
	v_dual_add_f32 v31, -0.5, v31 :: v_dual_lshrrev_b32 v30, 4, v29
	v_cmp_gt_u32_e32 vcc_lo, 0x8000000, v29
	s_delay_alu instid0(VALU_DEP_2) | instskip(NEXT) | instid1(VALU_DEP_1)
	v_or_b32_e32 v30, 0x70000000, v30
	v_mul_f32_e32 v30, 0x7800000, v30
	s_delay_alu instid0(VALU_DEP_1) | instskip(NEXT) | instid1(VALU_DEP_1)
	v_cndmask_b32_e32 v29, v30, v31, vcc_lo
	v_and_or_b32 v28, 0x80000000, v28, v29
	s_delay_alu instid0(VALU_DEP_1)
	v_cvt_f64_f32_e32 v[28:29], v28
.LBB134_2780:
	s_mov_b32 s8, 0
	s_mov_b32 s9, -1
.LBB134_2781:
	s_and_not1_b32 vcc_lo, exec_lo, s8
	s_mov_b32 s8, 0
	s_cbranch_vccnz .LBB134_2804
; %bb.2782:
	s_cmp_gt_i32 s0, 14
	s_cbranch_scc0 .LBB134_2785
; %bb.2783:
	s_cmp_eq_u32 s0, 15
	s_cbranch_scc0 .LBB134_2800
; %bb.2784:
	global_load_u16 v28, v[32:33], off
	s_mov_b32 s1, 0
	s_mov_b32 s9, -1
	s_wait_loadcnt 0x0
	v_lshlrev_b32_e32 v28, 16, v28
	s_delay_alu instid0(VALU_DEP_1)
	v_cvt_f64_f32_e32 v[28:29], v28
	s_branch .LBB134_2802
.LBB134_2785:
	s_mov_b32 s8, -1
	s_branch .LBB134_2801
.LBB134_2786:
	s_or_saveexec_b32 s9, s9
	v_mov_b64_e32 v[28:29], 0x7ff8000020000000
	s_xor_b32 exec_lo, exec_lo, s9
	s_cbranch_execz .LBB134_2754
.LBB134_2787:
	v_cmp_ne_u16_e32 vcc_lo, 0, v30
	v_mov_b64_e32 v[28:29], 0
	s_and_not1_b32 s8, s8, exec_lo
	s_and_b32 s10, vcc_lo, exec_lo
	s_delay_alu instid0(SALU_CYCLE_1)
	s_or_b32 s8, s8, s10
	s_or_b32 exec_lo, exec_lo, s9
	s_and_saveexec_b32 s9, s8
	s_cbranch_execnz .LBB134_2755
	s_branch .LBB134_2756
.LBB134_2788:
	s_mov_b32 s1, -1
                                        ; implicit-def: $vgpr30_vgpr31
.LBB134_2789:
	s_delay_alu instid0(SALU_CYCLE_1)
	s_and_not1_b32 vcc_lo, exec_lo, s1
	s_cbranch_vccnz .LBB134_2791
; %bb.2790:
	s_wait_loadcnt 0x0
	global_load_b64 v[30:31], v[32:33], off
	s_wait_loadcnt 0x0
	v_cvt_f64_f32_e32 v[28:29], v30
	v_cvt_f64_f32_e32 v[30:31], v31
.LBB134_2791:
	s_mov_b32 s1, 0
.LBB134_2792:
	s_delay_alu instid0(SALU_CYCLE_1)
	s_and_not1_b32 vcc_lo, exec_lo, s1
	s_cbranch_vccnz .LBB134_2794
; %bb.2793:
	s_wait_loadcnt 0x0
	global_load_b32 v28, v[32:33], off
	s_wait_loadcnt 0x0
	v_lshrrev_b32_e32 v29, 16, v28
	v_cvt_f32_f16_e32 v28, v28
	s_wait_xcnt 0x1
	s_delay_alu instid0(VALU_DEP_2) | instskip(NEXT) | instid1(VALU_DEP_2)
	v_cvt_f32_f16_e32 v30, v29
	v_cvt_f64_f32_e32 v[28:29], v28
	s_delay_alu instid0(VALU_DEP_2)
	v_cvt_f64_f32_e32 v[30:31], v30
.LBB134_2794:
	s_mov_b32 s1, 0
.LBB134_2795:
	s_delay_alu instid0(SALU_CYCLE_1)
	s_and_not1_b32 vcc_lo, exec_lo, s1
	s_cbranch_vccnz .LBB134_2813
; %bb.2796:
	s_cmp_lt_i32 s0, 6
	s_cbranch_scc1 .LBB134_2799
; %bb.2797:
	s_cmp_gt_i32 s0, 6
	s_cbranch_scc0 .LBB134_2806
; %bb.2798:
	s_wait_loadcnt 0x0
	global_load_b64 v[28:29], v[32:33], off
	s_mov_b32 s1, 0
	s_branch .LBB134_2807
.LBB134_2799:
	s_mov_b32 s1, -1
                                        ; implicit-def: $vgpr28_vgpr29
	s_branch .LBB134_2810
.LBB134_2800:
	s_mov_b32 s1, -1
.LBB134_2801:
                                        ; implicit-def: $vgpr28_vgpr29
.LBB134_2802:
	s_and_b32 vcc_lo, exec_lo, s8
	s_mov_b32 s8, 0
	s_cbranch_vccz .LBB134_2804
; %bb.2803:
	s_cmp_lg_u32 s0, 11
	s_mov_b32 s8, -1
	s_cselect_b32 s1, -1, 0
.LBB134_2804:
	s_wait_xcnt 0x0
	v_mov_b64_e32 v[30:31], 0
	s_and_b32 vcc_lo, exec_lo, s1
	s_cbranch_vccz .LBB134_2758
.LBB134_2805:
	s_or_b32 s17, s17, exec_lo
	s_trap 2
	s_cbranch_execz .LBB134_2759
	s_branch .LBB134_2760
.LBB134_2806:
	s_mov_b32 s1, -1
                                        ; implicit-def: $vgpr28_vgpr29
.LBB134_2807:
	s_delay_alu instid0(SALU_CYCLE_1)
	s_and_not1_b32 vcc_lo, exec_lo, s1
	s_cbranch_vccnz .LBB134_2809
; %bb.2808:
	s_wait_loadcnt 0x0
	global_load_b32 v28, v[32:33], off
	s_wait_loadcnt 0x0
	v_cvt_f64_f32_e32 v[28:29], v28
.LBB134_2809:
	s_mov_b32 s1, 0
.LBB134_2810:
	s_delay_alu instid0(SALU_CYCLE_1)
	s_and_not1_b32 vcc_lo, exec_lo, s1
	s_cbranch_vccnz .LBB134_2812
; %bb.2811:
	s_wait_loadcnt 0x0
	global_load_u16 v28, v[32:33], off
	s_wait_loadcnt 0x0
	v_cvt_f32_f16_e32 v28, v28
	s_delay_alu instid0(VALU_DEP_1)
	v_cvt_f64_f32_e32 v[28:29], v28
.LBB134_2812:
	s_wait_loadcnt 0x0
	v_mov_b64_e32 v[30:31], 0
.LBB134_2813:
	s_mov_b32 s1, 0
.LBB134_2814:
	s_delay_alu instid0(SALU_CYCLE_1)
	s_and_not1_b32 vcc_lo, exec_lo, s1
	s_cbranch_vccnz .LBB134_2835
; %bb.2815:
	s_cmp_lt_i32 s0, 2
	s_cbranch_scc1 .LBB134_2819
; %bb.2816:
	s_cmp_lt_i32 s0, 3
	s_cbranch_scc1 .LBB134_2820
; %bb.2817:
	s_cmp_gt_i32 s0, 3
	s_cbranch_scc0 .LBB134_2821
; %bb.2818:
	s_wait_loadcnt 0x0
	global_load_b64 v[28:29], v[32:33], off
	s_mov_b32 s1, 0
	s_wait_loadcnt 0x0
	s_wait_xcnt 0x1
	v_cvt_f64_i32_e32 v[30:31], v29
	v_cvt_f64_u32_e32 v[28:29], v28
	s_delay_alu instid0(VALU_DEP_2) | instskip(NEXT) | instid1(VALU_DEP_1)
	v_ldexp_f64 v[30:31], v[30:31], 32
	v_add_f64_e32 v[28:29], v[30:31], v[28:29]
	s_branch .LBB134_2822
.LBB134_2819:
	s_mov_b32 s1, -1
                                        ; implicit-def: $vgpr28_vgpr29
	s_branch .LBB134_2828
.LBB134_2820:
	s_mov_b32 s1, -1
                                        ; implicit-def: $vgpr28_vgpr29
	s_branch .LBB134_2825
.LBB134_2821:
	s_mov_b32 s1, -1
                                        ; implicit-def: $vgpr28_vgpr29
.LBB134_2822:
	s_delay_alu instid0(SALU_CYCLE_1)
	s_and_not1_b32 vcc_lo, exec_lo, s1
	s_cbranch_vccnz .LBB134_2824
; %bb.2823:
	s_wait_loadcnt 0x0
	global_load_b32 v28, v[32:33], off
	s_wait_loadcnt 0x0
	v_cvt_f64_i32_e32 v[28:29], v28
.LBB134_2824:
	s_mov_b32 s1, 0
.LBB134_2825:
	s_delay_alu instid0(SALU_CYCLE_1)
	s_and_not1_b32 vcc_lo, exec_lo, s1
	s_cbranch_vccnz .LBB134_2827
; %bb.2826:
	s_wait_loadcnt 0x0
	global_load_i16 v28, v[32:33], off
	s_wait_loadcnt 0x0
	v_cvt_f64_i32_e32 v[28:29], v28
.LBB134_2827:
	s_mov_b32 s1, 0
.LBB134_2828:
	s_delay_alu instid0(SALU_CYCLE_1)
	s_and_not1_b32 vcc_lo, exec_lo, s1
	s_cbranch_vccnz .LBB134_2834
; %bb.2829:
	s_cmp_gt_i32 s0, 0
	s_mov_b32 s0, 0
	s_cbranch_scc0 .LBB134_2831
; %bb.2830:
	s_wait_loadcnt 0x0
	global_load_i8 v28, v[32:33], off
	s_wait_loadcnt 0x0
	v_cvt_f64_i32_e32 v[28:29], v28
	s_branch .LBB134_2832
.LBB134_2831:
	s_mov_b32 s0, -1
                                        ; implicit-def: $vgpr28_vgpr29
.LBB134_2832:
	s_delay_alu instid0(SALU_CYCLE_1)
	s_and_not1_b32 vcc_lo, exec_lo, s0
	s_cbranch_vccnz .LBB134_2834
; %bb.2833:
	s_wait_loadcnt 0x0
	global_load_u8 v28, v[32:33], off
	s_wait_loadcnt 0x0
	v_cvt_f64_u32_e32 v[28:29], v28
.LBB134_2834:
	s_wait_loadcnt 0x0
	v_mov_b64_e32 v[30:31], 0
.LBB134_2835:
	s_mov_b32 s9, -1
.LBB134_2836:
	s_delay_alu instid0(SALU_CYCLE_1)
	s_and_not1_b32 vcc_lo, exec_lo, s9
	s_cbranch_vccnz .LBB134_3270
; %bb.2837:
	s_wait_loadcnt 0x0
	v_mul_f64_e32 v[32:33], s[4:5], v[2:3]
	v_mul_f64_e32 v[2:3], s[6:7], v[2:3]
	s_and_b32 s21, s15, 0xff
	s_delay_alu instid0(SALU_CYCLE_1) | instskip(NEXT) | instid1(VALU_DEP_2)
	s_cmp_lt_i32 s21, 11
	v_fmac_f64_e32 v[32:33], s[6:7], v[0:1]
	s_delay_alu instid0(VALU_DEP_2) | instskip(NEXT) | instid1(VALU_DEP_2)
	v_fma_f64 v[0:1], s[4:5], v[0:1], -v[2:3]
	v_mul_f64_e32 v[36:37], v[32:33], v[6:7]
	s_delay_alu instid0(VALU_DEP_2) | instskip(NEXT) | instid1(VALU_DEP_2)
	v_mul_f64_e32 v[2:3], v[0:1], v[6:7]
	v_fma_f64 v[0:1], v[0:1], v[4:5], -v[36:37]
	s_delay_alu instid0(VALU_DEP_2) | instskip(SKIP_1) | instid1(VALU_DEP_1)
	v_fmac_f64_e32 v[2:3], v[32:33], v[4:5]
	v_mul_lo_u32 v4, s14, v34
	v_ashrrev_i32_e32 v5, 31, v4
	s_delay_alu instid0(VALU_DEP_1)
	v_add_nc_u64_e32 v[6:7], s[2:3], v[4:5]
	s_cbranch_scc1 .LBB134_2915
; %bb.2838:
	s_and_b32 s1, 0xffff, s21
	s_mov_b32 s10, -1
	s_mov_b32 s8, 0
	s_cmp_gt_i32 s1, 25
	s_mov_b32 s9, 0
	s_mov_b32 s0, 0
	s_cbranch_scc0 .LBB134_2871
; %bb.2839:
	s_cmp_gt_i32 s1, 28
	s_cbranch_scc0 .LBB134_2854
; %bb.2840:
	s_cmp_gt_i32 s1, 43
	;; [unrolled: 3-line block ×3, first 2 shown]
	s_cbranch_scc0 .LBB134_2844
; %bb.2842:
	s_mov_b32 s0, -1
	s_mov_b32 s10, 0
	s_cmp_eq_u32 s1, 46
	s_cbranch_scc0 .LBB134_2844
; %bb.2843:
	s_delay_alu instid0(VALU_DEP_4) | instskip(SKIP_3) | instid1(VALU_DEP_2)
	v_cvt_f32_f64_e32 v5, v[2:3]
	v_cvt_f32_f64_e32 v32, v[0:1]
	s_mov_b32 s0, 0
	s_mov_b32 s9, -1
	v_bfe_u32 v33, v5, 16, 1
	s_delay_alu instid0(VALU_DEP_2) | instskip(SKIP_1) | instid1(VALU_DEP_3)
	v_bfe_u32 v34, v32, 16, 1
	v_cmp_o_f32_e32 vcc_lo, v5, v5
	v_add3_u32 v33, v5, v33, 0x7fff
	s_delay_alu instid0(VALU_DEP_3) | instskip(NEXT) | instid1(VALU_DEP_2)
	v_add3_u32 v34, v32, v34, 0x7fff
	v_and_b32_e32 v33, 0xffff0000, v33
	s_delay_alu instid0(VALU_DEP_1) | instskip(SKIP_1) | instid1(VALU_DEP_2)
	v_dual_cndmask_b32 v5, 0x7fc00000, v33 :: v_dual_lshrrev_b32 v34, 16, v34
	v_cmp_o_f32_e32 vcc_lo, v32, v32
	v_cndmask_b32_e32 v32, 0x7fc0, v34, vcc_lo
	s_delay_alu instid0(VALU_DEP_1)
	v_or_b32_e32 v5, v5, v32
	global_store_b32 v[6:7], v5, off
.LBB134_2844:
	s_and_b32 vcc_lo, exec_lo, s10
	s_cbranch_vccz .LBB134_2849
; %bb.2845:
	s_cmp_eq_u32 s1, 44
	s_mov_b32 s0, -1
	s_cbranch_scc0 .LBB134_2849
; %bb.2846:
	s_wait_xcnt 0x0
	v_cvt_f32_f64_e32 v5, v[0:1]
	v_mov_b32_e32 v32, 0xff
	s_mov_b32 s9, exec_lo
	s_delay_alu instid0(VALU_DEP_2) | instskip(NEXT) | instid1(VALU_DEP_1)
	v_bfe_u32 v33, v5, 23, 8
	v_cmpx_ne_u32_e32 0xff, v33
	s_cbranch_execz .LBB134_2848
; %bb.2847:
	v_and_b32_e32 v32, 0x400000, v5
	v_and_or_b32 v33, 0x3fffff, v5, v33
	v_lshrrev_b32_e32 v5, 23, v5
	s_delay_alu instid0(VALU_DEP_3) | instskip(NEXT) | instid1(VALU_DEP_3)
	v_cmp_ne_u32_e32 vcc_lo, 0, v32
	v_cmp_ne_u32_e64 s0, 0, v33
	s_and_b32 s0, vcc_lo, s0
	s_delay_alu instid0(SALU_CYCLE_1) | instskip(NEXT) | instid1(VALU_DEP_1)
	v_cndmask_b32_e64 v32, 0, 1, s0
	v_add_nc_u32_e32 v32, v5, v32
.LBB134_2848:
	s_or_b32 exec_lo, exec_lo, s9
	s_mov_b32 s0, 0
	s_mov_b32 s9, -1
	global_store_b8 v[6:7], v32, off
.LBB134_2849:
	s_mov_b32 s10, 0
.LBB134_2850:
	s_delay_alu instid0(SALU_CYCLE_1)
	s_and_b32 vcc_lo, exec_lo, s10
	s_cbranch_vccz .LBB134_2853
; %bb.2851:
	s_cmp_eq_u32 s1, 29
	s_mov_b32 s0, -1
	s_cbranch_scc0 .LBB134_2853
; %bb.2852:
	s_wait_xcnt 0x0
	v_trunc_f64_e32 v[32:33], v[0:1]
	s_mov_b32 s0, 0
	s_mov_b32 s9, -1
	s_delay_alu instid0(VALU_DEP_1) | instskip(NEXT) | instid1(VALU_DEP_1)
	v_ldexp_f64 v[34:35], v[32:33], 0xffffffe0
	v_floor_f64_e32 v[34:35], v[34:35]
	s_delay_alu instid0(VALU_DEP_1) | instskip(SKIP_1) | instid1(VALU_DEP_2)
	v_fmamk_f64 v[32:33], v[34:35], 0xc1f00000, v[32:33]
	v_cvt_u32_f64_e32 v35, v[34:35]
	v_cvt_u32_f64_e32 v34, v[32:33]
	global_store_b64 v[6:7], v[34:35], off
.LBB134_2853:
	s_mov_b32 s10, 0
.LBB134_2854:
	s_delay_alu instid0(SALU_CYCLE_1)
	s_and_b32 vcc_lo, exec_lo, s10
	s_cbranch_vccz .LBB134_2870
; %bb.2855:
	s_cmp_lt_i32 s1, 27
	s_mov_b32 s9, -1
	s_cbranch_scc1 .LBB134_2861
; %bb.2856:
	s_wait_xcnt 0x0
	v_cvt_u32_f64_e32 v5, v[0:1]
	s_cmp_gt_i32 s1, 27
	s_cbranch_scc0 .LBB134_2858
; %bb.2857:
	s_mov_b32 s9, 0
	global_store_b32 v[6:7], v5, off
.LBB134_2858:
	s_and_not1_b32 vcc_lo, exec_lo, s9
	s_cbranch_vccnz .LBB134_2860
; %bb.2859:
	global_store_b16 v[6:7], v5, off
.LBB134_2860:
	s_mov_b32 s9, 0
.LBB134_2861:
	s_delay_alu instid0(SALU_CYCLE_1)
	s_and_not1_b32 vcc_lo, exec_lo, s9
	s_cbranch_vccnz .LBB134_2869
; %bb.2862:
	s_wait_xcnt 0x0
	v_cvt_f32_f64_e32 v5, v[0:1]
	v_mov_b32_e32 v33, 0x80
	s_mov_b32 s9, exec_lo
	s_delay_alu instid0(VALU_DEP_2) | instskip(NEXT) | instid1(VALU_DEP_1)
	v_and_b32_e32 v32, 0x7fffffff, v5
	v_cmpx_gt_u32_e32 0x43800000, v32
	s_cbranch_execz .LBB134_2868
; %bb.2863:
	v_cmp_lt_u32_e32 vcc_lo, 0x3bffffff, v32
	s_mov_b32 s10, 0
                                        ; implicit-def: $vgpr32
	s_and_saveexec_b32 s11, vcc_lo
	s_delay_alu instid0(SALU_CYCLE_1)
	s_xor_b32 s11, exec_lo, s11
	s_cbranch_execz .LBB134_3316
; %bb.2864:
	v_bfe_u32 v32, v5, 20, 1
	s_mov_b32 s10, exec_lo
	s_delay_alu instid0(VALU_DEP_1) | instskip(NEXT) | instid1(VALU_DEP_1)
	v_add3_u32 v32, v5, v32, 0x487ffff
	v_lshrrev_b32_e32 v32, 20, v32
	s_and_not1_saveexec_b32 s11, s11
	s_cbranch_execnz .LBB134_3317
.LBB134_2865:
	s_or_b32 exec_lo, exec_lo, s11
	v_mov_b32_e32 v33, 0
	s_and_saveexec_b32 s11, s10
.LBB134_2866:
	v_lshrrev_b32_e32 v5, 24, v5
	s_delay_alu instid0(VALU_DEP_1)
	v_and_or_b32 v33, 0x80, v5, v32
.LBB134_2867:
	s_or_b32 exec_lo, exec_lo, s11
.LBB134_2868:
	s_delay_alu instid0(SALU_CYCLE_1)
	s_or_b32 exec_lo, exec_lo, s9
	global_store_b8 v[6:7], v33, off
.LBB134_2869:
	s_mov_b32 s9, -1
.LBB134_2870:
	s_mov_b32 s10, 0
.LBB134_2871:
	s_delay_alu instid0(SALU_CYCLE_1)
	s_and_b32 vcc_lo, exec_lo, s10
	s_cbranch_vccz .LBB134_2911
; %bb.2872:
	s_cmp_gt_i32 s1, 22
	s_mov_b32 s8, -1
	s_cbranch_scc0 .LBB134_2904
; %bb.2873:
	s_cmp_lt_i32 s1, 24
	s_cbranch_scc1 .LBB134_2893
; %bb.2874:
	s_cmp_gt_i32 s1, 24
	s_cbranch_scc0 .LBB134_2882
; %bb.2875:
	s_wait_xcnt 0x0
	v_cvt_f32_f64_e32 v5, v[0:1]
	v_mov_b32_e32 v33, 0x80
	s_mov_b32 s8, exec_lo
	s_delay_alu instid0(VALU_DEP_2) | instskip(NEXT) | instid1(VALU_DEP_1)
	v_and_b32_e32 v32, 0x7fffffff, v5
	v_cmpx_gt_u32_e32 0x47800000, v32
	s_cbranch_execz .LBB134_2881
; %bb.2876:
	v_cmp_lt_u32_e32 vcc_lo, 0x37ffffff, v32
	s_mov_b32 s9, 0
                                        ; implicit-def: $vgpr32
	s_and_saveexec_b32 s10, vcc_lo
	s_delay_alu instid0(SALU_CYCLE_1)
	s_xor_b32 s10, exec_lo, s10
	s_cbranch_execz .LBB134_3319
; %bb.2877:
	v_bfe_u32 v32, v5, 21, 1
	s_mov_b32 s9, exec_lo
	s_delay_alu instid0(VALU_DEP_1) | instskip(NEXT) | instid1(VALU_DEP_1)
	v_add3_u32 v32, v5, v32, 0x88fffff
	v_lshrrev_b32_e32 v32, 21, v32
	s_and_not1_saveexec_b32 s10, s10
	s_cbranch_execnz .LBB134_3320
.LBB134_2878:
	s_or_b32 exec_lo, exec_lo, s10
	v_mov_b32_e32 v33, 0
	s_and_saveexec_b32 s10, s9
.LBB134_2879:
	v_lshrrev_b32_e32 v5, 24, v5
	s_delay_alu instid0(VALU_DEP_1)
	v_and_or_b32 v33, 0x80, v5, v32
.LBB134_2880:
	s_or_b32 exec_lo, exec_lo, s10
.LBB134_2881:
	s_delay_alu instid0(SALU_CYCLE_1)
	s_or_b32 exec_lo, exec_lo, s8
	s_mov_b32 s8, 0
	global_store_b8 v[6:7], v33, off
.LBB134_2882:
	s_and_b32 vcc_lo, exec_lo, s8
	s_cbranch_vccz .LBB134_2892
; %bb.2883:
	s_wait_xcnt 0x0
	v_cvt_f32_f64_e32 v5, v[0:1]
	s_mov_b32 s8, exec_lo
                                        ; implicit-def: $vgpr32
	s_delay_alu instid0(VALU_DEP_1) | instskip(NEXT) | instid1(VALU_DEP_1)
	v_and_b32_e32 v33, 0x7fffffff, v5
	v_cmpx_gt_u32_e32 0x43f00000, v33
	s_xor_b32 s8, exec_lo, s8
	s_cbranch_execz .LBB134_2889
; %bb.2884:
	s_mov_b32 s9, exec_lo
                                        ; implicit-def: $vgpr32
	v_cmpx_lt_u32_e32 0x3c7fffff, v33
	s_xor_b32 s9, exec_lo, s9
; %bb.2885:
	v_bfe_u32 v32, v5, 20, 1
	s_delay_alu instid0(VALU_DEP_1) | instskip(NEXT) | instid1(VALU_DEP_1)
	v_add3_u32 v32, v5, v32, 0x407ffff
	v_and_b32_e32 v33, 0xff00000, v32
	v_lshrrev_b32_e32 v32, 20, v32
	s_delay_alu instid0(VALU_DEP_2) | instskip(NEXT) | instid1(VALU_DEP_2)
	v_cmp_ne_u32_e32 vcc_lo, 0x7f00000, v33
	v_cndmask_b32_e32 v32, 0x7e, v32, vcc_lo
; %bb.2886:
	s_and_not1_saveexec_b32 s9, s9
; %bb.2887:
	v_add_f32_e64 v32, 0x46800000, |v5|
; %bb.2888:
	s_or_b32 exec_lo, exec_lo, s9
                                        ; implicit-def: $vgpr33
.LBB134_2889:
	s_and_not1_saveexec_b32 s8, s8
; %bb.2890:
	v_mov_b32_e32 v32, 0x7f
	v_cmp_lt_u32_e32 vcc_lo, 0x7f800000, v33
	s_delay_alu instid0(VALU_DEP_2)
	v_cndmask_b32_e32 v32, 0x7e, v32, vcc_lo
; %bb.2891:
	s_or_b32 exec_lo, exec_lo, s8
	v_lshrrev_b32_e32 v5, 24, v5
	s_delay_alu instid0(VALU_DEP_1)
	v_and_or_b32 v5, 0x80, v5, v32
	global_store_b8 v[6:7], v5, off
.LBB134_2892:
	s_mov_b32 s8, 0
.LBB134_2893:
	s_delay_alu instid0(SALU_CYCLE_1)
	s_and_not1_b32 vcc_lo, exec_lo, s8
	s_cbranch_vccnz .LBB134_2903
; %bb.2894:
	s_wait_xcnt 0x0
	v_cvt_f32_f64_e32 v5, v[0:1]
	s_mov_b32 s8, exec_lo
                                        ; implicit-def: $vgpr32
	s_delay_alu instid0(VALU_DEP_1) | instskip(NEXT) | instid1(VALU_DEP_1)
	v_and_b32_e32 v33, 0x7fffffff, v5
	v_cmpx_gt_u32_e32 0x47800000, v33
	s_xor_b32 s8, exec_lo, s8
	s_cbranch_execz .LBB134_2900
; %bb.2895:
	s_mov_b32 s9, exec_lo
                                        ; implicit-def: $vgpr32
	v_cmpx_lt_u32_e32 0x387fffff, v33
	s_xor_b32 s9, exec_lo, s9
; %bb.2896:
	v_bfe_u32 v32, v5, 21, 1
	s_delay_alu instid0(VALU_DEP_1) | instskip(NEXT) | instid1(VALU_DEP_1)
	v_add3_u32 v32, v5, v32, 0x80fffff
	v_lshrrev_b32_e32 v32, 21, v32
; %bb.2897:
	s_and_not1_saveexec_b32 s9, s9
; %bb.2898:
	v_add_f32_e64 v32, 0x43000000, |v5|
; %bb.2899:
	s_or_b32 exec_lo, exec_lo, s9
                                        ; implicit-def: $vgpr33
.LBB134_2900:
	s_and_not1_saveexec_b32 s8, s8
; %bb.2901:
	v_mov_b32_e32 v32, 0x7f
	v_cmp_lt_u32_e32 vcc_lo, 0x7f800000, v33
	s_delay_alu instid0(VALU_DEP_2)
	v_cndmask_b32_e32 v32, 0x7c, v32, vcc_lo
; %bb.2902:
	s_or_b32 exec_lo, exec_lo, s8
	v_lshrrev_b32_e32 v5, 24, v5
	s_delay_alu instid0(VALU_DEP_1)
	v_and_or_b32 v5, 0x80, v5, v32
	global_store_b8 v[6:7], v5, off
.LBB134_2903:
	s_mov_b32 s8, 0
	s_mov_b32 s9, -1
.LBB134_2904:
	s_and_not1_b32 vcc_lo, exec_lo, s8
	s_mov_b32 s8, 0
	s_cbranch_vccnz .LBB134_2911
; %bb.2905:
	s_cmp_gt_i32 s1, 14
	s_mov_b32 s8, -1
	s_cbranch_scc0 .LBB134_2909
; %bb.2906:
	s_cmp_eq_u32 s1, 15
	s_mov_b32 s0, -1
	s_cbranch_scc0 .LBB134_2908
; %bb.2907:
	s_wait_xcnt 0x0
	v_cvt_f32_f64_e32 v5, v[0:1]
	s_mov_b32 s0, 0
	s_mov_b32 s9, -1
	s_delay_alu instid0(VALU_DEP_1) | instskip(SKIP_1) | instid1(VALU_DEP_2)
	v_bfe_u32 v32, v5, 16, 1
	v_cmp_o_f32_e32 vcc_lo, v5, v5
	v_add3_u32 v32, v5, v32, 0x7fff
	s_delay_alu instid0(VALU_DEP_1) | instskip(NEXT) | instid1(VALU_DEP_1)
	v_lshrrev_b32_e32 v32, 16, v32
	v_cndmask_b32_e32 v5, 0x7fc0, v32, vcc_lo
	global_store_b16 v[6:7], v5, off
.LBB134_2908:
	s_mov_b32 s8, 0
.LBB134_2909:
	s_delay_alu instid0(SALU_CYCLE_1)
	s_and_b32 vcc_lo, exec_lo, s8
	s_mov_b32 s8, 0
	s_cbranch_vccz .LBB134_2911
; %bb.2910:
	s_cmp_lg_u32 s1, 11
	s_mov_b32 s8, -1
	s_cselect_b32 s0, -1, 0
.LBB134_2911:
	s_delay_alu instid0(SALU_CYCLE_1)
	s_and_b32 vcc_lo, exec_lo, s0
	s_cbranch_vccnz .LBB134_3318
; %bb.2912:
	s_and_not1_b32 vcc_lo, exec_lo, s8
	s_cbranch_vccnz .LBB134_2914
.LBB134_2913:
	v_cmp_neq_f64_e32 vcc_lo, 0, v[0:1]
	v_cmp_neq_f64_e64 s0, 0, v[2:3]
	s_mov_b32 s9, -1
	s_or_b32 s0, vcc_lo, s0
	s_wait_xcnt 0x0
	v_cndmask_b32_e64 v5, 0, 1, s0
	global_store_b8 v[6:7], v5, off
.LBB134_2914:
	s_mov_b32 s0, 0
	s_branch .LBB134_2916
.LBB134_2915:
	s_mov_b32 s0, -1
	s_mov_b32 s9, 0
.LBB134_2916:
	s_and_b32 vcc_lo, exec_lo, s0
	s_cbranch_vccz .LBB134_2955
; %bb.2917:
	s_and_b32 s0, 0xffff, s21
	s_mov_b32 s1, -1
	s_cmp_lt_i32 s0, 5
	s_cbranch_scc1 .LBB134_2938
; %bb.2918:
	s_cmp_lt_i32 s0, 8
	s_cbranch_scc1 .LBB134_2928
; %bb.2919:
	;; [unrolled: 3-line block ×3, first 2 shown]
	s_cmp_gt_i32 s0, 9
	s_cbranch_scc0 .LBB134_2922
; %bb.2921:
	s_mov_b32 s1, 0
	global_store_b128 v[6:7], v[0:3], off
.LBB134_2922:
	s_and_not1_b32 vcc_lo, exec_lo, s1
	s_cbranch_vccnz .LBB134_2924
; %bb.2923:
	s_wait_xcnt 0x0
	v_cvt_f32_f64_e32 v32, v[0:1]
	v_cvt_f32_f64_e32 v33, v[2:3]
	global_store_b64 v[6:7], v[32:33], off
.LBB134_2924:
	s_mov_b32 s1, 0
.LBB134_2925:
	s_delay_alu instid0(SALU_CYCLE_1)
	s_and_not1_b32 vcc_lo, exec_lo, s1
	s_cbranch_vccnz .LBB134_2927
; %bb.2926:
	s_wait_xcnt 0x0
	v_and_or_b32 v5, 0x1ff, v1, v0
	v_and_or_b32 v2, 0x1ff, v3, v2
	v_dual_lshrrev_b32 v32, 8, v1 :: v_dual_lshrrev_b32 v35, 8, v3
	v_bfe_u32 v33, v1, 20, 11
	s_delay_alu instid0(VALU_DEP_4) | instskip(SKIP_2) | instid1(VALU_DEP_4)
	v_cmp_ne_u32_e32 vcc_lo, 0, v5
	v_bfe_u32 v34, v3, 20, 11
	v_dual_lshrrev_b32 v41, 16, v1 :: v_dual_lshrrev_b32 v3, 16, v3
	v_sub_nc_u32_e32 v36, 0x3f1, v33
	v_cndmask_b32_e64 v5, 0, 1, vcc_lo
	v_cmp_ne_u32_e32 vcc_lo, 0, v2
	v_add_nc_u32_e32 v33, 0xfffffc10, v33
	s_delay_alu instid0(VALU_DEP_3) | instskip(SKIP_1) | instid1(VALU_DEP_1)
	v_and_or_b32 v5, 0xffe, v32, v5
	v_cndmask_b32_e64 v2, 0, 1, vcc_lo
	v_and_or_b32 v2, 0xffe, v35, v2
	v_med3_i32 v35, v36, 0, 13
	s_delay_alu instid0(VALU_DEP_4) | instskip(NEXT) | instid1(VALU_DEP_3)
	v_or_b32_e32 v36, 0x1000, v5
	v_or_b32_e32 v37, 0x1000, v2
	s_delay_alu instid0(VALU_DEP_2) | instskip(NEXT) | instid1(VALU_DEP_1)
	v_lshrrev_b32_e32 v38, v35, v36
	v_lshlrev_b32_e32 v35, v35, v38
	s_delay_alu instid0(VALU_DEP_1) | instskip(SKIP_2) | instid1(VALU_DEP_1)
	v_cmp_ne_u32_e32 vcc_lo, v35, v36
	v_lshl_or_b32 v36, v33, 12, v5
	v_cndmask_b32_e64 v35, 0, 1, vcc_lo
	v_or_b32_e32 v35, v38, v35
	v_sub_nc_u32_e32 v32, 0x3f1, v34
	v_add_nc_u32_e32 v34, 0xfffffc10, v34
	s_delay_alu instid0(VALU_DEP_2) | instskip(NEXT) | instid1(VALU_DEP_1)
	v_med3_i32 v32, v32, 0, 13
	v_lshrrev_b32_e32 v39, v32, v37
	s_delay_alu instid0(VALU_DEP_1) | instskip(NEXT) | instid1(VALU_DEP_1)
	v_lshlrev_b32_e32 v32, v32, v39
	v_cmp_ne_u32_e32 vcc_lo, v32, v37
	v_lshl_or_b32 v37, v34, 12, v2
	v_cndmask_b32_e64 v32, 0, 1, vcc_lo
	v_cmp_gt_i32_e32 vcc_lo, 1, v33
	s_delay_alu instid0(VALU_DEP_2) | instskip(SKIP_1) | instid1(VALU_DEP_2)
	v_dual_cndmask_b32 v35, v36, v35, vcc_lo :: v_dual_bitop2_b32 v32, v39, v32 bitop3:0x54
	v_cmp_gt_i32_e32 vcc_lo, 1, v34
	v_dual_lshrrev_b32 v35, 2, v35 :: v_dual_bitop2_b32 v36, 7, v35 bitop3:0x40
	s_delay_alu instid0(VALU_DEP_3) | instskip(NEXT) | instid1(VALU_DEP_1)
	v_cndmask_b32_e32 v32, v37, v32, vcc_lo
	v_dual_lshrrev_b32 v32, 2, v32 :: v_dual_bitop2_b32 v37, 7, v32 bitop3:0x40
	s_delay_alu instid0(VALU_DEP_3) | instskip(SKIP_1) | instid1(VALU_DEP_3)
	v_cmp_lt_i32_e32 vcc_lo, 5, v36
	v_cndmask_b32_e64 v39, 0, 1, vcc_lo
	v_cmp_lt_i32_e32 vcc_lo, 5, v37
	v_cndmask_b32_e64 v40, 0, 1, vcc_lo
	v_cmp_eq_u32_e32 vcc_lo, 3, v37
	v_cndmask_b32_e64 v37, 0, 1, vcc_lo
	v_cmp_eq_u32_e32 vcc_lo, 3, v36
	v_cndmask_b32_e64 v36, 0, 1, vcc_lo
	v_cmp_ne_u32_e32 vcc_lo, 0, v5
	s_delay_alu instid0(VALU_DEP_2) | instskip(NEXT) | instid1(VALU_DEP_1)
	v_or_b32_e32 v36, v36, v39
	v_dual_mov_b32 v38, 0x7e00 :: v_dual_add_nc_u32 v35, v35, v36
	s_delay_alu instid0(VALU_DEP_1)
	v_cndmask_b32_e32 v5, 0x7c00, v38, vcc_lo
	v_cmp_ne_u32_e32 vcc_lo, 0, v2
	v_and_b32_e32 v36, 0x8000, v41
	v_cndmask_b32_e32 v2, 0x7c00, v38, vcc_lo
	v_or_b32_e32 v37, v37, v40
	v_cmp_gt_i32_e32 vcc_lo, 31, v34
	s_delay_alu instid0(VALU_DEP_2) | instskip(NEXT) | instid1(VALU_DEP_1)
	v_add_nc_u32_e32 v32, v32, v37
	v_cndmask_b32_e32 v32, 0x7c00, v32, vcc_lo
	v_cmp_gt_i32_e32 vcc_lo, 31, v33
	v_cndmask_b32_e32 v35, 0x7c00, v35, vcc_lo
	v_cmp_eq_u32_e32 vcc_lo, 0x40f, v34
	s_delay_alu instid0(VALU_DEP_4) | instskip(SKIP_1) | instid1(VALU_DEP_2)
	v_cndmask_b32_e32 v2, v32, v2, vcc_lo
	v_cmp_eq_u32_e32 vcc_lo, 0x40f, v33
	v_and_or_b32 v2, 0x8000, v3, v2
	v_cndmask_b32_e32 v5, v35, v5, vcc_lo
	s_delay_alu instid0(VALU_DEP_1) | instskip(NEXT) | instid1(VALU_DEP_1)
	v_bitop3_b32 v3, v36, 0xffff, v5 bitop3:0xc8
	v_lshl_or_b32 v2, v2, 16, v3
	global_store_b32 v[6:7], v2, off
.LBB134_2927:
	s_mov_b32 s1, 0
.LBB134_2928:
	s_delay_alu instid0(SALU_CYCLE_1)
	s_and_not1_b32 vcc_lo, exec_lo, s1
	s_cbranch_vccnz .LBB134_2937
; %bb.2929:
	s_cmp_lt_i32 s0, 6
	s_mov_b32 s1, -1
	s_cbranch_scc1 .LBB134_2935
; %bb.2930:
	s_cmp_gt_i32 s0, 6
	s_cbranch_scc0 .LBB134_2932
; %bb.2931:
	s_mov_b32 s1, 0
	global_store_b64 v[6:7], v[0:1], off
.LBB134_2932:
	s_and_not1_b32 vcc_lo, exec_lo, s1
	s_cbranch_vccnz .LBB134_2934
; %bb.2933:
	s_wait_xcnt 0x0
	v_cvt_f32_f64_e32 v2, v[0:1]
	global_store_b32 v[6:7], v2, off
.LBB134_2934:
	s_mov_b32 s1, 0
.LBB134_2935:
	s_delay_alu instid0(SALU_CYCLE_1)
	s_and_not1_b32 vcc_lo, exec_lo, s1
	s_cbranch_vccnz .LBB134_2937
; %bb.2936:
	s_wait_xcnt 0x0
	v_and_or_b32 v2, 0x1ff, v1, v0
	v_lshrrev_b32_e32 v3, 8, v1
	v_bfe_u32 v5, v1, 20, 11
	s_delay_alu instid0(VALU_DEP_3) | instskip(NEXT) | instid1(VALU_DEP_2)
	v_cmp_ne_u32_e32 vcc_lo, 0, v2
	v_sub_nc_u32_e32 v32, 0x3f1, v5
	v_add_nc_u32_e32 v5, 0xfffffc10, v5
	v_cndmask_b32_e64 v2, 0, 1, vcc_lo
	s_delay_alu instid0(VALU_DEP_1) | instskip(NEXT) | instid1(VALU_DEP_4)
	v_and_or_b32 v2, 0xffe, v3, v2
	v_med3_i32 v3, v32, 0, 13
	s_delay_alu instid0(VALU_DEP_2) | instskip(NEXT) | instid1(VALU_DEP_1)
	v_or_b32_e32 v32, 0x1000, v2
	v_lshrrev_b32_e32 v33, v3, v32
	s_delay_alu instid0(VALU_DEP_1) | instskip(NEXT) | instid1(VALU_DEP_1)
	v_lshlrev_b32_e32 v3, v3, v33
	v_cmp_ne_u32_e32 vcc_lo, v3, v32
	v_lshl_or_b32 v32, v5, 12, v2
	v_cndmask_b32_e64 v3, 0, 1, vcc_lo
	v_cmp_gt_i32_e32 vcc_lo, 1, v5
	s_delay_alu instid0(VALU_DEP_2) | instskip(NEXT) | instid1(VALU_DEP_1)
	v_or_b32_e32 v3, v33, v3
	v_cndmask_b32_e32 v3, v32, v3, vcc_lo
	s_delay_alu instid0(VALU_DEP_1) | instskip(NEXT) | instid1(VALU_DEP_1)
	v_dual_lshrrev_b32 v3, 2, v3 :: v_dual_bitop2_b32 v32, 7, v3 bitop3:0x40
	v_cmp_lt_i32_e32 vcc_lo, 5, v32
	v_cndmask_b32_e64 v33, 0, 1, vcc_lo
	v_cmp_eq_u32_e32 vcc_lo, 3, v32
	v_cndmask_b32_e64 v32, 0, 1, vcc_lo
	v_cmp_ne_u32_e32 vcc_lo, 0, v2
	s_delay_alu instid0(VALU_DEP_2) | instskip(SKIP_1) | instid1(VALU_DEP_1)
	v_or_b32_e32 v32, v32, v33
	v_mov_b32_e32 v33, 0x7e00
	v_dual_cndmask_b32 v2, 0x7c00, v33 :: v_dual_add_nc_u32 v3, v3, v32
	v_cmp_gt_i32_e32 vcc_lo, 31, v5
	s_delay_alu instid0(VALU_DEP_2) | instskip(SKIP_1) | instid1(VALU_DEP_2)
	v_cndmask_b32_e32 v3, 0x7c00, v3, vcc_lo
	v_cmp_eq_u32_e32 vcc_lo, 0x40f, v5
	v_dual_cndmask_b32 v2, v3, v2 :: v_dual_lshrrev_b32 v3, 16, v1
	s_delay_alu instid0(VALU_DEP_1)
	v_and_or_b32 v2, 0x8000, v3, v2
	global_store_b16 v[6:7], v2, off
.LBB134_2937:
	s_mov_b32 s1, 0
.LBB134_2938:
	s_delay_alu instid0(SALU_CYCLE_1)
	s_and_not1_b32 vcc_lo, exec_lo, s1
	s_cbranch_vccnz .LBB134_2954
; %bb.2939:
	s_cmp_lt_i32 s0, 2
	s_mov_b32 s1, -1
	s_cbranch_scc1 .LBB134_2949
; %bb.2940:
	s_cmp_lt_i32 s0, 3
	s_cbranch_scc1 .LBB134_2946
; %bb.2941:
	s_cmp_gt_i32 s0, 3
	s_cbranch_scc0 .LBB134_2943
; %bb.2942:
	s_wait_xcnt 0x0
	v_trunc_f64_e32 v[2:3], v[0:1]
	s_mov_b32 s1, 0
	s_delay_alu instid0(VALU_DEP_1) | instskip(NEXT) | instid1(VALU_DEP_1)
	v_ldexp_f64 v[32:33], v[2:3], 0xffffffe0
	v_floor_f64_e32 v[32:33], v[32:33]
	s_delay_alu instid0(VALU_DEP_1) | instskip(SKIP_1) | instid1(VALU_DEP_2)
	v_fmamk_f64 v[2:3], v[32:33], 0xc1f00000, v[2:3]
	v_cvt_i32_f64_e32 v33, v[32:33]
	v_cvt_u32_f64_e32 v32, v[2:3]
	global_store_b64 v[6:7], v[32:33], off
.LBB134_2943:
	s_and_not1_b32 vcc_lo, exec_lo, s1
	s_cbranch_vccnz .LBB134_2945
; %bb.2944:
	s_wait_xcnt 0x0
	v_cvt_i32_f64_e32 v2, v[0:1]
	global_store_b32 v[6:7], v2, off
.LBB134_2945:
	s_mov_b32 s1, 0
.LBB134_2946:
	s_delay_alu instid0(SALU_CYCLE_1)
	s_and_not1_b32 vcc_lo, exec_lo, s1
	s_cbranch_vccnz .LBB134_2948
; %bb.2947:
	s_wait_xcnt 0x0
	v_cvt_i32_f64_e32 v2, v[0:1]
	global_store_b16 v[6:7], v2, off
.LBB134_2948:
	s_mov_b32 s1, 0
.LBB134_2949:
	s_delay_alu instid0(SALU_CYCLE_1)
	s_and_not1_b32 vcc_lo, exec_lo, s1
	s_cbranch_vccnz .LBB134_2954
; %bb.2950:
	s_cmp_gt_i32 s0, 0
	s_mov_b32 s0, -1
	s_cbranch_scc0 .LBB134_2952
; %bb.2951:
	s_wait_xcnt 0x0
	v_cvt_i32_f64_e32 v2, v[0:1]
	s_mov_b32 s0, 0
	global_store_b8 v[6:7], v2, off
.LBB134_2952:
	s_and_not1_b32 vcc_lo, exec_lo, s0
	s_cbranch_vccnz .LBB134_2954
; %bb.2953:
	s_wait_xcnt 0x0
	v_trunc_f64_e32 v[0:1], v[0:1]
	s_delay_alu instid0(VALU_DEP_1) | instskip(NEXT) | instid1(VALU_DEP_1)
	v_ldexp_f64 v[2:3], v[0:1], 0xffffffe0
	v_floor_f64_e32 v[2:3], v[2:3]
	s_delay_alu instid0(VALU_DEP_1) | instskip(NEXT) | instid1(VALU_DEP_1)
	v_fmamk_f64 v[0:1], v[2:3], 0xc1f00000, v[0:1]
	v_cvt_u32_f64_e32 v0, v[0:1]
	global_store_b8 v[6:7], v0, off
.LBB134_2954:
	s_mov_b32 s9, -1
.LBB134_2955:
	s_delay_alu instid0(SALU_CYCLE_1)
	s_and_not1_b32 vcc_lo, exec_lo, s9
	s_cbranch_vccnz .LBB134_3270
; %bb.2956:
	s_lshl_b32 s1, s14, 7
	s_wait_xcnt 0x0
	v_dual_mul_f64 v[6:7], s[4:5], v[10:11] :: v_dual_add_nc_u32 v4, s1, v4
	v_mul_f64_e32 v[0:1], s[6:7], v[10:11]
	s_cmp_lt_i32 s21, 11
	s_delay_alu instid0(VALU_DEP_2) | instskip(NEXT) | instid1(VALU_DEP_3)
	v_ashrrev_i32_e32 v5, 31, v4
	v_fmac_f64_e32 v[6:7], s[6:7], v[8:9]
	s_delay_alu instid0(VALU_DEP_3) | instskip(NEXT) | instid1(VALU_DEP_2)
	v_fma_f64 v[0:1], s[4:5], v[8:9], -v[0:1]
	v_mul_f64_e32 v[8:9], v[6:7], v[14:15]
	s_delay_alu instid0(VALU_DEP_2) | instskip(NEXT) | instid1(VALU_DEP_2)
	v_mul_f64_e32 v[2:3], v[0:1], v[14:15]
	v_fma_f64 v[0:1], v[0:1], v[12:13], -v[8:9]
	s_delay_alu instid0(VALU_DEP_2)
	v_fmac_f64_e32 v[2:3], v[6:7], v[12:13]
	v_add_nc_u64_e32 v[6:7], s[2:3], v[4:5]
	s_cbranch_scc1 .LBB134_3034
; %bb.2957:
	s_and_b32 s8, 0xffff, s21
	s_mov_b32 s11, -1
	s_mov_b32 s9, 0
	s_cmp_gt_i32 s8, 25
	s_mov_b32 s10, 0
	s_mov_b32 s0, 0
	s_cbranch_scc0 .LBB134_2990
; %bb.2958:
	s_cmp_gt_i32 s8, 28
	s_cbranch_scc0 .LBB134_2973
; %bb.2959:
	s_cmp_gt_i32 s8, 43
	;; [unrolled: 3-line block ×3, first 2 shown]
	s_cbranch_scc0 .LBB134_2963
; %bb.2961:
	s_mov_b32 s0, -1
	s_mov_b32 s11, 0
	s_cmp_eq_u32 s8, 46
	s_cbranch_scc0 .LBB134_2963
; %bb.2962:
	s_delay_alu instid0(VALU_DEP_2) | instskip(NEXT) | instid1(VALU_DEP_4)
	v_cvt_f32_f64_e32 v5, v[2:3]
	v_cvt_f32_f64_e32 v8, v[0:1]
	s_mov_b32 s0, 0
	s_mov_b32 s10, -1
	s_delay_alu instid0(VALU_DEP_2) | instskip(NEXT) | instid1(VALU_DEP_2)
	v_bfe_u32 v9, v5, 16, 1
	v_bfe_u32 v10, v8, 16, 1
	v_cmp_o_f32_e32 vcc_lo, v5, v5
	s_delay_alu instid0(VALU_DEP_3) | instskip(NEXT) | instid1(VALU_DEP_3)
	v_add3_u32 v9, v5, v9, 0x7fff
	v_add3_u32 v10, v8, v10, 0x7fff
	s_delay_alu instid0(VALU_DEP_2) | instskip(NEXT) | instid1(VALU_DEP_1)
	v_and_b32_e32 v9, 0xffff0000, v9
	v_dual_cndmask_b32 v5, 0x7fc00000, v9 :: v_dual_lshrrev_b32 v10, 16, v10
	v_cmp_o_f32_e32 vcc_lo, v8, v8
	s_delay_alu instid0(VALU_DEP_2) | instskip(NEXT) | instid1(VALU_DEP_1)
	v_cndmask_b32_e32 v8, 0x7fc0, v10, vcc_lo
	v_or_b32_e32 v5, v5, v8
	global_store_b32 v[6:7], v5, off
.LBB134_2963:
	s_and_b32 vcc_lo, exec_lo, s11
	s_cbranch_vccz .LBB134_2968
; %bb.2964:
	s_cmp_eq_u32 s8, 44
	s_mov_b32 s0, -1
	s_cbranch_scc0 .LBB134_2968
; %bb.2965:
	s_wait_xcnt 0x0
	s_delay_alu instid0(VALU_DEP_3) | instskip(SKIP_2) | instid1(VALU_DEP_2)
	v_cvt_f32_f64_e32 v5, v[0:1]
	v_mov_b32_e32 v8, 0xff
	s_mov_b32 s10, exec_lo
	v_bfe_u32 v9, v5, 23, 8
	s_delay_alu instid0(VALU_DEP_1)
	v_cmpx_ne_u32_e32 0xff, v9
	s_cbranch_execz .LBB134_2967
; %bb.2966:
	v_and_b32_e32 v8, 0x400000, v5
	v_and_or_b32 v9, 0x3fffff, v5, v9
	v_lshrrev_b32_e32 v5, 23, v5
	s_delay_alu instid0(VALU_DEP_3) | instskip(NEXT) | instid1(VALU_DEP_3)
	v_cmp_ne_u32_e32 vcc_lo, 0, v8
	v_cmp_ne_u32_e64 s0, 0, v9
	s_and_b32 s0, vcc_lo, s0
	s_delay_alu instid0(SALU_CYCLE_1) | instskip(NEXT) | instid1(VALU_DEP_1)
	v_cndmask_b32_e64 v8, 0, 1, s0
	v_add_nc_u32_e32 v8, v5, v8
.LBB134_2967:
	s_or_b32 exec_lo, exec_lo, s10
	s_mov_b32 s0, 0
	s_mov_b32 s10, -1
	global_store_b8 v[6:7], v8, off
.LBB134_2968:
	s_mov_b32 s11, 0
.LBB134_2969:
	s_delay_alu instid0(SALU_CYCLE_1)
	s_and_b32 vcc_lo, exec_lo, s11
	s_cbranch_vccz .LBB134_2972
; %bb.2970:
	s_cmp_eq_u32 s8, 29
	s_mov_b32 s0, -1
	s_cbranch_scc0 .LBB134_2972
; %bb.2971:
	s_wait_xcnt 0x0
	s_delay_alu instid0(VALU_DEP_3) | instskip(SKIP_2) | instid1(VALU_DEP_1)
	v_trunc_f64_e32 v[8:9], v[0:1]
	s_mov_b32 s0, 0
	s_mov_b32 s10, -1
	v_ldexp_f64 v[10:11], v[8:9], 0xffffffe0
	s_delay_alu instid0(VALU_DEP_1) | instskip(NEXT) | instid1(VALU_DEP_1)
	v_floor_f64_e32 v[10:11], v[10:11]
	v_fmamk_f64 v[8:9], v[10:11], 0xc1f00000, v[8:9]
	v_cvt_u32_f64_e32 v11, v[10:11]
	s_delay_alu instid0(VALU_DEP_2)
	v_cvt_u32_f64_e32 v10, v[8:9]
	global_store_b64 v[6:7], v[10:11], off
.LBB134_2972:
	s_mov_b32 s11, 0
.LBB134_2973:
	s_delay_alu instid0(SALU_CYCLE_1)
	s_and_b32 vcc_lo, exec_lo, s11
	s_cbranch_vccz .LBB134_2989
; %bb.2974:
	s_cmp_lt_i32 s8, 27
	s_mov_b32 s10, -1
	s_cbranch_scc1 .LBB134_2980
; %bb.2975:
	s_wait_xcnt 0x0
	s_delay_alu instid0(VALU_DEP_3)
	v_cvt_u32_f64_e32 v5, v[0:1]
	s_cmp_gt_i32 s8, 27
	s_cbranch_scc0 .LBB134_2977
; %bb.2976:
	s_mov_b32 s10, 0
	global_store_b32 v[6:7], v5, off
.LBB134_2977:
	s_and_not1_b32 vcc_lo, exec_lo, s10
	s_cbranch_vccnz .LBB134_2979
; %bb.2978:
	global_store_b16 v[6:7], v5, off
.LBB134_2979:
	s_mov_b32 s10, 0
.LBB134_2980:
	s_delay_alu instid0(SALU_CYCLE_1)
	s_and_not1_b32 vcc_lo, exec_lo, s10
	s_cbranch_vccnz .LBB134_2988
; %bb.2981:
	s_wait_xcnt 0x0
	s_delay_alu instid0(VALU_DEP_3) | instskip(SKIP_2) | instid1(VALU_DEP_2)
	v_cvt_f32_f64_e32 v5, v[0:1]
	v_mov_b32_e32 v9, 0x80
	s_mov_b32 s10, exec_lo
	v_and_b32_e32 v8, 0x7fffffff, v5
	s_delay_alu instid0(VALU_DEP_1)
	v_cmpx_gt_u32_e32 0x43800000, v8
	s_cbranch_execz .LBB134_2987
; %bb.2982:
	v_cmp_lt_u32_e32 vcc_lo, 0x3bffffff, v8
	s_mov_b32 s11, 0
                                        ; implicit-def: $vgpr8
	s_and_saveexec_b32 s12, vcc_lo
	s_delay_alu instid0(SALU_CYCLE_1)
	s_xor_b32 s12, exec_lo, s12
	s_cbranch_execz .LBB134_3321
; %bb.2983:
	v_bfe_u32 v8, v5, 20, 1
	s_mov_b32 s11, exec_lo
	s_delay_alu instid0(VALU_DEP_1) | instskip(NEXT) | instid1(VALU_DEP_1)
	v_add3_u32 v8, v5, v8, 0x487ffff
	v_lshrrev_b32_e32 v8, 20, v8
	s_and_not1_saveexec_b32 s12, s12
	s_cbranch_execnz .LBB134_3322
.LBB134_2984:
	s_or_b32 exec_lo, exec_lo, s12
	v_mov_b32_e32 v9, 0
	s_and_saveexec_b32 s12, s11
.LBB134_2985:
	v_lshrrev_b32_e32 v5, 24, v5
	s_delay_alu instid0(VALU_DEP_1)
	v_and_or_b32 v9, 0x80, v5, v8
.LBB134_2986:
	s_or_b32 exec_lo, exec_lo, s12
.LBB134_2987:
	s_delay_alu instid0(SALU_CYCLE_1)
	s_or_b32 exec_lo, exec_lo, s10
	global_store_b8 v[6:7], v9, off
.LBB134_2988:
	s_mov_b32 s10, -1
.LBB134_2989:
	s_mov_b32 s11, 0
.LBB134_2990:
	s_delay_alu instid0(SALU_CYCLE_1)
	s_and_b32 vcc_lo, exec_lo, s11
	s_cbranch_vccz .LBB134_3030
; %bb.2991:
	s_cmp_gt_i32 s8, 22
	s_mov_b32 s9, -1
	s_cbranch_scc0 .LBB134_3023
; %bb.2992:
	s_cmp_lt_i32 s8, 24
	s_cbranch_scc1 .LBB134_3012
; %bb.2993:
	s_cmp_gt_i32 s8, 24
	s_cbranch_scc0 .LBB134_3001
; %bb.2994:
	s_wait_xcnt 0x0
	s_delay_alu instid0(VALU_DEP_3) | instskip(SKIP_2) | instid1(VALU_DEP_2)
	v_cvt_f32_f64_e32 v5, v[0:1]
	v_mov_b32_e32 v9, 0x80
	s_mov_b32 s9, exec_lo
	v_and_b32_e32 v8, 0x7fffffff, v5
	s_delay_alu instid0(VALU_DEP_1)
	v_cmpx_gt_u32_e32 0x47800000, v8
	s_cbranch_execz .LBB134_3000
; %bb.2995:
	v_cmp_lt_u32_e32 vcc_lo, 0x37ffffff, v8
	s_mov_b32 s10, 0
                                        ; implicit-def: $vgpr8
	s_and_saveexec_b32 s11, vcc_lo
	s_delay_alu instid0(SALU_CYCLE_1)
	s_xor_b32 s11, exec_lo, s11
	s_cbranch_execz .LBB134_3324
; %bb.2996:
	v_bfe_u32 v8, v5, 21, 1
	s_mov_b32 s10, exec_lo
	s_delay_alu instid0(VALU_DEP_1) | instskip(NEXT) | instid1(VALU_DEP_1)
	v_add3_u32 v8, v5, v8, 0x88fffff
	v_lshrrev_b32_e32 v8, 21, v8
	s_and_not1_saveexec_b32 s11, s11
	s_cbranch_execnz .LBB134_3325
.LBB134_2997:
	s_or_b32 exec_lo, exec_lo, s11
	v_mov_b32_e32 v9, 0
	s_and_saveexec_b32 s11, s10
.LBB134_2998:
	v_lshrrev_b32_e32 v5, 24, v5
	s_delay_alu instid0(VALU_DEP_1)
	v_and_or_b32 v9, 0x80, v5, v8
.LBB134_2999:
	s_or_b32 exec_lo, exec_lo, s11
.LBB134_3000:
	s_delay_alu instid0(SALU_CYCLE_1)
	s_or_b32 exec_lo, exec_lo, s9
	s_mov_b32 s9, 0
	global_store_b8 v[6:7], v9, off
.LBB134_3001:
	s_and_b32 vcc_lo, exec_lo, s9
	s_cbranch_vccz .LBB134_3011
; %bb.3002:
	s_wait_xcnt 0x0
	s_delay_alu instid0(VALU_DEP_3) | instskip(SKIP_1) | instid1(VALU_DEP_1)
	v_cvt_f32_f64_e32 v5, v[0:1]
	s_mov_b32 s9, exec_lo
                                        ; implicit-def: $vgpr8
	v_and_b32_e32 v9, 0x7fffffff, v5
	s_delay_alu instid0(VALU_DEP_1)
	v_cmpx_gt_u32_e32 0x43f00000, v9
	s_xor_b32 s9, exec_lo, s9
	s_cbranch_execz .LBB134_3008
; %bb.3003:
	s_mov_b32 s10, exec_lo
                                        ; implicit-def: $vgpr8
	v_cmpx_lt_u32_e32 0x3c7fffff, v9
	s_xor_b32 s10, exec_lo, s10
; %bb.3004:
	v_bfe_u32 v8, v5, 20, 1
	s_delay_alu instid0(VALU_DEP_1) | instskip(NEXT) | instid1(VALU_DEP_1)
	v_add3_u32 v8, v5, v8, 0x407ffff
	v_and_b32_e32 v9, 0xff00000, v8
	v_lshrrev_b32_e32 v8, 20, v8
	s_delay_alu instid0(VALU_DEP_2) | instskip(NEXT) | instid1(VALU_DEP_2)
	v_cmp_ne_u32_e32 vcc_lo, 0x7f00000, v9
	v_cndmask_b32_e32 v8, 0x7e, v8, vcc_lo
; %bb.3005:
	s_and_not1_saveexec_b32 s10, s10
; %bb.3006:
	v_add_f32_e64 v8, 0x46800000, |v5|
; %bb.3007:
	s_or_b32 exec_lo, exec_lo, s10
                                        ; implicit-def: $vgpr9
.LBB134_3008:
	s_and_not1_saveexec_b32 s9, s9
; %bb.3009:
	v_mov_b32_e32 v8, 0x7f
	v_cmp_lt_u32_e32 vcc_lo, 0x7f800000, v9
	s_delay_alu instid0(VALU_DEP_2)
	v_cndmask_b32_e32 v8, 0x7e, v8, vcc_lo
; %bb.3010:
	s_or_b32 exec_lo, exec_lo, s9
	v_lshrrev_b32_e32 v5, 24, v5
	s_delay_alu instid0(VALU_DEP_1)
	v_and_or_b32 v5, 0x80, v5, v8
	global_store_b8 v[6:7], v5, off
.LBB134_3011:
	s_mov_b32 s9, 0
.LBB134_3012:
	s_delay_alu instid0(SALU_CYCLE_1)
	s_and_not1_b32 vcc_lo, exec_lo, s9
	s_cbranch_vccnz .LBB134_3022
; %bb.3013:
	s_wait_xcnt 0x0
	s_delay_alu instid0(VALU_DEP_3) | instskip(SKIP_1) | instid1(VALU_DEP_1)
	v_cvt_f32_f64_e32 v5, v[0:1]
	s_mov_b32 s9, exec_lo
                                        ; implicit-def: $vgpr8
	v_and_b32_e32 v9, 0x7fffffff, v5
	s_delay_alu instid0(VALU_DEP_1)
	v_cmpx_gt_u32_e32 0x47800000, v9
	s_xor_b32 s9, exec_lo, s9
	s_cbranch_execz .LBB134_3019
; %bb.3014:
	s_mov_b32 s10, exec_lo
                                        ; implicit-def: $vgpr8
	v_cmpx_lt_u32_e32 0x387fffff, v9
	s_xor_b32 s10, exec_lo, s10
; %bb.3015:
	v_bfe_u32 v8, v5, 21, 1
	s_delay_alu instid0(VALU_DEP_1) | instskip(NEXT) | instid1(VALU_DEP_1)
	v_add3_u32 v8, v5, v8, 0x80fffff
	v_lshrrev_b32_e32 v8, 21, v8
; %bb.3016:
	s_and_not1_saveexec_b32 s10, s10
; %bb.3017:
	v_add_f32_e64 v8, 0x43000000, |v5|
; %bb.3018:
	s_or_b32 exec_lo, exec_lo, s10
                                        ; implicit-def: $vgpr9
.LBB134_3019:
	s_and_not1_saveexec_b32 s9, s9
; %bb.3020:
	v_mov_b32_e32 v8, 0x7f
	v_cmp_lt_u32_e32 vcc_lo, 0x7f800000, v9
	s_delay_alu instid0(VALU_DEP_2)
	v_cndmask_b32_e32 v8, 0x7c, v8, vcc_lo
; %bb.3021:
	s_or_b32 exec_lo, exec_lo, s9
	v_lshrrev_b32_e32 v5, 24, v5
	s_delay_alu instid0(VALU_DEP_1)
	v_and_or_b32 v5, 0x80, v5, v8
	global_store_b8 v[6:7], v5, off
.LBB134_3022:
	s_mov_b32 s9, 0
	s_mov_b32 s10, -1
.LBB134_3023:
	s_and_not1_b32 vcc_lo, exec_lo, s9
	s_mov_b32 s9, 0
	s_cbranch_vccnz .LBB134_3030
; %bb.3024:
	s_cmp_gt_i32 s8, 14
	s_mov_b32 s9, -1
	s_cbranch_scc0 .LBB134_3028
; %bb.3025:
	s_cmp_eq_u32 s8, 15
	s_mov_b32 s0, -1
	s_cbranch_scc0 .LBB134_3027
; %bb.3026:
	s_wait_xcnt 0x0
	s_delay_alu instid0(VALU_DEP_3) | instskip(SKIP_2) | instid1(VALU_DEP_1)
	v_cvt_f32_f64_e32 v5, v[0:1]
	s_mov_b32 s0, 0
	s_mov_b32 s10, -1
	v_bfe_u32 v8, v5, 16, 1
	v_cmp_o_f32_e32 vcc_lo, v5, v5
	s_delay_alu instid0(VALU_DEP_2) | instskip(NEXT) | instid1(VALU_DEP_1)
	v_add3_u32 v8, v5, v8, 0x7fff
	v_lshrrev_b32_e32 v8, 16, v8
	s_delay_alu instid0(VALU_DEP_1)
	v_cndmask_b32_e32 v5, 0x7fc0, v8, vcc_lo
	global_store_b16 v[6:7], v5, off
.LBB134_3027:
	s_mov_b32 s9, 0
.LBB134_3028:
	s_delay_alu instid0(SALU_CYCLE_1)
	s_and_b32 vcc_lo, exec_lo, s9
	s_mov_b32 s9, 0
	s_cbranch_vccz .LBB134_3030
; %bb.3029:
	s_cmp_lg_u32 s8, 11
	s_mov_b32 s9, -1
	s_cselect_b32 s0, -1, 0
.LBB134_3030:
	s_delay_alu instid0(SALU_CYCLE_1)
	s_and_b32 vcc_lo, exec_lo, s0
	s_cbranch_vccnz .LBB134_3323
; %bb.3031:
	s_and_not1_b32 vcc_lo, exec_lo, s9
	s_cbranch_vccnz .LBB134_3033
.LBB134_3032:
	s_delay_alu instid0(VALU_DEP_3) | instskip(NEXT) | instid1(VALU_DEP_3)
	v_cmp_neq_f64_e32 vcc_lo, 0, v[0:1]
	v_cmp_neq_f64_e64 s0, 0, v[2:3]
	s_mov_b32 s10, -1
	s_or_b32 s0, vcc_lo, s0
	s_wait_xcnt 0x0
	v_cndmask_b32_e64 v5, 0, 1, s0
	global_store_b8 v[6:7], v5, off
.LBB134_3033:
	s_mov_b32 s0, 0
	s_branch .LBB134_3035
.LBB134_3034:
	s_mov_b32 s0, -1
	s_mov_b32 s10, 0
.LBB134_3035:
	s_and_b32 vcc_lo, exec_lo, s0
	s_cbranch_vccz .LBB134_3074
; %bb.3036:
	s_and_b32 s0, 0xffff, s21
	s_mov_b32 s8, -1
	s_cmp_lt_i32 s0, 5
	s_cbranch_scc1 .LBB134_3057
; %bb.3037:
	s_cmp_lt_i32 s0, 8
	s_cbranch_scc1 .LBB134_3047
; %bb.3038:
	s_cmp_lt_i32 s0, 9
	s_cbranch_scc1 .LBB134_3044
; %bb.3039:
	s_cmp_gt_i32 s0, 9
	s_cbranch_scc0 .LBB134_3041
; %bb.3040:
	s_mov_b32 s8, 0
	global_store_b128 v[6:7], v[0:3], off
.LBB134_3041:
	s_and_not1_b32 vcc_lo, exec_lo, s8
	s_cbranch_vccnz .LBB134_3043
; %bb.3042:
	s_wait_xcnt 0x0
	s_delay_alu instid0(VALU_DEP_3) | instskip(NEXT) | instid1(VALU_DEP_3)
	v_cvt_f32_f64_e32 v8, v[0:1]
	v_cvt_f32_f64_e32 v9, v[2:3]
	global_store_b64 v[6:7], v[8:9], off
.LBB134_3043:
	s_mov_b32 s8, 0
.LBB134_3044:
	s_delay_alu instid0(SALU_CYCLE_1)
	s_and_not1_b32 vcc_lo, exec_lo, s8
	s_cbranch_vccnz .LBB134_3046
; %bb.3045:
	s_wait_xcnt 0x0
	s_delay_alu instid0(VALU_DEP_3) | instskip(NEXT) | instid1(VALU_DEP_3)
	v_and_or_b32 v5, 0x1ff, v1, v0
	v_and_or_b32 v2, 0x1ff, v3, v2
	v_dual_lshrrev_b32 v8, 8, v1 :: v_dual_lshrrev_b32 v11, 8, v3
	v_bfe_u32 v9, v1, 20, 11
	s_delay_alu instid0(VALU_DEP_4) | instskip(SKIP_2) | instid1(VALU_DEP_4)
	v_cmp_ne_u32_e32 vcc_lo, 0, v5
	v_bfe_u32 v10, v3, 20, 11
	v_dual_lshrrev_b32 v33, 16, v1 :: v_dual_lshrrev_b32 v3, 16, v3
	v_sub_nc_u32_e32 v12, 0x3f1, v9
	v_cndmask_b32_e64 v5, 0, 1, vcc_lo
	v_cmp_ne_u32_e32 vcc_lo, 0, v2
	v_add_nc_u32_e32 v9, 0xfffffc10, v9
	s_delay_alu instid0(VALU_DEP_3) | instskip(SKIP_1) | instid1(VALU_DEP_1)
	v_and_or_b32 v5, 0xffe, v8, v5
	v_cndmask_b32_e64 v2, 0, 1, vcc_lo
	v_and_or_b32 v2, 0xffe, v11, v2
	v_med3_i32 v11, v12, 0, 13
	s_delay_alu instid0(VALU_DEP_4) | instskip(NEXT) | instid1(VALU_DEP_3)
	v_or_b32_e32 v12, 0x1000, v5
	v_or_b32_e32 v13, 0x1000, v2
	s_delay_alu instid0(VALU_DEP_2) | instskip(NEXT) | instid1(VALU_DEP_1)
	v_lshrrev_b32_e32 v14, v11, v12
	v_lshlrev_b32_e32 v11, v11, v14
	s_delay_alu instid0(VALU_DEP_1) | instskip(SKIP_2) | instid1(VALU_DEP_1)
	v_cmp_ne_u32_e32 vcc_lo, v11, v12
	v_lshl_or_b32 v12, v9, 12, v5
	v_cndmask_b32_e64 v11, 0, 1, vcc_lo
	v_or_b32_e32 v11, v14, v11
	v_sub_nc_u32_e32 v8, 0x3f1, v10
	v_add_nc_u32_e32 v10, 0xfffffc10, v10
	s_delay_alu instid0(VALU_DEP_2) | instskip(NEXT) | instid1(VALU_DEP_1)
	v_med3_i32 v8, v8, 0, 13
	v_lshrrev_b32_e32 v15, v8, v13
	s_delay_alu instid0(VALU_DEP_1) | instskip(NEXT) | instid1(VALU_DEP_1)
	v_lshlrev_b32_e32 v8, v8, v15
	v_cmp_ne_u32_e32 vcc_lo, v8, v13
	v_lshl_or_b32 v13, v10, 12, v2
	v_cndmask_b32_e64 v8, 0, 1, vcc_lo
	v_cmp_gt_i32_e32 vcc_lo, 1, v9
	s_delay_alu instid0(VALU_DEP_2) | instskip(SKIP_1) | instid1(VALU_DEP_2)
	v_dual_cndmask_b32 v11, v12, v11, vcc_lo :: v_dual_bitop2_b32 v8, v15, v8 bitop3:0x54
	v_cmp_gt_i32_e32 vcc_lo, 1, v10
	v_dual_lshrrev_b32 v11, 2, v11 :: v_dual_bitop2_b32 v12, 7, v11 bitop3:0x40
	s_delay_alu instid0(VALU_DEP_3) | instskip(NEXT) | instid1(VALU_DEP_1)
	v_cndmask_b32_e32 v8, v13, v8, vcc_lo
	v_dual_lshrrev_b32 v8, 2, v8 :: v_dual_bitop2_b32 v13, 7, v8 bitop3:0x40
	s_delay_alu instid0(VALU_DEP_3) | instskip(SKIP_1) | instid1(VALU_DEP_3)
	v_cmp_lt_i32_e32 vcc_lo, 5, v12
	v_cndmask_b32_e64 v15, 0, 1, vcc_lo
	v_cmp_lt_i32_e32 vcc_lo, 5, v13
	v_cndmask_b32_e64 v32, 0, 1, vcc_lo
	v_cmp_eq_u32_e32 vcc_lo, 3, v13
	v_cndmask_b32_e64 v13, 0, 1, vcc_lo
	v_cmp_eq_u32_e32 vcc_lo, 3, v12
	v_cndmask_b32_e64 v12, 0, 1, vcc_lo
	v_cmp_ne_u32_e32 vcc_lo, 0, v5
	s_delay_alu instid0(VALU_DEP_2) | instskip(NEXT) | instid1(VALU_DEP_1)
	v_or_b32_e32 v12, v12, v15
	v_dual_mov_b32 v14, 0x7e00 :: v_dual_add_nc_u32 v11, v11, v12
	s_delay_alu instid0(VALU_DEP_1)
	v_cndmask_b32_e32 v5, 0x7c00, v14, vcc_lo
	v_cmp_ne_u32_e32 vcc_lo, 0, v2
	v_and_b32_e32 v12, 0x8000, v33
	v_cndmask_b32_e32 v2, 0x7c00, v14, vcc_lo
	v_or_b32_e32 v13, v13, v32
	v_cmp_gt_i32_e32 vcc_lo, 31, v10
	s_delay_alu instid0(VALU_DEP_2) | instskip(NEXT) | instid1(VALU_DEP_1)
	v_add_nc_u32_e32 v8, v8, v13
	v_cndmask_b32_e32 v8, 0x7c00, v8, vcc_lo
	v_cmp_gt_i32_e32 vcc_lo, 31, v9
	v_cndmask_b32_e32 v11, 0x7c00, v11, vcc_lo
	v_cmp_eq_u32_e32 vcc_lo, 0x40f, v10
	s_delay_alu instid0(VALU_DEP_4) | instskip(SKIP_1) | instid1(VALU_DEP_2)
	v_cndmask_b32_e32 v2, v8, v2, vcc_lo
	v_cmp_eq_u32_e32 vcc_lo, 0x40f, v9
	v_and_or_b32 v2, 0x8000, v3, v2
	v_cndmask_b32_e32 v5, v11, v5, vcc_lo
	s_delay_alu instid0(VALU_DEP_1) | instskip(NEXT) | instid1(VALU_DEP_1)
	v_bitop3_b32 v3, v12, 0xffff, v5 bitop3:0xc8
	v_lshl_or_b32 v2, v2, 16, v3
	global_store_b32 v[6:7], v2, off
.LBB134_3046:
	s_mov_b32 s8, 0
.LBB134_3047:
	s_delay_alu instid0(SALU_CYCLE_1)
	s_and_not1_b32 vcc_lo, exec_lo, s8
	s_cbranch_vccnz .LBB134_3056
; %bb.3048:
	s_cmp_lt_i32 s0, 6
	s_mov_b32 s8, -1
	s_cbranch_scc1 .LBB134_3054
; %bb.3049:
	s_cmp_gt_i32 s0, 6
	s_cbranch_scc0 .LBB134_3051
; %bb.3050:
	s_mov_b32 s8, 0
	global_store_b64 v[6:7], v[0:1], off
.LBB134_3051:
	s_and_not1_b32 vcc_lo, exec_lo, s8
	s_cbranch_vccnz .LBB134_3053
; %bb.3052:
	s_wait_xcnt 0x0
	s_delay_alu instid0(VALU_DEP_3)
	v_cvt_f32_f64_e32 v2, v[0:1]
	global_store_b32 v[6:7], v2, off
.LBB134_3053:
	s_mov_b32 s8, 0
.LBB134_3054:
	s_delay_alu instid0(SALU_CYCLE_1)
	s_and_not1_b32 vcc_lo, exec_lo, s8
	s_cbranch_vccnz .LBB134_3056
; %bb.3055:
	s_wait_xcnt 0x0
	s_delay_alu instid0(VALU_DEP_3) | instskip(SKIP_2) | instid1(VALU_DEP_3)
	v_and_or_b32 v2, 0x1ff, v1, v0
	v_lshrrev_b32_e32 v3, 8, v1
	v_bfe_u32 v5, v1, 20, 11
	v_cmp_ne_u32_e32 vcc_lo, 0, v2
	s_delay_alu instid0(VALU_DEP_2) | instskip(SKIP_2) | instid1(VALU_DEP_1)
	v_sub_nc_u32_e32 v8, 0x3f1, v5
	v_add_nc_u32_e32 v5, 0xfffffc10, v5
	v_cndmask_b32_e64 v2, 0, 1, vcc_lo
	v_and_or_b32 v2, 0xffe, v3, v2
	s_delay_alu instid0(VALU_DEP_4) | instskip(NEXT) | instid1(VALU_DEP_2)
	v_med3_i32 v3, v8, 0, 13
	v_or_b32_e32 v8, 0x1000, v2
	s_delay_alu instid0(VALU_DEP_1) | instskip(NEXT) | instid1(VALU_DEP_1)
	v_lshrrev_b32_e32 v9, v3, v8
	v_lshlrev_b32_e32 v3, v3, v9
	s_delay_alu instid0(VALU_DEP_1) | instskip(SKIP_3) | instid1(VALU_DEP_2)
	v_cmp_ne_u32_e32 vcc_lo, v3, v8
	v_lshl_or_b32 v8, v5, 12, v2
	v_cndmask_b32_e64 v3, 0, 1, vcc_lo
	v_cmp_gt_i32_e32 vcc_lo, 1, v5
	v_or_b32_e32 v3, v9, v3
	s_delay_alu instid0(VALU_DEP_1) | instskip(NEXT) | instid1(VALU_DEP_1)
	v_cndmask_b32_e32 v3, v8, v3, vcc_lo
	v_dual_lshrrev_b32 v3, 2, v3 :: v_dual_bitop2_b32 v8, 7, v3 bitop3:0x40
	s_delay_alu instid0(VALU_DEP_1) | instskip(SKIP_4) | instid1(VALU_DEP_2)
	v_cmp_lt_i32_e32 vcc_lo, 5, v8
	v_cndmask_b32_e64 v9, 0, 1, vcc_lo
	v_cmp_eq_u32_e32 vcc_lo, 3, v8
	v_cndmask_b32_e64 v8, 0, 1, vcc_lo
	v_cmp_ne_u32_e32 vcc_lo, 0, v2
	v_or_b32_e32 v8, v8, v9
	v_mov_b32_e32 v9, 0x7e00
	s_delay_alu instid0(VALU_DEP_1) | instskip(SKIP_1) | instid1(VALU_DEP_2)
	v_dual_cndmask_b32 v2, 0x7c00, v9 :: v_dual_add_nc_u32 v3, v3, v8
	v_cmp_gt_i32_e32 vcc_lo, 31, v5
	v_cndmask_b32_e32 v3, 0x7c00, v3, vcc_lo
	v_cmp_eq_u32_e32 vcc_lo, 0x40f, v5
	s_delay_alu instid0(VALU_DEP_2) | instskip(NEXT) | instid1(VALU_DEP_1)
	v_dual_cndmask_b32 v2, v3, v2 :: v_dual_lshrrev_b32 v3, 16, v1
	v_and_or_b32 v2, 0x8000, v3, v2
	global_store_b16 v[6:7], v2, off
.LBB134_3056:
	s_mov_b32 s8, 0
.LBB134_3057:
	s_delay_alu instid0(SALU_CYCLE_1)
	s_and_not1_b32 vcc_lo, exec_lo, s8
	s_cbranch_vccnz .LBB134_3073
; %bb.3058:
	s_cmp_lt_i32 s0, 2
	s_mov_b32 s8, -1
	s_cbranch_scc1 .LBB134_3068
; %bb.3059:
	s_cmp_lt_i32 s0, 3
	s_cbranch_scc1 .LBB134_3065
; %bb.3060:
	s_cmp_gt_i32 s0, 3
	s_cbranch_scc0 .LBB134_3062
; %bb.3061:
	s_wait_xcnt 0x0
	s_delay_alu instid0(VALU_DEP_3) | instskip(SKIP_1) | instid1(VALU_DEP_1)
	v_trunc_f64_e32 v[2:3], v[0:1]
	s_mov_b32 s8, 0
	v_ldexp_f64 v[8:9], v[2:3], 0xffffffe0
	s_delay_alu instid0(VALU_DEP_1) | instskip(NEXT) | instid1(VALU_DEP_1)
	v_floor_f64_e32 v[8:9], v[8:9]
	v_fmamk_f64 v[2:3], v[8:9], 0xc1f00000, v[2:3]
	v_cvt_i32_f64_e32 v9, v[8:9]
	s_delay_alu instid0(VALU_DEP_2)
	v_cvt_u32_f64_e32 v8, v[2:3]
	global_store_b64 v[6:7], v[8:9], off
.LBB134_3062:
	s_and_not1_b32 vcc_lo, exec_lo, s8
	s_cbranch_vccnz .LBB134_3064
; %bb.3063:
	s_wait_xcnt 0x0
	s_delay_alu instid0(VALU_DEP_3)
	v_cvt_i32_f64_e32 v2, v[0:1]
	global_store_b32 v[6:7], v2, off
.LBB134_3064:
	s_mov_b32 s8, 0
.LBB134_3065:
	s_delay_alu instid0(SALU_CYCLE_1)
	s_and_not1_b32 vcc_lo, exec_lo, s8
	s_cbranch_vccnz .LBB134_3067
; %bb.3066:
	s_wait_xcnt 0x0
	s_delay_alu instid0(VALU_DEP_3)
	v_cvt_i32_f64_e32 v2, v[0:1]
	global_store_b16 v[6:7], v2, off
.LBB134_3067:
	s_mov_b32 s8, 0
.LBB134_3068:
	s_delay_alu instid0(SALU_CYCLE_1)
	s_and_not1_b32 vcc_lo, exec_lo, s8
	s_cbranch_vccnz .LBB134_3073
; %bb.3069:
	s_cmp_gt_i32 s0, 0
	s_mov_b32 s0, -1
	s_cbranch_scc0 .LBB134_3071
; %bb.3070:
	s_wait_xcnt 0x0
	s_delay_alu instid0(VALU_DEP_3)
	v_cvt_i32_f64_e32 v2, v[0:1]
	s_mov_b32 s0, 0
	global_store_b8 v[6:7], v2, off
.LBB134_3071:
	s_and_not1_b32 vcc_lo, exec_lo, s0
	s_cbranch_vccnz .LBB134_3073
; %bb.3072:
	s_wait_xcnt 0x0
	s_delay_alu instid0(VALU_DEP_3) | instskip(NEXT) | instid1(VALU_DEP_1)
	v_trunc_f64_e32 v[0:1], v[0:1]
	v_ldexp_f64 v[2:3], v[0:1], 0xffffffe0
	s_delay_alu instid0(VALU_DEP_1) | instskip(NEXT) | instid1(VALU_DEP_1)
	v_floor_f64_e32 v[2:3], v[2:3]
	v_fmamk_f64 v[0:1], v[2:3], 0xc1f00000, v[0:1]
	s_delay_alu instid0(VALU_DEP_1)
	v_cvt_u32_f64_e32 v0, v[0:1]
	global_store_b8 v[6:7], v0, off
.LBB134_3073:
	s_mov_b32 s10, -1
.LBB134_3074:
	s_delay_alu instid0(SALU_CYCLE_1)
	s_and_not1_b32 vcc_lo, exec_lo, s10
	s_cbranch_vccnz .LBB134_3270
; %bb.3075:
	s_wait_xcnt 0x0
	v_dual_mul_f64 v[6:7], s[4:5], v[18:19] :: v_dual_add_nc_u32 v4, s1, v4
	v_mul_f64_e32 v[0:1], s[6:7], v[18:19]
	s_cmp_lt_i32 s21, 11
	s_delay_alu instid0(VALU_DEP_2) | instskip(NEXT) | instid1(VALU_DEP_3)
	v_ashrrev_i32_e32 v5, 31, v4
	v_fmac_f64_e32 v[6:7], s[6:7], v[16:17]
	s_delay_alu instid0(VALU_DEP_3) | instskip(NEXT) | instid1(VALU_DEP_2)
	v_fma_f64 v[0:1], s[4:5], v[16:17], -v[0:1]
	v_mul_f64_e32 v[8:9], v[6:7], v[22:23]
	s_delay_alu instid0(VALU_DEP_2) | instskip(NEXT) | instid1(VALU_DEP_2)
	v_mul_f64_e32 v[2:3], v[0:1], v[22:23]
	v_fma_f64 v[0:1], v[0:1], v[20:21], -v[8:9]
	s_delay_alu instid0(VALU_DEP_2)
	v_fmac_f64_e32 v[2:3], v[6:7], v[20:21]
	v_add_nc_u64_e32 v[6:7], s[2:3], v[4:5]
	s_cbranch_scc1 .LBB134_3153
; %bb.3076:
	s_and_b32 s8, 0xffff, s21
	s_mov_b32 s11, -1
	s_mov_b32 s9, 0
	s_cmp_gt_i32 s8, 25
	s_mov_b32 s10, 0
	s_mov_b32 s0, 0
	s_cbranch_scc0 .LBB134_3109
; %bb.3077:
	s_cmp_gt_i32 s8, 28
	s_cbranch_scc0 .LBB134_3092
; %bb.3078:
	s_cmp_gt_i32 s8, 43
	;; [unrolled: 3-line block ×3, first 2 shown]
	s_cbranch_scc0 .LBB134_3082
; %bb.3080:
	s_mov_b32 s0, -1
	s_mov_b32 s11, 0
	s_cmp_eq_u32 s8, 46
	s_cbranch_scc0 .LBB134_3082
; %bb.3081:
	s_delay_alu instid0(VALU_DEP_2) | instskip(NEXT) | instid1(VALU_DEP_4)
	v_cvt_f32_f64_e32 v5, v[2:3]
	v_cvt_f32_f64_e32 v8, v[0:1]
	s_mov_b32 s0, 0
	s_mov_b32 s10, -1
	s_delay_alu instid0(VALU_DEP_2) | instskip(NEXT) | instid1(VALU_DEP_2)
	v_bfe_u32 v9, v5, 16, 1
	v_bfe_u32 v10, v8, 16, 1
	v_cmp_o_f32_e32 vcc_lo, v5, v5
	s_delay_alu instid0(VALU_DEP_3) | instskip(NEXT) | instid1(VALU_DEP_3)
	v_add3_u32 v9, v5, v9, 0x7fff
	v_add3_u32 v10, v8, v10, 0x7fff
	s_delay_alu instid0(VALU_DEP_2) | instskip(NEXT) | instid1(VALU_DEP_1)
	v_and_b32_e32 v9, 0xffff0000, v9
	v_dual_cndmask_b32 v5, 0x7fc00000, v9 :: v_dual_lshrrev_b32 v10, 16, v10
	v_cmp_o_f32_e32 vcc_lo, v8, v8
	s_delay_alu instid0(VALU_DEP_2) | instskip(NEXT) | instid1(VALU_DEP_1)
	v_cndmask_b32_e32 v8, 0x7fc0, v10, vcc_lo
	v_or_b32_e32 v5, v5, v8
	global_store_b32 v[6:7], v5, off
.LBB134_3082:
	s_and_b32 vcc_lo, exec_lo, s11
	s_cbranch_vccz .LBB134_3087
; %bb.3083:
	s_cmp_eq_u32 s8, 44
	s_mov_b32 s0, -1
	s_cbranch_scc0 .LBB134_3087
; %bb.3084:
	s_wait_xcnt 0x0
	s_delay_alu instid0(VALU_DEP_3) | instskip(SKIP_2) | instid1(VALU_DEP_2)
	v_cvt_f32_f64_e32 v5, v[0:1]
	v_mov_b32_e32 v8, 0xff
	s_mov_b32 s10, exec_lo
	v_bfe_u32 v9, v5, 23, 8
	s_delay_alu instid0(VALU_DEP_1)
	v_cmpx_ne_u32_e32 0xff, v9
	s_cbranch_execz .LBB134_3086
; %bb.3085:
	v_and_b32_e32 v8, 0x400000, v5
	v_and_or_b32 v9, 0x3fffff, v5, v9
	v_lshrrev_b32_e32 v5, 23, v5
	s_delay_alu instid0(VALU_DEP_3) | instskip(NEXT) | instid1(VALU_DEP_3)
	v_cmp_ne_u32_e32 vcc_lo, 0, v8
	v_cmp_ne_u32_e64 s0, 0, v9
	s_and_b32 s0, vcc_lo, s0
	s_delay_alu instid0(SALU_CYCLE_1) | instskip(NEXT) | instid1(VALU_DEP_1)
	v_cndmask_b32_e64 v8, 0, 1, s0
	v_add_nc_u32_e32 v8, v5, v8
.LBB134_3086:
	s_or_b32 exec_lo, exec_lo, s10
	s_mov_b32 s0, 0
	s_mov_b32 s10, -1
	global_store_b8 v[6:7], v8, off
.LBB134_3087:
	s_mov_b32 s11, 0
.LBB134_3088:
	s_delay_alu instid0(SALU_CYCLE_1)
	s_and_b32 vcc_lo, exec_lo, s11
	s_cbranch_vccz .LBB134_3091
; %bb.3089:
	s_cmp_eq_u32 s8, 29
	s_mov_b32 s0, -1
	s_cbranch_scc0 .LBB134_3091
; %bb.3090:
	s_wait_xcnt 0x0
	s_delay_alu instid0(VALU_DEP_3) | instskip(SKIP_2) | instid1(VALU_DEP_1)
	v_trunc_f64_e32 v[8:9], v[0:1]
	s_mov_b32 s0, 0
	s_mov_b32 s10, -1
	v_ldexp_f64 v[10:11], v[8:9], 0xffffffe0
	s_delay_alu instid0(VALU_DEP_1) | instskip(NEXT) | instid1(VALU_DEP_1)
	v_floor_f64_e32 v[10:11], v[10:11]
	v_fmamk_f64 v[8:9], v[10:11], 0xc1f00000, v[8:9]
	v_cvt_u32_f64_e32 v11, v[10:11]
	s_delay_alu instid0(VALU_DEP_2)
	v_cvt_u32_f64_e32 v10, v[8:9]
	global_store_b64 v[6:7], v[10:11], off
.LBB134_3091:
	s_mov_b32 s11, 0
.LBB134_3092:
	s_delay_alu instid0(SALU_CYCLE_1)
	s_and_b32 vcc_lo, exec_lo, s11
	s_cbranch_vccz .LBB134_3108
; %bb.3093:
	s_cmp_lt_i32 s8, 27
	s_mov_b32 s10, -1
	s_cbranch_scc1 .LBB134_3099
; %bb.3094:
	s_wait_xcnt 0x0
	s_delay_alu instid0(VALU_DEP_3)
	v_cvt_u32_f64_e32 v5, v[0:1]
	s_cmp_gt_i32 s8, 27
	s_cbranch_scc0 .LBB134_3096
; %bb.3095:
	s_mov_b32 s10, 0
	global_store_b32 v[6:7], v5, off
.LBB134_3096:
	s_and_not1_b32 vcc_lo, exec_lo, s10
	s_cbranch_vccnz .LBB134_3098
; %bb.3097:
	global_store_b16 v[6:7], v5, off
.LBB134_3098:
	s_mov_b32 s10, 0
.LBB134_3099:
	s_delay_alu instid0(SALU_CYCLE_1)
	s_and_not1_b32 vcc_lo, exec_lo, s10
	s_cbranch_vccnz .LBB134_3107
; %bb.3100:
	s_wait_xcnt 0x0
	s_delay_alu instid0(VALU_DEP_3) | instskip(SKIP_2) | instid1(VALU_DEP_2)
	v_cvt_f32_f64_e32 v5, v[0:1]
	v_mov_b32_e32 v9, 0x80
	s_mov_b32 s10, exec_lo
	v_and_b32_e32 v8, 0x7fffffff, v5
	s_delay_alu instid0(VALU_DEP_1)
	v_cmpx_gt_u32_e32 0x43800000, v8
	s_cbranch_execz .LBB134_3106
; %bb.3101:
	v_cmp_lt_u32_e32 vcc_lo, 0x3bffffff, v8
	s_mov_b32 s11, 0
                                        ; implicit-def: $vgpr8
	s_and_saveexec_b32 s12, vcc_lo
	s_delay_alu instid0(SALU_CYCLE_1)
	s_xor_b32 s12, exec_lo, s12
	s_cbranch_execz .LBB134_3326
; %bb.3102:
	v_bfe_u32 v8, v5, 20, 1
	s_mov_b32 s11, exec_lo
	s_delay_alu instid0(VALU_DEP_1) | instskip(NEXT) | instid1(VALU_DEP_1)
	v_add3_u32 v8, v5, v8, 0x487ffff
	v_lshrrev_b32_e32 v8, 20, v8
	s_and_not1_saveexec_b32 s12, s12
	s_cbranch_execnz .LBB134_3327
.LBB134_3103:
	s_or_b32 exec_lo, exec_lo, s12
	v_mov_b32_e32 v9, 0
	s_and_saveexec_b32 s12, s11
.LBB134_3104:
	v_lshrrev_b32_e32 v5, 24, v5
	s_delay_alu instid0(VALU_DEP_1)
	v_and_or_b32 v9, 0x80, v5, v8
.LBB134_3105:
	s_or_b32 exec_lo, exec_lo, s12
.LBB134_3106:
	s_delay_alu instid0(SALU_CYCLE_1)
	s_or_b32 exec_lo, exec_lo, s10
	global_store_b8 v[6:7], v9, off
.LBB134_3107:
	s_mov_b32 s10, -1
.LBB134_3108:
	s_mov_b32 s11, 0
.LBB134_3109:
	s_delay_alu instid0(SALU_CYCLE_1)
	s_and_b32 vcc_lo, exec_lo, s11
	s_cbranch_vccz .LBB134_3149
; %bb.3110:
	s_cmp_gt_i32 s8, 22
	s_mov_b32 s9, -1
	s_cbranch_scc0 .LBB134_3142
; %bb.3111:
	s_cmp_lt_i32 s8, 24
	s_cbranch_scc1 .LBB134_3131
; %bb.3112:
	s_cmp_gt_i32 s8, 24
	s_cbranch_scc0 .LBB134_3120
; %bb.3113:
	s_wait_xcnt 0x0
	s_delay_alu instid0(VALU_DEP_3) | instskip(SKIP_2) | instid1(VALU_DEP_2)
	v_cvt_f32_f64_e32 v5, v[0:1]
	v_mov_b32_e32 v9, 0x80
	s_mov_b32 s9, exec_lo
	v_and_b32_e32 v8, 0x7fffffff, v5
	s_delay_alu instid0(VALU_DEP_1)
	v_cmpx_gt_u32_e32 0x47800000, v8
	s_cbranch_execz .LBB134_3119
; %bb.3114:
	v_cmp_lt_u32_e32 vcc_lo, 0x37ffffff, v8
	s_mov_b32 s10, 0
                                        ; implicit-def: $vgpr8
	s_and_saveexec_b32 s11, vcc_lo
	s_delay_alu instid0(SALU_CYCLE_1)
	s_xor_b32 s11, exec_lo, s11
	s_cbranch_execz .LBB134_3329
; %bb.3115:
	v_bfe_u32 v8, v5, 21, 1
	s_mov_b32 s10, exec_lo
	s_delay_alu instid0(VALU_DEP_1) | instskip(NEXT) | instid1(VALU_DEP_1)
	v_add3_u32 v8, v5, v8, 0x88fffff
	v_lshrrev_b32_e32 v8, 21, v8
	s_and_not1_saveexec_b32 s11, s11
	s_cbranch_execnz .LBB134_3330
.LBB134_3116:
	s_or_b32 exec_lo, exec_lo, s11
	v_mov_b32_e32 v9, 0
	s_and_saveexec_b32 s11, s10
.LBB134_3117:
	v_lshrrev_b32_e32 v5, 24, v5
	s_delay_alu instid0(VALU_DEP_1)
	v_and_or_b32 v9, 0x80, v5, v8
.LBB134_3118:
	s_or_b32 exec_lo, exec_lo, s11
.LBB134_3119:
	s_delay_alu instid0(SALU_CYCLE_1)
	s_or_b32 exec_lo, exec_lo, s9
	s_mov_b32 s9, 0
	global_store_b8 v[6:7], v9, off
.LBB134_3120:
	s_and_b32 vcc_lo, exec_lo, s9
	s_cbranch_vccz .LBB134_3130
; %bb.3121:
	s_wait_xcnt 0x0
	s_delay_alu instid0(VALU_DEP_3) | instskip(SKIP_1) | instid1(VALU_DEP_1)
	v_cvt_f32_f64_e32 v5, v[0:1]
	s_mov_b32 s9, exec_lo
                                        ; implicit-def: $vgpr8
	v_and_b32_e32 v9, 0x7fffffff, v5
	s_delay_alu instid0(VALU_DEP_1)
	v_cmpx_gt_u32_e32 0x43f00000, v9
	s_xor_b32 s9, exec_lo, s9
	s_cbranch_execz .LBB134_3127
; %bb.3122:
	s_mov_b32 s10, exec_lo
                                        ; implicit-def: $vgpr8
	v_cmpx_lt_u32_e32 0x3c7fffff, v9
	s_xor_b32 s10, exec_lo, s10
; %bb.3123:
	v_bfe_u32 v8, v5, 20, 1
	s_delay_alu instid0(VALU_DEP_1) | instskip(NEXT) | instid1(VALU_DEP_1)
	v_add3_u32 v8, v5, v8, 0x407ffff
	v_and_b32_e32 v9, 0xff00000, v8
	v_lshrrev_b32_e32 v8, 20, v8
	s_delay_alu instid0(VALU_DEP_2) | instskip(NEXT) | instid1(VALU_DEP_2)
	v_cmp_ne_u32_e32 vcc_lo, 0x7f00000, v9
	v_cndmask_b32_e32 v8, 0x7e, v8, vcc_lo
; %bb.3124:
	s_and_not1_saveexec_b32 s10, s10
; %bb.3125:
	v_add_f32_e64 v8, 0x46800000, |v5|
; %bb.3126:
	s_or_b32 exec_lo, exec_lo, s10
                                        ; implicit-def: $vgpr9
.LBB134_3127:
	s_and_not1_saveexec_b32 s9, s9
; %bb.3128:
	v_mov_b32_e32 v8, 0x7f
	v_cmp_lt_u32_e32 vcc_lo, 0x7f800000, v9
	s_delay_alu instid0(VALU_DEP_2)
	v_cndmask_b32_e32 v8, 0x7e, v8, vcc_lo
; %bb.3129:
	s_or_b32 exec_lo, exec_lo, s9
	v_lshrrev_b32_e32 v5, 24, v5
	s_delay_alu instid0(VALU_DEP_1)
	v_and_or_b32 v5, 0x80, v5, v8
	global_store_b8 v[6:7], v5, off
.LBB134_3130:
	s_mov_b32 s9, 0
.LBB134_3131:
	s_delay_alu instid0(SALU_CYCLE_1)
	s_and_not1_b32 vcc_lo, exec_lo, s9
	s_cbranch_vccnz .LBB134_3141
; %bb.3132:
	s_wait_xcnt 0x0
	s_delay_alu instid0(VALU_DEP_3) | instskip(SKIP_1) | instid1(VALU_DEP_1)
	v_cvt_f32_f64_e32 v5, v[0:1]
	s_mov_b32 s9, exec_lo
                                        ; implicit-def: $vgpr8
	v_and_b32_e32 v9, 0x7fffffff, v5
	s_delay_alu instid0(VALU_DEP_1)
	v_cmpx_gt_u32_e32 0x47800000, v9
	s_xor_b32 s9, exec_lo, s9
	s_cbranch_execz .LBB134_3138
; %bb.3133:
	s_mov_b32 s10, exec_lo
                                        ; implicit-def: $vgpr8
	v_cmpx_lt_u32_e32 0x387fffff, v9
	s_xor_b32 s10, exec_lo, s10
; %bb.3134:
	v_bfe_u32 v8, v5, 21, 1
	s_delay_alu instid0(VALU_DEP_1) | instskip(NEXT) | instid1(VALU_DEP_1)
	v_add3_u32 v8, v5, v8, 0x80fffff
	v_lshrrev_b32_e32 v8, 21, v8
; %bb.3135:
	s_and_not1_saveexec_b32 s10, s10
; %bb.3136:
	v_add_f32_e64 v8, 0x43000000, |v5|
; %bb.3137:
	s_or_b32 exec_lo, exec_lo, s10
                                        ; implicit-def: $vgpr9
.LBB134_3138:
	s_and_not1_saveexec_b32 s9, s9
; %bb.3139:
	v_mov_b32_e32 v8, 0x7f
	v_cmp_lt_u32_e32 vcc_lo, 0x7f800000, v9
	s_delay_alu instid0(VALU_DEP_2)
	v_cndmask_b32_e32 v8, 0x7c, v8, vcc_lo
; %bb.3140:
	s_or_b32 exec_lo, exec_lo, s9
	v_lshrrev_b32_e32 v5, 24, v5
	s_delay_alu instid0(VALU_DEP_1)
	v_and_or_b32 v5, 0x80, v5, v8
	global_store_b8 v[6:7], v5, off
.LBB134_3141:
	s_mov_b32 s9, 0
	s_mov_b32 s10, -1
.LBB134_3142:
	s_and_not1_b32 vcc_lo, exec_lo, s9
	s_mov_b32 s9, 0
	s_cbranch_vccnz .LBB134_3149
; %bb.3143:
	s_cmp_gt_i32 s8, 14
	s_mov_b32 s9, -1
	s_cbranch_scc0 .LBB134_3147
; %bb.3144:
	s_cmp_eq_u32 s8, 15
	s_mov_b32 s0, -1
	s_cbranch_scc0 .LBB134_3146
; %bb.3145:
	s_wait_xcnt 0x0
	s_delay_alu instid0(VALU_DEP_3) | instskip(SKIP_2) | instid1(VALU_DEP_1)
	v_cvt_f32_f64_e32 v5, v[0:1]
	s_mov_b32 s0, 0
	s_mov_b32 s10, -1
	v_bfe_u32 v8, v5, 16, 1
	v_cmp_o_f32_e32 vcc_lo, v5, v5
	s_delay_alu instid0(VALU_DEP_2) | instskip(NEXT) | instid1(VALU_DEP_1)
	v_add3_u32 v8, v5, v8, 0x7fff
	v_lshrrev_b32_e32 v8, 16, v8
	s_delay_alu instid0(VALU_DEP_1)
	v_cndmask_b32_e32 v5, 0x7fc0, v8, vcc_lo
	global_store_b16 v[6:7], v5, off
.LBB134_3146:
	s_mov_b32 s9, 0
.LBB134_3147:
	s_delay_alu instid0(SALU_CYCLE_1)
	s_and_b32 vcc_lo, exec_lo, s9
	s_mov_b32 s9, 0
	s_cbranch_vccz .LBB134_3149
; %bb.3148:
	s_cmp_lg_u32 s8, 11
	s_mov_b32 s9, -1
	s_cselect_b32 s0, -1, 0
.LBB134_3149:
	s_delay_alu instid0(SALU_CYCLE_1)
	s_and_b32 vcc_lo, exec_lo, s0
	s_cbranch_vccnz .LBB134_3328
; %bb.3150:
	s_and_not1_b32 vcc_lo, exec_lo, s9
	s_cbranch_vccnz .LBB134_3152
.LBB134_3151:
	s_delay_alu instid0(VALU_DEP_3) | instskip(NEXT) | instid1(VALU_DEP_3)
	v_cmp_neq_f64_e32 vcc_lo, 0, v[0:1]
	v_cmp_neq_f64_e64 s0, 0, v[2:3]
	s_mov_b32 s10, -1
	s_or_b32 s0, vcc_lo, s0
	s_wait_xcnt 0x0
	v_cndmask_b32_e64 v5, 0, 1, s0
	global_store_b8 v[6:7], v5, off
.LBB134_3152:
	s_mov_b32 s0, 0
	s_branch .LBB134_3154
.LBB134_3153:
	s_mov_b32 s0, -1
	s_mov_b32 s10, 0
.LBB134_3154:
	s_and_b32 vcc_lo, exec_lo, s0
	s_cbranch_vccz .LBB134_3193
; %bb.3155:
	s_and_b32 s0, 0xffff, s21
	s_mov_b32 s8, -1
	s_cmp_lt_i32 s0, 5
	s_cbranch_scc1 .LBB134_3176
; %bb.3156:
	s_cmp_lt_i32 s0, 8
	s_cbranch_scc1 .LBB134_3166
; %bb.3157:
	;; [unrolled: 3-line block ×3, first 2 shown]
	s_cmp_gt_i32 s0, 9
	s_cbranch_scc0 .LBB134_3160
; %bb.3159:
	s_mov_b32 s8, 0
	global_store_b128 v[6:7], v[0:3], off
.LBB134_3160:
	s_and_not1_b32 vcc_lo, exec_lo, s8
	s_cbranch_vccnz .LBB134_3162
; %bb.3161:
	s_wait_xcnt 0x0
	s_delay_alu instid0(VALU_DEP_3) | instskip(NEXT) | instid1(VALU_DEP_3)
	v_cvt_f32_f64_e32 v8, v[0:1]
	v_cvt_f32_f64_e32 v9, v[2:3]
	global_store_b64 v[6:7], v[8:9], off
.LBB134_3162:
	s_mov_b32 s8, 0
.LBB134_3163:
	s_delay_alu instid0(SALU_CYCLE_1)
	s_and_not1_b32 vcc_lo, exec_lo, s8
	s_cbranch_vccnz .LBB134_3165
; %bb.3164:
	s_wait_xcnt 0x0
	s_delay_alu instid0(VALU_DEP_3) | instskip(NEXT) | instid1(VALU_DEP_3)
	v_and_or_b32 v5, 0x1ff, v1, v0
	v_and_or_b32 v2, 0x1ff, v3, v2
	v_dual_lshrrev_b32 v8, 8, v1 :: v_dual_lshrrev_b32 v11, 8, v3
	v_bfe_u32 v9, v1, 20, 11
	s_delay_alu instid0(VALU_DEP_4) | instskip(SKIP_2) | instid1(VALU_DEP_4)
	v_cmp_ne_u32_e32 vcc_lo, 0, v5
	v_bfe_u32 v10, v3, 20, 11
	v_dual_lshrrev_b32 v17, 16, v1 :: v_dual_lshrrev_b32 v3, 16, v3
	v_sub_nc_u32_e32 v12, 0x3f1, v9
	v_cndmask_b32_e64 v5, 0, 1, vcc_lo
	v_cmp_ne_u32_e32 vcc_lo, 0, v2
	v_add_nc_u32_e32 v9, 0xfffffc10, v9
	s_delay_alu instid0(VALU_DEP_3) | instskip(SKIP_1) | instid1(VALU_DEP_1)
	v_and_or_b32 v5, 0xffe, v8, v5
	v_cndmask_b32_e64 v2, 0, 1, vcc_lo
	v_and_or_b32 v2, 0xffe, v11, v2
	v_med3_i32 v11, v12, 0, 13
	s_delay_alu instid0(VALU_DEP_4) | instskip(NEXT) | instid1(VALU_DEP_3)
	v_or_b32_e32 v12, 0x1000, v5
	v_or_b32_e32 v13, 0x1000, v2
	s_delay_alu instid0(VALU_DEP_2) | instskip(NEXT) | instid1(VALU_DEP_1)
	v_lshrrev_b32_e32 v14, v11, v12
	v_lshlrev_b32_e32 v11, v11, v14
	s_delay_alu instid0(VALU_DEP_1) | instskip(SKIP_2) | instid1(VALU_DEP_1)
	v_cmp_ne_u32_e32 vcc_lo, v11, v12
	v_lshl_or_b32 v12, v9, 12, v5
	v_cndmask_b32_e64 v11, 0, 1, vcc_lo
	v_or_b32_e32 v11, v14, v11
	v_sub_nc_u32_e32 v8, 0x3f1, v10
	v_add_nc_u32_e32 v10, 0xfffffc10, v10
	s_delay_alu instid0(VALU_DEP_2) | instskip(NEXT) | instid1(VALU_DEP_1)
	v_med3_i32 v8, v8, 0, 13
	v_lshrrev_b32_e32 v15, v8, v13
	s_delay_alu instid0(VALU_DEP_1) | instskip(NEXT) | instid1(VALU_DEP_1)
	v_lshlrev_b32_e32 v8, v8, v15
	v_cmp_ne_u32_e32 vcc_lo, v8, v13
	v_lshl_or_b32 v13, v10, 12, v2
	v_cndmask_b32_e64 v8, 0, 1, vcc_lo
	v_cmp_gt_i32_e32 vcc_lo, 1, v9
	s_delay_alu instid0(VALU_DEP_2) | instskip(SKIP_1) | instid1(VALU_DEP_2)
	v_dual_cndmask_b32 v11, v12, v11, vcc_lo :: v_dual_bitop2_b32 v8, v15, v8 bitop3:0x54
	v_cmp_gt_i32_e32 vcc_lo, 1, v10
	v_dual_lshrrev_b32 v11, 2, v11 :: v_dual_bitop2_b32 v12, 7, v11 bitop3:0x40
	s_delay_alu instid0(VALU_DEP_3) | instskip(NEXT) | instid1(VALU_DEP_1)
	v_cndmask_b32_e32 v8, v13, v8, vcc_lo
	v_dual_lshrrev_b32 v8, 2, v8 :: v_dual_bitop2_b32 v13, 7, v8 bitop3:0x40
	s_delay_alu instid0(VALU_DEP_3) | instskip(SKIP_1) | instid1(VALU_DEP_3)
	v_cmp_lt_i32_e32 vcc_lo, 5, v12
	v_cndmask_b32_e64 v15, 0, 1, vcc_lo
	v_cmp_lt_i32_e32 vcc_lo, 5, v13
	v_cndmask_b32_e64 v16, 0, 1, vcc_lo
	v_cmp_eq_u32_e32 vcc_lo, 3, v13
	v_cndmask_b32_e64 v13, 0, 1, vcc_lo
	v_cmp_eq_u32_e32 vcc_lo, 3, v12
	v_cndmask_b32_e64 v12, 0, 1, vcc_lo
	v_cmp_ne_u32_e32 vcc_lo, 0, v5
	s_delay_alu instid0(VALU_DEP_2) | instskip(NEXT) | instid1(VALU_DEP_1)
	v_or_b32_e32 v12, v12, v15
	v_dual_mov_b32 v14, 0x7e00 :: v_dual_add_nc_u32 v11, v11, v12
	s_delay_alu instid0(VALU_DEP_1)
	v_cndmask_b32_e32 v5, 0x7c00, v14, vcc_lo
	v_cmp_ne_u32_e32 vcc_lo, 0, v2
	v_and_b32_e32 v12, 0x8000, v17
	v_cndmask_b32_e32 v2, 0x7c00, v14, vcc_lo
	v_or_b32_e32 v13, v13, v16
	v_cmp_gt_i32_e32 vcc_lo, 31, v10
	s_delay_alu instid0(VALU_DEP_2) | instskip(NEXT) | instid1(VALU_DEP_1)
	v_add_nc_u32_e32 v8, v8, v13
	v_cndmask_b32_e32 v8, 0x7c00, v8, vcc_lo
	v_cmp_gt_i32_e32 vcc_lo, 31, v9
	v_cndmask_b32_e32 v11, 0x7c00, v11, vcc_lo
	v_cmp_eq_u32_e32 vcc_lo, 0x40f, v10
	s_delay_alu instid0(VALU_DEP_4) | instskip(SKIP_1) | instid1(VALU_DEP_2)
	v_cndmask_b32_e32 v2, v8, v2, vcc_lo
	v_cmp_eq_u32_e32 vcc_lo, 0x40f, v9
	v_and_or_b32 v2, 0x8000, v3, v2
	v_cndmask_b32_e32 v5, v11, v5, vcc_lo
	s_delay_alu instid0(VALU_DEP_1) | instskip(NEXT) | instid1(VALU_DEP_1)
	v_bitop3_b32 v3, v12, 0xffff, v5 bitop3:0xc8
	v_lshl_or_b32 v2, v2, 16, v3
	global_store_b32 v[6:7], v2, off
.LBB134_3165:
	s_mov_b32 s8, 0
.LBB134_3166:
	s_delay_alu instid0(SALU_CYCLE_1)
	s_and_not1_b32 vcc_lo, exec_lo, s8
	s_cbranch_vccnz .LBB134_3175
; %bb.3167:
	s_cmp_lt_i32 s0, 6
	s_mov_b32 s8, -1
	s_cbranch_scc1 .LBB134_3173
; %bb.3168:
	s_cmp_gt_i32 s0, 6
	s_cbranch_scc0 .LBB134_3170
; %bb.3169:
	s_mov_b32 s8, 0
	global_store_b64 v[6:7], v[0:1], off
.LBB134_3170:
	s_and_not1_b32 vcc_lo, exec_lo, s8
	s_cbranch_vccnz .LBB134_3172
; %bb.3171:
	s_wait_xcnt 0x0
	s_delay_alu instid0(VALU_DEP_3)
	v_cvt_f32_f64_e32 v2, v[0:1]
	global_store_b32 v[6:7], v2, off
.LBB134_3172:
	s_mov_b32 s8, 0
.LBB134_3173:
	s_delay_alu instid0(SALU_CYCLE_1)
	s_and_not1_b32 vcc_lo, exec_lo, s8
	s_cbranch_vccnz .LBB134_3175
; %bb.3174:
	s_wait_xcnt 0x0
	s_delay_alu instid0(VALU_DEP_3) | instskip(SKIP_2) | instid1(VALU_DEP_3)
	v_and_or_b32 v2, 0x1ff, v1, v0
	v_lshrrev_b32_e32 v3, 8, v1
	v_bfe_u32 v5, v1, 20, 11
	v_cmp_ne_u32_e32 vcc_lo, 0, v2
	s_delay_alu instid0(VALU_DEP_2) | instskip(SKIP_2) | instid1(VALU_DEP_1)
	v_sub_nc_u32_e32 v8, 0x3f1, v5
	v_add_nc_u32_e32 v5, 0xfffffc10, v5
	v_cndmask_b32_e64 v2, 0, 1, vcc_lo
	v_and_or_b32 v2, 0xffe, v3, v2
	s_delay_alu instid0(VALU_DEP_4) | instskip(NEXT) | instid1(VALU_DEP_2)
	v_med3_i32 v3, v8, 0, 13
	v_or_b32_e32 v8, 0x1000, v2
	s_delay_alu instid0(VALU_DEP_1) | instskip(NEXT) | instid1(VALU_DEP_1)
	v_lshrrev_b32_e32 v9, v3, v8
	v_lshlrev_b32_e32 v3, v3, v9
	s_delay_alu instid0(VALU_DEP_1) | instskip(SKIP_3) | instid1(VALU_DEP_2)
	v_cmp_ne_u32_e32 vcc_lo, v3, v8
	v_lshl_or_b32 v8, v5, 12, v2
	v_cndmask_b32_e64 v3, 0, 1, vcc_lo
	v_cmp_gt_i32_e32 vcc_lo, 1, v5
	v_or_b32_e32 v3, v9, v3
	s_delay_alu instid0(VALU_DEP_1) | instskip(NEXT) | instid1(VALU_DEP_1)
	v_cndmask_b32_e32 v3, v8, v3, vcc_lo
	v_dual_lshrrev_b32 v3, 2, v3 :: v_dual_bitop2_b32 v8, 7, v3 bitop3:0x40
	s_delay_alu instid0(VALU_DEP_1) | instskip(SKIP_4) | instid1(VALU_DEP_2)
	v_cmp_lt_i32_e32 vcc_lo, 5, v8
	v_cndmask_b32_e64 v9, 0, 1, vcc_lo
	v_cmp_eq_u32_e32 vcc_lo, 3, v8
	v_cndmask_b32_e64 v8, 0, 1, vcc_lo
	v_cmp_ne_u32_e32 vcc_lo, 0, v2
	v_or_b32_e32 v8, v8, v9
	v_mov_b32_e32 v9, 0x7e00
	s_delay_alu instid0(VALU_DEP_1) | instskip(SKIP_1) | instid1(VALU_DEP_2)
	v_dual_cndmask_b32 v2, 0x7c00, v9 :: v_dual_add_nc_u32 v3, v3, v8
	v_cmp_gt_i32_e32 vcc_lo, 31, v5
	v_cndmask_b32_e32 v3, 0x7c00, v3, vcc_lo
	v_cmp_eq_u32_e32 vcc_lo, 0x40f, v5
	s_delay_alu instid0(VALU_DEP_2) | instskip(NEXT) | instid1(VALU_DEP_1)
	v_dual_cndmask_b32 v2, v3, v2 :: v_dual_lshrrev_b32 v3, 16, v1
	v_and_or_b32 v2, 0x8000, v3, v2
	global_store_b16 v[6:7], v2, off
.LBB134_3175:
	s_mov_b32 s8, 0
.LBB134_3176:
	s_delay_alu instid0(SALU_CYCLE_1)
	s_and_not1_b32 vcc_lo, exec_lo, s8
	s_cbranch_vccnz .LBB134_3192
; %bb.3177:
	s_cmp_lt_i32 s0, 2
	s_mov_b32 s8, -1
	s_cbranch_scc1 .LBB134_3187
; %bb.3178:
	s_cmp_lt_i32 s0, 3
	s_cbranch_scc1 .LBB134_3184
; %bb.3179:
	s_cmp_gt_i32 s0, 3
	s_cbranch_scc0 .LBB134_3181
; %bb.3180:
	s_wait_xcnt 0x0
	s_delay_alu instid0(VALU_DEP_3) | instskip(SKIP_1) | instid1(VALU_DEP_1)
	v_trunc_f64_e32 v[2:3], v[0:1]
	s_mov_b32 s8, 0
	v_ldexp_f64 v[8:9], v[2:3], 0xffffffe0
	s_delay_alu instid0(VALU_DEP_1) | instskip(NEXT) | instid1(VALU_DEP_1)
	v_floor_f64_e32 v[8:9], v[8:9]
	v_fmamk_f64 v[2:3], v[8:9], 0xc1f00000, v[2:3]
	v_cvt_i32_f64_e32 v9, v[8:9]
	s_delay_alu instid0(VALU_DEP_2)
	v_cvt_u32_f64_e32 v8, v[2:3]
	global_store_b64 v[6:7], v[8:9], off
.LBB134_3181:
	s_and_not1_b32 vcc_lo, exec_lo, s8
	s_cbranch_vccnz .LBB134_3183
; %bb.3182:
	s_wait_xcnt 0x0
	s_delay_alu instid0(VALU_DEP_3)
	v_cvt_i32_f64_e32 v2, v[0:1]
	global_store_b32 v[6:7], v2, off
.LBB134_3183:
	s_mov_b32 s8, 0
.LBB134_3184:
	s_delay_alu instid0(SALU_CYCLE_1)
	s_and_not1_b32 vcc_lo, exec_lo, s8
	s_cbranch_vccnz .LBB134_3186
; %bb.3185:
	s_wait_xcnt 0x0
	s_delay_alu instid0(VALU_DEP_3)
	v_cvt_i32_f64_e32 v2, v[0:1]
	global_store_b16 v[6:7], v2, off
.LBB134_3186:
	s_mov_b32 s8, 0
.LBB134_3187:
	s_delay_alu instid0(SALU_CYCLE_1)
	s_and_not1_b32 vcc_lo, exec_lo, s8
	s_cbranch_vccnz .LBB134_3192
; %bb.3188:
	s_cmp_gt_i32 s0, 0
	s_mov_b32 s0, -1
	s_cbranch_scc0 .LBB134_3190
; %bb.3189:
	s_wait_xcnt 0x0
	s_delay_alu instid0(VALU_DEP_3)
	v_cvt_i32_f64_e32 v2, v[0:1]
	s_mov_b32 s0, 0
	global_store_b8 v[6:7], v2, off
.LBB134_3190:
	s_and_not1_b32 vcc_lo, exec_lo, s0
	s_cbranch_vccnz .LBB134_3192
; %bb.3191:
	s_wait_xcnt 0x0
	s_delay_alu instid0(VALU_DEP_3) | instskip(NEXT) | instid1(VALU_DEP_1)
	v_trunc_f64_e32 v[0:1], v[0:1]
	v_ldexp_f64 v[2:3], v[0:1], 0xffffffe0
	s_delay_alu instid0(VALU_DEP_1) | instskip(NEXT) | instid1(VALU_DEP_1)
	v_floor_f64_e32 v[2:3], v[2:3]
	v_fmamk_f64 v[0:1], v[2:3], 0xc1f00000, v[0:1]
	s_delay_alu instid0(VALU_DEP_1)
	v_cvt_u32_f64_e32 v0, v[0:1]
	global_store_b8 v[6:7], v0, off
.LBB134_3192:
	s_mov_b32 s10, -1
.LBB134_3193:
	s_delay_alu instid0(SALU_CYCLE_1)
	s_and_not1_b32 vcc_lo, exec_lo, s10
	s_cbranch_vccnz .LBB134_3270
; %bb.3194:
	s_wait_xcnt 0x0
	v_dual_mul_f64 v[6:7], s[4:5], v[26:27] :: v_dual_add_nc_u32 v4, s1, v4
	v_mul_f64_e32 v[0:1], s[6:7], v[26:27]
	s_cmp_lt_i32 s21, 11
	s_delay_alu instid0(VALU_DEP_2) | instskip(NEXT) | instid1(VALU_DEP_1)
	v_ashrrev_i32_e32 v5, 31, v4
	v_add_nc_u64_e32 v[4:5], s[2:3], v[4:5]
	s_delay_alu instid0(VALU_DEP_4) | instskip(NEXT) | instid1(VALU_DEP_4)
	v_fmac_f64_e32 v[6:7], s[6:7], v[24:25]
	v_fma_f64 v[0:1], s[4:5], v[24:25], -v[0:1]
	s_delay_alu instid0(VALU_DEP_2) | instskip(NEXT) | instid1(VALU_DEP_2)
	v_mul_f64_e32 v[8:9], v[6:7], v[30:31]
	v_mul_f64_e32 v[2:3], v[0:1], v[30:31]
	s_delay_alu instid0(VALU_DEP_2) | instskip(NEXT) | instid1(VALU_DEP_2)
	v_fma_f64 v[0:1], v[0:1], v[28:29], -v[8:9]
	v_fmac_f64_e32 v[2:3], v[6:7], v[28:29]
	s_cbranch_scc1 .LBB134_3315
; %bb.3195:
	s_and_b32 s2, 0xffff, s21
	s_mov_b32 s3, -1
	s_mov_b32 s1, 0
	s_cmp_gt_i32 s2, 25
	s_mov_b32 s0, 0
	s_cbranch_scc0 .LBB134_3228
; %bb.3196:
	s_cmp_gt_i32 s2, 28
	s_cbranch_scc0 .LBB134_3212
; %bb.3197:
	s_cmp_gt_i32 s2, 43
	;; [unrolled: 3-line block ×3, first 2 shown]
	s_cbranch_scc0 .LBB134_3202
; %bb.3199:
	s_cmp_eq_u32 s2, 46
	s_mov_b32 s0, -1
	s_cbranch_scc0 .LBB134_3201
; %bb.3200:
	s_delay_alu instid0(VALU_DEP_1) | instskip(NEXT) | instid1(VALU_DEP_3)
	v_cvt_f32_f64_e32 v6, v[2:3]
	v_cvt_f32_f64_e32 v7, v[0:1]
	s_mov_b32 s0, 0
	s_delay_alu instid0(VALU_DEP_2) | instskip(NEXT) | instid1(VALU_DEP_2)
	v_bfe_u32 v8, v6, 16, 1
	v_bfe_u32 v9, v7, 16, 1
	v_cmp_o_f32_e32 vcc_lo, v6, v6
	s_delay_alu instid0(VALU_DEP_3) | instskip(NEXT) | instid1(VALU_DEP_3)
	v_add3_u32 v8, v6, v8, 0x7fff
	v_add3_u32 v9, v7, v9, 0x7fff
	s_delay_alu instid0(VALU_DEP_2) | instskip(NEXT) | instid1(VALU_DEP_1)
	v_and_b32_e32 v8, 0xffff0000, v8
	v_dual_cndmask_b32 v6, 0x7fc00000, v8 :: v_dual_lshrrev_b32 v9, 16, v9
	v_cmp_o_f32_e32 vcc_lo, v7, v7
	s_delay_alu instid0(VALU_DEP_2) | instskip(NEXT) | instid1(VALU_DEP_1)
	v_cndmask_b32_e32 v7, 0x7fc0, v9, vcc_lo
	v_or_b32_e32 v6, v6, v7
	global_store_b32 v[4:5], v6, off
.LBB134_3201:
	s_mov_b32 s3, 0
.LBB134_3202:
	s_delay_alu instid0(SALU_CYCLE_1)
	s_and_b32 vcc_lo, exec_lo, s3
	s_cbranch_vccz .LBB134_3207
; %bb.3203:
	s_cmp_eq_u32 s2, 44
	s_mov_b32 s0, -1
	s_cbranch_scc0 .LBB134_3207
; %bb.3204:
	s_wait_xcnt 0x0
	s_delay_alu instid0(VALU_DEP_2) | instskip(SKIP_2) | instid1(VALU_DEP_2)
	v_cvt_f32_f64_e32 v6, v[0:1]
	v_mov_b32_e32 v7, 0xff
	s_mov_b32 s3, exec_lo
	v_bfe_u32 v8, v6, 23, 8
	s_delay_alu instid0(VALU_DEP_1)
	v_cmpx_ne_u32_e32 0xff, v8
	s_cbranch_execz .LBB134_3206
; %bb.3205:
	v_and_b32_e32 v7, 0x400000, v6
	v_and_or_b32 v8, 0x3fffff, v6, v8
	v_lshrrev_b32_e32 v6, 23, v6
	s_delay_alu instid0(VALU_DEP_3) | instskip(NEXT) | instid1(VALU_DEP_3)
	v_cmp_ne_u32_e32 vcc_lo, 0, v7
	v_cmp_ne_u32_e64 s0, 0, v8
	s_and_b32 s0, vcc_lo, s0
	s_delay_alu instid0(SALU_CYCLE_1) | instskip(NEXT) | instid1(VALU_DEP_1)
	v_cndmask_b32_e64 v7, 0, 1, s0
	v_add_nc_u32_e32 v7, v6, v7
.LBB134_3206:
	s_or_b32 exec_lo, exec_lo, s3
	s_mov_b32 s0, 0
	global_store_b8 v[4:5], v7, off
.LBB134_3207:
	s_mov_b32 s3, 0
.LBB134_3208:
	s_delay_alu instid0(SALU_CYCLE_1)
	s_and_b32 vcc_lo, exec_lo, s3
	s_cbranch_vccz .LBB134_3211
; %bb.3209:
	s_cmp_eq_u32 s2, 29
	s_mov_b32 s0, -1
	s_cbranch_scc0 .LBB134_3211
; %bb.3210:
	s_wait_xcnt 0x0
	s_delay_alu instid0(VALU_DEP_2) | instskip(SKIP_1) | instid1(VALU_DEP_1)
	v_trunc_f64_e32 v[6:7], v[0:1]
	s_mov_b32 s0, 0
	v_ldexp_f64 v[8:9], v[6:7], 0xffffffe0
	s_delay_alu instid0(VALU_DEP_1) | instskip(NEXT) | instid1(VALU_DEP_1)
	v_floor_f64_e32 v[8:9], v[8:9]
	v_fmamk_f64 v[6:7], v[8:9], 0xc1f00000, v[6:7]
	v_cvt_u32_f64_e32 v9, v[8:9]
	s_delay_alu instid0(VALU_DEP_2)
	v_cvt_u32_f64_e32 v8, v[6:7]
	global_store_b64 v[4:5], v[8:9], off
.LBB134_3211:
	s_mov_b32 s3, 0
.LBB134_3212:
	s_delay_alu instid0(SALU_CYCLE_1)
	s_and_b32 vcc_lo, exec_lo, s3
	s_cbranch_vccz .LBB134_3227
; %bb.3213:
	s_cmp_lt_i32 s2, 27
	s_mov_b32 s3, -1
	s_cbranch_scc1 .LBB134_3219
; %bb.3214:
	s_wait_xcnt 0x0
	s_delay_alu instid0(VALU_DEP_2)
	v_cvt_u32_f64_e32 v6, v[0:1]
	s_cmp_gt_i32 s2, 27
	s_cbranch_scc0 .LBB134_3216
; %bb.3215:
	s_mov_b32 s3, 0
	global_store_b32 v[4:5], v6, off
.LBB134_3216:
	s_and_not1_b32 vcc_lo, exec_lo, s3
	s_cbranch_vccnz .LBB134_3218
; %bb.3217:
	global_store_b16 v[4:5], v6, off
.LBB134_3218:
	s_mov_b32 s3, 0
.LBB134_3219:
	s_delay_alu instid0(SALU_CYCLE_1)
	s_and_not1_b32 vcc_lo, exec_lo, s3
	s_cbranch_vccnz .LBB134_3227
; %bb.3220:
	s_wait_xcnt 0x0
	s_delay_alu instid0(VALU_DEP_2) | instskip(SKIP_2) | instid1(VALU_DEP_2)
	v_cvt_f32_f64_e32 v6, v[0:1]
	v_mov_b32_e32 v8, 0x80
	s_mov_b32 s3, exec_lo
	v_and_b32_e32 v7, 0x7fffffff, v6
	s_delay_alu instid0(VALU_DEP_1)
	v_cmpx_gt_u32_e32 0x43800000, v7
	s_cbranch_execz .LBB134_3226
; %bb.3221:
	v_cmp_lt_u32_e32 vcc_lo, 0x3bffffff, v7
	s_mov_b32 s4, 0
                                        ; implicit-def: $vgpr7
	s_and_saveexec_b32 s5, vcc_lo
	s_delay_alu instid0(SALU_CYCLE_1)
	s_xor_b32 s5, exec_lo, s5
	s_cbranch_execz .LBB134_3331
; %bb.3222:
	v_bfe_u32 v7, v6, 20, 1
	s_mov_b32 s4, exec_lo
	s_delay_alu instid0(VALU_DEP_1) | instskip(NEXT) | instid1(VALU_DEP_1)
	v_add3_u32 v7, v6, v7, 0x487ffff
	v_lshrrev_b32_e32 v7, 20, v7
	s_and_not1_saveexec_b32 s5, s5
	s_cbranch_execnz .LBB134_3332
.LBB134_3223:
	s_or_b32 exec_lo, exec_lo, s5
	v_mov_b32_e32 v8, 0
	s_and_saveexec_b32 s5, s4
.LBB134_3224:
	v_lshrrev_b32_e32 v6, 24, v6
	s_delay_alu instid0(VALU_DEP_1)
	v_and_or_b32 v8, 0x80, v6, v7
.LBB134_3225:
	s_or_b32 exec_lo, exec_lo, s5
.LBB134_3226:
	s_delay_alu instid0(SALU_CYCLE_1)
	s_or_b32 exec_lo, exec_lo, s3
	global_store_b8 v[4:5], v8, off
.LBB134_3227:
	s_mov_b32 s3, 0
.LBB134_3228:
	s_delay_alu instid0(SALU_CYCLE_1)
	s_and_b32 vcc_lo, exec_lo, s3
	s_cbranch_vccz .LBB134_3268
; %bb.3229:
	s_cmp_gt_i32 s2, 22
	s_mov_b32 s1, -1
	s_cbranch_scc0 .LBB134_3261
; %bb.3230:
	s_cmp_lt_i32 s2, 24
	s_cbranch_scc1 .LBB134_3250
; %bb.3231:
	s_cmp_gt_i32 s2, 24
	s_cbranch_scc0 .LBB134_3239
; %bb.3232:
	s_wait_xcnt 0x0
	s_delay_alu instid0(VALU_DEP_2) | instskip(SKIP_2) | instid1(VALU_DEP_2)
	v_cvt_f32_f64_e32 v6, v[0:1]
	v_mov_b32_e32 v8, 0x80
	s_mov_b32 s1, exec_lo
	v_and_b32_e32 v7, 0x7fffffff, v6
	s_delay_alu instid0(VALU_DEP_1)
	v_cmpx_gt_u32_e32 0x47800000, v7
	s_cbranch_execz .LBB134_3238
; %bb.3233:
	v_cmp_lt_u32_e32 vcc_lo, 0x37ffffff, v7
	s_mov_b32 s3, 0
                                        ; implicit-def: $vgpr7
	s_and_saveexec_b32 s4, vcc_lo
	s_delay_alu instid0(SALU_CYCLE_1)
	s_xor_b32 s4, exec_lo, s4
	s_cbranch_execz .LBB134_3334
; %bb.3234:
	v_bfe_u32 v7, v6, 21, 1
	s_mov_b32 s3, exec_lo
	s_delay_alu instid0(VALU_DEP_1) | instskip(NEXT) | instid1(VALU_DEP_1)
	v_add3_u32 v7, v6, v7, 0x88fffff
	v_lshrrev_b32_e32 v7, 21, v7
	s_and_not1_saveexec_b32 s4, s4
	s_cbranch_execnz .LBB134_3335
.LBB134_3235:
	s_or_b32 exec_lo, exec_lo, s4
	v_mov_b32_e32 v8, 0
	s_and_saveexec_b32 s4, s3
.LBB134_3236:
	v_lshrrev_b32_e32 v6, 24, v6
	s_delay_alu instid0(VALU_DEP_1)
	v_and_or_b32 v8, 0x80, v6, v7
.LBB134_3237:
	s_or_b32 exec_lo, exec_lo, s4
.LBB134_3238:
	s_delay_alu instid0(SALU_CYCLE_1)
	s_or_b32 exec_lo, exec_lo, s1
	s_mov_b32 s1, 0
	global_store_b8 v[4:5], v8, off
.LBB134_3239:
	s_and_b32 vcc_lo, exec_lo, s1
	s_cbranch_vccz .LBB134_3249
; %bb.3240:
	s_wait_xcnt 0x0
	s_delay_alu instid0(VALU_DEP_2) | instskip(SKIP_1) | instid1(VALU_DEP_1)
	v_cvt_f32_f64_e32 v6, v[0:1]
	s_mov_b32 s1, exec_lo
                                        ; implicit-def: $vgpr7
	v_and_b32_e32 v8, 0x7fffffff, v6
	s_delay_alu instid0(VALU_DEP_1)
	v_cmpx_gt_u32_e32 0x43f00000, v8
	s_xor_b32 s1, exec_lo, s1
	s_cbranch_execz .LBB134_3246
; %bb.3241:
	s_mov_b32 s3, exec_lo
                                        ; implicit-def: $vgpr7
	v_cmpx_lt_u32_e32 0x3c7fffff, v8
	s_xor_b32 s3, exec_lo, s3
; %bb.3242:
	v_bfe_u32 v7, v6, 20, 1
	s_delay_alu instid0(VALU_DEP_1) | instskip(NEXT) | instid1(VALU_DEP_1)
	v_add3_u32 v7, v6, v7, 0x407ffff
	v_and_b32_e32 v8, 0xff00000, v7
	v_lshrrev_b32_e32 v7, 20, v7
	s_delay_alu instid0(VALU_DEP_2) | instskip(NEXT) | instid1(VALU_DEP_2)
	v_cmp_ne_u32_e32 vcc_lo, 0x7f00000, v8
	v_cndmask_b32_e32 v7, 0x7e, v7, vcc_lo
; %bb.3243:
	s_and_not1_saveexec_b32 s3, s3
; %bb.3244:
	v_add_f32_e64 v7, 0x46800000, |v6|
; %bb.3245:
	s_or_b32 exec_lo, exec_lo, s3
                                        ; implicit-def: $vgpr8
.LBB134_3246:
	s_and_not1_saveexec_b32 s1, s1
; %bb.3247:
	v_mov_b32_e32 v7, 0x7f
	v_cmp_lt_u32_e32 vcc_lo, 0x7f800000, v8
	s_delay_alu instid0(VALU_DEP_2)
	v_cndmask_b32_e32 v7, 0x7e, v7, vcc_lo
; %bb.3248:
	s_or_b32 exec_lo, exec_lo, s1
	v_lshrrev_b32_e32 v6, 24, v6
	s_delay_alu instid0(VALU_DEP_1)
	v_and_or_b32 v6, 0x80, v6, v7
	global_store_b8 v[4:5], v6, off
.LBB134_3249:
	s_mov_b32 s1, 0
.LBB134_3250:
	s_delay_alu instid0(SALU_CYCLE_1)
	s_and_not1_b32 vcc_lo, exec_lo, s1
	s_cbranch_vccnz .LBB134_3260
; %bb.3251:
	s_wait_xcnt 0x0
	s_delay_alu instid0(VALU_DEP_2) | instskip(SKIP_1) | instid1(VALU_DEP_1)
	v_cvt_f32_f64_e32 v6, v[0:1]
	s_mov_b32 s1, exec_lo
                                        ; implicit-def: $vgpr7
	v_and_b32_e32 v8, 0x7fffffff, v6
	s_delay_alu instid0(VALU_DEP_1)
	v_cmpx_gt_u32_e32 0x47800000, v8
	s_xor_b32 s1, exec_lo, s1
	s_cbranch_execz .LBB134_3257
; %bb.3252:
	s_mov_b32 s3, exec_lo
                                        ; implicit-def: $vgpr7
	v_cmpx_lt_u32_e32 0x387fffff, v8
	s_xor_b32 s3, exec_lo, s3
; %bb.3253:
	v_bfe_u32 v7, v6, 21, 1
	s_delay_alu instid0(VALU_DEP_1) | instskip(NEXT) | instid1(VALU_DEP_1)
	v_add3_u32 v7, v6, v7, 0x80fffff
	v_lshrrev_b32_e32 v7, 21, v7
; %bb.3254:
	s_and_not1_saveexec_b32 s3, s3
; %bb.3255:
	v_add_f32_e64 v7, 0x43000000, |v6|
; %bb.3256:
	s_or_b32 exec_lo, exec_lo, s3
                                        ; implicit-def: $vgpr8
.LBB134_3257:
	s_and_not1_saveexec_b32 s1, s1
; %bb.3258:
	v_mov_b32_e32 v7, 0x7f
	v_cmp_lt_u32_e32 vcc_lo, 0x7f800000, v8
	s_delay_alu instid0(VALU_DEP_2)
	v_cndmask_b32_e32 v7, 0x7c, v7, vcc_lo
; %bb.3259:
	s_or_b32 exec_lo, exec_lo, s1
	v_lshrrev_b32_e32 v6, 24, v6
	s_delay_alu instid0(VALU_DEP_1)
	v_and_or_b32 v6, 0x80, v6, v7
	global_store_b8 v[4:5], v6, off
.LBB134_3260:
	s_mov_b32 s1, 0
.LBB134_3261:
	s_delay_alu instid0(SALU_CYCLE_1)
	s_and_not1_b32 vcc_lo, exec_lo, s1
	s_mov_b32 s1, 0
	s_cbranch_vccnz .LBB134_3268
; %bb.3262:
	s_cmp_gt_i32 s2, 14
	s_mov_b32 s1, -1
	s_cbranch_scc0 .LBB134_3266
; %bb.3263:
	s_cmp_eq_u32 s2, 15
	s_mov_b32 s0, -1
	s_cbranch_scc0 .LBB134_3265
; %bb.3264:
	s_wait_xcnt 0x0
	s_delay_alu instid0(VALU_DEP_2) | instskip(SKIP_1) | instid1(VALU_DEP_1)
	v_cvt_f32_f64_e32 v6, v[0:1]
	s_mov_b32 s0, 0
	v_bfe_u32 v7, v6, 16, 1
	v_cmp_o_f32_e32 vcc_lo, v6, v6
	s_delay_alu instid0(VALU_DEP_2) | instskip(NEXT) | instid1(VALU_DEP_1)
	v_add3_u32 v7, v6, v7, 0x7fff
	v_lshrrev_b32_e32 v7, 16, v7
	s_delay_alu instid0(VALU_DEP_1)
	v_cndmask_b32_e32 v6, 0x7fc0, v7, vcc_lo
	global_store_b16 v[4:5], v6, off
.LBB134_3265:
	s_mov_b32 s1, 0
.LBB134_3266:
	s_delay_alu instid0(SALU_CYCLE_1)
	s_and_b32 vcc_lo, exec_lo, s1
	s_mov_b32 s1, 0
	s_cbranch_vccz .LBB134_3268
; %bb.3267:
	s_cmp_lg_u32 s2, 11
	s_mov_b32 s1, -1
	s_cselect_b32 s0, -1, 0
.LBB134_3268:
	s_delay_alu instid0(SALU_CYCLE_1)
	s_and_b32 vcc_lo, exec_lo, s0
	s_cbranch_vccnz .LBB134_3333
.LBB134_3269:
	s_mov_b32 s0, 0
	s_branch .LBB134_3271
.LBB134_3270:
	s_mov_b32 s0, 0
	s_mov_b32 s1, 0
                                        ; implicit-def: $sgpr21
                                        ; implicit-def: $vgpr4_vgpr5
                                        ; implicit-def: $vgpr2_vgpr3
.LBB134_3271:
	s_and_b32 s22, s0, exec_lo
	s_and_not1_b32 s0, s20, exec_lo
	s_and_b32 s2, s17, exec_lo
	s_and_b32 s17, s1, exec_lo
	s_or_b32 s20, s0, s2
.LBB134_3272:
	s_wait_xcnt 0x0
	s_or_b32 exec_lo, exec_lo, s19
	s_and_saveexec_b32 s0, s20
	s_cbranch_execz .LBB134_3275
; %bb.3273:
	; divergent unreachable
	s_or_b32 exec_lo, exec_lo, s0
	s_and_saveexec_b32 s0, s17
	s_delay_alu instid0(SALU_CYCLE_1)
	s_xor_b32 s1, exec_lo, s0
	s_cbranch_execnz .LBB134_3276
.LBB134_3274:
	s_or_b32 exec_lo, exec_lo, s1
	s_and_saveexec_b32 s0, s22
	s_cbranch_execnz .LBB134_3277
	s_branch .LBB134_3314
.LBB134_3275:
	s_or_b32 exec_lo, exec_lo, s0
	s_and_saveexec_b32 s0, s17
	s_delay_alu instid0(SALU_CYCLE_1)
	s_xor_b32 s1, exec_lo, s0
	s_cbranch_execz .LBB134_3274
.LBB134_3276:
	s_wait_loadcnt 0x0
	s_delay_alu instid0(VALU_DEP_1) | instskip(NEXT) | instid1(VALU_DEP_2)
	v_cmp_neq_f64_e32 vcc_lo, 0, v[0:1]
	v_cmp_neq_f64_e64 s0, 0, v[2:3]
	s_or_b32 s0, vcc_lo, s0
	s_delay_alu instid0(SALU_CYCLE_1)
	v_cndmask_b32_e64 v6, 0, 1, s0
	global_store_b8 v[4:5], v6, off
	s_wait_xcnt 0x0
	s_or_b32 exec_lo, exec_lo, s1
	s_and_saveexec_b32 s0, s22
	s_cbranch_execz .LBB134_3314
.LBB134_3277:
	s_sext_i32_i16 s1, s21
	s_mov_b32 s0, -1
	s_cmp_lt_i32 s1, 5
	s_cbranch_scc1 .LBB134_3298
; %bb.3278:
	s_cmp_lt_i32 s1, 8
	s_cbranch_scc1 .LBB134_3288
; %bb.3279:
	;; [unrolled: 3-line block ×3, first 2 shown]
	s_cmp_gt_i32 s1, 9
	s_cbranch_scc0 .LBB134_3282
; %bb.3281:
	s_mov_b32 s0, 0
	s_wait_loadcnt 0x0
	global_store_b128 v[4:5], v[0:3], off
.LBB134_3282:
	s_and_not1_b32 vcc_lo, exec_lo, s0
	s_cbranch_vccnz .LBB134_3284
; %bb.3283:
	s_wait_loadcnt 0x0
	v_cvt_f32_f64_e32 v6, v[0:1]
	v_cvt_f32_f64_e32 v7, v[2:3]
	global_store_b64 v[4:5], v[6:7], off
.LBB134_3284:
	s_mov_b32 s0, 0
.LBB134_3285:
	s_delay_alu instid0(SALU_CYCLE_1)
	s_and_not1_b32 vcc_lo, exec_lo, s0
	s_cbranch_vccnz .LBB134_3287
; %bb.3286:
	s_wait_loadcnt 0x0
	v_and_or_b32 v6, 0x1ff, v1, v0
	v_and_or_b32 v2, 0x1ff, v3, v2
	v_dual_lshrrev_b32 v7, 8, v1 :: v_dual_lshrrev_b32 v10, 8, v3
	v_bfe_u32 v8, v1, 20, 11
	s_delay_alu instid0(VALU_DEP_4) | instskip(SKIP_2) | instid1(VALU_DEP_4)
	v_cmp_ne_u32_e32 vcc_lo, 0, v6
	v_bfe_u32 v9, v3, 20, 11
	v_dual_lshrrev_b32 v16, 16, v1 :: v_dual_lshrrev_b32 v3, 16, v3
	v_sub_nc_u32_e32 v11, 0x3f1, v8
	v_cndmask_b32_e64 v6, 0, 1, vcc_lo
	v_cmp_ne_u32_e32 vcc_lo, 0, v2
	v_add_nc_u32_e32 v8, 0xfffffc10, v8
	s_delay_alu instid0(VALU_DEP_3) | instskip(SKIP_1) | instid1(VALU_DEP_1)
	v_and_or_b32 v6, 0xffe, v7, v6
	v_cndmask_b32_e64 v2, 0, 1, vcc_lo
	v_and_or_b32 v2, 0xffe, v10, v2
	v_med3_i32 v10, v11, 0, 13
	s_delay_alu instid0(VALU_DEP_4) | instskip(NEXT) | instid1(VALU_DEP_3)
	v_or_b32_e32 v11, 0x1000, v6
	v_or_b32_e32 v12, 0x1000, v2
	s_delay_alu instid0(VALU_DEP_2) | instskip(NEXT) | instid1(VALU_DEP_1)
	v_lshrrev_b32_e32 v13, v10, v11
	v_lshlrev_b32_e32 v10, v10, v13
	s_delay_alu instid0(VALU_DEP_1) | instskip(SKIP_2) | instid1(VALU_DEP_1)
	v_cmp_ne_u32_e32 vcc_lo, v10, v11
	v_lshl_or_b32 v11, v8, 12, v6
	v_cndmask_b32_e64 v10, 0, 1, vcc_lo
	v_or_b32_e32 v10, v13, v10
	v_sub_nc_u32_e32 v7, 0x3f1, v9
	v_add_nc_u32_e32 v9, 0xfffffc10, v9
	s_delay_alu instid0(VALU_DEP_2) | instskip(NEXT) | instid1(VALU_DEP_1)
	v_med3_i32 v7, v7, 0, 13
	v_lshrrev_b32_e32 v14, v7, v12
	s_delay_alu instid0(VALU_DEP_1) | instskip(NEXT) | instid1(VALU_DEP_1)
	v_lshlrev_b32_e32 v7, v7, v14
	v_cmp_ne_u32_e32 vcc_lo, v7, v12
	v_lshl_or_b32 v12, v9, 12, v2
	v_cndmask_b32_e64 v7, 0, 1, vcc_lo
	v_cmp_gt_i32_e32 vcc_lo, 1, v8
	s_delay_alu instid0(VALU_DEP_2) | instskip(SKIP_1) | instid1(VALU_DEP_2)
	v_dual_cndmask_b32 v10, v11, v10, vcc_lo :: v_dual_bitop2_b32 v7, v14, v7 bitop3:0x54
	v_cmp_gt_i32_e32 vcc_lo, 1, v9
	v_dual_lshrrev_b32 v10, 2, v10 :: v_dual_bitop2_b32 v11, 7, v10 bitop3:0x40
	s_delay_alu instid0(VALU_DEP_3) | instskip(NEXT) | instid1(VALU_DEP_1)
	v_cndmask_b32_e32 v7, v12, v7, vcc_lo
	v_dual_lshrrev_b32 v7, 2, v7 :: v_dual_bitop2_b32 v12, 7, v7 bitop3:0x40
	s_delay_alu instid0(VALU_DEP_3) | instskip(SKIP_1) | instid1(VALU_DEP_3)
	v_cmp_lt_i32_e32 vcc_lo, 5, v11
	v_cndmask_b32_e64 v14, 0, 1, vcc_lo
	v_cmp_lt_i32_e32 vcc_lo, 5, v12
	v_cndmask_b32_e64 v15, 0, 1, vcc_lo
	v_cmp_eq_u32_e32 vcc_lo, 3, v12
	v_cndmask_b32_e64 v12, 0, 1, vcc_lo
	v_cmp_eq_u32_e32 vcc_lo, 3, v11
	s_delay_alu instid0(VALU_DEP_2) | instskip(SKIP_2) | instid1(VALU_DEP_3)
	v_or_b32_e32 v12, v12, v15
	v_cndmask_b32_e64 v11, 0, 1, vcc_lo
	v_cmp_ne_u32_e32 vcc_lo, 0, v6
	v_add_nc_u32_e32 v7, v7, v12
	s_delay_alu instid0(VALU_DEP_3) | instskip(NEXT) | instid1(VALU_DEP_1)
	v_or_b32_e32 v11, v11, v14
	v_dual_mov_b32 v13, 0x7e00 :: v_dual_add_nc_u32 v10, v10, v11
	s_delay_alu instid0(VALU_DEP_1)
	v_cndmask_b32_e32 v6, 0x7c00, v13, vcc_lo
	v_cmp_ne_u32_e32 vcc_lo, 0, v2
	v_and_b32_e32 v11, 0x8000, v16
	v_cndmask_b32_e32 v2, 0x7c00, v13, vcc_lo
	v_cmp_gt_i32_e32 vcc_lo, 31, v9
	v_cndmask_b32_e32 v7, 0x7c00, v7, vcc_lo
	v_cmp_gt_i32_e32 vcc_lo, 31, v8
	v_cndmask_b32_e32 v10, 0x7c00, v10, vcc_lo
	v_cmp_eq_u32_e32 vcc_lo, 0x40f, v9
	s_delay_alu instid0(VALU_DEP_4) | instskip(SKIP_1) | instid1(VALU_DEP_2)
	v_cndmask_b32_e32 v2, v7, v2, vcc_lo
	v_cmp_eq_u32_e32 vcc_lo, 0x40f, v8
	v_and_or_b32 v2, 0x8000, v3, v2
	v_cndmask_b32_e32 v6, v10, v6, vcc_lo
	s_delay_alu instid0(VALU_DEP_1) | instskip(NEXT) | instid1(VALU_DEP_1)
	v_bitop3_b32 v3, v11, 0xffff, v6 bitop3:0xc8
	v_lshl_or_b32 v2, v2, 16, v3
	global_store_b32 v[4:5], v2, off
.LBB134_3287:
	s_mov_b32 s0, 0
.LBB134_3288:
	s_delay_alu instid0(SALU_CYCLE_1)
	s_and_not1_b32 vcc_lo, exec_lo, s0
	s_cbranch_vccnz .LBB134_3297
; %bb.3289:
	s_sext_i32_i16 s1, s21
	s_mov_b32 s0, -1
	s_cmp_lt_i32 s1, 6
	s_cbranch_scc1 .LBB134_3295
; %bb.3290:
	s_cmp_gt_i32 s1, 6
	s_cbranch_scc0 .LBB134_3292
; %bb.3291:
	s_mov_b32 s0, 0
	s_wait_loadcnt 0x0
	global_store_b64 v[4:5], v[0:1], off
.LBB134_3292:
	s_and_not1_b32 vcc_lo, exec_lo, s0
	s_cbranch_vccnz .LBB134_3294
; %bb.3293:
	s_wait_loadcnt 0x0
	v_cvt_f32_f64_e32 v2, v[0:1]
	global_store_b32 v[4:5], v2, off
.LBB134_3294:
	s_mov_b32 s0, 0
.LBB134_3295:
	s_delay_alu instid0(SALU_CYCLE_1)
	s_and_not1_b32 vcc_lo, exec_lo, s0
	s_cbranch_vccnz .LBB134_3297
; %bb.3296:
	s_wait_loadcnt 0x0
	v_and_or_b32 v2, 0x1ff, v1, v0
	v_lshrrev_b32_e32 v3, 8, v1
	v_bfe_u32 v6, v1, 20, 11
	s_delay_alu instid0(VALU_DEP_3) | instskip(NEXT) | instid1(VALU_DEP_2)
	v_cmp_ne_u32_e32 vcc_lo, 0, v2
	v_sub_nc_u32_e32 v7, 0x3f1, v6
	v_cndmask_b32_e64 v2, 0, 1, vcc_lo
	s_delay_alu instid0(VALU_DEP_1) | instskip(NEXT) | instid1(VALU_DEP_3)
	v_and_or_b32 v2, 0xffe, v3, v2
	v_med3_i32 v3, v7, 0, 13
	s_delay_alu instid0(VALU_DEP_2) | instskip(NEXT) | instid1(VALU_DEP_1)
	v_or_b32_e32 v7, 0x1000, v2
	v_lshrrev_b32_e32 v8, v3, v7
	s_delay_alu instid0(VALU_DEP_1) | instskip(NEXT) | instid1(VALU_DEP_1)
	v_lshlrev_b32_e32 v3, v3, v8
	v_cmp_ne_u32_e32 vcc_lo, v3, v7
	v_cndmask_b32_e64 v3, 0, 1, vcc_lo
	s_delay_alu instid0(VALU_DEP_1) | instskip(SKIP_1) | instid1(VALU_DEP_1)
	v_or_b32_e32 v3, v8, v3
	v_add_nc_u32_e32 v6, 0xfffffc10, v6
	v_lshl_or_b32 v7, v6, 12, v2
	v_cmp_gt_i32_e32 vcc_lo, 1, v6
	s_delay_alu instid0(VALU_DEP_2) | instskip(NEXT) | instid1(VALU_DEP_1)
	v_cndmask_b32_e32 v3, v7, v3, vcc_lo
	v_dual_lshrrev_b32 v3, 2, v3 :: v_dual_bitop2_b32 v7, 7, v3 bitop3:0x40
	s_delay_alu instid0(VALU_DEP_1) | instskip(SKIP_4) | instid1(VALU_DEP_2)
	v_cmp_lt_i32_e32 vcc_lo, 5, v7
	v_cndmask_b32_e64 v8, 0, 1, vcc_lo
	v_cmp_eq_u32_e32 vcc_lo, 3, v7
	v_cndmask_b32_e64 v7, 0, 1, vcc_lo
	v_cmp_ne_u32_e32 vcc_lo, 0, v2
	v_or_b32_e32 v7, v7, v8
	s_delay_alu instid0(VALU_DEP_1) | instskip(NEXT) | instid1(VALU_DEP_1)
	v_dual_mov_b32 v8, 0x7e00 :: v_dual_add_nc_u32 v3, v3, v7
	v_cndmask_b32_e32 v2, 0x7c00, v8, vcc_lo
	v_cmp_gt_i32_e32 vcc_lo, 31, v6
	s_delay_alu instid0(VALU_DEP_3) | instskip(SKIP_1) | instid1(VALU_DEP_2)
	v_cndmask_b32_e32 v3, 0x7c00, v3, vcc_lo
	v_cmp_eq_u32_e32 vcc_lo, 0x40f, v6
	v_dual_cndmask_b32 v2, v3, v2 :: v_dual_lshrrev_b32 v3, 16, v1
	s_delay_alu instid0(VALU_DEP_1)
	v_and_or_b32 v2, 0x8000, v3, v2
	global_store_b16 v[4:5], v2, off
.LBB134_3297:
	s_mov_b32 s0, 0
.LBB134_3298:
	s_delay_alu instid0(SALU_CYCLE_1)
	s_and_not1_b32 vcc_lo, exec_lo, s0
	s_cbranch_vccnz .LBB134_3314
; %bb.3299:
	s_sext_i32_i16 s1, s21
	s_mov_b32 s0, -1
	s_cmp_lt_i32 s1, 2
	s_cbranch_scc1 .LBB134_3309
; %bb.3300:
	s_cmp_lt_i32 s1, 3
	s_cbranch_scc1 .LBB134_3306
; %bb.3301:
	s_cmp_gt_i32 s1, 3
	s_cbranch_scc0 .LBB134_3303
; %bb.3302:
	s_wait_loadcnt 0x0
	v_trunc_f64_e32 v[2:3], v[0:1]
	s_mov_b32 s0, 0
	s_delay_alu instid0(VALU_DEP_1) | instskip(NEXT) | instid1(VALU_DEP_1)
	v_ldexp_f64 v[6:7], v[2:3], 0xffffffe0
	v_floor_f64_e32 v[6:7], v[6:7]
	s_delay_alu instid0(VALU_DEP_1) | instskip(SKIP_1) | instid1(VALU_DEP_2)
	v_fmamk_f64 v[2:3], v[6:7], 0xc1f00000, v[2:3]
	v_cvt_i32_f64_e32 v7, v[6:7]
	v_cvt_u32_f64_e32 v6, v[2:3]
	global_store_b64 v[4:5], v[6:7], off
.LBB134_3303:
	s_and_not1_b32 vcc_lo, exec_lo, s0
	s_cbranch_vccnz .LBB134_3305
; %bb.3304:
	s_wait_loadcnt 0x0
	v_cvt_i32_f64_e32 v2, v[0:1]
	global_store_b32 v[4:5], v2, off
.LBB134_3305:
	s_mov_b32 s0, 0
.LBB134_3306:
	s_delay_alu instid0(SALU_CYCLE_1)
	s_and_not1_b32 vcc_lo, exec_lo, s0
	s_cbranch_vccnz .LBB134_3308
; %bb.3307:
	s_wait_loadcnt 0x0
	v_cvt_i32_f64_e32 v2, v[0:1]
	global_store_b16 v[4:5], v2, off
.LBB134_3308:
	s_mov_b32 s0, 0
.LBB134_3309:
	s_delay_alu instid0(SALU_CYCLE_1)
	s_and_not1_b32 vcc_lo, exec_lo, s0
	s_cbranch_vccnz .LBB134_3314
; %bb.3310:
	s_sext_i32_i16 s0, s21
	s_delay_alu instid0(SALU_CYCLE_1)
	s_cmp_gt_i32 s0, 0
	s_mov_b32 s0, -1
	s_cbranch_scc0 .LBB134_3312
; %bb.3311:
	s_wait_loadcnt 0x0
	v_cvt_i32_f64_e32 v2, v[0:1]
	s_mov_b32 s0, 0
	global_store_b8 v[4:5], v2, off
.LBB134_3312:
	s_and_not1_b32 vcc_lo, exec_lo, s0
	s_cbranch_vccnz .LBB134_3314
; %bb.3313:
	s_wait_loadcnt 0x0
	v_trunc_f64_e32 v[0:1], v[0:1]
	s_delay_alu instid0(VALU_DEP_1) | instskip(NEXT) | instid1(VALU_DEP_1)
	v_ldexp_f64 v[2:3], v[0:1], 0xffffffe0
	v_floor_f64_e32 v[2:3], v[2:3]
	s_delay_alu instid0(VALU_DEP_1) | instskip(NEXT) | instid1(VALU_DEP_1)
	v_fmamk_f64 v[0:1], v[2:3], 0xc1f00000, v[0:1]
	v_cvt_u32_f64_e32 v0, v[0:1]
	global_store_b8 v[4:5], v0, off
	s_endpgm
.LBB134_3314:
	s_endpgm
.LBB134_3315:
	s_mov_b32 s1, 0
	s_mov_b32 s0, -1
	s_branch .LBB134_3271
.LBB134_3316:
	s_and_not1_saveexec_b32 s11, s11
	s_cbranch_execz .LBB134_2865
.LBB134_3317:
	v_add_f32_e64 v32, 0x46000000, |v5|
	s_and_not1_b32 s10, s10, exec_lo
	s_delay_alu instid0(VALU_DEP_1) | instskip(NEXT) | instid1(VALU_DEP_1)
	v_and_b32_e32 v32, 0xff, v32
	v_cmp_ne_u32_e32 vcc_lo, 0, v32
	s_and_b32 s12, vcc_lo, exec_lo
	s_delay_alu instid0(SALU_CYCLE_1)
	s_or_b32 s10, s10, s12
	s_or_b32 exec_lo, exec_lo, s11
	v_mov_b32_e32 v33, 0
	s_and_saveexec_b32 s11, s10
	s_cbranch_execnz .LBB134_2866
	s_branch .LBB134_2867
.LBB134_3318:
	s_or_b32 s17, s17, exec_lo
	s_trap 2
	s_cbranch_execz .LBB134_2913
	s_branch .LBB134_2914
.LBB134_3319:
	s_and_not1_saveexec_b32 s10, s10
	s_cbranch_execz .LBB134_2878
.LBB134_3320:
	v_add_f32_e64 v32, 0x42800000, |v5|
	s_and_not1_b32 s9, s9, exec_lo
	s_delay_alu instid0(VALU_DEP_1) | instskip(NEXT) | instid1(VALU_DEP_1)
	v_and_b32_e32 v32, 0xff, v32
	v_cmp_ne_u32_e32 vcc_lo, 0, v32
	s_and_b32 s11, vcc_lo, exec_lo
	s_delay_alu instid0(SALU_CYCLE_1)
	s_or_b32 s9, s9, s11
	s_or_b32 exec_lo, exec_lo, s10
	v_mov_b32_e32 v33, 0
	s_and_saveexec_b32 s10, s9
	s_cbranch_execnz .LBB134_2879
	s_branch .LBB134_2880
.LBB134_3321:
	s_and_not1_saveexec_b32 s12, s12
	s_cbranch_execz .LBB134_2984
.LBB134_3322:
	v_add_f32_e64 v8, 0x46000000, |v5|
	s_and_not1_b32 s11, s11, exec_lo
	s_delay_alu instid0(VALU_DEP_1) | instskip(NEXT) | instid1(VALU_DEP_1)
	v_and_b32_e32 v8, 0xff, v8
	v_cmp_ne_u32_e32 vcc_lo, 0, v8
	s_and_b32 s13, vcc_lo, exec_lo
	s_delay_alu instid0(SALU_CYCLE_1)
	s_or_b32 s11, s11, s13
	s_or_b32 exec_lo, exec_lo, s12
	v_mov_b32_e32 v9, 0
	s_and_saveexec_b32 s12, s11
	s_cbranch_execnz .LBB134_2985
	s_branch .LBB134_2986
.LBB134_3323:
	s_or_b32 s17, s17, exec_lo
	s_trap 2
	s_cbranch_execz .LBB134_3032
	s_branch .LBB134_3033
.LBB134_3324:
	s_and_not1_saveexec_b32 s11, s11
	s_cbranch_execz .LBB134_2997
.LBB134_3325:
	v_add_f32_e64 v8, 0x42800000, |v5|
	s_and_not1_b32 s10, s10, exec_lo
	s_delay_alu instid0(VALU_DEP_1) | instskip(NEXT) | instid1(VALU_DEP_1)
	v_and_b32_e32 v8, 0xff, v8
	v_cmp_ne_u32_e32 vcc_lo, 0, v8
	s_and_b32 s12, vcc_lo, exec_lo
	s_delay_alu instid0(SALU_CYCLE_1)
	s_or_b32 s10, s10, s12
	s_or_b32 exec_lo, exec_lo, s11
	v_mov_b32_e32 v9, 0
	s_and_saveexec_b32 s11, s10
	s_cbranch_execnz .LBB134_2998
	s_branch .LBB134_2999
.LBB134_3326:
	s_and_not1_saveexec_b32 s12, s12
	s_cbranch_execz .LBB134_3103
.LBB134_3327:
	v_add_f32_e64 v8, 0x46000000, |v5|
	s_and_not1_b32 s11, s11, exec_lo
	s_delay_alu instid0(VALU_DEP_1) | instskip(NEXT) | instid1(VALU_DEP_1)
	v_and_b32_e32 v8, 0xff, v8
	v_cmp_ne_u32_e32 vcc_lo, 0, v8
	s_and_b32 s13, vcc_lo, exec_lo
	s_delay_alu instid0(SALU_CYCLE_1)
	s_or_b32 s11, s11, s13
	s_or_b32 exec_lo, exec_lo, s12
	v_mov_b32_e32 v9, 0
	s_and_saveexec_b32 s12, s11
	s_cbranch_execnz .LBB134_3104
	s_branch .LBB134_3105
.LBB134_3328:
	s_or_b32 s17, s17, exec_lo
	s_trap 2
	s_cbranch_execz .LBB134_3151
	s_branch .LBB134_3152
.LBB134_3329:
	s_and_not1_saveexec_b32 s11, s11
	s_cbranch_execz .LBB134_3116
.LBB134_3330:
	v_add_f32_e64 v8, 0x42800000, |v5|
	s_and_not1_b32 s10, s10, exec_lo
	s_delay_alu instid0(VALU_DEP_1) | instskip(NEXT) | instid1(VALU_DEP_1)
	v_and_b32_e32 v8, 0xff, v8
	v_cmp_ne_u32_e32 vcc_lo, 0, v8
	s_and_b32 s12, vcc_lo, exec_lo
	s_delay_alu instid0(SALU_CYCLE_1)
	s_or_b32 s10, s10, s12
	s_or_b32 exec_lo, exec_lo, s11
	v_mov_b32_e32 v9, 0
	s_and_saveexec_b32 s11, s10
	s_cbranch_execnz .LBB134_3117
	s_branch .LBB134_3118
.LBB134_3331:
	s_and_not1_saveexec_b32 s5, s5
	s_cbranch_execz .LBB134_3223
.LBB134_3332:
	v_add_f32_e64 v7, 0x46000000, |v6|
	s_and_not1_b32 s4, s4, exec_lo
	s_delay_alu instid0(VALU_DEP_1) | instskip(NEXT) | instid1(VALU_DEP_1)
	v_and_b32_e32 v7, 0xff, v7
	v_cmp_ne_u32_e32 vcc_lo, 0, v7
	s_and_b32 s6, vcc_lo, exec_lo
	s_delay_alu instid0(SALU_CYCLE_1)
	s_or_b32 s4, s4, s6
	s_or_b32 exec_lo, exec_lo, s5
	v_mov_b32_e32 v8, 0
	s_and_saveexec_b32 s5, s4
	s_cbranch_execnz .LBB134_3224
	s_branch .LBB134_3225
.LBB134_3333:
	s_mov_b32 s1, 0
	s_or_b32 s17, s17, exec_lo
	s_trap 2
	s_branch .LBB134_3269
.LBB134_3334:
	s_and_not1_saveexec_b32 s4, s4
	s_cbranch_execz .LBB134_3235
.LBB134_3335:
	v_add_f32_e64 v7, 0x42800000, |v6|
	s_and_not1_b32 s3, s3, exec_lo
	s_delay_alu instid0(VALU_DEP_1) | instskip(NEXT) | instid1(VALU_DEP_1)
	v_and_b32_e32 v7, 0xff, v7
	v_cmp_ne_u32_e32 vcc_lo, 0, v7
	s_and_b32 s5, vcc_lo, exec_lo
	s_delay_alu instid0(SALU_CYCLE_1)
	s_or_b32 s3, s3, s5
	s_or_b32 exec_lo, exec_lo, s4
	v_mov_b32_e32 v8, 0
	s_and_saveexec_b32 s4, s3
	s_cbranch_execnz .LBB134_3236
	s_branch .LBB134_3237
	.section	.rodata,"a",@progbits
	.p2align	6, 0x0
	.amdhsa_kernel _ZN2at6native32elementwise_kernel_manual_unrollILi128ELi4EZNS0_15gpu_kernel_implIZZZNS0_12_GLOBAL__N_116addr_kernel_cudaERNS_14TensorIteratorERKN3c106ScalarES9_ENKUlvE_clEvENKUlvE6_clEvEUlNS6_7complexIdEESD_SD_E_EEvRNS_18TensorIteratorBaseERKT_EUlibE_EEviT1_
		.amdhsa_group_segment_fixed_size 0
		.amdhsa_private_segment_fixed_size 0
		.amdhsa_kernarg_size 96
		.amdhsa_user_sgpr_count 2
		.amdhsa_user_sgpr_dispatch_ptr 0
		.amdhsa_user_sgpr_queue_ptr 0
		.amdhsa_user_sgpr_kernarg_segment_ptr 1
		.amdhsa_user_sgpr_dispatch_id 0
		.amdhsa_user_sgpr_kernarg_preload_length 0
		.amdhsa_user_sgpr_kernarg_preload_offset 0
		.amdhsa_user_sgpr_private_segment_size 0
		.amdhsa_wavefront_size32 1
		.amdhsa_uses_dynamic_stack 0
		.amdhsa_enable_private_segment 0
		.amdhsa_system_sgpr_workgroup_id_x 1
		.amdhsa_system_sgpr_workgroup_id_y 0
		.amdhsa_system_sgpr_workgroup_id_z 0
		.amdhsa_system_sgpr_workgroup_info 0
		.amdhsa_system_vgpr_workitem_id 0
		.amdhsa_next_free_vgpr 42
		.amdhsa_next_free_sgpr 42
		.amdhsa_named_barrier_count 0
		.amdhsa_reserve_vcc 1
		.amdhsa_float_round_mode_32 0
		.amdhsa_float_round_mode_16_64 0
		.amdhsa_float_denorm_mode_32 3
		.amdhsa_float_denorm_mode_16_64 3
		.amdhsa_fp16_overflow 0
		.amdhsa_memory_ordered 1
		.amdhsa_forward_progress 1
		.amdhsa_inst_pref_size 255
		.amdhsa_round_robin_scheduling 0
		.amdhsa_exception_fp_ieee_invalid_op 0
		.amdhsa_exception_fp_denorm_src 0
		.amdhsa_exception_fp_ieee_div_zero 0
		.amdhsa_exception_fp_ieee_overflow 0
		.amdhsa_exception_fp_ieee_underflow 0
		.amdhsa_exception_fp_ieee_inexact 0
		.amdhsa_exception_int_div_zero 0
	.end_amdhsa_kernel
	.section	.text._ZN2at6native32elementwise_kernel_manual_unrollILi128ELi4EZNS0_15gpu_kernel_implIZZZNS0_12_GLOBAL__N_116addr_kernel_cudaERNS_14TensorIteratorERKN3c106ScalarES9_ENKUlvE_clEvENKUlvE6_clEvEUlNS6_7complexIdEESD_SD_E_EEvRNS_18TensorIteratorBaseERKT_EUlibE_EEviT1_,"axG",@progbits,_ZN2at6native32elementwise_kernel_manual_unrollILi128ELi4EZNS0_15gpu_kernel_implIZZZNS0_12_GLOBAL__N_116addr_kernel_cudaERNS_14TensorIteratorERKN3c106ScalarES9_ENKUlvE_clEvENKUlvE6_clEvEUlNS6_7complexIdEESD_SD_E_EEvRNS_18TensorIteratorBaseERKT_EUlibE_EEviT1_,comdat
.Lfunc_end134:
	.size	_ZN2at6native32elementwise_kernel_manual_unrollILi128ELi4EZNS0_15gpu_kernel_implIZZZNS0_12_GLOBAL__N_116addr_kernel_cudaERNS_14TensorIteratorERKN3c106ScalarES9_ENKUlvE_clEvENKUlvE6_clEvEUlNS6_7complexIdEESD_SD_E_EEvRNS_18TensorIteratorBaseERKT_EUlibE_EEviT1_, .Lfunc_end134-_ZN2at6native32elementwise_kernel_manual_unrollILi128ELi4EZNS0_15gpu_kernel_implIZZZNS0_12_GLOBAL__N_116addr_kernel_cudaERNS_14TensorIteratorERKN3c106ScalarES9_ENKUlvE_clEvENKUlvE6_clEvEUlNS6_7complexIdEESD_SD_E_EEvRNS_18TensorIteratorBaseERKT_EUlibE_EEviT1_
                                        ; -- End function
	.set _ZN2at6native32elementwise_kernel_manual_unrollILi128ELi4EZNS0_15gpu_kernel_implIZZZNS0_12_GLOBAL__N_116addr_kernel_cudaERNS_14TensorIteratorERKN3c106ScalarES9_ENKUlvE_clEvENKUlvE6_clEvEUlNS6_7complexIdEESD_SD_E_EEvRNS_18TensorIteratorBaseERKT_EUlibE_EEviT1_.num_vgpr, 42
	.set _ZN2at6native32elementwise_kernel_manual_unrollILi128ELi4EZNS0_15gpu_kernel_implIZZZNS0_12_GLOBAL__N_116addr_kernel_cudaERNS_14TensorIteratorERKN3c106ScalarES9_ENKUlvE_clEvENKUlvE6_clEvEUlNS6_7complexIdEESD_SD_E_EEvRNS_18TensorIteratorBaseERKT_EUlibE_EEviT1_.num_agpr, 0
	.set _ZN2at6native32elementwise_kernel_manual_unrollILi128ELi4EZNS0_15gpu_kernel_implIZZZNS0_12_GLOBAL__N_116addr_kernel_cudaERNS_14TensorIteratorERKN3c106ScalarES9_ENKUlvE_clEvENKUlvE6_clEvEUlNS6_7complexIdEESD_SD_E_EEvRNS_18TensorIteratorBaseERKT_EUlibE_EEviT1_.numbered_sgpr, 42
	.set _ZN2at6native32elementwise_kernel_manual_unrollILi128ELi4EZNS0_15gpu_kernel_implIZZZNS0_12_GLOBAL__N_116addr_kernel_cudaERNS_14TensorIteratorERKN3c106ScalarES9_ENKUlvE_clEvENKUlvE6_clEvEUlNS6_7complexIdEESD_SD_E_EEvRNS_18TensorIteratorBaseERKT_EUlibE_EEviT1_.num_named_barrier, 0
	.set _ZN2at6native32elementwise_kernel_manual_unrollILi128ELi4EZNS0_15gpu_kernel_implIZZZNS0_12_GLOBAL__N_116addr_kernel_cudaERNS_14TensorIteratorERKN3c106ScalarES9_ENKUlvE_clEvENKUlvE6_clEvEUlNS6_7complexIdEESD_SD_E_EEvRNS_18TensorIteratorBaseERKT_EUlibE_EEviT1_.private_seg_size, 0
	.set _ZN2at6native32elementwise_kernel_manual_unrollILi128ELi4EZNS0_15gpu_kernel_implIZZZNS0_12_GLOBAL__N_116addr_kernel_cudaERNS_14TensorIteratorERKN3c106ScalarES9_ENKUlvE_clEvENKUlvE6_clEvEUlNS6_7complexIdEESD_SD_E_EEvRNS_18TensorIteratorBaseERKT_EUlibE_EEviT1_.uses_vcc, 1
	.set _ZN2at6native32elementwise_kernel_manual_unrollILi128ELi4EZNS0_15gpu_kernel_implIZZZNS0_12_GLOBAL__N_116addr_kernel_cudaERNS_14TensorIteratorERKN3c106ScalarES9_ENKUlvE_clEvENKUlvE6_clEvEUlNS6_7complexIdEESD_SD_E_EEvRNS_18TensorIteratorBaseERKT_EUlibE_EEviT1_.uses_flat_scratch, 0
	.set _ZN2at6native32elementwise_kernel_manual_unrollILi128ELi4EZNS0_15gpu_kernel_implIZZZNS0_12_GLOBAL__N_116addr_kernel_cudaERNS_14TensorIteratorERKN3c106ScalarES9_ENKUlvE_clEvENKUlvE6_clEvEUlNS6_7complexIdEESD_SD_E_EEvRNS_18TensorIteratorBaseERKT_EUlibE_EEviT1_.has_dyn_sized_stack, 0
	.set _ZN2at6native32elementwise_kernel_manual_unrollILi128ELi4EZNS0_15gpu_kernel_implIZZZNS0_12_GLOBAL__N_116addr_kernel_cudaERNS_14TensorIteratorERKN3c106ScalarES9_ENKUlvE_clEvENKUlvE6_clEvEUlNS6_7complexIdEESD_SD_E_EEvRNS_18TensorIteratorBaseERKT_EUlibE_EEviT1_.has_recursion, 0
	.set _ZN2at6native32elementwise_kernel_manual_unrollILi128ELi4EZNS0_15gpu_kernel_implIZZZNS0_12_GLOBAL__N_116addr_kernel_cudaERNS_14TensorIteratorERKN3c106ScalarES9_ENKUlvE_clEvENKUlvE6_clEvEUlNS6_7complexIdEESD_SD_E_EEvRNS_18TensorIteratorBaseERKT_EUlibE_EEviT1_.has_indirect_call, 0
	.section	.AMDGPU.csdata,"",@progbits
; Kernel info:
; codeLenInByte = 67240
; TotalNumSgprs: 44
; NumVgprs: 42
; ScratchSize: 0
; MemoryBound: 1
; FloatMode: 240
; IeeeMode: 1
; LDSByteSize: 0 bytes/workgroup (compile time only)
; SGPRBlocks: 0
; VGPRBlocks: 2
; NumSGPRsForWavesPerEU: 44
; NumVGPRsForWavesPerEU: 42
; NamedBarCnt: 0
; Occupancy: 16
; WaveLimiterHint : 0
; COMPUTE_PGM_RSRC2:SCRATCH_EN: 0
; COMPUTE_PGM_RSRC2:USER_SGPR: 2
; COMPUTE_PGM_RSRC2:TRAP_HANDLER: 0
; COMPUTE_PGM_RSRC2:TGID_X_EN: 1
; COMPUTE_PGM_RSRC2:TGID_Y_EN: 0
; COMPUTE_PGM_RSRC2:TGID_Z_EN: 0
; COMPUTE_PGM_RSRC2:TIDIG_COMP_CNT: 0
	.section	.text._ZN2at6native32elementwise_kernel_manual_unrollILi128ELi4EZNS0_15gpu_kernel_implIZZZNS0_12_GLOBAL__N_116addr_kernel_cudaERNS_14TensorIteratorERKN3c106ScalarES9_ENKUlvE_clEvENKUlvE6_clEvEUlNS6_7complexIdEESD_SD_E_EEvRNS_18TensorIteratorBaseERKT_EUlibE0_EEviT1_,"axG",@progbits,_ZN2at6native32elementwise_kernel_manual_unrollILi128ELi4EZNS0_15gpu_kernel_implIZZZNS0_12_GLOBAL__N_116addr_kernel_cudaERNS_14TensorIteratorERKN3c106ScalarES9_ENKUlvE_clEvENKUlvE6_clEvEUlNS6_7complexIdEESD_SD_E_EEvRNS_18TensorIteratorBaseERKT_EUlibE0_EEviT1_,comdat
	.globl	_ZN2at6native32elementwise_kernel_manual_unrollILi128ELi4EZNS0_15gpu_kernel_implIZZZNS0_12_GLOBAL__N_116addr_kernel_cudaERNS_14TensorIteratorERKN3c106ScalarES9_ENKUlvE_clEvENKUlvE6_clEvEUlNS6_7complexIdEESD_SD_E_EEvRNS_18TensorIteratorBaseERKT_EUlibE0_EEviT1_ ; -- Begin function _ZN2at6native32elementwise_kernel_manual_unrollILi128ELi4EZNS0_15gpu_kernel_implIZZZNS0_12_GLOBAL__N_116addr_kernel_cudaERNS_14TensorIteratorERKN3c106ScalarES9_ENKUlvE_clEvENKUlvE6_clEvEUlNS6_7complexIdEESD_SD_E_EEvRNS_18TensorIteratorBaseERKT_EUlibE0_EEviT1_
	.p2align	8
	.type	_ZN2at6native32elementwise_kernel_manual_unrollILi128ELi4EZNS0_15gpu_kernel_implIZZZNS0_12_GLOBAL__N_116addr_kernel_cudaERNS_14TensorIteratorERKN3c106ScalarES9_ENKUlvE_clEvENKUlvE6_clEvEUlNS6_7complexIdEESD_SD_E_EEvRNS_18TensorIteratorBaseERKT_EUlibE0_EEviT1_,@function
_ZN2at6native32elementwise_kernel_manual_unrollILi128ELi4EZNS0_15gpu_kernel_implIZZZNS0_12_GLOBAL__N_116addr_kernel_cudaERNS_14TensorIteratorERKN3c106ScalarES9_ENKUlvE_clEvENKUlvE6_clEvEUlNS6_7complexIdEESD_SD_E_EEvRNS_18TensorIteratorBaseERKT_EUlibE0_EEviT1_: ; @_ZN2at6native32elementwise_kernel_manual_unrollILi128ELi4EZNS0_15gpu_kernel_implIZZZNS0_12_GLOBAL__N_116addr_kernel_cudaERNS_14TensorIteratorERKN3c106ScalarES9_ENKUlvE_clEvENKUlvE6_clEvEUlNS6_7complexIdEESD_SD_E_EEvRNS_18TensorIteratorBaseERKT_EUlibE0_EEviT1_
; %bb.0:
	s_clause 0x1
	s_load_b32 s19, s[0:1], 0x10
	s_load_b32 s43, s[0:1], 0x0
	s_bfe_u32 s2, ttmp6, 0x4000c
	s_and_b32 s3, ttmp6, 15
	s_add_co_i32 s2, s2, 1
	s_getreg_b32 s4, hwreg(HW_REG_IB_STS2, 6, 4)
	s_mul_i32 s2, ttmp9, s2
	s_mov_b32 s34, 0
	s_add_co_i32 s3, s3, s2
	s_cmp_eq_u32 s4, 0
	s_mov_b32 s28, -1
	s_cselect_b32 s2, ttmp9, s3
	s_mov_b32 s10, 0
	v_lshl_or_b32 v8, s2, 9, v0
	s_add_nc_u64 s[2:3], s[0:1], 16
	s_wait_xcnt 0x0
	s_mov_b32 s0, exec_lo
	s_delay_alu instid0(VALU_DEP_1) | instskip(SKIP_2) | instid1(SALU_CYCLE_1)
	v_or_b32_e32 v1, 0x180, v8
	s_wait_kmcnt 0x0
	s_add_co_i32 s33, s19, -1
	s_cmp_gt_u32 s33, 1
	s_cselect_b32 s35, -1, 0
	v_cmpx_le_i32_e64 s43, v1
	s_xor_b32 s36, exec_lo, s0
	s_cbranch_execz .LBB135_1708
; %bb.1:
	s_clause 0x8
	s_load_b128 s[12:15], s[2:3], 0x4
	s_load_b64 s[0:1], s[2:3], 0x14
	s_load_b32 s37, s[2:3], 0x200
	s_load_b32 s40, s[2:3], 0xc4
	s_load_b96 s[16:18], s[2:3], 0xcc
	s_load_b64 s[24:25], s[2:3], 0xdc
	s_load_b64 s[20:21], s[2:3], 0x1c8
	s_load_b128 s[4:7], s[2:3], 0x1f0
	s_load_b128 s[8:11], s[2:3], 0x1d8
	s_cmp_lg_u32 s19, 0
	s_mov_b32 s23, 0
	s_cselect_b32 s44, -1, 0
	s_min_u32 s42, s33, 15
	s_cmp_gt_u32 s19, 1
	s_mov_b32 s27, s23
	s_cselect_b32 s41, -1, 0
	s_mov_b32 s48, s23
	s_mov_b32 s47, s23
	;; [unrolled: 1-line block ×4, first 2 shown]
	s_wait_kmcnt 0x0
	s_mov_b32 s22, s13
	s_mov_b32 s26, s0
	s_lshr_b32 s38, s37, 16
	s_lshr_b32 s39, s37, 8
	;; [unrolled: 1-line block ×3, first 2 shown]
	s_mov_b32 s49, exec_lo
	v_cmpx_gt_i32_e64 s43, v8
	s_cbranch_execz .LBB135_423
; %bb.2:
	s_and_not1_b32 vcc_lo, exec_lo, s35
	s_cbranch_vccnz .LBB135_8
; %bb.3:
	s_and_not1_b32 vcc_lo, exec_lo, s44
	s_cbranch_vccnz .LBB135_9
; %bb.4:
	v_dual_mov_b32 v10, 0 :: v_dual_mov_b32 v1, v8
	v_dual_mov_b32 v0, 0 :: v_dual_mov_b32 v4, 0
	s_add_co_i32 s0, s42, 1
	s_mov_b64 s[28:29], 0xffffffffffffffe0
	s_and_b32 s0, s0, 30
	s_add_nc_u64 s[28:29], s[2:3], s[28:29]
	s_mov_b64 s[30:31], s[2:3]
.LBB135_5:                              ; =>This Inner Loop Header: Depth=1
	s_clause 0x1
	s_load_b128 s[52:55], s[30:31], 0x4
	s_load_b64 s[46:47], s[30:31], 0x14
	s_load_b32 s45, s[28:29], 0xe4
	s_add_co_i32 s0, s0, -2
	s_wait_xcnt 0x0
	s_add_nc_u64 s[30:31], s[30:31], 24
	s_cmp_lg_u32 s0, 0
	s_wait_kmcnt 0x0
	v_mul_hi_u32 v2, s53, v1
	s_delay_alu instid0(VALU_DEP_1) | instskip(NEXT) | instid1(VALU_DEP_1)
	v_add_nc_u32_e32 v2, v1, v2
	v_lshrrev_b32_e32 v2, s54, v2
	s_delay_alu instid0(VALU_DEP_1) | instskip(SKIP_2) | instid1(VALU_DEP_1)
	v_mul_hi_u32 v3, s46, v2
	v_mul_lo_u32 v5, v2, s52
	s_load_b96 s[52:54], s[28:29], 0xec
	v_dual_add_nc_u32 v3, v2, v3 :: v_dual_sub_nc_u32 v5, v1, v5
	s_delay_alu instid0(VALU_DEP_1) | instskip(SKIP_1) | instid1(VALU_DEP_2)
	v_lshrrev_b32_e32 v1, s47, v3
	s_load_b64 s[46:47], s[28:29], 0xfc
	v_mad_u32 v6, v5, s45, v10
	s_wait_xcnt 0x0
	s_add_nc_u64 s[28:29], s[28:29], 32
	v_mul_lo_u32 v3, v1, s55
	s_wait_kmcnt 0x0
	v_mad_u32 v4, v5, s53, v4
	v_mad_u32 v0, v5, s52, v0
	s_delay_alu instid0(VALU_DEP_3) | instskip(NEXT) | instid1(VALU_DEP_1)
	v_sub_nc_u32_e32 v2, v2, v3
	v_mad_u32 v10, v2, s54, v6
	s_delay_alu instid0(VALU_DEP_4) | instskip(NEXT) | instid1(VALU_DEP_4)
	v_mad_u32 v4, v2, s47, v4
	v_mad_u32 v0, v2, s46, v0
	s_cbranch_scc1 .LBB135_5
; %bb.6:
	s_bitcmp1_b32 s42, 0
	s_cselect_b32 s0, -1, 0
	s_delay_alu instid0(SALU_CYCLE_1)
	s_and_b32 vcc_lo, exec_lo, s0
	s_cbranch_vccnz .LBB135_10
; %bb.7:
	s_load_b96 s[52:54], s[30:31], 0x4
	s_load_b32 s0, s[28:29], 0xe4
	s_wait_xcnt 0x0
	s_load_b64 s[30:31], s[28:29], 0xec
	s_wait_kmcnt 0x0
	v_mul_hi_u32 v2, s53, v1
	s_delay_alu instid0(VALU_DEP_1) | instskip(NEXT) | instid1(VALU_DEP_1)
	v_add_nc_u32_e32 v2, v1, v2
	v_lshrrev_b32_e32 v2, s54, v2
	s_delay_alu instid0(VALU_DEP_1) | instskip(NEXT) | instid1(VALU_DEP_1)
	v_mul_lo_u32 v2, v2, s52
	v_sub_nc_u32_e32 v1, v1, v2
	s_delay_alu instid0(VALU_DEP_1)
	v_mad_u32 v10, v1, s0, v10
	v_mad_u32 v0, v1, s30, v0
	;; [unrolled: 1-line block ×3, first 2 shown]
	s_cbranch_execz .LBB135_11
	s_branch .LBB135_13
.LBB135_8:
                                        ; implicit-def: $vgpr4
                                        ; implicit-def: $vgpr0
                                        ; implicit-def: $vgpr10
	s_branch .LBB135_11
.LBB135_9:
	v_dual_mov_b32 v4, 0 :: v_dual_mov_b32 v0, 0
	v_mov_b32_e32 v10, 0
.LBB135_10:
	s_cbranch_execnz .LBB135_13
.LBB135_11:
	v_mov_b32_e32 v9, 0
	s_and_not1_b32 vcc_lo, exec_lo, s41
	s_delay_alu instid0(VALU_DEP_1) | instskip(NEXT) | instid1(VALU_DEP_1)
	v_mul_u64_e32 v[0:1], s[22:23], v[8:9]
	v_add_nc_u32_e32 v0, v8, v1
	s_delay_alu instid0(VALU_DEP_1) | instskip(NEXT) | instid1(VALU_DEP_1)
	v_lshrrev_b32_e32 v2, s14, v0
	v_mul_lo_u32 v0, v2, s12
	s_delay_alu instid0(VALU_DEP_1) | instskip(NEXT) | instid1(VALU_DEP_1)
	v_sub_nc_u32_e32 v0, v8, v0
	v_mul_lo_u32 v10, v0, s40
	v_mul_lo_u32 v4, v0, s17
	;; [unrolled: 1-line block ×3, first 2 shown]
	s_cbranch_vccnz .LBB135_13
; %bb.12:
	v_mov_b32_e32 v3, v9
	s_delay_alu instid0(VALU_DEP_1) | instskip(NEXT) | instid1(VALU_DEP_1)
	v_mul_u64_e32 v[6:7], s[26:27], v[2:3]
	v_add_nc_u32_e32 v1, v2, v7
	s_delay_alu instid0(VALU_DEP_1) | instskip(NEXT) | instid1(VALU_DEP_1)
	v_lshrrev_b32_e32 v1, s1, v1
	v_mul_lo_u32 v1, v1, s15
	s_delay_alu instid0(VALU_DEP_1) | instskip(NEXT) | instid1(VALU_DEP_1)
	v_sub_nc_u32_e32 v1, v2, v1
	v_mad_u32 v10, v1, s18, v10
	v_mad_u32 v0, v1, s24, v0
	;; [unrolled: 1-line block ×3, first 2 shown]
.LBB135_13:
	s_and_b32 s28, s39, 0xff
	s_delay_alu instid0(SALU_CYCLE_1)
	s_cmp_lt_i32 s28, 23
	s_cbranch_scc1 .LBB135_17
; %bb.14:
	s_and_b32 s30, 0xffff, s28
	s_delay_alu instid0(SALU_CYCLE_1)
	s_cmp_gt_i32 s30, 43
	s_cbranch_scc0 .LBB135_18
; %bb.15:
	s_cmp_gt_i32 s30, 45
	s_cbranch_scc0 .LBB135_19
; %bb.16:
	s_cmp_eq_u32 s30, 46
	s_mov_b32 s31, 0
	s_mov_b32 s29, -1
	s_cselect_b32 s0, -1, 0
	s_branch .LBB135_20
.LBB135_17:
	s_mov_b32 s29, 0
	s_mov_b32 s0, 0
	s_cbranch_execnz .LBB135_25
	s_branch .LBB135_29
.LBB135_18:
	s_mov_b32 s29, 0
	s_mov_b32 s0, 0
	s_cbranch_execnz .LBB135_23
	s_branch .LBB135_24
.LBB135_19:
	s_mov_b32 s31, -1
	s_mov_b32 s29, 0
	s_mov_b32 s0, 0
.LBB135_20:
	s_and_not1_b32 vcc_lo, exec_lo, s31
	s_cbranch_vccnz .LBB135_22
; %bb.21:
	s_cmp_eq_u32 s30, 44
	s_cselect_b32 s0, -1, 0
	s_cmp_lg_u32 s30, 44
	s_cselect_b32 s29, -1, 0
.LBB135_22:
	s_branch .LBB135_24
.LBB135_23:
	s_cmp_lt_i32 s30, 30
	s_cselect_b32 s0, -1, 0
	s_cmp_gt_i32 s30, 29
	s_cselect_b32 s29, -1, 0
.LBB135_24:
	s_branch .LBB135_29
.LBB135_25:
	s_and_b32 s28, 0xffff, s28
	s_mov_b32 s30, -1
	s_cmp_gt_i32 s28, 14
	s_cbranch_scc0 .LBB135_27
; %bb.26:
	s_cmp_eq_u32 s28, 15
	s_mov_b32 s30, 0
	s_cselect_b32 s0, -1, 0
	s_cmp_lg_u32 s28, 15
	s_cselect_b32 s29, -1, 0
.LBB135_27:
	s_and_not1_b32 vcc_lo, exec_lo, s30
	s_cbranch_vccnz .LBB135_29
; %bb.28:
	s_cmp_lt_i32 s28, 12
	s_cselect_b32 s0, -1, 0
	s_cmp_gt_i32 s28, 11
	s_cselect_b32 s29, -1, 0
.LBB135_29:
	s_and_b32 vcc_lo, exec_lo, s0
	s_cbranch_vccz .LBB135_37
; %bb.30:
	v_mov_b32_e32 v1, 0
	s_and_b32 s0, s38, 0xff
	s_delay_alu instid0(SALU_CYCLE_1) | instskip(NEXT) | instid1(VALU_DEP_1)
	s_cmp_lt_i32 s0, 11
	v_add_nc_u64_e32 v[6:7], s[8:9], v[0:1]
	s_cbranch_scc1 .LBB135_39
; %bb.31:
	s_and_b32 s29, 0xffff, s0
	s_delay_alu instid0(SALU_CYCLE_1)
	s_cmp_gt_i32 s29, 25
	s_cbranch_scc0 .LBB135_40
; %bb.32:
	s_cmp_gt_i32 s29, 28
	s_cbranch_scc0 .LBB135_41
; %bb.33:
	;; [unrolled: 3-line block ×4, first 2 shown]
	s_cmp_eq_u32 s29, 46
	s_mov_b32 s31, 0
	s_cbranch_scc0 .LBB135_44
; %bb.36:
	global_load_b32 v0, v[6:7], off
	s_mov_b32 s30, -1
	s_mov_b32 s28, 0
	s_wait_loadcnt 0x0
	v_lshlrev_b32_e32 v1, 16, v0
	v_and_b32_e32 v2, 0xffff0000, v0
	s_delay_alu instid0(VALU_DEP_2) | instskip(NEXT) | instid1(VALU_DEP_2)
	v_cvt_f64_f32_e32 v[0:1], v1
	v_cvt_f64_f32_e32 v[2:3], v2
	s_branch .LBB135_46
.LBB135_37:
	s_mov_b32 s0, 0
	s_mov_b32 s30, 0
	;; [unrolled: 1-line block ×3, first 2 shown]
.LBB135_38:
	s_mov_b32 s31, 0
                                        ; implicit-def: $vgpr8
	s_branch .LBB135_422
.LBB135_39:
	s_mov_b32 s28, 0
	s_mov_b32 s30, 0
                                        ; implicit-def: $vgpr2_vgpr3
	s_cbranch_execnz .LBB135_110
	s_branch .LBB135_160
.LBB135_40:
	s_mov_b32 s31, -1
	s_mov_b32 s28, 0
	s_mov_b32 s30, 0
                                        ; implicit-def: $vgpr2_vgpr3
	s_branch .LBB135_75
.LBB135_41:
	s_mov_b32 s31, -1
	s_mov_b32 s28, 0
	s_mov_b32 s30, 0
                                        ; implicit-def: $vgpr2_vgpr3
	s_branch .LBB135_58
.LBB135_42:
	s_mov_b32 s31, -1
	s_mov_b32 s28, 0
	s_mov_b32 s30, 0
                                        ; implicit-def: $vgpr2_vgpr3
	s_branch .LBB135_52
.LBB135_43:
	s_mov_b32 s31, -1
	s_mov_b32 s28, 0
	s_branch .LBB135_45
.LBB135_44:
	s_mov_b32 s28, -1
.LBB135_45:
	s_mov_b32 s30, 0
                                        ; implicit-def: $vgpr2_vgpr3
.LBB135_46:
	s_and_b32 vcc_lo, exec_lo, s31
	s_cbranch_vccz .LBB135_51
; %bb.47:
	s_cmp_eq_u32 s29, 44
	s_cbranch_scc0 .LBB135_49
; %bb.48:
	global_load_u8 v2, v[6:7], off
	s_mov_b32 s28, 0
	s_mov_b32 s30, -1
	s_wait_loadcnt 0x0
	v_cmp_ne_u32_e32 vcc_lo, 0xff, v2
	v_lshlrev_b32_e32 v0, 23, v2
	s_delay_alu instid0(VALU_DEP_1) | instskip(NEXT) | instid1(VALU_DEP_1)
	v_cvt_f64_f32_e32 v[0:1], v0
	v_cndmask_b32_e32 v0, 0x20000000, v0, vcc_lo
	s_delay_alu instid0(VALU_DEP_2) | instskip(SKIP_1) | instid1(VALU_DEP_2)
	v_cndmask_b32_e32 v1, 0x7ff80000, v1, vcc_lo
	v_cmp_ne_u32_e32 vcc_lo, 0, v2
	v_cndmask_b32_e32 v1, 0x38000000, v1, vcc_lo
	s_delay_alu instid0(VALU_DEP_4)
	v_cndmask_b32_e32 v0, 0, v0, vcc_lo
	s_branch .LBB135_50
.LBB135_49:
	s_mov_b32 s28, -1
                                        ; implicit-def: $vgpr0_vgpr1
.LBB135_50:
	v_mov_b64_e32 v[2:3], 0
.LBB135_51:
	s_mov_b32 s31, 0
.LBB135_52:
	s_delay_alu instid0(SALU_CYCLE_1)
	s_and_b32 vcc_lo, exec_lo, s31
	s_cbranch_vccz .LBB135_57
; %bb.53:
	s_cmp_eq_u32 s29, 29
	s_cbranch_scc0 .LBB135_55
; %bb.54:
	global_load_b64 v[0:1], v[6:7], off
	s_mov_b32 s30, -1
	s_mov_b32 s28, 0
	s_wait_loadcnt 0x0
	v_cvt_f64_u32_e32 v[2:3], v1
	v_cvt_f64_u32_e32 v[0:1], v0
	s_delay_alu instid0(VALU_DEP_2) | instskip(NEXT) | instid1(VALU_DEP_1)
	v_ldexp_f64 v[2:3], v[2:3], 32
	v_add_f64_e32 v[0:1], v[2:3], v[0:1]
	s_branch .LBB135_56
.LBB135_55:
	s_mov_b32 s28, -1
                                        ; implicit-def: $vgpr0_vgpr1
.LBB135_56:
	v_mov_b64_e32 v[2:3], 0
.LBB135_57:
	s_mov_b32 s31, 0
.LBB135_58:
	s_delay_alu instid0(SALU_CYCLE_1)
	s_and_b32 vcc_lo, exec_lo, s31
	s_cbranch_vccz .LBB135_74
; %bb.59:
	s_cmp_lt_i32 s29, 27
	s_cbranch_scc1 .LBB135_62
; %bb.60:
	s_cmp_gt_i32 s29, 27
	s_cbranch_scc0 .LBB135_63
; %bb.61:
	global_load_b32 v0, v[6:7], off
	s_mov_b32 s30, 0
	s_wait_loadcnt 0x0
	v_cvt_f64_u32_e32 v[0:1], v0
	s_branch .LBB135_64
.LBB135_62:
	s_mov_b32 s30, -1
                                        ; implicit-def: $vgpr0_vgpr1
	s_branch .LBB135_67
.LBB135_63:
	s_mov_b32 s30, -1
                                        ; implicit-def: $vgpr0_vgpr1
.LBB135_64:
	s_delay_alu instid0(SALU_CYCLE_1)
	s_and_not1_b32 vcc_lo, exec_lo, s30
	s_cbranch_vccnz .LBB135_66
; %bb.65:
	global_load_u16 v0, v[6:7], off
	s_wait_loadcnt 0x0
	v_cvt_f64_u32_e32 v[0:1], v0
.LBB135_66:
	s_mov_b32 s30, 0
.LBB135_67:
	s_delay_alu instid0(SALU_CYCLE_1)
	s_and_not1_b32 vcc_lo, exec_lo, s30
	s_cbranch_vccnz .LBB135_73
; %bb.68:
	global_load_u8 v2, v[6:7], off
	s_mov_b32 s30, 0
	s_mov_b32 s31, exec_lo
	s_wait_loadcnt 0x0
	v_cmpx_lt_i16_e32 0x7f, v2
	s_xor_b32 s31, exec_lo, s31
	s_cbranch_execnz .LBB135_86
; %bb.69:
	s_or_saveexec_b32 s31, s31
	v_mov_b64_e32 v[0:1], 0x7ff8000020000000
	s_xor_b32 exec_lo, exec_lo, s31
	s_cbranch_execnz .LBB135_89
.LBB135_70:
	s_or_b32 exec_lo, exec_lo, s31
	s_and_saveexec_b32 s31, s30
	s_cbranch_execz .LBB135_72
.LBB135_71:
	v_and_b32_e32 v0, 0xffff, v2
	s_delay_alu instid0(VALU_DEP_1) | instskip(SKIP_1) | instid1(VALU_DEP_2)
	v_and_b32_e32 v1, 7, v0
	v_bfe_u32 v9, v0, 3, 4
	v_clz_i32_u32_e32 v3, v1
	s_delay_alu instid0(VALU_DEP_2) | instskip(NEXT) | instid1(VALU_DEP_2)
	v_cmp_eq_u32_e32 vcc_lo, 0, v9
	v_min_u32_e32 v3, 32, v3
	s_delay_alu instid0(VALU_DEP_1) | instskip(NEXT) | instid1(VALU_DEP_1)
	v_subrev_nc_u32_e32 v5, 28, v3
	v_dual_lshlrev_b32 v0, v5, v0 :: v_dual_sub_nc_u32 v3, 29, v3
	s_delay_alu instid0(VALU_DEP_1) | instskip(NEXT) | instid1(VALU_DEP_2)
	v_dual_lshlrev_b32 v2, 24, v2 :: v_dual_bitop2_b32 v0, 7, v0 bitop3:0x40
	v_cndmask_b32_e32 v3, v9, v3, vcc_lo
	s_delay_alu instid0(VALU_DEP_2) | instskip(NEXT) | instid1(VALU_DEP_3)
	v_cndmask_b32_e32 v0, v1, v0, vcc_lo
	v_and_b32_e32 v1, 0x80000000, v2
	s_delay_alu instid0(VALU_DEP_3) | instskip(NEXT) | instid1(VALU_DEP_3)
	v_lshl_add_u32 v2, v3, 23, 0x3b800000
	v_lshlrev_b32_e32 v0, 20, v0
	s_delay_alu instid0(VALU_DEP_1) | instskip(NEXT) | instid1(VALU_DEP_1)
	v_or3_b32 v0, v1, v2, v0
	v_cvt_f64_f32_e32 v[0:1], v0
.LBB135_72:
	s_or_b32 exec_lo, exec_lo, s31
.LBB135_73:
	v_mov_b64_e32 v[2:3], 0
	s_mov_b32 s30, -1
.LBB135_74:
	s_mov_b32 s31, 0
.LBB135_75:
	s_delay_alu instid0(SALU_CYCLE_1)
	s_and_b32 vcc_lo, exec_lo, s31
	s_cbranch_vccz .LBB135_109
; %bb.76:
	s_cmp_gt_i32 s29, 22
	s_cbranch_scc0 .LBB135_84
; %bb.77:
	s_cmp_lt_i32 s29, 24
	s_cbranch_scc1 .LBB135_85
; %bb.78:
	s_cmp_gt_i32 s29, 24
	s_cbranch_scc0 .LBB135_90
; %bb.79:
	global_load_u8 v2, v[6:7], off
	s_mov_b32 s30, 0
	s_mov_b32 s31, exec_lo
	s_wait_loadcnt 0x0
	v_cmpx_lt_i16_e32 0x7f, v2
	s_xor_b32 s31, exec_lo, s31
	s_cbranch_execnz .LBB135_172
; %bb.80:
	s_or_saveexec_b32 s31, s31
	v_mov_b64_e32 v[0:1], 0x7ff8000020000000
	s_xor_b32 exec_lo, exec_lo, s31
	s_cbranch_execnz .LBB135_175
.LBB135_81:
	s_or_b32 exec_lo, exec_lo, s31
	s_and_saveexec_b32 s31, s30
	s_cbranch_execz .LBB135_83
.LBB135_82:
	v_and_b32_e32 v0, 0xffff, v2
	s_delay_alu instid0(VALU_DEP_1) | instskip(SKIP_1) | instid1(VALU_DEP_2)
	v_and_b32_e32 v1, 3, v0
	v_bfe_u32 v9, v0, 2, 5
	v_clz_i32_u32_e32 v3, v1
	s_delay_alu instid0(VALU_DEP_2) | instskip(NEXT) | instid1(VALU_DEP_2)
	v_cmp_eq_u32_e32 vcc_lo, 0, v9
	v_min_u32_e32 v3, 32, v3
	s_delay_alu instid0(VALU_DEP_1) | instskip(NEXT) | instid1(VALU_DEP_1)
	v_subrev_nc_u32_e32 v5, 29, v3
	v_dual_lshlrev_b32 v0, v5, v0 :: v_dual_sub_nc_u32 v3, 30, v3
	s_delay_alu instid0(VALU_DEP_1) | instskip(NEXT) | instid1(VALU_DEP_2)
	v_dual_lshlrev_b32 v2, 24, v2 :: v_dual_bitop2_b32 v0, 3, v0 bitop3:0x40
	v_cndmask_b32_e32 v3, v9, v3, vcc_lo
	s_delay_alu instid0(VALU_DEP_2) | instskip(NEXT) | instid1(VALU_DEP_3)
	v_cndmask_b32_e32 v0, v1, v0, vcc_lo
	v_and_b32_e32 v1, 0x80000000, v2
	s_delay_alu instid0(VALU_DEP_3) | instskip(NEXT) | instid1(VALU_DEP_3)
	v_lshl_add_u32 v2, v3, 23, 0x37800000
	v_lshlrev_b32_e32 v0, 21, v0
	s_delay_alu instid0(VALU_DEP_1) | instskip(NEXT) | instid1(VALU_DEP_1)
	v_or3_b32 v0, v1, v2, v0
	v_cvt_f64_f32_e32 v[0:1], v0
.LBB135_83:
	s_or_b32 exec_lo, exec_lo, s31
	s_mov_b32 s30, 0
	s_branch .LBB135_91
.LBB135_84:
	s_mov_b32 s31, -1
                                        ; implicit-def: $vgpr0_vgpr1
	s_branch .LBB135_97
.LBB135_85:
	s_mov_b32 s30, -1
                                        ; implicit-def: $vgpr0_vgpr1
	s_branch .LBB135_94
.LBB135_86:
	s_mov_b32 s30, -1
	s_mov_b32 s45, exec_lo
	v_cmpx_eq_u16_e32 0x80, v2
; %bb.87:
	s_xor_b32 s30, exec_lo, -1
; %bb.88:
	s_or_b32 exec_lo, exec_lo, s45
	s_delay_alu instid0(SALU_CYCLE_1)
	s_and_b32 s30, s30, exec_lo
	s_or_saveexec_b32 s31, s31
	v_mov_b64_e32 v[0:1], 0x7ff8000020000000
	s_xor_b32 exec_lo, exec_lo, s31
	s_cbranch_execz .LBB135_70
.LBB135_89:
	v_cmp_ne_u16_e32 vcc_lo, 0, v2
	v_mov_b64_e32 v[0:1], 0
	s_and_not1_b32 s30, s30, exec_lo
	s_and_b32 s45, vcc_lo, exec_lo
	s_delay_alu instid0(SALU_CYCLE_1)
	s_or_b32 s30, s30, s45
	s_or_b32 exec_lo, exec_lo, s31
	s_and_saveexec_b32 s31, s30
	s_cbranch_execnz .LBB135_71
	s_branch .LBB135_72
.LBB135_90:
	s_mov_b32 s30, -1
                                        ; implicit-def: $vgpr0_vgpr1
.LBB135_91:
	s_delay_alu instid0(SALU_CYCLE_1)
	s_and_b32 vcc_lo, exec_lo, s30
	s_cbranch_vccz .LBB135_93
; %bb.92:
	global_load_u8 v0, v[6:7], off
	s_wait_loadcnt 0x0
	v_lshlrev_b32_e32 v0, 24, v0
	s_delay_alu instid0(VALU_DEP_1) | instskip(NEXT) | instid1(VALU_DEP_1)
	v_and_b32_e32 v1, 0x7f000000, v0
	v_clz_i32_u32_e32 v2, v1
	v_add_nc_u32_e32 v5, 0x1000000, v1
	v_cmp_ne_u32_e32 vcc_lo, 0, v1
	s_delay_alu instid0(VALU_DEP_3) | instskip(NEXT) | instid1(VALU_DEP_1)
	v_min_u32_e32 v2, 32, v2
	v_sub_nc_u32_e64 v2, v2, 4 clamp
	s_delay_alu instid0(VALU_DEP_1) | instskip(NEXT) | instid1(VALU_DEP_1)
	v_dual_lshlrev_b32 v3, v2, v1 :: v_dual_lshlrev_b32 v2, 23, v2
	v_lshrrev_b32_e32 v3, 4, v3
	s_delay_alu instid0(VALU_DEP_1) | instskip(NEXT) | instid1(VALU_DEP_1)
	v_dual_sub_nc_u32 v2, v3, v2 :: v_dual_ashrrev_i32 v3, 8, v5
	v_add_nc_u32_e32 v2, 0x3c000000, v2
	s_delay_alu instid0(VALU_DEP_1) | instskip(NEXT) | instid1(VALU_DEP_1)
	v_and_or_b32 v2, 0x7f800000, v3, v2
	v_cndmask_b32_e32 v1, 0, v2, vcc_lo
	s_delay_alu instid0(VALU_DEP_1) | instskip(NEXT) | instid1(VALU_DEP_1)
	v_and_or_b32 v0, 0x80000000, v0, v1
	v_cvt_f64_f32_e32 v[0:1], v0
.LBB135_93:
	s_mov_b32 s30, 0
.LBB135_94:
	s_delay_alu instid0(SALU_CYCLE_1)
	s_and_not1_b32 vcc_lo, exec_lo, s30
	s_cbranch_vccnz .LBB135_96
; %bb.95:
	global_load_u8 v0, v[6:7], off
	s_wait_loadcnt 0x0
	v_lshlrev_b32_e32 v1, 25, v0
	v_lshlrev_b16 v0, 8, v0
	s_delay_alu instid0(VALU_DEP_1) | instskip(SKIP_1) | instid1(VALU_DEP_2)
	v_and_or_b32 v3, 0x7f00, v0, 0.5
	v_bfe_i32 v0, v0, 0, 16
	v_dual_add_f32 v3, -0.5, v3 :: v_dual_lshrrev_b32 v2, 4, v1
	v_cmp_gt_u32_e32 vcc_lo, 0x8000000, v1
	s_delay_alu instid0(VALU_DEP_2) | instskip(NEXT) | instid1(VALU_DEP_1)
	v_or_b32_e32 v2, 0x70000000, v2
	v_mul_f32_e32 v2, 0x7800000, v2
	s_delay_alu instid0(VALU_DEP_1) | instskip(NEXT) | instid1(VALU_DEP_1)
	v_cndmask_b32_e32 v1, v2, v3, vcc_lo
	v_and_or_b32 v0, 0x80000000, v0, v1
	s_delay_alu instid0(VALU_DEP_1)
	v_cvt_f64_f32_e32 v[0:1], v0
.LBB135_96:
	s_mov_b32 s31, 0
	s_mov_b32 s30, -1
.LBB135_97:
	s_and_not1_b32 vcc_lo, exec_lo, s31
	s_cbranch_vccnz .LBB135_108
; %bb.98:
	s_cmp_gt_i32 s29, 14
	s_cbranch_scc0 .LBB135_101
; %bb.99:
	s_cmp_eq_u32 s29, 15
	s_cbranch_scc0 .LBB135_102
; %bb.100:
	global_load_u16 v0, v[6:7], off
	s_mov_b32 s30, -1
	s_mov_b32 s28, 0
	s_wait_loadcnt 0x0
	v_lshlrev_b32_e32 v0, 16, v0
	s_delay_alu instid0(VALU_DEP_1)
	v_cvt_f64_f32_e32 v[0:1], v0
	s_branch .LBB135_103
.LBB135_101:
	s_mov_b32 s31, -1
                                        ; implicit-def: $vgpr0_vgpr1
	s_branch .LBB135_104
.LBB135_102:
	s_mov_b32 s28, -1
                                        ; implicit-def: $vgpr0_vgpr1
.LBB135_103:
	s_mov_b32 s31, 0
.LBB135_104:
	s_delay_alu instid0(SALU_CYCLE_1)
	s_and_b32 vcc_lo, exec_lo, s31
	s_cbranch_vccz .LBB135_108
; %bb.105:
	s_cmp_eq_u32 s29, 11
	s_cbranch_scc0 .LBB135_107
; %bb.106:
	global_load_u8 v0, v[6:7], off
	s_mov_b32 s28, 0
	s_mov_b32 s30, -1
	v_mov_b64_e32 v[2:3], 0
	s_wait_loadcnt 0x0
	v_cmp_ne_u16_e32 vcc_lo, 0, v0
	v_mov_b32_e32 v0, 0
	v_cndmask_b32_e64 v1, 0, 0x3ff00000, vcc_lo
	s_branch .LBB135_109
.LBB135_107:
	s_mov_b32 s28, -1
                                        ; implicit-def: $vgpr0_vgpr1
.LBB135_108:
	v_mov_b64_e32 v[2:3], 0
.LBB135_109:
	s_branch .LBB135_160
.LBB135_110:
	s_and_b32 s0, 0xffff, s0
	s_delay_alu instid0(SALU_CYCLE_1)
	s_cmp_lt_i32 s0, 5
	s_cbranch_scc1 .LBB135_115
; %bb.111:
	s_cmp_lt_i32 s0, 8
	s_cbranch_scc1 .LBB135_116
; %bb.112:
	;; [unrolled: 3-line block ×3, first 2 shown]
	s_cmp_gt_i32 s0, 9
	s_cbranch_scc0 .LBB135_118
; %bb.114:
	global_load_b128 v[0:3], v[6:7], off
	s_mov_b32 s29, 0
	s_branch .LBB135_119
.LBB135_115:
	s_mov_b32 s29, -1
                                        ; implicit-def: $vgpr2_vgpr3
	s_branch .LBB135_138
.LBB135_116:
	s_mov_b32 s29, -1
                                        ; implicit-def: $vgpr2_vgpr3
	s_branch .LBB135_125
.LBB135_117:
	s_mov_b32 s29, -1
                                        ; implicit-def: $vgpr2_vgpr3
	s_branch .LBB135_122
.LBB135_118:
	s_mov_b32 s29, -1
                                        ; implicit-def: $vgpr2_vgpr3
.LBB135_119:
	s_delay_alu instid0(SALU_CYCLE_1)
	s_and_not1_b32 vcc_lo, exec_lo, s29
	s_cbranch_vccnz .LBB135_121
; %bb.120:
	s_wait_loadcnt 0x0
	global_load_b64 v[2:3], v[6:7], off
	s_wait_loadcnt 0x0
	v_cvt_f64_f32_e32 v[0:1], v2
	v_cvt_f64_f32_e32 v[2:3], v3
.LBB135_121:
	s_mov_b32 s29, 0
.LBB135_122:
	s_delay_alu instid0(SALU_CYCLE_1)
	s_and_not1_b32 vcc_lo, exec_lo, s29
	s_cbranch_vccnz .LBB135_124
; %bb.123:
	s_wait_loadcnt 0x0
	global_load_b32 v0, v[6:7], off
	s_wait_loadcnt 0x0
	v_lshrrev_b32_e32 v1, 16, v0
	v_cvt_f32_f16_e32 v0, v0
	s_delay_alu instid0(VALU_DEP_2) | instskip(NEXT) | instid1(VALU_DEP_2)
	v_cvt_f32_f16_e32 v2, v1
	v_cvt_f64_f32_e32 v[0:1], v0
	s_delay_alu instid0(VALU_DEP_2)
	v_cvt_f64_f32_e32 v[2:3], v2
.LBB135_124:
	s_mov_b32 s29, 0
.LBB135_125:
	s_delay_alu instid0(SALU_CYCLE_1)
	s_and_not1_b32 vcc_lo, exec_lo, s29
	s_cbranch_vccnz .LBB135_137
; %bb.126:
	s_cmp_lt_i32 s0, 6
	s_cbranch_scc1 .LBB135_129
; %bb.127:
	s_cmp_gt_i32 s0, 6
	s_cbranch_scc0 .LBB135_130
; %bb.128:
	s_wait_loadcnt 0x0
	global_load_b64 v[0:1], v[6:7], off
	s_mov_b32 s29, 0
	s_branch .LBB135_131
.LBB135_129:
	s_mov_b32 s29, -1
                                        ; implicit-def: $vgpr0_vgpr1
	s_branch .LBB135_134
.LBB135_130:
	s_mov_b32 s29, -1
                                        ; implicit-def: $vgpr0_vgpr1
.LBB135_131:
	s_delay_alu instid0(SALU_CYCLE_1)
	s_and_not1_b32 vcc_lo, exec_lo, s29
	s_cbranch_vccnz .LBB135_133
; %bb.132:
	s_wait_loadcnt 0x0
	global_load_b32 v0, v[6:7], off
	s_wait_loadcnt 0x0
	v_cvt_f64_f32_e32 v[0:1], v0
.LBB135_133:
	s_mov_b32 s29, 0
.LBB135_134:
	s_delay_alu instid0(SALU_CYCLE_1)
	s_and_not1_b32 vcc_lo, exec_lo, s29
	s_cbranch_vccnz .LBB135_136
; %bb.135:
	s_wait_loadcnt 0x0
	global_load_u16 v0, v[6:7], off
	s_wait_loadcnt 0x0
	v_cvt_f32_f16_e32 v0, v0
	s_delay_alu instid0(VALU_DEP_1)
	v_cvt_f64_f32_e32 v[0:1], v0
.LBB135_136:
	s_wait_loadcnt 0x0
	v_mov_b64_e32 v[2:3], 0
.LBB135_137:
	s_mov_b32 s29, 0
.LBB135_138:
	s_delay_alu instid0(SALU_CYCLE_1)
	s_and_not1_b32 vcc_lo, exec_lo, s29
	s_cbranch_vccnz .LBB135_159
; %bb.139:
	s_cmp_lt_i32 s0, 2
	s_cbranch_scc1 .LBB135_143
; %bb.140:
	s_cmp_lt_i32 s0, 3
	s_cbranch_scc1 .LBB135_144
; %bb.141:
	s_cmp_gt_i32 s0, 3
	s_cbranch_scc0 .LBB135_145
; %bb.142:
	s_wait_loadcnt 0x0
	global_load_b64 v[0:1], v[6:7], off
	s_mov_b32 s29, 0
	s_wait_loadcnt 0x0
	v_cvt_f64_i32_e32 v[2:3], v1
	v_cvt_f64_u32_e32 v[0:1], v0
	s_delay_alu instid0(VALU_DEP_2) | instskip(NEXT) | instid1(VALU_DEP_1)
	v_ldexp_f64 v[2:3], v[2:3], 32
	v_add_f64_e32 v[0:1], v[2:3], v[0:1]
	s_branch .LBB135_146
.LBB135_143:
	s_mov_b32 s29, -1
                                        ; implicit-def: $vgpr0_vgpr1
	s_branch .LBB135_152
.LBB135_144:
	s_mov_b32 s29, -1
                                        ; implicit-def: $vgpr0_vgpr1
	s_branch .LBB135_149
.LBB135_145:
	s_mov_b32 s29, -1
                                        ; implicit-def: $vgpr0_vgpr1
.LBB135_146:
	s_delay_alu instid0(SALU_CYCLE_1)
	s_and_not1_b32 vcc_lo, exec_lo, s29
	s_cbranch_vccnz .LBB135_148
; %bb.147:
	s_wait_loadcnt 0x0
	global_load_b32 v0, v[6:7], off
	s_wait_loadcnt 0x0
	v_cvt_f64_i32_e32 v[0:1], v0
.LBB135_148:
	s_mov_b32 s29, 0
.LBB135_149:
	s_delay_alu instid0(SALU_CYCLE_1)
	s_and_not1_b32 vcc_lo, exec_lo, s29
	s_cbranch_vccnz .LBB135_151
; %bb.150:
	s_wait_loadcnt 0x0
	global_load_i16 v0, v[6:7], off
	s_wait_loadcnt 0x0
	v_cvt_f64_i32_e32 v[0:1], v0
.LBB135_151:
	s_mov_b32 s29, 0
.LBB135_152:
	s_delay_alu instid0(SALU_CYCLE_1)
	s_and_not1_b32 vcc_lo, exec_lo, s29
	s_cbranch_vccnz .LBB135_158
; %bb.153:
	s_cmp_gt_i32 s0, 0
	s_mov_b32 s0, 0
	s_cbranch_scc0 .LBB135_155
; %bb.154:
	s_wait_loadcnt 0x0
	global_load_i8 v0, v[6:7], off
	s_wait_loadcnt 0x0
	v_cvt_f64_i32_e32 v[0:1], v0
	s_branch .LBB135_156
.LBB135_155:
	s_mov_b32 s0, -1
                                        ; implicit-def: $vgpr0_vgpr1
.LBB135_156:
	s_delay_alu instid0(SALU_CYCLE_1)
	s_and_not1_b32 vcc_lo, exec_lo, s0
	s_cbranch_vccnz .LBB135_158
; %bb.157:
	s_wait_loadcnt 0x0
	global_load_u8 v0, v[6:7], off
	s_wait_loadcnt 0x0
	v_cvt_f64_u32_e32 v[0:1], v0
.LBB135_158:
	s_wait_loadcnt 0x0
	v_mov_b64_e32 v[2:3], 0
.LBB135_159:
	s_mov_b32 s30, -1
.LBB135_160:
	s_mov_b32 s29, 0
	s_mov_b32 s0, 0
	s_and_not1_b32 vcc_lo, exec_lo, s30
	s_mov_b32 s30, 0
	s_mov_b32 s31, 0
	s_cbranch_vccnz .LBB135_422
; %bb.161:
	v_mov_b32_e32 v5, 0
	s_and_b32 s0, 0xffff, s13
	s_delay_alu instid0(SALU_CYCLE_1) | instskip(NEXT) | instid1(VALU_DEP_1)
	s_cmp_lt_i32 s0, 11
	v_add_nc_u64_e32 v[12:13], s[10:11], v[4:5]
	s_cbranch_scc1 .LBB135_168
; %bb.162:
	s_cmp_gt_i32 s0, 25
	s_cbranch_scc0 .LBB135_169
; %bb.163:
	s_cmp_gt_i32 s0, 28
	s_cbranch_scc0 .LBB135_170
	;; [unrolled: 3-line block ×4, first 2 shown]
; %bb.166:
	s_cmp_eq_u32 s0, 46
	s_mov_b32 s45, 0
	s_cbranch_scc0 .LBB135_177
; %bb.167:
	global_load_b32 v4, v[12:13], off
	s_mov_b32 s31, -1
	s_wait_loadcnt 0x0
	v_lshlrev_b32_e32 v5, 16, v4
	v_and_b32_e32 v6, 0xffff0000, v4
	s_delay_alu instid0(VALU_DEP_2) | instskip(NEXT) | instid1(VALU_DEP_2)
	v_cvt_f64_f32_e32 v[4:5], v5
	v_cvt_f64_f32_e32 v[6:7], v6
	s_branch .LBB135_179
.LBB135_168:
	s_mov_b32 s45, -1
                                        ; implicit-def: $vgpr6_vgpr7
	s_branch .LBB135_243
.LBB135_169:
	s_mov_b32 s45, -1
                                        ; implicit-def: $vgpr6_vgpr7
	s_branch .LBB135_208
.LBB135_170:
	s_mov_b32 s45, -1
                                        ; implicit-def: $vgpr6_vgpr7
	s_branch .LBB135_191
.LBB135_171:
	s_mov_b32 s45, -1
                                        ; implicit-def: $vgpr6_vgpr7
	s_branch .LBB135_185
.LBB135_172:
	s_mov_b32 s30, -1
	s_mov_b32 s45, exec_lo
	v_cmpx_eq_u16_e32 0x80, v2
; %bb.173:
	s_xor_b32 s30, exec_lo, -1
; %bb.174:
	s_or_b32 exec_lo, exec_lo, s45
	s_delay_alu instid0(SALU_CYCLE_1)
	s_and_b32 s30, s30, exec_lo
	s_or_saveexec_b32 s31, s31
	v_mov_b64_e32 v[0:1], 0x7ff8000020000000
	s_xor_b32 exec_lo, exec_lo, s31
	s_cbranch_execz .LBB135_81
.LBB135_175:
	v_cmp_ne_u16_e32 vcc_lo, 0, v2
	v_mov_b64_e32 v[0:1], 0
	s_and_not1_b32 s30, s30, exec_lo
	s_and_b32 s45, vcc_lo, exec_lo
	s_delay_alu instid0(SALU_CYCLE_1)
	s_or_b32 s30, s30, s45
	s_or_b32 exec_lo, exec_lo, s31
	s_and_saveexec_b32 s31, s30
	s_cbranch_execnz .LBB135_82
	s_branch .LBB135_83
.LBB135_176:
	s_mov_b32 s45, -1
	s_branch .LBB135_178
.LBB135_177:
	s_mov_b32 s30, -1
.LBB135_178:
                                        ; implicit-def: $vgpr6_vgpr7
.LBB135_179:
	s_and_b32 vcc_lo, exec_lo, s45
	s_cbranch_vccz .LBB135_184
; %bb.180:
	s_cmp_eq_u32 s0, 44
	s_cbranch_scc0 .LBB135_182
; %bb.181:
	global_load_u8 v6, v[12:13], off
	s_mov_b32 s30, 0
	s_mov_b32 s31, -1
	s_wait_loadcnt 0x0
	v_cmp_ne_u32_e32 vcc_lo, 0xff, v6
	v_lshlrev_b32_e32 v4, 23, v6
	s_delay_alu instid0(VALU_DEP_1) | instskip(NEXT) | instid1(VALU_DEP_1)
	v_cvt_f64_f32_e32 v[4:5], v4
	v_cndmask_b32_e32 v4, 0x20000000, v4, vcc_lo
	s_delay_alu instid0(VALU_DEP_2) | instskip(SKIP_1) | instid1(VALU_DEP_2)
	v_cndmask_b32_e32 v5, 0x7ff80000, v5, vcc_lo
	v_cmp_ne_u32_e32 vcc_lo, 0, v6
	v_cndmask_b32_e32 v5, 0x38000000, v5, vcc_lo
	s_delay_alu instid0(VALU_DEP_4)
	v_cndmask_b32_e32 v4, 0, v4, vcc_lo
	s_branch .LBB135_183
.LBB135_182:
	s_mov_b32 s30, -1
                                        ; implicit-def: $vgpr4_vgpr5
.LBB135_183:
	s_wait_xcnt 0x0
	v_mov_b64_e32 v[6:7], 0
.LBB135_184:
	s_mov_b32 s45, 0
.LBB135_185:
	s_delay_alu instid0(SALU_CYCLE_1)
	s_and_b32 vcc_lo, exec_lo, s45
	s_cbranch_vccz .LBB135_190
; %bb.186:
	s_cmp_eq_u32 s0, 29
	s_cbranch_scc0 .LBB135_188
; %bb.187:
	global_load_b64 v[4:5], v[12:13], off
	s_mov_b32 s31, -1
	s_mov_b32 s30, 0
	s_wait_loadcnt 0x0
	v_cvt_f64_u32_e32 v[6:7], v5
	v_cvt_f64_u32_e32 v[4:5], v4
	s_delay_alu instid0(VALU_DEP_2) | instskip(NEXT) | instid1(VALU_DEP_1)
	v_ldexp_f64 v[6:7], v[6:7], 32
	v_add_f64_e32 v[4:5], v[6:7], v[4:5]
	s_branch .LBB135_189
.LBB135_188:
	s_mov_b32 s30, -1
                                        ; implicit-def: $vgpr4_vgpr5
.LBB135_189:
	s_wait_xcnt 0x0
	v_mov_b64_e32 v[6:7], 0
.LBB135_190:
	s_mov_b32 s45, 0
.LBB135_191:
	s_delay_alu instid0(SALU_CYCLE_1)
	s_and_b32 vcc_lo, exec_lo, s45
	s_cbranch_vccz .LBB135_207
; %bb.192:
	s_cmp_lt_i32 s0, 27
	s_cbranch_scc1 .LBB135_195
; %bb.193:
	s_cmp_gt_i32 s0, 27
	s_cbranch_scc0 .LBB135_196
; %bb.194:
	global_load_b32 v4, v[12:13], off
	s_mov_b32 s31, 0
	s_wait_loadcnt 0x0
	v_cvt_f64_u32_e32 v[4:5], v4
	s_branch .LBB135_197
.LBB135_195:
	s_mov_b32 s31, -1
                                        ; implicit-def: $vgpr4_vgpr5
	s_branch .LBB135_200
.LBB135_196:
	s_mov_b32 s31, -1
                                        ; implicit-def: $vgpr4_vgpr5
.LBB135_197:
	s_delay_alu instid0(SALU_CYCLE_1)
	s_and_not1_b32 vcc_lo, exec_lo, s31
	s_cbranch_vccnz .LBB135_199
; %bb.198:
	global_load_u16 v4, v[12:13], off
	s_wait_loadcnt 0x0
	v_cvt_f64_u32_e32 v[4:5], v4
.LBB135_199:
	s_mov_b32 s31, 0
.LBB135_200:
	s_delay_alu instid0(SALU_CYCLE_1)
	s_and_not1_b32 vcc_lo, exec_lo, s31
	s_cbranch_vccnz .LBB135_206
; %bb.201:
	global_load_u8 v6, v[12:13], off
	s_mov_b32 s31, 0
	s_mov_b32 s45, exec_lo
	s_wait_loadcnt 0x0
	v_cmpx_lt_i16_e32 0x7f, v6
	s_xor_b32 s45, exec_lo, s45
	s_cbranch_execnz .LBB135_219
; %bb.202:
	s_or_saveexec_b32 s45, s45
	v_mov_b64_e32 v[4:5], 0x7ff8000020000000
	s_xor_b32 exec_lo, exec_lo, s45
	s_cbranch_execnz .LBB135_222
.LBB135_203:
	s_or_b32 exec_lo, exec_lo, s45
	s_and_saveexec_b32 s45, s31
	s_cbranch_execz .LBB135_205
.LBB135_204:
	v_and_b32_e32 v4, 0xffff, v6
	s_delay_alu instid0(VALU_DEP_1) | instskip(SKIP_1) | instid1(VALU_DEP_2)
	v_and_b32_e32 v5, 7, v4
	v_bfe_u32 v11, v4, 3, 4
	v_clz_i32_u32_e32 v7, v5
	s_delay_alu instid0(VALU_DEP_2) | instskip(NEXT) | instid1(VALU_DEP_2)
	v_cmp_eq_u32_e32 vcc_lo, 0, v11
	v_min_u32_e32 v7, 32, v7
	s_delay_alu instid0(VALU_DEP_1) | instskip(NEXT) | instid1(VALU_DEP_1)
	v_subrev_nc_u32_e32 v9, 28, v7
	v_dual_lshlrev_b32 v4, v9, v4 :: v_dual_sub_nc_u32 v7, 29, v7
	s_delay_alu instid0(VALU_DEP_1) | instskip(NEXT) | instid1(VALU_DEP_1)
	v_dual_lshlrev_b32 v6, 24, v6 :: v_dual_bitop2_b32 v4, 7, v4 bitop3:0x40
	v_dual_cndmask_b32 v7, v11, v7 :: v_dual_cndmask_b32 v4, v5, v4
	s_delay_alu instid0(VALU_DEP_2) | instskip(NEXT) | instid1(VALU_DEP_2)
	v_and_b32_e32 v5, 0x80000000, v6
	v_lshl_add_u32 v6, v7, 23, 0x3b800000
	s_delay_alu instid0(VALU_DEP_3) | instskip(NEXT) | instid1(VALU_DEP_1)
	v_lshlrev_b32_e32 v4, 20, v4
	v_or3_b32 v4, v5, v6, v4
	s_delay_alu instid0(VALU_DEP_1)
	v_cvt_f64_f32_e32 v[4:5], v4
.LBB135_205:
	s_or_b32 exec_lo, exec_lo, s45
.LBB135_206:
	s_wait_xcnt 0x0
	v_mov_b64_e32 v[6:7], 0
	s_mov_b32 s31, -1
.LBB135_207:
	s_mov_b32 s45, 0
.LBB135_208:
	s_delay_alu instid0(SALU_CYCLE_1)
	s_and_b32 vcc_lo, exec_lo, s45
	s_cbranch_vccz .LBB135_242
; %bb.209:
	s_cmp_gt_i32 s0, 22
	s_cbranch_scc0 .LBB135_217
; %bb.210:
	s_cmp_lt_i32 s0, 24
	s_cbranch_scc1 .LBB135_218
; %bb.211:
	s_cmp_gt_i32 s0, 24
	s_cbranch_scc0 .LBB135_223
; %bb.212:
	global_load_u8 v6, v[12:13], off
	s_mov_b32 s31, 0
	s_mov_b32 s45, exec_lo
	s_wait_loadcnt 0x0
	v_cmpx_lt_i16_e32 0x7f, v6
	s_xor_b32 s45, exec_lo, s45
	s_cbranch_execnz .LBB135_307
; %bb.213:
	s_or_saveexec_b32 s45, s45
	v_mov_b64_e32 v[4:5], 0x7ff8000020000000
	s_xor_b32 exec_lo, exec_lo, s45
	s_cbranch_execnz .LBB135_310
.LBB135_214:
	s_or_b32 exec_lo, exec_lo, s45
	s_and_saveexec_b32 s45, s31
	s_cbranch_execz .LBB135_216
.LBB135_215:
	v_and_b32_e32 v4, 0xffff, v6
	s_delay_alu instid0(VALU_DEP_1) | instskip(SKIP_1) | instid1(VALU_DEP_2)
	v_and_b32_e32 v5, 3, v4
	v_bfe_u32 v11, v4, 2, 5
	v_clz_i32_u32_e32 v7, v5
	s_delay_alu instid0(VALU_DEP_2) | instskip(NEXT) | instid1(VALU_DEP_2)
	v_cmp_eq_u32_e32 vcc_lo, 0, v11
	v_min_u32_e32 v7, 32, v7
	s_delay_alu instid0(VALU_DEP_1) | instskip(NEXT) | instid1(VALU_DEP_1)
	v_subrev_nc_u32_e32 v9, 29, v7
	v_dual_lshlrev_b32 v4, v9, v4 :: v_dual_sub_nc_u32 v7, 30, v7
	s_delay_alu instid0(VALU_DEP_1) | instskip(NEXT) | instid1(VALU_DEP_1)
	v_dual_lshlrev_b32 v6, 24, v6 :: v_dual_bitop2_b32 v4, 3, v4 bitop3:0x40
	v_dual_cndmask_b32 v7, v11, v7 :: v_dual_cndmask_b32 v4, v5, v4
	s_delay_alu instid0(VALU_DEP_2) | instskip(NEXT) | instid1(VALU_DEP_2)
	v_and_b32_e32 v5, 0x80000000, v6
	v_lshl_add_u32 v6, v7, 23, 0x37800000
	s_delay_alu instid0(VALU_DEP_3) | instskip(NEXT) | instid1(VALU_DEP_1)
	v_lshlrev_b32_e32 v4, 21, v4
	v_or3_b32 v4, v5, v6, v4
	s_delay_alu instid0(VALU_DEP_1)
	v_cvt_f64_f32_e32 v[4:5], v4
.LBB135_216:
	s_or_b32 exec_lo, exec_lo, s45
	s_mov_b32 s31, 0
	s_branch .LBB135_224
.LBB135_217:
	s_mov_b32 s45, -1
                                        ; implicit-def: $vgpr4_vgpr5
	s_branch .LBB135_230
.LBB135_218:
	s_mov_b32 s31, -1
                                        ; implicit-def: $vgpr4_vgpr5
	s_branch .LBB135_227
.LBB135_219:
	s_mov_b32 s31, -1
	s_mov_b32 s46, exec_lo
	v_cmpx_eq_u16_e32 0x80, v6
; %bb.220:
	s_xor_b32 s31, exec_lo, -1
; %bb.221:
	s_or_b32 exec_lo, exec_lo, s46
	s_delay_alu instid0(SALU_CYCLE_1)
	s_and_b32 s31, s31, exec_lo
	s_or_saveexec_b32 s45, s45
	v_mov_b64_e32 v[4:5], 0x7ff8000020000000
	s_xor_b32 exec_lo, exec_lo, s45
	s_cbranch_execz .LBB135_203
.LBB135_222:
	v_cmp_ne_u16_e32 vcc_lo, 0, v6
	v_mov_b64_e32 v[4:5], 0
	s_and_not1_b32 s31, s31, exec_lo
	s_and_b32 s46, vcc_lo, exec_lo
	s_delay_alu instid0(SALU_CYCLE_1)
	s_or_b32 s31, s31, s46
	s_or_b32 exec_lo, exec_lo, s45
	s_and_saveexec_b32 s45, s31
	s_cbranch_execnz .LBB135_204
	s_branch .LBB135_205
.LBB135_223:
	s_mov_b32 s31, -1
                                        ; implicit-def: $vgpr4_vgpr5
.LBB135_224:
	s_delay_alu instid0(SALU_CYCLE_1)
	s_and_b32 vcc_lo, exec_lo, s31
	s_cbranch_vccz .LBB135_226
; %bb.225:
	global_load_u8 v4, v[12:13], off
	s_wait_loadcnt 0x0
	v_lshlrev_b32_e32 v4, 24, v4
	s_delay_alu instid0(VALU_DEP_1) | instskip(NEXT) | instid1(VALU_DEP_1)
	v_and_b32_e32 v5, 0x7f000000, v4
	v_clz_i32_u32_e32 v6, v5
	v_add_nc_u32_e32 v9, 0x1000000, v5
	v_cmp_ne_u32_e32 vcc_lo, 0, v5
	s_delay_alu instid0(VALU_DEP_3) | instskip(NEXT) | instid1(VALU_DEP_1)
	v_min_u32_e32 v6, 32, v6
	v_sub_nc_u32_e64 v6, v6, 4 clamp
	s_delay_alu instid0(VALU_DEP_1) | instskip(NEXT) | instid1(VALU_DEP_1)
	v_dual_lshlrev_b32 v7, v6, v5 :: v_dual_lshlrev_b32 v6, 23, v6
	v_lshrrev_b32_e32 v7, 4, v7
	s_delay_alu instid0(VALU_DEP_1) | instskip(NEXT) | instid1(VALU_DEP_1)
	v_dual_sub_nc_u32 v6, v7, v6 :: v_dual_ashrrev_i32 v7, 8, v9
	v_add_nc_u32_e32 v6, 0x3c000000, v6
	s_delay_alu instid0(VALU_DEP_1) | instskip(NEXT) | instid1(VALU_DEP_1)
	v_and_or_b32 v6, 0x7f800000, v7, v6
	v_cndmask_b32_e32 v5, 0, v6, vcc_lo
	s_delay_alu instid0(VALU_DEP_1) | instskip(NEXT) | instid1(VALU_DEP_1)
	v_and_or_b32 v4, 0x80000000, v4, v5
	v_cvt_f64_f32_e32 v[4:5], v4
.LBB135_226:
	s_mov_b32 s31, 0
.LBB135_227:
	s_delay_alu instid0(SALU_CYCLE_1)
	s_and_not1_b32 vcc_lo, exec_lo, s31
	s_cbranch_vccnz .LBB135_229
; %bb.228:
	global_load_u8 v4, v[12:13], off
	s_wait_loadcnt 0x0
	v_lshlrev_b32_e32 v5, 25, v4
	v_lshlrev_b16 v4, 8, v4
	s_delay_alu instid0(VALU_DEP_1) | instskip(SKIP_1) | instid1(VALU_DEP_2)
	v_and_or_b32 v7, 0x7f00, v4, 0.5
	v_bfe_i32 v4, v4, 0, 16
	v_dual_add_f32 v7, -0.5, v7 :: v_dual_lshrrev_b32 v6, 4, v5
	v_cmp_gt_u32_e32 vcc_lo, 0x8000000, v5
	s_delay_alu instid0(VALU_DEP_2) | instskip(NEXT) | instid1(VALU_DEP_1)
	v_or_b32_e32 v6, 0x70000000, v6
	v_mul_f32_e32 v6, 0x7800000, v6
	s_delay_alu instid0(VALU_DEP_1) | instskip(NEXT) | instid1(VALU_DEP_1)
	v_cndmask_b32_e32 v5, v6, v7, vcc_lo
	v_and_or_b32 v4, 0x80000000, v4, v5
	s_delay_alu instid0(VALU_DEP_1)
	v_cvt_f64_f32_e32 v[4:5], v4
.LBB135_229:
	s_mov_b32 s45, 0
	s_mov_b32 s31, -1
.LBB135_230:
	s_and_not1_b32 vcc_lo, exec_lo, s45
	s_cbranch_vccnz .LBB135_241
; %bb.231:
	s_cmp_gt_i32 s0, 14
	s_cbranch_scc0 .LBB135_234
; %bb.232:
	s_cmp_eq_u32 s0, 15
	s_cbranch_scc0 .LBB135_235
; %bb.233:
	global_load_u16 v4, v[12:13], off
	s_mov_b32 s31, -1
	s_mov_b32 s30, 0
	s_wait_loadcnt 0x0
	v_lshlrev_b32_e32 v4, 16, v4
	s_delay_alu instid0(VALU_DEP_1)
	v_cvt_f64_f32_e32 v[4:5], v4
	s_branch .LBB135_236
.LBB135_234:
	s_mov_b32 s45, -1
                                        ; implicit-def: $vgpr4_vgpr5
	s_branch .LBB135_237
.LBB135_235:
	s_mov_b32 s30, -1
                                        ; implicit-def: $vgpr4_vgpr5
.LBB135_236:
	s_mov_b32 s45, 0
.LBB135_237:
	s_delay_alu instid0(SALU_CYCLE_1)
	s_and_b32 vcc_lo, exec_lo, s45
	s_cbranch_vccz .LBB135_241
; %bb.238:
	s_cmp_eq_u32 s0, 11
	s_cbranch_scc0 .LBB135_240
; %bb.239:
	global_load_u8 v4, v[12:13], off
	s_mov_b32 s30, 0
	s_mov_b32 s31, -1
	s_wait_xcnt 0x1
	v_mov_b64_e32 v[6:7], 0
	s_wait_loadcnt 0x0
	v_cmp_ne_u16_e32 vcc_lo, 0, v4
	v_mov_b32_e32 v4, 0
	v_cndmask_b32_e64 v5, 0, 0x3ff00000, vcc_lo
	s_branch .LBB135_242
.LBB135_240:
	s_mov_b32 s30, -1
                                        ; implicit-def: $vgpr4_vgpr5
.LBB135_241:
	s_wait_xcnt 0x0
	v_mov_b64_e32 v[6:7], 0
.LBB135_242:
	s_mov_b32 s45, 0
.LBB135_243:
	s_delay_alu instid0(SALU_CYCLE_1)
	s_and_b32 vcc_lo, exec_lo, s45
	s_cbranch_vccz .LBB135_294
; %bb.244:
	s_cmp_lt_i32 s0, 5
	s_cbranch_scc1 .LBB135_249
; %bb.245:
	s_cmp_lt_i32 s0, 8
	s_cbranch_scc1 .LBB135_250
	;; [unrolled: 3-line block ×3, first 2 shown]
; %bb.247:
	s_cmp_gt_i32 s0, 9
	s_cbranch_scc0 .LBB135_252
; %bb.248:
	global_load_b128 v[4:7], v[12:13], off
	s_mov_b32 s31, 0
	s_branch .LBB135_253
.LBB135_249:
	s_mov_b32 s31, -1
                                        ; implicit-def: $vgpr6_vgpr7
	s_branch .LBB135_272
.LBB135_250:
	s_mov_b32 s31, -1
                                        ; implicit-def: $vgpr6_vgpr7
	s_branch .LBB135_259
.LBB135_251:
	s_mov_b32 s31, -1
                                        ; implicit-def: $vgpr6_vgpr7
	s_branch .LBB135_256
.LBB135_252:
	s_mov_b32 s31, -1
                                        ; implicit-def: $vgpr6_vgpr7
.LBB135_253:
	s_delay_alu instid0(SALU_CYCLE_1)
	s_and_not1_b32 vcc_lo, exec_lo, s31
	s_cbranch_vccnz .LBB135_255
; %bb.254:
	s_wait_loadcnt 0x0
	global_load_b64 v[6:7], v[12:13], off
	s_wait_loadcnt 0x0
	v_cvt_f64_f32_e32 v[4:5], v6
	v_cvt_f64_f32_e32 v[6:7], v7
.LBB135_255:
	s_mov_b32 s31, 0
.LBB135_256:
	s_delay_alu instid0(SALU_CYCLE_1)
	s_and_not1_b32 vcc_lo, exec_lo, s31
	s_cbranch_vccnz .LBB135_258
; %bb.257:
	s_wait_loadcnt 0x0
	global_load_b32 v4, v[12:13], off
	s_wait_loadcnt 0x0
	v_lshrrev_b32_e32 v5, 16, v4
	v_cvt_f32_f16_e32 v4, v4
	s_delay_alu instid0(VALU_DEP_2) | instskip(NEXT) | instid1(VALU_DEP_2)
	v_cvt_f32_f16_e32 v6, v5
	v_cvt_f64_f32_e32 v[4:5], v4
	s_delay_alu instid0(VALU_DEP_2)
	v_cvt_f64_f32_e32 v[6:7], v6
.LBB135_258:
	s_mov_b32 s31, 0
.LBB135_259:
	s_delay_alu instid0(SALU_CYCLE_1)
	s_and_not1_b32 vcc_lo, exec_lo, s31
	s_cbranch_vccnz .LBB135_271
; %bb.260:
	s_cmp_lt_i32 s0, 6
	s_cbranch_scc1 .LBB135_263
; %bb.261:
	s_cmp_gt_i32 s0, 6
	s_cbranch_scc0 .LBB135_264
; %bb.262:
	s_wait_loadcnt 0x0
	global_load_b64 v[4:5], v[12:13], off
	s_mov_b32 s31, 0
	s_branch .LBB135_265
.LBB135_263:
	s_mov_b32 s31, -1
                                        ; implicit-def: $vgpr4_vgpr5
	s_branch .LBB135_268
.LBB135_264:
	s_mov_b32 s31, -1
                                        ; implicit-def: $vgpr4_vgpr5
.LBB135_265:
	s_delay_alu instid0(SALU_CYCLE_1)
	s_and_not1_b32 vcc_lo, exec_lo, s31
	s_cbranch_vccnz .LBB135_267
; %bb.266:
	s_wait_loadcnt 0x0
	global_load_b32 v4, v[12:13], off
	s_wait_loadcnt 0x0
	v_cvt_f64_f32_e32 v[4:5], v4
.LBB135_267:
	s_mov_b32 s31, 0
.LBB135_268:
	s_delay_alu instid0(SALU_CYCLE_1)
	s_and_not1_b32 vcc_lo, exec_lo, s31
	s_cbranch_vccnz .LBB135_270
; %bb.269:
	s_wait_loadcnt 0x0
	global_load_u16 v4, v[12:13], off
	s_wait_loadcnt 0x0
	v_cvt_f32_f16_e32 v4, v4
	s_delay_alu instid0(VALU_DEP_1)
	v_cvt_f64_f32_e32 v[4:5], v4
.LBB135_270:
	s_wait_loadcnt 0x0
	v_mov_b64_e32 v[6:7], 0
.LBB135_271:
	s_mov_b32 s31, 0
.LBB135_272:
	s_delay_alu instid0(SALU_CYCLE_1)
	s_and_not1_b32 vcc_lo, exec_lo, s31
	s_cbranch_vccnz .LBB135_293
; %bb.273:
	s_cmp_lt_i32 s0, 2
	s_cbranch_scc1 .LBB135_277
; %bb.274:
	s_cmp_lt_i32 s0, 3
	s_cbranch_scc1 .LBB135_278
; %bb.275:
	s_cmp_gt_i32 s0, 3
	s_cbranch_scc0 .LBB135_279
; %bb.276:
	s_wait_loadcnt 0x0
	global_load_b64 v[4:5], v[12:13], off
	s_mov_b32 s31, 0
	s_wait_loadcnt 0x0
	v_cvt_f64_i32_e32 v[6:7], v5
	v_cvt_f64_u32_e32 v[4:5], v4
	s_delay_alu instid0(VALU_DEP_2) | instskip(NEXT) | instid1(VALU_DEP_1)
	v_ldexp_f64 v[6:7], v[6:7], 32
	v_add_f64_e32 v[4:5], v[6:7], v[4:5]
	s_branch .LBB135_280
.LBB135_277:
	s_mov_b32 s31, -1
                                        ; implicit-def: $vgpr4_vgpr5
	s_branch .LBB135_286
.LBB135_278:
	s_mov_b32 s31, -1
                                        ; implicit-def: $vgpr4_vgpr5
	s_branch .LBB135_283
.LBB135_279:
	s_mov_b32 s31, -1
                                        ; implicit-def: $vgpr4_vgpr5
.LBB135_280:
	s_delay_alu instid0(SALU_CYCLE_1)
	s_and_not1_b32 vcc_lo, exec_lo, s31
	s_cbranch_vccnz .LBB135_282
; %bb.281:
	s_wait_loadcnt 0x0
	global_load_b32 v4, v[12:13], off
	s_wait_loadcnt 0x0
	v_cvt_f64_i32_e32 v[4:5], v4
.LBB135_282:
	s_mov_b32 s31, 0
.LBB135_283:
	s_delay_alu instid0(SALU_CYCLE_1)
	s_and_not1_b32 vcc_lo, exec_lo, s31
	s_cbranch_vccnz .LBB135_285
; %bb.284:
	s_wait_loadcnt 0x0
	global_load_i16 v4, v[12:13], off
	s_wait_loadcnt 0x0
	v_cvt_f64_i32_e32 v[4:5], v4
.LBB135_285:
	s_mov_b32 s31, 0
.LBB135_286:
	s_delay_alu instid0(SALU_CYCLE_1)
	s_and_not1_b32 vcc_lo, exec_lo, s31
	s_cbranch_vccnz .LBB135_292
; %bb.287:
	s_cmp_gt_i32 s0, 0
	s_mov_b32 s0, 0
	s_cbranch_scc0 .LBB135_289
; %bb.288:
	s_wait_loadcnt 0x0
	global_load_i8 v4, v[12:13], off
	s_wait_loadcnt 0x0
	v_cvt_f64_i32_e32 v[4:5], v4
	s_branch .LBB135_290
.LBB135_289:
	s_mov_b32 s0, -1
                                        ; implicit-def: $vgpr4_vgpr5
.LBB135_290:
	s_delay_alu instid0(SALU_CYCLE_1)
	s_and_not1_b32 vcc_lo, exec_lo, s0
	s_cbranch_vccnz .LBB135_292
; %bb.291:
	s_wait_loadcnt 0x0
	global_load_u8 v4, v[12:13], off
	s_wait_loadcnt 0x0
	v_cvt_f64_u32_e32 v[4:5], v4
.LBB135_292:
	s_wait_loadcnt 0x0
	v_mov_b64_e32 v[6:7], 0
.LBB135_293:
	s_mov_b32 s31, -1
.LBB135_294:
	s_delay_alu instid0(SALU_CYCLE_1)
	s_and_not1_b32 vcc_lo, exec_lo, s31
	s_cbranch_vccnz .LBB135_302
; %bb.295:
	s_wait_loadcnt 0x0
	s_delay_alu instid0(VALU_DEP_3) | instskip(SKIP_2) | instid1(SALU_CYCLE_1)
	v_dual_mul_f64 v[12:13], s[4:5], v[2:3] :: v_dual_mov_b32 v11, 0
	v_mul_f64_e32 v[2:3], s[6:7], v[2:3]
	s_and_b32 s31, s37, 0xff
	s_cmp_lt_i32 s31, 11
	s_delay_alu instid0(VALU_DEP_2) | instskip(NEXT) | instid1(VALU_DEP_2)
	v_fmac_f64_e32 v[12:13], s[6:7], v[0:1]
	v_fma_f64 v[0:1], s[4:5], v[0:1], -v[2:3]
	s_delay_alu instid0(VALU_DEP_2) | instskip(NEXT) | instid1(VALU_DEP_2)
	v_mul_f64_e32 v[14:15], v[12:13], v[6:7]
	v_mul_f64_e32 v[2:3], v[0:1], v[6:7]
	s_delay_alu instid0(VALU_DEP_2) | instskip(NEXT) | instid1(VALU_DEP_2)
	v_fma_f64 v[0:1], v[0:1], v[4:5], -v[14:15]
	v_fmac_f64_e32 v[2:3], v[12:13], v[4:5]
	v_add_nc_u64_e32 v[4:5], s[20:21], v[10:11]
	s_cbranch_scc1 .LBB135_303
; %bb.296:
	s_and_b32 s45, 0xffff, s31
	s_delay_alu instid0(SALU_CYCLE_1)
	s_cmp_gt_i32 s45, 25
	s_cbranch_scc0 .LBB135_304
; %bb.297:
	s_cmp_gt_i32 s45, 28
	s_cbranch_scc0 .LBB135_305
; %bb.298:
	;; [unrolled: 3-line block ×4, first 2 shown]
	s_mov_b32 s47, 0
	s_mov_b32 s0, -1
	s_cmp_eq_u32 s45, 46
	s_mov_b32 s46, 0
	s_cbranch_scc0 .LBB135_312
; %bb.301:
	s_delay_alu instid0(VALU_DEP_2) | instskip(NEXT) | instid1(VALU_DEP_4)
	v_cvt_f32_f64_e32 v6, v[2:3]
	v_cvt_f32_f64_e32 v7, v[0:1]
	s_mov_b32 s46, -1
	s_mov_b32 s0, 0
	s_delay_alu instid0(VALU_DEP_2) | instskip(NEXT) | instid1(VALU_DEP_2)
	v_bfe_u32 v9, v6, 16, 1
	v_bfe_u32 v10, v7, 16, 1
	v_cmp_o_f32_e32 vcc_lo, v6, v6
	s_delay_alu instid0(VALU_DEP_3) | instskip(NEXT) | instid1(VALU_DEP_3)
	v_add3_u32 v9, v6, v9, 0x7fff
	v_add3_u32 v10, v7, v10, 0x7fff
	s_delay_alu instid0(VALU_DEP_2) | instskip(NEXT) | instid1(VALU_DEP_1)
	v_and_b32_e32 v9, 0xffff0000, v9
	v_cndmask_b32_e32 v6, 0x7fc00000, v9, vcc_lo
	s_delay_alu instid0(VALU_DEP_3) | instskip(SKIP_1) | instid1(VALU_DEP_2)
	v_lshrrev_b32_e32 v10, 16, v10
	v_cmp_o_f32_e32 vcc_lo, v7, v7
	v_cndmask_b32_e32 v7, 0x7fc0, v10, vcc_lo
	s_delay_alu instid0(VALU_DEP_1)
	v_or_b32_e32 v6, v6, v7
	global_store_b32 v[4:5], v6, off
	s_branch .LBB135_312
.LBB135_302:
	s_mov_b32 s0, 0
	s_branch .LBB135_38
.LBB135_303:
	s_mov_b32 s45, -1
	s_mov_b32 s0, 0
	s_mov_b32 s46, 0
	s_branch .LBB135_381
.LBB135_304:
	s_mov_b32 s47, -1
	s_mov_b32 s0, 0
	s_mov_b32 s46, 0
	s_branch .LBB135_339
.LBB135_305:
	s_mov_b32 s47, -1
	s_mov_b32 s0, 0
	s_mov_b32 s46, 0
	s_branch .LBB135_322
.LBB135_306:
	s_mov_b32 s47, -1
	s_mov_b32 s0, 0
	s_mov_b32 s46, 0
	s_branch .LBB135_318
.LBB135_307:
	s_mov_b32 s31, -1
	s_mov_b32 s46, exec_lo
	v_cmpx_eq_u16_e32 0x80, v6
; %bb.308:
	s_xor_b32 s31, exec_lo, -1
; %bb.309:
	s_or_b32 exec_lo, exec_lo, s46
	s_delay_alu instid0(SALU_CYCLE_1)
	s_and_b32 s31, s31, exec_lo
	s_or_saveexec_b32 s45, s45
	v_mov_b64_e32 v[4:5], 0x7ff8000020000000
	s_xor_b32 exec_lo, exec_lo, s45
	s_cbranch_execz .LBB135_214
.LBB135_310:
	v_cmp_ne_u16_e32 vcc_lo, 0, v6
	v_mov_b64_e32 v[4:5], 0
	s_and_not1_b32 s31, s31, exec_lo
	s_and_b32 s46, vcc_lo, exec_lo
	s_delay_alu instid0(SALU_CYCLE_1)
	s_or_b32 s31, s31, s46
	s_or_b32 exec_lo, exec_lo, s45
	s_and_saveexec_b32 s45, s31
	s_cbranch_execnz .LBB135_215
	s_branch .LBB135_216
.LBB135_311:
	s_mov_b32 s47, -1
	s_mov_b32 s0, 0
	s_mov_b32 s46, 0
.LBB135_312:
	s_and_b32 vcc_lo, exec_lo, s47
	s_cbranch_vccz .LBB135_317
; %bb.313:
	s_cmp_eq_u32 s45, 44
	s_mov_b32 s0, -1
	s_cbranch_scc0 .LBB135_317
; %bb.314:
	s_wait_xcnt 0x0
	s_delay_alu instid0(VALU_DEP_3) | instskip(SKIP_2) | instid1(VALU_DEP_2)
	v_cvt_f32_f64_e32 v6, v[0:1]
	v_mov_b32_e32 v7, 0xff
	s_mov_b32 s46, exec_lo
	v_bfe_u32 v9, v6, 23, 8
	s_delay_alu instid0(VALU_DEP_1)
	v_cmpx_ne_u32_e32 0xff, v9
	s_cbranch_execz .LBB135_316
; %bb.315:
	v_and_b32_e32 v7, 0x400000, v6
	v_and_or_b32 v9, 0x3fffff, v6, v9
	v_lshrrev_b32_e32 v6, 23, v6
	s_delay_alu instid0(VALU_DEP_3) | instskip(NEXT) | instid1(VALU_DEP_3)
	v_cmp_ne_u32_e32 vcc_lo, 0, v7
	v_cmp_ne_u32_e64 s0, 0, v9
	s_and_b32 s0, vcc_lo, s0
	s_delay_alu instid0(SALU_CYCLE_1) | instskip(NEXT) | instid1(VALU_DEP_1)
	v_cndmask_b32_e64 v7, 0, 1, s0
	v_add_nc_u32_e32 v7, v6, v7
.LBB135_316:
	s_or_b32 exec_lo, exec_lo, s46
	s_mov_b32 s46, -1
	s_mov_b32 s0, 0
	global_store_b8 v[4:5], v7, off
.LBB135_317:
	s_mov_b32 s47, 0
.LBB135_318:
	s_delay_alu instid0(SALU_CYCLE_1)
	s_and_b32 vcc_lo, exec_lo, s47
	s_cbranch_vccz .LBB135_321
; %bb.319:
	s_cmp_eq_u32 s45, 29
	s_mov_b32 s0, -1
	s_cbranch_scc0 .LBB135_321
; %bb.320:
	s_wait_xcnt 0x0
	s_delay_alu instid0(VALU_DEP_3) | instskip(SKIP_3) | instid1(VALU_DEP_1)
	v_trunc_f64_e32 v[6:7], v[0:1]
	s_mov_b32 s46, -1
	s_mov_b32 s0, 0
	s_mov_b32 s47, 0
	v_ldexp_f64 v[10:11], v[6:7], 0xffffffe0
	s_delay_alu instid0(VALU_DEP_1) | instskip(NEXT) | instid1(VALU_DEP_1)
	v_floor_f64_e32 v[10:11], v[10:11]
	v_fmamk_f64 v[6:7], v[10:11], 0xc1f00000, v[6:7]
	v_cvt_u32_f64_e32 v11, v[10:11]
	s_delay_alu instid0(VALU_DEP_2)
	v_cvt_u32_f64_e32 v10, v[6:7]
	global_store_b64 v[4:5], v[10:11], off
	s_branch .LBB135_322
.LBB135_321:
	s_mov_b32 s47, 0
.LBB135_322:
	s_delay_alu instid0(SALU_CYCLE_1)
	s_and_b32 vcc_lo, exec_lo, s47
	s_cbranch_vccz .LBB135_338
; %bb.323:
	s_cmp_lt_i32 s45, 27
	s_mov_b32 s46, -1
	s_cbranch_scc1 .LBB135_329
; %bb.324:
	s_wait_xcnt 0x0
	s_delay_alu instid0(VALU_DEP_3)
	v_cvt_u32_f64_e32 v6, v[0:1]
	s_cmp_gt_i32 s45, 27
	s_cbranch_scc0 .LBB135_326
; %bb.325:
	s_mov_b32 s46, 0
	global_store_b32 v[4:5], v6, off
.LBB135_326:
	s_and_not1_b32 vcc_lo, exec_lo, s46
	s_cbranch_vccnz .LBB135_328
; %bb.327:
	global_store_b16 v[4:5], v6, off
.LBB135_328:
	s_mov_b32 s46, 0
.LBB135_329:
	s_delay_alu instid0(SALU_CYCLE_1)
	s_and_not1_b32 vcc_lo, exec_lo, s46
	s_cbranch_vccnz .LBB135_337
; %bb.330:
	s_wait_xcnt 0x0
	s_delay_alu instid0(VALU_DEP_3) | instskip(SKIP_2) | instid1(VALU_DEP_2)
	v_cvt_f32_f64_e32 v6, v[0:1]
	v_mov_b32_e32 v9, 0x80
	s_mov_b32 s46, exec_lo
	v_and_b32_e32 v7, 0x7fffffff, v6
	s_delay_alu instid0(VALU_DEP_1)
	v_cmpx_gt_u32_e32 0x43800000, v7
	s_cbranch_execz .LBB135_336
; %bb.331:
	v_cmp_lt_u32_e32 vcc_lo, 0x3bffffff, v7
	s_mov_b32 s47, 0
                                        ; implicit-def: $vgpr7
	s_and_saveexec_b32 s48, vcc_lo
	s_delay_alu instid0(SALU_CYCLE_1)
	s_xor_b32 s48, exec_lo, s48
	s_cbranch_execnz .LBB135_602
; %bb.332:
	s_and_not1_saveexec_b32 s48, s48
	s_cbranch_execnz .LBB135_603
.LBB135_333:
	s_or_b32 exec_lo, exec_lo, s48
	v_mov_b32_e32 v9, 0
	s_and_saveexec_b32 s48, s47
.LBB135_334:
	v_lshrrev_b32_e32 v6, 24, v6
	s_delay_alu instid0(VALU_DEP_1)
	v_and_or_b32 v9, 0x80, v6, v7
.LBB135_335:
	s_or_b32 exec_lo, exec_lo, s48
.LBB135_336:
	s_delay_alu instid0(SALU_CYCLE_1)
	s_or_b32 exec_lo, exec_lo, s46
	global_store_b8 v[4:5], v9, off
.LBB135_337:
	s_mov_b32 s46, -1
.LBB135_338:
	s_mov_b32 s47, 0
.LBB135_339:
	s_delay_alu instid0(SALU_CYCLE_1)
	s_and_b32 vcc_lo, exec_lo, s47
	s_cbranch_vccz .LBB135_380
; %bb.340:
	s_cmp_gt_i32 s45, 22
	s_mov_b32 s47, -1
	s_cbranch_scc0 .LBB135_372
; %bb.341:
	s_cmp_lt_i32 s45, 24
	s_mov_b32 s46, -1
	s_cbranch_scc1 .LBB135_361
; %bb.342:
	s_cmp_gt_i32 s45, 24
	s_cbranch_scc0 .LBB135_350
; %bb.343:
	s_wait_xcnt 0x0
	s_delay_alu instid0(VALU_DEP_3) | instskip(SKIP_2) | instid1(VALU_DEP_2)
	v_cvt_f32_f64_e32 v6, v[0:1]
	v_mov_b32_e32 v9, 0x80
	s_mov_b32 s46, exec_lo
	v_and_b32_e32 v7, 0x7fffffff, v6
	s_delay_alu instid0(VALU_DEP_1)
	v_cmpx_gt_u32_e32 0x47800000, v7
	s_cbranch_execz .LBB135_349
; %bb.344:
	v_cmp_lt_u32_e32 vcc_lo, 0x37ffffff, v7
	s_mov_b32 s47, 0
                                        ; implicit-def: $vgpr7
	s_and_saveexec_b32 s48, vcc_lo
	s_delay_alu instid0(SALU_CYCLE_1)
	s_xor_b32 s48, exec_lo, s48
	s_cbranch_execnz .LBB135_1032
; %bb.345:
	s_and_not1_saveexec_b32 s48, s48
	s_cbranch_execnz .LBB135_1033
.LBB135_346:
	s_or_b32 exec_lo, exec_lo, s48
	v_mov_b32_e32 v9, 0
	s_and_saveexec_b32 s48, s47
.LBB135_347:
	v_lshrrev_b32_e32 v6, 24, v6
	s_delay_alu instid0(VALU_DEP_1)
	v_and_or_b32 v9, 0x80, v6, v7
.LBB135_348:
	s_or_b32 exec_lo, exec_lo, s48
.LBB135_349:
	s_delay_alu instid0(SALU_CYCLE_1)
	s_or_b32 exec_lo, exec_lo, s46
	s_mov_b32 s46, 0
	global_store_b8 v[4:5], v9, off
.LBB135_350:
	s_and_b32 vcc_lo, exec_lo, s46
	s_cbranch_vccz .LBB135_360
; %bb.351:
	s_wait_xcnt 0x0
	s_delay_alu instid0(VALU_DEP_3) | instskip(SKIP_1) | instid1(VALU_DEP_1)
	v_cvt_f32_f64_e32 v6, v[0:1]
	s_mov_b32 s46, exec_lo
                                        ; implicit-def: $vgpr7
	v_and_b32_e32 v9, 0x7fffffff, v6
	s_delay_alu instid0(VALU_DEP_1)
	v_cmpx_gt_u32_e32 0x43f00000, v9
	s_xor_b32 s46, exec_lo, s46
	s_cbranch_execz .LBB135_357
; %bb.352:
	s_mov_b32 s47, exec_lo
                                        ; implicit-def: $vgpr7
	v_cmpx_lt_u32_e32 0x3c7fffff, v9
	s_xor_b32 s47, exec_lo, s47
; %bb.353:
	v_bfe_u32 v7, v6, 20, 1
	s_delay_alu instid0(VALU_DEP_1) | instskip(NEXT) | instid1(VALU_DEP_1)
	v_add3_u32 v7, v6, v7, 0x407ffff
	v_and_b32_e32 v9, 0xff00000, v7
	v_lshrrev_b32_e32 v7, 20, v7
	s_delay_alu instid0(VALU_DEP_2) | instskip(NEXT) | instid1(VALU_DEP_2)
	v_cmp_ne_u32_e32 vcc_lo, 0x7f00000, v9
	v_cndmask_b32_e32 v7, 0x7e, v7, vcc_lo
; %bb.354:
	s_and_not1_saveexec_b32 s47, s47
; %bb.355:
	v_add_f32_e64 v7, 0x46800000, |v6|
; %bb.356:
	s_or_b32 exec_lo, exec_lo, s47
                                        ; implicit-def: $vgpr9
.LBB135_357:
	s_and_not1_saveexec_b32 s46, s46
; %bb.358:
	v_mov_b32_e32 v7, 0x7f
	v_cmp_lt_u32_e32 vcc_lo, 0x7f800000, v9
	s_delay_alu instid0(VALU_DEP_2)
	v_cndmask_b32_e32 v7, 0x7e, v7, vcc_lo
; %bb.359:
	s_or_b32 exec_lo, exec_lo, s46
	v_lshrrev_b32_e32 v6, 24, v6
	s_delay_alu instid0(VALU_DEP_1)
	v_and_or_b32 v6, 0x80, v6, v7
	global_store_b8 v[4:5], v6, off
.LBB135_360:
	s_mov_b32 s46, 0
.LBB135_361:
	s_delay_alu instid0(SALU_CYCLE_1)
	s_and_not1_b32 vcc_lo, exec_lo, s46
	s_cbranch_vccnz .LBB135_371
; %bb.362:
	s_wait_xcnt 0x0
	s_delay_alu instid0(VALU_DEP_3) | instskip(SKIP_1) | instid1(VALU_DEP_1)
	v_cvt_f32_f64_e32 v6, v[0:1]
	s_mov_b32 s46, exec_lo
                                        ; implicit-def: $vgpr7
	v_and_b32_e32 v9, 0x7fffffff, v6
	s_delay_alu instid0(VALU_DEP_1)
	v_cmpx_gt_u32_e32 0x47800000, v9
	s_xor_b32 s46, exec_lo, s46
	s_cbranch_execz .LBB135_368
; %bb.363:
	s_mov_b32 s47, exec_lo
                                        ; implicit-def: $vgpr7
	v_cmpx_lt_u32_e32 0x387fffff, v9
	s_xor_b32 s47, exec_lo, s47
; %bb.364:
	v_bfe_u32 v7, v6, 21, 1
	s_delay_alu instid0(VALU_DEP_1) | instskip(NEXT) | instid1(VALU_DEP_1)
	v_add3_u32 v7, v6, v7, 0x80fffff
	v_lshrrev_b32_e32 v7, 21, v7
; %bb.365:
	s_and_not1_saveexec_b32 s47, s47
; %bb.366:
	v_add_f32_e64 v7, 0x43000000, |v6|
; %bb.367:
	s_or_b32 exec_lo, exec_lo, s47
                                        ; implicit-def: $vgpr9
.LBB135_368:
	s_and_not1_saveexec_b32 s46, s46
; %bb.369:
	v_mov_b32_e32 v7, 0x7f
	v_cmp_lt_u32_e32 vcc_lo, 0x7f800000, v9
	s_delay_alu instid0(VALU_DEP_2)
	v_cndmask_b32_e32 v7, 0x7c, v7, vcc_lo
; %bb.370:
	s_or_b32 exec_lo, exec_lo, s46
	v_lshrrev_b32_e32 v6, 24, v6
	s_delay_alu instid0(VALU_DEP_1)
	v_and_or_b32 v6, 0x80, v6, v7
	global_store_b8 v[4:5], v6, off
.LBB135_371:
	s_mov_b32 s47, 0
	s_mov_b32 s46, -1
.LBB135_372:
	s_and_not1_b32 vcc_lo, exec_lo, s47
	s_cbranch_vccnz .LBB135_380
; %bb.373:
	s_cmp_gt_i32 s45, 14
	s_mov_b32 s47, -1
	s_cbranch_scc0 .LBB135_377
; %bb.374:
	s_cmp_eq_u32 s45, 15
	s_mov_b32 s0, -1
	s_cbranch_scc0 .LBB135_376
; %bb.375:
	s_wait_xcnt 0x0
	s_delay_alu instid0(VALU_DEP_3) | instskip(SKIP_2) | instid1(VALU_DEP_1)
	v_cvt_f32_f64_e32 v6, v[0:1]
	s_mov_b32 s46, -1
	s_mov_b32 s0, 0
	v_bfe_u32 v7, v6, 16, 1
	v_cmp_o_f32_e32 vcc_lo, v6, v6
	s_delay_alu instid0(VALU_DEP_2) | instskip(NEXT) | instid1(VALU_DEP_1)
	v_add3_u32 v7, v6, v7, 0x7fff
	v_lshrrev_b32_e32 v7, 16, v7
	s_delay_alu instid0(VALU_DEP_1)
	v_cndmask_b32_e32 v6, 0x7fc0, v7, vcc_lo
	global_store_b16 v[4:5], v6, off
.LBB135_376:
	s_mov_b32 s47, 0
.LBB135_377:
	s_delay_alu instid0(SALU_CYCLE_1)
	s_and_b32 vcc_lo, exec_lo, s47
	s_cbranch_vccz .LBB135_380
; %bb.378:
	s_cmp_eq_u32 s45, 11
	s_mov_b32 s0, -1
	s_cbranch_scc0 .LBB135_380
; %bb.379:
	s_delay_alu instid0(VALU_DEP_3) | instskip(NEXT) | instid1(VALU_DEP_3)
	v_cmp_neq_f64_e32 vcc_lo, 0, v[0:1]
	v_cmp_neq_f64_e64 s0, 0, v[2:3]
	s_mov_b32 s46, -1
	s_or_b32 s0, vcc_lo, s0
	s_wait_xcnt 0x0
	v_cndmask_b32_e64 v6, 0, 1, s0
	s_mov_b32 s0, 0
	global_store_b8 v[4:5], v6, off
.LBB135_380:
	s_mov_b32 s45, 0
.LBB135_381:
	s_delay_alu instid0(SALU_CYCLE_1)
	s_and_b32 vcc_lo, exec_lo, s45
	s_cbranch_vccz .LBB135_420
; %bb.382:
	s_and_b32 s31, 0xffff, s31
	s_mov_b32 s45, -1
	s_cmp_lt_i32 s31, 5
	s_cbranch_scc1 .LBB135_403
; %bb.383:
	s_cmp_lt_i32 s31, 8
	s_cbranch_scc1 .LBB135_393
; %bb.384:
	;; [unrolled: 3-line block ×3, first 2 shown]
	s_cmp_gt_i32 s31, 9
	s_cbranch_scc0 .LBB135_387
; %bb.386:
	s_mov_b32 s45, 0
	global_store_b128 v[4:5], v[0:3], off
.LBB135_387:
	s_and_not1_b32 vcc_lo, exec_lo, s45
	s_cbranch_vccnz .LBB135_389
; %bb.388:
	s_wait_xcnt 0x0
	s_delay_alu instid0(VALU_DEP_3) | instskip(NEXT) | instid1(VALU_DEP_3)
	v_cvt_f32_f64_e32 v6, v[0:1]
	v_cvt_f32_f64_e32 v7, v[2:3]
	global_store_b64 v[4:5], v[6:7], off
.LBB135_389:
	s_mov_b32 s45, 0
.LBB135_390:
	s_delay_alu instid0(SALU_CYCLE_1)
	s_and_not1_b32 vcc_lo, exec_lo, s45
	s_cbranch_vccnz .LBB135_392
; %bb.391:
	s_wait_xcnt 0x0
	s_delay_alu instid0(VALU_DEP_3) | instskip(NEXT) | instid1(VALU_DEP_3)
	v_and_or_b32 v6, 0x1ff, v1, v0
	v_and_or_b32 v2, 0x1ff, v3, v2
	v_dual_lshrrev_b32 v7, 8, v1 :: v_dual_lshrrev_b32 v11, 8, v3
	v_bfe_u32 v9, v1, 20, 11
	s_delay_alu instid0(VALU_DEP_4) | instskip(SKIP_2) | instid1(VALU_DEP_4)
	v_cmp_ne_u32_e32 vcc_lo, 0, v6
	v_bfe_u32 v10, v3, 20, 11
	v_lshrrev_b32_e32 v17, 16, v1
	v_sub_nc_u32_e32 v12, 0x3f1, v9
	v_cndmask_b32_e64 v6, 0, 1, vcc_lo
	v_cmp_ne_u32_e32 vcc_lo, 0, v2
	v_add_nc_u32_e32 v9, 0xfffffc10, v9
	s_delay_alu instid0(VALU_DEP_3) | instskip(SKIP_3) | instid1(VALU_DEP_3)
	v_and_or_b32 v6, 0xffe, v7, v6
	v_cndmask_b32_e64 v2, 0, 1, vcc_lo
	v_sub_nc_u32_e32 v7, 0x3f1, v10
	v_add_nc_u32_e32 v10, 0xfffffc10, v10
	v_and_or_b32 v2, 0xffe, v11, v2
	v_med3_i32 v11, v12, 0, 13
	v_or_b32_e32 v12, 0x1000, v6
	v_med3_i32 v7, v7, 0, 13
	s_delay_alu instid0(VALU_DEP_4) | instskip(NEXT) | instid1(VALU_DEP_3)
	v_or_b32_e32 v13, 0x1000, v2
	v_lshrrev_b32_e32 v14, v11, v12
	s_delay_alu instid0(VALU_DEP_1) | instskip(NEXT) | instid1(VALU_DEP_1)
	v_lshlrev_b32_e32 v11, v11, v14
	v_cmp_ne_u32_e32 vcc_lo, v11, v12
	v_lshl_or_b32 v12, v9, 12, v6
	v_cndmask_b32_e64 v11, 0, 1, vcc_lo
	s_delay_alu instid0(VALU_DEP_1) | instskip(NEXT) | instid1(VALU_DEP_1)
	v_dual_lshrrev_b32 v15, v7, v13 :: v_dual_bitop2_b32 v11, v14, v11 bitop3:0x54
	v_dual_mov_b32 v14, 0x7e00 :: v_dual_lshlrev_b32 v7, v7, v15
	s_delay_alu instid0(VALU_DEP_1) | instskip(SKIP_3) | instid1(VALU_DEP_2)
	v_cmp_ne_u32_e32 vcc_lo, v7, v13
	v_lshl_or_b32 v13, v10, 12, v2
	v_cndmask_b32_e64 v7, 0, 1, vcc_lo
	v_cmp_gt_i32_e32 vcc_lo, 1, v9
	v_or_b32_e32 v7, v15, v7
	v_cndmask_b32_e32 v11, v12, v11, vcc_lo
	v_cmp_gt_i32_e32 vcc_lo, 1, v10
	s_delay_alu instid0(VALU_DEP_2) | instskip(NEXT) | instid1(VALU_DEP_4)
	v_dual_lshrrev_b32 v11, 2, v11 :: v_dual_bitop2_b32 v12, 7, v11 bitop3:0x40
	v_cndmask_b32_e32 v7, v13, v7, vcc_lo
	s_delay_alu instid0(VALU_DEP_2) | instskip(NEXT) | instid1(VALU_DEP_2)
	v_cmp_lt_i32_e32 vcc_lo, 5, v12
	v_and_b32_e32 v13, 7, v7
	v_cndmask_b32_e64 v15, 0, 1, vcc_lo
	s_delay_alu instid0(VALU_DEP_2) | instskip(SKIP_4) | instid1(VALU_DEP_2)
	v_cmp_lt_i32_e32 vcc_lo, 5, v13
	v_cndmask_b32_e64 v16, 0, 1, vcc_lo
	v_cmp_eq_u32_e32 vcc_lo, 3, v13
	v_cndmask_b32_e64 v13, 0, 1, vcc_lo
	v_cmp_eq_u32_e32 vcc_lo, 3, v12
	v_dual_lshrrev_b32 v7, 2, v7 :: v_dual_bitop2_b32 v13, v13, v16 bitop3:0x54
	v_cndmask_b32_e64 v12, 0, 1, vcc_lo
	v_cmp_ne_u32_e32 vcc_lo, 0, v6
	s_delay_alu instid0(VALU_DEP_3) | instskip(NEXT) | instid1(VALU_DEP_3)
	v_dual_lshrrev_b32 v3, 16, v3 :: v_dual_add_nc_u32 v7, v7, v13
	v_or_b32_e32 v12, v12, v15
	v_cndmask_b32_e32 v6, 0x7c00, v14, vcc_lo
	v_cmp_ne_u32_e32 vcc_lo, 0, v2
	s_delay_alu instid0(VALU_DEP_3)
	v_add_nc_u32_e32 v11, v11, v12
	v_and_b32_e32 v12, 0x8000, v17
	v_cndmask_b32_e32 v2, 0x7c00, v14, vcc_lo
	v_cmp_gt_i32_e32 vcc_lo, 31, v10
	v_cndmask_b32_e32 v7, 0x7c00, v7, vcc_lo
	v_cmp_gt_i32_e32 vcc_lo, 31, v9
	v_cndmask_b32_e32 v11, 0x7c00, v11, vcc_lo
	v_cmp_eq_u32_e32 vcc_lo, 0x40f, v10
	s_delay_alu instid0(VALU_DEP_4) | instskip(SKIP_1) | instid1(VALU_DEP_2)
	v_cndmask_b32_e32 v2, v7, v2, vcc_lo
	v_cmp_eq_u32_e32 vcc_lo, 0x40f, v9
	v_and_or_b32 v2, 0x8000, v3, v2
	v_cndmask_b32_e32 v6, v11, v6, vcc_lo
	s_delay_alu instid0(VALU_DEP_1) | instskip(NEXT) | instid1(VALU_DEP_1)
	v_bitop3_b32 v3, v12, 0xffff, v6 bitop3:0xc8
	v_lshl_or_b32 v2, v2, 16, v3
	global_store_b32 v[4:5], v2, off
.LBB135_392:
	s_mov_b32 s45, 0
.LBB135_393:
	s_delay_alu instid0(SALU_CYCLE_1)
	s_and_not1_b32 vcc_lo, exec_lo, s45
	s_cbranch_vccnz .LBB135_402
; %bb.394:
	s_cmp_lt_i32 s31, 6
	s_mov_b32 s45, -1
	s_cbranch_scc1 .LBB135_400
; %bb.395:
	s_cmp_gt_i32 s31, 6
	s_cbranch_scc0 .LBB135_397
; %bb.396:
	s_mov_b32 s45, 0
	global_store_b64 v[4:5], v[0:1], off
.LBB135_397:
	s_and_not1_b32 vcc_lo, exec_lo, s45
	s_cbranch_vccnz .LBB135_399
; %bb.398:
	s_wait_xcnt 0x0
	s_delay_alu instid0(VALU_DEP_3)
	v_cvt_f32_f64_e32 v2, v[0:1]
	global_store_b32 v[4:5], v2, off
.LBB135_399:
	s_mov_b32 s45, 0
.LBB135_400:
	s_delay_alu instid0(SALU_CYCLE_1)
	s_and_not1_b32 vcc_lo, exec_lo, s45
	s_cbranch_vccnz .LBB135_402
; %bb.401:
	s_wait_xcnt 0x0
	s_delay_alu instid0(VALU_DEP_3) | instskip(SKIP_2) | instid1(VALU_DEP_3)
	v_and_or_b32 v2, 0x1ff, v1, v0
	v_lshrrev_b32_e32 v3, 8, v1
	v_bfe_u32 v6, v1, 20, 11
	v_cmp_ne_u32_e32 vcc_lo, 0, v2
	s_delay_alu instid0(VALU_DEP_2) | instskip(SKIP_1) | instid1(VALU_DEP_1)
	v_sub_nc_u32_e32 v7, 0x3f1, v6
	v_cndmask_b32_e64 v2, 0, 1, vcc_lo
	v_and_or_b32 v2, 0xffe, v3, v2
	s_delay_alu instid0(VALU_DEP_3) | instskip(NEXT) | instid1(VALU_DEP_2)
	v_med3_i32 v3, v7, 0, 13
	v_or_b32_e32 v7, 0x1000, v2
	s_delay_alu instid0(VALU_DEP_1) | instskip(NEXT) | instid1(VALU_DEP_1)
	v_lshrrev_b32_e32 v9, v3, v7
	v_lshlrev_b32_e32 v3, v3, v9
	s_delay_alu instid0(VALU_DEP_1) | instskip(SKIP_1) | instid1(VALU_DEP_1)
	v_cmp_ne_u32_e32 vcc_lo, v3, v7
	v_cndmask_b32_e64 v3, 0, 1, vcc_lo
	v_or_b32_e32 v3, v9, v3
	v_add_nc_u32_e32 v6, 0xfffffc10, v6
	s_delay_alu instid0(VALU_DEP_1) | instskip(SKIP_1) | instid1(VALU_DEP_2)
	v_lshl_or_b32 v7, v6, 12, v2
	v_cmp_gt_i32_e32 vcc_lo, 1, v6
	v_cndmask_b32_e32 v3, v7, v3, vcc_lo
	s_delay_alu instid0(VALU_DEP_1) | instskip(NEXT) | instid1(VALU_DEP_1)
	v_dual_lshrrev_b32 v3, 2, v3 :: v_dual_bitop2_b32 v7, 7, v3 bitop3:0x40
	v_cmp_lt_i32_e32 vcc_lo, 5, v7
	v_cndmask_b32_e64 v9, 0, 1, vcc_lo
	v_cmp_eq_u32_e32 vcc_lo, 3, v7
	v_cndmask_b32_e64 v7, 0, 1, vcc_lo
	v_cmp_ne_u32_e32 vcc_lo, 0, v2
	s_delay_alu instid0(VALU_DEP_2) | instskip(SKIP_1) | instid1(VALU_DEP_1)
	v_or_b32_e32 v7, v7, v9
	v_mov_b32_e32 v9, 0x7e00
	v_dual_cndmask_b32 v2, 0x7c00, v9 :: v_dual_add_nc_u32 v3, v3, v7
	v_cmp_gt_i32_e32 vcc_lo, 31, v6
	s_delay_alu instid0(VALU_DEP_2) | instskip(SKIP_1) | instid1(VALU_DEP_2)
	v_cndmask_b32_e32 v3, 0x7c00, v3, vcc_lo
	v_cmp_eq_u32_e32 vcc_lo, 0x40f, v6
	v_dual_cndmask_b32 v2, v3, v2 :: v_dual_lshrrev_b32 v3, 16, v1
	s_delay_alu instid0(VALU_DEP_1)
	v_and_or_b32 v2, 0x8000, v3, v2
	global_store_b16 v[4:5], v2, off
.LBB135_402:
	s_mov_b32 s45, 0
.LBB135_403:
	s_delay_alu instid0(SALU_CYCLE_1)
	s_and_not1_b32 vcc_lo, exec_lo, s45
	s_cbranch_vccnz .LBB135_419
; %bb.404:
	s_cmp_lt_i32 s31, 2
	s_mov_b32 s45, -1
	s_cbranch_scc1 .LBB135_414
; %bb.405:
	s_cmp_lt_i32 s31, 3
	s_cbranch_scc1 .LBB135_411
; %bb.406:
	s_cmp_gt_i32 s31, 3
	s_cbranch_scc0 .LBB135_408
; %bb.407:
	s_wait_xcnt 0x0
	s_delay_alu instid0(VALU_DEP_3) | instskip(SKIP_1) | instid1(VALU_DEP_1)
	v_trunc_f64_e32 v[2:3], v[0:1]
	s_mov_b32 s45, 0
	v_ldexp_f64 v[6:7], v[2:3], 0xffffffe0
	s_delay_alu instid0(VALU_DEP_1) | instskip(NEXT) | instid1(VALU_DEP_1)
	v_floor_f64_e32 v[6:7], v[6:7]
	v_fmamk_f64 v[2:3], v[6:7], 0xc1f00000, v[2:3]
	v_cvt_i32_f64_e32 v7, v[6:7]
	s_delay_alu instid0(VALU_DEP_2)
	v_cvt_u32_f64_e32 v6, v[2:3]
	global_store_b64 v[4:5], v[6:7], off
.LBB135_408:
	s_and_not1_b32 vcc_lo, exec_lo, s45
	s_cbranch_vccnz .LBB135_410
; %bb.409:
	s_wait_xcnt 0x0
	s_delay_alu instid0(VALU_DEP_3)
	v_cvt_i32_f64_e32 v2, v[0:1]
	global_store_b32 v[4:5], v2, off
.LBB135_410:
	s_mov_b32 s45, 0
.LBB135_411:
	s_delay_alu instid0(SALU_CYCLE_1)
	s_and_not1_b32 vcc_lo, exec_lo, s45
	s_cbranch_vccnz .LBB135_413
; %bb.412:
	s_wait_xcnt 0x0
	s_delay_alu instid0(VALU_DEP_3)
	v_cvt_i32_f64_e32 v2, v[0:1]
	global_store_b16 v[4:5], v2, off
.LBB135_413:
	s_mov_b32 s45, 0
.LBB135_414:
	s_delay_alu instid0(SALU_CYCLE_1)
	s_and_not1_b32 vcc_lo, exec_lo, s45
	s_cbranch_vccnz .LBB135_419
; %bb.415:
	s_cmp_gt_i32 s31, 0
	s_mov_b32 s31, -1
	s_cbranch_scc0 .LBB135_417
; %bb.416:
	s_wait_xcnt 0x0
	s_delay_alu instid0(VALU_DEP_3)
	v_cvt_i32_f64_e32 v2, v[0:1]
	s_mov_b32 s31, 0
	global_store_b8 v[4:5], v2, off
.LBB135_417:
	s_and_not1_b32 vcc_lo, exec_lo, s31
	s_cbranch_vccnz .LBB135_419
; %bb.418:
	s_wait_xcnt 0x0
	s_delay_alu instid0(VALU_DEP_3) | instskip(NEXT) | instid1(VALU_DEP_1)
	v_trunc_f64_e32 v[0:1], v[0:1]
	v_ldexp_f64 v[2:3], v[0:1], 0xffffffe0
	s_delay_alu instid0(VALU_DEP_1) | instskip(NEXT) | instid1(VALU_DEP_1)
	v_floor_f64_e32 v[2:3], v[2:3]
	v_fmamk_f64 v[0:1], v[2:3], 0xc1f00000, v[0:1]
	s_delay_alu instid0(VALU_DEP_1)
	v_cvt_u32_f64_e32 v0, v[0:1]
	global_store_b8 v[4:5], v0, off
.LBB135_419:
	s_mov_b32 s46, -1
.LBB135_420:
	s_delay_alu instid0(SALU_CYCLE_1)
	s_and_not1_b32 vcc_lo, exec_lo, s46
	s_cbranch_vccnz .LBB135_38
; %bb.421:
	v_add_nc_u32_e32 v8, 0x80, v8
	s_mov_b32 s31, -1
.LBB135_422:
	s_and_b32 s45, s0, exec_lo
	s_and_b32 s46, s30, exec_lo
	;; [unrolled: 1-line block ×4, first 2 shown]
	s_or_not1_b32 s28, s31, exec_lo
.LBB135_423:
	s_wait_xcnt 0x0
	s_or_b32 exec_lo, exec_lo, s49
                                        ; implicit-def: $vgpr4
                                        ; implicit-def: $vgpr0
                                        ; implicit-def: $vgpr10
	s_and_saveexec_b32 s49, s28
	s_cbranch_execz .LBB135_1319
; %bb.424:
	s_mov_b32 s28, -1
	s_mov_b32 s50, s48
	s_mov_b32 s53, s47
	;; [unrolled: 1-line block ×4, first 2 shown]
	s_mov_b32 s54, exec_lo
	v_cmpx_gt_i32_e64 s43, v8
	s_cbranch_execz .LBB135_850
; %bb.425:
	s_and_not1_b32 vcc_lo, exec_lo, s35
	s_cbranch_vccnz .LBB135_431
; %bb.426:
	s_and_not1_b32 vcc_lo, exec_lo, s44
	s_cbranch_vccnz .LBB135_432
; %bb.427:
	s_wait_loadcnt 0x0
	v_dual_mov_b32 v10, 0 :: v_dual_mov_b32 v1, v8
	v_dual_mov_b32 v0, 0 :: v_dual_mov_b32 v4, 0
	s_add_co_i32 s0, s42, 1
	s_mov_b64 s[28:29], 0xffffffffffffffe0
	s_and_b32 s0, s0, 30
	s_add_nc_u64 s[28:29], s[2:3], s[28:29]
	s_mov_b64 s[30:31], s[2:3]
.LBB135_428:                            ; =>This Inner Loop Header: Depth=1
	s_clause 0x1
	s_load_b128 s[56:59], s[30:31], 0x4
	s_load_b64 s[50:51], s[30:31], 0x14
	s_load_b32 s52, s[28:29], 0xe4
	s_add_co_i32 s0, s0, -2
	s_wait_xcnt 0x0
	s_add_nc_u64 s[30:31], s[30:31], 24
	s_cmp_eq_u32 s0, 0
	s_wait_kmcnt 0x0
	v_mul_hi_u32 v2, s57, v1
	s_delay_alu instid0(VALU_DEP_1) | instskip(NEXT) | instid1(VALU_DEP_1)
	v_add_nc_u32_e32 v2, v1, v2
	v_lshrrev_b32_e32 v2, s58, v2
	s_delay_alu instid0(VALU_DEP_1) | instskip(SKIP_2) | instid1(VALU_DEP_1)
	v_mul_hi_u32 v3, s50, v2
	v_mul_lo_u32 v5, v2, s56
	s_load_b96 s[56:58], s[28:29], 0xec
	v_dual_add_nc_u32 v3, v2, v3 :: v_dual_sub_nc_u32 v5, v1, v5
	s_delay_alu instid0(VALU_DEP_1) | instskip(SKIP_1) | instid1(VALU_DEP_2)
	v_lshrrev_b32_e32 v1, s51, v3
	s_load_b64 s[50:51], s[28:29], 0xfc
	v_mad_u32 v6, v5, s52, v10
	s_wait_xcnt 0x0
	s_add_nc_u64 s[28:29], s[28:29], 32
	v_mul_lo_u32 v3, v1, s59
	s_wait_kmcnt 0x0
	v_mad_u32 v4, v5, s57, v4
	v_mad_u32 v0, v5, s56, v0
	s_delay_alu instid0(VALU_DEP_3) | instskip(NEXT) | instid1(VALU_DEP_1)
	v_sub_nc_u32_e32 v2, v2, v3
	v_mad_u32 v10, v2, s58, v6
	s_delay_alu instid0(VALU_DEP_4) | instskip(NEXT) | instid1(VALU_DEP_4)
	v_mad_u32 v4, v2, s51, v4
	v_mad_u32 v0, v2, s50, v0
	s_cbranch_scc0 .LBB135_428
; %bb.429:
	s_bitcmp1_b32 s42, 0
	s_cselect_b32 s0, -1, 0
	s_delay_alu instid0(SALU_CYCLE_1)
	s_and_b32 vcc_lo, exec_lo, s0
	s_cbranch_vccnz .LBB135_433
; %bb.430:
	s_load_b96 s[56:58], s[30:31], 0x4
	s_load_b32 s0, s[28:29], 0xe4
	s_wait_xcnt 0x0
	s_load_b64 s[30:31], s[28:29], 0xec
	s_wait_kmcnt 0x0
	v_mul_hi_u32 v2, s57, v1
	s_delay_alu instid0(VALU_DEP_1) | instskip(NEXT) | instid1(VALU_DEP_1)
	v_add_nc_u32_e32 v2, v1, v2
	v_lshrrev_b32_e32 v2, s58, v2
	s_delay_alu instid0(VALU_DEP_1) | instskip(NEXT) | instid1(VALU_DEP_1)
	v_mul_lo_u32 v2, v2, s56
	v_sub_nc_u32_e32 v1, v1, v2
	s_delay_alu instid0(VALU_DEP_1)
	v_mad_u32 v10, v1, s0, v10
	v_mad_u32 v0, v1, s30, v0
	v_mad_u32 v4, v1, s31, v4
	s_branch .LBB135_433
.LBB135_431:
                                        ; implicit-def: $vgpr4
                                        ; implicit-def: $vgpr0
                                        ; implicit-def: $vgpr10
	s_branch .LBB135_434
.LBB135_432:
	s_wait_loadcnt 0x0
	v_dual_mov_b32 v4, 0 :: v_dual_mov_b32 v0, 0
	v_mov_b32_e32 v10, 0
.LBB135_433:
	s_cbranch_execnz .LBB135_436
.LBB135_434:
	v_mov_b32_e32 v9, 0
	s_and_not1_b32 vcc_lo, exec_lo, s41
	s_wait_loadcnt 0x0
	s_delay_alu instid0(VALU_DEP_1) | instskip(NEXT) | instid1(VALU_DEP_1)
	v_mul_u64_e32 v[0:1], s[22:23], v[8:9]
	v_add_nc_u32_e32 v0, v8, v1
	s_delay_alu instid0(VALU_DEP_1) | instskip(NEXT) | instid1(VALU_DEP_1)
	v_lshrrev_b32_e32 v2, s14, v0
	v_mul_lo_u32 v0, v2, s12
	s_delay_alu instid0(VALU_DEP_1) | instskip(NEXT) | instid1(VALU_DEP_1)
	v_sub_nc_u32_e32 v0, v8, v0
	v_mul_lo_u32 v10, v0, s40
	v_mul_lo_u32 v4, v0, s17
	;; [unrolled: 1-line block ×3, first 2 shown]
	s_cbranch_vccnz .LBB135_436
; %bb.435:
	v_mov_b32_e32 v3, v9
	s_delay_alu instid0(VALU_DEP_1) | instskip(NEXT) | instid1(VALU_DEP_1)
	v_mul_u64_e32 v[6:7], s[26:27], v[2:3]
	v_add_nc_u32_e32 v1, v2, v7
	s_delay_alu instid0(VALU_DEP_1) | instskip(NEXT) | instid1(VALU_DEP_1)
	v_lshrrev_b32_e32 v1, s1, v1
	v_mul_lo_u32 v1, v1, s15
	s_delay_alu instid0(VALU_DEP_1) | instskip(NEXT) | instid1(VALU_DEP_1)
	v_sub_nc_u32_e32 v1, v2, v1
	v_mad_u32 v10, v1, s18, v10
	v_mad_u32 v0, v1, s24, v0
	;; [unrolled: 1-line block ×3, first 2 shown]
.LBB135_436:
	s_and_b32 s28, s39, 0xff
	s_delay_alu instid0(SALU_CYCLE_1)
	s_cmp_lt_i32 s28, 23
	s_cbranch_scc1 .LBB135_440
; %bb.437:
	s_and_b32 s30, 0xffff, s28
	s_delay_alu instid0(SALU_CYCLE_1)
	s_cmp_gt_i32 s30, 43
	s_cbranch_scc0 .LBB135_441
; %bb.438:
	s_cmp_gt_i32 s30, 45
	s_cbranch_scc0 .LBB135_442
; %bb.439:
	s_cmp_eq_u32 s30, 46
	s_mov_b32 s31, 0
	s_cselect_b32 s0, -1, 0
	s_or_b32 s29, s48, exec_lo
	s_branch .LBB135_443
.LBB135_440:
	s_mov_b32 s0, 0
	s_mov_b32 s29, s48
	s_cbranch_execnz .LBB135_449
	s_branch .LBB135_453
.LBB135_441:
	s_mov_b32 s31, -1
	s_mov_b32 s0, 0
	s_mov_b32 s29, s48
	s_branch .LBB135_446
.LBB135_442:
	s_mov_b32 s31, -1
	s_mov_b32 s0, 0
	s_mov_b32 s29, s48
.LBB135_443:
	s_and_not1_b32 vcc_lo, exec_lo, s31
	s_cbranch_vccnz .LBB135_445
; %bb.444:
	s_cmp_eq_u32 s30, 44
	s_cselect_b32 s0, -1, 0
	s_cmp_lg_u32 s30, 44
	s_cselect_b32 s31, -1, 0
	s_and_not1_b32 s29, s29, exec_lo
	s_and_b32 s31, s31, exec_lo
	s_delay_alu instid0(SALU_CYCLE_1)
	s_or_b32 s29, s29, s31
.LBB135_445:
	s_mov_b32 s31, 0
.LBB135_446:
	s_delay_alu instid0(SALU_CYCLE_1)
	s_and_b32 vcc_lo, exec_lo, s31
	s_cbranch_vccz .LBB135_448
; %bb.447:
	s_cmp_lt_i32 s30, 30
	s_cselect_b32 s0, -1, 0
	s_cmp_gt_i32 s30, 29
	s_cselect_b32 s30, -1, 0
	s_and_not1_b32 s29, s29, exec_lo
	s_and_b32 s30, s30, exec_lo
	s_delay_alu instid0(SALU_CYCLE_1)
	s_or_b32 s29, s29, s30
.LBB135_448:
	s_branch .LBB135_453
.LBB135_449:
	s_and_b32 s28, 0xffff, s28
	s_mov_b32 s30, -1
	s_cmp_gt_i32 s28, 14
	s_cbranch_scc0 .LBB135_451
; %bb.450:
	s_cmp_eq_u32 s28, 15
	s_cselect_b32 s0, -1, 0
	s_cmp_lg_u32 s28, 15
	s_cselect_b32 s30, -1, 0
	s_and_not1_b32 s29, s29, exec_lo
	s_and_b32 s31, s30, exec_lo
	s_mov_b32 s30, 0
	s_or_b32 s29, s29, s31
.LBB135_451:
	s_and_not1_b32 vcc_lo, exec_lo, s30
	s_cbranch_vccnz .LBB135_453
; %bb.452:
	s_cmp_lt_i32 s28, 12
	s_cselect_b32 s0, -1, 0
	s_cmp_gt_i32 s28, 11
	s_cselect_b32 s28, -1, 0
	s_and_not1_b32 s29, s29, exec_lo
	s_and_b32 s28, s28, exec_lo
	s_delay_alu instid0(SALU_CYCLE_1)
	s_or_b32 s29, s29, s28
.LBB135_453:
	s_and_b32 vcc_lo, exec_lo, s0
	s_cbranch_vccz .LBB135_461
; %bb.454:
	s_wait_loadcnt 0x0
	v_mov_b32_e32 v1, 0
	s_and_b32 s0, s38, 0xff
	s_delay_alu instid0(SALU_CYCLE_1) | instskip(NEXT) | instid1(VALU_DEP_1)
	s_cmp_lt_i32 s0, 11
	v_add_nc_u64_e32 v[6:7], s[8:9], v[0:1]
	s_cbranch_scc1 .LBB135_463
; %bb.455:
	s_and_b32 s29, 0xffff, s0
	s_delay_alu instid0(SALU_CYCLE_1)
	s_cmp_gt_i32 s29, 25
	s_cbranch_scc0 .LBB135_464
; %bb.456:
	s_cmp_gt_i32 s29, 28
	s_cbranch_scc0 .LBB135_465
; %bb.457:
	;; [unrolled: 3-line block ×4, first 2 shown]
	s_cmp_eq_u32 s29, 46
	s_mov_b32 s31, 0
	s_cbranch_scc0 .LBB135_468
; %bb.460:
	global_load_b32 v0, v[6:7], off
	s_mov_b32 s30, -1
	s_mov_b32 s28, 0
	s_wait_loadcnt 0x0
	v_lshlrev_b32_e32 v1, 16, v0
	v_and_b32_e32 v2, 0xffff0000, v0
	s_delay_alu instid0(VALU_DEP_2) | instskip(NEXT) | instid1(VALU_DEP_2)
	v_cvt_f64_f32_e32 v[0:1], v1
	v_cvt_f64_f32_e32 v[2:3], v2
	s_branch .LBB135_470
.LBB135_461:
	s_mov_b32 s31, 0
	s_mov_b32 s0, s45
	;; [unrolled: 1-line block ×4, first 2 shown]
.LBB135_462:
                                        ; implicit-def: $vgpr8
	s_branch .LBB135_849
.LBB135_463:
	s_mov_b32 s29, -1
	s_mov_b32 s30, 0
	s_mov_b32 s28, s47
                                        ; implicit-def: $vgpr2_vgpr3
	s_branch .LBB135_534
.LBB135_464:
	s_mov_b32 s31, -1
	s_mov_b32 s30, 0
	s_mov_b32 s28, s47
                                        ; implicit-def: $vgpr2_vgpr3
	s_branch .LBB135_499
.LBB135_465:
	s_mov_b32 s31, -1
	s_mov_b32 s30, 0
	s_mov_b32 s28, s47
                                        ; implicit-def: $vgpr2_vgpr3
	s_branch .LBB135_482
.LBB135_466:
	s_mov_b32 s31, -1
	s_mov_b32 s30, 0
	s_mov_b32 s28, s47
                                        ; implicit-def: $vgpr2_vgpr3
	s_branch .LBB135_476
.LBB135_467:
	s_mov_b32 s31, -1
	s_mov_b32 s30, 0
	s_mov_b32 s28, s47
	s_branch .LBB135_469
.LBB135_468:
	s_mov_b32 s28, -1
	s_mov_b32 s30, 0
.LBB135_469:
                                        ; implicit-def: $vgpr2_vgpr3
.LBB135_470:
	s_and_b32 vcc_lo, exec_lo, s31
	s_cbranch_vccz .LBB135_475
; %bb.471:
	s_cmp_eq_u32 s29, 44
	s_cbranch_scc0 .LBB135_473
; %bb.472:
	global_load_u8 v2, v[6:7], off
	s_mov_b32 s28, 0
	s_mov_b32 s30, -1
	s_wait_loadcnt 0x0
	v_cmp_ne_u32_e32 vcc_lo, 0xff, v2
	v_lshlrev_b32_e32 v0, 23, v2
	s_delay_alu instid0(VALU_DEP_1) | instskip(NEXT) | instid1(VALU_DEP_1)
	v_cvt_f64_f32_e32 v[0:1], v0
	v_cndmask_b32_e32 v0, 0x20000000, v0, vcc_lo
	s_delay_alu instid0(VALU_DEP_2) | instskip(SKIP_1) | instid1(VALU_DEP_2)
	v_cndmask_b32_e32 v1, 0x7ff80000, v1, vcc_lo
	v_cmp_ne_u32_e32 vcc_lo, 0, v2
	v_cndmask_b32_e32 v1, 0x38000000, v1, vcc_lo
	s_delay_alu instid0(VALU_DEP_4)
	v_cndmask_b32_e32 v0, 0, v0, vcc_lo
	s_branch .LBB135_474
.LBB135_473:
	s_mov_b32 s28, -1
                                        ; implicit-def: $vgpr0_vgpr1
.LBB135_474:
	v_mov_b64_e32 v[2:3], 0
.LBB135_475:
	s_mov_b32 s31, 0
.LBB135_476:
	s_delay_alu instid0(SALU_CYCLE_1)
	s_and_b32 vcc_lo, exec_lo, s31
	s_cbranch_vccz .LBB135_481
; %bb.477:
	s_cmp_eq_u32 s29, 29
	s_cbranch_scc0 .LBB135_479
; %bb.478:
	global_load_b64 v[0:1], v[6:7], off
	s_mov_b32 s30, -1
	s_mov_b32 s28, 0
	s_wait_loadcnt 0x0
	v_cvt_f64_u32_e32 v[2:3], v1
	v_cvt_f64_u32_e32 v[0:1], v0
	s_delay_alu instid0(VALU_DEP_2) | instskip(NEXT) | instid1(VALU_DEP_1)
	v_ldexp_f64 v[2:3], v[2:3], 32
	v_add_f64_e32 v[0:1], v[2:3], v[0:1]
	s_branch .LBB135_480
.LBB135_479:
	s_mov_b32 s28, -1
                                        ; implicit-def: $vgpr0_vgpr1
.LBB135_480:
	v_mov_b64_e32 v[2:3], 0
.LBB135_481:
	s_mov_b32 s31, 0
.LBB135_482:
	s_delay_alu instid0(SALU_CYCLE_1)
	s_and_b32 vcc_lo, exec_lo, s31
	s_cbranch_vccz .LBB135_498
; %bb.483:
	s_cmp_lt_i32 s29, 27
	s_cbranch_scc1 .LBB135_486
; %bb.484:
	s_cmp_gt_i32 s29, 27
	s_cbranch_scc0 .LBB135_487
; %bb.485:
	global_load_b32 v0, v[6:7], off
	s_mov_b32 s30, 0
	s_wait_loadcnt 0x0
	v_cvt_f64_u32_e32 v[0:1], v0
	s_branch .LBB135_488
.LBB135_486:
	s_mov_b32 s30, -1
                                        ; implicit-def: $vgpr0_vgpr1
	s_branch .LBB135_491
.LBB135_487:
	s_mov_b32 s30, -1
                                        ; implicit-def: $vgpr0_vgpr1
.LBB135_488:
	s_delay_alu instid0(SALU_CYCLE_1)
	s_and_not1_b32 vcc_lo, exec_lo, s30
	s_cbranch_vccnz .LBB135_490
; %bb.489:
	global_load_u16 v0, v[6:7], off
	s_wait_loadcnt 0x0
	v_cvt_f64_u32_e32 v[0:1], v0
.LBB135_490:
	s_mov_b32 s30, 0
.LBB135_491:
	s_delay_alu instid0(SALU_CYCLE_1)
	s_and_not1_b32 vcc_lo, exec_lo, s30
	s_cbranch_vccnz .LBB135_497
; %bb.492:
	global_load_u8 v2, v[6:7], off
	s_mov_b32 s30, 0
	s_mov_b32 s31, exec_lo
	s_wait_loadcnt 0x0
	v_cmpx_lt_i16_e32 0x7f, v2
	s_xor_b32 s31, exec_lo, s31
	s_cbranch_execnz .LBB135_510
; %bb.493:
	s_or_saveexec_b32 s31, s31
	v_mov_b64_e32 v[0:1], 0x7ff8000020000000
	s_xor_b32 exec_lo, exec_lo, s31
	s_cbranch_execnz .LBB135_513
.LBB135_494:
	s_or_b32 exec_lo, exec_lo, s31
	s_and_saveexec_b32 s31, s30
	s_cbranch_execz .LBB135_496
.LBB135_495:
	v_and_b32_e32 v0, 0xffff, v2
	s_delay_alu instid0(VALU_DEP_1) | instskip(SKIP_1) | instid1(VALU_DEP_2)
	v_and_b32_e32 v1, 7, v0
	v_bfe_u32 v9, v0, 3, 4
	v_clz_i32_u32_e32 v3, v1
	s_delay_alu instid0(VALU_DEP_2) | instskip(NEXT) | instid1(VALU_DEP_2)
	v_cmp_eq_u32_e32 vcc_lo, 0, v9
	v_min_u32_e32 v3, 32, v3
	s_delay_alu instid0(VALU_DEP_1) | instskip(NEXT) | instid1(VALU_DEP_1)
	v_subrev_nc_u32_e32 v5, 28, v3
	v_dual_lshlrev_b32 v0, v5, v0 :: v_dual_sub_nc_u32 v3, 29, v3
	s_delay_alu instid0(VALU_DEP_1) | instskip(NEXT) | instid1(VALU_DEP_2)
	v_dual_lshlrev_b32 v2, 24, v2 :: v_dual_bitop2_b32 v0, 7, v0 bitop3:0x40
	v_cndmask_b32_e32 v3, v9, v3, vcc_lo
	s_delay_alu instid0(VALU_DEP_2) | instskip(NEXT) | instid1(VALU_DEP_3)
	v_cndmask_b32_e32 v0, v1, v0, vcc_lo
	v_and_b32_e32 v1, 0x80000000, v2
	s_delay_alu instid0(VALU_DEP_3) | instskip(NEXT) | instid1(VALU_DEP_3)
	v_lshl_add_u32 v2, v3, 23, 0x3b800000
	v_lshlrev_b32_e32 v0, 20, v0
	s_delay_alu instid0(VALU_DEP_1) | instskip(NEXT) | instid1(VALU_DEP_1)
	v_or3_b32 v0, v1, v2, v0
	v_cvt_f64_f32_e32 v[0:1], v0
.LBB135_496:
	s_or_b32 exec_lo, exec_lo, s31
.LBB135_497:
	v_mov_b64_e32 v[2:3], 0
	s_mov_b32 s30, -1
.LBB135_498:
	s_mov_b32 s31, 0
.LBB135_499:
	s_delay_alu instid0(SALU_CYCLE_1)
	s_and_b32 vcc_lo, exec_lo, s31
	s_cbranch_vccz .LBB135_533
; %bb.500:
	s_cmp_gt_i32 s29, 22
	s_cbranch_scc0 .LBB135_508
; %bb.501:
	s_cmp_lt_i32 s29, 24
	s_cbranch_scc1 .LBB135_509
; %bb.502:
	s_cmp_gt_i32 s29, 24
	s_cbranch_scc0 .LBB135_514
; %bb.503:
	global_load_u8 v2, v[6:7], off
	s_mov_b32 s30, 0
	s_mov_b32 s31, exec_lo
	s_wait_loadcnt 0x0
	v_cmpx_lt_i16_e32 0x7f, v2
	s_xor_b32 s31, exec_lo, s31
	s_cbranch_execnz .LBB135_597
; %bb.504:
	s_or_saveexec_b32 s31, s31
	v_mov_b64_e32 v[0:1], 0x7ff8000020000000
	s_xor_b32 exec_lo, exec_lo, s31
	s_cbranch_execnz .LBB135_600
.LBB135_505:
	s_or_b32 exec_lo, exec_lo, s31
	s_and_saveexec_b32 s31, s30
	s_cbranch_execz .LBB135_507
.LBB135_506:
	v_and_b32_e32 v0, 0xffff, v2
	s_delay_alu instid0(VALU_DEP_1) | instskip(SKIP_1) | instid1(VALU_DEP_2)
	v_and_b32_e32 v1, 3, v0
	v_bfe_u32 v9, v0, 2, 5
	v_clz_i32_u32_e32 v3, v1
	s_delay_alu instid0(VALU_DEP_2) | instskip(NEXT) | instid1(VALU_DEP_2)
	v_cmp_eq_u32_e32 vcc_lo, 0, v9
	v_min_u32_e32 v3, 32, v3
	s_delay_alu instid0(VALU_DEP_1) | instskip(NEXT) | instid1(VALU_DEP_1)
	v_subrev_nc_u32_e32 v5, 29, v3
	v_dual_lshlrev_b32 v0, v5, v0 :: v_dual_sub_nc_u32 v3, 30, v3
	s_delay_alu instid0(VALU_DEP_1) | instskip(NEXT) | instid1(VALU_DEP_2)
	v_dual_lshlrev_b32 v2, 24, v2 :: v_dual_bitop2_b32 v0, 3, v0 bitop3:0x40
	v_cndmask_b32_e32 v3, v9, v3, vcc_lo
	s_delay_alu instid0(VALU_DEP_2) | instskip(NEXT) | instid1(VALU_DEP_3)
	v_cndmask_b32_e32 v0, v1, v0, vcc_lo
	v_and_b32_e32 v1, 0x80000000, v2
	s_delay_alu instid0(VALU_DEP_3) | instskip(NEXT) | instid1(VALU_DEP_3)
	v_lshl_add_u32 v2, v3, 23, 0x37800000
	v_lshlrev_b32_e32 v0, 21, v0
	s_delay_alu instid0(VALU_DEP_1) | instskip(NEXT) | instid1(VALU_DEP_1)
	v_or3_b32 v0, v1, v2, v0
	v_cvt_f64_f32_e32 v[0:1], v0
.LBB135_507:
	s_or_b32 exec_lo, exec_lo, s31
	s_mov_b32 s30, 0
	s_branch .LBB135_515
.LBB135_508:
	s_mov_b32 s31, -1
                                        ; implicit-def: $vgpr0_vgpr1
	s_branch .LBB135_521
.LBB135_509:
	s_mov_b32 s30, -1
                                        ; implicit-def: $vgpr0_vgpr1
	s_branch .LBB135_518
.LBB135_510:
	s_mov_b32 s30, -1
	s_mov_b32 s50, exec_lo
	v_cmpx_eq_u16_e32 0x80, v2
; %bb.511:
	s_xor_b32 s30, exec_lo, -1
; %bb.512:
	s_or_b32 exec_lo, exec_lo, s50
	s_delay_alu instid0(SALU_CYCLE_1)
	s_and_b32 s30, s30, exec_lo
	s_or_saveexec_b32 s31, s31
	v_mov_b64_e32 v[0:1], 0x7ff8000020000000
	s_xor_b32 exec_lo, exec_lo, s31
	s_cbranch_execz .LBB135_494
.LBB135_513:
	v_cmp_ne_u16_e32 vcc_lo, 0, v2
	v_mov_b64_e32 v[0:1], 0
	s_and_not1_b32 s30, s30, exec_lo
	s_and_b32 s50, vcc_lo, exec_lo
	s_delay_alu instid0(SALU_CYCLE_1)
	s_or_b32 s30, s30, s50
	s_or_b32 exec_lo, exec_lo, s31
	s_and_saveexec_b32 s31, s30
	s_cbranch_execnz .LBB135_495
	s_branch .LBB135_496
.LBB135_514:
	s_mov_b32 s30, -1
                                        ; implicit-def: $vgpr0_vgpr1
.LBB135_515:
	s_delay_alu instid0(SALU_CYCLE_1)
	s_and_b32 vcc_lo, exec_lo, s30
	s_cbranch_vccz .LBB135_517
; %bb.516:
	global_load_u8 v0, v[6:7], off
	s_wait_loadcnt 0x0
	v_lshlrev_b32_e32 v0, 24, v0
	s_delay_alu instid0(VALU_DEP_1) | instskip(NEXT) | instid1(VALU_DEP_1)
	v_and_b32_e32 v1, 0x7f000000, v0
	v_clz_i32_u32_e32 v2, v1
	v_add_nc_u32_e32 v5, 0x1000000, v1
	v_cmp_ne_u32_e32 vcc_lo, 0, v1
	s_delay_alu instid0(VALU_DEP_3) | instskip(NEXT) | instid1(VALU_DEP_1)
	v_min_u32_e32 v2, 32, v2
	v_sub_nc_u32_e64 v2, v2, 4 clamp
	s_delay_alu instid0(VALU_DEP_1) | instskip(NEXT) | instid1(VALU_DEP_1)
	v_dual_lshlrev_b32 v3, v2, v1 :: v_dual_lshlrev_b32 v2, 23, v2
	v_lshrrev_b32_e32 v3, 4, v3
	s_delay_alu instid0(VALU_DEP_1) | instskip(NEXT) | instid1(VALU_DEP_1)
	v_dual_sub_nc_u32 v2, v3, v2 :: v_dual_ashrrev_i32 v3, 8, v5
	v_add_nc_u32_e32 v2, 0x3c000000, v2
	s_delay_alu instid0(VALU_DEP_1) | instskip(NEXT) | instid1(VALU_DEP_1)
	v_and_or_b32 v2, 0x7f800000, v3, v2
	v_cndmask_b32_e32 v1, 0, v2, vcc_lo
	s_delay_alu instid0(VALU_DEP_1) | instskip(NEXT) | instid1(VALU_DEP_1)
	v_and_or_b32 v0, 0x80000000, v0, v1
	v_cvt_f64_f32_e32 v[0:1], v0
.LBB135_517:
	s_mov_b32 s30, 0
.LBB135_518:
	s_delay_alu instid0(SALU_CYCLE_1)
	s_and_not1_b32 vcc_lo, exec_lo, s30
	s_cbranch_vccnz .LBB135_520
; %bb.519:
	global_load_u8 v0, v[6:7], off
	s_wait_loadcnt 0x0
	v_lshlrev_b32_e32 v1, 25, v0
	v_lshlrev_b16 v0, 8, v0
	s_delay_alu instid0(VALU_DEP_1) | instskip(SKIP_1) | instid1(VALU_DEP_2)
	v_and_or_b32 v3, 0x7f00, v0, 0.5
	v_bfe_i32 v0, v0, 0, 16
	v_dual_add_f32 v3, -0.5, v3 :: v_dual_lshrrev_b32 v2, 4, v1
	v_cmp_gt_u32_e32 vcc_lo, 0x8000000, v1
	s_delay_alu instid0(VALU_DEP_2) | instskip(NEXT) | instid1(VALU_DEP_1)
	v_or_b32_e32 v2, 0x70000000, v2
	v_mul_f32_e32 v2, 0x7800000, v2
	s_delay_alu instid0(VALU_DEP_1) | instskip(NEXT) | instid1(VALU_DEP_1)
	v_cndmask_b32_e32 v1, v2, v3, vcc_lo
	v_and_or_b32 v0, 0x80000000, v0, v1
	s_delay_alu instid0(VALU_DEP_1)
	v_cvt_f64_f32_e32 v[0:1], v0
.LBB135_520:
	s_mov_b32 s31, 0
	s_mov_b32 s30, -1
.LBB135_521:
	s_and_not1_b32 vcc_lo, exec_lo, s31
	s_cbranch_vccnz .LBB135_532
; %bb.522:
	s_cmp_gt_i32 s29, 14
	s_cbranch_scc0 .LBB135_525
; %bb.523:
	s_cmp_eq_u32 s29, 15
	s_cbranch_scc0 .LBB135_526
; %bb.524:
	global_load_u16 v0, v[6:7], off
	s_mov_b32 s30, -1
	s_mov_b32 s28, 0
	s_wait_loadcnt 0x0
	v_lshlrev_b32_e32 v0, 16, v0
	s_delay_alu instid0(VALU_DEP_1)
	v_cvt_f64_f32_e32 v[0:1], v0
	s_branch .LBB135_527
.LBB135_525:
	s_mov_b32 s31, -1
                                        ; implicit-def: $vgpr0_vgpr1
	s_branch .LBB135_528
.LBB135_526:
	s_mov_b32 s28, -1
                                        ; implicit-def: $vgpr0_vgpr1
.LBB135_527:
	s_mov_b32 s31, 0
.LBB135_528:
	s_delay_alu instid0(SALU_CYCLE_1)
	s_and_b32 vcc_lo, exec_lo, s31
	s_cbranch_vccz .LBB135_532
; %bb.529:
	s_cmp_eq_u32 s29, 11
	s_cbranch_scc0 .LBB135_531
; %bb.530:
	global_load_u8 v0, v[6:7], off
	s_mov_b32 s28, 0
	s_mov_b32 s30, -1
	v_mov_b64_e32 v[2:3], 0
	s_wait_loadcnt 0x0
	v_cmp_ne_u16_e32 vcc_lo, 0, v0
	v_mov_b32_e32 v0, 0
	v_cndmask_b32_e64 v1, 0, 0x3ff00000, vcc_lo
	s_branch .LBB135_533
.LBB135_531:
	s_mov_b32 s28, -1
                                        ; implicit-def: $vgpr0_vgpr1
.LBB135_532:
	v_mov_b64_e32 v[2:3], 0
.LBB135_533:
	s_mov_b32 s29, 0
.LBB135_534:
	s_delay_alu instid0(SALU_CYCLE_1)
	s_and_b32 vcc_lo, exec_lo, s29
	s_cbranch_vccz .LBB135_585
; %bb.535:
	s_and_b32 s0, 0xffff, s0
	s_delay_alu instid0(SALU_CYCLE_1)
	s_cmp_lt_i32 s0, 5
	s_cbranch_scc1 .LBB135_540
; %bb.536:
	s_cmp_lt_i32 s0, 8
	s_cbranch_scc1 .LBB135_541
; %bb.537:
	;; [unrolled: 3-line block ×3, first 2 shown]
	s_cmp_gt_i32 s0, 9
	s_cbranch_scc0 .LBB135_543
; %bb.539:
	global_load_b128 v[0:3], v[6:7], off
	s_mov_b32 s29, 0
	s_branch .LBB135_544
.LBB135_540:
	s_mov_b32 s29, -1
                                        ; implicit-def: $vgpr2_vgpr3
	s_branch .LBB135_563
.LBB135_541:
	s_mov_b32 s29, -1
                                        ; implicit-def: $vgpr2_vgpr3
	s_branch .LBB135_550
.LBB135_542:
	s_mov_b32 s29, -1
                                        ; implicit-def: $vgpr2_vgpr3
	s_branch .LBB135_547
.LBB135_543:
	s_mov_b32 s29, -1
                                        ; implicit-def: $vgpr2_vgpr3
.LBB135_544:
	s_delay_alu instid0(SALU_CYCLE_1)
	s_and_not1_b32 vcc_lo, exec_lo, s29
	s_cbranch_vccnz .LBB135_546
; %bb.545:
	s_wait_loadcnt 0x0
	global_load_b64 v[2:3], v[6:7], off
	s_wait_loadcnt 0x0
	v_cvt_f64_f32_e32 v[0:1], v2
	v_cvt_f64_f32_e32 v[2:3], v3
.LBB135_546:
	s_mov_b32 s29, 0
.LBB135_547:
	s_delay_alu instid0(SALU_CYCLE_1)
	s_and_not1_b32 vcc_lo, exec_lo, s29
	s_cbranch_vccnz .LBB135_549
; %bb.548:
	s_wait_loadcnt 0x0
	global_load_b32 v0, v[6:7], off
	s_wait_loadcnt 0x0
	v_lshrrev_b32_e32 v1, 16, v0
	v_cvt_f32_f16_e32 v0, v0
	s_delay_alu instid0(VALU_DEP_2) | instskip(NEXT) | instid1(VALU_DEP_2)
	v_cvt_f32_f16_e32 v2, v1
	v_cvt_f64_f32_e32 v[0:1], v0
	s_delay_alu instid0(VALU_DEP_2)
	v_cvt_f64_f32_e32 v[2:3], v2
.LBB135_549:
	s_mov_b32 s29, 0
.LBB135_550:
	s_delay_alu instid0(SALU_CYCLE_1)
	s_and_not1_b32 vcc_lo, exec_lo, s29
	s_cbranch_vccnz .LBB135_562
; %bb.551:
	s_cmp_lt_i32 s0, 6
	s_cbranch_scc1 .LBB135_554
; %bb.552:
	s_cmp_gt_i32 s0, 6
	s_cbranch_scc0 .LBB135_555
; %bb.553:
	s_wait_loadcnt 0x0
	global_load_b64 v[0:1], v[6:7], off
	s_mov_b32 s29, 0
	s_branch .LBB135_556
.LBB135_554:
	s_mov_b32 s29, -1
                                        ; implicit-def: $vgpr0_vgpr1
	s_branch .LBB135_559
.LBB135_555:
	s_mov_b32 s29, -1
                                        ; implicit-def: $vgpr0_vgpr1
.LBB135_556:
	s_delay_alu instid0(SALU_CYCLE_1)
	s_and_not1_b32 vcc_lo, exec_lo, s29
	s_cbranch_vccnz .LBB135_558
; %bb.557:
	s_wait_loadcnt 0x0
	global_load_b32 v0, v[6:7], off
	s_wait_loadcnt 0x0
	v_cvt_f64_f32_e32 v[0:1], v0
.LBB135_558:
	s_mov_b32 s29, 0
.LBB135_559:
	s_delay_alu instid0(SALU_CYCLE_1)
	s_and_not1_b32 vcc_lo, exec_lo, s29
	s_cbranch_vccnz .LBB135_561
; %bb.560:
	s_wait_loadcnt 0x0
	global_load_u16 v0, v[6:7], off
	s_wait_loadcnt 0x0
	v_cvt_f32_f16_e32 v0, v0
	s_delay_alu instid0(VALU_DEP_1)
	v_cvt_f64_f32_e32 v[0:1], v0
.LBB135_561:
	s_wait_loadcnt 0x0
	v_mov_b64_e32 v[2:3], 0
.LBB135_562:
	s_mov_b32 s29, 0
.LBB135_563:
	s_delay_alu instid0(SALU_CYCLE_1)
	s_and_not1_b32 vcc_lo, exec_lo, s29
	s_cbranch_vccnz .LBB135_584
; %bb.564:
	s_cmp_lt_i32 s0, 2
	s_cbranch_scc1 .LBB135_568
; %bb.565:
	s_cmp_lt_i32 s0, 3
	s_cbranch_scc1 .LBB135_569
; %bb.566:
	s_cmp_gt_i32 s0, 3
	s_cbranch_scc0 .LBB135_570
; %bb.567:
	s_wait_loadcnt 0x0
	global_load_b64 v[0:1], v[6:7], off
	s_mov_b32 s29, 0
	s_wait_loadcnt 0x0
	v_cvt_f64_i32_e32 v[2:3], v1
	v_cvt_f64_u32_e32 v[0:1], v0
	s_delay_alu instid0(VALU_DEP_2) | instskip(NEXT) | instid1(VALU_DEP_1)
	v_ldexp_f64 v[2:3], v[2:3], 32
	v_add_f64_e32 v[0:1], v[2:3], v[0:1]
	s_branch .LBB135_571
.LBB135_568:
	s_mov_b32 s29, -1
                                        ; implicit-def: $vgpr0_vgpr1
	s_branch .LBB135_577
.LBB135_569:
	s_mov_b32 s29, -1
                                        ; implicit-def: $vgpr0_vgpr1
	s_branch .LBB135_574
.LBB135_570:
	s_mov_b32 s29, -1
                                        ; implicit-def: $vgpr0_vgpr1
.LBB135_571:
	s_delay_alu instid0(SALU_CYCLE_1)
	s_and_not1_b32 vcc_lo, exec_lo, s29
	s_cbranch_vccnz .LBB135_573
; %bb.572:
	s_wait_loadcnt 0x0
	global_load_b32 v0, v[6:7], off
	s_wait_loadcnt 0x0
	v_cvt_f64_i32_e32 v[0:1], v0
.LBB135_573:
	s_mov_b32 s29, 0
.LBB135_574:
	s_delay_alu instid0(SALU_CYCLE_1)
	s_and_not1_b32 vcc_lo, exec_lo, s29
	s_cbranch_vccnz .LBB135_576
; %bb.575:
	s_wait_loadcnt 0x0
	global_load_i16 v0, v[6:7], off
	s_wait_loadcnt 0x0
	v_cvt_f64_i32_e32 v[0:1], v0
.LBB135_576:
	s_mov_b32 s29, 0
.LBB135_577:
	s_delay_alu instid0(SALU_CYCLE_1)
	s_and_not1_b32 vcc_lo, exec_lo, s29
	s_cbranch_vccnz .LBB135_583
; %bb.578:
	s_cmp_gt_i32 s0, 0
	s_mov_b32 s0, 0
	s_cbranch_scc0 .LBB135_580
; %bb.579:
	s_wait_loadcnt 0x0
	global_load_i8 v0, v[6:7], off
	s_wait_loadcnt 0x0
	v_cvt_f64_i32_e32 v[0:1], v0
	s_branch .LBB135_581
.LBB135_580:
	s_mov_b32 s0, -1
                                        ; implicit-def: $vgpr0_vgpr1
.LBB135_581:
	s_delay_alu instid0(SALU_CYCLE_1)
	s_and_not1_b32 vcc_lo, exec_lo, s0
	s_cbranch_vccnz .LBB135_583
; %bb.582:
	s_wait_loadcnt 0x0
	global_load_u8 v0, v[6:7], off
	s_wait_loadcnt 0x0
	v_cvt_f64_u32_e32 v[0:1], v0
.LBB135_583:
	s_wait_loadcnt 0x0
	v_mov_b64_e32 v[2:3], 0
.LBB135_584:
	s_mov_b32 s30, -1
.LBB135_585:
	s_mov_b32 s29, 0
	s_mov_b32 s0, s45
	s_and_not1_b32 vcc_lo, exec_lo, s30
	s_mov_b32 s30, s46
	s_mov_b32 s31, 0
	s_cbranch_vccnz .LBB135_849
; %bb.586:
	v_mov_b32_e32 v5, 0
	s_and_b32 s0, 0xffff, s13
	s_delay_alu instid0(SALU_CYCLE_1) | instskip(NEXT) | instid1(VALU_DEP_1)
	s_cmp_lt_i32 s0, 11
	v_add_nc_u64_e32 v[12:13], s[10:11], v[4:5]
	s_cbranch_scc1 .LBB135_593
; %bb.587:
	s_cmp_gt_i32 s0, 25
	s_cbranch_scc0 .LBB135_594
; %bb.588:
	s_cmp_gt_i32 s0, 28
	s_cbranch_scc0 .LBB135_595
	;; [unrolled: 3-line block ×4, first 2 shown]
; %bb.591:
	s_cmp_eq_u32 s0, 46
	s_mov_b32 s50, 0
	s_cbranch_scc0 .LBB135_604
; %bb.592:
	global_load_b32 v4, v[12:13], off
	s_mov_b32 s31, -1
	s_mov_b32 s30, 0
	s_wait_loadcnt 0x0
	v_lshlrev_b32_e32 v5, 16, v4
	s_wait_xcnt 0x1
	v_and_b32_e32 v6, 0xffff0000, v4
	s_delay_alu instid0(VALU_DEP_2) | instskip(NEXT) | instid1(VALU_DEP_2)
	v_cvt_f64_f32_e32 v[4:5], v5
	v_cvt_f64_f32_e32 v[6:7], v6
	s_branch .LBB135_606
.LBB135_593:
	s_mov_b32 s50, -1
	s_mov_b32 s30, s46
                                        ; implicit-def: $vgpr6_vgpr7
	s_branch .LBB135_670
.LBB135_594:
	s_mov_b32 s50, -1
	s_mov_b32 s30, s46
                                        ; implicit-def: $vgpr6_vgpr7
	s_branch .LBB135_635
.LBB135_595:
	s_mov_b32 s50, -1
	s_mov_b32 s30, s46
                                        ; implicit-def: $vgpr6_vgpr7
	s_branch .LBB135_618
.LBB135_596:
	s_mov_b32 s50, -1
	s_mov_b32 s30, s46
                                        ; implicit-def: $vgpr6_vgpr7
	s_branch .LBB135_612
.LBB135_597:
	s_mov_b32 s30, -1
	s_mov_b32 s50, exec_lo
	v_cmpx_eq_u16_e32 0x80, v2
; %bb.598:
	s_xor_b32 s30, exec_lo, -1
; %bb.599:
	s_or_b32 exec_lo, exec_lo, s50
	s_delay_alu instid0(SALU_CYCLE_1)
	s_and_b32 s30, s30, exec_lo
	s_or_saveexec_b32 s31, s31
	v_mov_b64_e32 v[0:1], 0x7ff8000020000000
	s_xor_b32 exec_lo, exec_lo, s31
	s_cbranch_execz .LBB135_505
.LBB135_600:
	v_cmp_ne_u16_e32 vcc_lo, 0, v2
	v_mov_b64_e32 v[0:1], 0
	s_and_not1_b32 s30, s30, exec_lo
	s_and_b32 s50, vcc_lo, exec_lo
	s_delay_alu instid0(SALU_CYCLE_1)
	s_or_b32 s30, s30, s50
	s_or_b32 exec_lo, exec_lo, s31
	s_and_saveexec_b32 s31, s30
	s_cbranch_execnz .LBB135_506
	s_branch .LBB135_507
.LBB135_601:
	s_mov_b32 s50, -1
	s_mov_b32 s30, s46
	s_branch .LBB135_605
.LBB135_602:
	v_bfe_u32 v7, v6, 20, 1
	s_mov_b32 s47, exec_lo
	s_delay_alu instid0(VALU_DEP_1) | instskip(NEXT) | instid1(VALU_DEP_1)
	v_add3_u32 v7, v6, v7, 0x487ffff
	v_lshrrev_b32_e32 v7, 20, v7
	s_and_not1_saveexec_b32 s48, s48
	s_cbranch_execz .LBB135_333
.LBB135_603:
	v_add_f32_e64 v7, 0x46000000, |v6|
	s_and_not1_b32 s47, s47, exec_lo
	s_delay_alu instid0(VALU_DEP_1) | instskip(NEXT) | instid1(VALU_DEP_1)
	v_and_b32_e32 v7, 0xff, v7
	v_cmp_ne_u32_e32 vcc_lo, 0, v7
	s_and_b32 s50, vcc_lo, exec_lo
	s_delay_alu instid0(SALU_CYCLE_1)
	s_or_b32 s47, s47, s50
	s_or_b32 exec_lo, exec_lo, s48
	v_mov_b32_e32 v9, 0
	s_and_saveexec_b32 s48, s47
	s_cbranch_execnz .LBB135_334
	s_branch .LBB135_335
.LBB135_604:
	s_mov_b32 s30, -1
.LBB135_605:
                                        ; implicit-def: $vgpr6_vgpr7
.LBB135_606:
	s_and_b32 vcc_lo, exec_lo, s50
	s_cbranch_vccz .LBB135_611
; %bb.607:
	s_cmp_eq_u32 s0, 44
	s_cbranch_scc0 .LBB135_609
; %bb.608:
	global_load_u8 v6, v[12:13], off
	s_mov_b32 s30, 0
	s_mov_b32 s31, -1
	s_wait_loadcnt 0x0
	v_cmp_ne_u32_e32 vcc_lo, 0xff, v6
	v_lshlrev_b32_e32 v4, 23, v6
	s_delay_alu instid0(VALU_DEP_1) | instskip(NEXT) | instid1(VALU_DEP_1)
	v_cvt_f64_f32_e32 v[4:5], v4
	v_cndmask_b32_e32 v4, 0x20000000, v4, vcc_lo
	s_delay_alu instid0(VALU_DEP_2) | instskip(SKIP_1) | instid1(VALU_DEP_2)
	v_cndmask_b32_e32 v5, 0x7ff80000, v5, vcc_lo
	v_cmp_ne_u32_e32 vcc_lo, 0, v6
	v_cndmask_b32_e32 v5, 0x38000000, v5, vcc_lo
	s_delay_alu instid0(VALU_DEP_4)
	v_cndmask_b32_e32 v4, 0, v4, vcc_lo
	s_branch .LBB135_610
.LBB135_609:
	s_mov_b32 s30, -1
                                        ; implicit-def: $vgpr4_vgpr5
.LBB135_610:
	s_wait_xcnt 0x0
	v_mov_b64_e32 v[6:7], 0
.LBB135_611:
	s_mov_b32 s50, 0
.LBB135_612:
	s_delay_alu instid0(SALU_CYCLE_1)
	s_and_b32 vcc_lo, exec_lo, s50
	s_cbranch_vccz .LBB135_617
; %bb.613:
	s_cmp_eq_u32 s0, 29
	s_cbranch_scc0 .LBB135_615
; %bb.614:
	global_load_b64 v[4:5], v[12:13], off
	s_mov_b32 s31, -1
	s_mov_b32 s30, 0
	s_wait_loadcnt 0x0
	s_wait_xcnt 0x1
	v_cvt_f64_u32_e32 v[6:7], v5
	v_cvt_f64_u32_e32 v[4:5], v4
	s_delay_alu instid0(VALU_DEP_2) | instskip(NEXT) | instid1(VALU_DEP_1)
	v_ldexp_f64 v[6:7], v[6:7], 32
	v_add_f64_e32 v[4:5], v[6:7], v[4:5]
	s_branch .LBB135_616
.LBB135_615:
	s_mov_b32 s30, -1
                                        ; implicit-def: $vgpr4_vgpr5
.LBB135_616:
	s_wait_xcnt 0x0
	v_mov_b64_e32 v[6:7], 0
.LBB135_617:
	s_mov_b32 s50, 0
.LBB135_618:
	s_delay_alu instid0(SALU_CYCLE_1)
	s_and_b32 vcc_lo, exec_lo, s50
	s_cbranch_vccz .LBB135_634
; %bb.619:
	s_cmp_lt_i32 s0, 27
	s_cbranch_scc1 .LBB135_622
; %bb.620:
	s_cmp_gt_i32 s0, 27
	s_cbranch_scc0 .LBB135_623
; %bb.621:
	global_load_b32 v4, v[12:13], off
	s_mov_b32 s31, 0
	s_wait_loadcnt 0x0
	v_cvt_f64_u32_e32 v[4:5], v4
	s_branch .LBB135_624
.LBB135_622:
	s_mov_b32 s31, -1
                                        ; implicit-def: $vgpr4_vgpr5
	s_branch .LBB135_627
.LBB135_623:
	s_mov_b32 s31, -1
                                        ; implicit-def: $vgpr4_vgpr5
.LBB135_624:
	s_delay_alu instid0(SALU_CYCLE_1)
	s_and_not1_b32 vcc_lo, exec_lo, s31
	s_cbranch_vccnz .LBB135_626
; %bb.625:
	global_load_u16 v4, v[12:13], off
	s_wait_loadcnt 0x0
	v_cvt_f64_u32_e32 v[4:5], v4
.LBB135_626:
	s_mov_b32 s31, 0
.LBB135_627:
	s_delay_alu instid0(SALU_CYCLE_1)
	s_and_not1_b32 vcc_lo, exec_lo, s31
	s_cbranch_vccnz .LBB135_633
; %bb.628:
	global_load_u8 v6, v[12:13], off
	s_mov_b32 s31, 0
	s_mov_b32 s50, exec_lo
	s_wait_loadcnt 0x0
	v_cmpx_lt_i16_e32 0x7f, v6
	s_xor_b32 s50, exec_lo, s50
	s_cbranch_execnz .LBB135_646
; %bb.629:
	s_or_saveexec_b32 s50, s50
	v_mov_b64_e32 v[4:5], 0x7ff8000020000000
	s_xor_b32 exec_lo, exec_lo, s50
	s_cbranch_execnz .LBB135_649
.LBB135_630:
	s_or_b32 exec_lo, exec_lo, s50
	s_and_saveexec_b32 s50, s31
	s_cbranch_execz .LBB135_632
.LBB135_631:
	v_and_b32_e32 v4, 0xffff, v6
	s_delay_alu instid0(VALU_DEP_1) | instskip(SKIP_1) | instid1(VALU_DEP_2)
	v_and_b32_e32 v5, 7, v4
	v_bfe_u32 v11, v4, 3, 4
	v_clz_i32_u32_e32 v7, v5
	s_delay_alu instid0(VALU_DEP_2) | instskip(NEXT) | instid1(VALU_DEP_2)
	v_cmp_eq_u32_e32 vcc_lo, 0, v11
	v_min_u32_e32 v7, 32, v7
	s_delay_alu instid0(VALU_DEP_1) | instskip(NEXT) | instid1(VALU_DEP_1)
	v_subrev_nc_u32_e32 v9, 28, v7
	v_dual_lshlrev_b32 v4, v9, v4 :: v_dual_sub_nc_u32 v7, 29, v7
	s_delay_alu instid0(VALU_DEP_1) | instskip(NEXT) | instid1(VALU_DEP_1)
	v_dual_lshlrev_b32 v6, 24, v6 :: v_dual_bitop2_b32 v4, 7, v4 bitop3:0x40
	v_dual_cndmask_b32 v7, v11, v7 :: v_dual_cndmask_b32 v4, v5, v4
	s_delay_alu instid0(VALU_DEP_2) | instskip(NEXT) | instid1(VALU_DEP_2)
	v_and_b32_e32 v5, 0x80000000, v6
	v_lshl_add_u32 v6, v7, 23, 0x3b800000
	s_delay_alu instid0(VALU_DEP_3) | instskip(NEXT) | instid1(VALU_DEP_1)
	v_lshlrev_b32_e32 v4, 20, v4
	v_or3_b32 v4, v5, v6, v4
	s_delay_alu instid0(VALU_DEP_1)
	v_cvt_f64_f32_e32 v[4:5], v4
.LBB135_632:
	s_or_b32 exec_lo, exec_lo, s50
.LBB135_633:
	s_wait_xcnt 0x0
	v_mov_b64_e32 v[6:7], 0
	s_mov_b32 s31, -1
.LBB135_634:
	s_mov_b32 s50, 0
.LBB135_635:
	s_delay_alu instid0(SALU_CYCLE_1)
	s_and_b32 vcc_lo, exec_lo, s50
	s_cbranch_vccz .LBB135_669
; %bb.636:
	s_cmp_gt_i32 s0, 22
	s_cbranch_scc0 .LBB135_644
; %bb.637:
	s_cmp_lt_i32 s0, 24
	s_cbranch_scc1 .LBB135_645
; %bb.638:
	s_cmp_gt_i32 s0, 24
	s_cbranch_scc0 .LBB135_650
; %bb.639:
	global_load_u8 v6, v[12:13], off
	s_mov_b32 s31, 0
	s_mov_b32 s50, exec_lo
	s_wait_loadcnt 0x0
	v_cmpx_lt_i16_e32 0x7f, v6
	s_xor_b32 s50, exec_lo, s50
	s_cbranch_execnz .LBB135_734
; %bb.640:
	s_or_saveexec_b32 s50, s50
	v_mov_b64_e32 v[4:5], 0x7ff8000020000000
	s_xor_b32 exec_lo, exec_lo, s50
	s_cbranch_execnz .LBB135_737
.LBB135_641:
	s_or_b32 exec_lo, exec_lo, s50
	s_and_saveexec_b32 s50, s31
	s_cbranch_execz .LBB135_643
.LBB135_642:
	v_and_b32_e32 v4, 0xffff, v6
	s_delay_alu instid0(VALU_DEP_1) | instskip(SKIP_1) | instid1(VALU_DEP_2)
	v_and_b32_e32 v5, 3, v4
	v_bfe_u32 v11, v4, 2, 5
	v_clz_i32_u32_e32 v7, v5
	s_delay_alu instid0(VALU_DEP_2) | instskip(NEXT) | instid1(VALU_DEP_2)
	v_cmp_eq_u32_e32 vcc_lo, 0, v11
	v_min_u32_e32 v7, 32, v7
	s_delay_alu instid0(VALU_DEP_1) | instskip(NEXT) | instid1(VALU_DEP_1)
	v_subrev_nc_u32_e32 v9, 29, v7
	v_dual_lshlrev_b32 v4, v9, v4 :: v_dual_sub_nc_u32 v7, 30, v7
	s_delay_alu instid0(VALU_DEP_1) | instskip(NEXT) | instid1(VALU_DEP_1)
	v_dual_lshlrev_b32 v6, 24, v6 :: v_dual_bitop2_b32 v4, 3, v4 bitop3:0x40
	v_dual_cndmask_b32 v7, v11, v7 :: v_dual_cndmask_b32 v4, v5, v4
	s_delay_alu instid0(VALU_DEP_2) | instskip(NEXT) | instid1(VALU_DEP_2)
	v_and_b32_e32 v5, 0x80000000, v6
	v_lshl_add_u32 v6, v7, 23, 0x37800000
	s_delay_alu instid0(VALU_DEP_3) | instskip(NEXT) | instid1(VALU_DEP_1)
	v_lshlrev_b32_e32 v4, 21, v4
	v_or3_b32 v4, v5, v6, v4
	s_delay_alu instid0(VALU_DEP_1)
	v_cvt_f64_f32_e32 v[4:5], v4
.LBB135_643:
	s_or_b32 exec_lo, exec_lo, s50
	s_mov_b32 s31, 0
	s_branch .LBB135_651
.LBB135_644:
	s_mov_b32 s50, -1
                                        ; implicit-def: $vgpr4_vgpr5
	s_branch .LBB135_657
.LBB135_645:
	s_mov_b32 s31, -1
                                        ; implicit-def: $vgpr4_vgpr5
	s_branch .LBB135_654
.LBB135_646:
	s_mov_b32 s31, -1
	s_mov_b32 s51, exec_lo
	v_cmpx_eq_u16_e32 0x80, v6
; %bb.647:
	s_xor_b32 s31, exec_lo, -1
; %bb.648:
	s_or_b32 exec_lo, exec_lo, s51
	s_delay_alu instid0(SALU_CYCLE_1)
	s_and_b32 s31, s31, exec_lo
	s_or_saveexec_b32 s50, s50
	v_mov_b64_e32 v[4:5], 0x7ff8000020000000
	s_xor_b32 exec_lo, exec_lo, s50
	s_cbranch_execz .LBB135_630
.LBB135_649:
	v_cmp_ne_u16_e32 vcc_lo, 0, v6
	v_mov_b64_e32 v[4:5], 0
	s_and_not1_b32 s31, s31, exec_lo
	s_and_b32 s51, vcc_lo, exec_lo
	s_delay_alu instid0(SALU_CYCLE_1)
	s_or_b32 s31, s31, s51
	s_or_b32 exec_lo, exec_lo, s50
	s_and_saveexec_b32 s50, s31
	s_cbranch_execnz .LBB135_631
	s_branch .LBB135_632
.LBB135_650:
	s_mov_b32 s31, -1
                                        ; implicit-def: $vgpr4_vgpr5
.LBB135_651:
	s_delay_alu instid0(SALU_CYCLE_1)
	s_and_b32 vcc_lo, exec_lo, s31
	s_cbranch_vccz .LBB135_653
; %bb.652:
	global_load_u8 v4, v[12:13], off
	s_wait_loadcnt 0x0
	v_lshlrev_b32_e32 v4, 24, v4
	s_delay_alu instid0(VALU_DEP_1) | instskip(SKIP_1) | instid1(VALU_DEP_1)
	v_and_b32_e32 v5, 0x7f000000, v4
	s_wait_xcnt 0x1
	v_clz_i32_u32_e32 v6, v5
	v_add_nc_u32_e32 v9, 0x1000000, v5
	v_cmp_ne_u32_e32 vcc_lo, 0, v5
	s_delay_alu instid0(VALU_DEP_3) | instskip(NEXT) | instid1(VALU_DEP_1)
	v_min_u32_e32 v6, 32, v6
	v_sub_nc_u32_e64 v6, v6, 4 clamp
	s_delay_alu instid0(VALU_DEP_1) | instskip(NEXT) | instid1(VALU_DEP_1)
	v_dual_lshlrev_b32 v7, v6, v5 :: v_dual_lshlrev_b32 v6, 23, v6
	v_lshrrev_b32_e32 v7, 4, v7
	s_delay_alu instid0(VALU_DEP_1) | instskip(NEXT) | instid1(VALU_DEP_1)
	v_dual_sub_nc_u32 v6, v7, v6 :: v_dual_ashrrev_i32 v7, 8, v9
	v_add_nc_u32_e32 v6, 0x3c000000, v6
	s_delay_alu instid0(VALU_DEP_1) | instskip(NEXT) | instid1(VALU_DEP_1)
	v_and_or_b32 v6, 0x7f800000, v7, v6
	v_cndmask_b32_e32 v5, 0, v6, vcc_lo
	s_delay_alu instid0(VALU_DEP_1) | instskip(NEXT) | instid1(VALU_DEP_1)
	v_and_or_b32 v4, 0x80000000, v4, v5
	v_cvt_f64_f32_e32 v[4:5], v4
.LBB135_653:
	s_mov_b32 s31, 0
.LBB135_654:
	s_delay_alu instid0(SALU_CYCLE_1)
	s_and_not1_b32 vcc_lo, exec_lo, s31
	s_cbranch_vccnz .LBB135_656
; %bb.655:
	global_load_u8 v4, v[12:13], off
	s_wait_loadcnt 0x0
	v_lshlrev_b32_e32 v5, 25, v4
	v_lshlrev_b16 v4, 8, v4
	s_wait_xcnt 0x1
	s_delay_alu instid0(VALU_DEP_1) | instskip(SKIP_1) | instid1(VALU_DEP_2)
	v_and_or_b32 v7, 0x7f00, v4, 0.5
	v_bfe_i32 v4, v4, 0, 16
	v_dual_add_f32 v7, -0.5, v7 :: v_dual_lshrrev_b32 v6, 4, v5
	v_cmp_gt_u32_e32 vcc_lo, 0x8000000, v5
	s_delay_alu instid0(VALU_DEP_2) | instskip(NEXT) | instid1(VALU_DEP_1)
	v_or_b32_e32 v6, 0x70000000, v6
	v_mul_f32_e32 v6, 0x7800000, v6
	s_delay_alu instid0(VALU_DEP_1) | instskip(NEXT) | instid1(VALU_DEP_1)
	v_cndmask_b32_e32 v5, v6, v7, vcc_lo
	v_and_or_b32 v4, 0x80000000, v4, v5
	s_delay_alu instid0(VALU_DEP_1)
	v_cvt_f64_f32_e32 v[4:5], v4
.LBB135_656:
	s_mov_b32 s50, 0
	s_mov_b32 s31, -1
.LBB135_657:
	s_and_not1_b32 vcc_lo, exec_lo, s50
	s_cbranch_vccnz .LBB135_668
; %bb.658:
	s_cmp_gt_i32 s0, 14
	s_cbranch_scc0 .LBB135_661
; %bb.659:
	s_cmp_eq_u32 s0, 15
	s_cbranch_scc0 .LBB135_662
; %bb.660:
	global_load_u16 v4, v[12:13], off
	s_mov_b32 s31, -1
	s_mov_b32 s30, 0
	s_wait_loadcnt 0x0
	v_lshlrev_b32_e32 v4, 16, v4
	s_delay_alu instid0(VALU_DEP_1)
	v_cvt_f64_f32_e32 v[4:5], v4
	s_branch .LBB135_663
.LBB135_661:
	s_mov_b32 s50, -1
                                        ; implicit-def: $vgpr4_vgpr5
	s_branch .LBB135_664
.LBB135_662:
	s_mov_b32 s30, -1
                                        ; implicit-def: $vgpr4_vgpr5
.LBB135_663:
	s_mov_b32 s50, 0
.LBB135_664:
	s_delay_alu instid0(SALU_CYCLE_1)
	s_and_b32 vcc_lo, exec_lo, s50
	s_cbranch_vccz .LBB135_668
; %bb.665:
	s_cmp_eq_u32 s0, 11
	s_cbranch_scc0 .LBB135_667
; %bb.666:
	global_load_u8 v4, v[12:13], off
	s_mov_b32 s30, 0
	s_mov_b32 s31, -1
	s_wait_xcnt 0x1
	v_mov_b64_e32 v[6:7], 0
	s_wait_loadcnt 0x0
	v_cmp_ne_u16_e32 vcc_lo, 0, v4
	v_mov_b32_e32 v4, 0
	v_cndmask_b32_e64 v5, 0, 0x3ff00000, vcc_lo
	s_branch .LBB135_669
.LBB135_667:
	s_mov_b32 s30, -1
                                        ; implicit-def: $vgpr4_vgpr5
.LBB135_668:
	s_wait_xcnt 0x0
	v_mov_b64_e32 v[6:7], 0
.LBB135_669:
	s_mov_b32 s50, 0
.LBB135_670:
	s_delay_alu instid0(SALU_CYCLE_1)
	s_and_b32 vcc_lo, exec_lo, s50
	s_cbranch_vccz .LBB135_721
; %bb.671:
	s_cmp_lt_i32 s0, 5
	s_cbranch_scc1 .LBB135_676
; %bb.672:
	s_cmp_lt_i32 s0, 8
	s_cbranch_scc1 .LBB135_677
	;; [unrolled: 3-line block ×3, first 2 shown]
; %bb.674:
	s_cmp_gt_i32 s0, 9
	s_cbranch_scc0 .LBB135_679
; %bb.675:
	global_load_b128 v[4:7], v[12:13], off
	s_mov_b32 s31, 0
	s_branch .LBB135_680
.LBB135_676:
	s_mov_b32 s31, -1
                                        ; implicit-def: $vgpr6_vgpr7
	s_branch .LBB135_699
.LBB135_677:
	s_mov_b32 s31, -1
                                        ; implicit-def: $vgpr6_vgpr7
	s_branch .LBB135_686
.LBB135_678:
	s_mov_b32 s31, -1
                                        ; implicit-def: $vgpr6_vgpr7
	s_branch .LBB135_683
.LBB135_679:
	s_mov_b32 s31, -1
                                        ; implicit-def: $vgpr6_vgpr7
.LBB135_680:
	s_delay_alu instid0(SALU_CYCLE_1)
	s_and_not1_b32 vcc_lo, exec_lo, s31
	s_cbranch_vccnz .LBB135_682
; %bb.681:
	s_wait_loadcnt 0x0
	global_load_b64 v[6:7], v[12:13], off
	s_wait_loadcnt 0x0
	v_cvt_f64_f32_e32 v[4:5], v6
	v_cvt_f64_f32_e32 v[6:7], v7
.LBB135_682:
	s_mov_b32 s31, 0
.LBB135_683:
	s_delay_alu instid0(SALU_CYCLE_1)
	s_and_not1_b32 vcc_lo, exec_lo, s31
	s_cbranch_vccnz .LBB135_685
; %bb.684:
	s_wait_loadcnt 0x0
	global_load_b32 v4, v[12:13], off
	s_wait_loadcnt 0x0
	v_lshrrev_b32_e32 v5, 16, v4
	v_cvt_f32_f16_e32 v4, v4
	s_wait_xcnt 0x1
	s_delay_alu instid0(VALU_DEP_2) | instskip(NEXT) | instid1(VALU_DEP_2)
	v_cvt_f32_f16_e32 v6, v5
	v_cvt_f64_f32_e32 v[4:5], v4
	s_delay_alu instid0(VALU_DEP_2)
	v_cvt_f64_f32_e32 v[6:7], v6
.LBB135_685:
	s_mov_b32 s31, 0
.LBB135_686:
	s_delay_alu instid0(SALU_CYCLE_1)
	s_and_not1_b32 vcc_lo, exec_lo, s31
	s_cbranch_vccnz .LBB135_698
; %bb.687:
	s_cmp_lt_i32 s0, 6
	s_cbranch_scc1 .LBB135_690
; %bb.688:
	s_cmp_gt_i32 s0, 6
	s_cbranch_scc0 .LBB135_691
; %bb.689:
	s_wait_loadcnt 0x0
	global_load_b64 v[4:5], v[12:13], off
	s_mov_b32 s31, 0
	s_branch .LBB135_692
.LBB135_690:
	s_mov_b32 s31, -1
                                        ; implicit-def: $vgpr4_vgpr5
	s_branch .LBB135_695
.LBB135_691:
	s_mov_b32 s31, -1
                                        ; implicit-def: $vgpr4_vgpr5
.LBB135_692:
	s_delay_alu instid0(SALU_CYCLE_1)
	s_and_not1_b32 vcc_lo, exec_lo, s31
	s_cbranch_vccnz .LBB135_694
; %bb.693:
	s_wait_loadcnt 0x0
	global_load_b32 v4, v[12:13], off
	s_wait_loadcnt 0x0
	v_cvt_f64_f32_e32 v[4:5], v4
.LBB135_694:
	s_mov_b32 s31, 0
.LBB135_695:
	s_delay_alu instid0(SALU_CYCLE_1)
	s_and_not1_b32 vcc_lo, exec_lo, s31
	s_cbranch_vccnz .LBB135_697
; %bb.696:
	s_wait_loadcnt 0x0
	global_load_u16 v4, v[12:13], off
	s_wait_loadcnt 0x0
	v_cvt_f32_f16_e32 v4, v4
	s_delay_alu instid0(VALU_DEP_1)
	v_cvt_f64_f32_e32 v[4:5], v4
.LBB135_697:
	s_wait_loadcnt 0x0
	v_mov_b64_e32 v[6:7], 0
.LBB135_698:
	s_mov_b32 s31, 0
.LBB135_699:
	s_delay_alu instid0(SALU_CYCLE_1)
	s_and_not1_b32 vcc_lo, exec_lo, s31
	s_cbranch_vccnz .LBB135_720
; %bb.700:
	s_cmp_lt_i32 s0, 2
	s_cbranch_scc1 .LBB135_704
; %bb.701:
	s_cmp_lt_i32 s0, 3
	s_cbranch_scc1 .LBB135_705
; %bb.702:
	s_cmp_gt_i32 s0, 3
	s_cbranch_scc0 .LBB135_706
; %bb.703:
	s_wait_loadcnt 0x0
	global_load_b64 v[4:5], v[12:13], off
	s_mov_b32 s31, 0
	s_wait_loadcnt 0x0
	s_wait_xcnt 0x1
	v_cvt_f64_i32_e32 v[6:7], v5
	v_cvt_f64_u32_e32 v[4:5], v4
	s_delay_alu instid0(VALU_DEP_2) | instskip(NEXT) | instid1(VALU_DEP_1)
	v_ldexp_f64 v[6:7], v[6:7], 32
	v_add_f64_e32 v[4:5], v[6:7], v[4:5]
	s_branch .LBB135_707
.LBB135_704:
	s_mov_b32 s31, -1
                                        ; implicit-def: $vgpr4_vgpr5
	s_branch .LBB135_713
.LBB135_705:
	s_mov_b32 s31, -1
                                        ; implicit-def: $vgpr4_vgpr5
	s_branch .LBB135_710
.LBB135_706:
	s_mov_b32 s31, -1
                                        ; implicit-def: $vgpr4_vgpr5
.LBB135_707:
	s_delay_alu instid0(SALU_CYCLE_1)
	s_and_not1_b32 vcc_lo, exec_lo, s31
	s_cbranch_vccnz .LBB135_709
; %bb.708:
	s_wait_loadcnt 0x0
	global_load_b32 v4, v[12:13], off
	s_wait_loadcnt 0x0
	v_cvt_f64_i32_e32 v[4:5], v4
.LBB135_709:
	s_mov_b32 s31, 0
.LBB135_710:
	s_delay_alu instid0(SALU_CYCLE_1)
	s_and_not1_b32 vcc_lo, exec_lo, s31
	s_cbranch_vccnz .LBB135_712
; %bb.711:
	s_wait_loadcnt 0x0
	global_load_i16 v4, v[12:13], off
	s_wait_loadcnt 0x0
	v_cvt_f64_i32_e32 v[4:5], v4
.LBB135_712:
	s_mov_b32 s31, 0
.LBB135_713:
	s_delay_alu instid0(SALU_CYCLE_1)
	s_and_not1_b32 vcc_lo, exec_lo, s31
	s_cbranch_vccnz .LBB135_719
; %bb.714:
	s_cmp_gt_i32 s0, 0
	s_mov_b32 s0, 0
	s_cbranch_scc0 .LBB135_716
; %bb.715:
	s_wait_loadcnt 0x0
	global_load_i8 v4, v[12:13], off
	s_wait_loadcnt 0x0
	v_cvt_f64_i32_e32 v[4:5], v4
	s_branch .LBB135_717
.LBB135_716:
	s_mov_b32 s0, -1
                                        ; implicit-def: $vgpr4_vgpr5
.LBB135_717:
	s_delay_alu instid0(SALU_CYCLE_1)
	s_and_not1_b32 vcc_lo, exec_lo, s0
	s_cbranch_vccnz .LBB135_719
; %bb.718:
	s_wait_loadcnt 0x0
	global_load_u8 v4, v[12:13], off
	s_wait_loadcnt 0x0
	v_cvt_f64_u32_e32 v[4:5], v4
.LBB135_719:
	s_wait_loadcnt 0x0
	v_mov_b64_e32 v[6:7], 0
.LBB135_720:
	s_mov_b32 s31, -1
.LBB135_721:
	s_delay_alu instid0(SALU_CYCLE_1)
	s_and_not1_b32 vcc_lo, exec_lo, s31
	s_cbranch_vccnz .LBB135_729
; %bb.722:
	s_wait_loadcnt 0x0
	s_delay_alu instid0(VALU_DEP_3) | instskip(SKIP_2) | instid1(SALU_CYCLE_1)
	v_dual_mul_f64 v[12:13], s[4:5], v[2:3] :: v_dual_mov_b32 v11, 0
	v_mul_f64_e32 v[2:3], s[6:7], v[2:3]
	s_and_b32 s31, s37, 0xff
	s_cmp_lt_i32 s31, 11
	s_delay_alu instid0(VALU_DEP_2) | instskip(NEXT) | instid1(VALU_DEP_2)
	v_fmac_f64_e32 v[12:13], s[6:7], v[0:1]
	v_fma_f64 v[0:1], s[4:5], v[0:1], -v[2:3]
	s_delay_alu instid0(VALU_DEP_2) | instskip(NEXT) | instid1(VALU_DEP_2)
	v_mul_f64_e32 v[14:15], v[12:13], v[6:7]
	v_mul_f64_e32 v[2:3], v[0:1], v[6:7]
	s_delay_alu instid0(VALU_DEP_2) | instskip(NEXT) | instid1(VALU_DEP_2)
	v_fma_f64 v[0:1], v[0:1], v[4:5], -v[14:15]
	v_fmac_f64_e32 v[2:3], v[12:13], v[4:5]
	v_add_nc_u64_e32 v[4:5], s[20:21], v[10:11]
	s_cbranch_scc1 .LBB135_730
; %bb.723:
	s_and_b32 s50, 0xffff, s31
	s_delay_alu instid0(SALU_CYCLE_1)
	s_cmp_gt_i32 s50, 25
	s_cbranch_scc0 .LBB135_731
; %bb.724:
	s_cmp_gt_i32 s50, 28
	s_cbranch_scc0 .LBB135_732
; %bb.725:
	;; [unrolled: 3-line block ×4, first 2 shown]
	s_mov_b32 s52, 0
	s_mov_b32 s0, -1
	s_cmp_eq_u32 s50, 46
	s_mov_b32 s51, 0
	s_cbranch_scc0 .LBB135_739
; %bb.728:
	s_delay_alu instid0(VALU_DEP_2) | instskip(NEXT) | instid1(VALU_DEP_4)
	v_cvt_f32_f64_e32 v6, v[2:3]
	v_cvt_f32_f64_e32 v7, v[0:1]
	s_mov_b32 s51, -1
	s_mov_b32 s0, 0
	s_delay_alu instid0(VALU_DEP_2) | instskip(NEXT) | instid1(VALU_DEP_2)
	v_bfe_u32 v9, v6, 16, 1
	v_bfe_u32 v10, v7, 16, 1
	v_cmp_o_f32_e32 vcc_lo, v6, v6
	s_delay_alu instid0(VALU_DEP_3) | instskip(NEXT) | instid1(VALU_DEP_3)
	v_add3_u32 v9, v6, v9, 0x7fff
	v_add3_u32 v10, v7, v10, 0x7fff
	s_delay_alu instid0(VALU_DEP_2) | instskip(NEXT) | instid1(VALU_DEP_1)
	v_and_b32_e32 v9, 0xffff0000, v9
	v_cndmask_b32_e32 v6, 0x7fc00000, v9, vcc_lo
	s_delay_alu instid0(VALU_DEP_3) | instskip(SKIP_1) | instid1(VALU_DEP_2)
	v_lshrrev_b32_e32 v10, 16, v10
	v_cmp_o_f32_e32 vcc_lo, v7, v7
	v_cndmask_b32_e32 v7, 0x7fc0, v10, vcc_lo
	s_delay_alu instid0(VALU_DEP_1)
	v_or_b32_e32 v6, v6, v7
	global_store_b32 v[4:5], v6, off
	s_branch .LBB135_739
.LBB135_729:
	s_mov_b32 s31, 0
	s_mov_b32 s0, s45
	s_branch .LBB135_462
.LBB135_730:
	s_mov_b32 s50, -1
	s_mov_b32 s51, 0
	s_mov_b32 s0, s45
	s_branch .LBB135_808
.LBB135_731:
	s_mov_b32 s52, -1
	s_mov_b32 s51, 0
	s_mov_b32 s0, s45
	s_branch .LBB135_766
.LBB135_732:
	s_mov_b32 s52, -1
	s_mov_b32 s51, 0
	s_mov_b32 s0, s45
	s_branch .LBB135_749
.LBB135_733:
	s_mov_b32 s52, -1
	s_mov_b32 s51, 0
	s_mov_b32 s0, s45
	s_branch .LBB135_745
.LBB135_734:
	s_mov_b32 s31, -1
	s_mov_b32 s51, exec_lo
	v_cmpx_eq_u16_e32 0x80, v6
; %bb.735:
	s_xor_b32 s31, exec_lo, -1
; %bb.736:
	s_or_b32 exec_lo, exec_lo, s51
	s_delay_alu instid0(SALU_CYCLE_1)
	s_and_b32 s31, s31, exec_lo
	s_or_saveexec_b32 s50, s50
	v_mov_b64_e32 v[4:5], 0x7ff8000020000000
	s_xor_b32 exec_lo, exec_lo, s50
	s_cbranch_execz .LBB135_641
.LBB135_737:
	v_cmp_ne_u16_e32 vcc_lo, 0, v6
	v_mov_b64_e32 v[4:5], 0
	s_and_not1_b32 s31, s31, exec_lo
	s_and_b32 s51, vcc_lo, exec_lo
	s_delay_alu instid0(SALU_CYCLE_1)
	s_or_b32 s31, s31, s51
	s_or_b32 exec_lo, exec_lo, s50
	s_and_saveexec_b32 s50, s31
	s_cbranch_execnz .LBB135_642
	s_branch .LBB135_643
.LBB135_738:
	s_mov_b32 s52, -1
	s_mov_b32 s51, 0
	s_mov_b32 s0, s45
.LBB135_739:
	s_and_b32 vcc_lo, exec_lo, s52
	s_cbranch_vccz .LBB135_744
; %bb.740:
	s_cmp_eq_u32 s50, 44
	s_mov_b32 s0, -1
	s_cbranch_scc0 .LBB135_744
; %bb.741:
	s_wait_xcnt 0x0
	s_delay_alu instid0(VALU_DEP_3) | instskip(SKIP_2) | instid1(VALU_DEP_2)
	v_cvt_f32_f64_e32 v6, v[0:1]
	v_mov_b32_e32 v7, 0xff
	s_mov_b32 s51, exec_lo
	v_bfe_u32 v9, v6, 23, 8
	s_delay_alu instid0(VALU_DEP_1)
	v_cmpx_ne_u32_e32 0xff, v9
	s_cbranch_execz .LBB135_743
; %bb.742:
	v_and_b32_e32 v7, 0x400000, v6
	v_and_or_b32 v9, 0x3fffff, v6, v9
	v_lshrrev_b32_e32 v6, 23, v6
	s_delay_alu instid0(VALU_DEP_3) | instskip(NEXT) | instid1(VALU_DEP_3)
	v_cmp_ne_u32_e32 vcc_lo, 0, v7
	v_cmp_ne_u32_e64 s0, 0, v9
	s_and_b32 s0, vcc_lo, s0
	s_delay_alu instid0(SALU_CYCLE_1) | instskip(NEXT) | instid1(VALU_DEP_1)
	v_cndmask_b32_e64 v7, 0, 1, s0
	v_add_nc_u32_e32 v7, v6, v7
.LBB135_743:
	s_or_b32 exec_lo, exec_lo, s51
	s_mov_b32 s51, -1
	s_mov_b32 s0, 0
	global_store_b8 v[4:5], v7, off
.LBB135_744:
	s_mov_b32 s52, 0
.LBB135_745:
	s_delay_alu instid0(SALU_CYCLE_1)
	s_and_b32 vcc_lo, exec_lo, s52
	s_cbranch_vccz .LBB135_748
; %bb.746:
	s_cmp_eq_u32 s50, 29
	s_mov_b32 s0, -1
	s_cbranch_scc0 .LBB135_748
; %bb.747:
	s_wait_xcnt 0x0
	s_delay_alu instid0(VALU_DEP_3) | instskip(SKIP_3) | instid1(VALU_DEP_1)
	v_trunc_f64_e32 v[6:7], v[0:1]
	s_mov_b32 s51, -1
	s_mov_b32 s0, 0
	s_mov_b32 s52, 0
	v_ldexp_f64 v[10:11], v[6:7], 0xffffffe0
	s_delay_alu instid0(VALU_DEP_1) | instskip(NEXT) | instid1(VALU_DEP_1)
	v_floor_f64_e32 v[10:11], v[10:11]
	v_fmamk_f64 v[6:7], v[10:11], 0xc1f00000, v[6:7]
	v_cvt_u32_f64_e32 v11, v[10:11]
	s_delay_alu instid0(VALU_DEP_2)
	v_cvt_u32_f64_e32 v10, v[6:7]
	global_store_b64 v[4:5], v[10:11], off
	s_branch .LBB135_749
.LBB135_748:
	s_mov_b32 s52, 0
.LBB135_749:
	s_delay_alu instid0(SALU_CYCLE_1)
	s_and_b32 vcc_lo, exec_lo, s52
	s_cbranch_vccz .LBB135_765
; %bb.750:
	s_cmp_lt_i32 s50, 27
	s_mov_b32 s51, -1
	s_cbranch_scc1 .LBB135_756
; %bb.751:
	s_cmp_gt_i32 s50, 27
	s_cbranch_scc0 .LBB135_753
; %bb.752:
	s_wait_xcnt 0x0
	s_delay_alu instid0(VALU_DEP_3)
	v_cvt_u32_f64_e32 v6, v[0:1]
	s_mov_b32 s51, 0
	global_store_b32 v[4:5], v6, off
.LBB135_753:
	s_and_not1_b32 vcc_lo, exec_lo, s51
	s_cbranch_vccnz .LBB135_755
; %bb.754:
	s_wait_xcnt 0x0
	s_delay_alu instid0(VALU_DEP_3)
	v_cvt_u32_f64_e32 v6, v[0:1]
	global_store_b16 v[4:5], v6, off
.LBB135_755:
	s_mov_b32 s51, 0
.LBB135_756:
	s_delay_alu instid0(SALU_CYCLE_1)
	s_and_not1_b32 vcc_lo, exec_lo, s51
	s_cbranch_vccnz .LBB135_764
; %bb.757:
	s_wait_xcnt 0x0
	s_delay_alu instid0(VALU_DEP_3) | instskip(SKIP_2) | instid1(VALU_DEP_2)
	v_cvt_f32_f64_e32 v6, v[0:1]
	v_mov_b32_e32 v9, 0x80
	s_mov_b32 s51, exec_lo
	v_and_b32_e32 v7, 0x7fffffff, v6
	s_delay_alu instid0(VALU_DEP_1)
	v_cmpx_gt_u32_e32 0x43800000, v7
	s_cbranch_execz .LBB135_763
; %bb.758:
	v_cmp_lt_u32_e32 vcc_lo, 0x3bffffff, v7
	s_mov_b32 s52, 0
                                        ; implicit-def: $vgpr7
	s_and_saveexec_b32 s53, vcc_lo
	s_delay_alu instid0(SALU_CYCLE_1)
	s_xor_b32 s53, exec_lo, s53
	s_cbranch_execnz .LBB135_1034
; %bb.759:
	s_and_not1_saveexec_b32 s53, s53
	s_cbranch_execnz .LBB135_1035
.LBB135_760:
	s_or_b32 exec_lo, exec_lo, s53
	v_mov_b32_e32 v9, 0
	s_and_saveexec_b32 s53, s52
.LBB135_761:
	v_lshrrev_b32_e32 v6, 24, v6
	s_delay_alu instid0(VALU_DEP_1)
	v_and_or_b32 v9, 0x80, v6, v7
.LBB135_762:
	s_or_b32 exec_lo, exec_lo, s53
.LBB135_763:
	s_delay_alu instid0(SALU_CYCLE_1)
	s_or_b32 exec_lo, exec_lo, s51
	global_store_b8 v[4:5], v9, off
.LBB135_764:
	s_mov_b32 s51, -1
.LBB135_765:
	s_mov_b32 s52, 0
.LBB135_766:
	s_delay_alu instid0(SALU_CYCLE_1)
	s_and_b32 vcc_lo, exec_lo, s52
	s_cbranch_vccz .LBB135_807
; %bb.767:
	s_cmp_gt_i32 s50, 22
	s_mov_b32 s52, -1
	s_cbranch_scc0 .LBB135_799
; %bb.768:
	s_cmp_lt_i32 s50, 24
	s_mov_b32 s51, -1
	s_cbranch_scc1 .LBB135_788
; %bb.769:
	s_cmp_gt_i32 s50, 24
	s_cbranch_scc0 .LBB135_777
; %bb.770:
	s_wait_xcnt 0x0
	s_delay_alu instid0(VALU_DEP_3) | instskip(SKIP_2) | instid1(VALU_DEP_2)
	v_cvt_f32_f64_e32 v6, v[0:1]
	v_mov_b32_e32 v9, 0x80
	s_mov_b32 s51, exec_lo
	v_and_b32_e32 v7, 0x7fffffff, v6
	s_delay_alu instid0(VALU_DEP_1)
	v_cmpx_gt_u32_e32 0x47800000, v7
	s_cbranch_execz .LBB135_776
; %bb.771:
	v_cmp_lt_u32_e32 vcc_lo, 0x37ffffff, v7
	s_mov_b32 s52, 0
                                        ; implicit-def: $vgpr7
	s_and_saveexec_b32 s53, vcc_lo
	s_delay_alu instid0(SALU_CYCLE_1)
	s_xor_b32 s53, exec_lo, s53
	s_cbranch_execnz .LBB135_2368
; %bb.772:
	s_and_not1_saveexec_b32 s53, s53
	s_cbranch_execnz .LBB135_2369
.LBB135_773:
	s_or_b32 exec_lo, exec_lo, s53
	v_mov_b32_e32 v9, 0
	s_and_saveexec_b32 s53, s52
.LBB135_774:
	v_lshrrev_b32_e32 v6, 24, v6
	s_delay_alu instid0(VALU_DEP_1)
	v_and_or_b32 v9, 0x80, v6, v7
.LBB135_775:
	s_or_b32 exec_lo, exec_lo, s53
.LBB135_776:
	s_delay_alu instid0(SALU_CYCLE_1)
	s_or_b32 exec_lo, exec_lo, s51
	s_mov_b32 s51, 0
	global_store_b8 v[4:5], v9, off
.LBB135_777:
	s_and_b32 vcc_lo, exec_lo, s51
	s_cbranch_vccz .LBB135_787
; %bb.778:
	s_wait_xcnt 0x0
	s_delay_alu instid0(VALU_DEP_3) | instskip(SKIP_1) | instid1(VALU_DEP_1)
	v_cvt_f32_f64_e32 v6, v[0:1]
	s_mov_b32 s51, exec_lo
                                        ; implicit-def: $vgpr7
	v_and_b32_e32 v9, 0x7fffffff, v6
	s_delay_alu instid0(VALU_DEP_1)
	v_cmpx_gt_u32_e32 0x43f00000, v9
	s_xor_b32 s51, exec_lo, s51
	s_cbranch_execz .LBB135_784
; %bb.779:
	s_mov_b32 s52, exec_lo
                                        ; implicit-def: $vgpr7
	v_cmpx_lt_u32_e32 0x3c7fffff, v9
	s_xor_b32 s52, exec_lo, s52
; %bb.780:
	v_bfe_u32 v7, v6, 20, 1
	s_delay_alu instid0(VALU_DEP_1) | instskip(NEXT) | instid1(VALU_DEP_1)
	v_add3_u32 v7, v6, v7, 0x407ffff
	v_and_b32_e32 v9, 0xff00000, v7
	v_lshrrev_b32_e32 v7, 20, v7
	s_delay_alu instid0(VALU_DEP_2) | instskip(NEXT) | instid1(VALU_DEP_2)
	v_cmp_ne_u32_e32 vcc_lo, 0x7f00000, v9
	v_cndmask_b32_e32 v7, 0x7e, v7, vcc_lo
; %bb.781:
	s_and_not1_saveexec_b32 s52, s52
; %bb.782:
	v_add_f32_e64 v7, 0x46800000, |v6|
; %bb.783:
	s_or_b32 exec_lo, exec_lo, s52
                                        ; implicit-def: $vgpr9
.LBB135_784:
	s_and_not1_saveexec_b32 s51, s51
; %bb.785:
	v_mov_b32_e32 v7, 0x7f
	v_cmp_lt_u32_e32 vcc_lo, 0x7f800000, v9
	s_delay_alu instid0(VALU_DEP_2)
	v_cndmask_b32_e32 v7, 0x7e, v7, vcc_lo
; %bb.786:
	s_or_b32 exec_lo, exec_lo, s51
	v_lshrrev_b32_e32 v6, 24, v6
	s_delay_alu instid0(VALU_DEP_1)
	v_and_or_b32 v6, 0x80, v6, v7
	global_store_b8 v[4:5], v6, off
.LBB135_787:
	s_mov_b32 s51, 0
.LBB135_788:
	s_delay_alu instid0(SALU_CYCLE_1)
	s_and_not1_b32 vcc_lo, exec_lo, s51
	s_cbranch_vccnz .LBB135_798
; %bb.789:
	s_wait_xcnt 0x0
	s_delay_alu instid0(VALU_DEP_3) | instskip(SKIP_1) | instid1(VALU_DEP_1)
	v_cvt_f32_f64_e32 v6, v[0:1]
	s_mov_b32 s51, exec_lo
                                        ; implicit-def: $vgpr7
	v_and_b32_e32 v9, 0x7fffffff, v6
	s_delay_alu instid0(VALU_DEP_1)
	v_cmpx_gt_u32_e32 0x47800000, v9
	s_xor_b32 s51, exec_lo, s51
	s_cbranch_execz .LBB135_795
; %bb.790:
	s_mov_b32 s52, exec_lo
                                        ; implicit-def: $vgpr7
	v_cmpx_lt_u32_e32 0x387fffff, v9
	s_xor_b32 s52, exec_lo, s52
; %bb.791:
	v_bfe_u32 v7, v6, 21, 1
	s_delay_alu instid0(VALU_DEP_1) | instskip(NEXT) | instid1(VALU_DEP_1)
	v_add3_u32 v7, v6, v7, 0x80fffff
	v_lshrrev_b32_e32 v7, 21, v7
; %bb.792:
	s_and_not1_saveexec_b32 s52, s52
; %bb.793:
	v_add_f32_e64 v7, 0x43000000, |v6|
; %bb.794:
	s_or_b32 exec_lo, exec_lo, s52
                                        ; implicit-def: $vgpr9
.LBB135_795:
	s_and_not1_saveexec_b32 s51, s51
; %bb.796:
	v_mov_b32_e32 v7, 0x7f
	v_cmp_lt_u32_e32 vcc_lo, 0x7f800000, v9
	s_delay_alu instid0(VALU_DEP_2)
	v_cndmask_b32_e32 v7, 0x7c, v7, vcc_lo
; %bb.797:
	s_or_b32 exec_lo, exec_lo, s51
	v_lshrrev_b32_e32 v6, 24, v6
	s_delay_alu instid0(VALU_DEP_1)
	v_and_or_b32 v6, 0x80, v6, v7
	global_store_b8 v[4:5], v6, off
.LBB135_798:
	s_mov_b32 s52, 0
	s_mov_b32 s51, -1
.LBB135_799:
	s_and_not1_b32 vcc_lo, exec_lo, s52
	s_cbranch_vccnz .LBB135_807
; %bb.800:
	s_cmp_gt_i32 s50, 14
	s_mov_b32 s52, -1
	s_cbranch_scc0 .LBB135_804
; %bb.801:
	s_cmp_eq_u32 s50, 15
	s_mov_b32 s0, -1
	s_cbranch_scc0 .LBB135_803
; %bb.802:
	s_wait_xcnt 0x0
	s_delay_alu instid0(VALU_DEP_3) | instskip(SKIP_2) | instid1(VALU_DEP_1)
	v_cvt_f32_f64_e32 v6, v[0:1]
	s_mov_b32 s51, -1
	s_mov_b32 s0, 0
	v_bfe_u32 v7, v6, 16, 1
	v_cmp_o_f32_e32 vcc_lo, v6, v6
	s_delay_alu instid0(VALU_DEP_2) | instskip(NEXT) | instid1(VALU_DEP_1)
	v_add3_u32 v7, v6, v7, 0x7fff
	v_lshrrev_b32_e32 v7, 16, v7
	s_delay_alu instid0(VALU_DEP_1)
	v_cndmask_b32_e32 v6, 0x7fc0, v7, vcc_lo
	global_store_b16 v[4:5], v6, off
.LBB135_803:
	s_mov_b32 s52, 0
.LBB135_804:
	s_delay_alu instid0(SALU_CYCLE_1)
	s_and_b32 vcc_lo, exec_lo, s52
	s_cbranch_vccz .LBB135_807
; %bb.805:
	s_cmp_eq_u32 s50, 11
	s_mov_b32 s0, -1
	s_cbranch_scc0 .LBB135_807
; %bb.806:
	s_delay_alu instid0(VALU_DEP_3) | instskip(NEXT) | instid1(VALU_DEP_3)
	v_cmp_neq_f64_e32 vcc_lo, 0, v[0:1]
	v_cmp_neq_f64_e64 s0, 0, v[2:3]
	s_mov_b32 s51, -1
	s_or_b32 s0, vcc_lo, s0
	s_wait_xcnt 0x0
	v_cndmask_b32_e64 v6, 0, 1, s0
	s_mov_b32 s0, 0
	global_store_b8 v[4:5], v6, off
.LBB135_807:
	s_mov_b32 s50, 0
.LBB135_808:
	s_delay_alu instid0(SALU_CYCLE_1)
	s_and_b32 vcc_lo, exec_lo, s50
	s_cbranch_vccz .LBB135_847
; %bb.809:
	s_and_b32 s31, 0xffff, s31
	s_mov_b32 s50, -1
	s_cmp_lt_i32 s31, 5
	s_cbranch_scc1 .LBB135_830
; %bb.810:
	s_cmp_lt_i32 s31, 8
	s_cbranch_scc1 .LBB135_820
; %bb.811:
	;; [unrolled: 3-line block ×3, first 2 shown]
	s_cmp_gt_i32 s31, 9
	s_cbranch_scc0 .LBB135_814
; %bb.813:
	s_mov_b32 s50, 0
	global_store_b128 v[4:5], v[0:3], off
.LBB135_814:
	s_and_not1_b32 vcc_lo, exec_lo, s50
	s_cbranch_vccnz .LBB135_816
; %bb.815:
	s_wait_xcnt 0x0
	s_delay_alu instid0(VALU_DEP_3) | instskip(NEXT) | instid1(VALU_DEP_3)
	v_cvt_f32_f64_e32 v6, v[0:1]
	v_cvt_f32_f64_e32 v7, v[2:3]
	global_store_b64 v[4:5], v[6:7], off
.LBB135_816:
	s_mov_b32 s50, 0
.LBB135_817:
	s_delay_alu instid0(SALU_CYCLE_1)
	s_and_not1_b32 vcc_lo, exec_lo, s50
	s_cbranch_vccnz .LBB135_819
; %bb.818:
	s_wait_xcnt 0x0
	s_delay_alu instid0(VALU_DEP_3) | instskip(NEXT) | instid1(VALU_DEP_3)
	v_and_or_b32 v6, 0x1ff, v1, v0
	v_and_or_b32 v2, 0x1ff, v3, v2
	v_dual_lshrrev_b32 v7, 8, v1 :: v_dual_lshrrev_b32 v11, 8, v3
	v_bfe_u32 v9, v1, 20, 11
	s_delay_alu instid0(VALU_DEP_4) | instskip(SKIP_2) | instid1(VALU_DEP_4)
	v_cmp_ne_u32_e32 vcc_lo, 0, v6
	v_bfe_u32 v10, v3, 20, 11
	v_lshrrev_b32_e32 v17, 16, v1
	v_sub_nc_u32_e32 v12, 0x3f1, v9
	v_cndmask_b32_e64 v6, 0, 1, vcc_lo
	v_cmp_ne_u32_e32 vcc_lo, 0, v2
	v_add_nc_u32_e32 v9, 0xfffffc10, v9
	s_delay_alu instid0(VALU_DEP_3) | instskip(SKIP_3) | instid1(VALU_DEP_3)
	v_and_or_b32 v6, 0xffe, v7, v6
	v_cndmask_b32_e64 v2, 0, 1, vcc_lo
	v_sub_nc_u32_e32 v7, 0x3f1, v10
	v_add_nc_u32_e32 v10, 0xfffffc10, v10
	v_and_or_b32 v2, 0xffe, v11, v2
	v_med3_i32 v11, v12, 0, 13
	v_or_b32_e32 v12, 0x1000, v6
	v_med3_i32 v7, v7, 0, 13
	s_delay_alu instid0(VALU_DEP_4) | instskip(NEXT) | instid1(VALU_DEP_3)
	v_or_b32_e32 v13, 0x1000, v2
	v_lshrrev_b32_e32 v14, v11, v12
	s_delay_alu instid0(VALU_DEP_1) | instskip(NEXT) | instid1(VALU_DEP_1)
	v_lshlrev_b32_e32 v11, v11, v14
	v_cmp_ne_u32_e32 vcc_lo, v11, v12
	v_lshl_or_b32 v12, v9, 12, v6
	v_cndmask_b32_e64 v11, 0, 1, vcc_lo
	s_delay_alu instid0(VALU_DEP_1) | instskip(NEXT) | instid1(VALU_DEP_1)
	v_dual_lshrrev_b32 v15, v7, v13 :: v_dual_bitop2_b32 v11, v14, v11 bitop3:0x54
	v_dual_mov_b32 v14, 0x7e00 :: v_dual_lshlrev_b32 v7, v7, v15
	s_delay_alu instid0(VALU_DEP_1) | instskip(SKIP_3) | instid1(VALU_DEP_2)
	v_cmp_ne_u32_e32 vcc_lo, v7, v13
	v_lshl_or_b32 v13, v10, 12, v2
	v_cndmask_b32_e64 v7, 0, 1, vcc_lo
	v_cmp_gt_i32_e32 vcc_lo, 1, v9
	v_or_b32_e32 v7, v15, v7
	v_cndmask_b32_e32 v11, v12, v11, vcc_lo
	v_cmp_gt_i32_e32 vcc_lo, 1, v10
	s_delay_alu instid0(VALU_DEP_2) | instskip(NEXT) | instid1(VALU_DEP_4)
	v_dual_lshrrev_b32 v11, 2, v11 :: v_dual_bitop2_b32 v12, 7, v11 bitop3:0x40
	v_cndmask_b32_e32 v7, v13, v7, vcc_lo
	s_delay_alu instid0(VALU_DEP_2) | instskip(NEXT) | instid1(VALU_DEP_2)
	v_cmp_lt_i32_e32 vcc_lo, 5, v12
	v_and_b32_e32 v13, 7, v7
	v_cndmask_b32_e64 v15, 0, 1, vcc_lo
	s_delay_alu instid0(VALU_DEP_2) | instskip(SKIP_4) | instid1(VALU_DEP_2)
	v_cmp_lt_i32_e32 vcc_lo, 5, v13
	v_cndmask_b32_e64 v16, 0, 1, vcc_lo
	v_cmp_eq_u32_e32 vcc_lo, 3, v13
	v_cndmask_b32_e64 v13, 0, 1, vcc_lo
	v_cmp_eq_u32_e32 vcc_lo, 3, v12
	v_dual_lshrrev_b32 v7, 2, v7 :: v_dual_bitop2_b32 v13, v13, v16 bitop3:0x54
	v_cndmask_b32_e64 v12, 0, 1, vcc_lo
	v_cmp_ne_u32_e32 vcc_lo, 0, v6
	s_delay_alu instid0(VALU_DEP_3) | instskip(NEXT) | instid1(VALU_DEP_3)
	v_dual_lshrrev_b32 v3, 16, v3 :: v_dual_add_nc_u32 v7, v7, v13
	v_or_b32_e32 v12, v12, v15
	v_cndmask_b32_e32 v6, 0x7c00, v14, vcc_lo
	v_cmp_ne_u32_e32 vcc_lo, 0, v2
	s_delay_alu instid0(VALU_DEP_3)
	v_add_nc_u32_e32 v11, v11, v12
	v_and_b32_e32 v12, 0x8000, v17
	v_cndmask_b32_e32 v2, 0x7c00, v14, vcc_lo
	v_cmp_gt_i32_e32 vcc_lo, 31, v10
	v_cndmask_b32_e32 v7, 0x7c00, v7, vcc_lo
	v_cmp_gt_i32_e32 vcc_lo, 31, v9
	v_cndmask_b32_e32 v11, 0x7c00, v11, vcc_lo
	v_cmp_eq_u32_e32 vcc_lo, 0x40f, v10
	s_delay_alu instid0(VALU_DEP_4) | instskip(SKIP_1) | instid1(VALU_DEP_2)
	v_cndmask_b32_e32 v2, v7, v2, vcc_lo
	v_cmp_eq_u32_e32 vcc_lo, 0x40f, v9
	v_and_or_b32 v2, 0x8000, v3, v2
	v_cndmask_b32_e32 v6, v11, v6, vcc_lo
	s_delay_alu instid0(VALU_DEP_1) | instskip(NEXT) | instid1(VALU_DEP_1)
	v_bitop3_b32 v3, v12, 0xffff, v6 bitop3:0xc8
	v_lshl_or_b32 v2, v2, 16, v3
	global_store_b32 v[4:5], v2, off
.LBB135_819:
	s_mov_b32 s50, 0
.LBB135_820:
	s_delay_alu instid0(SALU_CYCLE_1)
	s_and_not1_b32 vcc_lo, exec_lo, s50
	s_cbranch_vccnz .LBB135_829
; %bb.821:
	s_cmp_lt_i32 s31, 6
	s_mov_b32 s50, -1
	s_cbranch_scc1 .LBB135_827
; %bb.822:
	s_cmp_gt_i32 s31, 6
	s_cbranch_scc0 .LBB135_824
; %bb.823:
	s_mov_b32 s50, 0
	global_store_b64 v[4:5], v[0:1], off
.LBB135_824:
	s_and_not1_b32 vcc_lo, exec_lo, s50
	s_cbranch_vccnz .LBB135_826
; %bb.825:
	s_wait_xcnt 0x0
	s_delay_alu instid0(VALU_DEP_3)
	v_cvt_f32_f64_e32 v2, v[0:1]
	global_store_b32 v[4:5], v2, off
.LBB135_826:
	s_mov_b32 s50, 0
.LBB135_827:
	s_delay_alu instid0(SALU_CYCLE_1)
	s_and_not1_b32 vcc_lo, exec_lo, s50
	s_cbranch_vccnz .LBB135_829
; %bb.828:
	s_wait_xcnt 0x0
	s_delay_alu instid0(VALU_DEP_3) | instskip(SKIP_2) | instid1(VALU_DEP_3)
	v_and_or_b32 v2, 0x1ff, v1, v0
	v_lshrrev_b32_e32 v3, 8, v1
	v_bfe_u32 v6, v1, 20, 11
	v_cmp_ne_u32_e32 vcc_lo, 0, v2
	s_delay_alu instid0(VALU_DEP_2) | instskip(SKIP_1) | instid1(VALU_DEP_1)
	v_sub_nc_u32_e32 v7, 0x3f1, v6
	v_cndmask_b32_e64 v2, 0, 1, vcc_lo
	v_and_or_b32 v2, 0xffe, v3, v2
	s_delay_alu instid0(VALU_DEP_3) | instskip(NEXT) | instid1(VALU_DEP_2)
	v_med3_i32 v3, v7, 0, 13
	v_or_b32_e32 v7, 0x1000, v2
	s_delay_alu instid0(VALU_DEP_1) | instskip(NEXT) | instid1(VALU_DEP_1)
	v_lshrrev_b32_e32 v9, v3, v7
	v_lshlrev_b32_e32 v3, v3, v9
	s_delay_alu instid0(VALU_DEP_1) | instskip(SKIP_1) | instid1(VALU_DEP_1)
	v_cmp_ne_u32_e32 vcc_lo, v3, v7
	v_cndmask_b32_e64 v3, 0, 1, vcc_lo
	v_or_b32_e32 v3, v9, v3
	v_add_nc_u32_e32 v6, 0xfffffc10, v6
	s_delay_alu instid0(VALU_DEP_1) | instskip(SKIP_1) | instid1(VALU_DEP_2)
	v_lshl_or_b32 v7, v6, 12, v2
	v_cmp_gt_i32_e32 vcc_lo, 1, v6
	v_cndmask_b32_e32 v3, v7, v3, vcc_lo
	s_delay_alu instid0(VALU_DEP_1) | instskip(NEXT) | instid1(VALU_DEP_1)
	v_dual_lshrrev_b32 v3, 2, v3 :: v_dual_bitop2_b32 v7, 7, v3 bitop3:0x40
	v_cmp_lt_i32_e32 vcc_lo, 5, v7
	v_cndmask_b32_e64 v9, 0, 1, vcc_lo
	v_cmp_eq_u32_e32 vcc_lo, 3, v7
	v_cndmask_b32_e64 v7, 0, 1, vcc_lo
	v_cmp_ne_u32_e32 vcc_lo, 0, v2
	s_delay_alu instid0(VALU_DEP_2) | instskip(SKIP_1) | instid1(VALU_DEP_1)
	v_or_b32_e32 v7, v7, v9
	v_mov_b32_e32 v9, 0x7e00
	v_dual_cndmask_b32 v2, 0x7c00, v9 :: v_dual_add_nc_u32 v3, v3, v7
	v_cmp_gt_i32_e32 vcc_lo, 31, v6
	s_delay_alu instid0(VALU_DEP_2) | instskip(SKIP_1) | instid1(VALU_DEP_2)
	v_cndmask_b32_e32 v3, 0x7c00, v3, vcc_lo
	v_cmp_eq_u32_e32 vcc_lo, 0x40f, v6
	v_dual_cndmask_b32 v2, v3, v2 :: v_dual_lshrrev_b32 v3, 16, v1
	s_delay_alu instid0(VALU_DEP_1)
	v_and_or_b32 v2, 0x8000, v3, v2
	global_store_b16 v[4:5], v2, off
.LBB135_829:
	s_mov_b32 s50, 0
.LBB135_830:
	s_delay_alu instid0(SALU_CYCLE_1)
	s_and_not1_b32 vcc_lo, exec_lo, s50
	s_cbranch_vccnz .LBB135_846
; %bb.831:
	s_cmp_lt_i32 s31, 2
	s_mov_b32 s50, -1
	s_cbranch_scc1 .LBB135_841
; %bb.832:
	s_cmp_lt_i32 s31, 3
	s_cbranch_scc1 .LBB135_838
; %bb.833:
	s_cmp_gt_i32 s31, 3
	s_cbranch_scc0 .LBB135_835
; %bb.834:
	s_wait_xcnt 0x0
	s_delay_alu instid0(VALU_DEP_3) | instskip(SKIP_1) | instid1(VALU_DEP_1)
	v_trunc_f64_e32 v[2:3], v[0:1]
	s_mov_b32 s50, 0
	v_ldexp_f64 v[6:7], v[2:3], 0xffffffe0
	s_delay_alu instid0(VALU_DEP_1) | instskip(NEXT) | instid1(VALU_DEP_1)
	v_floor_f64_e32 v[6:7], v[6:7]
	v_fmamk_f64 v[2:3], v[6:7], 0xc1f00000, v[2:3]
	v_cvt_i32_f64_e32 v7, v[6:7]
	s_delay_alu instid0(VALU_DEP_2)
	v_cvt_u32_f64_e32 v6, v[2:3]
	global_store_b64 v[4:5], v[6:7], off
.LBB135_835:
	s_and_not1_b32 vcc_lo, exec_lo, s50
	s_cbranch_vccnz .LBB135_837
; %bb.836:
	s_wait_xcnt 0x0
	s_delay_alu instid0(VALU_DEP_3)
	v_cvt_i32_f64_e32 v2, v[0:1]
	global_store_b32 v[4:5], v2, off
.LBB135_837:
	s_mov_b32 s50, 0
.LBB135_838:
	s_delay_alu instid0(SALU_CYCLE_1)
	s_and_not1_b32 vcc_lo, exec_lo, s50
	s_cbranch_vccnz .LBB135_840
; %bb.839:
	s_wait_xcnt 0x0
	s_delay_alu instid0(VALU_DEP_3)
	v_cvt_i32_f64_e32 v2, v[0:1]
	global_store_b16 v[4:5], v2, off
.LBB135_840:
	s_mov_b32 s50, 0
.LBB135_841:
	s_delay_alu instid0(SALU_CYCLE_1)
	s_and_not1_b32 vcc_lo, exec_lo, s50
	s_cbranch_vccnz .LBB135_846
; %bb.842:
	s_cmp_gt_i32 s31, 0
	s_mov_b32 s31, -1
	s_cbranch_scc0 .LBB135_844
; %bb.843:
	s_wait_xcnt 0x0
	s_delay_alu instid0(VALU_DEP_3)
	v_cvt_i32_f64_e32 v2, v[0:1]
	s_mov_b32 s31, 0
	global_store_b8 v[4:5], v2, off
.LBB135_844:
	s_and_not1_b32 vcc_lo, exec_lo, s31
	s_cbranch_vccnz .LBB135_846
; %bb.845:
	s_wait_xcnt 0x0
	s_delay_alu instid0(VALU_DEP_3) | instskip(NEXT) | instid1(VALU_DEP_1)
	v_trunc_f64_e32 v[0:1], v[0:1]
	v_ldexp_f64 v[2:3], v[0:1], 0xffffffe0
	s_delay_alu instid0(VALU_DEP_1) | instskip(NEXT) | instid1(VALU_DEP_1)
	v_floor_f64_e32 v[2:3], v[2:3]
	v_fmamk_f64 v[0:1], v[2:3], 0xc1f00000, v[0:1]
	s_delay_alu instid0(VALU_DEP_1)
	v_cvt_u32_f64_e32 v0, v[0:1]
	global_store_b8 v[4:5], v0, off
.LBB135_846:
	s_mov_b32 s51, -1
.LBB135_847:
	s_delay_alu instid0(SALU_CYCLE_1)
	s_and_not1_b32 vcc_lo, exec_lo, s51
	s_cbranch_vccnz .LBB135_870
; %bb.848:
	v_add_nc_u32_e32 v8, 0x80, v8
	s_mov_b32 s31, -1
.LBB135_849:
	s_and_not1_b32 s50, s45, exec_lo
	s_and_b32 s0, s0, exec_lo
	s_and_not1_b32 s52, s46, exec_lo
	s_and_b32 s30, s30, exec_lo
	s_or_b32 s51, s50, s0
	s_or_b32 s52, s52, s30
	s_and_not1_b32 s0, s47, exec_lo
	s_and_b32 s28, s28, exec_lo
	s_and_not1_b32 s30, s48, exec_lo
	s_and_b32 s29, s29, exec_lo
	s_or_b32 s53, s0, s28
	s_or_b32 s50, s30, s29
	s_or_not1_b32 s28, s31, exec_lo
.LBB135_850:
	s_wait_xcnt 0x0
	s_or_b32 exec_lo, exec_lo, s54
	s_mov_b32 s0, 0
                                        ; implicit-def: $vgpr4
                                        ; implicit-def: $vgpr0
                                        ; implicit-def: $vgpr10
	s_and_saveexec_b32 s54, s28
	s_cbranch_execz .LBB135_1318
; %bb.851:
	s_mov_b32 s29, -1
	s_mov_b32 s0, s50
	s_mov_b32 s57, s53
	;; [unrolled: 1-line block ×4, first 2 shown]
	s_mov_b32 s55, exec_lo
	v_cmpx_gt_i32_e64 s43, v8
	s_cbranch_execz .LBB135_1282
; %bb.852:
	s_and_not1_b32 vcc_lo, exec_lo, s35
	s_cbranch_vccnz .LBB135_858
; %bb.853:
	s_and_not1_b32 vcc_lo, exec_lo, s44
	s_cbranch_vccnz .LBB135_859
; %bb.854:
	s_wait_loadcnt 0x0
	v_dual_mov_b32 v10, 0 :: v_dual_mov_b32 v1, v8
	v_dual_mov_b32 v0, 0 :: v_dual_mov_b32 v4, 0
	s_add_co_i32 s0, s42, 1
	s_mov_b64 s[28:29], 0xffffffffffffffe0
	s_and_b32 s0, s0, 30
	s_add_nc_u64 s[28:29], s[2:3], s[28:29]
	s_mov_b64 s[30:31], s[2:3]
.LBB135_855:                            ; =>This Inner Loop Header: Depth=1
	s_clause 0x1
	s_load_b128 s[56:59], s[30:31], 0x4
	s_load_b64 s[60:61], s[30:31], 0x14
	s_load_b32 s62, s[28:29], 0xe4
	s_add_co_i32 s0, s0, -2
	s_wait_xcnt 0x0
	s_add_nc_u64 s[30:31], s[30:31], 24
	s_cmp_eq_u32 s0, 0
	s_wait_kmcnt 0x0
	v_mul_hi_u32 v2, s57, v1
	s_delay_alu instid0(VALU_DEP_1) | instskip(NEXT) | instid1(VALU_DEP_1)
	v_add_nc_u32_e32 v2, v1, v2
	v_lshrrev_b32_e32 v2, s58, v2
	s_delay_alu instid0(VALU_DEP_1) | instskip(SKIP_2) | instid1(VALU_DEP_1)
	v_mul_hi_u32 v3, s60, v2
	v_mul_lo_u32 v5, v2, s56
	s_load_b96 s[56:58], s[28:29], 0xec
	v_dual_add_nc_u32 v3, v2, v3 :: v_dual_sub_nc_u32 v5, v1, v5
	s_delay_alu instid0(VALU_DEP_1) | instskip(SKIP_1) | instid1(VALU_DEP_2)
	v_lshrrev_b32_e32 v1, s61, v3
	s_load_b64 s[60:61], s[28:29], 0xfc
	v_mad_u32 v6, v5, s62, v10
	s_wait_xcnt 0x0
	s_add_nc_u64 s[28:29], s[28:29], 32
	v_mul_lo_u32 v3, v1, s59
	s_wait_kmcnt 0x0
	v_mad_u32 v4, v5, s57, v4
	v_mad_u32 v0, v5, s56, v0
	s_delay_alu instid0(VALU_DEP_3) | instskip(NEXT) | instid1(VALU_DEP_1)
	v_sub_nc_u32_e32 v2, v2, v3
	v_mad_u32 v10, v2, s58, v6
	s_delay_alu instid0(VALU_DEP_4) | instskip(NEXT) | instid1(VALU_DEP_4)
	v_mad_u32 v4, v2, s61, v4
	v_mad_u32 v0, v2, s60, v0
	s_cbranch_scc0 .LBB135_855
; %bb.856:
	s_bitcmp1_b32 s42, 0
	s_cselect_b32 s0, -1, 0
	s_delay_alu instid0(SALU_CYCLE_1)
	s_and_b32 vcc_lo, exec_lo, s0
	s_cbranch_vccnz .LBB135_860
; %bb.857:
	s_load_b96 s[56:58], s[30:31], 0x4
	s_load_b32 s0, s[28:29], 0xe4
	s_wait_xcnt 0x0
	s_load_b64 s[30:31], s[28:29], 0xec
	s_wait_kmcnt 0x0
	v_mul_hi_u32 v2, s57, v1
	s_delay_alu instid0(VALU_DEP_1) | instskip(NEXT) | instid1(VALU_DEP_1)
	v_add_nc_u32_e32 v2, v1, v2
	v_lshrrev_b32_e32 v2, s58, v2
	s_delay_alu instid0(VALU_DEP_1) | instskip(NEXT) | instid1(VALU_DEP_1)
	v_mul_lo_u32 v2, v2, s56
	v_sub_nc_u32_e32 v1, v1, v2
	s_delay_alu instid0(VALU_DEP_1)
	v_mad_u32 v10, v1, s0, v10
	v_mad_u32 v0, v1, s30, v0
	;; [unrolled: 1-line block ×3, first 2 shown]
	s_branch .LBB135_860
.LBB135_858:
	s_mov_b32 s0, -1
                                        ; implicit-def: $vgpr4
                                        ; implicit-def: $vgpr0
                                        ; implicit-def: $vgpr10
	s_branch .LBB135_861
.LBB135_859:
	s_wait_loadcnt 0x0
	v_dual_mov_b32 v4, 0 :: v_dual_mov_b32 v0, 0
	v_mov_b32_e32 v10, 0
.LBB135_860:
	s_mov_b32 s0, 0
.LBB135_861:
	s_delay_alu instid0(SALU_CYCLE_1)
	s_and_not1_b32 vcc_lo, exec_lo, s0
	s_cbranch_vccnz .LBB135_864
; %bb.862:
	v_mov_b32_e32 v9, 0
	s_and_not1_b32 vcc_lo, exec_lo, s41
	s_wait_loadcnt 0x0
	s_delay_alu instid0(VALU_DEP_1) | instskip(NEXT) | instid1(VALU_DEP_1)
	v_mul_u64_e32 v[0:1], s[22:23], v[8:9]
	v_add_nc_u32_e32 v0, v8, v1
	s_delay_alu instid0(VALU_DEP_1) | instskip(NEXT) | instid1(VALU_DEP_1)
	v_lshrrev_b32_e32 v2, s14, v0
	v_mul_lo_u32 v0, v2, s12
	s_delay_alu instid0(VALU_DEP_1) | instskip(NEXT) | instid1(VALU_DEP_1)
	v_sub_nc_u32_e32 v0, v8, v0
	v_mul_lo_u32 v10, v0, s40
	v_mul_lo_u32 v4, v0, s17
	;; [unrolled: 1-line block ×3, first 2 shown]
	s_cbranch_vccnz .LBB135_864
; %bb.863:
	v_mov_b32_e32 v3, v9
	s_delay_alu instid0(VALU_DEP_1) | instskip(NEXT) | instid1(VALU_DEP_1)
	v_mul_u64_e32 v[6:7], s[26:27], v[2:3]
	v_add_nc_u32_e32 v1, v2, v7
	s_delay_alu instid0(VALU_DEP_1) | instskip(NEXT) | instid1(VALU_DEP_1)
	v_lshrrev_b32_e32 v1, s1, v1
	v_mul_lo_u32 v1, v1, s15
	s_delay_alu instid0(VALU_DEP_1) | instskip(NEXT) | instid1(VALU_DEP_1)
	v_sub_nc_u32_e32 v1, v2, v1
	v_mad_u32 v10, v1, s18, v10
	v_mad_u32 v0, v1, s24, v0
	;; [unrolled: 1-line block ×3, first 2 shown]
.LBB135_864:
	s_and_b32 s28, s39, 0xff
	s_delay_alu instid0(SALU_CYCLE_1)
	s_cmp_lt_i32 s28, 23
	s_cbranch_scc1 .LBB135_868
; %bb.865:
	s_and_b32 s30, 0xffff, s28
	s_delay_alu instid0(SALU_CYCLE_1)
	s_cmp_gt_i32 s30, 43
	s_cbranch_scc0 .LBB135_869
; %bb.866:
	s_cmp_gt_i32 s30, 45
	s_cbranch_scc0 .LBB135_871
; %bb.867:
	s_cmp_eq_u32 s30, 46
	s_mov_b32 s31, 0
	s_cselect_b32 s0, -1, 0
	s_or_b32 s29, s50, exec_lo
	s_branch .LBB135_872
.LBB135_868:
	s_mov_b32 s30, -1
	s_mov_b32 s0, 0
	s_mov_b32 s29, s50
	s_branch .LBB135_878
.LBB135_869:
	s_mov_b32 s31, -1
	s_mov_b32 s0, 0
	s_mov_b32 s29, s50
	s_branch .LBB135_875
.LBB135_870:
	s_mov_b32 s31, 0
	s_branch .LBB135_462
.LBB135_871:
	s_mov_b32 s31, -1
	s_mov_b32 s0, 0
	s_mov_b32 s29, s50
.LBB135_872:
	s_and_not1_b32 vcc_lo, exec_lo, s31
	s_cbranch_vccnz .LBB135_874
; %bb.873:
	s_cmp_eq_u32 s30, 44
	s_cselect_b32 s0, -1, 0
	s_cmp_lg_u32 s30, 44
	s_cselect_b32 s31, -1, 0
	s_and_not1_b32 s29, s29, exec_lo
	s_and_b32 s31, s31, exec_lo
	s_delay_alu instid0(SALU_CYCLE_1)
	s_or_b32 s29, s29, s31
.LBB135_874:
	s_mov_b32 s31, 0
.LBB135_875:
	s_delay_alu instid0(SALU_CYCLE_1)
	s_and_b32 vcc_lo, exec_lo, s31
	s_cbranch_vccz .LBB135_877
; %bb.876:
	s_cmp_lt_i32 s30, 30
	s_cselect_b32 s0, -1, 0
	s_cmp_gt_i32 s30, 29
	s_cselect_b32 s30, -1, 0
	s_and_not1_b32 s29, s29, exec_lo
	s_and_b32 s30, s30, exec_lo
	s_delay_alu instid0(SALU_CYCLE_1)
	s_or_b32 s29, s29, s30
.LBB135_877:
	s_mov_b32 s30, 0
.LBB135_878:
	s_delay_alu instid0(SALU_CYCLE_1)
	s_and_b32 vcc_lo, exec_lo, s30
	s_cbranch_vccz .LBB135_883
; %bb.879:
	s_and_b32 s28, 0xffff, s28
	s_mov_b32 s30, -1
	s_cmp_gt_i32 s28, 14
	s_cbranch_scc0 .LBB135_881
; %bb.880:
	s_cmp_eq_u32 s28, 15
	s_cselect_b32 s0, -1, 0
	s_cmp_lg_u32 s28, 15
	s_cselect_b32 s30, -1, 0
	s_and_not1_b32 s29, s29, exec_lo
	s_and_b32 s31, s30, exec_lo
	s_mov_b32 s30, 0
	s_or_b32 s29, s29, s31
.LBB135_881:
	s_and_not1_b32 vcc_lo, exec_lo, s30
	s_cbranch_vccnz .LBB135_883
; %bb.882:
	s_cmp_lt_i32 s28, 12
	s_cselect_b32 s0, -1, 0
	s_cmp_gt_i32 s28, 11
	s_cselect_b32 s28, -1, 0
	s_and_not1_b32 s29, s29, exec_lo
	s_and_b32 s28, s28, exec_lo
	s_delay_alu instid0(SALU_CYCLE_1)
	s_or_b32 s29, s29, s28
.LBB135_883:
	s_and_b32 vcc_lo, exec_lo, s0
	s_cbranch_vccz .LBB135_891
; %bb.884:
	s_wait_loadcnt 0x0
	v_mov_b32_e32 v1, 0
	s_and_b32 s0, s38, 0xff
	s_delay_alu instid0(SALU_CYCLE_1) | instskip(NEXT) | instid1(VALU_DEP_1)
	s_cmp_lt_i32 s0, 11
	v_add_nc_u64_e32 v[6:7], s[8:9], v[0:1]
	s_cbranch_scc1 .LBB135_893
; %bb.885:
	s_and_b32 s29, 0xffff, s0
	s_delay_alu instid0(SALU_CYCLE_1)
	s_cmp_gt_i32 s29, 25
	s_cbranch_scc0 .LBB135_894
; %bb.886:
	s_cmp_gt_i32 s29, 28
	s_cbranch_scc0 .LBB135_895
; %bb.887:
	;; [unrolled: 3-line block ×4, first 2 shown]
	s_cmp_eq_u32 s29, 46
	s_mov_b32 s31, 0
	s_cbranch_scc0 .LBB135_898
; %bb.890:
	global_load_b32 v0, v[6:7], off
	s_mov_b32 s30, -1
	s_mov_b32 s28, 0
	s_wait_loadcnt 0x0
	v_lshlrev_b32_e32 v1, 16, v0
	v_and_b32_e32 v2, 0xffff0000, v0
	s_delay_alu instid0(VALU_DEP_2) | instskip(NEXT) | instid1(VALU_DEP_2)
	v_cvt_f64_f32_e32 v[0:1], v1
	v_cvt_f64_f32_e32 v[2:3], v2
	s_branch .LBB135_900
.LBB135_891:
	s_mov_b32 s31, 0
	s_mov_b32 s0, s51
	;; [unrolled: 1-line block ×4, first 2 shown]
.LBB135_892:
                                        ; implicit-def: $vgpr8
	s_branch .LBB135_1281
.LBB135_893:
	s_mov_b32 s29, -1
	s_mov_b32 s30, 0
	s_mov_b32 s28, s53
                                        ; implicit-def: $vgpr2_vgpr3
	s_branch .LBB135_964
.LBB135_894:
	s_mov_b32 s31, -1
	s_mov_b32 s30, 0
	s_mov_b32 s28, s53
                                        ; implicit-def: $vgpr2_vgpr3
	s_branch .LBB135_929
.LBB135_895:
	s_mov_b32 s31, -1
	s_mov_b32 s30, 0
	s_mov_b32 s28, s53
                                        ; implicit-def: $vgpr2_vgpr3
	s_branch .LBB135_912
.LBB135_896:
	s_mov_b32 s31, -1
	s_mov_b32 s30, 0
	s_mov_b32 s28, s53
                                        ; implicit-def: $vgpr2_vgpr3
	s_branch .LBB135_906
.LBB135_897:
	s_mov_b32 s31, -1
	s_mov_b32 s30, 0
	s_mov_b32 s28, s53
	s_branch .LBB135_899
.LBB135_898:
	s_mov_b32 s28, -1
	s_mov_b32 s30, 0
.LBB135_899:
                                        ; implicit-def: $vgpr2_vgpr3
.LBB135_900:
	s_and_b32 vcc_lo, exec_lo, s31
	s_cbranch_vccz .LBB135_905
; %bb.901:
	s_cmp_eq_u32 s29, 44
	s_cbranch_scc0 .LBB135_903
; %bb.902:
	global_load_u8 v2, v[6:7], off
	s_mov_b32 s28, 0
	s_mov_b32 s30, -1
	s_wait_loadcnt 0x0
	v_cmp_ne_u32_e32 vcc_lo, 0xff, v2
	v_lshlrev_b32_e32 v0, 23, v2
	s_delay_alu instid0(VALU_DEP_1) | instskip(NEXT) | instid1(VALU_DEP_1)
	v_cvt_f64_f32_e32 v[0:1], v0
	v_cndmask_b32_e32 v0, 0x20000000, v0, vcc_lo
	s_delay_alu instid0(VALU_DEP_2) | instskip(SKIP_1) | instid1(VALU_DEP_2)
	v_cndmask_b32_e32 v1, 0x7ff80000, v1, vcc_lo
	v_cmp_ne_u32_e32 vcc_lo, 0, v2
	v_cndmask_b32_e32 v1, 0x38000000, v1, vcc_lo
	s_delay_alu instid0(VALU_DEP_4)
	v_cndmask_b32_e32 v0, 0, v0, vcc_lo
	s_branch .LBB135_904
.LBB135_903:
	s_mov_b32 s28, -1
                                        ; implicit-def: $vgpr0_vgpr1
.LBB135_904:
	v_mov_b64_e32 v[2:3], 0
.LBB135_905:
	s_mov_b32 s31, 0
.LBB135_906:
	s_delay_alu instid0(SALU_CYCLE_1)
	s_and_b32 vcc_lo, exec_lo, s31
	s_cbranch_vccz .LBB135_911
; %bb.907:
	s_cmp_eq_u32 s29, 29
	s_cbranch_scc0 .LBB135_909
; %bb.908:
	global_load_b64 v[0:1], v[6:7], off
	s_mov_b32 s30, -1
	s_mov_b32 s28, 0
	s_wait_loadcnt 0x0
	v_cvt_f64_u32_e32 v[2:3], v1
	v_cvt_f64_u32_e32 v[0:1], v0
	s_delay_alu instid0(VALU_DEP_2) | instskip(NEXT) | instid1(VALU_DEP_1)
	v_ldexp_f64 v[2:3], v[2:3], 32
	v_add_f64_e32 v[0:1], v[2:3], v[0:1]
	s_branch .LBB135_910
.LBB135_909:
	s_mov_b32 s28, -1
                                        ; implicit-def: $vgpr0_vgpr1
.LBB135_910:
	v_mov_b64_e32 v[2:3], 0
.LBB135_911:
	s_mov_b32 s31, 0
.LBB135_912:
	s_delay_alu instid0(SALU_CYCLE_1)
	s_and_b32 vcc_lo, exec_lo, s31
	s_cbranch_vccz .LBB135_928
; %bb.913:
	s_cmp_lt_i32 s29, 27
	s_cbranch_scc1 .LBB135_916
; %bb.914:
	s_cmp_gt_i32 s29, 27
	s_cbranch_scc0 .LBB135_917
; %bb.915:
	global_load_b32 v0, v[6:7], off
	s_mov_b32 s30, 0
	s_wait_loadcnt 0x0
	v_cvt_f64_u32_e32 v[0:1], v0
	s_branch .LBB135_918
.LBB135_916:
	s_mov_b32 s30, -1
                                        ; implicit-def: $vgpr0_vgpr1
	s_branch .LBB135_921
.LBB135_917:
	s_mov_b32 s30, -1
                                        ; implicit-def: $vgpr0_vgpr1
.LBB135_918:
	s_delay_alu instid0(SALU_CYCLE_1)
	s_and_not1_b32 vcc_lo, exec_lo, s30
	s_cbranch_vccnz .LBB135_920
; %bb.919:
	global_load_u16 v0, v[6:7], off
	s_wait_loadcnt 0x0
	v_cvt_f64_u32_e32 v[0:1], v0
.LBB135_920:
	s_mov_b32 s30, 0
.LBB135_921:
	s_delay_alu instid0(SALU_CYCLE_1)
	s_and_not1_b32 vcc_lo, exec_lo, s30
	s_cbranch_vccnz .LBB135_927
; %bb.922:
	global_load_u8 v2, v[6:7], off
	s_mov_b32 s30, 0
	s_mov_b32 s31, exec_lo
	s_wait_loadcnt 0x0
	v_cmpx_lt_i16_e32 0x7f, v2
	s_xor_b32 s31, exec_lo, s31
	s_cbranch_execnz .LBB135_940
; %bb.923:
	s_or_saveexec_b32 s31, s31
	v_mov_b64_e32 v[0:1], 0x7ff8000020000000
	s_xor_b32 exec_lo, exec_lo, s31
	s_cbranch_execnz .LBB135_943
.LBB135_924:
	s_or_b32 exec_lo, exec_lo, s31
	s_and_saveexec_b32 s31, s30
	s_cbranch_execz .LBB135_926
.LBB135_925:
	v_and_b32_e32 v0, 0xffff, v2
	s_delay_alu instid0(VALU_DEP_1) | instskip(SKIP_1) | instid1(VALU_DEP_2)
	v_and_b32_e32 v1, 7, v0
	v_bfe_u32 v9, v0, 3, 4
	v_clz_i32_u32_e32 v3, v1
	s_delay_alu instid0(VALU_DEP_2) | instskip(NEXT) | instid1(VALU_DEP_2)
	v_cmp_eq_u32_e32 vcc_lo, 0, v9
	v_min_u32_e32 v3, 32, v3
	s_delay_alu instid0(VALU_DEP_1) | instskip(NEXT) | instid1(VALU_DEP_1)
	v_subrev_nc_u32_e32 v5, 28, v3
	v_dual_lshlrev_b32 v0, v5, v0 :: v_dual_sub_nc_u32 v3, 29, v3
	s_delay_alu instid0(VALU_DEP_1) | instskip(NEXT) | instid1(VALU_DEP_2)
	v_dual_lshlrev_b32 v2, 24, v2 :: v_dual_bitop2_b32 v0, 7, v0 bitop3:0x40
	v_cndmask_b32_e32 v3, v9, v3, vcc_lo
	s_delay_alu instid0(VALU_DEP_2) | instskip(NEXT) | instid1(VALU_DEP_3)
	v_cndmask_b32_e32 v0, v1, v0, vcc_lo
	v_and_b32_e32 v1, 0x80000000, v2
	s_delay_alu instid0(VALU_DEP_3) | instskip(NEXT) | instid1(VALU_DEP_3)
	v_lshl_add_u32 v2, v3, 23, 0x3b800000
	v_lshlrev_b32_e32 v0, 20, v0
	s_delay_alu instid0(VALU_DEP_1) | instskip(NEXT) | instid1(VALU_DEP_1)
	v_or3_b32 v0, v1, v2, v0
	v_cvt_f64_f32_e32 v[0:1], v0
.LBB135_926:
	s_or_b32 exec_lo, exec_lo, s31
.LBB135_927:
	v_mov_b64_e32 v[2:3], 0
	s_mov_b32 s30, -1
.LBB135_928:
	s_mov_b32 s31, 0
.LBB135_929:
	s_delay_alu instid0(SALU_CYCLE_1)
	s_and_b32 vcc_lo, exec_lo, s31
	s_cbranch_vccz .LBB135_963
; %bb.930:
	s_cmp_gt_i32 s29, 22
	s_cbranch_scc0 .LBB135_938
; %bb.931:
	s_cmp_lt_i32 s29, 24
	s_cbranch_scc1 .LBB135_939
; %bb.932:
	s_cmp_gt_i32 s29, 24
	s_cbranch_scc0 .LBB135_944
; %bb.933:
	global_load_u8 v2, v[6:7], off
	s_mov_b32 s30, 0
	s_mov_b32 s31, exec_lo
	s_wait_loadcnt 0x0
	v_cmpx_lt_i16_e32 0x7f, v2
	s_xor_b32 s31, exec_lo, s31
	s_cbranch_execnz .LBB135_1027
; %bb.934:
	s_or_saveexec_b32 s31, s31
	v_mov_b64_e32 v[0:1], 0x7ff8000020000000
	s_xor_b32 exec_lo, exec_lo, s31
	s_cbranch_execnz .LBB135_1030
.LBB135_935:
	s_or_b32 exec_lo, exec_lo, s31
	s_and_saveexec_b32 s31, s30
	s_cbranch_execz .LBB135_937
.LBB135_936:
	v_and_b32_e32 v0, 0xffff, v2
	s_delay_alu instid0(VALU_DEP_1) | instskip(SKIP_1) | instid1(VALU_DEP_2)
	v_and_b32_e32 v1, 3, v0
	v_bfe_u32 v9, v0, 2, 5
	v_clz_i32_u32_e32 v3, v1
	s_delay_alu instid0(VALU_DEP_2) | instskip(NEXT) | instid1(VALU_DEP_2)
	v_cmp_eq_u32_e32 vcc_lo, 0, v9
	v_min_u32_e32 v3, 32, v3
	s_delay_alu instid0(VALU_DEP_1) | instskip(NEXT) | instid1(VALU_DEP_1)
	v_subrev_nc_u32_e32 v5, 29, v3
	v_dual_lshlrev_b32 v0, v5, v0 :: v_dual_sub_nc_u32 v3, 30, v3
	s_delay_alu instid0(VALU_DEP_1) | instskip(NEXT) | instid1(VALU_DEP_2)
	v_dual_lshlrev_b32 v2, 24, v2 :: v_dual_bitop2_b32 v0, 3, v0 bitop3:0x40
	v_cndmask_b32_e32 v3, v9, v3, vcc_lo
	s_delay_alu instid0(VALU_DEP_2) | instskip(NEXT) | instid1(VALU_DEP_3)
	v_cndmask_b32_e32 v0, v1, v0, vcc_lo
	v_and_b32_e32 v1, 0x80000000, v2
	s_delay_alu instid0(VALU_DEP_3) | instskip(NEXT) | instid1(VALU_DEP_3)
	v_lshl_add_u32 v2, v3, 23, 0x37800000
	v_lshlrev_b32_e32 v0, 21, v0
	s_delay_alu instid0(VALU_DEP_1) | instskip(NEXT) | instid1(VALU_DEP_1)
	v_or3_b32 v0, v1, v2, v0
	v_cvt_f64_f32_e32 v[0:1], v0
.LBB135_937:
	s_or_b32 exec_lo, exec_lo, s31
	s_mov_b32 s30, 0
	s_branch .LBB135_945
.LBB135_938:
	s_mov_b32 s31, -1
                                        ; implicit-def: $vgpr0_vgpr1
	s_branch .LBB135_951
.LBB135_939:
	s_mov_b32 s30, -1
                                        ; implicit-def: $vgpr0_vgpr1
	s_branch .LBB135_948
.LBB135_940:
	s_mov_b32 s30, -1
	s_mov_b32 s56, exec_lo
	v_cmpx_eq_u16_e32 0x80, v2
; %bb.941:
	s_xor_b32 s30, exec_lo, -1
; %bb.942:
	s_or_b32 exec_lo, exec_lo, s56
	s_delay_alu instid0(SALU_CYCLE_1)
	s_and_b32 s30, s30, exec_lo
	s_or_saveexec_b32 s31, s31
	v_mov_b64_e32 v[0:1], 0x7ff8000020000000
	s_xor_b32 exec_lo, exec_lo, s31
	s_cbranch_execz .LBB135_924
.LBB135_943:
	v_cmp_ne_u16_e32 vcc_lo, 0, v2
	v_mov_b64_e32 v[0:1], 0
	s_and_not1_b32 s30, s30, exec_lo
	s_and_b32 s56, vcc_lo, exec_lo
	s_delay_alu instid0(SALU_CYCLE_1)
	s_or_b32 s30, s30, s56
	s_or_b32 exec_lo, exec_lo, s31
	s_and_saveexec_b32 s31, s30
	s_cbranch_execnz .LBB135_925
	s_branch .LBB135_926
.LBB135_944:
	s_mov_b32 s30, -1
                                        ; implicit-def: $vgpr0_vgpr1
.LBB135_945:
	s_delay_alu instid0(SALU_CYCLE_1)
	s_and_b32 vcc_lo, exec_lo, s30
	s_cbranch_vccz .LBB135_947
; %bb.946:
	global_load_u8 v0, v[6:7], off
	s_wait_loadcnt 0x0
	v_lshlrev_b32_e32 v0, 24, v0
	s_delay_alu instid0(VALU_DEP_1) | instskip(NEXT) | instid1(VALU_DEP_1)
	v_and_b32_e32 v1, 0x7f000000, v0
	v_clz_i32_u32_e32 v2, v1
	v_add_nc_u32_e32 v5, 0x1000000, v1
	v_cmp_ne_u32_e32 vcc_lo, 0, v1
	s_delay_alu instid0(VALU_DEP_3) | instskip(NEXT) | instid1(VALU_DEP_1)
	v_min_u32_e32 v2, 32, v2
	v_sub_nc_u32_e64 v2, v2, 4 clamp
	s_delay_alu instid0(VALU_DEP_1) | instskip(NEXT) | instid1(VALU_DEP_1)
	v_dual_lshlrev_b32 v3, v2, v1 :: v_dual_lshlrev_b32 v2, 23, v2
	v_lshrrev_b32_e32 v3, 4, v3
	s_delay_alu instid0(VALU_DEP_1) | instskip(NEXT) | instid1(VALU_DEP_1)
	v_dual_sub_nc_u32 v2, v3, v2 :: v_dual_ashrrev_i32 v3, 8, v5
	v_add_nc_u32_e32 v2, 0x3c000000, v2
	s_delay_alu instid0(VALU_DEP_1) | instskip(NEXT) | instid1(VALU_DEP_1)
	v_and_or_b32 v2, 0x7f800000, v3, v2
	v_cndmask_b32_e32 v1, 0, v2, vcc_lo
	s_delay_alu instid0(VALU_DEP_1) | instskip(NEXT) | instid1(VALU_DEP_1)
	v_and_or_b32 v0, 0x80000000, v0, v1
	v_cvt_f64_f32_e32 v[0:1], v0
.LBB135_947:
	s_mov_b32 s30, 0
.LBB135_948:
	s_delay_alu instid0(SALU_CYCLE_1)
	s_and_not1_b32 vcc_lo, exec_lo, s30
	s_cbranch_vccnz .LBB135_950
; %bb.949:
	global_load_u8 v0, v[6:7], off
	s_wait_loadcnt 0x0
	v_lshlrev_b32_e32 v1, 25, v0
	v_lshlrev_b16 v0, 8, v0
	s_delay_alu instid0(VALU_DEP_1) | instskip(SKIP_1) | instid1(VALU_DEP_2)
	v_and_or_b32 v3, 0x7f00, v0, 0.5
	v_bfe_i32 v0, v0, 0, 16
	v_dual_add_f32 v3, -0.5, v3 :: v_dual_lshrrev_b32 v2, 4, v1
	v_cmp_gt_u32_e32 vcc_lo, 0x8000000, v1
	s_delay_alu instid0(VALU_DEP_2) | instskip(NEXT) | instid1(VALU_DEP_1)
	v_or_b32_e32 v2, 0x70000000, v2
	v_mul_f32_e32 v2, 0x7800000, v2
	s_delay_alu instid0(VALU_DEP_1) | instskip(NEXT) | instid1(VALU_DEP_1)
	v_cndmask_b32_e32 v1, v2, v3, vcc_lo
	v_and_or_b32 v0, 0x80000000, v0, v1
	s_delay_alu instid0(VALU_DEP_1)
	v_cvt_f64_f32_e32 v[0:1], v0
.LBB135_950:
	s_mov_b32 s31, 0
	s_mov_b32 s30, -1
.LBB135_951:
	s_and_not1_b32 vcc_lo, exec_lo, s31
	s_cbranch_vccnz .LBB135_962
; %bb.952:
	s_cmp_gt_i32 s29, 14
	s_cbranch_scc0 .LBB135_955
; %bb.953:
	s_cmp_eq_u32 s29, 15
	s_cbranch_scc0 .LBB135_956
; %bb.954:
	global_load_u16 v0, v[6:7], off
	s_mov_b32 s30, -1
	s_mov_b32 s28, 0
	s_wait_loadcnt 0x0
	v_lshlrev_b32_e32 v0, 16, v0
	s_delay_alu instid0(VALU_DEP_1)
	v_cvt_f64_f32_e32 v[0:1], v0
	s_branch .LBB135_957
.LBB135_955:
	s_mov_b32 s31, -1
                                        ; implicit-def: $vgpr0_vgpr1
	s_branch .LBB135_958
.LBB135_956:
	s_mov_b32 s28, -1
                                        ; implicit-def: $vgpr0_vgpr1
.LBB135_957:
	s_mov_b32 s31, 0
.LBB135_958:
	s_delay_alu instid0(SALU_CYCLE_1)
	s_and_b32 vcc_lo, exec_lo, s31
	s_cbranch_vccz .LBB135_962
; %bb.959:
	s_cmp_eq_u32 s29, 11
	s_cbranch_scc0 .LBB135_961
; %bb.960:
	global_load_u8 v0, v[6:7], off
	s_mov_b32 s28, 0
	s_mov_b32 s30, -1
	v_mov_b64_e32 v[2:3], 0
	s_wait_loadcnt 0x0
	v_cmp_ne_u16_e32 vcc_lo, 0, v0
	v_mov_b32_e32 v0, 0
	v_cndmask_b32_e64 v1, 0, 0x3ff00000, vcc_lo
	s_branch .LBB135_963
.LBB135_961:
	s_mov_b32 s28, -1
                                        ; implicit-def: $vgpr0_vgpr1
.LBB135_962:
	v_mov_b64_e32 v[2:3], 0
.LBB135_963:
	s_mov_b32 s29, 0
.LBB135_964:
	s_delay_alu instid0(SALU_CYCLE_1)
	s_and_b32 vcc_lo, exec_lo, s29
	s_cbranch_vccz .LBB135_1015
; %bb.965:
	s_and_b32 s0, 0xffff, s0
	s_delay_alu instid0(SALU_CYCLE_1)
	s_cmp_lt_i32 s0, 5
	s_cbranch_scc1 .LBB135_970
; %bb.966:
	s_cmp_lt_i32 s0, 8
	s_cbranch_scc1 .LBB135_971
; %bb.967:
	;; [unrolled: 3-line block ×3, first 2 shown]
	s_cmp_gt_i32 s0, 9
	s_cbranch_scc0 .LBB135_973
; %bb.969:
	global_load_b128 v[0:3], v[6:7], off
	s_mov_b32 s29, 0
	s_branch .LBB135_974
.LBB135_970:
	s_mov_b32 s29, -1
                                        ; implicit-def: $vgpr2_vgpr3
	s_branch .LBB135_993
.LBB135_971:
	s_mov_b32 s29, -1
                                        ; implicit-def: $vgpr2_vgpr3
	s_branch .LBB135_980
.LBB135_972:
	s_mov_b32 s29, -1
                                        ; implicit-def: $vgpr2_vgpr3
	s_branch .LBB135_977
.LBB135_973:
	s_mov_b32 s29, -1
                                        ; implicit-def: $vgpr2_vgpr3
.LBB135_974:
	s_delay_alu instid0(SALU_CYCLE_1)
	s_and_not1_b32 vcc_lo, exec_lo, s29
	s_cbranch_vccnz .LBB135_976
; %bb.975:
	s_wait_loadcnt 0x0
	global_load_b64 v[2:3], v[6:7], off
	s_wait_loadcnt 0x0
	v_cvt_f64_f32_e32 v[0:1], v2
	v_cvt_f64_f32_e32 v[2:3], v3
.LBB135_976:
	s_mov_b32 s29, 0
.LBB135_977:
	s_delay_alu instid0(SALU_CYCLE_1)
	s_and_not1_b32 vcc_lo, exec_lo, s29
	s_cbranch_vccnz .LBB135_979
; %bb.978:
	s_wait_loadcnt 0x0
	global_load_b32 v0, v[6:7], off
	s_wait_loadcnt 0x0
	v_lshrrev_b32_e32 v1, 16, v0
	v_cvt_f32_f16_e32 v0, v0
	s_delay_alu instid0(VALU_DEP_2) | instskip(NEXT) | instid1(VALU_DEP_2)
	v_cvt_f32_f16_e32 v2, v1
	v_cvt_f64_f32_e32 v[0:1], v0
	s_delay_alu instid0(VALU_DEP_2)
	v_cvt_f64_f32_e32 v[2:3], v2
.LBB135_979:
	s_mov_b32 s29, 0
.LBB135_980:
	s_delay_alu instid0(SALU_CYCLE_1)
	s_and_not1_b32 vcc_lo, exec_lo, s29
	s_cbranch_vccnz .LBB135_992
; %bb.981:
	s_cmp_lt_i32 s0, 6
	s_cbranch_scc1 .LBB135_984
; %bb.982:
	s_cmp_gt_i32 s0, 6
	s_cbranch_scc0 .LBB135_985
; %bb.983:
	s_wait_loadcnt 0x0
	global_load_b64 v[0:1], v[6:7], off
	s_mov_b32 s29, 0
	s_branch .LBB135_986
.LBB135_984:
	s_mov_b32 s29, -1
                                        ; implicit-def: $vgpr0_vgpr1
	s_branch .LBB135_989
.LBB135_985:
	s_mov_b32 s29, -1
                                        ; implicit-def: $vgpr0_vgpr1
.LBB135_986:
	s_delay_alu instid0(SALU_CYCLE_1)
	s_and_not1_b32 vcc_lo, exec_lo, s29
	s_cbranch_vccnz .LBB135_988
; %bb.987:
	s_wait_loadcnt 0x0
	global_load_b32 v0, v[6:7], off
	s_wait_loadcnt 0x0
	v_cvt_f64_f32_e32 v[0:1], v0
.LBB135_988:
	s_mov_b32 s29, 0
.LBB135_989:
	s_delay_alu instid0(SALU_CYCLE_1)
	s_and_not1_b32 vcc_lo, exec_lo, s29
	s_cbranch_vccnz .LBB135_991
; %bb.990:
	s_wait_loadcnt 0x0
	global_load_u16 v0, v[6:7], off
	s_wait_loadcnt 0x0
	v_cvt_f32_f16_e32 v0, v0
	s_delay_alu instid0(VALU_DEP_1)
	v_cvt_f64_f32_e32 v[0:1], v0
.LBB135_991:
	s_wait_loadcnt 0x0
	v_mov_b64_e32 v[2:3], 0
.LBB135_992:
	s_mov_b32 s29, 0
.LBB135_993:
	s_delay_alu instid0(SALU_CYCLE_1)
	s_and_not1_b32 vcc_lo, exec_lo, s29
	s_cbranch_vccnz .LBB135_1014
; %bb.994:
	s_cmp_lt_i32 s0, 2
	s_cbranch_scc1 .LBB135_998
; %bb.995:
	s_cmp_lt_i32 s0, 3
	s_cbranch_scc1 .LBB135_999
; %bb.996:
	s_cmp_gt_i32 s0, 3
	s_cbranch_scc0 .LBB135_1000
; %bb.997:
	s_wait_loadcnt 0x0
	global_load_b64 v[0:1], v[6:7], off
	s_mov_b32 s29, 0
	s_wait_loadcnt 0x0
	v_cvt_f64_i32_e32 v[2:3], v1
	v_cvt_f64_u32_e32 v[0:1], v0
	s_delay_alu instid0(VALU_DEP_2) | instskip(NEXT) | instid1(VALU_DEP_1)
	v_ldexp_f64 v[2:3], v[2:3], 32
	v_add_f64_e32 v[0:1], v[2:3], v[0:1]
	s_branch .LBB135_1001
.LBB135_998:
	s_mov_b32 s29, -1
                                        ; implicit-def: $vgpr0_vgpr1
	s_branch .LBB135_1007
.LBB135_999:
	s_mov_b32 s29, -1
                                        ; implicit-def: $vgpr0_vgpr1
	s_branch .LBB135_1004
.LBB135_1000:
	s_mov_b32 s29, -1
                                        ; implicit-def: $vgpr0_vgpr1
.LBB135_1001:
	s_delay_alu instid0(SALU_CYCLE_1)
	s_and_not1_b32 vcc_lo, exec_lo, s29
	s_cbranch_vccnz .LBB135_1003
; %bb.1002:
	s_wait_loadcnt 0x0
	global_load_b32 v0, v[6:7], off
	s_wait_loadcnt 0x0
	v_cvt_f64_i32_e32 v[0:1], v0
.LBB135_1003:
	s_mov_b32 s29, 0
.LBB135_1004:
	s_delay_alu instid0(SALU_CYCLE_1)
	s_and_not1_b32 vcc_lo, exec_lo, s29
	s_cbranch_vccnz .LBB135_1006
; %bb.1005:
	s_wait_loadcnt 0x0
	global_load_i16 v0, v[6:7], off
	s_wait_loadcnt 0x0
	v_cvt_f64_i32_e32 v[0:1], v0
.LBB135_1006:
	s_mov_b32 s29, 0
.LBB135_1007:
	s_delay_alu instid0(SALU_CYCLE_1)
	s_and_not1_b32 vcc_lo, exec_lo, s29
	s_cbranch_vccnz .LBB135_1013
; %bb.1008:
	s_cmp_gt_i32 s0, 0
	s_mov_b32 s0, 0
	s_cbranch_scc0 .LBB135_1010
; %bb.1009:
	s_wait_loadcnt 0x0
	global_load_i8 v0, v[6:7], off
	s_wait_loadcnt 0x0
	v_cvt_f64_i32_e32 v[0:1], v0
	s_branch .LBB135_1011
.LBB135_1010:
	s_mov_b32 s0, -1
                                        ; implicit-def: $vgpr0_vgpr1
.LBB135_1011:
	s_delay_alu instid0(SALU_CYCLE_1)
	s_and_not1_b32 vcc_lo, exec_lo, s0
	s_cbranch_vccnz .LBB135_1013
; %bb.1012:
	s_wait_loadcnt 0x0
	global_load_u8 v0, v[6:7], off
	s_wait_loadcnt 0x0
	v_cvt_f64_u32_e32 v[0:1], v0
.LBB135_1013:
	s_wait_loadcnt 0x0
	v_mov_b64_e32 v[2:3], 0
.LBB135_1014:
	s_mov_b32 s30, -1
.LBB135_1015:
	s_mov_b32 s29, 0
	s_mov_b32 s0, s51
	s_and_not1_b32 vcc_lo, exec_lo, s30
	s_mov_b32 s30, s52
	s_mov_b32 s31, 0
	s_cbranch_vccnz .LBB135_1281
; %bb.1016:
	v_mov_b32_e32 v5, 0
	s_and_b32 s0, 0xffff, s13
	s_delay_alu instid0(SALU_CYCLE_1) | instskip(NEXT) | instid1(VALU_DEP_1)
	s_cmp_lt_i32 s0, 11
	v_add_nc_u64_e32 v[12:13], s[10:11], v[4:5]
	s_cbranch_scc1 .LBB135_1023
; %bb.1017:
	s_cmp_gt_i32 s0, 25
	s_cbranch_scc0 .LBB135_1024
; %bb.1018:
	s_cmp_gt_i32 s0, 28
	s_cbranch_scc0 .LBB135_1025
	;; [unrolled: 3-line block ×4, first 2 shown]
; %bb.1021:
	s_cmp_eq_u32 s0, 46
	s_mov_b32 s56, 0
	s_cbranch_scc0 .LBB135_1036
; %bb.1022:
	global_load_b32 v4, v[12:13], off
	s_mov_b32 s31, -1
	s_mov_b32 s30, 0
	s_wait_loadcnt 0x0
	v_lshlrev_b32_e32 v5, 16, v4
	s_wait_xcnt 0x1
	v_and_b32_e32 v6, 0xffff0000, v4
	s_delay_alu instid0(VALU_DEP_2) | instskip(NEXT) | instid1(VALU_DEP_2)
	v_cvt_f64_f32_e32 v[4:5], v5
	v_cvt_f64_f32_e32 v[6:7], v6
	s_branch .LBB135_1038
.LBB135_1023:
	s_mov_b32 s56, -1
	s_mov_b32 s30, s52
                                        ; implicit-def: $vgpr6_vgpr7
	s_branch .LBB135_1102
.LBB135_1024:
	s_mov_b32 s56, -1
	s_mov_b32 s30, s52
                                        ; implicit-def: $vgpr6_vgpr7
	s_branch .LBB135_1067
.LBB135_1025:
	s_mov_b32 s56, -1
	s_mov_b32 s30, s52
                                        ; implicit-def: $vgpr6_vgpr7
	s_branch .LBB135_1050
.LBB135_1026:
	s_mov_b32 s56, -1
	s_mov_b32 s30, s52
                                        ; implicit-def: $vgpr6_vgpr7
	s_branch .LBB135_1044
.LBB135_1027:
	s_mov_b32 s30, -1
	s_mov_b32 s56, exec_lo
	v_cmpx_eq_u16_e32 0x80, v2
; %bb.1028:
	s_xor_b32 s30, exec_lo, -1
; %bb.1029:
	s_or_b32 exec_lo, exec_lo, s56
	s_delay_alu instid0(SALU_CYCLE_1)
	s_and_b32 s30, s30, exec_lo
	s_or_saveexec_b32 s31, s31
	v_mov_b64_e32 v[0:1], 0x7ff8000020000000
	s_xor_b32 exec_lo, exec_lo, s31
	s_cbranch_execz .LBB135_935
.LBB135_1030:
	v_cmp_ne_u16_e32 vcc_lo, 0, v2
	v_mov_b64_e32 v[0:1], 0
	s_and_not1_b32 s30, s30, exec_lo
	s_and_b32 s56, vcc_lo, exec_lo
	s_delay_alu instid0(SALU_CYCLE_1)
	s_or_b32 s30, s30, s56
	s_or_b32 exec_lo, exec_lo, s31
	s_and_saveexec_b32 s31, s30
	s_cbranch_execnz .LBB135_936
	s_branch .LBB135_937
.LBB135_1031:
	s_mov_b32 s56, -1
	s_mov_b32 s30, s52
	s_branch .LBB135_1037
.LBB135_1032:
	v_bfe_u32 v7, v6, 21, 1
	s_mov_b32 s47, exec_lo
	s_delay_alu instid0(VALU_DEP_1) | instskip(NEXT) | instid1(VALU_DEP_1)
	v_add3_u32 v7, v6, v7, 0x88fffff
	v_lshrrev_b32_e32 v7, 21, v7
	s_and_not1_saveexec_b32 s48, s48
	s_cbranch_execz .LBB135_346
.LBB135_1033:
	v_add_f32_e64 v7, 0x42800000, |v6|
	s_and_not1_b32 s47, s47, exec_lo
	s_delay_alu instid0(VALU_DEP_1) | instskip(NEXT) | instid1(VALU_DEP_1)
	v_and_b32_e32 v7, 0xff, v7
	v_cmp_ne_u32_e32 vcc_lo, 0, v7
	s_and_b32 s50, vcc_lo, exec_lo
	s_delay_alu instid0(SALU_CYCLE_1)
	s_or_b32 s47, s47, s50
	s_or_b32 exec_lo, exec_lo, s48
	v_mov_b32_e32 v9, 0
	s_and_saveexec_b32 s48, s47
	s_cbranch_execnz .LBB135_347
	s_branch .LBB135_348
.LBB135_1034:
	v_bfe_u32 v7, v6, 20, 1
	s_mov_b32 s52, exec_lo
	s_delay_alu instid0(VALU_DEP_1) | instskip(NEXT) | instid1(VALU_DEP_1)
	v_add3_u32 v7, v6, v7, 0x487ffff
	v_lshrrev_b32_e32 v7, 20, v7
	s_and_not1_saveexec_b32 s53, s53
	s_cbranch_execz .LBB135_760
.LBB135_1035:
	v_add_f32_e64 v7, 0x46000000, |v6|
	s_and_not1_b32 s52, s52, exec_lo
	s_delay_alu instid0(VALU_DEP_1) | instskip(NEXT) | instid1(VALU_DEP_1)
	v_and_b32_e32 v7, 0xff, v7
	v_cmp_ne_u32_e32 vcc_lo, 0, v7
	s_and_b32 s55, vcc_lo, exec_lo
	s_delay_alu instid0(SALU_CYCLE_1)
	s_or_b32 s52, s52, s55
	s_or_b32 exec_lo, exec_lo, s53
	v_mov_b32_e32 v9, 0
	s_and_saveexec_b32 s53, s52
	s_cbranch_execnz .LBB135_761
	s_branch .LBB135_762
.LBB135_1036:
	s_mov_b32 s30, -1
.LBB135_1037:
                                        ; implicit-def: $vgpr6_vgpr7
.LBB135_1038:
	s_and_b32 vcc_lo, exec_lo, s56
	s_cbranch_vccz .LBB135_1043
; %bb.1039:
	s_cmp_eq_u32 s0, 44
	s_cbranch_scc0 .LBB135_1041
; %bb.1040:
	global_load_u8 v6, v[12:13], off
	s_mov_b32 s30, 0
	s_mov_b32 s31, -1
	s_wait_loadcnt 0x0
	v_cmp_ne_u32_e32 vcc_lo, 0xff, v6
	v_lshlrev_b32_e32 v4, 23, v6
	s_delay_alu instid0(VALU_DEP_1) | instskip(NEXT) | instid1(VALU_DEP_1)
	v_cvt_f64_f32_e32 v[4:5], v4
	v_cndmask_b32_e32 v4, 0x20000000, v4, vcc_lo
	s_delay_alu instid0(VALU_DEP_2) | instskip(SKIP_1) | instid1(VALU_DEP_2)
	v_cndmask_b32_e32 v5, 0x7ff80000, v5, vcc_lo
	v_cmp_ne_u32_e32 vcc_lo, 0, v6
	v_cndmask_b32_e32 v5, 0x38000000, v5, vcc_lo
	s_delay_alu instid0(VALU_DEP_4)
	v_cndmask_b32_e32 v4, 0, v4, vcc_lo
	s_branch .LBB135_1042
.LBB135_1041:
	s_mov_b32 s30, -1
                                        ; implicit-def: $vgpr4_vgpr5
.LBB135_1042:
	s_wait_xcnt 0x0
	v_mov_b64_e32 v[6:7], 0
.LBB135_1043:
	s_mov_b32 s56, 0
.LBB135_1044:
	s_delay_alu instid0(SALU_CYCLE_1)
	s_and_b32 vcc_lo, exec_lo, s56
	s_cbranch_vccz .LBB135_1049
; %bb.1045:
	s_cmp_eq_u32 s0, 29
	s_cbranch_scc0 .LBB135_1047
; %bb.1046:
	global_load_b64 v[4:5], v[12:13], off
	s_mov_b32 s31, -1
	s_mov_b32 s30, 0
	s_wait_loadcnt 0x0
	s_wait_xcnt 0x1
	v_cvt_f64_u32_e32 v[6:7], v5
	v_cvt_f64_u32_e32 v[4:5], v4
	s_delay_alu instid0(VALU_DEP_2) | instskip(NEXT) | instid1(VALU_DEP_1)
	v_ldexp_f64 v[6:7], v[6:7], 32
	v_add_f64_e32 v[4:5], v[6:7], v[4:5]
	s_branch .LBB135_1048
.LBB135_1047:
	s_mov_b32 s30, -1
                                        ; implicit-def: $vgpr4_vgpr5
.LBB135_1048:
	s_wait_xcnt 0x0
	v_mov_b64_e32 v[6:7], 0
.LBB135_1049:
	s_mov_b32 s56, 0
.LBB135_1050:
	s_delay_alu instid0(SALU_CYCLE_1)
	s_and_b32 vcc_lo, exec_lo, s56
	s_cbranch_vccz .LBB135_1066
; %bb.1051:
	s_cmp_lt_i32 s0, 27
	s_cbranch_scc1 .LBB135_1054
; %bb.1052:
	s_cmp_gt_i32 s0, 27
	s_cbranch_scc0 .LBB135_1055
; %bb.1053:
	global_load_b32 v4, v[12:13], off
	s_mov_b32 s31, 0
	s_wait_loadcnt 0x0
	v_cvt_f64_u32_e32 v[4:5], v4
	s_branch .LBB135_1056
.LBB135_1054:
	s_mov_b32 s31, -1
                                        ; implicit-def: $vgpr4_vgpr5
	s_branch .LBB135_1059
.LBB135_1055:
	s_mov_b32 s31, -1
                                        ; implicit-def: $vgpr4_vgpr5
.LBB135_1056:
	s_delay_alu instid0(SALU_CYCLE_1)
	s_and_not1_b32 vcc_lo, exec_lo, s31
	s_cbranch_vccnz .LBB135_1058
; %bb.1057:
	global_load_u16 v4, v[12:13], off
	s_wait_loadcnt 0x0
	v_cvt_f64_u32_e32 v[4:5], v4
.LBB135_1058:
	s_mov_b32 s31, 0
.LBB135_1059:
	s_delay_alu instid0(SALU_CYCLE_1)
	s_and_not1_b32 vcc_lo, exec_lo, s31
	s_cbranch_vccnz .LBB135_1065
; %bb.1060:
	global_load_u8 v6, v[12:13], off
	s_mov_b32 s31, 0
	s_mov_b32 s56, exec_lo
	s_wait_loadcnt 0x0
	v_cmpx_lt_i16_e32 0x7f, v6
	s_xor_b32 s56, exec_lo, s56
	s_cbranch_execnz .LBB135_1078
; %bb.1061:
	s_or_saveexec_b32 s56, s56
	v_mov_b64_e32 v[4:5], 0x7ff8000020000000
	s_xor_b32 exec_lo, exec_lo, s56
	s_cbranch_execnz .LBB135_1081
.LBB135_1062:
	s_or_b32 exec_lo, exec_lo, s56
	s_and_saveexec_b32 s56, s31
	s_cbranch_execz .LBB135_1064
.LBB135_1063:
	v_and_b32_e32 v4, 0xffff, v6
	s_delay_alu instid0(VALU_DEP_1) | instskip(SKIP_1) | instid1(VALU_DEP_2)
	v_and_b32_e32 v5, 7, v4
	v_bfe_u32 v11, v4, 3, 4
	v_clz_i32_u32_e32 v7, v5
	s_delay_alu instid0(VALU_DEP_2) | instskip(NEXT) | instid1(VALU_DEP_2)
	v_cmp_eq_u32_e32 vcc_lo, 0, v11
	v_min_u32_e32 v7, 32, v7
	s_delay_alu instid0(VALU_DEP_1) | instskip(NEXT) | instid1(VALU_DEP_1)
	v_subrev_nc_u32_e32 v9, 28, v7
	v_dual_lshlrev_b32 v4, v9, v4 :: v_dual_sub_nc_u32 v7, 29, v7
	s_delay_alu instid0(VALU_DEP_1) | instskip(NEXT) | instid1(VALU_DEP_1)
	v_dual_lshlrev_b32 v6, 24, v6 :: v_dual_bitop2_b32 v4, 7, v4 bitop3:0x40
	v_dual_cndmask_b32 v7, v11, v7 :: v_dual_cndmask_b32 v4, v5, v4
	s_delay_alu instid0(VALU_DEP_2) | instskip(NEXT) | instid1(VALU_DEP_2)
	v_and_b32_e32 v5, 0x80000000, v6
	v_lshl_add_u32 v6, v7, 23, 0x3b800000
	s_delay_alu instid0(VALU_DEP_3) | instskip(NEXT) | instid1(VALU_DEP_1)
	v_lshlrev_b32_e32 v4, 20, v4
	v_or3_b32 v4, v5, v6, v4
	s_delay_alu instid0(VALU_DEP_1)
	v_cvt_f64_f32_e32 v[4:5], v4
.LBB135_1064:
	s_or_b32 exec_lo, exec_lo, s56
.LBB135_1065:
	s_wait_xcnt 0x0
	v_mov_b64_e32 v[6:7], 0
	s_mov_b32 s31, -1
.LBB135_1066:
	s_mov_b32 s56, 0
.LBB135_1067:
	s_delay_alu instid0(SALU_CYCLE_1)
	s_and_b32 vcc_lo, exec_lo, s56
	s_cbranch_vccz .LBB135_1101
; %bb.1068:
	s_cmp_gt_i32 s0, 22
	s_cbranch_scc0 .LBB135_1076
; %bb.1069:
	s_cmp_lt_i32 s0, 24
	s_cbranch_scc1 .LBB135_1077
; %bb.1070:
	s_cmp_gt_i32 s0, 24
	s_cbranch_scc0 .LBB135_1082
; %bb.1071:
	global_load_u8 v6, v[12:13], off
	s_mov_b32 s31, 0
	s_mov_b32 s56, exec_lo
	s_wait_loadcnt 0x0
	v_cmpx_lt_i16_e32 0x7f, v6
	s_xor_b32 s56, exec_lo, s56
	s_cbranch_execnz .LBB135_1166
; %bb.1072:
	s_or_saveexec_b32 s56, s56
	v_mov_b64_e32 v[4:5], 0x7ff8000020000000
	s_xor_b32 exec_lo, exec_lo, s56
	s_cbranch_execnz .LBB135_1169
.LBB135_1073:
	s_or_b32 exec_lo, exec_lo, s56
	s_and_saveexec_b32 s56, s31
	s_cbranch_execz .LBB135_1075
.LBB135_1074:
	v_and_b32_e32 v4, 0xffff, v6
	s_delay_alu instid0(VALU_DEP_1) | instskip(SKIP_1) | instid1(VALU_DEP_2)
	v_and_b32_e32 v5, 3, v4
	v_bfe_u32 v11, v4, 2, 5
	v_clz_i32_u32_e32 v7, v5
	s_delay_alu instid0(VALU_DEP_2) | instskip(NEXT) | instid1(VALU_DEP_2)
	v_cmp_eq_u32_e32 vcc_lo, 0, v11
	v_min_u32_e32 v7, 32, v7
	s_delay_alu instid0(VALU_DEP_1) | instskip(NEXT) | instid1(VALU_DEP_1)
	v_subrev_nc_u32_e32 v9, 29, v7
	v_dual_lshlrev_b32 v4, v9, v4 :: v_dual_sub_nc_u32 v7, 30, v7
	s_delay_alu instid0(VALU_DEP_1) | instskip(NEXT) | instid1(VALU_DEP_1)
	v_dual_lshlrev_b32 v6, 24, v6 :: v_dual_bitop2_b32 v4, 3, v4 bitop3:0x40
	v_dual_cndmask_b32 v7, v11, v7 :: v_dual_cndmask_b32 v4, v5, v4
	s_delay_alu instid0(VALU_DEP_2) | instskip(NEXT) | instid1(VALU_DEP_2)
	v_and_b32_e32 v5, 0x80000000, v6
	v_lshl_add_u32 v6, v7, 23, 0x37800000
	s_delay_alu instid0(VALU_DEP_3) | instskip(NEXT) | instid1(VALU_DEP_1)
	v_lshlrev_b32_e32 v4, 21, v4
	v_or3_b32 v4, v5, v6, v4
	s_delay_alu instid0(VALU_DEP_1)
	v_cvt_f64_f32_e32 v[4:5], v4
.LBB135_1075:
	s_or_b32 exec_lo, exec_lo, s56
	s_mov_b32 s31, 0
	s_branch .LBB135_1083
.LBB135_1076:
	s_mov_b32 s56, -1
                                        ; implicit-def: $vgpr4_vgpr5
	s_branch .LBB135_1089
.LBB135_1077:
	s_mov_b32 s31, -1
                                        ; implicit-def: $vgpr4_vgpr5
	s_branch .LBB135_1086
.LBB135_1078:
	s_mov_b32 s31, -1
	s_mov_b32 s57, exec_lo
	v_cmpx_eq_u16_e32 0x80, v6
; %bb.1079:
	s_xor_b32 s31, exec_lo, -1
; %bb.1080:
	s_or_b32 exec_lo, exec_lo, s57
	s_delay_alu instid0(SALU_CYCLE_1)
	s_and_b32 s31, s31, exec_lo
	s_or_saveexec_b32 s56, s56
	v_mov_b64_e32 v[4:5], 0x7ff8000020000000
	s_xor_b32 exec_lo, exec_lo, s56
	s_cbranch_execz .LBB135_1062
.LBB135_1081:
	v_cmp_ne_u16_e32 vcc_lo, 0, v6
	v_mov_b64_e32 v[4:5], 0
	s_and_not1_b32 s31, s31, exec_lo
	s_and_b32 s57, vcc_lo, exec_lo
	s_delay_alu instid0(SALU_CYCLE_1)
	s_or_b32 s31, s31, s57
	s_or_b32 exec_lo, exec_lo, s56
	s_and_saveexec_b32 s56, s31
	s_cbranch_execnz .LBB135_1063
	s_branch .LBB135_1064
.LBB135_1082:
	s_mov_b32 s31, -1
                                        ; implicit-def: $vgpr4_vgpr5
.LBB135_1083:
	s_delay_alu instid0(SALU_CYCLE_1)
	s_and_b32 vcc_lo, exec_lo, s31
	s_cbranch_vccz .LBB135_1085
; %bb.1084:
	global_load_u8 v4, v[12:13], off
	s_wait_loadcnt 0x0
	v_lshlrev_b32_e32 v4, 24, v4
	s_delay_alu instid0(VALU_DEP_1) | instskip(SKIP_1) | instid1(VALU_DEP_1)
	v_and_b32_e32 v5, 0x7f000000, v4
	s_wait_xcnt 0x1
	v_clz_i32_u32_e32 v6, v5
	v_add_nc_u32_e32 v9, 0x1000000, v5
	v_cmp_ne_u32_e32 vcc_lo, 0, v5
	s_delay_alu instid0(VALU_DEP_3) | instskip(NEXT) | instid1(VALU_DEP_1)
	v_min_u32_e32 v6, 32, v6
	v_sub_nc_u32_e64 v6, v6, 4 clamp
	s_delay_alu instid0(VALU_DEP_1) | instskip(NEXT) | instid1(VALU_DEP_1)
	v_dual_lshlrev_b32 v7, v6, v5 :: v_dual_lshlrev_b32 v6, 23, v6
	v_lshrrev_b32_e32 v7, 4, v7
	s_delay_alu instid0(VALU_DEP_1) | instskip(NEXT) | instid1(VALU_DEP_1)
	v_dual_sub_nc_u32 v6, v7, v6 :: v_dual_ashrrev_i32 v7, 8, v9
	v_add_nc_u32_e32 v6, 0x3c000000, v6
	s_delay_alu instid0(VALU_DEP_1) | instskip(NEXT) | instid1(VALU_DEP_1)
	v_and_or_b32 v6, 0x7f800000, v7, v6
	v_cndmask_b32_e32 v5, 0, v6, vcc_lo
	s_delay_alu instid0(VALU_DEP_1) | instskip(NEXT) | instid1(VALU_DEP_1)
	v_and_or_b32 v4, 0x80000000, v4, v5
	v_cvt_f64_f32_e32 v[4:5], v4
.LBB135_1085:
	s_mov_b32 s31, 0
.LBB135_1086:
	s_delay_alu instid0(SALU_CYCLE_1)
	s_and_not1_b32 vcc_lo, exec_lo, s31
	s_cbranch_vccnz .LBB135_1088
; %bb.1087:
	global_load_u8 v4, v[12:13], off
	s_wait_loadcnt 0x0
	v_lshlrev_b32_e32 v5, 25, v4
	v_lshlrev_b16 v4, 8, v4
	s_wait_xcnt 0x1
	s_delay_alu instid0(VALU_DEP_1) | instskip(SKIP_1) | instid1(VALU_DEP_2)
	v_and_or_b32 v7, 0x7f00, v4, 0.5
	v_bfe_i32 v4, v4, 0, 16
	v_dual_add_f32 v7, -0.5, v7 :: v_dual_lshrrev_b32 v6, 4, v5
	v_cmp_gt_u32_e32 vcc_lo, 0x8000000, v5
	s_delay_alu instid0(VALU_DEP_2) | instskip(NEXT) | instid1(VALU_DEP_1)
	v_or_b32_e32 v6, 0x70000000, v6
	v_mul_f32_e32 v6, 0x7800000, v6
	s_delay_alu instid0(VALU_DEP_1) | instskip(NEXT) | instid1(VALU_DEP_1)
	v_cndmask_b32_e32 v5, v6, v7, vcc_lo
	v_and_or_b32 v4, 0x80000000, v4, v5
	s_delay_alu instid0(VALU_DEP_1)
	v_cvt_f64_f32_e32 v[4:5], v4
.LBB135_1088:
	s_mov_b32 s56, 0
	s_mov_b32 s31, -1
.LBB135_1089:
	s_and_not1_b32 vcc_lo, exec_lo, s56
	s_cbranch_vccnz .LBB135_1100
; %bb.1090:
	s_cmp_gt_i32 s0, 14
	s_cbranch_scc0 .LBB135_1093
; %bb.1091:
	s_cmp_eq_u32 s0, 15
	s_cbranch_scc0 .LBB135_1094
; %bb.1092:
	global_load_u16 v4, v[12:13], off
	s_mov_b32 s31, -1
	s_mov_b32 s30, 0
	s_wait_loadcnt 0x0
	v_lshlrev_b32_e32 v4, 16, v4
	s_delay_alu instid0(VALU_DEP_1)
	v_cvt_f64_f32_e32 v[4:5], v4
	s_branch .LBB135_1095
.LBB135_1093:
	s_mov_b32 s56, -1
                                        ; implicit-def: $vgpr4_vgpr5
	s_branch .LBB135_1096
.LBB135_1094:
	s_mov_b32 s30, -1
                                        ; implicit-def: $vgpr4_vgpr5
.LBB135_1095:
	s_mov_b32 s56, 0
.LBB135_1096:
	s_delay_alu instid0(SALU_CYCLE_1)
	s_and_b32 vcc_lo, exec_lo, s56
	s_cbranch_vccz .LBB135_1100
; %bb.1097:
	s_cmp_eq_u32 s0, 11
	s_cbranch_scc0 .LBB135_1099
; %bb.1098:
	global_load_u8 v4, v[12:13], off
	s_mov_b32 s30, 0
	s_mov_b32 s31, -1
	s_wait_xcnt 0x1
	v_mov_b64_e32 v[6:7], 0
	s_wait_loadcnt 0x0
	v_cmp_ne_u16_e32 vcc_lo, 0, v4
	v_mov_b32_e32 v4, 0
	v_cndmask_b32_e64 v5, 0, 0x3ff00000, vcc_lo
	s_branch .LBB135_1101
.LBB135_1099:
	s_mov_b32 s30, -1
                                        ; implicit-def: $vgpr4_vgpr5
.LBB135_1100:
	s_wait_xcnt 0x0
	v_mov_b64_e32 v[6:7], 0
.LBB135_1101:
	s_mov_b32 s56, 0
.LBB135_1102:
	s_delay_alu instid0(SALU_CYCLE_1)
	s_and_b32 vcc_lo, exec_lo, s56
	s_cbranch_vccz .LBB135_1153
; %bb.1103:
	s_cmp_lt_i32 s0, 5
	s_cbranch_scc1 .LBB135_1108
; %bb.1104:
	s_cmp_lt_i32 s0, 8
	s_cbranch_scc1 .LBB135_1109
	;; [unrolled: 3-line block ×3, first 2 shown]
; %bb.1106:
	s_cmp_gt_i32 s0, 9
	s_cbranch_scc0 .LBB135_1111
; %bb.1107:
	global_load_b128 v[4:7], v[12:13], off
	s_mov_b32 s31, 0
	s_branch .LBB135_1112
.LBB135_1108:
	s_mov_b32 s31, -1
                                        ; implicit-def: $vgpr6_vgpr7
	s_branch .LBB135_1131
.LBB135_1109:
	s_mov_b32 s31, -1
                                        ; implicit-def: $vgpr6_vgpr7
	s_branch .LBB135_1118
.LBB135_1110:
	s_mov_b32 s31, -1
                                        ; implicit-def: $vgpr6_vgpr7
	s_branch .LBB135_1115
.LBB135_1111:
	s_mov_b32 s31, -1
                                        ; implicit-def: $vgpr6_vgpr7
.LBB135_1112:
	s_delay_alu instid0(SALU_CYCLE_1)
	s_and_not1_b32 vcc_lo, exec_lo, s31
	s_cbranch_vccnz .LBB135_1114
; %bb.1113:
	s_wait_loadcnt 0x0
	global_load_b64 v[6:7], v[12:13], off
	s_wait_loadcnt 0x0
	v_cvt_f64_f32_e32 v[4:5], v6
	v_cvt_f64_f32_e32 v[6:7], v7
.LBB135_1114:
	s_mov_b32 s31, 0
.LBB135_1115:
	s_delay_alu instid0(SALU_CYCLE_1)
	s_and_not1_b32 vcc_lo, exec_lo, s31
	s_cbranch_vccnz .LBB135_1117
; %bb.1116:
	s_wait_loadcnt 0x0
	global_load_b32 v4, v[12:13], off
	s_wait_loadcnt 0x0
	v_lshrrev_b32_e32 v5, 16, v4
	v_cvt_f32_f16_e32 v4, v4
	s_wait_xcnt 0x1
	s_delay_alu instid0(VALU_DEP_2) | instskip(NEXT) | instid1(VALU_DEP_2)
	v_cvt_f32_f16_e32 v6, v5
	v_cvt_f64_f32_e32 v[4:5], v4
	s_delay_alu instid0(VALU_DEP_2)
	v_cvt_f64_f32_e32 v[6:7], v6
.LBB135_1117:
	s_mov_b32 s31, 0
.LBB135_1118:
	s_delay_alu instid0(SALU_CYCLE_1)
	s_and_not1_b32 vcc_lo, exec_lo, s31
	s_cbranch_vccnz .LBB135_1130
; %bb.1119:
	s_cmp_lt_i32 s0, 6
	s_cbranch_scc1 .LBB135_1122
; %bb.1120:
	s_cmp_gt_i32 s0, 6
	s_cbranch_scc0 .LBB135_1123
; %bb.1121:
	s_wait_loadcnt 0x0
	global_load_b64 v[4:5], v[12:13], off
	s_mov_b32 s31, 0
	s_branch .LBB135_1124
.LBB135_1122:
	s_mov_b32 s31, -1
                                        ; implicit-def: $vgpr4_vgpr5
	s_branch .LBB135_1127
.LBB135_1123:
	s_mov_b32 s31, -1
                                        ; implicit-def: $vgpr4_vgpr5
.LBB135_1124:
	s_delay_alu instid0(SALU_CYCLE_1)
	s_and_not1_b32 vcc_lo, exec_lo, s31
	s_cbranch_vccnz .LBB135_1126
; %bb.1125:
	s_wait_loadcnt 0x0
	global_load_b32 v4, v[12:13], off
	s_wait_loadcnt 0x0
	v_cvt_f64_f32_e32 v[4:5], v4
.LBB135_1126:
	s_mov_b32 s31, 0
.LBB135_1127:
	s_delay_alu instid0(SALU_CYCLE_1)
	s_and_not1_b32 vcc_lo, exec_lo, s31
	s_cbranch_vccnz .LBB135_1129
; %bb.1128:
	s_wait_loadcnt 0x0
	global_load_u16 v4, v[12:13], off
	s_wait_loadcnt 0x0
	v_cvt_f32_f16_e32 v4, v4
	s_delay_alu instid0(VALU_DEP_1)
	v_cvt_f64_f32_e32 v[4:5], v4
.LBB135_1129:
	s_wait_loadcnt 0x0
	v_mov_b64_e32 v[6:7], 0
.LBB135_1130:
	s_mov_b32 s31, 0
.LBB135_1131:
	s_delay_alu instid0(SALU_CYCLE_1)
	s_and_not1_b32 vcc_lo, exec_lo, s31
	s_cbranch_vccnz .LBB135_1152
; %bb.1132:
	s_cmp_lt_i32 s0, 2
	s_cbranch_scc1 .LBB135_1136
; %bb.1133:
	s_cmp_lt_i32 s0, 3
	s_cbranch_scc1 .LBB135_1137
; %bb.1134:
	s_cmp_gt_i32 s0, 3
	s_cbranch_scc0 .LBB135_1138
; %bb.1135:
	s_wait_loadcnt 0x0
	global_load_b64 v[4:5], v[12:13], off
	s_mov_b32 s31, 0
	s_wait_loadcnt 0x0
	s_wait_xcnt 0x1
	v_cvt_f64_i32_e32 v[6:7], v5
	v_cvt_f64_u32_e32 v[4:5], v4
	s_delay_alu instid0(VALU_DEP_2) | instskip(NEXT) | instid1(VALU_DEP_1)
	v_ldexp_f64 v[6:7], v[6:7], 32
	v_add_f64_e32 v[4:5], v[6:7], v[4:5]
	s_branch .LBB135_1139
.LBB135_1136:
	s_mov_b32 s31, -1
                                        ; implicit-def: $vgpr4_vgpr5
	s_branch .LBB135_1145
.LBB135_1137:
	s_mov_b32 s31, -1
                                        ; implicit-def: $vgpr4_vgpr5
	s_branch .LBB135_1142
.LBB135_1138:
	s_mov_b32 s31, -1
                                        ; implicit-def: $vgpr4_vgpr5
.LBB135_1139:
	s_delay_alu instid0(SALU_CYCLE_1)
	s_and_not1_b32 vcc_lo, exec_lo, s31
	s_cbranch_vccnz .LBB135_1141
; %bb.1140:
	s_wait_loadcnt 0x0
	global_load_b32 v4, v[12:13], off
	s_wait_loadcnt 0x0
	v_cvt_f64_i32_e32 v[4:5], v4
.LBB135_1141:
	s_mov_b32 s31, 0
.LBB135_1142:
	s_delay_alu instid0(SALU_CYCLE_1)
	s_and_not1_b32 vcc_lo, exec_lo, s31
	s_cbranch_vccnz .LBB135_1144
; %bb.1143:
	s_wait_loadcnt 0x0
	global_load_i16 v4, v[12:13], off
	s_wait_loadcnt 0x0
	v_cvt_f64_i32_e32 v[4:5], v4
.LBB135_1144:
	s_mov_b32 s31, 0
.LBB135_1145:
	s_delay_alu instid0(SALU_CYCLE_1)
	s_and_not1_b32 vcc_lo, exec_lo, s31
	s_cbranch_vccnz .LBB135_1151
; %bb.1146:
	s_cmp_gt_i32 s0, 0
	s_mov_b32 s0, 0
	s_cbranch_scc0 .LBB135_1148
; %bb.1147:
	s_wait_loadcnt 0x0
	global_load_i8 v4, v[12:13], off
	s_wait_loadcnt 0x0
	v_cvt_f64_i32_e32 v[4:5], v4
	s_branch .LBB135_1149
.LBB135_1148:
	s_mov_b32 s0, -1
                                        ; implicit-def: $vgpr4_vgpr5
.LBB135_1149:
	s_delay_alu instid0(SALU_CYCLE_1)
	s_and_not1_b32 vcc_lo, exec_lo, s0
	s_cbranch_vccnz .LBB135_1151
; %bb.1150:
	s_wait_loadcnt 0x0
	global_load_u8 v4, v[12:13], off
	s_wait_loadcnt 0x0
	v_cvt_f64_u32_e32 v[4:5], v4
.LBB135_1151:
	s_wait_loadcnt 0x0
	v_mov_b64_e32 v[6:7], 0
.LBB135_1152:
	s_mov_b32 s31, -1
.LBB135_1153:
	s_delay_alu instid0(SALU_CYCLE_1)
	s_and_not1_b32 vcc_lo, exec_lo, s31
	s_cbranch_vccnz .LBB135_1161
; %bb.1154:
	s_wait_loadcnt 0x0
	s_delay_alu instid0(VALU_DEP_3) | instskip(SKIP_2) | instid1(SALU_CYCLE_1)
	v_dual_mul_f64 v[12:13], s[4:5], v[2:3] :: v_dual_mov_b32 v11, 0
	v_mul_f64_e32 v[2:3], s[6:7], v[2:3]
	s_and_b32 s31, s37, 0xff
	s_cmp_lt_i32 s31, 11
	s_delay_alu instid0(VALU_DEP_2) | instskip(NEXT) | instid1(VALU_DEP_2)
	v_fmac_f64_e32 v[12:13], s[6:7], v[0:1]
	v_fma_f64 v[0:1], s[4:5], v[0:1], -v[2:3]
	s_delay_alu instid0(VALU_DEP_2) | instskip(NEXT) | instid1(VALU_DEP_2)
	v_mul_f64_e32 v[14:15], v[12:13], v[6:7]
	v_mul_f64_e32 v[2:3], v[0:1], v[6:7]
	s_delay_alu instid0(VALU_DEP_2) | instskip(NEXT) | instid1(VALU_DEP_2)
	v_fma_f64 v[0:1], v[0:1], v[4:5], -v[14:15]
	v_fmac_f64_e32 v[2:3], v[12:13], v[4:5]
	v_add_nc_u64_e32 v[4:5], s[20:21], v[10:11]
	s_cbranch_scc1 .LBB135_1162
; %bb.1155:
	s_and_b32 s56, 0xffff, s31
	s_delay_alu instid0(SALU_CYCLE_1)
	s_cmp_gt_i32 s56, 25
	s_cbranch_scc0 .LBB135_1163
; %bb.1156:
	s_cmp_gt_i32 s56, 28
	s_cbranch_scc0 .LBB135_1164
; %bb.1157:
	;; [unrolled: 3-line block ×4, first 2 shown]
	s_mov_b32 s58, 0
	s_mov_b32 s0, -1
	s_cmp_eq_u32 s56, 46
	s_mov_b32 s57, 0
	s_cbranch_scc0 .LBB135_1171
; %bb.1160:
	s_delay_alu instid0(VALU_DEP_2) | instskip(NEXT) | instid1(VALU_DEP_4)
	v_cvt_f32_f64_e32 v6, v[2:3]
	v_cvt_f32_f64_e32 v7, v[0:1]
	s_mov_b32 s57, -1
	s_mov_b32 s0, 0
	s_delay_alu instid0(VALU_DEP_2) | instskip(NEXT) | instid1(VALU_DEP_2)
	v_bfe_u32 v9, v6, 16, 1
	v_bfe_u32 v10, v7, 16, 1
	v_cmp_o_f32_e32 vcc_lo, v6, v6
	s_delay_alu instid0(VALU_DEP_3) | instskip(NEXT) | instid1(VALU_DEP_3)
	v_add3_u32 v9, v6, v9, 0x7fff
	v_add3_u32 v10, v7, v10, 0x7fff
	s_delay_alu instid0(VALU_DEP_2) | instskip(NEXT) | instid1(VALU_DEP_1)
	v_and_b32_e32 v9, 0xffff0000, v9
	v_cndmask_b32_e32 v6, 0x7fc00000, v9, vcc_lo
	s_delay_alu instid0(VALU_DEP_3) | instskip(SKIP_1) | instid1(VALU_DEP_2)
	v_lshrrev_b32_e32 v10, 16, v10
	v_cmp_o_f32_e32 vcc_lo, v7, v7
	v_cndmask_b32_e32 v7, 0x7fc0, v10, vcc_lo
	s_delay_alu instid0(VALU_DEP_1)
	v_or_b32_e32 v6, v6, v7
	global_store_b32 v[4:5], v6, off
	s_branch .LBB135_1171
.LBB135_1161:
	s_mov_b32 s31, 0
	s_mov_b32 s0, s51
	s_branch .LBB135_892
.LBB135_1162:
	s_mov_b32 s56, -1
	s_mov_b32 s57, 0
	s_mov_b32 s0, s51
	s_branch .LBB135_1240
.LBB135_1163:
	s_mov_b32 s58, -1
	s_mov_b32 s57, 0
	s_mov_b32 s0, s51
	s_branch .LBB135_1198
.LBB135_1164:
	s_mov_b32 s58, -1
	s_mov_b32 s57, 0
	s_mov_b32 s0, s51
	s_branch .LBB135_1181
.LBB135_1165:
	s_mov_b32 s58, -1
	s_mov_b32 s57, 0
	s_mov_b32 s0, s51
	s_branch .LBB135_1177
.LBB135_1166:
	s_mov_b32 s31, -1
	s_mov_b32 s57, exec_lo
	v_cmpx_eq_u16_e32 0x80, v6
; %bb.1167:
	s_xor_b32 s31, exec_lo, -1
; %bb.1168:
	s_or_b32 exec_lo, exec_lo, s57
	s_delay_alu instid0(SALU_CYCLE_1)
	s_and_b32 s31, s31, exec_lo
	s_or_saveexec_b32 s56, s56
	v_mov_b64_e32 v[4:5], 0x7ff8000020000000
	s_xor_b32 exec_lo, exec_lo, s56
	s_cbranch_execz .LBB135_1073
.LBB135_1169:
	v_cmp_ne_u16_e32 vcc_lo, 0, v6
	v_mov_b64_e32 v[4:5], 0
	s_and_not1_b32 s31, s31, exec_lo
	s_and_b32 s57, vcc_lo, exec_lo
	s_delay_alu instid0(SALU_CYCLE_1)
	s_or_b32 s31, s31, s57
	s_or_b32 exec_lo, exec_lo, s56
	s_and_saveexec_b32 s56, s31
	s_cbranch_execnz .LBB135_1074
	s_branch .LBB135_1075
.LBB135_1170:
	s_mov_b32 s58, -1
	s_mov_b32 s57, 0
	s_mov_b32 s0, s51
.LBB135_1171:
	s_and_b32 vcc_lo, exec_lo, s58
	s_cbranch_vccz .LBB135_1176
; %bb.1172:
	s_cmp_eq_u32 s56, 44
	s_mov_b32 s0, -1
	s_cbranch_scc0 .LBB135_1176
; %bb.1173:
	s_wait_xcnt 0x0
	s_delay_alu instid0(VALU_DEP_3) | instskip(SKIP_2) | instid1(VALU_DEP_2)
	v_cvt_f32_f64_e32 v6, v[0:1]
	v_mov_b32_e32 v7, 0xff
	s_mov_b32 s57, exec_lo
	v_bfe_u32 v9, v6, 23, 8
	s_delay_alu instid0(VALU_DEP_1)
	v_cmpx_ne_u32_e32 0xff, v9
	s_cbranch_execz .LBB135_1175
; %bb.1174:
	v_and_b32_e32 v7, 0x400000, v6
	v_and_or_b32 v9, 0x3fffff, v6, v9
	v_lshrrev_b32_e32 v6, 23, v6
	s_delay_alu instid0(VALU_DEP_3) | instskip(NEXT) | instid1(VALU_DEP_3)
	v_cmp_ne_u32_e32 vcc_lo, 0, v7
	v_cmp_ne_u32_e64 s0, 0, v9
	s_and_b32 s0, vcc_lo, s0
	s_delay_alu instid0(SALU_CYCLE_1) | instskip(NEXT) | instid1(VALU_DEP_1)
	v_cndmask_b32_e64 v7, 0, 1, s0
	v_add_nc_u32_e32 v7, v6, v7
.LBB135_1175:
	s_or_b32 exec_lo, exec_lo, s57
	s_mov_b32 s57, -1
	s_mov_b32 s0, 0
	global_store_b8 v[4:5], v7, off
.LBB135_1176:
	s_mov_b32 s58, 0
.LBB135_1177:
	s_delay_alu instid0(SALU_CYCLE_1)
	s_and_b32 vcc_lo, exec_lo, s58
	s_cbranch_vccz .LBB135_1180
; %bb.1178:
	s_cmp_eq_u32 s56, 29
	s_mov_b32 s0, -1
	s_cbranch_scc0 .LBB135_1180
; %bb.1179:
	s_wait_xcnt 0x0
	s_delay_alu instid0(VALU_DEP_3) | instskip(SKIP_3) | instid1(VALU_DEP_1)
	v_trunc_f64_e32 v[6:7], v[0:1]
	s_mov_b32 s57, -1
	s_mov_b32 s0, 0
	s_mov_b32 s58, 0
	v_ldexp_f64 v[10:11], v[6:7], 0xffffffe0
	s_delay_alu instid0(VALU_DEP_1) | instskip(NEXT) | instid1(VALU_DEP_1)
	v_floor_f64_e32 v[10:11], v[10:11]
	v_fmamk_f64 v[6:7], v[10:11], 0xc1f00000, v[6:7]
	v_cvt_u32_f64_e32 v11, v[10:11]
	s_delay_alu instid0(VALU_DEP_2)
	v_cvt_u32_f64_e32 v10, v[6:7]
	global_store_b64 v[4:5], v[10:11], off
	s_branch .LBB135_1181
.LBB135_1180:
	s_mov_b32 s58, 0
.LBB135_1181:
	s_delay_alu instid0(SALU_CYCLE_1)
	s_and_b32 vcc_lo, exec_lo, s58
	s_cbranch_vccz .LBB135_1197
; %bb.1182:
	s_cmp_lt_i32 s56, 27
	s_mov_b32 s57, -1
	s_cbranch_scc1 .LBB135_1188
; %bb.1183:
	s_cmp_gt_i32 s56, 27
	s_cbranch_scc0 .LBB135_1185
; %bb.1184:
	s_wait_xcnt 0x0
	s_delay_alu instid0(VALU_DEP_3)
	v_cvt_u32_f64_e32 v6, v[0:1]
	s_mov_b32 s57, 0
	global_store_b32 v[4:5], v6, off
.LBB135_1185:
	s_and_not1_b32 vcc_lo, exec_lo, s57
	s_cbranch_vccnz .LBB135_1187
; %bb.1186:
	s_wait_xcnt 0x0
	s_delay_alu instid0(VALU_DEP_3)
	v_cvt_u32_f64_e32 v6, v[0:1]
	global_store_b16 v[4:5], v6, off
.LBB135_1187:
	s_mov_b32 s57, 0
.LBB135_1188:
	s_delay_alu instid0(SALU_CYCLE_1)
	s_and_not1_b32 vcc_lo, exec_lo, s57
	s_cbranch_vccnz .LBB135_1196
; %bb.1189:
	s_wait_xcnt 0x0
	s_delay_alu instid0(VALU_DEP_3) | instskip(SKIP_2) | instid1(VALU_DEP_2)
	v_cvt_f32_f64_e32 v6, v[0:1]
	v_mov_b32_e32 v9, 0x80
	s_mov_b32 s57, exec_lo
	v_and_b32_e32 v7, 0x7fffffff, v6
	s_delay_alu instid0(VALU_DEP_1)
	v_cmpx_gt_u32_e32 0x43800000, v7
	s_cbranch_execz .LBB135_1195
; %bb.1190:
	v_cmp_lt_u32_e32 vcc_lo, 0x3bffffff, v7
	s_mov_b32 s58, 0
                                        ; implicit-def: $vgpr7
	s_and_saveexec_b32 s59, vcc_lo
	s_delay_alu instid0(SALU_CYCLE_1)
	s_xor_b32 s59, exec_lo, s59
	s_cbranch_execnz .LBB135_2370
; %bb.1191:
	s_and_not1_saveexec_b32 s59, s59
	s_cbranch_execnz .LBB135_2371
.LBB135_1192:
	s_or_b32 exec_lo, exec_lo, s59
	v_mov_b32_e32 v9, 0
	s_and_saveexec_b32 s59, s58
.LBB135_1193:
	v_lshrrev_b32_e32 v6, 24, v6
	s_delay_alu instid0(VALU_DEP_1)
	v_and_or_b32 v9, 0x80, v6, v7
.LBB135_1194:
	s_or_b32 exec_lo, exec_lo, s59
.LBB135_1195:
	s_delay_alu instid0(SALU_CYCLE_1)
	s_or_b32 exec_lo, exec_lo, s57
	global_store_b8 v[4:5], v9, off
.LBB135_1196:
	s_mov_b32 s57, -1
.LBB135_1197:
	s_mov_b32 s58, 0
.LBB135_1198:
	s_delay_alu instid0(SALU_CYCLE_1)
	s_and_b32 vcc_lo, exec_lo, s58
	s_cbranch_vccz .LBB135_1239
; %bb.1199:
	s_cmp_gt_i32 s56, 22
	s_mov_b32 s58, -1
	s_cbranch_scc0 .LBB135_1231
; %bb.1200:
	s_cmp_lt_i32 s56, 24
	s_mov_b32 s57, -1
	s_cbranch_scc1 .LBB135_1220
; %bb.1201:
	s_cmp_gt_i32 s56, 24
	s_cbranch_scc0 .LBB135_1209
; %bb.1202:
	s_wait_xcnt 0x0
	s_delay_alu instid0(VALU_DEP_3) | instskip(SKIP_2) | instid1(VALU_DEP_2)
	v_cvt_f32_f64_e32 v6, v[0:1]
	v_mov_b32_e32 v9, 0x80
	s_mov_b32 s57, exec_lo
	v_and_b32_e32 v7, 0x7fffffff, v6
	s_delay_alu instid0(VALU_DEP_1)
	v_cmpx_gt_u32_e32 0x47800000, v7
	s_cbranch_execz .LBB135_1208
; %bb.1203:
	v_cmp_lt_u32_e32 vcc_lo, 0x37ffffff, v7
	s_mov_b32 s58, 0
                                        ; implicit-def: $vgpr7
	s_and_saveexec_b32 s59, vcc_lo
	s_delay_alu instid0(SALU_CYCLE_1)
	s_xor_b32 s59, exec_lo, s59
	s_cbranch_execnz .LBB135_2373
; %bb.1204:
	s_and_not1_saveexec_b32 s59, s59
	s_cbranch_execnz .LBB135_2374
.LBB135_1205:
	s_or_b32 exec_lo, exec_lo, s59
	v_mov_b32_e32 v9, 0
	s_and_saveexec_b32 s59, s58
.LBB135_1206:
	v_lshrrev_b32_e32 v6, 24, v6
	s_delay_alu instid0(VALU_DEP_1)
	v_and_or_b32 v9, 0x80, v6, v7
.LBB135_1207:
	s_or_b32 exec_lo, exec_lo, s59
.LBB135_1208:
	s_delay_alu instid0(SALU_CYCLE_1)
	s_or_b32 exec_lo, exec_lo, s57
	s_mov_b32 s57, 0
	global_store_b8 v[4:5], v9, off
.LBB135_1209:
	s_and_b32 vcc_lo, exec_lo, s57
	s_cbranch_vccz .LBB135_1219
; %bb.1210:
	s_wait_xcnt 0x0
	s_delay_alu instid0(VALU_DEP_3) | instskip(SKIP_1) | instid1(VALU_DEP_1)
	v_cvt_f32_f64_e32 v6, v[0:1]
	s_mov_b32 s57, exec_lo
                                        ; implicit-def: $vgpr7
	v_and_b32_e32 v9, 0x7fffffff, v6
	s_delay_alu instid0(VALU_DEP_1)
	v_cmpx_gt_u32_e32 0x43f00000, v9
	s_xor_b32 s57, exec_lo, s57
	s_cbranch_execz .LBB135_1216
; %bb.1211:
	s_mov_b32 s58, exec_lo
                                        ; implicit-def: $vgpr7
	v_cmpx_lt_u32_e32 0x3c7fffff, v9
	s_xor_b32 s58, exec_lo, s58
; %bb.1212:
	v_bfe_u32 v7, v6, 20, 1
	s_delay_alu instid0(VALU_DEP_1) | instskip(NEXT) | instid1(VALU_DEP_1)
	v_add3_u32 v7, v6, v7, 0x407ffff
	v_and_b32_e32 v9, 0xff00000, v7
	v_lshrrev_b32_e32 v7, 20, v7
	s_delay_alu instid0(VALU_DEP_2) | instskip(NEXT) | instid1(VALU_DEP_2)
	v_cmp_ne_u32_e32 vcc_lo, 0x7f00000, v9
	v_cndmask_b32_e32 v7, 0x7e, v7, vcc_lo
; %bb.1213:
	s_and_not1_saveexec_b32 s58, s58
; %bb.1214:
	v_add_f32_e64 v7, 0x46800000, |v6|
; %bb.1215:
	s_or_b32 exec_lo, exec_lo, s58
                                        ; implicit-def: $vgpr9
.LBB135_1216:
	s_and_not1_saveexec_b32 s57, s57
; %bb.1217:
	v_mov_b32_e32 v7, 0x7f
	v_cmp_lt_u32_e32 vcc_lo, 0x7f800000, v9
	s_delay_alu instid0(VALU_DEP_2)
	v_cndmask_b32_e32 v7, 0x7e, v7, vcc_lo
; %bb.1218:
	s_or_b32 exec_lo, exec_lo, s57
	v_lshrrev_b32_e32 v6, 24, v6
	s_delay_alu instid0(VALU_DEP_1)
	v_and_or_b32 v6, 0x80, v6, v7
	global_store_b8 v[4:5], v6, off
.LBB135_1219:
	s_mov_b32 s57, 0
.LBB135_1220:
	s_delay_alu instid0(SALU_CYCLE_1)
	s_and_not1_b32 vcc_lo, exec_lo, s57
	s_cbranch_vccnz .LBB135_1230
; %bb.1221:
	s_wait_xcnt 0x0
	s_delay_alu instid0(VALU_DEP_3) | instskip(SKIP_1) | instid1(VALU_DEP_1)
	v_cvt_f32_f64_e32 v6, v[0:1]
	s_mov_b32 s57, exec_lo
                                        ; implicit-def: $vgpr7
	v_and_b32_e32 v9, 0x7fffffff, v6
	s_delay_alu instid0(VALU_DEP_1)
	v_cmpx_gt_u32_e32 0x47800000, v9
	s_xor_b32 s57, exec_lo, s57
	s_cbranch_execz .LBB135_1227
; %bb.1222:
	s_mov_b32 s58, exec_lo
                                        ; implicit-def: $vgpr7
	v_cmpx_lt_u32_e32 0x387fffff, v9
	s_xor_b32 s58, exec_lo, s58
; %bb.1223:
	v_bfe_u32 v7, v6, 21, 1
	s_delay_alu instid0(VALU_DEP_1) | instskip(NEXT) | instid1(VALU_DEP_1)
	v_add3_u32 v7, v6, v7, 0x80fffff
	v_lshrrev_b32_e32 v7, 21, v7
; %bb.1224:
	s_and_not1_saveexec_b32 s58, s58
; %bb.1225:
	v_add_f32_e64 v7, 0x43000000, |v6|
; %bb.1226:
	s_or_b32 exec_lo, exec_lo, s58
                                        ; implicit-def: $vgpr9
.LBB135_1227:
	s_and_not1_saveexec_b32 s57, s57
; %bb.1228:
	v_mov_b32_e32 v7, 0x7f
	v_cmp_lt_u32_e32 vcc_lo, 0x7f800000, v9
	s_delay_alu instid0(VALU_DEP_2)
	v_cndmask_b32_e32 v7, 0x7c, v7, vcc_lo
; %bb.1229:
	s_or_b32 exec_lo, exec_lo, s57
	v_lshrrev_b32_e32 v6, 24, v6
	s_delay_alu instid0(VALU_DEP_1)
	v_and_or_b32 v6, 0x80, v6, v7
	global_store_b8 v[4:5], v6, off
.LBB135_1230:
	s_mov_b32 s58, 0
	s_mov_b32 s57, -1
.LBB135_1231:
	s_and_not1_b32 vcc_lo, exec_lo, s58
	s_cbranch_vccnz .LBB135_1239
; %bb.1232:
	s_cmp_gt_i32 s56, 14
	s_mov_b32 s58, -1
	s_cbranch_scc0 .LBB135_1236
; %bb.1233:
	s_cmp_eq_u32 s56, 15
	s_mov_b32 s0, -1
	s_cbranch_scc0 .LBB135_1235
; %bb.1234:
	s_wait_xcnt 0x0
	s_delay_alu instid0(VALU_DEP_3) | instskip(SKIP_2) | instid1(VALU_DEP_1)
	v_cvt_f32_f64_e32 v6, v[0:1]
	s_mov_b32 s57, -1
	s_mov_b32 s0, 0
	v_bfe_u32 v7, v6, 16, 1
	v_cmp_o_f32_e32 vcc_lo, v6, v6
	s_delay_alu instid0(VALU_DEP_2) | instskip(NEXT) | instid1(VALU_DEP_1)
	v_add3_u32 v7, v6, v7, 0x7fff
	v_lshrrev_b32_e32 v7, 16, v7
	s_delay_alu instid0(VALU_DEP_1)
	v_cndmask_b32_e32 v6, 0x7fc0, v7, vcc_lo
	global_store_b16 v[4:5], v6, off
.LBB135_1235:
	s_mov_b32 s58, 0
.LBB135_1236:
	s_delay_alu instid0(SALU_CYCLE_1)
	s_and_b32 vcc_lo, exec_lo, s58
	s_cbranch_vccz .LBB135_1239
; %bb.1237:
	s_cmp_eq_u32 s56, 11
	s_mov_b32 s0, -1
	s_cbranch_scc0 .LBB135_1239
; %bb.1238:
	s_delay_alu instid0(VALU_DEP_3) | instskip(NEXT) | instid1(VALU_DEP_3)
	v_cmp_neq_f64_e32 vcc_lo, 0, v[0:1]
	v_cmp_neq_f64_e64 s0, 0, v[2:3]
	s_mov_b32 s57, -1
	s_or_b32 s0, vcc_lo, s0
	s_wait_xcnt 0x0
	v_cndmask_b32_e64 v6, 0, 1, s0
	s_mov_b32 s0, 0
	global_store_b8 v[4:5], v6, off
.LBB135_1239:
	s_mov_b32 s56, 0
.LBB135_1240:
	s_delay_alu instid0(SALU_CYCLE_1)
	s_and_b32 vcc_lo, exec_lo, s56
	s_cbranch_vccz .LBB135_1279
; %bb.1241:
	s_and_b32 s31, 0xffff, s31
	s_mov_b32 s56, -1
	s_cmp_lt_i32 s31, 5
	s_cbranch_scc1 .LBB135_1262
; %bb.1242:
	s_cmp_lt_i32 s31, 8
	s_cbranch_scc1 .LBB135_1252
; %bb.1243:
	;; [unrolled: 3-line block ×3, first 2 shown]
	s_cmp_gt_i32 s31, 9
	s_cbranch_scc0 .LBB135_1246
; %bb.1245:
	s_mov_b32 s56, 0
	global_store_b128 v[4:5], v[0:3], off
.LBB135_1246:
	s_and_not1_b32 vcc_lo, exec_lo, s56
	s_cbranch_vccnz .LBB135_1248
; %bb.1247:
	s_wait_xcnt 0x0
	s_delay_alu instid0(VALU_DEP_3) | instskip(NEXT) | instid1(VALU_DEP_3)
	v_cvt_f32_f64_e32 v6, v[0:1]
	v_cvt_f32_f64_e32 v7, v[2:3]
	global_store_b64 v[4:5], v[6:7], off
.LBB135_1248:
	s_mov_b32 s56, 0
.LBB135_1249:
	s_delay_alu instid0(SALU_CYCLE_1)
	s_and_not1_b32 vcc_lo, exec_lo, s56
	s_cbranch_vccnz .LBB135_1251
; %bb.1250:
	s_wait_xcnt 0x0
	s_delay_alu instid0(VALU_DEP_3) | instskip(NEXT) | instid1(VALU_DEP_3)
	v_and_or_b32 v6, 0x1ff, v1, v0
	v_and_or_b32 v2, 0x1ff, v3, v2
	v_dual_lshrrev_b32 v7, 8, v1 :: v_dual_lshrrev_b32 v11, 8, v3
	v_bfe_u32 v9, v1, 20, 11
	s_delay_alu instid0(VALU_DEP_4) | instskip(SKIP_2) | instid1(VALU_DEP_4)
	v_cmp_ne_u32_e32 vcc_lo, 0, v6
	v_bfe_u32 v10, v3, 20, 11
	v_lshrrev_b32_e32 v17, 16, v1
	v_sub_nc_u32_e32 v12, 0x3f1, v9
	v_cndmask_b32_e64 v6, 0, 1, vcc_lo
	v_cmp_ne_u32_e32 vcc_lo, 0, v2
	v_add_nc_u32_e32 v9, 0xfffffc10, v9
	s_delay_alu instid0(VALU_DEP_3) | instskip(SKIP_3) | instid1(VALU_DEP_3)
	v_and_or_b32 v6, 0xffe, v7, v6
	v_cndmask_b32_e64 v2, 0, 1, vcc_lo
	v_sub_nc_u32_e32 v7, 0x3f1, v10
	v_add_nc_u32_e32 v10, 0xfffffc10, v10
	v_and_or_b32 v2, 0xffe, v11, v2
	v_med3_i32 v11, v12, 0, 13
	v_or_b32_e32 v12, 0x1000, v6
	v_med3_i32 v7, v7, 0, 13
	s_delay_alu instid0(VALU_DEP_4) | instskip(NEXT) | instid1(VALU_DEP_3)
	v_or_b32_e32 v13, 0x1000, v2
	v_lshrrev_b32_e32 v14, v11, v12
	s_delay_alu instid0(VALU_DEP_1) | instskip(NEXT) | instid1(VALU_DEP_1)
	v_lshlrev_b32_e32 v11, v11, v14
	v_cmp_ne_u32_e32 vcc_lo, v11, v12
	v_lshl_or_b32 v12, v9, 12, v6
	v_cndmask_b32_e64 v11, 0, 1, vcc_lo
	s_delay_alu instid0(VALU_DEP_1) | instskip(NEXT) | instid1(VALU_DEP_1)
	v_dual_lshrrev_b32 v15, v7, v13 :: v_dual_bitop2_b32 v11, v14, v11 bitop3:0x54
	v_dual_mov_b32 v14, 0x7e00 :: v_dual_lshlrev_b32 v7, v7, v15
	s_delay_alu instid0(VALU_DEP_1) | instskip(SKIP_3) | instid1(VALU_DEP_2)
	v_cmp_ne_u32_e32 vcc_lo, v7, v13
	v_lshl_or_b32 v13, v10, 12, v2
	v_cndmask_b32_e64 v7, 0, 1, vcc_lo
	v_cmp_gt_i32_e32 vcc_lo, 1, v9
	v_or_b32_e32 v7, v15, v7
	v_cndmask_b32_e32 v11, v12, v11, vcc_lo
	v_cmp_gt_i32_e32 vcc_lo, 1, v10
	s_delay_alu instid0(VALU_DEP_2) | instskip(NEXT) | instid1(VALU_DEP_4)
	v_dual_lshrrev_b32 v11, 2, v11 :: v_dual_bitop2_b32 v12, 7, v11 bitop3:0x40
	v_cndmask_b32_e32 v7, v13, v7, vcc_lo
	s_delay_alu instid0(VALU_DEP_2) | instskip(NEXT) | instid1(VALU_DEP_2)
	v_cmp_lt_i32_e32 vcc_lo, 5, v12
	v_and_b32_e32 v13, 7, v7
	v_cndmask_b32_e64 v15, 0, 1, vcc_lo
	s_delay_alu instid0(VALU_DEP_2) | instskip(SKIP_4) | instid1(VALU_DEP_2)
	v_cmp_lt_i32_e32 vcc_lo, 5, v13
	v_cndmask_b32_e64 v16, 0, 1, vcc_lo
	v_cmp_eq_u32_e32 vcc_lo, 3, v13
	v_cndmask_b32_e64 v13, 0, 1, vcc_lo
	v_cmp_eq_u32_e32 vcc_lo, 3, v12
	v_dual_lshrrev_b32 v7, 2, v7 :: v_dual_bitop2_b32 v13, v13, v16 bitop3:0x54
	v_cndmask_b32_e64 v12, 0, 1, vcc_lo
	v_cmp_ne_u32_e32 vcc_lo, 0, v6
	s_delay_alu instid0(VALU_DEP_3) | instskip(NEXT) | instid1(VALU_DEP_3)
	v_dual_lshrrev_b32 v3, 16, v3 :: v_dual_add_nc_u32 v7, v7, v13
	v_or_b32_e32 v12, v12, v15
	v_cndmask_b32_e32 v6, 0x7c00, v14, vcc_lo
	v_cmp_ne_u32_e32 vcc_lo, 0, v2
	s_delay_alu instid0(VALU_DEP_3)
	v_add_nc_u32_e32 v11, v11, v12
	v_and_b32_e32 v12, 0x8000, v17
	v_cndmask_b32_e32 v2, 0x7c00, v14, vcc_lo
	v_cmp_gt_i32_e32 vcc_lo, 31, v10
	v_cndmask_b32_e32 v7, 0x7c00, v7, vcc_lo
	v_cmp_gt_i32_e32 vcc_lo, 31, v9
	v_cndmask_b32_e32 v11, 0x7c00, v11, vcc_lo
	v_cmp_eq_u32_e32 vcc_lo, 0x40f, v10
	s_delay_alu instid0(VALU_DEP_4) | instskip(SKIP_1) | instid1(VALU_DEP_2)
	v_cndmask_b32_e32 v2, v7, v2, vcc_lo
	v_cmp_eq_u32_e32 vcc_lo, 0x40f, v9
	v_and_or_b32 v2, 0x8000, v3, v2
	v_cndmask_b32_e32 v6, v11, v6, vcc_lo
	s_delay_alu instid0(VALU_DEP_1) | instskip(NEXT) | instid1(VALU_DEP_1)
	v_bitop3_b32 v3, v12, 0xffff, v6 bitop3:0xc8
	v_lshl_or_b32 v2, v2, 16, v3
	global_store_b32 v[4:5], v2, off
.LBB135_1251:
	s_mov_b32 s56, 0
.LBB135_1252:
	s_delay_alu instid0(SALU_CYCLE_1)
	s_and_not1_b32 vcc_lo, exec_lo, s56
	s_cbranch_vccnz .LBB135_1261
; %bb.1253:
	s_cmp_lt_i32 s31, 6
	s_mov_b32 s56, -1
	s_cbranch_scc1 .LBB135_1259
; %bb.1254:
	s_cmp_gt_i32 s31, 6
	s_cbranch_scc0 .LBB135_1256
; %bb.1255:
	s_mov_b32 s56, 0
	global_store_b64 v[4:5], v[0:1], off
.LBB135_1256:
	s_and_not1_b32 vcc_lo, exec_lo, s56
	s_cbranch_vccnz .LBB135_1258
; %bb.1257:
	s_wait_xcnt 0x0
	s_delay_alu instid0(VALU_DEP_3)
	v_cvt_f32_f64_e32 v2, v[0:1]
	global_store_b32 v[4:5], v2, off
.LBB135_1258:
	s_mov_b32 s56, 0
.LBB135_1259:
	s_delay_alu instid0(SALU_CYCLE_1)
	s_and_not1_b32 vcc_lo, exec_lo, s56
	s_cbranch_vccnz .LBB135_1261
; %bb.1260:
	s_wait_xcnt 0x0
	s_delay_alu instid0(VALU_DEP_3) | instskip(SKIP_2) | instid1(VALU_DEP_3)
	v_and_or_b32 v2, 0x1ff, v1, v0
	v_lshrrev_b32_e32 v3, 8, v1
	v_bfe_u32 v6, v1, 20, 11
	v_cmp_ne_u32_e32 vcc_lo, 0, v2
	s_delay_alu instid0(VALU_DEP_2) | instskip(SKIP_1) | instid1(VALU_DEP_1)
	v_sub_nc_u32_e32 v7, 0x3f1, v6
	v_cndmask_b32_e64 v2, 0, 1, vcc_lo
	v_and_or_b32 v2, 0xffe, v3, v2
	s_delay_alu instid0(VALU_DEP_3) | instskip(NEXT) | instid1(VALU_DEP_2)
	v_med3_i32 v3, v7, 0, 13
	v_or_b32_e32 v7, 0x1000, v2
	s_delay_alu instid0(VALU_DEP_1) | instskip(NEXT) | instid1(VALU_DEP_1)
	v_lshrrev_b32_e32 v9, v3, v7
	v_lshlrev_b32_e32 v3, v3, v9
	s_delay_alu instid0(VALU_DEP_1) | instskip(SKIP_1) | instid1(VALU_DEP_1)
	v_cmp_ne_u32_e32 vcc_lo, v3, v7
	v_cndmask_b32_e64 v3, 0, 1, vcc_lo
	v_or_b32_e32 v3, v9, v3
	v_add_nc_u32_e32 v6, 0xfffffc10, v6
	s_delay_alu instid0(VALU_DEP_1) | instskip(SKIP_1) | instid1(VALU_DEP_2)
	v_lshl_or_b32 v7, v6, 12, v2
	v_cmp_gt_i32_e32 vcc_lo, 1, v6
	v_cndmask_b32_e32 v3, v7, v3, vcc_lo
	s_delay_alu instid0(VALU_DEP_1) | instskip(NEXT) | instid1(VALU_DEP_1)
	v_dual_lshrrev_b32 v3, 2, v3 :: v_dual_bitop2_b32 v7, 7, v3 bitop3:0x40
	v_cmp_lt_i32_e32 vcc_lo, 5, v7
	v_cndmask_b32_e64 v9, 0, 1, vcc_lo
	v_cmp_eq_u32_e32 vcc_lo, 3, v7
	v_cndmask_b32_e64 v7, 0, 1, vcc_lo
	v_cmp_ne_u32_e32 vcc_lo, 0, v2
	s_delay_alu instid0(VALU_DEP_2) | instskip(SKIP_1) | instid1(VALU_DEP_1)
	v_or_b32_e32 v7, v7, v9
	v_mov_b32_e32 v9, 0x7e00
	v_dual_cndmask_b32 v2, 0x7c00, v9 :: v_dual_add_nc_u32 v3, v3, v7
	v_cmp_gt_i32_e32 vcc_lo, 31, v6
	s_delay_alu instid0(VALU_DEP_2) | instskip(SKIP_1) | instid1(VALU_DEP_2)
	v_cndmask_b32_e32 v3, 0x7c00, v3, vcc_lo
	v_cmp_eq_u32_e32 vcc_lo, 0x40f, v6
	v_dual_cndmask_b32 v2, v3, v2 :: v_dual_lshrrev_b32 v3, 16, v1
	s_delay_alu instid0(VALU_DEP_1)
	v_and_or_b32 v2, 0x8000, v3, v2
	global_store_b16 v[4:5], v2, off
.LBB135_1261:
	s_mov_b32 s56, 0
.LBB135_1262:
	s_delay_alu instid0(SALU_CYCLE_1)
	s_and_not1_b32 vcc_lo, exec_lo, s56
	s_cbranch_vccnz .LBB135_1278
; %bb.1263:
	s_cmp_lt_i32 s31, 2
	s_mov_b32 s56, -1
	s_cbranch_scc1 .LBB135_1273
; %bb.1264:
	s_cmp_lt_i32 s31, 3
	s_cbranch_scc1 .LBB135_1270
; %bb.1265:
	s_cmp_gt_i32 s31, 3
	s_cbranch_scc0 .LBB135_1267
; %bb.1266:
	s_wait_xcnt 0x0
	s_delay_alu instid0(VALU_DEP_3) | instskip(SKIP_1) | instid1(VALU_DEP_1)
	v_trunc_f64_e32 v[2:3], v[0:1]
	s_mov_b32 s56, 0
	v_ldexp_f64 v[6:7], v[2:3], 0xffffffe0
	s_delay_alu instid0(VALU_DEP_1) | instskip(NEXT) | instid1(VALU_DEP_1)
	v_floor_f64_e32 v[6:7], v[6:7]
	v_fmamk_f64 v[2:3], v[6:7], 0xc1f00000, v[2:3]
	v_cvt_i32_f64_e32 v7, v[6:7]
	s_delay_alu instid0(VALU_DEP_2)
	v_cvt_u32_f64_e32 v6, v[2:3]
	global_store_b64 v[4:5], v[6:7], off
.LBB135_1267:
	s_and_not1_b32 vcc_lo, exec_lo, s56
	s_cbranch_vccnz .LBB135_1269
; %bb.1268:
	s_wait_xcnt 0x0
	s_delay_alu instid0(VALU_DEP_3)
	v_cvt_i32_f64_e32 v2, v[0:1]
	global_store_b32 v[4:5], v2, off
.LBB135_1269:
	s_mov_b32 s56, 0
.LBB135_1270:
	s_delay_alu instid0(SALU_CYCLE_1)
	s_and_not1_b32 vcc_lo, exec_lo, s56
	s_cbranch_vccnz .LBB135_1272
; %bb.1271:
	s_wait_xcnt 0x0
	s_delay_alu instid0(VALU_DEP_3)
	v_cvt_i32_f64_e32 v2, v[0:1]
	global_store_b16 v[4:5], v2, off
.LBB135_1272:
	s_mov_b32 s56, 0
.LBB135_1273:
	s_delay_alu instid0(SALU_CYCLE_1)
	s_and_not1_b32 vcc_lo, exec_lo, s56
	s_cbranch_vccnz .LBB135_1278
; %bb.1274:
	s_cmp_gt_i32 s31, 0
	s_mov_b32 s31, -1
	s_cbranch_scc0 .LBB135_1276
; %bb.1275:
	s_wait_xcnt 0x0
	s_delay_alu instid0(VALU_DEP_3)
	v_cvt_i32_f64_e32 v2, v[0:1]
	s_mov_b32 s31, 0
	global_store_b8 v[4:5], v2, off
.LBB135_1276:
	s_and_not1_b32 vcc_lo, exec_lo, s31
	s_cbranch_vccnz .LBB135_1278
; %bb.1277:
	s_wait_xcnt 0x0
	s_delay_alu instid0(VALU_DEP_3) | instskip(NEXT) | instid1(VALU_DEP_1)
	v_trunc_f64_e32 v[0:1], v[0:1]
	v_ldexp_f64 v[2:3], v[0:1], 0xffffffe0
	s_delay_alu instid0(VALU_DEP_1) | instskip(NEXT) | instid1(VALU_DEP_1)
	v_floor_f64_e32 v[2:3], v[2:3]
	v_fmamk_f64 v[0:1], v[2:3], 0xc1f00000, v[0:1]
	s_delay_alu instid0(VALU_DEP_1)
	v_cvt_u32_f64_e32 v0, v[0:1]
	global_store_b8 v[4:5], v0, off
.LBB135_1278:
	s_mov_b32 s57, -1
.LBB135_1279:
	s_delay_alu instid0(SALU_CYCLE_1)
	s_and_not1_b32 vcc_lo, exec_lo, s57
	s_cbranch_vccnz .LBB135_1302
; %bb.1280:
	v_add_nc_u32_e32 v8, 0x80, v8
	s_mov_b32 s31, -1
.LBB135_1281:
	s_and_not1_b32 s56, s51, exec_lo
	s_and_b32 s0, s0, exec_lo
	s_and_not1_b32 s57, s52, exec_lo
	s_and_b32 s30, s30, exec_lo
	s_or_b32 s58, s56, s0
	s_or_b32 s56, s57, s30
	s_and_not1_b32 s0, s53, exec_lo
	s_and_b32 s28, s28, exec_lo
	s_and_not1_b32 s30, s50, exec_lo
	s_and_b32 s29, s29, exec_lo
	s_or_b32 s57, s0, s28
	s_or_b32 s0, s30, s29
	s_or_not1_b32 s29, s31, exec_lo
.LBB135_1282:
	s_wait_xcnt 0x0
	s_or_b32 exec_lo, exec_lo, s55
	s_mov_b32 s28, 0
                                        ; implicit-def: $vgpr4
                                        ; implicit-def: $vgpr0
                                        ; implicit-def: $vgpr10
	s_and_saveexec_b32 s55, s29
	s_cbranch_execz .LBB135_1317
; %bb.1283:
	v_cmp_gt_i32_e32 vcc_lo, s43, v8
	s_mov_b32 s29, s0
                                        ; implicit-def: $vgpr4
                                        ; implicit-def: $vgpr0
                                        ; implicit-def: $vgpr10
	s_and_saveexec_b32 s43, vcc_lo
	s_cbranch_execz .LBB135_1316
; %bb.1284:
	s_and_not1_b32 vcc_lo, exec_lo, s35
	s_cbranch_vccnz .LBB135_1290
; %bb.1285:
	s_and_not1_b32 vcc_lo, exec_lo, s44
	s_cbranch_vccnz .LBB135_1291
; %bb.1286:
	s_wait_loadcnt 0x0
	v_dual_mov_b32 v10, 0 :: v_dual_mov_b32 v1, v8
	v_dual_mov_b32 v0, 0 :: v_dual_mov_b32 v4, 0
	s_add_co_i32 s30, s42, 1
	s_mov_b64 s[28:29], 0xffffffffffffffe0
	s_and_b32 s44, s30, 30
	s_add_nc_u64 s[28:29], s[2:3], s[28:29]
	s_mov_b64 s[30:31], s[2:3]
.LBB135_1287:                           ; =>This Inner Loop Header: Depth=1
	s_clause 0x1
	s_load_b128 s[60:63], s[30:31], 0x4
	s_load_b64 s[64:65], s[30:31], 0x14
	s_load_b32 s59, s[28:29], 0xe4
	s_add_co_i32 s44, s44, -2
	s_wait_xcnt 0x0
	s_add_nc_u64 s[30:31], s[30:31], 24
	s_cmp_eq_u32 s44, 0
	s_wait_kmcnt 0x0
	v_mul_hi_u32 v2, s61, v1
	s_delay_alu instid0(VALU_DEP_1) | instskip(NEXT) | instid1(VALU_DEP_1)
	v_add_nc_u32_e32 v2, v1, v2
	v_lshrrev_b32_e32 v2, s62, v2
	s_delay_alu instid0(VALU_DEP_1) | instskip(SKIP_2) | instid1(VALU_DEP_1)
	v_mul_hi_u32 v3, s64, v2
	v_mul_lo_u32 v5, v2, s60
	s_load_b96 s[60:62], s[28:29], 0xec
	v_dual_add_nc_u32 v3, v2, v3 :: v_dual_sub_nc_u32 v5, v1, v5
	s_delay_alu instid0(VALU_DEP_1) | instskip(SKIP_1) | instid1(VALU_DEP_2)
	v_lshrrev_b32_e32 v1, s65, v3
	s_load_b64 s[64:65], s[28:29], 0xfc
	v_mad_u32 v6, v5, s59, v10
	s_wait_xcnt 0x0
	s_add_nc_u64 s[28:29], s[28:29], 32
	v_mul_lo_u32 v3, v1, s63
	s_wait_kmcnt 0x0
	v_mad_u32 v4, v5, s61, v4
	v_mad_u32 v0, v5, s60, v0
	s_delay_alu instid0(VALU_DEP_3) | instskip(NEXT) | instid1(VALU_DEP_1)
	v_sub_nc_u32_e32 v2, v2, v3
	v_mad_u32 v10, v2, s62, v6
	s_delay_alu instid0(VALU_DEP_4) | instskip(NEXT) | instid1(VALU_DEP_4)
	v_mad_u32 v4, v2, s65, v4
	v_mad_u32 v0, v2, s64, v0
	s_cbranch_scc0 .LBB135_1287
; %bb.1288:
	s_bitcmp1_b32 s42, 0
	s_cselect_b32 s42, -1, 0
	s_delay_alu instid0(SALU_CYCLE_1)
	s_and_b32 vcc_lo, exec_lo, s42
	s_cbranch_vccnz .LBB135_1292
; %bb.1289:
	s_load_b96 s[60:62], s[30:31], 0x4
	s_load_b32 s42, s[28:29], 0xe4
	s_wait_xcnt 0x0
	s_load_b64 s[30:31], s[28:29], 0xec
	s_wait_kmcnt 0x0
	v_mul_hi_u32 v2, s61, v1
	s_delay_alu instid0(VALU_DEP_1) | instskip(NEXT) | instid1(VALU_DEP_1)
	v_add_nc_u32_e32 v2, v1, v2
	v_lshrrev_b32_e32 v2, s62, v2
	s_delay_alu instid0(VALU_DEP_1) | instskip(NEXT) | instid1(VALU_DEP_1)
	v_mul_lo_u32 v2, v2, s60
	v_sub_nc_u32_e32 v1, v1, v2
	s_delay_alu instid0(VALU_DEP_1)
	v_mad_u32 v10, v1, s42, v10
	v_mad_u32 v0, v1, s30, v0
	;; [unrolled: 1-line block ×3, first 2 shown]
	s_branch .LBB135_1292
.LBB135_1290:
	s_mov_b32 s28, -1
                                        ; implicit-def: $vgpr4
                                        ; implicit-def: $vgpr0
                                        ; implicit-def: $vgpr10
	s_branch .LBB135_1293
.LBB135_1291:
	s_wait_loadcnt 0x0
	v_dual_mov_b32 v4, 0 :: v_dual_mov_b32 v0, 0
	v_mov_b32_e32 v10, 0
.LBB135_1292:
	s_mov_b32 s28, 0
.LBB135_1293:
	s_delay_alu instid0(SALU_CYCLE_1)
	s_and_not1_b32 vcc_lo, exec_lo, s28
	s_cbranch_vccnz .LBB135_1296
; %bb.1294:
	v_mov_b32_e32 v9, 0
	s_and_not1_b32 vcc_lo, exec_lo, s41
	s_wait_loadcnt 0x0
	s_delay_alu instid0(VALU_DEP_1) | instskip(NEXT) | instid1(VALU_DEP_1)
	v_mul_u64_e32 v[0:1], s[22:23], v[8:9]
	v_add_nc_u32_e32 v0, v8, v1
	s_delay_alu instid0(VALU_DEP_1) | instskip(NEXT) | instid1(VALU_DEP_1)
	v_lshrrev_b32_e32 v2, s14, v0
	v_mul_lo_u32 v0, v2, s12
	s_delay_alu instid0(VALU_DEP_1) | instskip(NEXT) | instid1(VALU_DEP_1)
	v_sub_nc_u32_e32 v0, v8, v0
	v_mul_lo_u32 v10, v0, s40
	v_mul_lo_u32 v4, v0, s17
	;; [unrolled: 1-line block ×3, first 2 shown]
	s_cbranch_vccnz .LBB135_1296
; %bb.1295:
	v_mov_b32_e32 v3, v9
	s_delay_alu instid0(VALU_DEP_1) | instskip(NEXT) | instid1(VALU_DEP_1)
	v_mul_u64_e32 v[6:7], s[26:27], v[2:3]
	v_add_nc_u32_e32 v1, v2, v7
	s_delay_alu instid0(VALU_DEP_1) | instskip(NEXT) | instid1(VALU_DEP_1)
	v_lshrrev_b32_e32 v1, s1, v1
	v_mul_lo_u32 v1, v1, s15
	s_delay_alu instid0(VALU_DEP_1) | instskip(NEXT) | instid1(VALU_DEP_1)
	v_sub_nc_u32_e32 v1, v2, v1
	v_mad_u32 v10, v1, s18, v10
	v_mad_u32 v0, v1, s24, v0
	;; [unrolled: 1-line block ×3, first 2 shown]
.LBB135_1296:
	s_and_b32 s14, s39, 0xff
	s_delay_alu instid0(SALU_CYCLE_1)
	s_cmp_lt_i32 s14, 23
	s_cbranch_scc1 .LBB135_1300
; %bb.1297:
	s_and_b32 s15, 0xffff, s14
	s_delay_alu instid0(SALU_CYCLE_1)
	s_cmp_gt_i32 s15, 43
	s_cbranch_scc0 .LBB135_1301
; %bb.1298:
	s_cmp_gt_i32 s15, 45
	s_cbranch_scc0 .LBB135_1303
; %bb.1299:
	s_cmp_lg_u32 s15, 46
	s_mov_b32 s16, 0
	s_cselect_b32 s1, -1, 0
	s_and_not1_b32 s12, s0, exec_lo
	s_and_b32 s17, s1, exec_lo
	s_mov_b32 s1, -1
	s_or_b32 s12, s12, s17
	s_branch .LBB135_1304
.LBB135_1300:
	s_mov_b32 s15, -1
	s_mov_b32 s1, 0
	s_mov_b32 s12, s0
	s_branch .LBB135_1310
.LBB135_1301:
	s_mov_b32 s16, -1
	s_mov_b32 s1, 0
	s_mov_b32 s12, s0
	s_branch .LBB135_1307
.LBB135_1302:
	s_mov_b32 s31, 0
	s_branch .LBB135_892
.LBB135_1303:
	s_mov_b32 s16, -1
	s_mov_b32 s1, 0
	s_mov_b32 s12, s0
.LBB135_1304:
	s_and_not1_b32 vcc_lo, exec_lo, s16
	s_cbranch_vccnz .LBB135_1306
; %bb.1305:
	s_cmp_eq_u32 s15, 44
	s_cselect_b32 s1, -1, 0
	s_cmp_lg_u32 s15, 44
	s_cselect_b32 s16, -1, 0
	s_and_not1_b32 s12, s12, exec_lo
	s_and_b32 s16, s16, exec_lo
	s_delay_alu instid0(SALU_CYCLE_1)
	s_or_b32 s12, s12, s16
.LBB135_1306:
	s_mov_b32 s16, 0
.LBB135_1307:
	s_delay_alu instid0(SALU_CYCLE_1)
	s_and_b32 vcc_lo, exec_lo, s16
	s_cbranch_vccz .LBB135_1309
; %bb.1308:
	s_cmp_lt_i32 s15, 30
	s_cselect_b32 s1, -1, 0
	s_cmp_gt_i32 s15, 29
	s_cselect_b32 s15, -1, 0
	s_and_not1_b32 s12, s12, exec_lo
	s_and_b32 s15, s15, exec_lo
	s_delay_alu instid0(SALU_CYCLE_1)
	s_or_b32 s12, s12, s15
.LBB135_1309:
	s_mov_b32 s15, 0
.LBB135_1310:
	s_delay_alu instid0(SALU_CYCLE_1)
	s_and_b32 vcc_lo, exec_lo, s15
	s_cbranch_vccz .LBB135_1315
; %bb.1311:
	s_and_b32 s14, 0xffff, s14
	s_mov_b32 s15, -1
	s_cmp_gt_i32 s14, 14
	s_cbranch_scc0 .LBB135_1313
; %bb.1312:
	s_cmp_eq_u32 s14, 15
	s_cselect_b32 s1, -1, 0
	s_cmp_lg_u32 s14, 15
	s_cselect_b32 s15, -1, 0
	s_and_not1_b32 s12, s12, exec_lo
	s_and_b32 s16, s15, exec_lo
	s_mov_b32 s15, 0
	s_or_b32 s12, s12, s16
.LBB135_1313:
	s_and_not1_b32 vcc_lo, exec_lo, s15
	s_cbranch_vccnz .LBB135_1315
; %bb.1314:
	s_cmp_lt_i32 s14, 12
	s_cselect_b32 s1, -1, 0
	s_cmp_gt_i32 s14, 11
	s_cselect_b32 s14, -1, 0
	s_and_not1_b32 s12, s12, exec_lo
	s_and_b32 s14, s14, exec_lo
	s_delay_alu instid0(SALU_CYCLE_1)
	s_or_b32 s12, s12, s14
.LBB135_1315:
	s_and_not1_b32 s14, s0, exec_lo
	s_and_b32 s12, s12, exec_lo
	s_and_b32 s28, s1, exec_lo
	s_or_b32 s29, s14, s12
.LBB135_1316:
	s_or_b32 exec_lo, exec_lo, s43
	s_delay_alu instid0(SALU_CYCLE_1)
	s_and_not1_b32 s0, s0, exec_lo
	s_and_b32 s1, s29, exec_lo
	s_and_b32 s28, s28, exec_lo
	s_or_b32 s0, s0, s1
.LBB135_1317:
	s_or_b32 exec_lo, exec_lo, s55
	s_delay_alu instid0(SALU_CYCLE_1)
	s_and_not1_b32 s1, s51, exec_lo
	s_and_b32 s12, s58, exec_lo
	s_and_not1_b32 s14, s53, exec_lo
	s_or_b32 s51, s1, s12
	s_and_not1_b32 s1, s52, exec_lo
	s_and_b32 s12, s56, exec_lo
	s_and_b32 s15, s57, exec_lo
	s_or_b32 s52, s1, s12
	s_and_not1_b32 s1, s50, exec_lo
	s_and_b32 s12, s0, exec_lo
	s_or_b32 s53, s14, s15
	s_and_b32 s0, s28, exec_lo
	s_or_b32 s50, s1, s12
.LBB135_1318:
	s_or_b32 exec_lo, exec_lo, s54
	s_delay_alu instid0(SALU_CYCLE_1)
	s_and_not1_b32 s1, s45, exec_lo
	s_and_b32 s12, s51, exec_lo
	s_and_not1_b32 s14, s47, exec_lo
	s_or_b32 s45, s1, s12
	s_and_not1_b32 s1, s46, exec_lo
	s_and_b32 s12, s52, exec_lo
	s_and_b32 s15, s53, exec_lo
	s_or_b32 s46, s1, s12
	s_and_not1_b32 s1, s48, exec_lo
	s_and_b32 s12, s50, exec_lo
	s_or_b32 s47, s14, s15
	s_and_b32 s23, s0, exec_lo
	s_or_b32 s48, s1, s12
.LBB135_1319:
	s_or_b32 exec_lo, exec_lo, s49
	s_mov_b32 s14, 0
	s_mov_b32 s1, 0
	s_and_saveexec_b32 s0, s48
	s_cbranch_execnz .LBB135_1334
.LBB135_1320:
	s_or_b32 exec_lo, exec_lo, s0
	s_mov_b32 s16, 0
	s_mov_b32 s15, 0
                                        ; implicit-def: $sgpr0
                                        ; implicit-def: $vgpr6_vgpr7
                                        ; implicit-def: $vgpr2_vgpr3
	s_and_saveexec_b32 s12, s23
	s_cbranch_execnz .LBB135_1324
; %bb.1321:
	s_or_b32 exec_lo, exec_lo, s12
	s_and_saveexec_b32 s8, s47
	s_cbranch_execnz .LBB135_1401
.LBB135_1322:
	s_or_b32 exec_lo, exec_lo, s8
	s_and_saveexec_b32 s8, s14
	s_delay_alu instid0(SALU_CYCLE_1)
	s_xor_b32 s8, exec_lo, s8
	s_cbranch_execnz .LBB135_1402
.LBB135_1323:
	s_or_b32 exec_lo, exec_lo, s8
	s_and_saveexec_b32 s8, s16
	s_cbranch_execnz .LBB135_1403
	s_branch .LBB135_1450
.LBB135_1324:
	s_wait_loadcnt 0x0
	v_mov_b32_e32 v1, 0
	s_and_b32 s0, s38, 0xff
	s_delay_alu instid0(SALU_CYCLE_1) | instskip(NEXT) | instid1(VALU_DEP_1)
	s_cmp_lt_i32 s0, 11
	v_add_nc_u64_e32 v[6:7], s[8:9], v[0:1]
	s_cbranch_scc1 .LBB135_1331
; %bb.1325:
	s_and_b32 s8, 0xffff, s0
	s_delay_alu instid0(SALU_CYCLE_1)
	s_cmp_gt_i32 s8, 25
	s_cbranch_scc0 .LBB135_1332
; %bb.1326:
	s_cmp_gt_i32 s8, 28
	s_cbranch_scc0 .LBB135_1333
; %bb.1327:
	;; [unrolled: 3-line block ×4, first 2 shown]
	s_cmp_eq_u32 s8, 46
	s_cbranch_scc0 .LBB135_1337
; %bb.1330:
	global_load_b32 v0, v[6:7], off
	s_mov_b32 s9, 0
	s_mov_b32 s15, -1
	s_wait_loadcnt 0x0
	v_lshlrev_b32_e32 v1, 16, v0
	v_and_b32_e32 v2, 0xffff0000, v0
	s_delay_alu instid0(VALU_DEP_2) | instskip(NEXT) | instid1(VALU_DEP_2)
	v_cvt_f64_f32_e32 v[0:1], v1
	v_cvt_f64_f32_e32 v[2:3], v2
	s_branch .LBB135_1339
.LBB135_1331:
	s_mov_b32 s8, -1
	s_mov_b32 s9, s47
                                        ; implicit-def: $vgpr2_vgpr3
	s_branch .LBB135_1400
.LBB135_1332:
	s_mov_b32 s9, s47
                                        ; implicit-def: $vgpr2_vgpr3
	s_cbranch_execnz .LBB135_1368
	s_branch .LBB135_1399
.LBB135_1333:
	s_mov_b32 s16, -1
	s_mov_b32 s9, s47
                                        ; implicit-def: $vgpr2_vgpr3
	s_branch .LBB135_1351
.LBB135_1334:
	s_mov_b32 s1, exec_lo
	s_and_not1_b32 s23, s23, exec_lo
	s_trap 2
	s_branch .LBB135_1320
.LBB135_1335:
	s_mov_b32 s16, -1
	s_mov_b32 s9, s47
                                        ; implicit-def: $vgpr2_vgpr3
	s_branch .LBB135_1345
.LBB135_1336:
	s_mov_b32 s16, -1
	s_mov_b32 s9, s47
	s_branch .LBB135_1338
.LBB135_1337:
	s_mov_b32 s9, -1
.LBB135_1338:
                                        ; implicit-def: $vgpr2_vgpr3
.LBB135_1339:
	s_and_b32 vcc_lo, exec_lo, s16
	s_cbranch_vccz .LBB135_1344
; %bb.1340:
	s_cmp_eq_u32 s8, 44
	s_cbranch_scc0 .LBB135_1342
; %bb.1341:
	global_load_u8 v2, v[6:7], off
	s_mov_b32 s9, 0
	s_mov_b32 s15, -1
	s_wait_loadcnt 0x0
	v_cmp_ne_u32_e32 vcc_lo, 0xff, v2
	v_lshlrev_b32_e32 v0, 23, v2
	s_delay_alu instid0(VALU_DEP_1) | instskip(NEXT) | instid1(VALU_DEP_1)
	v_cvt_f64_f32_e32 v[0:1], v0
	v_cndmask_b32_e32 v0, 0x20000000, v0, vcc_lo
	s_delay_alu instid0(VALU_DEP_2) | instskip(SKIP_1) | instid1(VALU_DEP_2)
	v_cndmask_b32_e32 v1, 0x7ff80000, v1, vcc_lo
	v_cmp_ne_u32_e32 vcc_lo, 0, v2
	v_cndmask_b32_e32 v1, 0x38000000, v1, vcc_lo
	s_delay_alu instid0(VALU_DEP_4)
	v_cndmask_b32_e32 v0, 0, v0, vcc_lo
	s_branch .LBB135_1343
.LBB135_1342:
	s_mov_b32 s9, -1
                                        ; implicit-def: $vgpr0_vgpr1
.LBB135_1343:
	v_mov_b64_e32 v[2:3], 0
.LBB135_1344:
	s_mov_b32 s16, 0
.LBB135_1345:
	s_delay_alu instid0(SALU_CYCLE_1)
	s_and_b32 vcc_lo, exec_lo, s16
	s_cbranch_vccz .LBB135_1350
; %bb.1346:
	s_cmp_eq_u32 s8, 29
	s_cbranch_scc0 .LBB135_1348
; %bb.1347:
	global_load_b64 v[0:1], v[6:7], off
	s_mov_b32 s9, 0
	s_mov_b32 s15, -1
	s_wait_loadcnt 0x0
	v_cvt_f64_u32_e32 v[2:3], v1
	v_cvt_f64_u32_e32 v[0:1], v0
	s_delay_alu instid0(VALU_DEP_2) | instskip(NEXT) | instid1(VALU_DEP_1)
	v_ldexp_f64 v[2:3], v[2:3], 32
	v_add_f64_e32 v[0:1], v[2:3], v[0:1]
	s_branch .LBB135_1349
.LBB135_1348:
	s_mov_b32 s9, -1
                                        ; implicit-def: $vgpr0_vgpr1
.LBB135_1349:
	v_mov_b64_e32 v[2:3], 0
.LBB135_1350:
	s_mov_b32 s16, 0
.LBB135_1351:
	s_delay_alu instid0(SALU_CYCLE_1)
	s_and_b32 vcc_lo, exec_lo, s16
	s_cbranch_vccz .LBB135_1367
; %bb.1352:
	s_cmp_lt_i32 s8, 27
	s_cbranch_scc1 .LBB135_1355
; %bb.1353:
	s_cmp_gt_i32 s8, 27
	s_cbranch_scc0 .LBB135_1356
; %bb.1354:
	global_load_b32 v0, v[6:7], off
	s_mov_b32 s15, 0
	s_wait_loadcnt 0x0
	v_cvt_f64_u32_e32 v[0:1], v0
	s_branch .LBB135_1357
.LBB135_1355:
	s_mov_b32 s15, -1
                                        ; implicit-def: $vgpr0_vgpr1
	s_branch .LBB135_1360
.LBB135_1356:
	s_mov_b32 s15, -1
                                        ; implicit-def: $vgpr0_vgpr1
.LBB135_1357:
	s_delay_alu instid0(SALU_CYCLE_1)
	s_and_not1_b32 vcc_lo, exec_lo, s15
	s_cbranch_vccnz .LBB135_1359
; %bb.1358:
	global_load_u16 v0, v[6:7], off
	s_wait_loadcnt 0x0
	v_cvt_f64_u32_e32 v[0:1], v0
.LBB135_1359:
	s_mov_b32 s15, 0
.LBB135_1360:
	s_delay_alu instid0(SALU_CYCLE_1)
	s_and_not1_b32 vcc_lo, exec_lo, s15
	s_cbranch_vccnz .LBB135_1366
; %bb.1361:
	global_load_u8 v2, v[6:7], off
	s_mov_b32 s15, 0
	s_mov_b32 s16, exec_lo
	s_wait_loadcnt 0x0
	v_cmpx_lt_i16_e32 0x7f, v2
	s_xor_b32 s16, exec_lo, s16
	s_cbranch_execnz .LBB135_1378
; %bb.1362:
	s_or_saveexec_b32 s16, s16
	v_mov_b64_e32 v[0:1], 0x7ff8000020000000
	s_xor_b32 exec_lo, exec_lo, s16
	s_cbranch_execnz .LBB135_1381
.LBB135_1363:
	s_or_b32 exec_lo, exec_lo, s16
	s_and_saveexec_b32 s16, s15
	s_cbranch_execz .LBB135_1365
.LBB135_1364:
	v_and_b32_e32 v0, 0xffff, v2
	s_delay_alu instid0(VALU_DEP_1) | instskip(SKIP_1) | instid1(VALU_DEP_2)
	v_and_b32_e32 v1, 7, v0
	v_bfe_u32 v8, v0, 3, 4
	v_clz_i32_u32_e32 v3, v1
	s_delay_alu instid0(VALU_DEP_2) | instskip(NEXT) | instid1(VALU_DEP_2)
	v_cmp_eq_u32_e32 vcc_lo, 0, v8
	v_min_u32_e32 v3, 32, v3
	s_delay_alu instid0(VALU_DEP_1) | instskip(NEXT) | instid1(VALU_DEP_1)
	v_subrev_nc_u32_e32 v5, 28, v3
	v_dual_lshlrev_b32 v0, v5, v0 :: v_dual_sub_nc_u32 v3, 29, v3
	s_delay_alu instid0(VALU_DEP_1) | instskip(NEXT) | instid1(VALU_DEP_1)
	v_dual_lshlrev_b32 v2, 24, v2 :: v_dual_bitop2_b32 v0, 7, v0 bitop3:0x40
	v_dual_cndmask_b32 v3, v8, v3 :: v_dual_cndmask_b32 v0, v1, v0
	s_delay_alu instid0(VALU_DEP_2) | instskip(NEXT) | instid1(VALU_DEP_2)
	v_and_b32_e32 v1, 0x80000000, v2
	v_lshl_add_u32 v2, v3, 23, 0x3b800000
	s_delay_alu instid0(VALU_DEP_3) | instskip(NEXT) | instid1(VALU_DEP_1)
	v_lshlrev_b32_e32 v0, 20, v0
	v_or3_b32 v0, v1, v2, v0
	s_delay_alu instid0(VALU_DEP_1)
	v_cvt_f64_f32_e32 v[0:1], v0
.LBB135_1365:
	s_or_b32 exec_lo, exec_lo, s16
.LBB135_1366:
	v_mov_b64_e32 v[2:3], 0
	s_mov_b32 s15, -1
.LBB135_1367:
	s_branch .LBB135_1399
.LBB135_1368:
	s_cmp_gt_i32 s8, 22
	s_cbranch_scc0 .LBB135_1376
; %bb.1369:
	s_cmp_lt_i32 s8, 24
	s_cbranch_scc1 .LBB135_1377
; %bb.1370:
	s_cmp_gt_i32 s8, 24
	s_cbranch_scc0 .LBB135_1382
; %bb.1371:
	global_load_u8 v2, v[6:7], off
	s_mov_b32 s15, exec_lo
	s_wait_loadcnt 0x0
	v_cmpx_lt_i16_e32 0x7f, v2
	s_xor_b32 s15, exec_lo, s15
	s_cbranch_execnz .LBB135_1466
; %bb.1372:
	s_or_saveexec_b32 s15, s15
	v_mov_b64_e32 v[0:1], 0x7ff8000020000000
	s_xor_b32 exec_lo, exec_lo, s15
	s_cbranch_execnz .LBB135_1469
.LBB135_1373:
	s_or_b32 exec_lo, exec_lo, s15
	s_and_saveexec_b32 s15, s14
	s_cbranch_execz .LBB135_1375
.LBB135_1374:
	v_and_b32_e32 v0, 0xffff, v2
	s_delay_alu instid0(VALU_DEP_1) | instskip(SKIP_1) | instid1(VALU_DEP_2)
	v_and_b32_e32 v1, 3, v0
	v_bfe_u32 v8, v0, 2, 5
	v_clz_i32_u32_e32 v3, v1
	s_delay_alu instid0(VALU_DEP_2) | instskip(NEXT) | instid1(VALU_DEP_2)
	v_cmp_eq_u32_e32 vcc_lo, 0, v8
	v_min_u32_e32 v3, 32, v3
	s_delay_alu instid0(VALU_DEP_1) | instskip(NEXT) | instid1(VALU_DEP_1)
	v_subrev_nc_u32_e32 v5, 29, v3
	v_dual_lshlrev_b32 v0, v5, v0 :: v_dual_sub_nc_u32 v3, 30, v3
	s_delay_alu instid0(VALU_DEP_1) | instskip(NEXT) | instid1(VALU_DEP_1)
	v_dual_lshlrev_b32 v2, 24, v2 :: v_dual_bitop2_b32 v0, 3, v0 bitop3:0x40
	v_dual_cndmask_b32 v3, v8, v3 :: v_dual_cndmask_b32 v0, v1, v0
	s_delay_alu instid0(VALU_DEP_2) | instskip(NEXT) | instid1(VALU_DEP_2)
	v_and_b32_e32 v1, 0x80000000, v2
	v_lshl_add_u32 v2, v3, 23, 0x37800000
	s_delay_alu instid0(VALU_DEP_3) | instskip(NEXT) | instid1(VALU_DEP_1)
	v_lshlrev_b32_e32 v0, 21, v0
	v_or3_b32 v0, v1, v2, v0
	s_delay_alu instid0(VALU_DEP_1)
	v_cvt_f64_f32_e32 v[0:1], v0
.LBB135_1375:
	s_or_b32 exec_lo, exec_lo, s15
	s_mov_b32 s14, 0
	s_branch .LBB135_1383
.LBB135_1376:
	s_mov_b32 s14, -1
                                        ; implicit-def: $vgpr0_vgpr1
	s_branch .LBB135_1389
.LBB135_1377:
	s_mov_b32 s14, -1
                                        ; implicit-def: $vgpr0_vgpr1
	s_branch .LBB135_1386
.LBB135_1378:
	s_mov_b32 s15, -1
	s_mov_b32 s17, exec_lo
	v_cmpx_eq_u16_e32 0x80, v2
; %bb.1379:
	s_xor_b32 s15, exec_lo, -1
; %bb.1380:
	s_or_b32 exec_lo, exec_lo, s17
	s_delay_alu instid0(SALU_CYCLE_1)
	s_and_b32 s15, s15, exec_lo
	s_or_saveexec_b32 s16, s16
	v_mov_b64_e32 v[0:1], 0x7ff8000020000000
	s_xor_b32 exec_lo, exec_lo, s16
	s_cbranch_execz .LBB135_1363
.LBB135_1381:
	v_cmp_ne_u16_e32 vcc_lo, 0, v2
	v_mov_b64_e32 v[0:1], 0
	s_and_not1_b32 s15, s15, exec_lo
	s_and_b32 s17, vcc_lo, exec_lo
	s_delay_alu instid0(SALU_CYCLE_1)
	s_or_b32 s15, s15, s17
	s_or_b32 exec_lo, exec_lo, s16
	s_and_saveexec_b32 s16, s15
	s_cbranch_execnz .LBB135_1364
	s_branch .LBB135_1365
.LBB135_1382:
	s_mov_b32 s14, -1
                                        ; implicit-def: $vgpr0_vgpr1
.LBB135_1383:
	s_delay_alu instid0(SALU_CYCLE_1)
	s_and_b32 vcc_lo, exec_lo, s14
	s_cbranch_vccz .LBB135_1385
; %bb.1384:
	global_load_u8 v0, v[6:7], off
	s_wait_loadcnt 0x0
	v_lshlrev_b32_e32 v0, 24, v0
	s_delay_alu instid0(VALU_DEP_1) | instskip(NEXT) | instid1(VALU_DEP_1)
	v_and_b32_e32 v1, 0x7f000000, v0
	v_clz_i32_u32_e32 v2, v1
	v_add_nc_u32_e32 v5, 0x1000000, v1
	v_cmp_ne_u32_e32 vcc_lo, 0, v1
	s_delay_alu instid0(VALU_DEP_3) | instskip(NEXT) | instid1(VALU_DEP_1)
	v_min_u32_e32 v2, 32, v2
	v_sub_nc_u32_e64 v2, v2, 4 clamp
	s_delay_alu instid0(VALU_DEP_1) | instskip(NEXT) | instid1(VALU_DEP_1)
	v_dual_lshlrev_b32 v3, v2, v1 :: v_dual_lshlrev_b32 v2, 23, v2
	v_lshrrev_b32_e32 v3, 4, v3
	s_delay_alu instid0(VALU_DEP_1) | instskip(NEXT) | instid1(VALU_DEP_1)
	v_dual_sub_nc_u32 v2, v3, v2 :: v_dual_ashrrev_i32 v3, 8, v5
	v_add_nc_u32_e32 v2, 0x3c000000, v2
	s_delay_alu instid0(VALU_DEP_1) | instskip(NEXT) | instid1(VALU_DEP_1)
	v_and_or_b32 v2, 0x7f800000, v3, v2
	v_cndmask_b32_e32 v1, 0, v2, vcc_lo
	s_delay_alu instid0(VALU_DEP_1) | instskip(NEXT) | instid1(VALU_DEP_1)
	v_and_or_b32 v0, 0x80000000, v0, v1
	v_cvt_f64_f32_e32 v[0:1], v0
.LBB135_1385:
	s_mov_b32 s14, 0
.LBB135_1386:
	s_delay_alu instid0(SALU_CYCLE_1)
	s_and_not1_b32 vcc_lo, exec_lo, s14
	s_cbranch_vccnz .LBB135_1388
; %bb.1387:
	global_load_u8 v0, v[6:7], off
	s_wait_loadcnt 0x0
	v_lshlrev_b32_e32 v1, 25, v0
	v_lshlrev_b16 v0, 8, v0
	s_delay_alu instid0(VALU_DEP_1) | instskip(SKIP_1) | instid1(VALU_DEP_2)
	v_and_or_b32 v3, 0x7f00, v0, 0.5
	v_bfe_i32 v0, v0, 0, 16
	v_dual_add_f32 v3, -0.5, v3 :: v_dual_lshrrev_b32 v2, 4, v1
	v_cmp_gt_u32_e32 vcc_lo, 0x8000000, v1
	s_delay_alu instid0(VALU_DEP_2) | instskip(NEXT) | instid1(VALU_DEP_1)
	v_or_b32_e32 v2, 0x70000000, v2
	v_mul_f32_e32 v2, 0x7800000, v2
	s_delay_alu instid0(VALU_DEP_1) | instskip(NEXT) | instid1(VALU_DEP_1)
	v_cndmask_b32_e32 v1, v2, v3, vcc_lo
	v_and_or_b32 v0, 0x80000000, v0, v1
	s_delay_alu instid0(VALU_DEP_1)
	v_cvt_f64_f32_e32 v[0:1], v0
.LBB135_1388:
	s_mov_b32 s14, 0
	s_mov_b32 s15, -1
.LBB135_1389:
	s_and_not1_b32 vcc_lo, exec_lo, s14
	s_mov_b32 s14, 0
	s_cbranch_vccnz .LBB135_1398
; %bb.1390:
	s_cmp_gt_i32 s8, 14
	s_cbranch_scc0 .LBB135_1393
; %bb.1391:
	s_cmp_eq_u32 s8, 15
	s_cbranch_scc0 .LBB135_1394
; %bb.1392:
	global_load_u16 v0, v[6:7], off
	s_mov_b32 s9, 0
	s_mov_b32 s15, -1
	s_wait_loadcnt 0x0
	v_lshlrev_b32_e32 v0, 16, v0
	s_delay_alu instid0(VALU_DEP_1)
	v_cvt_f64_f32_e32 v[0:1], v0
	s_branch .LBB135_1396
.LBB135_1393:
	s_mov_b32 s14, -1
	s_branch .LBB135_1395
.LBB135_1394:
	s_mov_b32 s9, -1
.LBB135_1395:
                                        ; implicit-def: $vgpr0_vgpr1
.LBB135_1396:
	s_and_b32 vcc_lo, exec_lo, s14
	s_mov_b32 s14, 0
	s_cbranch_vccz .LBB135_1398
; %bb.1397:
	s_cmp_lg_u32 s8, 11
	s_mov_b32 s14, -1
	s_cselect_b32 s8, -1, 0
	s_and_not1_b32 s9, s9, exec_lo
	s_and_b32 s8, s8, exec_lo
	s_delay_alu instid0(SALU_CYCLE_1)
	s_or_b32 s9, s9, s8
.LBB135_1398:
	v_mov_b64_e32 v[2:3], 0
.LBB135_1399:
	s_mov_b32 s8, 0
.LBB135_1400:
	s_delay_alu instid0(SALU_CYCLE_1)
	s_and_b32 s16, s8, exec_lo
	s_and_not1_b32 s8, s47, exec_lo
	s_and_b32 s9, s9, exec_lo
	s_and_b32 s15, s15, exec_lo
	;; [unrolled: 1-line block ×3, first 2 shown]
	s_or_b32 s47, s8, s9
	s_wait_xcnt 0x0
	s_or_b32 exec_lo, exec_lo, s12
	s_and_saveexec_b32 s8, s47
	s_cbranch_execz .LBB135_1322
.LBB135_1401:
	s_or_b32 s1, s1, exec_lo
	s_and_not1_b32 s14, s14, exec_lo
	s_trap 2
	s_or_b32 exec_lo, exec_lo, s8
	s_and_saveexec_b32 s8, s14
	s_delay_alu instid0(SALU_CYCLE_1)
	s_xor_b32 s8, exec_lo, s8
	s_cbranch_execz .LBB135_1323
.LBB135_1402:
	s_wait_loadcnt 0x0
	global_load_u8 v0, v[6:7], off
	v_mov_b64_e32 v[2:3], 0
	s_or_b32 s15, s15, exec_lo
	s_wait_loadcnt 0x0
	v_cmp_ne_u16_e32 vcc_lo, 0, v0
	v_mov_b32_e32 v0, 0
	v_cndmask_b32_e64 v1, 0, 0x3ff00000, vcc_lo
	s_wait_xcnt 0x0
	s_or_b32 exec_lo, exec_lo, s8
	s_and_saveexec_b32 s8, s16
	s_cbranch_execz .LBB135_1450
.LBB135_1403:
	s_sext_i32_i16 s9, s0
	s_delay_alu instid0(SALU_CYCLE_1)
	s_cmp_lt_i32 s9, 5
	s_cbranch_scc1 .LBB135_1408
; %bb.1404:
	s_cmp_lt_i32 s9, 8
	s_cbranch_scc1 .LBB135_1409
; %bb.1405:
	;; [unrolled: 3-line block ×3, first 2 shown]
	s_cmp_gt_i32 s9, 9
	s_cbranch_scc0 .LBB135_1411
; %bb.1407:
	s_wait_loadcnt 0x0
	global_load_b128 v[0:3], v[6:7], off
	s_mov_b32 s9, 0
	s_branch .LBB135_1412
.LBB135_1408:
                                        ; implicit-def: $vgpr2_vgpr3
	s_branch .LBB135_1430
.LBB135_1409:
                                        ; implicit-def: $vgpr2_vgpr3
	s_branch .LBB135_1418
.LBB135_1410:
	s_mov_b32 s9, -1
                                        ; implicit-def: $vgpr2_vgpr3
	s_branch .LBB135_1415
.LBB135_1411:
	s_mov_b32 s9, -1
                                        ; implicit-def: $vgpr2_vgpr3
.LBB135_1412:
	s_delay_alu instid0(SALU_CYCLE_1)
	s_and_not1_b32 vcc_lo, exec_lo, s9
	s_cbranch_vccnz .LBB135_1414
; %bb.1413:
	s_wait_loadcnt 0x0
	global_load_b64 v[2:3], v[6:7], off
	s_wait_loadcnt 0x0
	v_cvt_f64_f32_e32 v[0:1], v2
	v_cvt_f64_f32_e32 v[2:3], v3
.LBB135_1414:
	s_mov_b32 s9, 0
.LBB135_1415:
	s_delay_alu instid0(SALU_CYCLE_1)
	s_and_not1_b32 vcc_lo, exec_lo, s9
	s_cbranch_vccnz .LBB135_1417
; %bb.1416:
	s_wait_loadcnt 0x0
	global_load_b32 v0, v[6:7], off
	s_wait_loadcnt 0x0
	v_lshrrev_b32_e32 v1, 16, v0
	v_cvt_f32_f16_e32 v0, v0
	s_delay_alu instid0(VALU_DEP_2) | instskip(NEXT) | instid1(VALU_DEP_2)
	v_cvt_f32_f16_e32 v2, v1
	v_cvt_f64_f32_e32 v[0:1], v0
	s_delay_alu instid0(VALU_DEP_2)
	v_cvt_f64_f32_e32 v[2:3], v2
.LBB135_1417:
	s_cbranch_execnz .LBB135_1429
.LBB135_1418:
	s_sext_i32_i16 s9, s0
	s_delay_alu instid0(SALU_CYCLE_1)
	s_cmp_lt_i32 s9, 6
	s_cbranch_scc1 .LBB135_1421
; %bb.1419:
	s_cmp_gt_i32 s9, 6
	s_cbranch_scc0 .LBB135_1422
; %bb.1420:
	s_wait_loadcnt 0x0
	global_load_b64 v[0:1], v[6:7], off
	s_mov_b32 s9, 0
	s_branch .LBB135_1423
.LBB135_1421:
	s_mov_b32 s9, -1
                                        ; implicit-def: $vgpr0_vgpr1
	s_branch .LBB135_1426
.LBB135_1422:
	s_mov_b32 s9, -1
                                        ; implicit-def: $vgpr0_vgpr1
.LBB135_1423:
	s_delay_alu instid0(SALU_CYCLE_1)
	s_and_not1_b32 vcc_lo, exec_lo, s9
	s_cbranch_vccnz .LBB135_1425
; %bb.1424:
	s_wait_loadcnt 0x0
	global_load_b32 v0, v[6:7], off
	s_wait_loadcnt 0x0
	v_cvt_f64_f32_e32 v[0:1], v0
.LBB135_1425:
	s_mov_b32 s9, 0
.LBB135_1426:
	s_delay_alu instid0(SALU_CYCLE_1)
	s_and_not1_b32 vcc_lo, exec_lo, s9
	s_cbranch_vccnz .LBB135_1428
; %bb.1427:
	s_wait_loadcnt 0x0
	global_load_u16 v0, v[6:7], off
	s_wait_loadcnt 0x0
	v_cvt_f32_f16_e32 v0, v0
	s_delay_alu instid0(VALU_DEP_1)
	v_cvt_f64_f32_e32 v[0:1], v0
.LBB135_1428:
	s_wait_loadcnt 0x0
	v_mov_b64_e32 v[2:3], 0
.LBB135_1429:
	s_cbranch_execnz .LBB135_1449
.LBB135_1430:
	s_sext_i32_i16 s9, s0
	s_delay_alu instid0(SALU_CYCLE_1)
	s_cmp_lt_i32 s9, 2
	s_cbranch_scc1 .LBB135_1434
; %bb.1431:
	s_cmp_lt_i32 s9, 3
	s_cbranch_scc1 .LBB135_1435
; %bb.1432:
	s_cmp_gt_i32 s9, 3
	s_cbranch_scc0 .LBB135_1436
; %bb.1433:
	s_wait_loadcnt 0x0
	global_load_b64 v[0:1], v[6:7], off
	s_mov_b32 s9, 0
	s_wait_loadcnt 0x0
	v_cvt_f64_i32_e32 v[2:3], v1
	v_cvt_f64_u32_e32 v[0:1], v0
	s_delay_alu instid0(VALU_DEP_2) | instskip(NEXT) | instid1(VALU_DEP_1)
	v_ldexp_f64 v[2:3], v[2:3], 32
	v_add_f64_e32 v[0:1], v[2:3], v[0:1]
	s_branch .LBB135_1437
.LBB135_1434:
                                        ; implicit-def: $vgpr0_vgpr1
	s_branch .LBB135_1443
.LBB135_1435:
	s_mov_b32 s9, -1
                                        ; implicit-def: $vgpr0_vgpr1
	s_branch .LBB135_1440
.LBB135_1436:
	s_mov_b32 s9, -1
                                        ; implicit-def: $vgpr0_vgpr1
.LBB135_1437:
	s_delay_alu instid0(SALU_CYCLE_1)
	s_and_not1_b32 vcc_lo, exec_lo, s9
	s_cbranch_vccnz .LBB135_1439
; %bb.1438:
	s_wait_loadcnt 0x0
	global_load_b32 v0, v[6:7], off
	s_wait_loadcnt 0x0
	v_cvt_f64_i32_e32 v[0:1], v0
.LBB135_1439:
	s_mov_b32 s9, 0
.LBB135_1440:
	s_delay_alu instid0(SALU_CYCLE_1)
	s_and_not1_b32 vcc_lo, exec_lo, s9
	s_cbranch_vccnz .LBB135_1442
; %bb.1441:
	s_wait_loadcnt 0x0
	global_load_i16 v0, v[6:7], off
	s_wait_loadcnt 0x0
	v_cvt_f64_i32_e32 v[0:1], v0
.LBB135_1442:
	s_cbranch_execnz .LBB135_1448
.LBB135_1443:
	s_sext_i32_i16 s0, s0
	s_delay_alu instid0(SALU_CYCLE_1)
	s_cmp_gt_i32 s0, 0
	s_mov_b32 s0, 0
	s_cbranch_scc0 .LBB135_1445
; %bb.1444:
	s_wait_loadcnt 0x0
	global_load_i8 v0, v[6:7], off
	s_wait_loadcnt 0x0
	v_cvt_f64_i32_e32 v[0:1], v0
	s_branch .LBB135_1446
.LBB135_1445:
	s_mov_b32 s0, -1
                                        ; implicit-def: $vgpr0_vgpr1
.LBB135_1446:
	s_delay_alu instid0(SALU_CYCLE_1)
	s_and_not1_b32 vcc_lo, exec_lo, s0
	s_cbranch_vccnz .LBB135_1448
; %bb.1447:
	s_wait_loadcnt 0x0
	global_load_u8 v0, v[6:7], off
	s_wait_loadcnt 0x0
	v_cvt_f64_u32_e32 v[0:1], v0
.LBB135_1448:
	s_wait_loadcnt 0x0
	v_mov_b64_e32 v[2:3], 0
.LBB135_1449:
	s_or_b32 s15, s15, exec_lo
.LBB135_1450:
	s_wait_xcnt 0x0
	s_or_b32 exec_lo, exec_lo, s8
	s_mov_b32 s9, 0
	s_mov_b32 s8, 0
	;; [unrolled: 1-line block ×3, first 2 shown]
                                        ; implicit-def: $vgpr12_vgpr13
                                        ; implicit-def: $vgpr8_vgpr9
	s_and_saveexec_b32 s0, s15
	s_cbranch_execnz .LBB135_1454
; %bb.1451:
	s_or_b32 exec_lo, exec_lo, s0
	s_and_saveexec_b32 s0, s46
	s_cbranch_execnz .LBB135_1534
.LBB135_1452:
	s_or_b32 exec_lo, exec_lo, s0
	s_and_saveexec_b32 s0, s9
	s_delay_alu instid0(SALU_CYCLE_1)
	s_xor_b32 s0, exec_lo, s0
	s_cbranch_execnz .LBB135_1535
.LBB135_1453:
	s_or_b32 exec_lo, exec_lo, s0
	s_and_saveexec_b32 s0, s8
	s_cbranch_execnz .LBB135_1536
	s_branch .LBB135_1583
.LBB135_1454:
	s_wait_loadcnt 0x0
	v_mov_b32_e32 v5, 0
	s_and_b32 s8, 0xffff, s13
	s_delay_alu instid0(SALU_CYCLE_1) | instskip(NEXT) | instid1(VALU_DEP_1)
	s_cmp_lt_i32 s8, 11
	v_add_nc_u64_e32 v[12:13], s[10:11], v[4:5]
	s_cbranch_scc1 .LBB135_1461
; %bb.1455:
	s_cmp_gt_i32 s8, 25
	s_mov_b32 s10, 0
	s_cbranch_scc0 .LBB135_1462
; %bb.1456:
	s_cmp_gt_i32 s8, 28
	s_cbranch_scc0 .LBB135_1463
; %bb.1457:
	s_cmp_gt_i32 s8, 43
	;; [unrolled: 3-line block ×3, first 2 shown]
	s_cbranch_scc0 .LBB135_1465
; %bb.1459:
	s_cmp_eq_u32 s8, 46
	s_cbranch_scc0 .LBB135_1470
; %bb.1460:
	global_load_b32 v4, v[12:13], off
	s_mov_b32 s11, -1
	s_wait_loadcnt 0x0
	v_lshlrev_b32_e32 v5, 16, v4
	v_and_b32_e32 v4, 0xffff0000, v4
	s_delay_alu instid0(VALU_DEP_2) | instskip(NEXT) | instid1(VALU_DEP_2)
	v_cvt_f64_f32_e32 v[6:7], v5
	v_cvt_f64_f32_e32 v[8:9], v4
	s_branch .LBB135_1472
.LBB135_1461:
	s_mov_b32 s8, -1
	s_mov_b32 s11, 0
	s_mov_b32 s10, 0
	;; [unrolled: 1-line block ×3, first 2 shown]
                                        ; implicit-def: $vgpr8_vgpr9
	s_branch .LBB135_1533
.LBB135_1462:
	s_mov_b32 s11, 0
	s_mov_b32 s9, s46
                                        ; implicit-def: $vgpr8_vgpr9
	s_cbranch_execnz .LBB135_1501
	s_branch .LBB135_1532
.LBB135_1463:
	s_mov_b32 s12, -1
	s_mov_b32 s11, 0
	s_mov_b32 s9, s46
                                        ; implicit-def: $vgpr8_vgpr9
	s_branch .LBB135_1484
.LBB135_1464:
	s_mov_b32 s12, -1
	s_mov_b32 s11, 0
	s_mov_b32 s9, s46
                                        ; implicit-def: $vgpr8_vgpr9
	s_branch .LBB135_1478
.LBB135_1465:
	s_mov_b32 s12, -1
	s_mov_b32 s11, 0
	s_mov_b32 s9, s46
	s_branch .LBB135_1471
.LBB135_1466:
	s_mov_b32 s14, -1
	s_mov_b32 s16, exec_lo
	v_cmpx_eq_u16_e32 0x80, v2
; %bb.1467:
	s_xor_b32 s14, exec_lo, -1
; %bb.1468:
	s_or_b32 exec_lo, exec_lo, s16
	s_delay_alu instid0(SALU_CYCLE_1)
	s_and_b32 s14, s14, exec_lo
	s_or_saveexec_b32 s15, s15
	v_mov_b64_e32 v[0:1], 0x7ff8000020000000
	s_xor_b32 exec_lo, exec_lo, s15
	s_cbranch_execz .LBB135_1373
.LBB135_1469:
	v_cmp_ne_u16_e32 vcc_lo, 0, v2
	v_mov_b64_e32 v[0:1], 0
	s_and_not1_b32 s14, s14, exec_lo
	s_and_b32 s16, vcc_lo, exec_lo
	s_delay_alu instid0(SALU_CYCLE_1)
	s_or_b32 s14, s14, s16
	s_or_b32 exec_lo, exec_lo, s15
	s_and_saveexec_b32 s15, s14
	s_cbranch_execnz .LBB135_1374
	s_branch .LBB135_1375
.LBB135_1470:
	s_mov_b32 s9, -1
	s_mov_b32 s11, 0
.LBB135_1471:
                                        ; implicit-def: $vgpr8_vgpr9
.LBB135_1472:
	s_and_b32 vcc_lo, exec_lo, s12
	s_cbranch_vccz .LBB135_1477
; %bb.1473:
	s_cmp_eq_u32 s8, 44
	s_cbranch_scc0 .LBB135_1475
; %bb.1474:
	global_load_u8 v6, v[12:13], off
	s_mov_b32 s9, 0
	s_mov_b32 s11, -1
	s_wait_loadcnt 0x0
	v_cmp_ne_u32_e32 vcc_lo, 0xff, v6
	v_lshlrev_b32_e32 v4, 23, v6
	s_delay_alu instid0(VALU_DEP_1) | instskip(NEXT) | instid1(VALU_DEP_1)
	v_cvt_f64_f32_e32 v[4:5], v4
	v_cndmask_b32_e32 v4, 0x20000000, v4, vcc_lo
	s_delay_alu instid0(VALU_DEP_2) | instskip(SKIP_1) | instid1(VALU_DEP_2)
	v_cndmask_b32_e32 v5, 0x7ff80000, v5, vcc_lo
	v_cmp_ne_u32_e32 vcc_lo, 0, v6
	v_cndmask_b32_e32 v7, 0x38000000, v5, vcc_lo
	s_delay_alu instid0(VALU_DEP_4)
	v_cndmask_b32_e32 v6, 0, v4, vcc_lo
	s_branch .LBB135_1476
.LBB135_1475:
	s_mov_b32 s9, -1
                                        ; implicit-def: $vgpr6_vgpr7
.LBB135_1476:
	v_mov_b64_e32 v[8:9], 0
.LBB135_1477:
	s_mov_b32 s12, 0
.LBB135_1478:
	s_delay_alu instid0(SALU_CYCLE_1)
	s_and_b32 vcc_lo, exec_lo, s12
	s_cbranch_vccz .LBB135_1483
; %bb.1479:
	s_cmp_eq_u32 s8, 29
	s_cbranch_scc0 .LBB135_1481
; %bb.1480:
	global_load_b64 v[4:5], v[12:13], off
	s_mov_b32 s9, 0
	s_mov_b32 s11, -1
	s_wait_loadcnt 0x0
	v_cvt_f64_u32_e32 v[6:7], v5
	v_cvt_f64_u32_e32 v[4:5], v4
	s_delay_alu instid0(VALU_DEP_2) | instskip(NEXT) | instid1(VALU_DEP_1)
	v_ldexp_f64 v[6:7], v[6:7], 32
	v_add_f64_e32 v[6:7], v[6:7], v[4:5]
	s_branch .LBB135_1482
.LBB135_1481:
	s_mov_b32 s9, -1
                                        ; implicit-def: $vgpr6_vgpr7
.LBB135_1482:
	v_mov_b64_e32 v[8:9], 0
.LBB135_1483:
	s_mov_b32 s12, 0
.LBB135_1484:
	s_delay_alu instid0(SALU_CYCLE_1)
	s_and_b32 vcc_lo, exec_lo, s12
	s_cbranch_vccz .LBB135_1500
; %bb.1485:
	s_cmp_lt_i32 s8, 27
	s_cbranch_scc1 .LBB135_1488
; %bb.1486:
	s_cmp_gt_i32 s8, 27
	s_cbranch_scc0 .LBB135_1489
; %bb.1487:
	global_load_b32 v4, v[12:13], off
	s_mov_b32 s11, 0
	s_wait_loadcnt 0x0
	v_cvt_f64_u32_e32 v[6:7], v4
	s_branch .LBB135_1490
.LBB135_1488:
	s_mov_b32 s11, -1
                                        ; implicit-def: $vgpr6_vgpr7
	s_branch .LBB135_1493
.LBB135_1489:
	s_mov_b32 s11, -1
                                        ; implicit-def: $vgpr6_vgpr7
.LBB135_1490:
	s_delay_alu instid0(SALU_CYCLE_1)
	s_and_not1_b32 vcc_lo, exec_lo, s11
	s_cbranch_vccnz .LBB135_1492
; %bb.1491:
	global_load_u16 v4, v[12:13], off
	s_wait_loadcnt 0x0
	v_cvt_f64_u32_e32 v[6:7], v4
.LBB135_1492:
	s_mov_b32 s11, 0
.LBB135_1493:
	s_delay_alu instid0(SALU_CYCLE_1)
	s_and_not1_b32 vcc_lo, exec_lo, s11
	s_cbranch_vccnz .LBB135_1499
; %bb.1494:
	global_load_u8 v4, v[12:13], off
	s_mov_b32 s11, 0
	s_mov_b32 s12, exec_lo
	s_wait_loadcnt 0x0
	v_cmpx_lt_i16_e32 0x7f, v4
	s_xor_b32 s12, exec_lo, s12
	s_cbranch_execnz .LBB135_1511
; %bb.1495:
	s_or_saveexec_b32 s12, s12
	v_mov_b64_e32 v[6:7], 0x7ff8000020000000
	s_xor_b32 exec_lo, exec_lo, s12
	s_cbranch_execnz .LBB135_1514
.LBB135_1496:
	s_or_b32 exec_lo, exec_lo, s12
	s_and_saveexec_b32 s12, s11
	s_cbranch_execz .LBB135_1498
.LBB135_1497:
	v_and_b32_e32 v5, 0xffff, v4
	s_delay_alu instid0(VALU_DEP_1) | instskip(SKIP_1) | instid1(VALU_DEP_2)
	v_and_b32_e32 v6, 7, v5
	v_bfe_u32 v9, v5, 3, 4
	v_clz_i32_u32_e32 v7, v6
	s_delay_alu instid0(VALU_DEP_2) | instskip(NEXT) | instid1(VALU_DEP_2)
	v_cmp_eq_u32_e32 vcc_lo, 0, v9
	v_min_u32_e32 v7, 32, v7
	s_delay_alu instid0(VALU_DEP_1) | instskip(NEXT) | instid1(VALU_DEP_1)
	v_subrev_nc_u32_e32 v8, 28, v7
	v_dual_lshlrev_b32 v5, v8, v5 :: v_dual_sub_nc_u32 v7, 29, v7
	s_delay_alu instid0(VALU_DEP_1) | instskip(NEXT) | instid1(VALU_DEP_1)
	v_dual_lshlrev_b32 v4, 24, v4 :: v_dual_bitop2_b32 v5, 7, v5 bitop3:0x40
	v_dual_cndmask_b32 v7, v9, v7, vcc_lo :: v_dual_cndmask_b32 v5, v6, v5, vcc_lo
	s_delay_alu instid0(VALU_DEP_2) | instskip(NEXT) | instid1(VALU_DEP_2)
	v_and_b32_e32 v4, 0x80000000, v4
	v_lshl_add_u32 v6, v7, 23, 0x3b800000
	s_delay_alu instid0(VALU_DEP_3) | instskip(NEXT) | instid1(VALU_DEP_1)
	v_lshlrev_b32_e32 v5, 20, v5
	v_or3_b32 v4, v4, v6, v5
	s_delay_alu instid0(VALU_DEP_1)
	v_cvt_f64_f32_e32 v[6:7], v4
.LBB135_1498:
	s_or_b32 exec_lo, exec_lo, s12
.LBB135_1499:
	v_mov_b64_e32 v[8:9], 0
	s_mov_b32 s11, -1
.LBB135_1500:
	s_branch .LBB135_1532
.LBB135_1501:
	s_cmp_gt_i32 s8, 22
	s_cbranch_scc0 .LBB135_1509
; %bb.1502:
	s_cmp_lt_i32 s8, 24
	s_cbranch_scc1 .LBB135_1510
; %bb.1503:
	s_cmp_gt_i32 s8, 24
	s_cbranch_scc0 .LBB135_1515
; %bb.1504:
	global_load_u8 v4, v[12:13], off
	s_mov_b32 s11, exec_lo
	s_wait_loadcnt 0x0
	v_cmpx_lt_i16_e32 0x7f, v4
	s_xor_b32 s11, exec_lo, s11
	s_cbranch_execnz .LBB135_1595
; %bb.1505:
	s_or_saveexec_b32 s11, s11
	v_mov_b64_e32 v[6:7], 0x7ff8000020000000
	s_xor_b32 exec_lo, exec_lo, s11
	s_cbranch_execnz .LBB135_1598
.LBB135_1506:
	s_or_b32 exec_lo, exec_lo, s11
	s_and_saveexec_b32 s11, s10
	s_cbranch_execz .LBB135_1508
.LBB135_1507:
	v_and_b32_e32 v5, 0xffff, v4
	s_delay_alu instid0(VALU_DEP_1) | instskip(SKIP_1) | instid1(VALU_DEP_2)
	v_and_b32_e32 v6, 3, v5
	v_bfe_u32 v9, v5, 2, 5
	v_clz_i32_u32_e32 v7, v6
	s_delay_alu instid0(VALU_DEP_2) | instskip(NEXT) | instid1(VALU_DEP_2)
	v_cmp_eq_u32_e32 vcc_lo, 0, v9
	v_min_u32_e32 v7, 32, v7
	s_delay_alu instid0(VALU_DEP_1) | instskip(NEXT) | instid1(VALU_DEP_1)
	v_subrev_nc_u32_e32 v8, 29, v7
	v_dual_lshlrev_b32 v5, v8, v5 :: v_dual_sub_nc_u32 v7, 30, v7
	s_delay_alu instid0(VALU_DEP_1) | instskip(NEXT) | instid1(VALU_DEP_1)
	v_dual_lshlrev_b32 v4, 24, v4 :: v_dual_bitop2_b32 v5, 3, v5 bitop3:0x40
	v_dual_cndmask_b32 v7, v9, v7, vcc_lo :: v_dual_cndmask_b32 v5, v6, v5, vcc_lo
	s_delay_alu instid0(VALU_DEP_2) | instskip(NEXT) | instid1(VALU_DEP_2)
	v_and_b32_e32 v4, 0x80000000, v4
	v_lshl_add_u32 v6, v7, 23, 0x37800000
	s_delay_alu instid0(VALU_DEP_3) | instskip(NEXT) | instid1(VALU_DEP_1)
	v_lshlrev_b32_e32 v5, 21, v5
	v_or3_b32 v4, v4, v6, v5
	s_delay_alu instid0(VALU_DEP_1)
	v_cvt_f64_f32_e32 v[6:7], v4
.LBB135_1508:
	s_or_b32 exec_lo, exec_lo, s11
	s_mov_b32 s10, 0
	s_branch .LBB135_1516
.LBB135_1509:
	s_mov_b32 s10, -1
                                        ; implicit-def: $vgpr6_vgpr7
	s_branch .LBB135_1522
.LBB135_1510:
	s_mov_b32 s10, -1
                                        ; implicit-def: $vgpr6_vgpr7
	s_branch .LBB135_1519
.LBB135_1511:
	s_mov_b32 s11, -1
	s_mov_b32 s14, exec_lo
	v_cmpx_eq_u16_e32 0x80, v4
; %bb.1512:
	s_xor_b32 s11, exec_lo, -1
; %bb.1513:
	s_or_b32 exec_lo, exec_lo, s14
	s_delay_alu instid0(SALU_CYCLE_1)
	s_and_b32 s11, s11, exec_lo
	s_or_saveexec_b32 s12, s12
	v_mov_b64_e32 v[6:7], 0x7ff8000020000000
	s_xor_b32 exec_lo, exec_lo, s12
	s_cbranch_execz .LBB135_1496
.LBB135_1514:
	v_cmp_ne_u16_e32 vcc_lo, 0, v4
	v_mov_b64_e32 v[6:7], 0
	s_and_not1_b32 s11, s11, exec_lo
	s_and_b32 s14, vcc_lo, exec_lo
	s_delay_alu instid0(SALU_CYCLE_1)
	s_or_b32 s11, s11, s14
	s_or_b32 exec_lo, exec_lo, s12
	s_and_saveexec_b32 s12, s11
	s_cbranch_execnz .LBB135_1497
	s_branch .LBB135_1498
.LBB135_1515:
	s_mov_b32 s10, -1
                                        ; implicit-def: $vgpr6_vgpr7
.LBB135_1516:
	s_delay_alu instid0(SALU_CYCLE_1)
	s_and_b32 vcc_lo, exec_lo, s10
	s_cbranch_vccz .LBB135_1518
; %bb.1517:
	global_load_u8 v4, v[12:13], off
	s_wait_loadcnt 0x0
	v_lshlrev_b32_e32 v4, 24, v4
	s_delay_alu instid0(VALU_DEP_1) | instskip(NEXT) | instid1(VALU_DEP_1)
	v_and_b32_e32 v5, 0x7f000000, v4
	v_clz_i32_u32_e32 v6, v5
	v_cmp_ne_u32_e32 vcc_lo, 0, v5
	v_add_nc_u32_e32 v8, 0x1000000, v5
	s_delay_alu instid0(VALU_DEP_3) | instskip(NEXT) | instid1(VALU_DEP_1)
	v_min_u32_e32 v6, 32, v6
	v_sub_nc_u32_e64 v6, v6, 4 clamp
	s_delay_alu instid0(VALU_DEP_1) | instskip(NEXT) | instid1(VALU_DEP_1)
	v_dual_lshlrev_b32 v7, v6, v5 :: v_dual_lshlrev_b32 v6, 23, v6
	v_lshrrev_b32_e32 v7, 4, v7
	s_delay_alu instid0(VALU_DEP_1) | instskip(NEXT) | instid1(VALU_DEP_1)
	v_dual_sub_nc_u32 v6, v7, v6 :: v_dual_ashrrev_i32 v7, 8, v8
	v_add_nc_u32_e32 v6, 0x3c000000, v6
	s_delay_alu instid0(VALU_DEP_1) | instskip(NEXT) | instid1(VALU_DEP_1)
	v_and_or_b32 v6, 0x7f800000, v7, v6
	v_cndmask_b32_e32 v5, 0, v6, vcc_lo
	s_delay_alu instid0(VALU_DEP_1) | instskip(NEXT) | instid1(VALU_DEP_1)
	v_and_or_b32 v4, 0x80000000, v4, v5
	v_cvt_f64_f32_e32 v[6:7], v4
.LBB135_1518:
	s_mov_b32 s10, 0
.LBB135_1519:
	s_delay_alu instid0(SALU_CYCLE_1)
	s_and_not1_b32 vcc_lo, exec_lo, s10
	s_cbranch_vccnz .LBB135_1521
; %bb.1520:
	global_load_u8 v4, v[12:13], off
	s_wait_loadcnt 0x0
	v_lshlrev_b32_e32 v5, 25, v4
	v_lshlrev_b16 v4, 8, v4
	s_delay_alu instid0(VALU_DEP_1) | instskip(SKIP_1) | instid1(VALU_DEP_2)
	v_and_or_b32 v7, 0x7f00, v4, 0.5
	v_bfe_i32 v4, v4, 0, 16
	v_dual_add_f32 v7, -0.5, v7 :: v_dual_lshrrev_b32 v6, 4, v5
	v_cmp_gt_u32_e32 vcc_lo, 0x8000000, v5
	s_delay_alu instid0(VALU_DEP_2) | instskip(NEXT) | instid1(VALU_DEP_1)
	v_or_b32_e32 v6, 0x70000000, v6
	v_mul_f32_e32 v6, 0x7800000, v6
	s_delay_alu instid0(VALU_DEP_1) | instskip(NEXT) | instid1(VALU_DEP_1)
	v_cndmask_b32_e32 v5, v6, v7, vcc_lo
	v_and_or_b32 v4, 0x80000000, v4, v5
	s_delay_alu instid0(VALU_DEP_1)
	v_cvt_f64_f32_e32 v[6:7], v4
.LBB135_1521:
	s_mov_b32 s10, 0
	s_mov_b32 s11, -1
.LBB135_1522:
	s_and_not1_b32 vcc_lo, exec_lo, s10
	s_mov_b32 s10, 0
	s_cbranch_vccnz .LBB135_1531
; %bb.1523:
	s_cmp_gt_i32 s8, 14
	s_cbranch_scc0 .LBB135_1526
; %bb.1524:
	s_cmp_eq_u32 s8, 15
	s_cbranch_scc0 .LBB135_1527
; %bb.1525:
	global_load_u16 v4, v[12:13], off
	s_mov_b32 s9, 0
	s_mov_b32 s11, -1
	s_wait_loadcnt 0x0
	v_lshlrev_b32_e32 v4, 16, v4
	s_delay_alu instid0(VALU_DEP_1)
	v_cvt_f64_f32_e32 v[6:7], v4
	s_branch .LBB135_1529
.LBB135_1526:
	s_mov_b32 s10, -1
	s_branch .LBB135_1528
.LBB135_1527:
	s_mov_b32 s9, -1
.LBB135_1528:
                                        ; implicit-def: $vgpr6_vgpr7
.LBB135_1529:
	s_and_b32 vcc_lo, exec_lo, s10
	s_mov_b32 s10, 0
	s_cbranch_vccz .LBB135_1531
; %bb.1530:
	s_cmp_lg_u32 s8, 11
	s_mov_b32 s10, -1
	s_cselect_b32 s8, -1, 0
	s_and_not1_b32 s9, s9, exec_lo
	s_and_b32 s8, s8, exec_lo
	s_delay_alu instid0(SALU_CYCLE_1)
	s_or_b32 s9, s9, s8
.LBB135_1531:
	v_mov_b64_e32 v[8:9], 0
.LBB135_1532:
	s_mov_b32 s8, 0
.LBB135_1533:
	s_and_b32 s12, s11, exec_lo
	s_and_not1_b32 s11, s46, exec_lo
	s_and_b32 s14, s9, exec_lo
	s_and_b32 s8, s8, exec_lo
	;; [unrolled: 1-line block ×3, first 2 shown]
	s_or_b32 s46, s11, s14
	s_wait_xcnt 0x0
	s_or_b32 exec_lo, exec_lo, s0
	s_and_saveexec_b32 s0, s46
	s_cbranch_execz .LBB135_1452
.LBB135_1534:
	s_or_b32 s1, s1, exec_lo
	s_and_not1_b32 s9, s9, exec_lo
	s_trap 2
	s_or_b32 exec_lo, exec_lo, s0
	s_and_saveexec_b32 s0, s9
	s_delay_alu instid0(SALU_CYCLE_1)
	s_xor_b32 s0, exec_lo, s0
	s_cbranch_execz .LBB135_1453
.LBB135_1535:
	s_wait_loadcnt 0x0
	global_load_u8 v4, v[12:13], off
	v_mov_b64_e32 v[8:9], 0
	v_mov_b32_e32 v6, 0
	s_or_b32 s12, s12, exec_lo
	s_wait_loadcnt 0x0
	v_cmp_ne_u16_e32 vcc_lo, 0, v4
	v_cndmask_b32_e64 v7, 0, 0x3ff00000, vcc_lo
	s_wait_xcnt 0x0
	s_or_b32 exec_lo, exec_lo, s0
	s_and_saveexec_b32 s0, s8
	s_cbranch_execz .LBB135_1583
.LBB135_1536:
	s_sext_i32_i16 s8, s13
	s_delay_alu instid0(SALU_CYCLE_1)
	s_cmp_lt_i32 s8, 5
	s_cbranch_scc1 .LBB135_1541
; %bb.1537:
	s_cmp_lt_i32 s8, 8
	s_cbranch_scc1 .LBB135_1542
; %bb.1538:
	s_cmp_lt_i32 s8, 9
	s_cbranch_scc1 .LBB135_1543
; %bb.1539:
	s_cmp_gt_i32 s8, 9
	s_cbranch_scc0 .LBB135_1544
; %bb.1540:
	s_wait_loadcnt 0x0
	global_load_b128 v[6:9], v[12:13], off
	s_mov_b32 s8, 0
	s_branch .LBB135_1545
.LBB135_1541:
                                        ; implicit-def: $vgpr8_vgpr9
	s_branch .LBB135_1563
.LBB135_1542:
                                        ; implicit-def: $vgpr8_vgpr9
	s_branch .LBB135_1551
.LBB135_1543:
	s_mov_b32 s8, -1
                                        ; implicit-def: $vgpr8_vgpr9
	s_branch .LBB135_1548
.LBB135_1544:
	s_mov_b32 s8, -1
                                        ; implicit-def: $vgpr8_vgpr9
.LBB135_1545:
	s_delay_alu instid0(SALU_CYCLE_1)
	s_and_not1_b32 vcc_lo, exec_lo, s8
	s_cbranch_vccnz .LBB135_1547
; %bb.1546:
	s_wait_loadcnt 0x0
	global_load_b64 v[4:5], v[12:13], off
	s_wait_loadcnt 0x0
	v_cvt_f64_f32_e32 v[6:7], v4
	v_cvt_f64_f32_e32 v[8:9], v5
.LBB135_1547:
	s_mov_b32 s8, 0
.LBB135_1548:
	s_delay_alu instid0(SALU_CYCLE_1)
	s_and_not1_b32 vcc_lo, exec_lo, s8
	s_cbranch_vccnz .LBB135_1550
; %bb.1549:
	s_wait_loadcnt 0x0
	global_load_b32 v4, v[12:13], off
	s_wait_loadcnt 0x0
	v_lshrrev_b32_e32 v5, 16, v4
	v_cvt_f32_f16_e32 v4, v4
	s_delay_alu instid0(VALU_DEP_2) | instskip(NEXT) | instid1(VALU_DEP_2)
	v_cvt_f32_f16_e32 v5, v5
	v_cvt_f64_f32_e32 v[6:7], v4
	s_delay_alu instid0(VALU_DEP_2)
	v_cvt_f64_f32_e32 v[8:9], v5
.LBB135_1550:
	s_cbranch_execnz .LBB135_1562
.LBB135_1551:
	s_sext_i32_i16 s8, s13
	s_delay_alu instid0(SALU_CYCLE_1)
	s_cmp_lt_i32 s8, 6
	s_cbranch_scc1 .LBB135_1554
; %bb.1552:
	s_cmp_gt_i32 s8, 6
	s_cbranch_scc0 .LBB135_1555
; %bb.1553:
	s_wait_loadcnt 0x0
	global_load_b64 v[6:7], v[12:13], off
	s_mov_b32 s8, 0
	s_branch .LBB135_1556
.LBB135_1554:
	s_mov_b32 s8, -1
                                        ; implicit-def: $vgpr6_vgpr7
	s_branch .LBB135_1559
.LBB135_1555:
	s_mov_b32 s8, -1
                                        ; implicit-def: $vgpr6_vgpr7
.LBB135_1556:
	s_delay_alu instid0(SALU_CYCLE_1)
	s_and_not1_b32 vcc_lo, exec_lo, s8
	s_cbranch_vccnz .LBB135_1558
; %bb.1557:
	s_wait_loadcnt 0x0
	global_load_b32 v4, v[12:13], off
	s_wait_loadcnt 0x0
	v_cvt_f64_f32_e32 v[6:7], v4
.LBB135_1558:
	s_mov_b32 s8, 0
.LBB135_1559:
	s_delay_alu instid0(SALU_CYCLE_1)
	s_and_not1_b32 vcc_lo, exec_lo, s8
	s_cbranch_vccnz .LBB135_1561
; %bb.1560:
	s_wait_loadcnt 0x0
	global_load_u16 v4, v[12:13], off
	s_wait_loadcnt 0x0
	v_cvt_f32_f16_e32 v4, v4
	s_delay_alu instid0(VALU_DEP_1)
	v_cvt_f64_f32_e32 v[6:7], v4
.LBB135_1561:
	s_wait_loadcnt 0x0
	v_mov_b64_e32 v[8:9], 0
.LBB135_1562:
	s_cbranch_execnz .LBB135_1582
.LBB135_1563:
	s_sext_i32_i16 s8, s13
	s_delay_alu instid0(SALU_CYCLE_1)
	s_cmp_lt_i32 s8, 2
	s_cbranch_scc1 .LBB135_1567
; %bb.1564:
	s_cmp_lt_i32 s8, 3
	s_cbranch_scc1 .LBB135_1568
; %bb.1565:
	s_cmp_gt_i32 s8, 3
	s_cbranch_scc0 .LBB135_1569
; %bb.1566:
	s_wait_loadcnt 0x0
	global_load_b64 v[4:5], v[12:13], off
	s_mov_b32 s8, 0
	s_wait_loadcnt 0x0
	v_cvt_f64_i32_e32 v[6:7], v5
	v_cvt_f64_u32_e32 v[4:5], v4
	s_delay_alu instid0(VALU_DEP_2) | instskip(NEXT) | instid1(VALU_DEP_1)
	v_ldexp_f64 v[6:7], v[6:7], 32
	v_add_f64_e32 v[6:7], v[6:7], v[4:5]
	s_branch .LBB135_1570
.LBB135_1567:
                                        ; implicit-def: $vgpr6_vgpr7
	s_branch .LBB135_1576
.LBB135_1568:
	s_mov_b32 s8, -1
                                        ; implicit-def: $vgpr6_vgpr7
	s_branch .LBB135_1573
.LBB135_1569:
	s_mov_b32 s8, -1
                                        ; implicit-def: $vgpr6_vgpr7
.LBB135_1570:
	s_delay_alu instid0(SALU_CYCLE_1)
	s_and_not1_b32 vcc_lo, exec_lo, s8
	s_cbranch_vccnz .LBB135_1572
; %bb.1571:
	s_wait_loadcnt 0x0
	global_load_b32 v4, v[12:13], off
	s_wait_loadcnt 0x0
	v_cvt_f64_i32_e32 v[6:7], v4
.LBB135_1572:
	s_mov_b32 s8, 0
.LBB135_1573:
	s_delay_alu instid0(SALU_CYCLE_1)
	s_and_not1_b32 vcc_lo, exec_lo, s8
	s_cbranch_vccnz .LBB135_1575
; %bb.1574:
	s_wait_loadcnt 0x0
	global_load_i16 v4, v[12:13], off
	s_wait_loadcnt 0x0
	v_cvt_f64_i32_e32 v[6:7], v4
.LBB135_1575:
	s_cbranch_execnz .LBB135_1581
.LBB135_1576:
	s_sext_i32_i16 s8, s13
	s_delay_alu instid0(SALU_CYCLE_1)
	s_cmp_gt_i32 s8, 0
	s_mov_b32 s8, 0
	s_cbranch_scc0 .LBB135_1578
; %bb.1577:
	s_wait_loadcnt 0x0
	global_load_i8 v4, v[12:13], off
	s_wait_loadcnt 0x0
	v_cvt_f64_i32_e32 v[6:7], v4
	s_branch .LBB135_1579
.LBB135_1578:
	s_mov_b32 s8, -1
                                        ; implicit-def: $vgpr6_vgpr7
.LBB135_1579:
	s_delay_alu instid0(SALU_CYCLE_1)
	s_and_not1_b32 vcc_lo, exec_lo, s8
	s_cbranch_vccnz .LBB135_1581
; %bb.1580:
	s_wait_loadcnt 0x0
	global_load_u8 v4, v[12:13], off
	s_wait_loadcnt 0x0
	v_cvt_f64_u32_e32 v[6:7], v4
.LBB135_1581:
	s_wait_loadcnt 0x0
	v_mov_b64_e32 v[8:9], 0
.LBB135_1582:
	s_or_b32 s12, s12, exec_lo
.LBB135_1583:
	s_wait_xcnt 0x0
	s_or_b32 exec_lo, exec_lo, s0
	s_mov_b32 s0, 0
	s_mov_b32 s10, 0
                                        ; implicit-def: $sgpr8
                                        ; implicit-def: $vgpr12_vgpr13
                                        ; implicit-def: $vgpr4_vgpr5
	s_and_saveexec_b32 s9, s12
	s_cbranch_execnz .LBB135_1587
; %bb.1584:
	s_or_b32 exec_lo, exec_lo, s9
	s_and_saveexec_b32 s4, s45
	s_cbranch_execnz .LBB135_1668
.LBB135_1585:
	s_or_b32 exec_lo, exec_lo, s4
	s_and_saveexec_b32 s4, s0
	s_delay_alu instid0(SALU_CYCLE_1)
	s_xor_b32 s4, exec_lo, s4
	s_cbranch_execnz .LBB135_1669
.LBB135_1586:
	s_or_b32 exec_lo, exec_lo, s4
	s_and_saveexec_b32 s0, s10
	s_delay_alu instid0(SALU_CYCLE_1)
	s_xor_b32 s0, exec_lo, s0
	s_cbranch_execnz .LBB135_1670
	s_branch .LBB135_1707
.LBB135_1587:
	s_wait_loadcnt 0x0
	s_delay_alu instid0(VALU_DEP_1) | instskip(SKIP_2) | instid1(SALU_CYCLE_1)
	v_dual_mul_f64 v[12:13], s[4:5], v[2:3] :: v_dual_mov_b32 v11, 0
	v_mul_f64_e32 v[2:3], s[6:7], v[2:3]
	s_and_b32 s8, s37, 0xff
	s_cmp_lt_i32 s8, 11
	s_delay_alu instid0(VALU_DEP_2) | instskip(NEXT) | instid1(VALU_DEP_2)
	v_fmac_f64_e32 v[12:13], s[6:7], v[0:1]
	v_fma_f64 v[0:1], s[4:5], v[0:1], -v[2:3]
	s_delay_alu instid0(VALU_DEP_2) | instskip(NEXT) | instid1(VALU_DEP_2)
	v_mul_f64_e32 v[2:3], v[12:13], v[8:9]
	v_mul_f64_e32 v[4:5], v[0:1], v[8:9]
	s_delay_alu instid0(VALU_DEP_2) | instskip(NEXT) | instid1(VALU_DEP_2)
	v_fma_f64 v[2:3], v[0:1], v[6:7], -v[2:3]
	v_fmac_f64_e32 v[4:5], v[12:13], v[6:7]
	v_add_nc_u64_e32 v[12:13], s[20:21], v[10:11]
	s_cbranch_scc1 .LBB135_1594
; %bb.1588:
	s_and_b32 s4, 0xffff, s8
	s_mov_b32 s5, -1
	s_cmp_gt_i32 s4, 25
	s_mov_b32 s0, s45
	s_cbranch_scc0 .LBB135_1626
; %bb.1589:
	s_cmp_gt_i32 s4, 28
	s_mov_b32 s0, s45
	s_cbranch_scc0 .LBB135_1610
; %bb.1590:
	;; [unrolled: 4-line block ×4, first 2 shown]
	s_cmp_eq_u32 s4, 46
	s_mov_b32 s0, -1
	s_cbranch_scc0 .LBB135_1599
; %bb.1593:
	s_delay_alu instid0(VALU_DEP_2) | instskip(NEXT) | instid1(VALU_DEP_4)
	v_cvt_f32_f64_e32 v0, v[4:5]
	v_cvt_f32_f64_e32 v1, v[2:3]
	s_mov_b32 s0, 0
	s_mov_b32 s5, 0
	s_delay_alu instid0(VALU_DEP_2) | instskip(NEXT) | instid1(VALU_DEP_2)
	v_bfe_u32 v6, v0, 16, 1
	v_bfe_u32 v7, v1, 16, 1
	v_cmp_o_f32_e32 vcc_lo, v0, v0
	s_delay_alu instid0(VALU_DEP_3) | instskip(NEXT) | instid1(VALU_DEP_3)
	v_add3_u32 v6, v0, v6, 0x7fff
	v_add3_u32 v7, v1, v7, 0x7fff
	s_delay_alu instid0(VALU_DEP_2) | instskip(NEXT) | instid1(VALU_DEP_1)
	v_and_b32_e32 v6, 0xffff0000, v6
	v_dual_cndmask_b32 v0, 0x7fc00000, v6 :: v_dual_lshrrev_b32 v7, 16, v7
	v_cmp_o_f32_e32 vcc_lo, v1, v1
	s_delay_alu instid0(VALU_DEP_2) | instskip(NEXT) | instid1(VALU_DEP_1)
	v_cndmask_b32_e32 v1, 0x7fc0, v7, vcc_lo
	v_or_b32_e32 v0, v0, v1
	global_store_b32 v[12:13], v0, off
	s_branch .LBB135_1600
.LBB135_1594:
	s_mov_b32 s6, 0
	s_mov_b32 s5, -1
	s_mov_b32 s0, s45
	s_branch .LBB135_1667
.LBB135_1595:
	s_mov_b32 s10, -1
	s_mov_b32 s12, exec_lo
	v_cmpx_eq_u16_e32 0x80, v4
; %bb.1596:
	s_xor_b32 s10, exec_lo, -1
; %bb.1597:
	s_or_b32 exec_lo, exec_lo, s12
	s_delay_alu instid0(SALU_CYCLE_1)
	s_and_b32 s10, s10, exec_lo
	s_or_saveexec_b32 s11, s11
	v_mov_b64_e32 v[6:7], 0x7ff8000020000000
	s_xor_b32 exec_lo, exec_lo, s11
	s_cbranch_execz .LBB135_1506
.LBB135_1598:
	v_cmp_ne_u16_e32 vcc_lo, 0, v4
	v_mov_b64_e32 v[6:7], 0
	s_and_not1_b32 s10, s10, exec_lo
	s_and_b32 s12, vcc_lo, exec_lo
	s_delay_alu instid0(SALU_CYCLE_1)
	s_or_b32 s10, s10, s12
	s_or_b32 exec_lo, exec_lo, s11
	s_and_saveexec_b32 s11, s10
	s_cbranch_execnz .LBB135_1507
	s_branch .LBB135_1508
.LBB135_1599:
	s_mov_b32 s5, 0
.LBB135_1600:
	s_delay_alu instid0(SALU_CYCLE_1)
	s_and_b32 vcc_lo, exec_lo, s5
	s_cbranch_vccz .LBB135_1605
; %bb.1601:
	s_cmp_eq_u32 s4, 44
	s_mov_b32 s0, -1
	s_cbranch_scc0 .LBB135_1605
; %bb.1602:
	s_wait_xcnt 0x0
	s_delay_alu instid0(VALU_DEP_3) | instskip(SKIP_2) | instid1(VALU_DEP_2)
	v_cvt_f32_f64_e32 v0, v[2:3]
	v_mov_b32_e32 v1, 0xff
	s_mov_b32 s5, exec_lo
	v_bfe_u32 v6, v0, 23, 8
	s_delay_alu instid0(VALU_DEP_1)
	v_cmpx_ne_u32_e32 0xff, v6
	s_cbranch_execz .LBB135_1604
; %bb.1603:
	v_and_b32_e32 v1, 0x400000, v0
	v_and_or_b32 v6, 0x3fffff, v0, v6
	v_lshrrev_b32_e32 v0, 23, v0
	s_delay_alu instid0(VALU_DEP_3) | instskip(NEXT) | instid1(VALU_DEP_3)
	v_cmp_ne_u32_e32 vcc_lo, 0, v1
	v_cmp_ne_u32_e64 s0, 0, v6
	s_and_b32 s0, vcc_lo, s0
	s_delay_alu instid0(SALU_CYCLE_1) | instskip(NEXT) | instid1(VALU_DEP_1)
	v_cndmask_b32_e64 v1, 0, 1, s0
	v_add_nc_u32_e32 v1, v0, v1
.LBB135_1604:
	s_or_b32 exec_lo, exec_lo, s5
	s_mov_b32 s0, 0
	global_store_b8 v[12:13], v1, off
.LBB135_1605:
	s_mov_b32 s5, 0
.LBB135_1606:
	s_delay_alu instid0(SALU_CYCLE_1)
	s_and_b32 vcc_lo, exec_lo, s5
	s_cbranch_vccz .LBB135_1609
; %bb.1607:
	s_cmp_eq_u32 s4, 29
	s_mov_b32 s0, -1
	s_cbranch_scc0 .LBB135_1609
; %bb.1608:
	s_wait_xcnt 0x0
	s_delay_alu instid0(VALU_DEP_3) | instskip(SKIP_2) | instid1(VALU_DEP_1)
	v_trunc_f64_e32 v[0:1], v[2:3]
	s_mov_b32 s0, 0
	s_mov_b32 s5, 0
	v_ldexp_f64 v[6:7], v[0:1], 0xffffffe0
	s_delay_alu instid0(VALU_DEP_1) | instskip(NEXT) | instid1(VALU_DEP_1)
	v_floor_f64_e32 v[6:7], v[6:7]
	v_fmamk_f64 v[0:1], v[6:7], 0xc1f00000, v[0:1]
	v_cvt_u32_f64_e32 v7, v[6:7]
	s_delay_alu instid0(VALU_DEP_2)
	v_cvt_u32_f64_e32 v6, v[0:1]
	global_store_b64 v[12:13], v[6:7], off
	s_branch .LBB135_1610
.LBB135_1609:
	s_mov_b32 s5, 0
.LBB135_1610:
	s_delay_alu instid0(SALU_CYCLE_1)
	s_and_b32 vcc_lo, exec_lo, s5
	s_cbranch_vccz .LBB135_1625
; %bb.1611:
	s_cmp_lt_i32 s4, 27
	s_mov_b32 s5, -1
	s_cbranch_scc1 .LBB135_1617
; %bb.1612:
	s_cmp_gt_i32 s4, 27
	s_cbranch_scc0 .LBB135_1614
; %bb.1613:
	s_wait_xcnt 0x0
	s_delay_alu instid0(VALU_DEP_3)
	v_cvt_u32_f64_e32 v0, v[2:3]
	s_mov_b32 s5, 0
	global_store_b32 v[12:13], v0, off
.LBB135_1614:
	s_and_not1_b32 vcc_lo, exec_lo, s5
	s_cbranch_vccnz .LBB135_1616
; %bb.1615:
	s_wait_xcnt 0x0
	s_delay_alu instid0(VALU_DEP_3)
	v_cvt_u32_f64_e32 v0, v[2:3]
	global_store_b16 v[12:13], v0, off
.LBB135_1616:
	s_mov_b32 s5, 0
.LBB135_1617:
	s_delay_alu instid0(SALU_CYCLE_1)
	s_and_not1_b32 vcc_lo, exec_lo, s5
	s_cbranch_vccnz .LBB135_1625
; %bb.1618:
	s_wait_xcnt 0x0
	s_delay_alu instid0(VALU_DEP_3) | instskip(SKIP_2) | instid1(VALU_DEP_2)
	v_cvt_f32_f64_e32 v0, v[2:3]
	v_mov_b32_e32 v6, 0x80
	s_mov_b32 s5, exec_lo
	v_and_b32_e32 v1, 0x7fffffff, v0
	s_delay_alu instid0(VALU_DEP_1)
	v_cmpx_gt_u32_e32 0x43800000, v1
	s_cbranch_execz .LBB135_1624
; %bb.1619:
	v_cmp_lt_u32_e32 vcc_lo, 0x3bffffff, v1
	s_mov_b32 s6, 0
                                        ; implicit-def: $vgpr1
	s_and_saveexec_b32 s7, vcc_lo
	s_delay_alu instid0(SALU_CYCLE_1)
	s_xor_b32 s7, exec_lo, s7
	s_cbranch_execnz .LBB135_1784
; %bb.1620:
	s_and_not1_saveexec_b32 s7, s7
	s_cbranch_execnz .LBB135_1785
.LBB135_1621:
	s_or_b32 exec_lo, exec_lo, s7
	v_mov_b32_e32 v6, 0
	s_and_saveexec_b32 s7, s6
.LBB135_1622:
	v_lshrrev_b32_e32 v0, 24, v0
	s_delay_alu instid0(VALU_DEP_1)
	v_and_or_b32 v6, 0x80, v0, v1
.LBB135_1623:
	s_or_b32 exec_lo, exec_lo, s7
.LBB135_1624:
	s_delay_alu instid0(SALU_CYCLE_1)
	s_or_b32 exec_lo, exec_lo, s5
	global_store_b8 v[12:13], v6, off
.LBB135_1625:
	s_mov_b32 s5, 0
.LBB135_1626:
	s_delay_alu instid0(SALU_CYCLE_1)
	s_and_b32 vcc_lo, exec_lo, s5
	s_mov_b32 s5, 0
	s_cbranch_vccz .LBB135_1666
; %bb.1627:
	s_cmp_gt_i32 s4, 22
	s_mov_b32 s6, -1
	s_cbranch_scc0 .LBB135_1659
; %bb.1628:
	s_cmp_lt_i32 s4, 24
	s_cbranch_scc1 .LBB135_1648
; %bb.1629:
	s_cmp_gt_i32 s4, 24
	s_cbranch_scc0 .LBB135_1637
; %bb.1630:
	s_wait_xcnt 0x0
	s_delay_alu instid0(VALU_DEP_3) | instskip(SKIP_2) | instid1(VALU_DEP_2)
	v_cvt_f32_f64_e32 v0, v[2:3]
	v_mov_b32_e32 v6, 0x80
	s_mov_b32 s6, exec_lo
	v_and_b32_e32 v1, 0x7fffffff, v0
	s_delay_alu instid0(VALU_DEP_1)
	v_cmpx_gt_u32_e32 0x47800000, v1
	s_cbranch_execz .LBB135_1636
; %bb.1631:
	v_cmp_lt_u32_e32 vcc_lo, 0x37ffffff, v1
	s_mov_b32 s7, 0
                                        ; implicit-def: $vgpr1
	s_and_saveexec_b32 s10, vcc_lo
	s_delay_alu instid0(SALU_CYCLE_1)
	s_xor_b32 s10, exec_lo, s10
	s_cbranch_execnz .LBB135_1919
; %bb.1632:
	s_and_not1_saveexec_b32 s10, s10
	s_cbranch_execnz .LBB135_1920
.LBB135_1633:
	s_or_b32 exec_lo, exec_lo, s10
	v_mov_b32_e32 v6, 0
	s_and_saveexec_b32 s10, s7
.LBB135_1634:
	v_lshrrev_b32_e32 v0, 24, v0
	s_delay_alu instid0(VALU_DEP_1)
	v_and_or_b32 v6, 0x80, v0, v1
.LBB135_1635:
	s_or_b32 exec_lo, exec_lo, s10
.LBB135_1636:
	s_delay_alu instid0(SALU_CYCLE_1)
	s_or_b32 exec_lo, exec_lo, s6
	s_mov_b32 s6, 0
	global_store_b8 v[12:13], v6, off
.LBB135_1637:
	s_and_b32 vcc_lo, exec_lo, s6
	s_cbranch_vccz .LBB135_1647
; %bb.1638:
	s_wait_xcnt 0x0
	s_delay_alu instid0(VALU_DEP_3) | instskip(SKIP_1) | instid1(VALU_DEP_1)
	v_cvt_f32_f64_e32 v0, v[2:3]
	s_mov_b32 s6, exec_lo
                                        ; implicit-def: $vgpr1
	v_and_b32_e32 v6, 0x7fffffff, v0
	s_delay_alu instid0(VALU_DEP_1)
	v_cmpx_gt_u32_e32 0x43f00000, v6
	s_xor_b32 s6, exec_lo, s6
	s_cbranch_execz .LBB135_1644
; %bb.1639:
	s_mov_b32 s7, exec_lo
                                        ; implicit-def: $vgpr1
	v_cmpx_lt_u32_e32 0x3c7fffff, v6
	s_xor_b32 s7, exec_lo, s7
; %bb.1640:
	v_bfe_u32 v1, v0, 20, 1
	s_delay_alu instid0(VALU_DEP_1) | instskip(NEXT) | instid1(VALU_DEP_1)
	v_add3_u32 v1, v0, v1, 0x407ffff
	v_and_b32_e32 v6, 0xff00000, v1
	v_lshrrev_b32_e32 v1, 20, v1
	s_delay_alu instid0(VALU_DEP_2) | instskip(NEXT) | instid1(VALU_DEP_2)
	v_cmp_ne_u32_e32 vcc_lo, 0x7f00000, v6
	v_cndmask_b32_e32 v1, 0x7e, v1, vcc_lo
; %bb.1641:
	s_and_not1_saveexec_b32 s7, s7
; %bb.1642:
	v_add_f32_e64 v1, 0x46800000, |v0|
; %bb.1643:
	s_or_b32 exec_lo, exec_lo, s7
                                        ; implicit-def: $vgpr6
.LBB135_1644:
	s_and_not1_saveexec_b32 s6, s6
; %bb.1645:
	v_mov_b32_e32 v1, 0x7f
	v_cmp_lt_u32_e32 vcc_lo, 0x7f800000, v6
	s_delay_alu instid0(VALU_DEP_2)
	v_cndmask_b32_e32 v1, 0x7e, v1, vcc_lo
; %bb.1646:
	s_or_b32 exec_lo, exec_lo, s6
	v_lshrrev_b32_e32 v0, 24, v0
	s_delay_alu instid0(VALU_DEP_1)
	v_and_or_b32 v0, 0x80, v0, v1
	global_store_b8 v[12:13], v0, off
.LBB135_1647:
	s_mov_b32 s6, 0
.LBB135_1648:
	s_delay_alu instid0(SALU_CYCLE_1)
	s_and_not1_b32 vcc_lo, exec_lo, s6
	s_cbranch_vccnz .LBB135_1658
; %bb.1649:
	s_wait_xcnt 0x0
	s_delay_alu instid0(VALU_DEP_3) | instskip(SKIP_1) | instid1(VALU_DEP_1)
	v_cvt_f32_f64_e32 v0, v[2:3]
	s_mov_b32 s6, exec_lo
                                        ; implicit-def: $vgpr1
	v_and_b32_e32 v6, 0x7fffffff, v0
	s_delay_alu instid0(VALU_DEP_1)
	v_cmpx_gt_u32_e32 0x47800000, v6
	s_xor_b32 s6, exec_lo, s6
	s_cbranch_execz .LBB135_1655
; %bb.1650:
	s_mov_b32 s7, exec_lo
                                        ; implicit-def: $vgpr1
	v_cmpx_lt_u32_e32 0x387fffff, v6
	s_xor_b32 s7, exec_lo, s7
; %bb.1651:
	v_bfe_u32 v1, v0, 21, 1
	s_delay_alu instid0(VALU_DEP_1) | instskip(NEXT) | instid1(VALU_DEP_1)
	v_add3_u32 v1, v0, v1, 0x80fffff
	v_lshrrev_b32_e32 v1, 21, v1
; %bb.1652:
	s_and_not1_saveexec_b32 s7, s7
; %bb.1653:
	v_add_f32_e64 v1, 0x43000000, |v0|
; %bb.1654:
	s_or_b32 exec_lo, exec_lo, s7
                                        ; implicit-def: $vgpr6
.LBB135_1655:
	s_and_not1_saveexec_b32 s6, s6
; %bb.1656:
	v_mov_b32_e32 v1, 0x7f
	v_cmp_lt_u32_e32 vcc_lo, 0x7f800000, v6
	s_delay_alu instid0(VALU_DEP_2)
	v_cndmask_b32_e32 v1, 0x7c, v1, vcc_lo
; %bb.1657:
	s_or_b32 exec_lo, exec_lo, s6
	v_lshrrev_b32_e32 v0, 24, v0
	s_delay_alu instid0(VALU_DEP_1)
	v_and_or_b32 v0, 0x80, v0, v1
	global_store_b8 v[12:13], v0, off
.LBB135_1658:
	s_mov_b32 s6, 0
.LBB135_1659:
	s_delay_alu instid0(SALU_CYCLE_1)
	s_and_not1_b32 vcc_lo, exec_lo, s6
	s_mov_b32 s6, 0
	s_cbranch_vccnz .LBB135_1667
; %bb.1660:
	s_cmp_gt_i32 s4, 14
	s_mov_b32 s6, -1
	s_cbranch_scc0 .LBB135_1664
; %bb.1661:
	s_cmp_eq_u32 s4, 15
	s_mov_b32 s0, -1
	s_cbranch_scc0 .LBB135_1663
; %bb.1662:
	s_wait_xcnt 0x0
	s_delay_alu instid0(VALU_DEP_3) | instskip(SKIP_1) | instid1(VALU_DEP_1)
	v_cvt_f32_f64_e32 v0, v[2:3]
	s_mov_b32 s0, 0
	v_bfe_u32 v1, v0, 16, 1
	v_cmp_o_f32_e32 vcc_lo, v0, v0
	s_delay_alu instid0(VALU_DEP_2) | instskip(NEXT) | instid1(VALU_DEP_1)
	v_add3_u32 v1, v0, v1, 0x7fff
	v_lshrrev_b32_e32 v1, 16, v1
	s_delay_alu instid0(VALU_DEP_1)
	v_cndmask_b32_e32 v0, 0x7fc0, v1, vcc_lo
	global_store_b16 v[12:13], v0, off
.LBB135_1663:
	s_mov_b32 s6, 0
.LBB135_1664:
	s_delay_alu instid0(SALU_CYCLE_1)
	s_and_b32 vcc_lo, exec_lo, s6
	s_mov_b32 s6, 0
	s_cbranch_vccz .LBB135_1667
; %bb.1665:
	s_cmp_lg_u32 s4, 11
	s_mov_b32 s6, -1
	s_cselect_b32 s4, -1, 0
	s_and_not1_b32 s0, s0, exec_lo
	s_and_b32 s4, s4, exec_lo
	s_delay_alu instid0(SALU_CYCLE_1)
	s_or_b32 s0, s0, s4
	s_branch .LBB135_1667
.LBB135_1666:
	s_mov_b32 s6, 0
.LBB135_1667:
	s_and_b32 s10, s5, exec_lo
	s_and_not1_b32 s4, s45, exec_lo
	s_and_b32 s5, s0, exec_lo
	s_and_b32 s0, s6, exec_lo
	s_or_b32 s45, s4, s5
	s_wait_xcnt 0x0
	s_or_b32 exec_lo, exec_lo, s9
	s_and_saveexec_b32 s4, s45
	s_cbranch_execz .LBB135_1585
.LBB135_1668:
	s_or_b32 s1, s1, exec_lo
	s_and_not1_b32 s0, s0, exec_lo
	s_trap 2
	s_or_b32 exec_lo, exec_lo, s4
	s_and_saveexec_b32 s4, s0
	s_delay_alu instid0(SALU_CYCLE_1)
	s_xor_b32 s4, exec_lo, s4
	s_cbranch_execz .LBB135_1586
.LBB135_1669:
	s_wait_loadcnt 0x0
	s_delay_alu instid0(VALU_DEP_1) | instskip(NEXT) | instid1(VALU_DEP_3)
	v_cmp_neq_f64_e32 vcc_lo, 0, v[2:3]
	v_cmp_neq_f64_e64 s0, 0, v[4:5]
	s_or_b32 s0, vcc_lo, s0
	s_delay_alu instid0(SALU_CYCLE_1) | instskip(SKIP_4) | instid1(SALU_CYCLE_1)
	v_cndmask_b32_e64 v0, 0, 1, s0
	global_store_b8 v[12:13], v0, off
	s_wait_xcnt 0x0
	s_or_b32 exec_lo, exec_lo, s4
	s_and_saveexec_b32 s0, s10
	s_xor_b32 s0, exec_lo, s0
	s_cbranch_execz .LBB135_1707
.LBB135_1670:
	s_sext_i32_i16 s5, s8
	s_mov_b32 s4, -1
	s_cmp_lt_i32 s5, 5
	s_cbranch_scc1 .LBB135_1691
; %bb.1671:
	s_cmp_lt_i32 s5, 8
	s_cbranch_scc1 .LBB135_1681
; %bb.1672:
	;; [unrolled: 3-line block ×3, first 2 shown]
	s_cmp_gt_i32 s5, 9
	s_cbranch_scc0 .LBB135_1675
; %bb.1674:
	s_mov_b32 s4, 0
	s_wait_loadcnt 0x0
	global_store_b128 v[12:13], v[2:5], off
.LBB135_1675:
	s_and_not1_b32 vcc_lo, exec_lo, s4
	s_cbranch_vccnz .LBB135_1677
; %bb.1676:
	s_wait_loadcnt 0x0
	v_cvt_f32_f64_e32 v0, v[2:3]
	v_cvt_f32_f64_e32 v1, v[4:5]
	global_store_b64 v[12:13], v[0:1], off
.LBB135_1677:
	s_mov_b32 s4, 0
.LBB135_1678:
	s_delay_alu instid0(SALU_CYCLE_1)
	s_and_not1_b32 vcc_lo, exec_lo, s4
	s_cbranch_vccnz .LBB135_1680
; %bb.1679:
	s_wait_loadcnt 0x0
	v_and_or_b32 v0, 0x1ff, v3, v2
	v_and_or_b32 v1, 0x1ff, v5, v4
	v_dual_lshrrev_b32 v4, 8, v3 :: v_dual_lshrrev_b32 v8, 8, v5
	v_bfe_u32 v6, v3, 20, 11
	s_delay_alu instid0(VALU_DEP_4) | instskip(SKIP_2) | instid1(VALU_DEP_4)
	v_cmp_ne_u32_e32 vcc_lo, 0, v0
	v_bfe_u32 v7, v5, 20, 11
	v_dual_lshrrev_b32 v16, 16, v3 :: v_dual_lshrrev_b32 v5, 16, v5
	v_sub_nc_u32_e32 v9, 0x3f1, v6
	v_cndmask_b32_e64 v0, 0, 1, vcc_lo
	v_cmp_ne_u32_e32 vcc_lo, 0, v1
	v_add_nc_u32_e32 v6, 0xfffffc10, v6
	s_delay_alu instid0(VALU_DEP_3) | instskip(SKIP_3) | instid1(VALU_DEP_3)
	v_and_or_b32 v0, 0xffe, v4, v0
	v_cndmask_b32_e64 v1, 0, 1, vcc_lo
	v_sub_nc_u32_e32 v4, 0x3f1, v7
	v_add_nc_u32_e32 v7, 0xfffffc10, v7
	v_and_or_b32 v1, 0xffe, v8, v1
	v_med3_i32 v8, v9, 0, 13
	v_or_b32_e32 v9, 0x1000, v0
	v_med3_i32 v4, v4, 0, 13
	s_delay_alu instid0(VALU_DEP_4) | instskip(NEXT) | instid1(VALU_DEP_1)
	v_or_b32_e32 v10, 0x1000, v1
	v_lshrrev_b32_e32 v14, v4, v10
	s_delay_alu instid0(VALU_DEP_4) | instskip(NEXT) | instid1(VALU_DEP_1)
	v_lshrrev_b32_e32 v11, v8, v9
	v_lshlrev_b32_e32 v8, v8, v11
	s_delay_alu instid0(VALU_DEP_1) | instskip(SKIP_3) | instid1(VALU_DEP_2)
	v_cmp_ne_u32_e32 vcc_lo, v8, v9
	v_lshl_or_b32 v9, v6, 12, v0
	v_lshlrev_b32_e32 v4, v4, v14
	v_cndmask_b32_e64 v8, 0, 1, vcc_lo
	v_cmp_ne_u32_e32 vcc_lo, v4, v10
	v_lshl_or_b32 v10, v7, 12, v1
	v_cndmask_b32_e64 v4, 0, 1, vcc_lo
	v_cmp_gt_i32_e32 vcc_lo, 1, v6
	s_delay_alu instid0(VALU_DEP_2) | instskip(SKIP_1) | instid1(VALU_DEP_1)
	v_or_b32_e32 v4, v14, v4
	v_or_b32_e32 v8, v11, v8
	v_cndmask_b32_e32 v8, v9, v8, vcc_lo
	v_cmp_gt_i32_e32 vcc_lo, 1, v7
	v_mov_b32_e32 v11, 0x7e00
	s_delay_alu instid0(VALU_DEP_3) | instskip(SKIP_2) | instid1(VALU_DEP_3)
	v_and_b32_e32 v9, 7, v8
	v_cndmask_b32_e32 v4, v10, v4, vcc_lo
	v_lshrrev_b32_e32 v8, 2, v8
	v_cmp_lt_i32_e32 vcc_lo, 5, v9
	s_delay_alu instid0(VALU_DEP_3) | instskip(SKIP_1) | instid1(VALU_DEP_2)
	v_and_b32_e32 v10, 7, v4
	v_cndmask_b32_e64 v14, 0, 1, vcc_lo
	v_cmp_lt_i32_e32 vcc_lo, 5, v10
	v_cndmask_b32_e64 v15, 0, 1, vcc_lo
	v_cmp_eq_u32_e32 vcc_lo, 3, v10
	v_cndmask_b32_e64 v10, 0, 1, vcc_lo
	v_cmp_eq_u32_e32 vcc_lo, 3, v9
	s_delay_alu instid0(VALU_DEP_2) | instskip(SKIP_2) | instid1(VALU_DEP_2)
	v_dual_lshrrev_b32 v4, 2, v4 :: v_dual_bitop2_b32 v10, v10, v15 bitop3:0x54
	v_cndmask_b32_e64 v9, 0, 1, vcc_lo
	v_cmp_ne_u32_e32 vcc_lo, 0, v0
	v_or_b32_e32 v9, v9, v14
	v_cndmask_b32_e32 v0, 0x7c00, v11, vcc_lo
	v_cmp_ne_u32_e32 vcc_lo, 0, v1
	v_add_nc_u32_e32 v4, v4, v10
	s_delay_alu instid0(VALU_DEP_4)
	v_add_nc_u32_e32 v8, v8, v9
	v_and_b32_e32 v9, 0x8000, v16
	v_cndmask_b32_e32 v1, 0x7c00, v11, vcc_lo
	v_cmp_gt_i32_e32 vcc_lo, 31, v7
	v_cndmask_b32_e32 v4, 0x7c00, v4, vcc_lo
	v_cmp_gt_i32_e32 vcc_lo, 31, v6
	v_cndmask_b32_e32 v8, 0x7c00, v8, vcc_lo
	v_cmp_eq_u32_e32 vcc_lo, 0x40f, v7
	s_delay_alu instid0(VALU_DEP_4) | instskip(SKIP_1) | instid1(VALU_DEP_2)
	v_cndmask_b32_e32 v1, v4, v1, vcc_lo
	v_cmp_eq_u32_e32 vcc_lo, 0x40f, v6
	v_and_or_b32 v1, 0x8000, v5, v1
	v_cndmask_b32_e32 v0, v8, v0, vcc_lo
	s_delay_alu instid0(VALU_DEP_1) | instskip(NEXT) | instid1(VALU_DEP_1)
	v_bitop3_b32 v0, v9, 0xffff, v0 bitop3:0xc8
	v_lshl_or_b32 v0, v1, 16, v0
	global_store_b32 v[12:13], v0, off
.LBB135_1680:
	s_mov_b32 s4, 0
.LBB135_1681:
	s_delay_alu instid0(SALU_CYCLE_1)
	s_and_not1_b32 vcc_lo, exec_lo, s4
	s_cbranch_vccnz .LBB135_1690
; %bb.1682:
	s_sext_i32_i16 s5, s8
	s_mov_b32 s4, -1
	s_cmp_lt_i32 s5, 6
	s_cbranch_scc1 .LBB135_1688
; %bb.1683:
	s_cmp_gt_i32 s5, 6
	s_cbranch_scc0 .LBB135_1685
; %bb.1684:
	s_mov_b32 s4, 0
	s_wait_loadcnt 0x0
	global_store_b64 v[12:13], v[2:3], off
.LBB135_1685:
	s_and_not1_b32 vcc_lo, exec_lo, s4
	s_cbranch_vccnz .LBB135_1687
; %bb.1686:
	s_wait_loadcnt 0x0
	v_cvt_f32_f64_e32 v0, v[2:3]
	global_store_b32 v[12:13], v0, off
.LBB135_1687:
	s_mov_b32 s4, 0
.LBB135_1688:
	s_delay_alu instid0(SALU_CYCLE_1)
	s_and_not1_b32 vcc_lo, exec_lo, s4
	s_cbranch_vccnz .LBB135_1690
; %bb.1689:
	s_wait_loadcnt 0x0
	v_and_or_b32 v0, 0x1ff, v3, v2
	v_lshrrev_b32_e32 v1, 8, v3
	v_bfe_u32 v4, v3, 20, 11
	s_delay_alu instid0(VALU_DEP_3) | instskip(NEXT) | instid1(VALU_DEP_2)
	v_cmp_ne_u32_e32 vcc_lo, 0, v0
	v_sub_nc_u32_e32 v5, 0x3f1, v4
	v_cndmask_b32_e64 v0, 0, 1, vcc_lo
	s_delay_alu instid0(VALU_DEP_1) | instskip(NEXT) | instid1(VALU_DEP_3)
	v_and_or_b32 v0, 0xffe, v1, v0
	v_med3_i32 v1, v5, 0, 13
	s_delay_alu instid0(VALU_DEP_2) | instskip(NEXT) | instid1(VALU_DEP_1)
	v_or_b32_e32 v5, 0x1000, v0
	v_lshrrev_b32_e32 v6, v1, v5
	s_delay_alu instid0(VALU_DEP_1) | instskip(NEXT) | instid1(VALU_DEP_1)
	v_lshlrev_b32_e32 v1, v1, v6
	v_cmp_ne_u32_e32 vcc_lo, v1, v5
	v_cndmask_b32_e64 v1, 0, 1, vcc_lo
	s_delay_alu instid0(VALU_DEP_1) | instskip(SKIP_1) | instid1(VALU_DEP_1)
	v_or_b32_e32 v1, v6, v1
	v_add_nc_u32_e32 v4, 0xfffffc10, v4
	v_lshl_or_b32 v5, v4, 12, v0
	v_cmp_gt_i32_e32 vcc_lo, 1, v4
	s_delay_alu instid0(VALU_DEP_2) | instskip(NEXT) | instid1(VALU_DEP_1)
	v_cndmask_b32_e32 v1, v5, v1, vcc_lo
	v_dual_lshrrev_b32 v1, 2, v1 :: v_dual_bitop2_b32 v5, 7, v1 bitop3:0x40
	s_delay_alu instid0(VALU_DEP_1) | instskip(SKIP_4) | instid1(VALU_DEP_2)
	v_cmp_lt_i32_e32 vcc_lo, 5, v5
	v_cndmask_b32_e64 v6, 0, 1, vcc_lo
	v_cmp_eq_u32_e32 vcc_lo, 3, v5
	v_cndmask_b32_e64 v5, 0, 1, vcc_lo
	v_cmp_ne_u32_e32 vcc_lo, 0, v0
	v_or_b32_e32 v5, v5, v6
	s_delay_alu instid0(VALU_DEP_1) | instskip(NEXT) | instid1(VALU_DEP_1)
	v_dual_mov_b32 v6, 0x7e00 :: v_dual_add_nc_u32 v1, v1, v5
	v_cndmask_b32_e32 v0, 0x7c00, v6, vcc_lo
	v_cmp_gt_i32_e32 vcc_lo, 31, v4
	s_delay_alu instid0(VALU_DEP_3) | instskip(SKIP_1) | instid1(VALU_DEP_2)
	v_cndmask_b32_e32 v1, 0x7c00, v1, vcc_lo
	v_cmp_eq_u32_e32 vcc_lo, 0x40f, v4
	v_dual_cndmask_b32 v0, v1, v0 :: v_dual_lshrrev_b32 v1, 16, v3
	s_delay_alu instid0(VALU_DEP_1)
	v_and_or_b32 v0, 0x8000, v1, v0
	global_store_b16 v[12:13], v0, off
.LBB135_1690:
	s_mov_b32 s4, 0
.LBB135_1691:
	s_delay_alu instid0(SALU_CYCLE_1)
	s_and_not1_b32 vcc_lo, exec_lo, s4
	s_cbranch_vccnz .LBB135_1707
; %bb.1692:
	s_sext_i32_i16 s5, s8
	s_mov_b32 s4, -1
	s_cmp_lt_i32 s5, 2
	s_cbranch_scc1 .LBB135_1702
; %bb.1693:
	s_cmp_lt_i32 s5, 3
	s_cbranch_scc1 .LBB135_1699
; %bb.1694:
	s_cmp_gt_i32 s5, 3
	s_cbranch_scc0 .LBB135_1696
; %bb.1695:
	s_wait_loadcnt 0x0
	v_trunc_f64_e32 v[0:1], v[2:3]
	s_mov_b32 s4, 0
	s_delay_alu instid0(VALU_DEP_1) | instskip(NEXT) | instid1(VALU_DEP_1)
	v_ldexp_f64 v[4:5], v[0:1], 0xffffffe0
	v_floor_f64_e32 v[4:5], v[4:5]
	s_delay_alu instid0(VALU_DEP_1) | instskip(SKIP_1) | instid1(VALU_DEP_2)
	v_fmamk_f64 v[0:1], v[4:5], 0xc1f00000, v[0:1]
	v_cvt_i32_f64_e32 v5, v[4:5]
	v_cvt_u32_f64_e32 v4, v[0:1]
	global_store_b64 v[12:13], v[4:5], off
.LBB135_1696:
	s_and_not1_b32 vcc_lo, exec_lo, s4
	s_cbranch_vccnz .LBB135_1698
; %bb.1697:
	s_wait_loadcnt 0x0
	v_cvt_i32_f64_e32 v0, v[2:3]
	global_store_b32 v[12:13], v0, off
.LBB135_1698:
	s_mov_b32 s4, 0
.LBB135_1699:
	s_delay_alu instid0(SALU_CYCLE_1)
	s_and_not1_b32 vcc_lo, exec_lo, s4
	s_cbranch_vccnz .LBB135_1701
; %bb.1700:
	s_wait_loadcnt 0x0
	v_cvt_i32_f64_e32 v0, v[2:3]
	global_store_b16 v[12:13], v0, off
.LBB135_1701:
	s_mov_b32 s4, 0
.LBB135_1702:
	s_delay_alu instid0(SALU_CYCLE_1)
	s_and_not1_b32 vcc_lo, exec_lo, s4
	s_cbranch_vccnz .LBB135_1707
; %bb.1703:
	s_sext_i32_i16 s4, s8
	s_delay_alu instid0(SALU_CYCLE_1)
	s_cmp_gt_i32 s4, 0
	s_mov_b32 s4, -1
	s_cbranch_scc0 .LBB135_1705
; %bb.1704:
	s_wait_loadcnt 0x0
	v_cvt_i32_f64_e32 v0, v[2:3]
	s_mov_b32 s4, 0
	global_store_b8 v[12:13], v0, off
.LBB135_1705:
	s_and_not1_b32 vcc_lo, exec_lo, s4
	s_cbranch_vccnz .LBB135_1707
; %bb.1706:
	s_wait_loadcnt 0x0
	v_trunc_f64_e32 v[0:1], v[2:3]
	s_delay_alu instid0(VALU_DEP_1) | instskip(NEXT) | instid1(VALU_DEP_1)
	v_ldexp_f64 v[2:3], v[0:1], 0xffffffe0
	v_floor_f64_e32 v[2:3], v[2:3]
	s_delay_alu instid0(VALU_DEP_1) | instskip(NEXT) | instid1(VALU_DEP_1)
	v_fmamk_f64 v[0:1], v[2:3], 0xc1f00000, v[0:1]
	v_cvt_u32_f64_e32 v0, v[0:1]
	global_store_b8 v[12:13], v0, off
.LBB135_1707:
	s_wait_xcnt 0x0
	s_or_b32 exec_lo, exec_lo, s0
	s_delay_alu instid0(SALU_CYCLE_1)
	s_and_b32 s10, s1, exec_lo
                                        ; implicit-def: $vgpr1
                                        ; implicit-def: $vgpr8
.LBB135_1708:
	s_or_saveexec_b32 s11, s36
	s_mov_b32 s4, 0
                                        ; implicit-def: $vgpr4_vgpr5
                                        ; implicit-def: $sgpr1
                                        ; implicit-def: $vgpr2_vgpr3
	s_xor_b32 exec_lo, exec_lo, s11
	s_cbranch_execz .LBB135_3359
; %bb.1709:
	s_wait_loadcnt 0x0
	v_cndmask_b32_e64 v2, 0, 1, s35
	s_and_not1_b32 vcc_lo, exec_lo, s35
	s_cbranch_vccnz .LBB135_1715
; %bb.1710:
	s_cmp_lg_u32 s19, 0
	s_mov_b32 s6, 0
	s_cbranch_scc0 .LBB135_1719
; %bb.1711:
	s_min_u32 s7, s33, 15
	v_dual_mov_b32 v38, 0 :: v_dual_mov_b32 v3, v8
	v_dual_mov_b32 v0, 0 :: v_dual_mov_b32 v4, 0
	s_add_co_i32 s4, s7, 1
	s_mov_b64 s[0:1], 0xffffffffffffffe0
	s_and_b32 s8, s4, 30
	s_add_nc_u64 s[0:1], s[2:3], s[0:1]
	s_mov_b64 s[4:5], s[2:3]
.LBB135_1712:                           ; =>This Inner Loop Header: Depth=1
	s_clause 0x1
	s_load_b128 s[12:15], s[4:5], 0x4
	s_load_b64 s[16:17], s[4:5], 0x14
	s_load_b32 s9, s[0:1], 0xe4
	s_add_co_i32 s8, s8, -2
	s_wait_xcnt 0x0
	s_add_nc_u64 s[4:5], s[4:5], 24
	s_cmp_lg_u32 s8, 0
	s_wait_kmcnt 0x0
	v_mul_hi_u32 v5, s13, v3
	s_delay_alu instid0(VALU_DEP_1) | instskip(NEXT) | instid1(VALU_DEP_1)
	v_add_nc_u32_e32 v5, v3, v5
	v_lshrrev_b32_e32 v5, s14, v5
	s_delay_alu instid0(VALU_DEP_1) | instskip(SKIP_2) | instid1(VALU_DEP_1)
	v_mul_hi_u32 v6, s16, v5
	v_mul_lo_u32 v7, v5, s12
	s_load_b96 s[12:14], s[0:1], 0xec
	v_dual_add_nc_u32 v6, v5, v6 :: v_dual_sub_nc_u32 v7, v3, v7
	s_delay_alu instid0(VALU_DEP_1) | instskip(SKIP_1) | instid1(VALU_DEP_2)
	v_lshrrev_b32_e32 v3, s17, v6
	s_load_b64 s[16:17], s[0:1], 0xfc
	v_mad_u32 v9, v7, s9, v38
	s_wait_xcnt 0x0
	s_add_nc_u64 s[0:1], s[0:1], 32
	v_mul_lo_u32 v6, v3, s15
	s_wait_kmcnt 0x0
	v_mad_u32 v4, v7, s13, v4
	v_mad_u32 v0, v7, s12, v0
	s_delay_alu instid0(VALU_DEP_3) | instskip(NEXT) | instid1(VALU_DEP_1)
	v_sub_nc_u32_e32 v5, v5, v6
	v_mad_u32 v38, v5, s14, v9
	s_delay_alu instid0(VALU_DEP_4) | instskip(NEXT) | instid1(VALU_DEP_4)
	v_mad_u32 v4, v5, s17, v4
	v_mad_u32 v0, v5, s16, v0
	s_cbranch_scc1 .LBB135_1712
; %bb.1713:
	s_bitcmp1_b32 s7, 0
	s_cselect_b32 s7, -1, 0
	s_delay_alu instid0(SALU_CYCLE_1)
	s_and_b32 vcc_lo, exec_lo, s7
	s_cbranch_vccnz .LBB135_1716
; %bb.1714:
	s_load_b96 s[12:14], s[4:5], 0x4
	s_load_b32 s7, s[0:1], 0xe4
	s_wait_xcnt 0x0
	s_load_b64 s[4:5], s[0:1], 0xec
	s_wait_kmcnt 0x0
	v_mul_hi_u32 v5, s13, v3
	s_delay_alu instid0(VALU_DEP_1) | instskip(NEXT) | instid1(VALU_DEP_1)
	v_add_nc_u32_e32 v5, v3, v5
	v_lshrrev_b32_e32 v5, s14, v5
	s_delay_alu instid0(VALU_DEP_1) | instskip(NEXT) | instid1(VALU_DEP_1)
	v_mul_lo_u32 v5, v5, s12
	v_sub_nc_u32_e32 v3, v3, v5
	s_delay_alu instid0(VALU_DEP_1)
	v_mad_u32 v38, v3, s7, v38
	v_mad_u32 v0, v3, s4, v0
	;; [unrolled: 1-line block ×3, first 2 shown]
	s_and_not1_b32 vcc_lo, exec_lo, s6
	s_cbranch_vccz .LBB135_1717
	s_branch .LBB135_1720
.LBB135_1715:
	s_mov_b32 s6, -1
                                        ; implicit-def: $vgpr4
                                        ; implicit-def: $vgpr0
                                        ; implicit-def: $vgpr38
.LBB135_1716:
	s_delay_alu instid0(SALU_CYCLE_1)
	s_and_not1_b32 vcc_lo, exec_lo, s6
	s_cbranch_vccnz .LBB135_1720
.LBB135_1717:
	s_clause 0x2
	s_load_b96 s[4:6], s[2:3], 0x4
	s_load_b32 s7, s[2:3], 0xc4
	s_load_b64 s[0:1], s[2:3], 0xcc
	s_cmp_lt_u32 s19, 2
	s_wait_kmcnt 0x0
	v_mul_hi_u32 v0, s5, v8
	s_delay_alu instid0(VALU_DEP_1) | instskip(NEXT) | instid1(VALU_DEP_1)
	v_add_nc_u32_e32 v0, v8, v0
	v_lshrrev_b32_e32 v3, s6, v0
	s_delay_alu instid0(VALU_DEP_1) | instskip(NEXT) | instid1(VALU_DEP_1)
	v_mul_lo_u32 v0, v3, s4
	v_sub_nc_u32_e32 v0, v8, v0
	s_delay_alu instid0(VALU_DEP_1)
	v_mul_lo_u32 v38, v0, s7
	v_mul_lo_u32 v4, v0, s1
	;; [unrolled: 1-line block ×3, first 2 shown]
	s_cbranch_scc1 .LBB135_1720
; %bb.1718:
	s_clause 0x2
	s_load_b96 s[4:6], s[2:3], 0x10
	s_load_b32 s7, s[2:3], 0xd4
	s_load_b64 s[0:1], s[2:3], 0xdc
	s_wait_kmcnt 0x0
	v_mul_hi_u32 v5, s5, v3
	s_delay_alu instid0(VALU_DEP_1) | instskip(NEXT) | instid1(VALU_DEP_1)
	v_add_nc_u32_e32 v5, v3, v5
	v_lshrrev_b32_e32 v5, s6, v5
	s_delay_alu instid0(VALU_DEP_1) | instskip(NEXT) | instid1(VALU_DEP_1)
	v_mul_lo_u32 v5, v5, s4
	v_sub_nc_u32_e32 v3, v3, v5
	s_delay_alu instid0(VALU_DEP_1)
	v_mad_u32 v38, v3, s7, v38
	v_mad_u32 v0, v3, s0, v0
	;; [unrolled: 1-line block ×3, first 2 shown]
	s_branch .LBB135_1720
.LBB135_1719:
	v_dual_mov_b32 v4, 0 :: v_dual_mov_b32 v0, 0
	v_mov_b32_e32 v38, 0
	s_and_not1_b32 vcc_lo, exec_lo, s6
	s_cbranch_vccz .LBB135_1717
.LBB135_1720:
	v_cmp_ne_u32_e32 vcc_lo, 1, v2
	v_add_nc_u32_e32 v3, 0x80, v8
	s_cbranch_vccnz .LBB135_1726
; %bb.1721:
	s_cmp_lg_u32 s19, 0
	s_mov_b32 s6, 0
	s_cbranch_scc0 .LBB135_1730
; %bb.1722:
	s_min_u32 s7, s33, 15
	v_dual_mov_b32 v36, 0 :: v_dual_mov_b32 v5, v3
	v_dual_mov_b32 v10, 0 :: v_dual_mov_b32 v12, 0
	s_add_co_i32 s4, s7, 1
	s_mov_b64 s[0:1], 0xffffffffffffffe0
	s_and_b32 s8, s4, 30
	s_add_nc_u64 s[0:1], s[2:3], s[0:1]
	s_mov_b64 s[4:5], s[2:3]
.LBB135_1723:                           ; =>This Inner Loop Header: Depth=1
	s_clause 0x1
	s_load_b128 s[12:15], s[4:5], 0x4
	s_load_b64 s[16:17], s[4:5], 0x14
	s_load_b32 s9, s[0:1], 0xe4
	s_add_co_i32 s8, s8, -2
	s_wait_xcnt 0x0
	s_add_nc_u64 s[4:5], s[4:5], 24
	s_cmp_lg_u32 s8, 0
	s_wait_kmcnt 0x0
	v_mul_hi_u32 v6, s13, v5
	s_delay_alu instid0(VALU_DEP_1) | instskip(NEXT) | instid1(VALU_DEP_1)
	v_add_nc_u32_e32 v6, v5, v6
	v_lshrrev_b32_e32 v6, s14, v6
	s_delay_alu instid0(VALU_DEP_1) | instskip(SKIP_2) | instid1(VALU_DEP_1)
	v_mul_hi_u32 v7, s16, v6
	v_mul_lo_u32 v9, v6, s12
	s_load_b96 s[12:14], s[0:1], 0xec
	v_dual_add_nc_u32 v7, v6, v7 :: v_dual_sub_nc_u32 v9, v5, v9
	s_delay_alu instid0(VALU_DEP_1) | instskip(SKIP_1) | instid1(VALU_DEP_2)
	v_lshrrev_b32_e32 v5, s17, v7
	s_load_b64 s[16:17], s[0:1], 0xfc
	v_mad_u32 v11, v9, s9, v36
	s_wait_xcnt 0x0
	s_add_nc_u64 s[0:1], s[0:1], 32
	v_mul_lo_u32 v7, v5, s15
	s_wait_kmcnt 0x0
	v_mad_u32 v12, v9, s13, v12
	v_mad_u32 v9, v9, s12, v10
	s_delay_alu instid0(VALU_DEP_3) | instskip(NEXT) | instid1(VALU_DEP_1)
	v_sub_nc_u32_e32 v6, v6, v7
	v_mad_u32 v36, v6, s14, v11
	s_delay_alu instid0(VALU_DEP_4) | instskip(NEXT) | instid1(VALU_DEP_4)
	v_mad_u32 v12, v6, s17, v12
	v_mad_u32 v10, v6, s16, v9
	s_cbranch_scc1 .LBB135_1723
; %bb.1724:
	s_bitcmp1_b32 s7, 0
	s_cselect_b32 s7, -1, 0
	s_delay_alu instid0(SALU_CYCLE_1)
	s_and_b32 vcc_lo, exec_lo, s7
	s_cbranch_vccnz .LBB135_1727
; %bb.1725:
	s_load_b96 s[12:14], s[4:5], 0x4
	s_load_b32 s7, s[0:1], 0xe4
	s_wait_xcnt 0x0
	s_load_b64 s[4:5], s[0:1], 0xec
	s_wait_kmcnt 0x0
	v_mul_hi_u32 v6, s13, v5
	s_delay_alu instid0(VALU_DEP_1) | instskip(NEXT) | instid1(VALU_DEP_1)
	v_add_nc_u32_e32 v6, v5, v6
	v_lshrrev_b32_e32 v6, s14, v6
	s_delay_alu instid0(VALU_DEP_1) | instskip(NEXT) | instid1(VALU_DEP_1)
	v_mul_lo_u32 v6, v6, s12
	v_sub_nc_u32_e32 v5, v5, v6
	s_delay_alu instid0(VALU_DEP_1)
	v_mad_u32 v36, v5, s7, v36
	v_mad_u32 v10, v5, s4, v10
	;; [unrolled: 1-line block ×3, first 2 shown]
	s_and_not1_b32 vcc_lo, exec_lo, s6
	s_cbranch_vccz .LBB135_1728
	s_branch .LBB135_1731
.LBB135_1726:
	s_mov_b32 s6, -1
                                        ; implicit-def: $vgpr12
                                        ; implicit-def: $vgpr10
                                        ; implicit-def: $vgpr36
.LBB135_1727:
	s_delay_alu instid0(SALU_CYCLE_1)
	s_and_not1_b32 vcc_lo, exec_lo, s6
	s_cbranch_vccnz .LBB135_1731
.LBB135_1728:
	s_clause 0x2
	s_load_b96 s[4:6], s[2:3], 0x4
	s_load_b32 s7, s[2:3], 0xc4
	s_load_b64 s[0:1], s[2:3], 0xcc
	s_cmp_lt_u32 s19, 2
	s_wait_kmcnt 0x0
	v_mul_hi_u32 v5, s5, v3
	s_delay_alu instid0(VALU_DEP_1) | instskip(NEXT) | instid1(VALU_DEP_1)
	v_add_nc_u32_e32 v5, v3, v5
	v_lshrrev_b32_e32 v5, s6, v5
	s_delay_alu instid0(VALU_DEP_1) | instskip(NEXT) | instid1(VALU_DEP_1)
	v_mul_lo_u32 v6, v5, s4
	v_sub_nc_u32_e32 v3, v3, v6
	s_delay_alu instid0(VALU_DEP_1)
	v_mul_lo_u32 v36, v3, s7
	v_mul_lo_u32 v12, v3, s1
	v_mul_lo_u32 v10, v3, s0
	s_cbranch_scc1 .LBB135_1731
; %bb.1729:
	s_clause 0x2
	s_load_b96 s[4:6], s[2:3], 0x10
	s_load_b32 s7, s[2:3], 0xd4
	s_load_b64 s[0:1], s[2:3], 0xdc
	s_wait_kmcnt 0x0
	v_mul_hi_u32 v3, s5, v5
	s_delay_alu instid0(VALU_DEP_1) | instskip(NEXT) | instid1(VALU_DEP_1)
	v_add_nc_u32_e32 v3, v5, v3
	v_lshrrev_b32_e32 v3, s6, v3
	s_delay_alu instid0(VALU_DEP_1) | instskip(NEXT) | instid1(VALU_DEP_1)
	v_mul_lo_u32 v3, v3, s4
	v_sub_nc_u32_e32 v3, v5, v3
	s_delay_alu instid0(VALU_DEP_1)
	v_mad_u32 v36, v3, s7, v36
	v_mad_u32 v10, v3, s0, v10
	;; [unrolled: 1-line block ×3, first 2 shown]
	s_branch .LBB135_1731
.LBB135_1730:
	v_dual_mov_b32 v12, 0 :: v_dual_mov_b32 v10, 0
	v_mov_b32_e32 v36, 0
	s_and_not1_b32 vcc_lo, exec_lo, s6
	s_cbranch_vccz .LBB135_1728
.LBB135_1731:
	v_cmp_ne_u32_e32 vcc_lo, 1, v2
	v_add_nc_u32_e32 v3, 0x100, v8
	s_cbranch_vccnz .LBB135_1737
; %bb.1732:
	s_cmp_lg_u32 s19, 0
	s_mov_b32 s6, 0
	s_cbranch_scc0 .LBB135_1741
; %bb.1733:
	s_min_u32 s7, s33, 15
	v_dual_mov_b32 v34, 0 :: v_dual_mov_b32 v5, v3
	v_dual_mov_b32 v16, 0 :: v_dual_mov_b32 v20, 0
	s_add_co_i32 s4, s7, 1
	s_mov_b64 s[0:1], 0xffffffffffffffe0
	s_and_b32 s8, s4, 30
	s_add_nc_u64 s[0:1], s[2:3], s[0:1]
	s_mov_b64 s[4:5], s[2:3]
.LBB135_1734:                           ; =>This Inner Loop Header: Depth=1
	s_clause 0x1
	s_load_b128 s[12:15], s[4:5], 0x4
	s_load_b64 s[16:17], s[4:5], 0x14
	s_load_b32 s9, s[0:1], 0xe4
	s_add_co_i32 s8, s8, -2
	s_wait_xcnt 0x0
	s_add_nc_u64 s[4:5], s[4:5], 24
	s_cmp_lg_u32 s8, 0
	s_wait_kmcnt 0x0
	v_mul_hi_u32 v6, s13, v5
	s_delay_alu instid0(VALU_DEP_1) | instskip(NEXT) | instid1(VALU_DEP_1)
	v_add_nc_u32_e32 v6, v5, v6
	v_lshrrev_b32_e32 v6, s14, v6
	s_delay_alu instid0(VALU_DEP_1) | instskip(SKIP_2) | instid1(VALU_DEP_1)
	v_mul_hi_u32 v7, s16, v6
	v_mul_lo_u32 v8, v6, s12
	s_load_b96 s[12:14], s[0:1], 0xec
	v_dual_add_nc_u32 v7, v6, v7 :: v_dual_sub_nc_u32 v8, v5, v8
	s_delay_alu instid0(VALU_DEP_1) | instskip(SKIP_1) | instid1(VALU_DEP_2)
	v_lshrrev_b32_e32 v5, s17, v7
	s_load_b64 s[16:17], s[0:1], 0xfc
	v_mad_u32 v9, v8, s9, v34
	s_wait_xcnt 0x0
	s_add_nc_u64 s[0:1], s[0:1], 32
	v_mul_lo_u32 v7, v5, s15
	s_wait_kmcnt 0x0
	v_mad_u32 v11, v8, s13, v20
	v_mad_u32 v8, v8, s12, v16
	s_delay_alu instid0(VALU_DEP_3) | instskip(NEXT) | instid1(VALU_DEP_1)
	v_sub_nc_u32_e32 v6, v6, v7
	v_mad_u32 v34, v6, s14, v9
	s_delay_alu instid0(VALU_DEP_4) | instskip(NEXT) | instid1(VALU_DEP_4)
	v_mad_u32 v20, v6, s17, v11
	v_mad_u32 v16, v6, s16, v8
	s_cbranch_scc1 .LBB135_1734
; %bb.1735:
	s_bitcmp1_b32 s7, 0
	s_cselect_b32 s7, -1, 0
	s_delay_alu instid0(SALU_CYCLE_1)
	s_and_b32 vcc_lo, exec_lo, s7
	s_cbranch_vccnz .LBB135_1738
; %bb.1736:
	s_load_b96 s[12:14], s[4:5], 0x4
	s_load_b32 s7, s[0:1], 0xe4
	s_wait_xcnt 0x0
	s_load_b64 s[4:5], s[0:1], 0xec
	s_wait_kmcnt 0x0
	v_mul_hi_u32 v6, s13, v5
	s_delay_alu instid0(VALU_DEP_1) | instskip(NEXT) | instid1(VALU_DEP_1)
	v_add_nc_u32_e32 v6, v5, v6
	v_lshrrev_b32_e32 v6, s14, v6
	s_delay_alu instid0(VALU_DEP_1) | instskip(NEXT) | instid1(VALU_DEP_1)
	v_mul_lo_u32 v6, v6, s12
	v_sub_nc_u32_e32 v5, v5, v6
	s_delay_alu instid0(VALU_DEP_1)
	v_mad_u32 v34, v5, s7, v34
	v_mad_u32 v16, v5, s4, v16
	;; [unrolled: 1-line block ×3, first 2 shown]
	s_and_not1_b32 vcc_lo, exec_lo, s6
	s_cbranch_vccz .LBB135_1739
	s_branch .LBB135_1742
.LBB135_1737:
	s_mov_b32 s6, -1
                                        ; implicit-def: $vgpr20
                                        ; implicit-def: $vgpr16
                                        ; implicit-def: $vgpr34
.LBB135_1738:
	s_delay_alu instid0(SALU_CYCLE_1)
	s_and_not1_b32 vcc_lo, exec_lo, s6
	s_cbranch_vccnz .LBB135_1742
.LBB135_1739:
	s_clause 0x2
	s_load_b96 s[4:6], s[2:3], 0x4
	s_load_b32 s7, s[2:3], 0xc4
	s_load_b64 s[0:1], s[2:3], 0xcc
	s_cmp_lt_u32 s19, 2
	s_wait_kmcnt 0x0
	v_mul_hi_u32 v5, s5, v3
	s_delay_alu instid0(VALU_DEP_1) | instskip(NEXT) | instid1(VALU_DEP_1)
	v_add_nc_u32_e32 v5, v3, v5
	v_lshrrev_b32_e32 v5, s6, v5
	s_delay_alu instid0(VALU_DEP_1) | instskip(NEXT) | instid1(VALU_DEP_1)
	v_mul_lo_u32 v6, v5, s4
	v_sub_nc_u32_e32 v3, v3, v6
	s_delay_alu instid0(VALU_DEP_1)
	v_mul_lo_u32 v34, v3, s7
	v_mul_lo_u32 v20, v3, s1
	;; [unrolled: 1-line block ×3, first 2 shown]
	s_cbranch_scc1 .LBB135_1742
; %bb.1740:
	s_clause 0x2
	s_load_b96 s[4:6], s[2:3], 0x10
	s_load_b32 s7, s[2:3], 0xd4
	s_load_b64 s[0:1], s[2:3], 0xdc
	s_wait_kmcnt 0x0
	v_mul_hi_u32 v3, s5, v5
	s_delay_alu instid0(VALU_DEP_1) | instskip(NEXT) | instid1(VALU_DEP_1)
	v_add_nc_u32_e32 v3, v5, v3
	v_lshrrev_b32_e32 v3, s6, v3
	s_delay_alu instid0(VALU_DEP_1) | instskip(NEXT) | instid1(VALU_DEP_1)
	v_mul_lo_u32 v3, v3, s4
	v_sub_nc_u32_e32 v3, v5, v3
	s_delay_alu instid0(VALU_DEP_1)
	v_mad_u32 v34, v3, s7, v34
	v_mad_u32 v16, v3, s0, v16
	;; [unrolled: 1-line block ×3, first 2 shown]
	s_branch .LBB135_1742
.LBB135_1741:
	v_dual_mov_b32 v20, 0 :: v_dual_mov_b32 v16, 0
	v_mov_b32_e32 v34, 0
	s_and_not1_b32 vcc_lo, exec_lo, s6
	s_cbranch_vccz .LBB135_1739
.LBB135_1742:
	v_cmp_ne_u32_e32 vcc_lo, 1, v2
	s_cbranch_vccnz .LBB135_1748
; %bb.1743:
	s_cmp_lg_u32 s19, 0
	s_mov_b32 s6, 0
	s_cbranch_scc0 .LBB135_1752
; %bb.1744:
	s_min_u32 s7, s33, 15
	v_dual_mov_b32 v32, 0 :: v_dual_mov_b32 v2, v1
	v_dual_mov_b32 v24, 0 :: v_dual_mov_b32 v28, 0
	s_add_co_i32 s4, s7, 1
	s_mov_b64 s[0:1], 0xffffffffffffffe0
	s_and_b32 s8, s4, 30
	s_add_nc_u64 s[0:1], s[2:3], s[0:1]
	s_mov_b64 s[4:5], s[2:3]
.LBB135_1745:                           ; =>This Inner Loop Header: Depth=1
	s_clause 0x1
	s_load_b128 s[12:15], s[4:5], 0x4
	s_load_b64 s[16:17], s[4:5], 0x14
	s_load_b32 s9, s[0:1], 0xe4
	s_add_co_i32 s8, s8, -2
	s_wait_xcnt 0x0
	s_add_nc_u64 s[4:5], s[4:5], 24
	s_cmp_lg_u32 s8, 0
	s_wait_kmcnt 0x0
	v_mul_hi_u32 v3, s13, v2
	s_delay_alu instid0(VALU_DEP_1) | instskip(NEXT) | instid1(VALU_DEP_1)
	v_add_nc_u32_e32 v3, v2, v3
	v_lshrrev_b32_e32 v3, s14, v3
	s_delay_alu instid0(VALU_DEP_1) | instskip(SKIP_2) | instid1(VALU_DEP_1)
	v_mul_hi_u32 v5, s16, v3
	v_mul_lo_u32 v6, v3, s12
	s_load_b96 s[12:14], s[0:1], 0xec
	v_dual_add_nc_u32 v5, v3, v5 :: v_dual_sub_nc_u32 v6, v2, v6
	s_delay_alu instid0(VALU_DEP_1) | instskip(SKIP_1) | instid1(VALU_DEP_2)
	v_lshrrev_b32_e32 v2, s17, v5
	s_load_b64 s[16:17], s[0:1], 0xfc
	v_mad_u32 v7, v6, s9, v32
	s_wait_xcnt 0x0
	s_add_nc_u64 s[0:1], s[0:1], 32
	v_mul_lo_u32 v5, v2, s15
	s_wait_kmcnt 0x0
	v_mad_u32 v8, v6, s13, v28
	v_mad_u32 v6, v6, s12, v24
	s_delay_alu instid0(VALU_DEP_3) | instskip(NEXT) | instid1(VALU_DEP_1)
	v_sub_nc_u32_e32 v3, v3, v5
	v_mad_u32 v32, v3, s14, v7
	s_delay_alu instid0(VALU_DEP_4) | instskip(NEXT) | instid1(VALU_DEP_4)
	v_mad_u32 v28, v3, s17, v8
	v_mad_u32 v24, v3, s16, v6
	s_cbranch_scc1 .LBB135_1745
; %bb.1746:
	s_bitcmp1_b32 s7, 0
	s_cselect_b32 s7, -1, 0
	s_delay_alu instid0(SALU_CYCLE_1)
	s_and_b32 vcc_lo, exec_lo, s7
	s_cbranch_vccnz .LBB135_1749
; %bb.1747:
	s_load_b96 s[12:14], s[4:5], 0x4
	s_load_b32 s7, s[0:1], 0xe4
	s_wait_xcnt 0x0
	s_load_b64 s[4:5], s[0:1], 0xec
	s_wait_kmcnt 0x0
	v_mul_hi_u32 v3, s13, v2
	s_delay_alu instid0(VALU_DEP_1) | instskip(NEXT) | instid1(VALU_DEP_1)
	v_add_nc_u32_e32 v3, v2, v3
	v_lshrrev_b32_e32 v3, s14, v3
	s_delay_alu instid0(VALU_DEP_1) | instskip(NEXT) | instid1(VALU_DEP_1)
	v_mul_lo_u32 v3, v3, s12
	v_sub_nc_u32_e32 v2, v2, v3
	s_delay_alu instid0(VALU_DEP_1)
	v_mad_u32 v32, v2, s7, v32
	v_mad_u32 v24, v2, s4, v24
	;; [unrolled: 1-line block ×3, first 2 shown]
	s_and_not1_b32 vcc_lo, exec_lo, s6
	s_cbranch_vccz .LBB135_1750
	s_branch .LBB135_1753
.LBB135_1748:
	s_mov_b32 s6, -1
                                        ; implicit-def: $vgpr28
                                        ; implicit-def: $vgpr24
                                        ; implicit-def: $vgpr32
.LBB135_1749:
	s_delay_alu instid0(SALU_CYCLE_1)
	s_and_not1_b32 vcc_lo, exec_lo, s6
	s_cbranch_vccnz .LBB135_1753
.LBB135_1750:
	s_clause 0x2
	s_load_b96 s[4:6], s[2:3], 0x4
	s_load_b32 s7, s[2:3], 0xc4
	s_load_b64 s[0:1], s[2:3], 0xcc
	s_cmp_lt_u32 s19, 2
	s_wait_kmcnt 0x0
	v_mul_hi_u32 v2, s5, v1
	s_delay_alu instid0(VALU_DEP_1) | instskip(NEXT) | instid1(VALU_DEP_1)
	v_add_nc_u32_e32 v2, v1, v2
	v_lshrrev_b32_e32 v2, s6, v2
	s_delay_alu instid0(VALU_DEP_1) | instskip(NEXT) | instid1(VALU_DEP_1)
	v_mul_lo_u32 v3, v2, s4
	v_sub_nc_u32_e32 v1, v1, v3
	s_delay_alu instid0(VALU_DEP_1)
	v_mul_lo_u32 v32, v1, s7
	v_mul_lo_u32 v28, v1, s1
	;; [unrolled: 1-line block ×3, first 2 shown]
	s_cbranch_scc1 .LBB135_1753
; %bb.1751:
	s_clause 0x2
	s_load_b96 s[4:6], s[2:3], 0x10
	s_load_b32 s7, s[2:3], 0xd4
	s_load_b64 s[0:1], s[2:3], 0xdc
	s_wait_kmcnt 0x0
	v_mul_hi_u32 v1, s5, v2
	s_delay_alu instid0(VALU_DEP_1) | instskip(NEXT) | instid1(VALU_DEP_1)
	v_add_nc_u32_e32 v1, v2, v1
	v_lshrrev_b32_e32 v1, s6, v1
	s_delay_alu instid0(VALU_DEP_1) | instskip(NEXT) | instid1(VALU_DEP_1)
	v_mul_lo_u32 v1, v1, s4
	v_sub_nc_u32_e32 v1, v2, v1
	s_delay_alu instid0(VALU_DEP_1)
	v_mad_u32 v32, v1, s7, v32
	v_mad_u32 v24, v1, s0, v24
	;; [unrolled: 1-line block ×3, first 2 shown]
	s_branch .LBB135_1753
.LBB135_1752:
	v_dual_mov_b32 v28, 0 :: v_dual_mov_b32 v24, 0
	v_mov_b32_e32 v32, 0
	s_and_not1_b32 vcc_lo, exec_lo, s6
	s_cbranch_vccz .LBB135_1750
.LBB135_1753:
	v_mov_b32_e32 v1, 0
	global_load_u8 v1, v1, s[2:3] offset:513
	s_wait_loadcnt 0x0
	v_and_b32_e32 v2, 0xffff, v1
	v_readfirstlane_b32 s6, v1
	s_delay_alu instid0(VALU_DEP_2)
	v_cmp_gt_i32_e32 vcc_lo, 23, v2
	s_cbranch_vccnz .LBB135_1757
; %bb.1754:
	s_and_b32 s4, 0xffff, s6
	s_delay_alu instid0(SALU_CYCLE_1)
	s_cmp_gt_i32 s4, 43
	s_cbranch_scc0 .LBB135_1758
; %bb.1755:
	s_cmp_gt_i32 s4, 45
	s_cbranch_scc0 .LBB135_1759
; %bb.1756:
	s_cmp_lg_u32 s4, 46
	s_mov_b32 s0, -1
	s_cselect_b32 s1, -1, 0
	s_cbranch_execz .LBB135_1760
	s_branch .LBB135_1761
.LBB135_1757:
	s_mov_b32 s0, 0
	s_mov_b32 s1, 0
	s_cbranch_execnz .LBB135_1764
	s_branch .LBB135_1768
.LBB135_1758:
	s_mov_b32 s0, 0
	s_mov_b32 s1, 0
	s_cbranch_execnz .LBB135_1762
	s_branch .LBB135_1763
.LBB135_1759:
	s_mov_b32 s0, 0
	s_mov_b32 s1, 0
.LBB135_1760:
	s_cmp_eq_u32 s4, 44
	s_cselect_b32 s0, -1, 0
	s_cmp_lg_u32 s4, 44
	s_cselect_b32 s1, -1, 0
.LBB135_1761:
	s_branch .LBB135_1763
.LBB135_1762:
	s_cmp_lt_i32 s4, 30
	s_cselect_b32 s0, -1, 0
	s_cmp_gt_i32 s4, 29
	s_cselect_b32 s1, -1, 0
.LBB135_1763:
	s_branch .LBB135_1768
.LBB135_1764:
	s_and_b32 s4, 0xffff, s6
	s_mov_b32 s5, -1
	s_cmp_gt_i32 s4, 14
	s_cbranch_scc0 .LBB135_1766
; %bb.1765:
	s_cmp_eq_u32 s4, 15
	s_mov_b32 s5, 0
	s_cselect_b32 s0, -1, 0
	s_cmp_lg_u32 s4, 15
	s_cselect_b32 s1, -1, 0
.LBB135_1766:
	s_and_not1_b32 vcc_lo, exec_lo, s5
	s_cbranch_vccnz .LBB135_1768
; %bb.1767:
	s_cmp_lt_i32 s4, 12
	s_cselect_b32 s0, -1, 0
	s_cmp_gt_i32 s4, 11
	s_cselect_b32 s1, -1, 0
.LBB135_1768:
	s_delay_alu instid0(SALU_CYCLE_1)
	s_and_b32 vcc_lo, exec_lo, s1
	s_mov_b32 s12, s10
	s_cbranch_vccnz .LBB135_1781
; %bb.1769:
	s_and_not1_b32 vcc_lo, exec_lo, s0
	s_cbranch_vccnz .LBB135_3357
.LBB135_1770:
	s_wait_xcnt 0x0
	v_mov_b32_e32 v1, 0
	s_load_b64 s[0:1], s[2:3], 0x1d8
	global_load_u8 v2, v1, s[2:3] offset:514
	s_wait_kmcnt 0x0
	v_add_nc_u64_e32 v[6:7], s[0:1], v[0:1]
	s_wait_loadcnt 0x0
	v_and_b32_e32 v3, 0xffff, v2
	v_readfirstlane_b32 s7, v2
	s_delay_alu instid0(VALU_DEP_2)
	v_cmp_gt_i32_e32 vcc_lo, 11, v3
	s_cbranch_vccnz .LBB135_1777
; %bb.1771:
	s_and_b32 s4, 0xffff, s7
	s_mov_b32 s8, 0
	s_cmp_gt_i32 s4, 25
	s_cbranch_scc0 .LBB135_1779
; %bb.1772:
	s_cmp_gt_i32 s4, 28
	s_cbranch_scc0 .LBB135_1780
; %bb.1773:
	;; [unrolled: 3-line block ×4, first 2 shown]
	s_cmp_eq_u32 s4, 46
	s_mov_b32 s13, 0
	s_cbranch_scc0 .LBB135_1786
; %bb.1776:
	global_load_b32 v0, v[6:7], off
	s_mov_b32 s5, 0
	s_mov_b32 s9, -1
	s_wait_loadcnt 0x0
	s_wait_xcnt 0x1
	v_lshlrev_b32_e32 v1, 16, v0
	v_and_b32_e32 v2, 0xffff0000, v0
	s_delay_alu instid0(VALU_DEP_2) | instskip(NEXT) | instid1(VALU_DEP_2)
	v_cvt_f64_f32_e32 v[0:1], v1
	v_cvt_f64_f32_e32 v[2:3], v2
	s_branch .LBB135_1788
.LBB135_1777:
	s_mov_b32 s9, 0
                                        ; implicit-def: $vgpr2_vgpr3
	s_cbranch_execnz .LBB135_1852
.LBB135_1778:
	s_and_not1_b32 vcc_lo, exec_lo, s9
	s_cbranch_vccz .LBB135_1901
	s_branch .LBB135_3357
.LBB135_1779:
	s_mov_b32 s9, 0
	s_mov_b32 s5, 0
                                        ; implicit-def: $vgpr2_vgpr3
	s_cbranch_execnz .LBB135_1817
	s_branch .LBB135_1848
.LBB135_1780:
	s_mov_b32 s13, -1
	s_mov_b32 s9, 0
	s_mov_b32 s5, 0
                                        ; implicit-def: $vgpr2_vgpr3
	s_branch .LBB135_1800
.LBB135_1781:
	s_or_b32 s12, s10, exec_lo
	s_trap 2
	s_cbranch_execz .LBB135_1770
	s_branch .LBB135_3357
.LBB135_1782:
	s_mov_b32 s13, -1
	s_mov_b32 s9, 0
	s_mov_b32 s5, 0
                                        ; implicit-def: $vgpr2_vgpr3
	s_branch .LBB135_1794
.LBB135_1783:
	s_mov_b32 s13, -1
	s_mov_b32 s9, 0
	s_mov_b32 s5, 0
	s_branch .LBB135_1787
.LBB135_1784:
	v_bfe_u32 v1, v0, 20, 1
	s_mov_b32 s6, exec_lo
	s_delay_alu instid0(VALU_DEP_1) | instskip(NEXT) | instid1(VALU_DEP_1)
	v_add3_u32 v1, v0, v1, 0x487ffff
	v_lshrrev_b32_e32 v1, 20, v1
	s_and_not1_saveexec_b32 s7, s7
	s_cbranch_execz .LBB135_1621
.LBB135_1785:
	v_add_f32_e64 v1, 0x46000000, |v0|
	s_and_not1_b32 s6, s6, exec_lo
	s_delay_alu instid0(VALU_DEP_1) | instskip(NEXT) | instid1(VALU_DEP_1)
	v_and_b32_e32 v1, 0xff, v1
	v_cmp_ne_u32_e32 vcc_lo, 0, v1
	s_and_b32 s10, vcc_lo, exec_lo
	s_delay_alu instid0(SALU_CYCLE_1)
	s_or_b32 s6, s6, s10
	s_or_b32 exec_lo, exec_lo, s7
	v_mov_b32_e32 v6, 0
	s_and_saveexec_b32 s7, s6
	s_cbranch_execnz .LBB135_1622
	s_branch .LBB135_1623
.LBB135_1786:
	s_mov_b32 s5, -1
	s_mov_b32 s9, 0
.LBB135_1787:
                                        ; implicit-def: $vgpr2_vgpr3
.LBB135_1788:
	s_and_b32 vcc_lo, exec_lo, s13
	s_cbranch_vccz .LBB135_1793
; %bb.1789:
	s_cmp_eq_u32 s4, 44
	s_cbranch_scc0 .LBB135_1791
; %bb.1790:
	global_load_u8 v2, v[6:7], off
	s_mov_b32 s5, 0
	s_mov_b32 s9, -1
	s_wait_loadcnt 0x0
	v_cmp_ne_u32_e32 vcc_lo, 0xff, v2
	v_lshlrev_b32_e32 v0, 23, v2
	s_wait_xcnt 0x1
	s_delay_alu instid0(VALU_DEP_1) | instskip(NEXT) | instid1(VALU_DEP_1)
	v_cvt_f64_f32_e32 v[0:1], v0
	v_cndmask_b32_e32 v0, 0x20000000, v0, vcc_lo
	s_delay_alu instid0(VALU_DEP_2) | instskip(SKIP_1) | instid1(VALU_DEP_2)
	v_cndmask_b32_e32 v1, 0x7ff80000, v1, vcc_lo
	v_cmp_ne_u32_e32 vcc_lo, 0, v2
	v_cndmask_b32_e32 v1, 0x38000000, v1, vcc_lo
	s_delay_alu instid0(VALU_DEP_4)
	v_cndmask_b32_e32 v0, 0, v0, vcc_lo
	s_branch .LBB135_1792
.LBB135_1791:
	s_mov_b32 s5, -1
                                        ; implicit-def: $vgpr0_vgpr1
.LBB135_1792:
	v_mov_b64_e32 v[2:3], 0
.LBB135_1793:
	s_mov_b32 s13, 0
.LBB135_1794:
	s_delay_alu instid0(SALU_CYCLE_1)
	s_and_b32 vcc_lo, exec_lo, s13
	s_cbranch_vccz .LBB135_1799
; %bb.1795:
	s_cmp_eq_u32 s4, 29
	s_cbranch_scc0 .LBB135_1797
; %bb.1796:
	global_load_b64 v[0:1], v[6:7], off
	s_mov_b32 s5, 0
	s_mov_b32 s9, -1
	s_wait_loadcnt 0x0
	v_cvt_f64_u32_e32 v[2:3], v1
	v_cvt_f64_u32_e32 v[0:1], v0
	s_delay_alu instid0(VALU_DEP_2) | instskip(NEXT) | instid1(VALU_DEP_1)
	v_ldexp_f64 v[2:3], v[2:3], 32
	v_add_f64_e32 v[0:1], v[2:3], v[0:1]
	s_branch .LBB135_1798
.LBB135_1797:
	s_mov_b32 s5, -1
                                        ; implicit-def: $vgpr0_vgpr1
.LBB135_1798:
	v_mov_b64_e32 v[2:3], 0
.LBB135_1799:
	s_mov_b32 s13, 0
.LBB135_1800:
	s_delay_alu instid0(SALU_CYCLE_1)
	s_and_b32 vcc_lo, exec_lo, s13
	s_cbranch_vccz .LBB135_1816
; %bb.1801:
	s_cmp_lt_i32 s4, 27
	s_cbranch_scc1 .LBB135_1804
; %bb.1802:
	s_cmp_gt_i32 s4, 27
	s_cbranch_scc0 .LBB135_1805
; %bb.1803:
	global_load_b32 v0, v[6:7], off
	s_mov_b32 s9, 0
	s_wait_loadcnt 0x0
	s_wait_xcnt 0x1
	v_cvt_f64_u32_e32 v[0:1], v0
	s_branch .LBB135_1806
.LBB135_1804:
	s_mov_b32 s9, -1
                                        ; implicit-def: $vgpr0_vgpr1
	s_branch .LBB135_1809
.LBB135_1805:
	s_mov_b32 s9, -1
                                        ; implicit-def: $vgpr0_vgpr1
.LBB135_1806:
	s_delay_alu instid0(SALU_CYCLE_1)
	s_and_not1_b32 vcc_lo, exec_lo, s9
	s_cbranch_vccnz .LBB135_1808
; %bb.1807:
	global_load_u16 v0, v[6:7], off
	s_wait_loadcnt 0x0
	s_wait_xcnt 0x1
	v_cvt_f64_u32_e32 v[0:1], v0
.LBB135_1808:
	s_mov_b32 s9, 0
.LBB135_1809:
	s_delay_alu instid0(SALU_CYCLE_1)
	s_and_not1_b32 vcc_lo, exec_lo, s9
	s_cbranch_vccnz .LBB135_1815
; %bb.1810:
	global_load_u8 v2, v[6:7], off
	s_mov_b32 s9, 0
	s_mov_b32 s13, exec_lo
	s_wait_loadcnt 0x0
	v_cmpx_lt_i16_e32 0x7f, v2
	s_xor_b32 s13, exec_lo, s13
	s_cbranch_execnz .LBB135_1827
; %bb.1811:
	s_or_saveexec_b32 s13, s13
	v_mov_b64_e32 v[0:1], 0x7ff8000020000000
	s_xor_b32 exec_lo, exec_lo, s13
	s_cbranch_execnz .LBB135_1830
.LBB135_1812:
	s_or_b32 exec_lo, exec_lo, s13
	s_and_saveexec_b32 s13, s9
	s_cbranch_execz .LBB135_1814
.LBB135_1813:
	v_and_b32_e32 v0, 0xffff, v2
	s_delay_alu instid0(VALU_DEP_1) | instskip(SKIP_1) | instid1(VALU_DEP_2)
	v_and_b32_e32 v1, 7, v0
	v_bfe_u32 v8, v0, 3, 4
	v_clz_i32_u32_e32 v3, v1
	s_delay_alu instid0(VALU_DEP_2) | instskip(NEXT) | instid1(VALU_DEP_2)
	v_cmp_eq_u32_e32 vcc_lo, 0, v8
	v_min_u32_e32 v3, 32, v3
	s_delay_alu instid0(VALU_DEP_1) | instskip(NEXT) | instid1(VALU_DEP_1)
	v_subrev_nc_u32_e32 v5, 28, v3
	v_dual_lshlrev_b32 v0, v5, v0 :: v_dual_sub_nc_u32 v3, 29, v3
	s_delay_alu instid0(VALU_DEP_1) | instskip(NEXT) | instid1(VALU_DEP_1)
	v_dual_lshlrev_b32 v2, 24, v2 :: v_dual_bitop2_b32 v0, 7, v0 bitop3:0x40
	v_dual_cndmask_b32 v3, v8, v3 :: v_dual_cndmask_b32 v0, v1, v0
	s_delay_alu instid0(VALU_DEP_2) | instskip(NEXT) | instid1(VALU_DEP_2)
	v_and_b32_e32 v1, 0x80000000, v2
	v_lshl_add_u32 v2, v3, 23, 0x3b800000
	s_delay_alu instid0(VALU_DEP_3) | instskip(NEXT) | instid1(VALU_DEP_1)
	v_lshlrev_b32_e32 v0, 20, v0
	v_or3_b32 v0, v1, v2, v0
	s_delay_alu instid0(VALU_DEP_1)
	v_cvt_f64_f32_e32 v[0:1], v0
.LBB135_1814:
	s_or_b32 exec_lo, exec_lo, s13
.LBB135_1815:
	v_mov_b64_e32 v[2:3], 0
	s_mov_b32 s9, -1
.LBB135_1816:
	s_branch .LBB135_1848
.LBB135_1817:
	s_cmp_gt_i32 s4, 22
	s_cbranch_scc0 .LBB135_1825
; %bb.1818:
	s_cmp_lt_i32 s4, 24
	s_cbranch_scc1 .LBB135_1826
; %bb.1819:
	s_cmp_gt_i32 s4, 24
	s_cbranch_scc0 .LBB135_1831
; %bb.1820:
	global_load_u8 v2, v[6:7], off
	s_mov_b32 s9, exec_lo
	s_wait_loadcnt 0x0
	v_cmpx_lt_i16_e32 0x7f, v2
	s_xor_b32 s9, exec_lo, s9
	s_cbranch_execnz .LBB135_1914
; %bb.1821:
	s_or_saveexec_b32 s9, s9
	v_mov_b64_e32 v[0:1], 0x7ff8000020000000
	s_xor_b32 exec_lo, exec_lo, s9
	s_cbranch_execnz .LBB135_1917
.LBB135_1822:
	s_or_b32 exec_lo, exec_lo, s9
	s_and_saveexec_b32 s9, s8
	s_cbranch_execz .LBB135_1824
.LBB135_1823:
	v_and_b32_e32 v0, 0xffff, v2
	s_delay_alu instid0(VALU_DEP_1) | instskip(SKIP_1) | instid1(VALU_DEP_2)
	v_and_b32_e32 v1, 3, v0
	v_bfe_u32 v8, v0, 2, 5
	v_clz_i32_u32_e32 v3, v1
	s_delay_alu instid0(VALU_DEP_2) | instskip(NEXT) | instid1(VALU_DEP_2)
	v_cmp_eq_u32_e32 vcc_lo, 0, v8
	v_min_u32_e32 v3, 32, v3
	s_delay_alu instid0(VALU_DEP_1) | instskip(NEXT) | instid1(VALU_DEP_1)
	v_subrev_nc_u32_e32 v5, 29, v3
	v_dual_lshlrev_b32 v0, v5, v0 :: v_dual_sub_nc_u32 v3, 30, v3
	s_delay_alu instid0(VALU_DEP_1) | instskip(NEXT) | instid1(VALU_DEP_1)
	v_dual_lshlrev_b32 v2, 24, v2 :: v_dual_bitop2_b32 v0, 3, v0 bitop3:0x40
	v_dual_cndmask_b32 v3, v8, v3 :: v_dual_cndmask_b32 v0, v1, v0
	s_delay_alu instid0(VALU_DEP_2) | instskip(NEXT) | instid1(VALU_DEP_2)
	v_and_b32_e32 v1, 0x80000000, v2
	v_lshl_add_u32 v2, v3, 23, 0x37800000
	s_delay_alu instid0(VALU_DEP_3) | instskip(NEXT) | instid1(VALU_DEP_1)
	v_lshlrev_b32_e32 v0, 21, v0
	v_or3_b32 v0, v1, v2, v0
	s_delay_alu instid0(VALU_DEP_1)
	v_cvt_f64_f32_e32 v[0:1], v0
.LBB135_1824:
	s_or_b32 exec_lo, exec_lo, s9
	s_mov_b32 s8, 0
	s_branch .LBB135_1832
.LBB135_1825:
	s_mov_b32 s8, -1
                                        ; implicit-def: $vgpr0_vgpr1
	s_branch .LBB135_1838
.LBB135_1826:
	s_mov_b32 s8, -1
                                        ; implicit-def: $vgpr0_vgpr1
	s_branch .LBB135_1835
.LBB135_1827:
	s_mov_b32 s9, -1
	s_mov_b32 s14, exec_lo
	v_cmpx_eq_u16_e32 0x80, v2
; %bb.1828:
	s_xor_b32 s9, exec_lo, -1
; %bb.1829:
	s_or_b32 exec_lo, exec_lo, s14
	s_delay_alu instid0(SALU_CYCLE_1)
	s_and_b32 s9, s9, exec_lo
	s_or_saveexec_b32 s13, s13
	v_mov_b64_e32 v[0:1], 0x7ff8000020000000
	s_xor_b32 exec_lo, exec_lo, s13
	s_cbranch_execz .LBB135_1812
.LBB135_1830:
	v_cmp_ne_u16_e32 vcc_lo, 0, v2
	v_mov_b64_e32 v[0:1], 0
	s_and_not1_b32 s9, s9, exec_lo
	s_and_b32 s14, vcc_lo, exec_lo
	s_delay_alu instid0(SALU_CYCLE_1)
	s_or_b32 s9, s9, s14
	s_or_b32 exec_lo, exec_lo, s13
	s_and_saveexec_b32 s13, s9
	s_cbranch_execnz .LBB135_1813
	s_branch .LBB135_1814
.LBB135_1831:
	s_mov_b32 s8, -1
                                        ; implicit-def: $vgpr0_vgpr1
.LBB135_1832:
	s_delay_alu instid0(SALU_CYCLE_1)
	s_and_b32 vcc_lo, exec_lo, s8
	s_cbranch_vccz .LBB135_1834
; %bb.1833:
	global_load_u8 v0, v[6:7], off
	s_wait_loadcnt 0x0
	v_lshlrev_b32_e32 v0, 24, v0
	s_wait_xcnt 0x1
	s_delay_alu instid0(VALU_DEP_1) | instskip(NEXT) | instid1(VALU_DEP_1)
	v_and_b32_e32 v1, 0x7f000000, v0
	v_clz_i32_u32_e32 v2, v1
	v_add_nc_u32_e32 v5, 0x1000000, v1
	v_cmp_ne_u32_e32 vcc_lo, 0, v1
	s_delay_alu instid0(VALU_DEP_3) | instskip(NEXT) | instid1(VALU_DEP_1)
	v_min_u32_e32 v2, 32, v2
	v_sub_nc_u32_e64 v2, v2, 4 clamp
	s_delay_alu instid0(VALU_DEP_1) | instskip(NEXT) | instid1(VALU_DEP_1)
	v_dual_lshlrev_b32 v3, v2, v1 :: v_dual_lshlrev_b32 v2, 23, v2
	v_lshrrev_b32_e32 v3, 4, v3
	s_delay_alu instid0(VALU_DEP_1) | instskip(NEXT) | instid1(VALU_DEP_1)
	v_dual_sub_nc_u32 v2, v3, v2 :: v_dual_ashrrev_i32 v3, 8, v5
	v_add_nc_u32_e32 v2, 0x3c000000, v2
	s_delay_alu instid0(VALU_DEP_1) | instskip(NEXT) | instid1(VALU_DEP_1)
	v_and_or_b32 v2, 0x7f800000, v3, v2
	v_cndmask_b32_e32 v1, 0, v2, vcc_lo
	s_delay_alu instid0(VALU_DEP_1) | instskip(NEXT) | instid1(VALU_DEP_1)
	v_and_or_b32 v0, 0x80000000, v0, v1
	v_cvt_f64_f32_e32 v[0:1], v0
.LBB135_1834:
	s_mov_b32 s8, 0
.LBB135_1835:
	s_delay_alu instid0(SALU_CYCLE_1)
	s_and_not1_b32 vcc_lo, exec_lo, s8
	s_cbranch_vccnz .LBB135_1837
; %bb.1836:
	global_load_u8 v0, v[6:7], off
	s_wait_loadcnt 0x0
	s_wait_xcnt 0x1
	v_lshlrev_b32_e32 v1, 25, v0
	v_lshlrev_b16 v0, 8, v0
	s_delay_alu instid0(VALU_DEP_1) | instskip(SKIP_1) | instid1(VALU_DEP_2)
	v_and_or_b32 v3, 0x7f00, v0, 0.5
	v_bfe_i32 v0, v0, 0, 16
	v_dual_add_f32 v3, -0.5, v3 :: v_dual_lshrrev_b32 v2, 4, v1
	v_cmp_gt_u32_e32 vcc_lo, 0x8000000, v1
	s_delay_alu instid0(VALU_DEP_2) | instskip(NEXT) | instid1(VALU_DEP_1)
	v_or_b32_e32 v2, 0x70000000, v2
	v_mul_f32_e32 v2, 0x7800000, v2
	s_delay_alu instid0(VALU_DEP_1) | instskip(NEXT) | instid1(VALU_DEP_1)
	v_cndmask_b32_e32 v1, v2, v3, vcc_lo
	v_and_or_b32 v0, 0x80000000, v0, v1
	s_delay_alu instid0(VALU_DEP_1)
	v_cvt_f64_f32_e32 v[0:1], v0
.LBB135_1837:
	s_mov_b32 s8, 0
	s_mov_b32 s9, -1
.LBB135_1838:
	s_and_not1_b32 vcc_lo, exec_lo, s8
	s_mov_b32 s8, 0
	s_cbranch_vccnz .LBB135_1847
; %bb.1839:
	s_cmp_gt_i32 s4, 14
	s_cbranch_scc0 .LBB135_1842
; %bb.1840:
	s_cmp_eq_u32 s4, 15
	s_cbranch_scc0 .LBB135_1843
; %bb.1841:
	global_load_u16 v0, v[6:7], off
	s_mov_b32 s5, 0
	s_mov_b32 s9, -1
	s_wait_loadcnt 0x0
	v_lshlrev_b32_e32 v0, 16, v0
	s_wait_xcnt 0x1
	s_delay_alu instid0(VALU_DEP_1)
	v_cvt_f64_f32_e32 v[0:1], v0
	s_branch .LBB135_1845
.LBB135_1842:
	s_mov_b32 s8, -1
	s_branch .LBB135_1844
.LBB135_1843:
	s_mov_b32 s5, -1
.LBB135_1844:
                                        ; implicit-def: $vgpr0_vgpr1
.LBB135_1845:
	s_and_b32 vcc_lo, exec_lo, s8
	s_mov_b32 s8, 0
	s_cbranch_vccz .LBB135_1847
; %bb.1846:
	s_cmp_lg_u32 s4, 11
	s_mov_b32 s8, -1
	s_cselect_b32 s5, -1, 0
.LBB135_1847:
	v_mov_b64_e32 v[2:3], 0
.LBB135_1848:
	s_and_b32 vcc_lo, exec_lo, s5
	s_cbranch_vccnz .LBB135_1913
; %bb.1849:
	s_and_not1_b32 vcc_lo, exec_lo, s8
	s_cbranch_vccnz .LBB135_1851
.LBB135_1850:
	global_load_u8 v0, v[6:7], off
	v_mov_b64_e32 v[2:3], 0
	s_mov_b32 s9, -1
	s_wait_loadcnt 0x0
	v_cmp_ne_u16_e32 vcc_lo, 0, v0
	v_mov_b32_e32 v0, 0
	s_wait_xcnt 0x1
	v_cndmask_b32_e64 v1, 0, 0x3ff00000, vcc_lo
.LBB135_1851:
	s_branch .LBB135_1778
.LBB135_1852:
	s_and_b32 s4, 0xffff, s7
	s_delay_alu instid0(SALU_CYCLE_1)
	s_cmp_lt_i32 s4, 5
	s_cbranch_scc1 .LBB135_1857
; %bb.1853:
	s_cmp_lt_i32 s4, 8
	s_cbranch_scc1 .LBB135_1859
; %bb.1854:
	;; [unrolled: 3-line block ×3, first 2 shown]
	s_cmp_gt_i32 s4, 9
	s_cbranch_scc0 .LBB135_1861
; %bb.1856:
	global_load_b128 v[0:3], v[6:7], off
	s_mov_b32 s5, 0
	s_branch .LBB135_1862
.LBB135_1857:
                                        ; implicit-def: $vgpr2_vgpr3
	s_branch .LBB135_1881
.LBB135_1858:
	s_branch .LBB135_1901
.LBB135_1859:
	s_mov_b32 s5, -1
                                        ; implicit-def: $vgpr2_vgpr3
	s_branch .LBB135_1868
.LBB135_1860:
	s_mov_b32 s5, -1
                                        ; implicit-def: $vgpr2_vgpr3
	s_branch .LBB135_1865
.LBB135_1861:
	s_mov_b32 s5, -1
                                        ; implicit-def: $vgpr2_vgpr3
.LBB135_1862:
	s_delay_alu instid0(SALU_CYCLE_1)
	s_and_not1_b32 vcc_lo, exec_lo, s5
	s_cbranch_vccnz .LBB135_1864
; %bb.1863:
	s_wait_loadcnt 0x0
	global_load_b64 v[2:3], v[6:7], off
	s_wait_loadcnt 0x0
	s_wait_xcnt 0x1
	v_cvt_f64_f32_e32 v[0:1], v2
	v_cvt_f64_f32_e32 v[2:3], v3
.LBB135_1864:
	s_mov_b32 s5, 0
.LBB135_1865:
	s_delay_alu instid0(SALU_CYCLE_1)
	s_and_not1_b32 vcc_lo, exec_lo, s5
	s_cbranch_vccnz .LBB135_1867
; %bb.1866:
	s_wait_loadcnt 0x0
	global_load_b32 v0, v[6:7], off
	s_wait_loadcnt 0x0
	s_wait_xcnt 0x1
	v_lshrrev_b32_e32 v1, 16, v0
	v_cvt_f32_f16_e32 v0, v0
	s_delay_alu instid0(VALU_DEP_2) | instskip(NEXT) | instid1(VALU_DEP_2)
	v_cvt_f32_f16_e32 v2, v1
	v_cvt_f64_f32_e32 v[0:1], v0
	s_delay_alu instid0(VALU_DEP_2)
	v_cvt_f64_f32_e32 v[2:3], v2
.LBB135_1867:
	s_mov_b32 s5, 0
.LBB135_1868:
	s_delay_alu instid0(SALU_CYCLE_1)
	s_and_not1_b32 vcc_lo, exec_lo, s5
	s_cbranch_vccnz .LBB135_1880
; %bb.1869:
	s_cmp_lt_i32 s4, 6
	s_cbranch_scc1 .LBB135_1872
; %bb.1870:
	s_cmp_gt_i32 s4, 6
	s_cbranch_scc0 .LBB135_1873
; %bb.1871:
	s_wait_loadcnt 0x0
	global_load_b64 v[0:1], v[6:7], off
	s_mov_b32 s5, 0
	s_branch .LBB135_1874
.LBB135_1872:
	s_mov_b32 s5, -1
                                        ; implicit-def: $vgpr0_vgpr1
	s_branch .LBB135_1877
.LBB135_1873:
	s_mov_b32 s5, -1
                                        ; implicit-def: $vgpr0_vgpr1
.LBB135_1874:
	s_delay_alu instid0(SALU_CYCLE_1)
	s_and_not1_b32 vcc_lo, exec_lo, s5
	s_cbranch_vccnz .LBB135_1876
; %bb.1875:
	s_wait_loadcnt 0x0
	global_load_b32 v0, v[6:7], off
	s_wait_loadcnt 0x0
	s_wait_xcnt 0x1
	v_cvt_f64_f32_e32 v[0:1], v0
.LBB135_1876:
	s_mov_b32 s5, 0
.LBB135_1877:
	s_delay_alu instid0(SALU_CYCLE_1)
	s_and_not1_b32 vcc_lo, exec_lo, s5
	s_cbranch_vccnz .LBB135_1879
; %bb.1878:
	s_wait_loadcnt 0x0
	global_load_u16 v0, v[6:7], off
	s_wait_loadcnt 0x0
	v_cvt_f32_f16_e32 v0, v0
	s_wait_xcnt 0x1
	s_delay_alu instid0(VALU_DEP_1)
	v_cvt_f64_f32_e32 v[0:1], v0
.LBB135_1879:
	s_wait_loadcnt 0x0
	v_mov_b64_e32 v[2:3], 0
.LBB135_1880:
	s_cbranch_execnz .LBB135_1858
.LBB135_1881:
	s_cmp_lt_i32 s4, 2
	s_cbranch_scc1 .LBB135_1885
; %bb.1882:
	s_cmp_lt_i32 s4, 3
	s_cbranch_scc1 .LBB135_1886
; %bb.1883:
	s_cmp_gt_i32 s4, 3
	s_cbranch_scc0 .LBB135_1887
; %bb.1884:
	s_wait_loadcnt 0x0
	global_load_b64 v[0:1], v[6:7], off
	s_mov_b32 s5, 0
	s_wait_loadcnt 0x0
	v_cvt_f64_i32_e32 v[2:3], v1
	v_cvt_f64_u32_e32 v[0:1], v0
	s_delay_alu instid0(VALU_DEP_2) | instskip(NEXT) | instid1(VALU_DEP_1)
	v_ldexp_f64 v[2:3], v[2:3], 32
	v_add_f64_e32 v[0:1], v[2:3], v[0:1]
	s_branch .LBB135_1888
.LBB135_1885:
	s_mov_b32 s5, -1
                                        ; implicit-def: $vgpr0_vgpr1
	s_branch .LBB135_1894
.LBB135_1886:
	s_mov_b32 s5, -1
                                        ; implicit-def: $vgpr0_vgpr1
	s_branch .LBB135_1891
.LBB135_1887:
	s_mov_b32 s5, -1
                                        ; implicit-def: $vgpr0_vgpr1
.LBB135_1888:
	s_delay_alu instid0(SALU_CYCLE_1)
	s_and_not1_b32 vcc_lo, exec_lo, s5
	s_cbranch_vccnz .LBB135_1890
; %bb.1889:
	s_wait_loadcnt 0x0
	global_load_b32 v0, v[6:7], off
	s_wait_loadcnt 0x0
	s_wait_xcnt 0x1
	v_cvt_f64_i32_e32 v[0:1], v0
.LBB135_1890:
	s_mov_b32 s5, 0
.LBB135_1891:
	s_delay_alu instid0(SALU_CYCLE_1)
	s_and_not1_b32 vcc_lo, exec_lo, s5
	s_cbranch_vccnz .LBB135_1893
; %bb.1892:
	s_wait_loadcnt 0x0
	global_load_i16 v0, v[6:7], off
	s_wait_loadcnt 0x0
	s_wait_xcnt 0x1
	v_cvt_f64_i32_e32 v[0:1], v0
.LBB135_1893:
	s_mov_b32 s5, 0
.LBB135_1894:
	s_delay_alu instid0(SALU_CYCLE_1)
	s_and_not1_b32 vcc_lo, exec_lo, s5
	s_cbranch_vccnz .LBB135_1900
; %bb.1895:
	s_cmp_gt_i32 s4, 0
	s_mov_b32 s4, 0
	s_cbranch_scc0 .LBB135_1897
; %bb.1896:
	s_wait_loadcnt 0x0
	global_load_i8 v0, v[6:7], off
	s_wait_loadcnt 0x0
	s_wait_xcnt 0x1
	v_cvt_f64_i32_e32 v[0:1], v0
	s_branch .LBB135_1898
.LBB135_1897:
	s_mov_b32 s4, -1
                                        ; implicit-def: $vgpr0_vgpr1
.LBB135_1898:
	s_delay_alu instid0(SALU_CYCLE_1)
	s_and_not1_b32 vcc_lo, exec_lo, s4
	s_cbranch_vccnz .LBB135_1900
; %bb.1899:
	s_wait_loadcnt 0x0
	global_load_u8 v0, v[6:7], off
	s_wait_loadcnt 0x0
	s_wait_xcnt 0x1
	v_cvt_f64_u32_e32 v[0:1], v0
.LBB135_1900:
	s_wait_loadcnt 0x0
	v_mov_b64_e32 v[2:3], 0
.LBB135_1901:
	v_mov_b32_e32 v5, 0
	s_load_b64 s[4:5], s[2:3], 0x1e0
	global_load_u8 v6, v5, s[2:3] offset:515
	s_wait_kmcnt 0x0
	v_add_nc_u64_e32 v[8:9], s[4:5], v[4:5]
	s_wait_loadcnt 0x0
	v_and_b32_e32 v7, 0xffff, v6
	v_readfirstlane_b32 s9, v6
	s_delay_alu instid0(VALU_DEP_2)
	v_cmp_gt_i32_e32 vcc_lo, 11, v7
	s_cbranch_vccnz .LBB135_1908
; %bb.1902:
	s_and_b32 s8, 0xffff, s9
	s_mov_b32 s14, 0
	s_cmp_gt_i32 s8, 25
	s_cbranch_scc0 .LBB135_1910
; %bb.1903:
	s_cmp_gt_i32 s8, 28
	s_cbranch_scc0 .LBB135_1911
; %bb.1904:
	;; [unrolled: 3-line block ×4, first 2 shown]
	s_cmp_eq_u32 s8, 46
	s_mov_b32 s16, 0
	s_cbranch_scc0 .LBB135_1921
; %bb.1907:
	global_load_b32 v4, v[8:9], off
	s_mov_b32 s13, 0
	s_mov_b32 s15, -1
	s_wait_loadcnt 0x0
	s_wait_xcnt 0x1
	v_lshlrev_b32_e32 v5, 16, v4
	v_and_b32_e32 v6, 0xffff0000, v4
	s_delay_alu instid0(VALU_DEP_2) | instskip(NEXT) | instid1(VALU_DEP_2)
	v_cvt_f64_f32_e32 v[4:5], v5
	v_cvt_f64_f32_e32 v[6:7], v6
	s_branch .LBB135_1923
.LBB135_1908:
	s_mov_b32 s15, 0
                                        ; implicit-def: $vgpr6_vgpr7
	s_cbranch_execnz .LBB135_1957
.LBB135_1909:
	s_and_not1_b32 vcc_lo, exec_lo, s15
	s_cbranch_vccz .LBB135_2039
	s_branch .LBB135_3357
.LBB135_1910:
	s_mov_b32 s16, -1
	s_mov_b32 s15, 0
	s_mov_b32 s13, 0
                                        ; implicit-def: $vgpr6_vgpr7
	s_branch .LBB135_1952
.LBB135_1911:
	s_mov_b32 s16, -1
	s_mov_b32 s15, 0
	s_mov_b32 s13, 0
                                        ; implicit-def: $vgpr6_vgpr7
	s_branch .LBB135_1935
.LBB135_1912:
	s_mov_b32 s16, -1
	s_mov_b32 s15, 0
	s_mov_b32 s13, 0
                                        ; implicit-def: $vgpr6_vgpr7
	s_branch .LBB135_1929
.LBB135_1913:
	s_or_b32 s12, s12, exec_lo
	s_trap 2
	s_cbranch_execz .LBB135_1850
	s_branch .LBB135_1851
.LBB135_1914:
	s_mov_b32 s8, -1
	s_mov_b32 s13, exec_lo
	v_cmpx_eq_u16_e32 0x80, v2
; %bb.1915:
	s_xor_b32 s8, exec_lo, -1
; %bb.1916:
	s_or_b32 exec_lo, exec_lo, s13
	s_delay_alu instid0(SALU_CYCLE_1)
	s_and_b32 s8, s8, exec_lo
	s_or_saveexec_b32 s9, s9
	v_mov_b64_e32 v[0:1], 0x7ff8000020000000
	s_xor_b32 exec_lo, exec_lo, s9
	s_cbranch_execz .LBB135_1822
.LBB135_1917:
	v_cmp_ne_u16_e32 vcc_lo, 0, v2
	v_mov_b64_e32 v[0:1], 0
	s_and_not1_b32 s8, s8, exec_lo
	s_and_b32 s13, vcc_lo, exec_lo
	s_delay_alu instid0(SALU_CYCLE_1)
	s_or_b32 s8, s8, s13
	s_or_b32 exec_lo, exec_lo, s9
	s_and_saveexec_b32 s9, s8
	s_cbranch_execnz .LBB135_1823
	s_branch .LBB135_1824
.LBB135_1918:
	s_mov_b32 s16, -1
	s_mov_b32 s15, 0
	s_mov_b32 s13, 0
	s_branch .LBB135_1922
.LBB135_1919:
	v_bfe_u32 v1, v0, 21, 1
	s_mov_b32 s7, exec_lo
	s_delay_alu instid0(VALU_DEP_1) | instskip(NEXT) | instid1(VALU_DEP_1)
	v_add3_u32 v1, v0, v1, 0x88fffff
	v_lshrrev_b32_e32 v1, 21, v1
	s_and_not1_saveexec_b32 s10, s10
	s_cbranch_execz .LBB135_1633
.LBB135_1920:
	v_add_f32_e64 v1, 0x42800000, |v0|
	s_and_not1_b32 s7, s7, exec_lo
	s_delay_alu instid0(VALU_DEP_1) | instskip(NEXT) | instid1(VALU_DEP_1)
	v_and_b32_e32 v1, 0xff, v1
	v_cmp_ne_u32_e32 vcc_lo, 0, v1
	s_and_b32 s11, vcc_lo, exec_lo
	s_delay_alu instid0(SALU_CYCLE_1)
	s_or_b32 s7, s7, s11
	s_or_b32 exec_lo, exec_lo, s10
	v_mov_b32_e32 v6, 0
	s_and_saveexec_b32 s10, s7
	s_cbranch_execnz .LBB135_1634
	s_branch .LBB135_1635
.LBB135_1921:
	s_mov_b32 s13, -1
	s_mov_b32 s15, 0
.LBB135_1922:
                                        ; implicit-def: $vgpr6_vgpr7
.LBB135_1923:
	s_and_b32 vcc_lo, exec_lo, s16
	s_cbranch_vccz .LBB135_1928
; %bb.1924:
	s_cmp_eq_u32 s8, 44
	s_cbranch_scc0 .LBB135_1926
; %bb.1925:
	global_load_u8 v6, v[8:9], off
	s_mov_b32 s13, 0
	s_mov_b32 s15, -1
	s_wait_loadcnt 0x0
	v_cmp_ne_u32_e32 vcc_lo, 0xff, v6
	v_lshlrev_b32_e32 v4, 23, v6
	s_wait_xcnt 0x1
	s_delay_alu instid0(VALU_DEP_1) | instskip(NEXT) | instid1(VALU_DEP_1)
	v_cvt_f64_f32_e32 v[4:5], v4
	v_cndmask_b32_e32 v4, 0x20000000, v4, vcc_lo
	s_delay_alu instid0(VALU_DEP_2) | instskip(SKIP_1) | instid1(VALU_DEP_2)
	v_cndmask_b32_e32 v5, 0x7ff80000, v5, vcc_lo
	v_cmp_ne_u32_e32 vcc_lo, 0, v6
	v_cndmask_b32_e32 v5, 0x38000000, v5, vcc_lo
	s_delay_alu instid0(VALU_DEP_4)
	v_cndmask_b32_e32 v4, 0, v4, vcc_lo
	s_branch .LBB135_1927
.LBB135_1926:
	s_mov_b32 s13, -1
                                        ; implicit-def: $vgpr4_vgpr5
.LBB135_1927:
	v_mov_b64_e32 v[6:7], 0
.LBB135_1928:
	s_mov_b32 s16, 0
.LBB135_1929:
	s_delay_alu instid0(SALU_CYCLE_1)
	s_and_b32 vcc_lo, exec_lo, s16
	s_cbranch_vccz .LBB135_1934
; %bb.1930:
	s_cmp_eq_u32 s8, 29
	s_cbranch_scc0 .LBB135_1932
; %bb.1931:
	global_load_b64 v[4:5], v[8:9], off
	s_mov_b32 s13, 0
	s_mov_b32 s15, -1
	s_wait_loadcnt 0x0
	v_cvt_f64_u32_e32 v[6:7], v5
	v_cvt_f64_u32_e32 v[4:5], v4
	s_delay_alu instid0(VALU_DEP_2) | instskip(NEXT) | instid1(VALU_DEP_1)
	v_ldexp_f64 v[6:7], v[6:7], 32
	v_add_f64_e32 v[4:5], v[6:7], v[4:5]
	s_branch .LBB135_1933
.LBB135_1932:
	s_mov_b32 s13, -1
                                        ; implicit-def: $vgpr4_vgpr5
.LBB135_1933:
	v_mov_b64_e32 v[6:7], 0
.LBB135_1934:
	s_mov_b32 s16, 0
.LBB135_1935:
	s_delay_alu instid0(SALU_CYCLE_1)
	s_and_b32 vcc_lo, exec_lo, s16
	s_cbranch_vccz .LBB135_1951
; %bb.1936:
	s_cmp_lt_i32 s8, 27
	s_cbranch_scc1 .LBB135_1939
; %bb.1937:
	s_cmp_gt_i32 s8, 27
	s_cbranch_scc0 .LBB135_1940
; %bb.1938:
	global_load_b32 v4, v[8:9], off
	s_mov_b32 s15, 0
	s_wait_loadcnt 0x0
	s_wait_xcnt 0x1
	v_cvt_f64_u32_e32 v[4:5], v4
	s_branch .LBB135_1941
.LBB135_1939:
	s_mov_b32 s15, -1
                                        ; implicit-def: $vgpr4_vgpr5
	s_branch .LBB135_1944
.LBB135_1940:
	s_mov_b32 s15, -1
                                        ; implicit-def: $vgpr4_vgpr5
.LBB135_1941:
	s_delay_alu instid0(SALU_CYCLE_1)
	s_and_not1_b32 vcc_lo, exec_lo, s15
	s_cbranch_vccnz .LBB135_1943
; %bb.1942:
	global_load_u16 v4, v[8:9], off
	s_wait_loadcnt 0x0
	s_wait_xcnt 0x1
	v_cvt_f64_u32_e32 v[4:5], v4
.LBB135_1943:
	s_mov_b32 s15, 0
.LBB135_1944:
	s_delay_alu instid0(SALU_CYCLE_1)
	s_and_not1_b32 vcc_lo, exec_lo, s15
	s_cbranch_vccnz .LBB135_1950
; %bb.1945:
	global_load_u8 v6, v[8:9], off
	s_mov_b32 s15, 0
	s_mov_b32 s16, exec_lo
	s_wait_loadcnt 0x0
	v_cmpx_lt_i16_e32 0x7f, v6
	s_xor_b32 s16, exec_lo, s16
	s_cbranch_execnz .LBB135_1975
; %bb.1946:
	s_or_saveexec_b32 s16, s16
	v_mov_b64_e32 v[4:5], 0x7ff8000020000000
	s_xor_b32 exec_lo, exec_lo, s16
	s_cbranch_execnz .LBB135_1978
.LBB135_1947:
	s_or_b32 exec_lo, exec_lo, s16
	s_and_saveexec_b32 s16, s15
	s_cbranch_execz .LBB135_1949
.LBB135_1948:
	v_and_b32_e32 v4, 0xffff, v6
	s_delay_alu instid0(VALU_DEP_1) | instskip(SKIP_1) | instid1(VALU_DEP_2)
	v_and_b32_e32 v5, 7, v4
	v_bfe_u32 v13, v4, 3, 4
	v_clz_i32_u32_e32 v7, v5
	s_delay_alu instid0(VALU_DEP_2) | instskip(NEXT) | instid1(VALU_DEP_2)
	v_cmp_eq_u32_e32 vcc_lo, 0, v13
	v_min_u32_e32 v7, 32, v7
	s_delay_alu instid0(VALU_DEP_1) | instskip(NEXT) | instid1(VALU_DEP_1)
	v_subrev_nc_u32_e32 v11, 28, v7
	v_dual_lshlrev_b32 v4, v11, v4 :: v_dual_sub_nc_u32 v7, 29, v7
	s_delay_alu instid0(VALU_DEP_1) | instskip(NEXT) | instid1(VALU_DEP_2)
	v_dual_lshlrev_b32 v6, 24, v6 :: v_dual_bitop2_b32 v4, 7, v4 bitop3:0x40
	v_cndmask_b32_e32 v7, v13, v7, vcc_lo
	s_delay_alu instid0(VALU_DEP_2) | instskip(NEXT) | instid1(VALU_DEP_3)
	v_cndmask_b32_e32 v4, v5, v4, vcc_lo
	v_and_b32_e32 v5, 0x80000000, v6
	s_delay_alu instid0(VALU_DEP_3) | instskip(NEXT) | instid1(VALU_DEP_3)
	v_lshl_add_u32 v6, v7, 23, 0x3b800000
	v_lshlrev_b32_e32 v4, 20, v4
	s_delay_alu instid0(VALU_DEP_1) | instskip(NEXT) | instid1(VALU_DEP_1)
	v_or3_b32 v4, v5, v6, v4
	v_cvt_f64_f32_e32 v[4:5], v4
.LBB135_1949:
	s_or_b32 exec_lo, exec_lo, s16
.LBB135_1950:
	v_mov_b64_e32 v[6:7], 0
	s_mov_b32 s15, -1
.LBB135_1951:
	s_mov_b32 s16, 0
.LBB135_1952:
	s_delay_alu instid0(SALU_CYCLE_1)
	s_and_b32 vcc_lo, exec_lo, s16
	s_cbranch_vccnz .LBB135_1962
; %bb.1953:
	s_and_b32 vcc_lo, exec_lo, s13
	s_cbranch_vccnz .LBB135_2023
.LBB135_1954:
	s_and_not1_b32 vcc_lo, exec_lo, s14
	s_cbranch_vccnz .LBB135_1956
.LBB135_1955:
	global_load_u8 v4, v[8:9], off
	v_mov_b64_e32 v[6:7], 0
	s_mov_b32 s15, -1
	s_wait_loadcnt 0x0
	v_cmp_ne_u16_e32 vcc_lo, 0, v4
	v_mov_b32_e32 v4, 0
	s_wait_xcnt 0x1
	v_cndmask_b32_e64 v5, 0, 0x3ff00000, vcc_lo
.LBB135_1956:
	s_branch .LBB135_1909
.LBB135_1957:
	s_and_b32 s8, 0xffff, s9
	s_delay_alu instid0(SALU_CYCLE_1)
	s_cmp_lt_i32 s8, 5
	s_cbranch_scc1 .LBB135_1970
; %bb.1958:
	s_cmp_lt_i32 s8, 8
	s_cbranch_scc1 .LBB135_1971
; %bb.1959:
	;; [unrolled: 3-line block ×3, first 2 shown]
	s_cmp_gt_i32 s8, 9
	s_cbranch_scc0 .LBB135_1979
; %bb.1961:
	global_load_b128 v[4:7], v[8:9], off
	s_mov_b32 s13, 0
	s_branch .LBB135_1980
.LBB135_1962:
	s_cmp_gt_i32 s8, 22
	s_cbranch_scc0 .LBB135_1972
; %bb.1963:
	s_cmp_lt_i32 s8, 24
	s_cbranch_scc1 .LBB135_1974
; %bb.1964:
	s_cmp_gt_i32 s8, 24
	s_cbranch_scc0 .LBB135_1991
; %bb.1965:
	global_load_u8 v6, v[8:9], off
	s_mov_b32 s15, exec_lo
	s_wait_loadcnt 0x0
	v_cmpx_lt_i16_e32 0x7f, v6
	s_xor_b32 s15, exec_lo, s15
	s_cbranch_execnz .LBB135_2070
; %bb.1966:
	s_or_saveexec_b32 s15, s15
	v_mov_b64_e32 v[4:5], 0x7ff8000020000000
	s_xor_b32 exec_lo, exec_lo, s15
	s_cbranch_execnz .LBB135_2073
.LBB135_1967:
	s_or_b32 exec_lo, exec_lo, s15
	s_and_saveexec_b32 s15, s14
	s_cbranch_execz .LBB135_1969
.LBB135_1968:
	v_and_b32_e32 v4, 0xffff, v6
	s_delay_alu instid0(VALU_DEP_1) | instskip(SKIP_1) | instid1(VALU_DEP_2)
	v_and_b32_e32 v5, 3, v4
	v_bfe_u32 v13, v4, 2, 5
	v_clz_i32_u32_e32 v7, v5
	s_delay_alu instid0(VALU_DEP_2) | instskip(NEXT) | instid1(VALU_DEP_2)
	v_cmp_eq_u32_e32 vcc_lo, 0, v13
	v_min_u32_e32 v7, 32, v7
	s_delay_alu instid0(VALU_DEP_1) | instskip(NEXT) | instid1(VALU_DEP_1)
	v_subrev_nc_u32_e32 v11, 29, v7
	v_dual_lshlrev_b32 v4, v11, v4 :: v_dual_sub_nc_u32 v7, 30, v7
	s_delay_alu instid0(VALU_DEP_1) | instskip(NEXT) | instid1(VALU_DEP_2)
	v_dual_lshlrev_b32 v6, 24, v6 :: v_dual_bitop2_b32 v4, 3, v4 bitop3:0x40
	v_cndmask_b32_e32 v7, v13, v7, vcc_lo
	s_delay_alu instid0(VALU_DEP_2) | instskip(NEXT) | instid1(VALU_DEP_3)
	v_cndmask_b32_e32 v4, v5, v4, vcc_lo
	v_and_b32_e32 v5, 0x80000000, v6
	s_delay_alu instid0(VALU_DEP_3) | instskip(NEXT) | instid1(VALU_DEP_3)
	v_lshl_add_u32 v6, v7, 23, 0x37800000
	v_lshlrev_b32_e32 v4, 21, v4
	s_delay_alu instid0(VALU_DEP_1) | instskip(NEXT) | instid1(VALU_DEP_1)
	v_or3_b32 v4, v5, v6, v4
	v_cvt_f64_f32_e32 v[4:5], v4
.LBB135_1969:
	s_or_b32 exec_lo, exec_lo, s15
	s_mov_b32 s14, 0
	s_branch .LBB135_1992
.LBB135_1970:
	s_mov_b32 s13, -1
                                        ; implicit-def: $vgpr6_vgpr7
	s_branch .LBB135_2011
.LBB135_1971:
	s_mov_b32 s13, -1
                                        ; implicit-def: $vgpr6_vgpr7
	s_branch .LBB135_1986
.LBB135_1972:
	s_mov_b32 s14, -1
                                        ; implicit-def: $vgpr4_vgpr5
	s_branch .LBB135_1998
.LBB135_1973:
	s_mov_b32 s13, -1
                                        ; implicit-def: $vgpr6_vgpr7
	s_branch .LBB135_1983
.LBB135_1974:
	s_mov_b32 s14, -1
                                        ; implicit-def: $vgpr4_vgpr5
	s_branch .LBB135_1995
.LBB135_1975:
	s_mov_b32 s15, -1
	s_mov_b32 s17, exec_lo
	v_cmpx_eq_u16_e32 0x80, v6
; %bb.1976:
	s_xor_b32 s15, exec_lo, -1
; %bb.1977:
	s_or_b32 exec_lo, exec_lo, s17
	s_delay_alu instid0(SALU_CYCLE_1)
	s_and_b32 s15, s15, exec_lo
	s_or_saveexec_b32 s16, s16
	v_mov_b64_e32 v[4:5], 0x7ff8000020000000
	s_xor_b32 exec_lo, exec_lo, s16
	s_cbranch_execz .LBB135_1947
.LBB135_1978:
	v_cmp_ne_u16_e32 vcc_lo, 0, v6
	v_mov_b64_e32 v[4:5], 0
	s_and_not1_b32 s15, s15, exec_lo
	s_and_b32 s17, vcc_lo, exec_lo
	s_delay_alu instid0(SALU_CYCLE_1)
	s_or_b32 s15, s15, s17
	s_or_b32 exec_lo, exec_lo, s16
	s_and_saveexec_b32 s16, s15
	s_cbranch_execnz .LBB135_1948
	s_branch .LBB135_1949
.LBB135_1979:
	s_mov_b32 s13, -1
                                        ; implicit-def: $vgpr6_vgpr7
.LBB135_1980:
	s_delay_alu instid0(SALU_CYCLE_1)
	s_and_not1_b32 vcc_lo, exec_lo, s13
	s_cbranch_vccnz .LBB135_1982
; %bb.1981:
	s_wait_loadcnt 0x0
	global_load_b64 v[6:7], v[8:9], off
	s_wait_loadcnt 0x0
	s_wait_xcnt 0x1
	v_cvt_f64_f32_e32 v[4:5], v6
	v_cvt_f64_f32_e32 v[6:7], v7
.LBB135_1982:
	s_mov_b32 s13, 0
.LBB135_1983:
	s_delay_alu instid0(SALU_CYCLE_1)
	s_and_not1_b32 vcc_lo, exec_lo, s13
	s_cbranch_vccnz .LBB135_1985
; %bb.1984:
	s_wait_loadcnt 0x0
	global_load_b32 v4, v[8:9], off
	s_wait_loadcnt 0x0
	s_wait_xcnt 0x1
	v_lshrrev_b32_e32 v5, 16, v4
	v_cvt_f32_f16_e32 v4, v4
	s_delay_alu instid0(VALU_DEP_2) | instskip(NEXT) | instid1(VALU_DEP_2)
	v_cvt_f32_f16_e32 v6, v5
	v_cvt_f64_f32_e32 v[4:5], v4
	s_delay_alu instid0(VALU_DEP_2)
	v_cvt_f64_f32_e32 v[6:7], v6
.LBB135_1985:
	s_mov_b32 s13, 0
.LBB135_1986:
	s_delay_alu instid0(SALU_CYCLE_1)
	s_and_not1_b32 vcc_lo, exec_lo, s13
	s_cbranch_vccnz .LBB135_2010
; %bb.1987:
	s_cmp_lt_i32 s8, 6
	s_cbranch_scc1 .LBB135_1990
; %bb.1988:
	s_cmp_gt_i32 s8, 6
	s_cbranch_scc0 .LBB135_2003
; %bb.1989:
	s_wait_loadcnt 0x0
	global_load_b64 v[4:5], v[8:9], off
	s_mov_b32 s13, 0
	s_branch .LBB135_2004
.LBB135_1990:
	s_mov_b32 s13, -1
                                        ; implicit-def: $vgpr4_vgpr5
	s_branch .LBB135_2007
.LBB135_1991:
	s_mov_b32 s14, -1
                                        ; implicit-def: $vgpr4_vgpr5
.LBB135_1992:
	s_delay_alu instid0(SALU_CYCLE_1)
	s_and_b32 vcc_lo, exec_lo, s14
	s_cbranch_vccz .LBB135_1994
; %bb.1993:
	global_load_u8 v4, v[8:9], off
	s_wait_loadcnt 0x0
	v_lshlrev_b32_e32 v4, 24, v4
	s_wait_xcnt 0x1
	s_delay_alu instid0(VALU_DEP_1) | instskip(NEXT) | instid1(VALU_DEP_1)
	v_and_b32_e32 v5, 0x7f000000, v4
	v_clz_i32_u32_e32 v6, v5
	v_add_nc_u32_e32 v11, 0x1000000, v5
	v_cmp_ne_u32_e32 vcc_lo, 0, v5
	s_delay_alu instid0(VALU_DEP_3) | instskip(NEXT) | instid1(VALU_DEP_1)
	v_min_u32_e32 v6, 32, v6
	v_sub_nc_u32_e64 v6, v6, 4 clamp
	s_delay_alu instid0(VALU_DEP_1) | instskip(NEXT) | instid1(VALU_DEP_1)
	v_dual_lshlrev_b32 v7, v6, v5 :: v_dual_lshlrev_b32 v6, 23, v6
	v_lshrrev_b32_e32 v7, 4, v7
	s_delay_alu instid0(VALU_DEP_1) | instskip(NEXT) | instid1(VALU_DEP_1)
	v_dual_sub_nc_u32 v6, v7, v6 :: v_dual_ashrrev_i32 v7, 8, v11
	v_add_nc_u32_e32 v6, 0x3c000000, v6
	s_delay_alu instid0(VALU_DEP_1) | instskip(NEXT) | instid1(VALU_DEP_1)
	v_and_or_b32 v6, 0x7f800000, v7, v6
	v_cndmask_b32_e32 v5, 0, v6, vcc_lo
	s_delay_alu instid0(VALU_DEP_1) | instskip(NEXT) | instid1(VALU_DEP_1)
	v_and_or_b32 v4, 0x80000000, v4, v5
	v_cvt_f64_f32_e32 v[4:5], v4
.LBB135_1994:
	s_mov_b32 s14, 0
.LBB135_1995:
	s_delay_alu instid0(SALU_CYCLE_1)
	s_and_not1_b32 vcc_lo, exec_lo, s14
	s_cbranch_vccnz .LBB135_1997
; %bb.1996:
	global_load_u8 v4, v[8:9], off
	s_wait_loadcnt 0x0
	s_wait_xcnt 0x1
	v_lshlrev_b32_e32 v5, 25, v4
	v_lshlrev_b16 v4, 8, v4
	s_delay_alu instid0(VALU_DEP_1) | instskip(SKIP_1) | instid1(VALU_DEP_2)
	v_and_or_b32 v7, 0x7f00, v4, 0.5
	v_bfe_i32 v4, v4, 0, 16
	v_dual_add_f32 v7, -0.5, v7 :: v_dual_lshrrev_b32 v6, 4, v5
	v_cmp_gt_u32_e32 vcc_lo, 0x8000000, v5
	s_delay_alu instid0(VALU_DEP_2) | instskip(NEXT) | instid1(VALU_DEP_1)
	v_or_b32_e32 v6, 0x70000000, v6
	v_mul_f32_e32 v6, 0x7800000, v6
	s_delay_alu instid0(VALU_DEP_1) | instskip(NEXT) | instid1(VALU_DEP_1)
	v_cndmask_b32_e32 v5, v6, v7, vcc_lo
	v_and_or_b32 v4, 0x80000000, v4, v5
	s_delay_alu instid0(VALU_DEP_1)
	v_cvt_f64_f32_e32 v[4:5], v4
.LBB135_1997:
	s_mov_b32 s14, 0
	s_mov_b32 s15, -1
.LBB135_1998:
	s_and_not1_b32 vcc_lo, exec_lo, s14
	s_mov_b32 s14, 0
	s_cbranch_vccnz .LBB135_2022
; %bb.1999:
	s_cmp_gt_i32 s8, 14
	s_cbranch_scc0 .LBB135_2002
; %bb.2000:
	s_cmp_eq_u32 s8, 15
	s_cbranch_scc0 .LBB135_2018
; %bb.2001:
	global_load_u16 v4, v[8:9], off
	s_mov_b32 s13, 0
	s_mov_b32 s15, -1
	s_wait_loadcnt 0x0
	v_lshlrev_b32_e32 v4, 16, v4
	s_wait_xcnt 0x1
	s_delay_alu instid0(VALU_DEP_1)
	v_cvt_f64_f32_e32 v[4:5], v4
	s_branch .LBB135_2020
.LBB135_2002:
	s_mov_b32 s14, -1
	s_branch .LBB135_2019
.LBB135_2003:
	s_mov_b32 s13, -1
                                        ; implicit-def: $vgpr4_vgpr5
.LBB135_2004:
	s_delay_alu instid0(SALU_CYCLE_1)
	s_and_not1_b32 vcc_lo, exec_lo, s13
	s_cbranch_vccnz .LBB135_2006
; %bb.2005:
	s_wait_loadcnt 0x0
	global_load_b32 v4, v[8:9], off
	s_wait_loadcnt 0x0
	s_wait_xcnt 0x1
	v_cvt_f64_f32_e32 v[4:5], v4
.LBB135_2006:
	s_mov_b32 s13, 0
.LBB135_2007:
	s_delay_alu instid0(SALU_CYCLE_1)
	s_and_not1_b32 vcc_lo, exec_lo, s13
	s_cbranch_vccnz .LBB135_2009
; %bb.2008:
	s_wait_loadcnt 0x0
	global_load_u16 v4, v[8:9], off
	s_wait_loadcnt 0x0
	v_cvt_f32_f16_e32 v4, v4
	s_wait_xcnt 0x1
	s_delay_alu instid0(VALU_DEP_1)
	v_cvt_f64_f32_e32 v[4:5], v4
.LBB135_2009:
	s_wait_loadcnt 0x0
	v_mov_b64_e32 v[6:7], 0
.LBB135_2010:
	s_mov_b32 s13, 0
.LBB135_2011:
	s_delay_alu instid0(SALU_CYCLE_1)
	s_and_not1_b32 vcc_lo, exec_lo, s13
	s_cbranch_vccnz .LBB135_2038
; %bb.2012:
	s_cmp_lt_i32 s8, 2
	s_cbranch_scc1 .LBB135_2016
; %bb.2013:
	s_cmp_lt_i32 s8, 3
	s_cbranch_scc1 .LBB135_2017
; %bb.2014:
	s_cmp_gt_i32 s8, 3
	s_cbranch_scc0 .LBB135_2024
; %bb.2015:
	s_wait_loadcnt 0x0
	global_load_b64 v[4:5], v[8:9], off
	s_mov_b32 s13, 0
	s_wait_loadcnt 0x0
	v_cvt_f64_i32_e32 v[6:7], v5
	v_cvt_f64_u32_e32 v[4:5], v4
	s_delay_alu instid0(VALU_DEP_2) | instskip(NEXT) | instid1(VALU_DEP_1)
	v_ldexp_f64 v[6:7], v[6:7], 32
	v_add_f64_e32 v[4:5], v[6:7], v[4:5]
	s_branch .LBB135_2025
.LBB135_2016:
	s_mov_b32 s13, -1
                                        ; implicit-def: $vgpr4_vgpr5
	s_branch .LBB135_2031
.LBB135_2017:
	s_mov_b32 s13, -1
                                        ; implicit-def: $vgpr4_vgpr5
	s_branch .LBB135_2028
.LBB135_2018:
	s_mov_b32 s13, -1
.LBB135_2019:
                                        ; implicit-def: $vgpr4_vgpr5
.LBB135_2020:
	s_and_b32 vcc_lo, exec_lo, s14
	s_mov_b32 s14, 0
	s_cbranch_vccz .LBB135_2022
; %bb.2021:
	s_cmp_lg_u32 s8, 11
	s_mov_b32 s14, -1
	s_cselect_b32 s13, -1, 0
.LBB135_2022:
	v_mov_b64_e32 v[6:7], 0
	s_and_b32 vcc_lo, exec_lo, s13
	s_cbranch_vccz .LBB135_1954
.LBB135_2023:
	s_or_b32 s12, s12, exec_lo
	s_trap 2
	s_cbranch_execz .LBB135_1955
	s_branch .LBB135_1956
.LBB135_2024:
	s_mov_b32 s13, -1
                                        ; implicit-def: $vgpr4_vgpr5
.LBB135_2025:
	s_delay_alu instid0(SALU_CYCLE_1)
	s_and_not1_b32 vcc_lo, exec_lo, s13
	s_cbranch_vccnz .LBB135_2027
; %bb.2026:
	s_wait_loadcnt 0x0
	global_load_b32 v4, v[8:9], off
	s_wait_loadcnt 0x0
	s_wait_xcnt 0x1
	v_cvt_f64_i32_e32 v[4:5], v4
.LBB135_2027:
	s_mov_b32 s13, 0
.LBB135_2028:
	s_delay_alu instid0(SALU_CYCLE_1)
	s_and_not1_b32 vcc_lo, exec_lo, s13
	s_cbranch_vccnz .LBB135_2030
; %bb.2029:
	s_wait_loadcnt 0x0
	global_load_i16 v4, v[8:9], off
	s_wait_loadcnt 0x0
	s_wait_xcnt 0x1
	v_cvt_f64_i32_e32 v[4:5], v4
.LBB135_2030:
	s_mov_b32 s13, 0
.LBB135_2031:
	s_delay_alu instid0(SALU_CYCLE_1)
	s_and_not1_b32 vcc_lo, exec_lo, s13
	s_cbranch_vccnz .LBB135_2037
; %bb.2032:
	s_cmp_gt_i32 s8, 0
	s_mov_b32 s8, 0
	s_cbranch_scc0 .LBB135_2034
; %bb.2033:
	s_wait_loadcnt 0x0
	global_load_i8 v4, v[8:9], off
	s_wait_loadcnt 0x0
	s_wait_xcnt 0x1
	v_cvt_f64_i32_e32 v[4:5], v4
	s_branch .LBB135_2035
.LBB135_2034:
	s_mov_b32 s8, -1
                                        ; implicit-def: $vgpr4_vgpr5
.LBB135_2035:
	s_delay_alu instid0(SALU_CYCLE_1)
	s_and_not1_b32 vcc_lo, exec_lo, s8
	s_cbranch_vccnz .LBB135_2037
; %bb.2036:
	s_wait_loadcnt 0x0
	global_load_u8 v4, v[8:9], off
	s_wait_loadcnt 0x0
	s_wait_xcnt 0x1
	v_cvt_f64_u32_e32 v[4:5], v4
.LBB135_2037:
	s_wait_loadcnt 0x0
	v_mov_b64_e32 v[6:7], 0
.LBB135_2038:
.LBB135_2039:
	s_and_b32 s8, 0xffff, s6
	s_delay_alu instid0(SALU_CYCLE_1)
	s_cmp_lt_i32 s8, 23
	s_cbranch_scc1 .LBB135_2043
; %bb.2040:
	s_cmp_gt_i32 s8, 43
	s_cbranch_scc0 .LBB135_2044
; %bb.2041:
	s_cmp_gt_i32 s8, 45
	s_cbranch_scc0 .LBB135_2045
; %bb.2042:
	s_cmp_lg_u32 s8, 46
	s_mov_b32 s14, 0
	s_mov_b32 s6, -1
	s_cselect_b32 s13, -1, 0
	s_branch .LBB135_2046
.LBB135_2043:
	s_mov_b32 s14, -1
	s_mov_b32 s6, 0
	s_mov_b32 s13, 0
	s_branch .LBB135_2052
.LBB135_2044:
	s_mov_b32 s14, -1
	s_mov_b32 s6, 0
	s_mov_b32 s13, 0
	s_branch .LBB135_2049
.LBB135_2045:
	s_mov_b32 s14, -1
	s_mov_b32 s6, 0
	s_mov_b32 s13, 0
.LBB135_2046:
	s_and_not1_b32 vcc_lo, exec_lo, s14
	s_cbranch_vccnz .LBB135_2048
; %bb.2047:
	s_cmp_eq_u32 s8, 44
	s_cselect_b32 s6, -1, 0
	s_cmp_lg_u32 s8, 44
	s_cselect_b32 s13, -1, 0
.LBB135_2048:
	s_mov_b32 s14, 0
.LBB135_2049:
	s_delay_alu instid0(SALU_CYCLE_1)
	s_and_b32 vcc_lo, exec_lo, s14
	s_cbranch_vccz .LBB135_2051
; %bb.2050:
	s_cmp_lt_i32 s8, 30
	s_cselect_b32 s6, -1, 0
	s_cmp_gt_i32 s8, 29
	s_cselect_b32 s13, -1, 0
.LBB135_2051:
	s_mov_b32 s14, 0
.LBB135_2052:
	s_delay_alu instid0(SALU_CYCLE_1)
	s_and_b32 vcc_lo, exec_lo, s14
	s_cbranch_vccz .LBB135_2057
; %bb.2053:
	s_cmp_gt_i32 s8, 14
	s_mov_b32 s14, -1
	s_cbranch_scc0 .LBB135_2055
; %bb.2054:
	s_cmp_eq_u32 s8, 15
	s_mov_b32 s14, 0
	s_cselect_b32 s6, -1, 0
	s_cmp_lg_u32 s8, 15
	s_cselect_b32 s13, -1, 0
.LBB135_2055:
	s_and_not1_b32 vcc_lo, exec_lo, s14
	s_cbranch_vccnz .LBB135_2057
; %bb.2056:
	s_cmp_lt_i32 s8, 12
	s_cselect_b32 s6, -1, 0
	s_cmp_gt_i32 s8, 11
	s_cselect_b32 s13, -1, 0
.LBB135_2057:
	s_delay_alu instid0(SALU_CYCLE_1)
	s_and_b32 vcc_lo, exec_lo, s13
	s_cbranch_vccnz .LBB135_2069
; %bb.2058:
	s_and_not1_b32 vcc_lo, exec_lo, s6
	s_cbranch_vccnz .LBB135_3357
.LBB135_2059:
	v_mov_b32_e32 v11, 0
	s_and_b32 s6, 0xffff, s7
	s_delay_alu instid0(SALU_CYCLE_1) | instskip(NEXT) | instid1(VALU_DEP_1)
	s_cmp_lt_i32 s6, 11
	v_add_nc_u64_e32 v[14:15], s[0:1], v[10:11]
	s_cbranch_scc1 .LBB135_2066
; %bb.2060:
	s_cmp_gt_i32 s6, 25
	s_mov_b32 s13, 0
	s_cbranch_scc0 .LBB135_2067
; %bb.2061:
	s_cmp_gt_i32 s6, 28
	s_cbranch_scc0 .LBB135_2068
; %bb.2062:
	s_cmp_gt_i32 s6, 43
	;; [unrolled: 3-line block ×3, first 2 shown]
	s_cbranch_scc0 .LBB135_2075
; %bb.2064:
	s_cmp_eq_u32 s6, 46
	s_mov_b32 s15, 0
	s_cbranch_scc0 .LBB135_2076
; %bb.2065:
	global_load_b32 v8, v[14:15], off
	s_mov_b32 s7, 0
	s_mov_b32 s14, -1
	s_wait_loadcnt 0x0
	v_lshlrev_b32_e32 v9, 16, v8
	v_and_b32_e32 v10, 0xffff0000, v8
	s_delay_alu instid0(VALU_DEP_2) | instskip(NEXT) | instid1(VALU_DEP_2)
	v_cvt_f64_f32_e32 v[8:9], v9
	v_cvt_f64_f32_e32 v[10:11], v10
	s_branch .LBB135_2078
.LBB135_2066:
	s_mov_b32 s7, -1
	s_mov_b32 s14, 0
                                        ; implicit-def: $vgpr10_vgpr11
	s_branch .LBB135_2112
.LBB135_2067:
	s_mov_b32 s15, -1
	s_mov_b32 s14, 0
	s_mov_b32 s7, 0
                                        ; implicit-def: $vgpr10_vgpr11
	s_branch .LBB135_2107
.LBB135_2068:
	s_mov_b32 s15, -1
	s_mov_b32 s14, 0
	s_mov_b32 s7, 0
                                        ; implicit-def: $vgpr10_vgpr11
	s_branch .LBB135_2090
.LBB135_2069:
	s_or_b32 s12, s12, exec_lo
	s_trap 2
	s_cbranch_execz .LBB135_2059
	s_branch .LBB135_3357
.LBB135_2070:
	s_mov_b32 s14, -1
	s_mov_b32 s16, exec_lo
	v_cmpx_eq_u16_e32 0x80, v6
; %bb.2071:
	s_xor_b32 s14, exec_lo, -1
; %bb.2072:
	s_or_b32 exec_lo, exec_lo, s16
	s_delay_alu instid0(SALU_CYCLE_1)
	s_and_b32 s14, s14, exec_lo
	s_or_saveexec_b32 s15, s15
	v_mov_b64_e32 v[4:5], 0x7ff8000020000000
	s_xor_b32 exec_lo, exec_lo, s15
	s_cbranch_execz .LBB135_1967
.LBB135_2073:
	v_cmp_ne_u16_e32 vcc_lo, 0, v6
	v_mov_b64_e32 v[4:5], 0
	s_and_not1_b32 s14, s14, exec_lo
	s_and_b32 s16, vcc_lo, exec_lo
	s_delay_alu instid0(SALU_CYCLE_1)
	s_or_b32 s14, s14, s16
	s_or_b32 exec_lo, exec_lo, s15
	s_and_saveexec_b32 s15, s14
	s_cbranch_execnz .LBB135_1968
	s_branch .LBB135_1969
.LBB135_2074:
	s_mov_b32 s15, -1
	s_mov_b32 s14, 0
	s_mov_b32 s7, 0
                                        ; implicit-def: $vgpr10_vgpr11
	s_branch .LBB135_2084
.LBB135_2075:
	s_mov_b32 s15, -1
	s_mov_b32 s14, 0
	s_mov_b32 s7, 0
	s_branch .LBB135_2077
.LBB135_2076:
	s_mov_b32 s7, -1
	s_mov_b32 s14, 0
.LBB135_2077:
                                        ; implicit-def: $vgpr10_vgpr11
.LBB135_2078:
	s_and_b32 vcc_lo, exec_lo, s15
	s_cbranch_vccz .LBB135_2083
; %bb.2079:
	s_cmp_eq_u32 s6, 44
	s_cbranch_scc0 .LBB135_2081
; %bb.2080:
	global_load_u8 v10, v[14:15], off
	s_mov_b32 s7, 0
	s_mov_b32 s14, -1
	s_wait_loadcnt 0x0
	v_cmp_ne_u32_e32 vcc_lo, 0xff, v10
	s_wait_xcnt 0x1
	v_lshlrev_b32_e32 v8, 23, v10
	s_delay_alu instid0(VALU_DEP_1) | instskip(NEXT) | instid1(VALU_DEP_1)
	v_cvt_f64_f32_e32 v[8:9], v8
	v_cndmask_b32_e32 v8, 0x20000000, v8, vcc_lo
	s_delay_alu instid0(VALU_DEP_2) | instskip(SKIP_1) | instid1(VALU_DEP_2)
	v_cndmask_b32_e32 v9, 0x7ff80000, v9, vcc_lo
	v_cmp_ne_u32_e32 vcc_lo, 0, v10
	v_cndmask_b32_e32 v9, 0x38000000, v9, vcc_lo
	s_delay_alu instid0(VALU_DEP_4)
	v_cndmask_b32_e32 v8, 0, v8, vcc_lo
	s_branch .LBB135_2082
.LBB135_2081:
	s_mov_b32 s7, -1
                                        ; implicit-def: $vgpr8_vgpr9
.LBB135_2082:
	v_mov_b64_e32 v[10:11], 0
.LBB135_2083:
	s_mov_b32 s15, 0
.LBB135_2084:
	s_delay_alu instid0(SALU_CYCLE_1)
	s_and_b32 vcc_lo, exec_lo, s15
	s_cbranch_vccz .LBB135_2089
; %bb.2085:
	s_cmp_eq_u32 s6, 29
	s_cbranch_scc0 .LBB135_2087
; %bb.2086:
	global_load_b64 v[8:9], v[14:15], off
	s_mov_b32 s7, 0
	s_mov_b32 s14, -1
	s_wait_loadcnt 0x0
	v_cvt_f64_u32_e32 v[10:11], v9
	v_cvt_f64_u32_e32 v[8:9], v8
	s_delay_alu instid0(VALU_DEP_2) | instskip(NEXT) | instid1(VALU_DEP_1)
	v_ldexp_f64 v[10:11], v[10:11], 32
	v_add_f64_e32 v[8:9], v[10:11], v[8:9]
	s_branch .LBB135_2088
.LBB135_2087:
	s_mov_b32 s7, -1
                                        ; implicit-def: $vgpr8_vgpr9
.LBB135_2088:
	v_mov_b64_e32 v[10:11], 0
.LBB135_2089:
	s_mov_b32 s15, 0
.LBB135_2090:
	s_delay_alu instid0(SALU_CYCLE_1)
	s_and_b32 vcc_lo, exec_lo, s15
	s_cbranch_vccz .LBB135_2106
; %bb.2091:
	s_cmp_lt_i32 s6, 27
	s_cbranch_scc1 .LBB135_2094
; %bb.2092:
	s_cmp_gt_i32 s6, 27
	s_cbranch_scc0 .LBB135_2095
; %bb.2093:
	global_load_b32 v8, v[14:15], off
	s_mov_b32 s14, 0
	s_wait_loadcnt 0x0
	v_cvt_f64_u32_e32 v[8:9], v8
	s_branch .LBB135_2096
.LBB135_2094:
	s_mov_b32 s14, -1
                                        ; implicit-def: $vgpr8_vgpr9
	s_branch .LBB135_2099
.LBB135_2095:
	s_mov_b32 s14, -1
                                        ; implicit-def: $vgpr8_vgpr9
.LBB135_2096:
	s_delay_alu instid0(SALU_CYCLE_1)
	s_and_not1_b32 vcc_lo, exec_lo, s14
	s_cbranch_vccnz .LBB135_2098
; %bb.2097:
	global_load_u16 v8, v[14:15], off
	s_wait_loadcnt 0x0
	v_cvt_f64_u32_e32 v[8:9], v8
.LBB135_2098:
	s_mov_b32 s14, 0
.LBB135_2099:
	s_delay_alu instid0(SALU_CYCLE_1)
	s_and_not1_b32 vcc_lo, exec_lo, s14
	s_cbranch_vccnz .LBB135_2105
; %bb.2100:
	global_load_u8 v10, v[14:15], off
	s_mov_b32 s14, 0
	s_mov_b32 s15, exec_lo
	s_wait_loadcnt 0x0
	v_cmpx_lt_i16_e32 0x7f, v10
	s_xor_b32 s15, exec_lo, s15
	s_cbranch_execnz .LBB135_2131
; %bb.2101:
	s_or_saveexec_b32 s15, s15
	v_mov_b64_e32 v[8:9], 0x7ff8000020000000
	s_xor_b32 exec_lo, exec_lo, s15
	s_cbranch_execnz .LBB135_2134
.LBB135_2102:
	s_or_b32 exec_lo, exec_lo, s15
	s_and_saveexec_b32 s15, s14
	s_cbranch_execz .LBB135_2104
.LBB135_2103:
	v_and_b32_e32 v8, 0xffff, v10
	s_delay_alu instid0(VALU_DEP_1) | instskip(SKIP_1) | instid1(VALU_DEP_2)
	v_and_b32_e32 v9, 7, v8
	v_bfe_u32 v17, v8, 3, 4
	v_clz_i32_u32_e32 v11, v9
	s_delay_alu instid0(VALU_DEP_2) | instskip(NEXT) | instid1(VALU_DEP_2)
	v_cmp_eq_u32_e32 vcc_lo, 0, v17
	v_min_u32_e32 v11, 32, v11
	s_delay_alu instid0(VALU_DEP_1) | instskip(NEXT) | instid1(VALU_DEP_1)
	v_subrev_nc_u32_e32 v13, 28, v11
	v_dual_lshlrev_b32 v8, v13, v8 :: v_dual_sub_nc_u32 v11, 29, v11
	s_delay_alu instid0(VALU_DEP_1) | instskip(NEXT) | instid1(VALU_DEP_2)
	v_dual_lshlrev_b32 v10, 24, v10 :: v_dual_bitop2_b32 v8, 7, v8 bitop3:0x40
	v_cndmask_b32_e32 v11, v17, v11, vcc_lo
	s_delay_alu instid0(VALU_DEP_2) | instskip(NEXT) | instid1(VALU_DEP_3)
	v_cndmask_b32_e32 v8, v9, v8, vcc_lo
	v_and_b32_e32 v9, 0x80000000, v10
	s_delay_alu instid0(VALU_DEP_3) | instskip(NEXT) | instid1(VALU_DEP_3)
	v_lshl_add_u32 v10, v11, 23, 0x3b800000
	v_lshlrev_b32_e32 v8, 20, v8
	s_delay_alu instid0(VALU_DEP_1) | instskip(NEXT) | instid1(VALU_DEP_1)
	v_or3_b32 v8, v9, v10, v8
	v_cvt_f64_f32_e32 v[8:9], v8
.LBB135_2104:
	s_or_b32 exec_lo, exec_lo, s15
.LBB135_2105:
	v_mov_b64_e32 v[10:11], 0
	s_mov_b32 s14, -1
.LBB135_2106:
	s_mov_b32 s15, 0
.LBB135_2107:
	s_delay_alu instid0(SALU_CYCLE_1)
	s_and_b32 vcc_lo, exec_lo, s15
	s_cbranch_vccnz .LBB135_2118
; %bb.2108:
	s_and_b32 vcc_lo, exec_lo, s7
	s_cbranch_vccnz .LBB135_2179
.LBB135_2109:
	s_and_not1_b32 vcc_lo, exec_lo, s13
	s_cbranch_vccnz .LBB135_2111
.LBB135_2110:
	global_load_u8 v8, v[14:15], off
	v_mov_b64_e32 v[10:11], 0
	s_mov_b32 s14, -1
	s_wait_loadcnt 0x0
	v_cmp_ne_u16_e32 vcc_lo, 0, v8
	v_mov_b32_e32 v8, 0
	v_cndmask_b32_e64 v9, 0, 0x3ff00000, vcc_lo
.LBB135_2111:
	s_mov_b32 s7, 0
.LBB135_2112:
	s_delay_alu instid0(SALU_CYCLE_1)
	s_and_b32 vcc_lo, exec_lo, s7
	s_cbranch_vccz .LBB135_2195
; %bb.2113:
	s_cmp_lt_i32 s6, 5
	s_cbranch_scc1 .LBB135_2126
; %bb.2114:
	s_cmp_lt_i32 s6, 8
	s_cbranch_scc1 .LBB135_2127
	;; [unrolled: 3-line block ×3, first 2 shown]
; %bb.2116:
	s_cmp_gt_i32 s6, 9
	s_cbranch_scc0 .LBB135_2135
; %bb.2117:
	global_load_b128 v[8:11], v[14:15], off
	s_mov_b32 s7, 0
	s_branch .LBB135_2136
.LBB135_2118:
	s_cmp_gt_i32 s6, 22
	s_cbranch_scc0 .LBB135_2128
; %bb.2119:
	s_cmp_lt_i32 s6, 24
	s_cbranch_scc1 .LBB135_2130
; %bb.2120:
	s_cmp_gt_i32 s6, 24
	s_cbranch_scc0 .LBB135_2147
; %bb.2121:
	global_load_u8 v10, v[14:15], off
	s_mov_b32 s14, exec_lo
	s_wait_loadcnt 0x0
	v_cmpx_lt_i16_e32 0x7f, v10
	s_xor_b32 s14, exec_lo, s14
	s_cbranch_execnz .LBB135_2207
; %bb.2122:
	s_or_saveexec_b32 s14, s14
	v_mov_b64_e32 v[8:9], 0x7ff8000020000000
	s_xor_b32 exec_lo, exec_lo, s14
	s_cbranch_execnz .LBB135_2210
.LBB135_2123:
	s_or_b32 exec_lo, exec_lo, s14
	s_and_saveexec_b32 s14, s13
	s_cbranch_execz .LBB135_2125
.LBB135_2124:
	v_and_b32_e32 v8, 0xffff, v10
	s_delay_alu instid0(VALU_DEP_1) | instskip(SKIP_1) | instid1(VALU_DEP_2)
	v_and_b32_e32 v9, 3, v8
	v_bfe_u32 v17, v8, 2, 5
	v_clz_i32_u32_e32 v11, v9
	s_delay_alu instid0(VALU_DEP_2) | instskip(NEXT) | instid1(VALU_DEP_2)
	v_cmp_eq_u32_e32 vcc_lo, 0, v17
	v_min_u32_e32 v11, 32, v11
	s_delay_alu instid0(VALU_DEP_1) | instskip(NEXT) | instid1(VALU_DEP_1)
	v_subrev_nc_u32_e32 v13, 29, v11
	v_dual_lshlrev_b32 v8, v13, v8 :: v_dual_sub_nc_u32 v11, 30, v11
	s_delay_alu instid0(VALU_DEP_1) | instskip(NEXT) | instid1(VALU_DEP_2)
	v_dual_lshlrev_b32 v10, 24, v10 :: v_dual_bitop2_b32 v8, 3, v8 bitop3:0x40
	v_cndmask_b32_e32 v11, v17, v11, vcc_lo
	s_delay_alu instid0(VALU_DEP_2) | instskip(NEXT) | instid1(VALU_DEP_3)
	v_cndmask_b32_e32 v8, v9, v8, vcc_lo
	v_and_b32_e32 v9, 0x80000000, v10
	s_delay_alu instid0(VALU_DEP_3) | instskip(NEXT) | instid1(VALU_DEP_3)
	v_lshl_add_u32 v10, v11, 23, 0x37800000
	v_lshlrev_b32_e32 v8, 21, v8
	s_delay_alu instid0(VALU_DEP_1) | instskip(NEXT) | instid1(VALU_DEP_1)
	v_or3_b32 v8, v9, v10, v8
	v_cvt_f64_f32_e32 v[8:9], v8
.LBB135_2125:
	s_or_b32 exec_lo, exec_lo, s14
	s_mov_b32 s13, 0
	s_branch .LBB135_2148
.LBB135_2126:
	s_mov_b32 s7, -1
                                        ; implicit-def: $vgpr10_vgpr11
	s_branch .LBB135_2167
.LBB135_2127:
	s_mov_b32 s7, -1
                                        ; implicit-def: $vgpr10_vgpr11
	s_branch .LBB135_2142
.LBB135_2128:
	s_mov_b32 s13, -1
                                        ; implicit-def: $vgpr8_vgpr9
	s_branch .LBB135_2154
.LBB135_2129:
	s_mov_b32 s7, -1
                                        ; implicit-def: $vgpr10_vgpr11
	s_branch .LBB135_2139
.LBB135_2130:
	s_mov_b32 s13, -1
                                        ; implicit-def: $vgpr8_vgpr9
	s_branch .LBB135_2151
.LBB135_2131:
	s_mov_b32 s14, -1
	s_mov_b32 s16, exec_lo
	v_cmpx_eq_u16_e32 0x80, v10
; %bb.2132:
	s_xor_b32 s14, exec_lo, -1
; %bb.2133:
	s_or_b32 exec_lo, exec_lo, s16
	s_delay_alu instid0(SALU_CYCLE_1)
	s_and_b32 s14, s14, exec_lo
	s_or_saveexec_b32 s15, s15
	v_mov_b64_e32 v[8:9], 0x7ff8000020000000
	s_xor_b32 exec_lo, exec_lo, s15
	s_cbranch_execz .LBB135_2102
.LBB135_2134:
	v_cmp_ne_u16_e32 vcc_lo, 0, v10
	v_mov_b64_e32 v[8:9], 0
	s_and_not1_b32 s14, s14, exec_lo
	s_and_b32 s16, vcc_lo, exec_lo
	s_delay_alu instid0(SALU_CYCLE_1)
	s_or_b32 s14, s14, s16
	s_or_b32 exec_lo, exec_lo, s15
	s_and_saveexec_b32 s15, s14
	s_cbranch_execnz .LBB135_2103
	s_branch .LBB135_2104
.LBB135_2135:
	s_mov_b32 s7, -1
                                        ; implicit-def: $vgpr10_vgpr11
.LBB135_2136:
	s_delay_alu instid0(SALU_CYCLE_1)
	s_and_not1_b32 vcc_lo, exec_lo, s7
	s_cbranch_vccnz .LBB135_2138
; %bb.2137:
	s_wait_loadcnt 0x0
	global_load_b64 v[10:11], v[14:15], off
	s_wait_loadcnt 0x0
	s_wait_xcnt 0x1
	v_cvt_f64_f32_e32 v[8:9], v10
	v_cvt_f64_f32_e32 v[10:11], v11
.LBB135_2138:
	s_mov_b32 s7, 0
.LBB135_2139:
	s_delay_alu instid0(SALU_CYCLE_1)
	s_and_not1_b32 vcc_lo, exec_lo, s7
	s_cbranch_vccnz .LBB135_2141
; %bb.2140:
	s_wait_loadcnt 0x0
	global_load_b32 v8, v[14:15], off
	s_wait_loadcnt 0x0
	v_lshrrev_b32_e32 v9, 16, v8
	v_cvt_f32_f16_e32 v8, v8
	s_delay_alu instid0(VALU_DEP_2) | instskip(NEXT) | instid1(VALU_DEP_2)
	v_cvt_f32_f16_e32 v10, v9
	v_cvt_f64_f32_e32 v[8:9], v8
	s_delay_alu instid0(VALU_DEP_2)
	v_cvt_f64_f32_e32 v[10:11], v10
.LBB135_2141:
	s_mov_b32 s7, 0
.LBB135_2142:
	s_delay_alu instid0(SALU_CYCLE_1)
	s_and_not1_b32 vcc_lo, exec_lo, s7
	s_cbranch_vccnz .LBB135_2166
; %bb.2143:
	s_cmp_lt_i32 s6, 6
	s_cbranch_scc1 .LBB135_2146
; %bb.2144:
	s_cmp_gt_i32 s6, 6
	s_cbranch_scc0 .LBB135_2159
; %bb.2145:
	s_wait_loadcnt 0x0
	global_load_b64 v[8:9], v[14:15], off
	s_mov_b32 s7, 0
	s_branch .LBB135_2160
.LBB135_2146:
	s_mov_b32 s7, -1
                                        ; implicit-def: $vgpr8_vgpr9
	s_branch .LBB135_2163
.LBB135_2147:
	s_mov_b32 s13, -1
                                        ; implicit-def: $vgpr8_vgpr9
.LBB135_2148:
	s_delay_alu instid0(SALU_CYCLE_1)
	s_and_b32 vcc_lo, exec_lo, s13
	s_cbranch_vccz .LBB135_2150
; %bb.2149:
	global_load_u8 v8, v[14:15], off
	s_wait_loadcnt 0x0
	v_lshlrev_b32_e32 v8, 24, v8
	s_delay_alu instid0(VALU_DEP_1) | instskip(NEXT) | instid1(VALU_DEP_1)
	v_and_b32_e32 v9, 0x7f000000, v8
	v_clz_i32_u32_e32 v10, v9
	v_add_nc_u32_e32 v13, 0x1000000, v9
	v_cmp_ne_u32_e32 vcc_lo, 0, v9
	s_delay_alu instid0(VALU_DEP_3) | instskip(NEXT) | instid1(VALU_DEP_1)
	v_min_u32_e32 v10, 32, v10
	v_sub_nc_u32_e64 v10, v10, 4 clamp
	s_delay_alu instid0(VALU_DEP_1) | instskip(NEXT) | instid1(VALU_DEP_1)
	v_dual_lshlrev_b32 v11, v10, v9 :: v_dual_lshlrev_b32 v10, 23, v10
	v_lshrrev_b32_e32 v11, 4, v11
	s_delay_alu instid0(VALU_DEP_1) | instskip(NEXT) | instid1(VALU_DEP_1)
	v_dual_sub_nc_u32 v10, v11, v10 :: v_dual_ashrrev_i32 v11, 8, v13
	v_add_nc_u32_e32 v10, 0x3c000000, v10
	s_delay_alu instid0(VALU_DEP_1) | instskip(NEXT) | instid1(VALU_DEP_1)
	v_and_or_b32 v10, 0x7f800000, v11, v10
	v_cndmask_b32_e32 v9, 0, v10, vcc_lo
	s_delay_alu instid0(VALU_DEP_1) | instskip(NEXT) | instid1(VALU_DEP_1)
	v_and_or_b32 v8, 0x80000000, v8, v9
	v_cvt_f64_f32_e32 v[8:9], v8
.LBB135_2150:
	s_mov_b32 s13, 0
.LBB135_2151:
	s_delay_alu instid0(SALU_CYCLE_1)
	s_and_not1_b32 vcc_lo, exec_lo, s13
	s_cbranch_vccnz .LBB135_2153
; %bb.2152:
	global_load_u8 v8, v[14:15], off
	s_wait_loadcnt 0x0
	v_lshlrev_b32_e32 v9, 25, v8
	v_lshlrev_b16 v8, 8, v8
	s_delay_alu instid0(VALU_DEP_1) | instskip(SKIP_1) | instid1(VALU_DEP_2)
	v_and_or_b32 v11, 0x7f00, v8, 0.5
	v_bfe_i32 v8, v8, 0, 16
	v_dual_add_f32 v11, -0.5, v11 :: v_dual_lshrrev_b32 v10, 4, v9
	v_cmp_gt_u32_e32 vcc_lo, 0x8000000, v9
	s_delay_alu instid0(VALU_DEP_2) | instskip(NEXT) | instid1(VALU_DEP_1)
	v_or_b32_e32 v10, 0x70000000, v10
	v_mul_f32_e32 v10, 0x7800000, v10
	s_delay_alu instid0(VALU_DEP_1) | instskip(NEXT) | instid1(VALU_DEP_1)
	v_cndmask_b32_e32 v9, v10, v11, vcc_lo
	v_and_or_b32 v8, 0x80000000, v8, v9
	s_delay_alu instid0(VALU_DEP_1)
	v_cvt_f64_f32_e32 v[8:9], v8
.LBB135_2153:
	s_mov_b32 s13, 0
	s_mov_b32 s14, -1
.LBB135_2154:
	s_and_not1_b32 vcc_lo, exec_lo, s13
	s_mov_b32 s13, 0
	s_cbranch_vccnz .LBB135_2178
; %bb.2155:
	s_cmp_gt_i32 s6, 14
	s_cbranch_scc0 .LBB135_2158
; %bb.2156:
	s_cmp_eq_u32 s6, 15
	s_cbranch_scc0 .LBB135_2174
; %bb.2157:
	global_load_u16 v8, v[14:15], off
	s_mov_b32 s7, 0
	s_mov_b32 s14, -1
	s_wait_loadcnt 0x0
	v_lshlrev_b32_e32 v8, 16, v8
	s_delay_alu instid0(VALU_DEP_1)
	v_cvt_f64_f32_e32 v[8:9], v8
	s_branch .LBB135_2176
.LBB135_2158:
	s_mov_b32 s13, -1
	s_branch .LBB135_2175
.LBB135_2159:
	s_mov_b32 s7, -1
                                        ; implicit-def: $vgpr8_vgpr9
.LBB135_2160:
	s_delay_alu instid0(SALU_CYCLE_1)
	s_and_not1_b32 vcc_lo, exec_lo, s7
	s_cbranch_vccnz .LBB135_2162
; %bb.2161:
	s_wait_loadcnt 0x0
	global_load_b32 v8, v[14:15], off
	s_wait_loadcnt 0x0
	v_cvt_f64_f32_e32 v[8:9], v8
.LBB135_2162:
	s_mov_b32 s7, 0
.LBB135_2163:
	s_delay_alu instid0(SALU_CYCLE_1)
	s_and_not1_b32 vcc_lo, exec_lo, s7
	s_cbranch_vccnz .LBB135_2165
; %bb.2164:
	s_wait_loadcnt 0x0
	global_load_u16 v8, v[14:15], off
	s_wait_loadcnt 0x0
	v_cvt_f32_f16_e32 v8, v8
	s_delay_alu instid0(VALU_DEP_1)
	v_cvt_f64_f32_e32 v[8:9], v8
.LBB135_2165:
	s_wait_loadcnt 0x0
	v_mov_b64_e32 v[10:11], 0
.LBB135_2166:
	s_mov_b32 s7, 0
.LBB135_2167:
	s_delay_alu instid0(SALU_CYCLE_1)
	s_and_not1_b32 vcc_lo, exec_lo, s7
	s_cbranch_vccnz .LBB135_2194
; %bb.2168:
	s_cmp_lt_i32 s6, 2
	s_cbranch_scc1 .LBB135_2172
; %bb.2169:
	s_cmp_lt_i32 s6, 3
	s_cbranch_scc1 .LBB135_2173
; %bb.2170:
	s_cmp_gt_i32 s6, 3
	s_cbranch_scc0 .LBB135_2180
; %bb.2171:
	s_wait_loadcnt 0x0
	global_load_b64 v[8:9], v[14:15], off
	s_mov_b32 s7, 0
	s_wait_loadcnt 0x0
	v_cvt_f64_i32_e32 v[10:11], v9
	v_cvt_f64_u32_e32 v[8:9], v8
	s_delay_alu instid0(VALU_DEP_2) | instskip(NEXT) | instid1(VALU_DEP_1)
	v_ldexp_f64 v[10:11], v[10:11], 32
	v_add_f64_e32 v[8:9], v[10:11], v[8:9]
	s_branch .LBB135_2181
.LBB135_2172:
	s_mov_b32 s7, -1
                                        ; implicit-def: $vgpr8_vgpr9
	s_branch .LBB135_2187
.LBB135_2173:
	s_mov_b32 s7, -1
                                        ; implicit-def: $vgpr8_vgpr9
	s_branch .LBB135_2184
.LBB135_2174:
	s_mov_b32 s7, -1
.LBB135_2175:
                                        ; implicit-def: $vgpr8_vgpr9
.LBB135_2176:
	s_and_b32 vcc_lo, exec_lo, s13
	s_mov_b32 s13, 0
	s_cbranch_vccz .LBB135_2178
; %bb.2177:
	s_cmp_lg_u32 s6, 11
	s_mov_b32 s13, -1
	s_cselect_b32 s7, -1, 0
.LBB135_2178:
	v_mov_b64_e32 v[10:11], 0
	s_and_b32 vcc_lo, exec_lo, s7
	s_cbranch_vccz .LBB135_2109
.LBB135_2179:
	s_or_b32 s12, s12, exec_lo
	s_trap 2
	s_cbranch_execz .LBB135_2110
	s_branch .LBB135_2111
.LBB135_2180:
	s_mov_b32 s7, -1
                                        ; implicit-def: $vgpr8_vgpr9
.LBB135_2181:
	s_delay_alu instid0(SALU_CYCLE_1)
	s_and_not1_b32 vcc_lo, exec_lo, s7
	s_cbranch_vccnz .LBB135_2183
; %bb.2182:
	s_wait_loadcnt 0x0
	global_load_b32 v8, v[14:15], off
	s_wait_loadcnt 0x0
	v_cvt_f64_i32_e32 v[8:9], v8
.LBB135_2183:
	s_mov_b32 s7, 0
.LBB135_2184:
	s_delay_alu instid0(SALU_CYCLE_1)
	s_and_not1_b32 vcc_lo, exec_lo, s7
	s_cbranch_vccnz .LBB135_2186
; %bb.2185:
	s_wait_loadcnt 0x0
	global_load_i16 v8, v[14:15], off
	s_wait_loadcnt 0x0
	v_cvt_f64_i32_e32 v[8:9], v8
.LBB135_2186:
	s_mov_b32 s7, 0
.LBB135_2187:
	s_delay_alu instid0(SALU_CYCLE_1)
	s_and_not1_b32 vcc_lo, exec_lo, s7
	s_cbranch_vccnz .LBB135_2193
; %bb.2188:
	s_cmp_gt_i32 s6, 0
	s_mov_b32 s7, 0
	s_cbranch_scc0 .LBB135_2190
; %bb.2189:
	s_wait_loadcnt 0x0
	global_load_i8 v8, v[14:15], off
	s_wait_loadcnt 0x0
	v_cvt_f64_i32_e32 v[8:9], v8
	s_branch .LBB135_2191
.LBB135_2190:
	s_mov_b32 s7, -1
                                        ; implicit-def: $vgpr8_vgpr9
.LBB135_2191:
	s_delay_alu instid0(SALU_CYCLE_1)
	s_and_not1_b32 vcc_lo, exec_lo, s7
	s_cbranch_vccnz .LBB135_2193
; %bb.2192:
	s_wait_loadcnt 0x0
	global_load_u8 v8, v[14:15], off
	s_wait_loadcnt 0x0
	v_cvt_f64_u32_e32 v[8:9], v8
.LBB135_2193:
	s_wait_loadcnt 0x0
	v_mov_b64_e32 v[10:11], 0
.LBB135_2194:
	s_mov_b32 s14, -1
.LBB135_2195:
	s_delay_alu instid0(SALU_CYCLE_1)
	s_and_not1_b32 vcc_lo, exec_lo, s14
	s_cbranch_vccnz .LBB135_3357
; %bb.2196:
	v_mov_b32_e32 v13, 0
	s_and_b32 s7, 0xffff, s9
	s_delay_alu instid0(SALU_CYCLE_1) | instskip(NEXT) | instid1(VALU_DEP_1)
	s_cmp_lt_i32 s7, 11
	v_add_nc_u64_e32 v[18:19], s[4:5], v[12:13]
	s_cbranch_scc1 .LBB135_2203
; %bb.2197:
	s_cmp_gt_i32 s7, 25
	s_mov_b32 s13, 0
	s_cbranch_scc0 .LBB135_2204
; %bb.2198:
	s_cmp_gt_i32 s7, 28
	s_cbranch_scc0 .LBB135_2205
; %bb.2199:
	s_cmp_gt_i32 s7, 43
	;; [unrolled: 3-line block ×3, first 2 shown]
	s_cbranch_scc0 .LBB135_2211
; %bb.2201:
	s_cmp_eq_u32 s7, 46
	s_mov_b32 s15, 0
	s_cbranch_scc0 .LBB135_2212
; %bb.2202:
	global_load_b32 v12, v[18:19], off
	s_mov_b32 s9, 0
	s_mov_b32 s14, -1
	s_wait_loadcnt 0x0
	v_lshlrev_b32_e32 v13, 16, v12
	s_wait_xcnt 0x1
	v_and_b32_e32 v14, 0xffff0000, v12
	s_delay_alu instid0(VALU_DEP_2) | instskip(NEXT) | instid1(VALU_DEP_2)
	v_cvt_f64_f32_e32 v[12:13], v13
	v_cvt_f64_f32_e32 v[14:15], v14
	s_branch .LBB135_2214
.LBB135_2203:
	s_mov_b32 s9, -1
	s_mov_b32 s14, 0
                                        ; implicit-def: $vgpr14_vgpr15
	s_branch .LBB135_2248
.LBB135_2204:
	s_mov_b32 s15, -1
	s_mov_b32 s14, 0
	s_mov_b32 s9, 0
                                        ; implicit-def: $vgpr14_vgpr15
	s_branch .LBB135_2243
.LBB135_2205:
	s_mov_b32 s15, -1
	s_mov_b32 s14, 0
	s_mov_b32 s9, 0
                                        ; implicit-def: $vgpr14_vgpr15
	s_branch .LBB135_2226
.LBB135_2206:
	s_mov_b32 s15, -1
	s_mov_b32 s14, 0
	s_mov_b32 s9, 0
                                        ; implicit-def: $vgpr14_vgpr15
	s_branch .LBB135_2220
.LBB135_2207:
	s_mov_b32 s13, -1
	s_mov_b32 s15, exec_lo
	v_cmpx_eq_u16_e32 0x80, v10
; %bb.2208:
	s_xor_b32 s13, exec_lo, -1
; %bb.2209:
	s_or_b32 exec_lo, exec_lo, s15
	s_delay_alu instid0(SALU_CYCLE_1)
	s_and_b32 s13, s13, exec_lo
	s_or_saveexec_b32 s14, s14
	v_mov_b64_e32 v[8:9], 0x7ff8000020000000
	s_xor_b32 exec_lo, exec_lo, s14
	s_cbranch_execz .LBB135_2123
.LBB135_2210:
	v_cmp_ne_u16_e32 vcc_lo, 0, v10
	v_mov_b64_e32 v[8:9], 0
	s_and_not1_b32 s13, s13, exec_lo
	s_and_b32 s15, vcc_lo, exec_lo
	s_delay_alu instid0(SALU_CYCLE_1)
	s_or_b32 s13, s13, s15
	s_or_b32 exec_lo, exec_lo, s14
	s_and_saveexec_b32 s14, s13
	s_cbranch_execnz .LBB135_2124
	s_branch .LBB135_2125
.LBB135_2211:
	s_mov_b32 s15, -1
	s_mov_b32 s14, 0
	s_mov_b32 s9, 0
	s_branch .LBB135_2213
.LBB135_2212:
	s_mov_b32 s9, -1
	s_mov_b32 s14, 0
.LBB135_2213:
                                        ; implicit-def: $vgpr14_vgpr15
.LBB135_2214:
	s_and_b32 vcc_lo, exec_lo, s15
	s_cbranch_vccz .LBB135_2219
; %bb.2215:
	s_cmp_eq_u32 s7, 44
	s_cbranch_scc0 .LBB135_2217
; %bb.2216:
	global_load_u8 v14, v[18:19], off
	s_mov_b32 s9, 0
	s_mov_b32 s14, -1
	s_wait_loadcnt 0x0
	v_cmp_ne_u32_e32 vcc_lo, 0xff, v14
	v_lshlrev_b32_e32 v12, 23, v14
	s_delay_alu instid0(VALU_DEP_1) | instskip(NEXT) | instid1(VALU_DEP_1)
	v_cvt_f64_f32_e32 v[12:13], v12
	v_cndmask_b32_e32 v12, 0x20000000, v12, vcc_lo
	s_delay_alu instid0(VALU_DEP_2) | instskip(SKIP_1) | instid1(VALU_DEP_2)
	v_cndmask_b32_e32 v13, 0x7ff80000, v13, vcc_lo
	v_cmp_ne_u32_e32 vcc_lo, 0, v14
	v_cndmask_b32_e32 v13, 0x38000000, v13, vcc_lo
	s_delay_alu instid0(VALU_DEP_4)
	v_cndmask_b32_e32 v12, 0, v12, vcc_lo
	s_branch .LBB135_2218
.LBB135_2217:
	s_mov_b32 s9, -1
                                        ; implicit-def: $vgpr12_vgpr13
.LBB135_2218:
	s_wait_xcnt 0x0
	v_mov_b64_e32 v[14:15], 0
.LBB135_2219:
	s_mov_b32 s15, 0
.LBB135_2220:
	s_delay_alu instid0(SALU_CYCLE_1)
	s_and_b32 vcc_lo, exec_lo, s15
	s_cbranch_vccz .LBB135_2225
; %bb.2221:
	s_cmp_eq_u32 s7, 29
	s_cbranch_scc0 .LBB135_2223
; %bb.2222:
	global_load_b64 v[12:13], v[18:19], off
	s_mov_b32 s9, 0
	s_mov_b32 s14, -1
	s_wait_loadcnt 0x0
	s_wait_xcnt 0x1
	v_cvt_f64_u32_e32 v[14:15], v13
	v_cvt_f64_u32_e32 v[12:13], v12
	s_delay_alu instid0(VALU_DEP_2) | instskip(NEXT) | instid1(VALU_DEP_1)
	v_ldexp_f64 v[14:15], v[14:15], 32
	v_add_f64_e32 v[12:13], v[14:15], v[12:13]
	s_branch .LBB135_2224
.LBB135_2223:
	s_mov_b32 s9, -1
                                        ; implicit-def: $vgpr12_vgpr13
.LBB135_2224:
	s_wait_xcnt 0x0
	v_mov_b64_e32 v[14:15], 0
.LBB135_2225:
	s_mov_b32 s15, 0
.LBB135_2226:
	s_delay_alu instid0(SALU_CYCLE_1)
	s_and_b32 vcc_lo, exec_lo, s15
	s_cbranch_vccz .LBB135_2242
; %bb.2227:
	s_cmp_lt_i32 s7, 27
	s_cbranch_scc1 .LBB135_2230
; %bb.2228:
	s_cmp_gt_i32 s7, 27
	s_cbranch_scc0 .LBB135_2231
; %bb.2229:
	global_load_b32 v12, v[18:19], off
	s_mov_b32 s14, 0
	s_wait_loadcnt 0x0
	v_cvt_f64_u32_e32 v[12:13], v12
	s_branch .LBB135_2232
.LBB135_2230:
	s_mov_b32 s14, -1
                                        ; implicit-def: $vgpr12_vgpr13
	s_branch .LBB135_2235
.LBB135_2231:
	s_mov_b32 s14, -1
                                        ; implicit-def: $vgpr12_vgpr13
.LBB135_2232:
	s_delay_alu instid0(SALU_CYCLE_1)
	s_and_not1_b32 vcc_lo, exec_lo, s14
	s_cbranch_vccnz .LBB135_2234
; %bb.2233:
	global_load_u16 v12, v[18:19], off
	s_wait_loadcnt 0x0
	v_cvt_f64_u32_e32 v[12:13], v12
.LBB135_2234:
	s_mov_b32 s14, 0
.LBB135_2235:
	s_delay_alu instid0(SALU_CYCLE_1)
	s_and_not1_b32 vcc_lo, exec_lo, s14
	s_cbranch_vccnz .LBB135_2241
; %bb.2236:
	global_load_u8 v14, v[18:19], off
	s_mov_b32 s14, 0
	s_mov_b32 s15, exec_lo
	s_wait_loadcnt 0x0
	v_cmpx_lt_i16_e32 0x7f, v14
	s_xor_b32 s15, exec_lo, s15
	s_cbranch_execnz .LBB135_2267
; %bb.2237:
	s_or_saveexec_b32 s15, s15
	v_mov_b64_e32 v[12:13], 0x7ff8000020000000
	s_xor_b32 exec_lo, exec_lo, s15
	s_cbranch_execnz .LBB135_2270
.LBB135_2238:
	s_or_b32 exec_lo, exec_lo, s15
	s_and_saveexec_b32 s15, s14
	s_cbranch_execz .LBB135_2240
.LBB135_2239:
	v_and_b32_e32 v12, 0xffff, v14
	s_delay_alu instid0(VALU_DEP_1) | instskip(SKIP_1) | instid1(VALU_DEP_2)
	v_and_b32_e32 v13, 7, v12
	v_bfe_u32 v21, v12, 3, 4
	v_clz_i32_u32_e32 v15, v13
	s_delay_alu instid0(VALU_DEP_2) | instskip(NEXT) | instid1(VALU_DEP_2)
	v_cmp_eq_u32_e32 vcc_lo, 0, v21
	v_min_u32_e32 v15, 32, v15
	s_delay_alu instid0(VALU_DEP_1) | instskip(NEXT) | instid1(VALU_DEP_1)
	v_subrev_nc_u32_e32 v17, 28, v15
	v_dual_lshlrev_b32 v12, v17, v12 :: v_dual_sub_nc_u32 v15, 29, v15
	s_delay_alu instid0(VALU_DEP_1) | instskip(NEXT) | instid1(VALU_DEP_2)
	v_dual_lshlrev_b32 v14, 24, v14 :: v_dual_bitop2_b32 v12, 7, v12 bitop3:0x40
	v_cndmask_b32_e32 v15, v21, v15, vcc_lo
	s_delay_alu instid0(VALU_DEP_2) | instskip(NEXT) | instid1(VALU_DEP_3)
	v_cndmask_b32_e32 v12, v13, v12, vcc_lo
	v_and_b32_e32 v13, 0x80000000, v14
	s_delay_alu instid0(VALU_DEP_3) | instskip(NEXT) | instid1(VALU_DEP_3)
	v_lshl_add_u32 v14, v15, 23, 0x3b800000
	v_lshlrev_b32_e32 v12, 20, v12
	s_delay_alu instid0(VALU_DEP_1) | instskip(NEXT) | instid1(VALU_DEP_1)
	v_or3_b32 v12, v13, v14, v12
	v_cvt_f64_f32_e32 v[12:13], v12
.LBB135_2240:
	s_or_b32 exec_lo, exec_lo, s15
.LBB135_2241:
	s_wait_xcnt 0x0
	v_mov_b64_e32 v[14:15], 0
	s_mov_b32 s14, -1
.LBB135_2242:
	s_mov_b32 s15, 0
.LBB135_2243:
	s_delay_alu instid0(SALU_CYCLE_1)
	s_and_b32 vcc_lo, exec_lo, s15
	s_cbranch_vccnz .LBB135_2254
; %bb.2244:
	s_and_b32 vcc_lo, exec_lo, s9
	s_cbranch_vccnz .LBB135_2315
.LBB135_2245:
	s_and_not1_b32 vcc_lo, exec_lo, s13
	s_cbranch_vccnz .LBB135_2247
.LBB135_2246:
	global_load_u8 v12, v[18:19], off
	s_wait_xcnt 0x1
	v_mov_b64_e32 v[14:15], 0
	s_mov_b32 s14, -1
	s_wait_loadcnt 0x0
	v_cmp_ne_u16_e32 vcc_lo, 0, v12
	v_mov_b32_e32 v12, 0
	v_cndmask_b32_e64 v13, 0, 0x3ff00000, vcc_lo
.LBB135_2247:
	s_mov_b32 s9, 0
.LBB135_2248:
	s_delay_alu instid0(SALU_CYCLE_1)
	s_and_b32 vcc_lo, exec_lo, s9
	s_cbranch_vccz .LBB135_2331
; %bb.2249:
	s_cmp_lt_i32 s7, 5
	s_cbranch_scc1 .LBB135_2262
; %bb.2250:
	s_cmp_lt_i32 s7, 8
	s_cbranch_scc1 .LBB135_2263
	;; [unrolled: 3-line block ×3, first 2 shown]
; %bb.2252:
	s_cmp_gt_i32 s7, 9
	s_cbranch_scc0 .LBB135_2271
; %bb.2253:
	global_load_b128 v[12:15], v[18:19], off
	s_mov_b32 s9, 0
	s_branch .LBB135_2272
.LBB135_2254:
	s_cmp_gt_i32 s7, 22
	s_cbranch_scc0 .LBB135_2264
; %bb.2255:
	s_cmp_lt_i32 s7, 24
	s_cbranch_scc1 .LBB135_2266
; %bb.2256:
	s_cmp_gt_i32 s7, 24
	s_cbranch_scc0 .LBB135_2283
; %bb.2257:
	global_load_u8 v14, v[18:19], off
	s_mov_b32 s14, exec_lo
	s_wait_loadcnt 0x0
	v_cmpx_lt_i16_e32 0x7f, v14
	s_xor_b32 s14, exec_lo, s14
	s_cbranch_execnz .LBB135_2363
; %bb.2258:
	s_or_saveexec_b32 s14, s14
	v_mov_b64_e32 v[12:13], 0x7ff8000020000000
	s_xor_b32 exec_lo, exec_lo, s14
	s_cbranch_execnz .LBB135_2366
.LBB135_2259:
	s_or_b32 exec_lo, exec_lo, s14
	s_and_saveexec_b32 s14, s13
	s_cbranch_execz .LBB135_2261
.LBB135_2260:
	v_and_b32_e32 v12, 0xffff, v14
	s_delay_alu instid0(VALU_DEP_1) | instskip(SKIP_1) | instid1(VALU_DEP_2)
	v_and_b32_e32 v13, 3, v12
	v_bfe_u32 v21, v12, 2, 5
	v_clz_i32_u32_e32 v15, v13
	s_delay_alu instid0(VALU_DEP_2) | instskip(NEXT) | instid1(VALU_DEP_2)
	v_cmp_eq_u32_e32 vcc_lo, 0, v21
	v_min_u32_e32 v15, 32, v15
	s_delay_alu instid0(VALU_DEP_1) | instskip(NEXT) | instid1(VALU_DEP_1)
	v_subrev_nc_u32_e32 v17, 29, v15
	v_dual_lshlrev_b32 v12, v17, v12 :: v_dual_sub_nc_u32 v15, 30, v15
	s_delay_alu instid0(VALU_DEP_1) | instskip(NEXT) | instid1(VALU_DEP_2)
	v_dual_lshlrev_b32 v14, 24, v14 :: v_dual_bitop2_b32 v12, 3, v12 bitop3:0x40
	v_cndmask_b32_e32 v15, v21, v15, vcc_lo
	s_delay_alu instid0(VALU_DEP_2) | instskip(NEXT) | instid1(VALU_DEP_3)
	v_cndmask_b32_e32 v12, v13, v12, vcc_lo
	v_and_b32_e32 v13, 0x80000000, v14
	s_delay_alu instid0(VALU_DEP_3) | instskip(NEXT) | instid1(VALU_DEP_3)
	v_lshl_add_u32 v14, v15, 23, 0x37800000
	v_lshlrev_b32_e32 v12, 21, v12
	s_delay_alu instid0(VALU_DEP_1) | instskip(NEXT) | instid1(VALU_DEP_1)
	v_or3_b32 v12, v13, v14, v12
	v_cvt_f64_f32_e32 v[12:13], v12
.LBB135_2261:
	s_or_b32 exec_lo, exec_lo, s14
	s_mov_b32 s13, 0
	s_branch .LBB135_2284
.LBB135_2262:
	s_mov_b32 s9, -1
                                        ; implicit-def: $vgpr14_vgpr15
	s_branch .LBB135_2303
.LBB135_2263:
	s_mov_b32 s9, -1
                                        ; implicit-def: $vgpr14_vgpr15
	s_branch .LBB135_2278
.LBB135_2264:
	s_mov_b32 s13, -1
                                        ; implicit-def: $vgpr12_vgpr13
	s_branch .LBB135_2290
.LBB135_2265:
	s_mov_b32 s9, -1
                                        ; implicit-def: $vgpr14_vgpr15
	s_branch .LBB135_2275
.LBB135_2266:
	s_mov_b32 s13, -1
                                        ; implicit-def: $vgpr12_vgpr13
	s_branch .LBB135_2287
.LBB135_2267:
	s_mov_b32 s14, -1
	s_mov_b32 s16, exec_lo
	v_cmpx_eq_u16_e32 0x80, v14
; %bb.2268:
	s_xor_b32 s14, exec_lo, -1
; %bb.2269:
	s_or_b32 exec_lo, exec_lo, s16
	s_delay_alu instid0(SALU_CYCLE_1)
	s_and_b32 s14, s14, exec_lo
	s_or_saveexec_b32 s15, s15
	v_mov_b64_e32 v[12:13], 0x7ff8000020000000
	s_xor_b32 exec_lo, exec_lo, s15
	s_cbranch_execz .LBB135_2238
.LBB135_2270:
	v_cmp_ne_u16_e32 vcc_lo, 0, v14
	v_mov_b64_e32 v[12:13], 0
	s_and_not1_b32 s14, s14, exec_lo
	s_and_b32 s16, vcc_lo, exec_lo
	s_delay_alu instid0(SALU_CYCLE_1)
	s_or_b32 s14, s14, s16
	s_or_b32 exec_lo, exec_lo, s15
	s_and_saveexec_b32 s15, s14
	s_cbranch_execnz .LBB135_2239
	s_branch .LBB135_2240
.LBB135_2271:
	s_mov_b32 s9, -1
                                        ; implicit-def: $vgpr14_vgpr15
.LBB135_2272:
	s_delay_alu instid0(SALU_CYCLE_1)
	s_and_not1_b32 vcc_lo, exec_lo, s9
	s_cbranch_vccnz .LBB135_2274
; %bb.2273:
	s_wait_loadcnt 0x0
	global_load_b64 v[14:15], v[18:19], off
	s_wait_loadcnt 0x0
	v_cvt_f64_f32_e32 v[12:13], v14
	v_cvt_f64_f32_e32 v[14:15], v15
.LBB135_2274:
	s_mov_b32 s9, 0
.LBB135_2275:
	s_delay_alu instid0(SALU_CYCLE_1)
	s_and_not1_b32 vcc_lo, exec_lo, s9
	s_cbranch_vccnz .LBB135_2277
; %bb.2276:
	s_wait_loadcnt 0x0
	global_load_b32 v12, v[18:19], off
	s_wait_loadcnt 0x0
	v_lshrrev_b32_e32 v13, 16, v12
	v_cvt_f32_f16_e32 v12, v12
	s_wait_xcnt 0x1
	s_delay_alu instid0(VALU_DEP_2) | instskip(NEXT) | instid1(VALU_DEP_2)
	v_cvt_f32_f16_e32 v14, v13
	v_cvt_f64_f32_e32 v[12:13], v12
	s_delay_alu instid0(VALU_DEP_2)
	v_cvt_f64_f32_e32 v[14:15], v14
.LBB135_2277:
	s_mov_b32 s9, 0
.LBB135_2278:
	s_delay_alu instid0(SALU_CYCLE_1)
	s_and_not1_b32 vcc_lo, exec_lo, s9
	s_cbranch_vccnz .LBB135_2302
; %bb.2279:
	s_cmp_lt_i32 s7, 6
	s_cbranch_scc1 .LBB135_2282
; %bb.2280:
	s_cmp_gt_i32 s7, 6
	s_cbranch_scc0 .LBB135_2295
; %bb.2281:
	s_wait_loadcnt 0x0
	global_load_b64 v[12:13], v[18:19], off
	s_mov_b32 s9, 0
	s_branch .LBB135_2296
.LBB135_2282:
	s_mov_b32 s9, -1
                                        ; implicit-def: $vgpr12_vgpr13
	s_branch .LBB135_2299
.LBB135_2283:
	s_mov_b32 s13, -1
                                        ; implicit-def: $vgpr12_vgpr13
.LBB135_2284:
	s_delay_alu instid0(SALU_CYCLE_1)
	s_and_b32 vcc_lo, exec_lo, s13
	s_cbranch_vccz .LBB135_2286
; %bb.2285:
	global_load_u8 v12, v[18:19], off
	s_wait_loadcnt 0x0
	v_lshlrev_b32_e32 v12, 24, v12
	s_delay_alu instid0(VALU_DEP_1) | instskip(SKIP_1) | instid1(VALU_DEP_1)
	v_and_b32_e32 v13, 0x7f000000, v12
	s_wait_xcnt 0x1
	v_clz_i32_u32_e32 v14, v13
	v_add_nc_u32_e32 v17, 0x1000000, v13
	v_cmp_ne_u32_e32 vcc_lo, 0, v13
	s_delay_alu instid0(VALU_DEP_3) | instskip(NEXT) | instid1(VALU_DEP_1)
	v_min_u32_e32 v14, 32, v14
	v_sub_nc_u32_e64 v14, v14, 4 clamp
	s_delay_alu instid0(VALU_DEP_1) | instskip(NEXT) | instid1(VALU_DEP_1)
	v_dual_lshlrev_b32 v15, v14, v13 :: v_dual_lshlrev_b32 v14, 23, v14
	v_lshrrev_b32_e32 v15, 4, v15
	s_delay_alu instid0(VALU_DEP_1) | instskip(NEXT) | instid1(VALU_DEP_1)
	v_dual_sub_nc_u32 v14, v15, v14 :: v_dual_ashrrev_i32 v15, 8, v17
	v_add_nc_u32_e32 v14, 0x3c000000, v14
	s_delay_alu instid0(VALU_DEP_1) | instskip(NEXT) | instid1(VALU_DEP_1)
	v_and_or_b32 v14, 0x7f800000, v15, v14
	v_cndmask_b32_e32 v13, 0, v14, vcc_lo
	s_delay_alu instid0(VALU_DEP_1) | instskip(NEXT) | instid1(VALU_DEP_1)
	v_and_or_b32 v12, 0x80000000, v12, v13
	v_cvt_f64_f32_e32 v[12:13], v12
.LBB135_2286:
	s_mov_b32 s13, 0
.LBB135_2287:
	s_delay_alu instid0(SALU_CYCLE_1)
	s_and_not1_b32 vcc_lo, exec_lo, s13
	s_cbranch_vccnz .LBB135_2289
; %bb.2288:
	global_load_u8 v12, v[18:19], off
	s_wait_loadcnt 0x0
	v_lshlrev_b32_e32 v13, 25, v12
	v_lshlrev_b16 v12, 8, v12
	s_wait_xcnt 0x1
	s_delay_alu instid0(VALU_DEP_1) | instskip(SKIP_1) | instid1(VALU_DEP_2)
	v_and_or_b32 v15, 0x7f00, v12, 0.5
	v_bfe_i32 v12, v12, 0, 16
	v_dual_add_f32 v15, -0.5, v15 :: v_dual_lshrrev_b32 v14, 4, v13
	v_cmp_gt_u32_e32 vcc_lo, 0x8000000, v13
	s_delay_alu instid0(VALU_DEP_2) | instskip(NEXT) | instid1(VALU_DEP_1)
	v_or_b32_e32 v14, 0x70000000, v14
	v_mul_f32_e32 v14, 0x7800000, v14
	s_delay_alu instid0(VALU_DEP_1) | instskip(NEXT) | instid1(VALU_DEP_1)
	v_cndmask_b32_e32 v13, v14, v15, vcc_lo
	v_and_or_b32 v12, 0x80000000, v12, v13
	s_delay_alu instid0(VALU_DEP_1)
	v_cvt_f64_f32_e32 v[12:13], v12
.LBB135_2289:
	s_mov_b32 s13, 0
	s_mov_b32 s14, -1
.LBB135_2290:
	s_and_not1_b32 vcc_lo, exec_lo, s13
	s_mov_b32 s13, 0
	s_cbranch_vccnz .LBB135_2314
; %bb.2291:
	s_cmp_gt_i32 s7, 14
	s_cbranch_scc0 .LBB135_2294
; %bb.2292:
	s_cmp_eq_u32 s7, 15
	s_cbranch_scc0 .LBB135_2310
; %bb.2293:
	global_load_u16 v12, v[18:19], off
	s_mov_b32 s9, 0
	s_mov_b32 s14, -1
	s_wait_loadcnt 0x0
	v_lshlrev_b32_e32 v12, 16, v12
	s_delay_alu instid0(VALU_DEP_1)
	v_cvt_f64_f32_e32 v[12:13], v12
	s_branch .LBB135_2312
.LBB135_2294:
	s_mov_b32 s13, -1
	s_branch .LBB135_2311
.LBB135_2295:
	s_mov_b32 s9, -1
                                        ; implicit-def: $vgpr12_vgpr13
.LBB135_2296:
	s_delay_alu instid0(SALU_CYCLE_1)
	s_and_not1_b32 vcc_lo, exec_lo, s9
	s_cbranch_vccnz .LBB135_2298
; %bb.2297:
	s_wait_loadcnt 0x0
	global_load_b32 v12, v[18:19], off
	s_wait_loadcnt 0x0
	v_cvt_f64_f32_e32 v[12:13], v12
.LBB135_2298:
	s_mov_b32 s9, 0
.LBB135_2299:
	s_delay_alu instid0(SALU_CYCLE_1)
	s_and_not1_b32 vcc_lo, exec_lo, s9
	s_cbranch_vccnz .LBB135_2301
; %bb.2300:
	s_wait_loadcnt 0x0
	global_load_u16 v12, v[18:19], off
	s_wait_loadcnt 0x0
	v_cvt_f32_f16_e32 v12, v12
	s_delay_alu instid0(VALU_DEP_1)
	v_cvt_f64_f32_e32 v[12:13], v12
.LBB135_2301:
	s_wait_loadcnt 0x0
	v_mov_b64_e32 v[14:15], 0
.LBB135_2302:
	s_mov_b32 s9, 0
.LBB135_2303:
	s_delay_alu instid0(SALU_CYCLE_1)
	s_and_not1_b32 vcc_lo, exec_lo, s9
	s_cbranch_vccnz .LBB135_2330
; %bb.2304:
	s_cmp_lt_i32 s7, 2
	s_cbranch_scc1 .LBB135_2308
; %bb.2305:
	s_cmp_lt_i32 s7, 3
	s_cbranch_scc1 .LBB135_2309
; %bb.2306:
	s_cmp_gt_i32 s7, 3
	s_cbranch_scc0 .LBB135_2316
; %bb.2307:
	s_wait_loadcnt 0x0
	global_load_b64 v[12:13], v[18:19], off
	s_mov_b32 s9, 0
	s_wait_loadcnt 0x0
	s_wait_xcnt 0x1
	v_cvt_f64_i32_e32 v[14:15], v13
	v_cvt_f64_u32_e32 v[12:13], v12
	s_delay_alu instid0(VALU_DEP_2) | instskip(NEXT) | instid1(VALU_DEP_1)
	v_ldexp_f64 v[14:15], v[14:15], 32
	v_add_f64_e32 v[12:13], v[14:15], v[12:13]
	s_branch .LBB135_2317
.LBB135_2308:
	s_mov_b32 s9, -1
                                        ; implicit-def: $vgpr12_vgpr13
	s_branch .LBB135_2323
.LBB135_2309:
	s_mov_b32 s9, -1
                                        ; implicit-def: $vgpr12_vgpr13
	s_branch .LBB135_2320
.LBB135_2310:
	s_mov_b32 s9, -1
.LBB135_2311:
                                        ; implicit-def: $vgpr12_vgpr13
.LBB135_2312:
	s_and_b32 vcc_lo, exec_lo, s13
	s_mov_b32 s13, 0
	s_cbranch_vccz .LBB135_2314
; %bb.2313:
	s_cmp_lg_u32 s7, 11
	s_mov_b32 s13, -1
	s_cselect_b32 s9, -1, 0
.LBB135_2314:
	s_wait_xcnt 0x0
	v_mov_b64_e32 v[14:15], 0
	s_and_b32 vcc_lo, exec_lo, s9
	s_cbranch_vccz .LBB135_2245
.LBB135_2315:
	s_or_b32 s12, s12, exec_lo
	s_trap 2
	s_cbranch_execz .LBB135_2246
	s_branch .LBB135_2247
.LBB135_2316:
	s_mov_b32 s9, -1
                                        ; implicit-def: $vgpr12_vgpr13
.LBB135_2317:
	s_delay_alu instid0(SALU_CYCLE_1)
	s_and_not1_b32 vcc_lo, exec_lo, s9
	s_cbranch_vccnz .LBB135_2319
; %bb.2318:
	s_wait_loadcnt 0x0
	global_load_b32 v12, v[18:19], off
	s_wait_loadcnt 0x0
	v_cvt_f64_i32_e32 v[12:13], v12
.LBB135_2319:
	s_mov_b32 s9, 0
.LBB135_2320:
	s_delay_alu instid0(SALU_CYCLE_1)
	s_and_not1_b32 vcc_lo, exec_lo, s9
	s_cbranch_vccnz .LBB135_2322
; %bb.2321:
	s_wait_loadcnt 0x0
	global_load_i16 v12, v[18:19], off
	s_wait_loadcnt 0x0
	v_cvt_f64_i32_e32 v[12:13], v12
.LBB135_2322:
	s_mov_b32 s9, 0
.LBB135_2323:
	s_delay_alu instid0(SALU_CYCLE_1)
	s_and_not1_b32 vcc_lo, exec_lo, s9
	s_cbranch_vccnz .LBB135_2329
; %bb.2324:
	s_cmp_gt_i32 s7, 0
	s_mov_b32 s9, 0
	s_cbranch_scc0 .LBB135_2326
; %bb.2325:
	s_wait_loadcnt 0x0
	global_load_i8 v12, v[18:19], off
	s_wait_loadcnt 0x0
	v_cvt_f64_i32_e32 v[12:13], v12
	s_branch .LBB135_2327
.LBB135_2326:
	s_mov_b32 s9, -1
                                        ; implicit-def: $vgpr12_vgpr13
.LBB135_2327:
	s_delay_alu instid0(SALU_CYCLE_1)
	s_and_not1_b32 vcc_lo, exec_lo, s9
	s_cbranch_vccnz .LBB135_2329
; %bb.2328:
	s_wait_loadcnt 0x0
	global_load_u8 v12, v[18:19], off
	s_wait_loadcnt 0x0
	v_cvt_f64_u32_e32 v[12:13], v12
.LBB135_2329:
	s_wait_loadcnt 0x0
	v_mov_b64_e32 v[14:15], 0
.LBB135_2330:
	s_mov_b32 s14, -1
.LBB135_2331:
	s_delay_alu instid0(SALU_CYCLE_1)
	s_and_not1_b32 vcc_lo, exec_lo, s14
	s_cbranch_vccnz .LBB135_3357
; %bb.2332:
	s_cmp_lt_i32 s8, 23
	s_cbranch_scc1 .LBB135_2336
; %bb.2333:
	s_cmp_gt_i32 s8, 43
	s_cbranch_scc0 .LBB135_2337
; %bb.2334:
	s_cmp_gt_i32 s8, 45
	s_cbranch_scc0 .LBB135_2338
; %bb.2335:
	s_cmp_lg_u32 s8, 46
	s_mov_b32 s14, 0
	s_mov_b32 s9, -1
	s_cselect_b32 s13, -1, 0
	s_branch .LBB135_2339
.LBB135_2336:
	s_mov_b32 s14, -1
	s_mov_b32 s9, 0
	s_mov_b32 s13, 0
	s_branch .LBB135_2345
.LBB135_2337:
	s_mov_b32 s14, -1
	s_mov_b32 s9, 0
	s_mov_b32 s13, 0
	s_branch .LBB135_2342
.LBB135_2338:
	s_mov_b32 s14, -1
	s_mov_b32 s9, 0
	s_mov_b32 s13, 0
.LBB135_2339:
	s_and_not1_b32 vcc_lo, exec_lo, s14
	s_cbranch_vccnz .LBB135_2341
; %bb.2340:
	s_cmp_eq_u32 s8, 44
	s_cselect_b32 s9, -1, 0
	s_cmp_lg_u32 s8, 44
	s_cselect_b32 s13, -1, 0
.LBB135_2341:
	s_mov_b32 s14, 0
.LBB135_2342:
	s_delay_alu instid0(SALU_CYCLE_1)
	s_and_b32 vcc_lo, exec_lo, s14
	s_cbranch_vccz .LBB135_2344
; %bb.2343:
	s_cmp_lt_i32 s8, 30
	s_cselect_b32 s9, -1, 0
	s_cmp_gt_i32 s8, 29
	s_cselect_b32 s13, -1, 0
.LBB135_2344:
	s_mov_b32 s14, 0
.LBB135_2345:
	s_delay_alu instid0(SALU_CYCLE_1)
	s_and_b32 vcc_lo, exec_lo, s14
	s_cbranch_vccz .LBB135_2350
; %bb.2346:
	s_cmp_gt_i32 s8, 14
	s_mov_b32 s14, -1
	s_cbranch_scc0 .LBB135_2348
; %bb.2347:
	s_cmp_eq_u32 s8, 15
	s_mov_b32 s14, 0
	s_cselect_b32 s9, -1, 0
	s_cmp_lg_u32 s8, 15
	s_cselect_b32 s13, -1, 0
.LBB135_2348:
	s_and_not1_b32 vcc_lo, exec_lo, s14
	s_cbranch_vccnz .LBB135_2350
; %bb.2349:
	s_cmp_lt_i32 s8, 12
	s_cselect_b32 s9, -1, 0
	s_cmp_gt_i32 s8, 11
	s_cselect_b32 s13, -1, 0
.LBB135_2350:
	s_delay_alu instid0(SALU_CYCLE_1)
	s_and_b32 vcc_lo, exec_lo, s13
	s_cbranch_vccnz .LBB135_2362
; %bb.2351:
	s_and_not1_b32 vcc_lo, exec_lo, s9
	s_cbranch_vccnz .LBB135_3357
.LBB135_2352:
	v_mov_b32_e32 v17, 0
	s_cmp_lt_i32 s6, 11
	s_delay_alu instid0(VALU_DEP_1)
	v_add_nc_u64_e32 v[22:23], s[0:1], v[16:17]
	s_cbranch_scc1 .LBB135_2359
; %bb.2353:
	s_cmp_gt_i32 s6, 25
	s_mov_b32 s13, 0
	s_cbranch_scc0 .LBB135_2360
; %bb.2354:
	s_cmp_gt_i32 s6, 28
	s_cbranch_scc0 .LBB135_2361
; %bb.2355:
	s_cmp_gt_i32 s6, 43
	s_cbranch_scc0 .LBB135_2367
; %bb.2356:
	s_cmp_gt_i32 s6, 45
	s_cbranch_scc0 .LBB135_2372
; %bb.2357:
	s_cmp_eq_u32 s6, 46
	s_mov_b32 s15, 0
	s_cbranch_scc0 .LBB135_2375
; %bb.2358:
	global_load_b32 v16, v[22:23], off
	s_mov_b32 s9, 0
	s_mov_b32 s14, -1
	s_wait_loadcnt 0x0
	v_lshlrev_b32_e32 v17, 16, v16
	s_wait_xcnt 0x1
	v_and_b32_e32 v18, 0xffff0000, v16
	s_delay_alu instid0(VALU_DEP_2) | instskip(NEXT) | instid1(VALU_DEP_2)
	v_cvt_f64_f32_e32 v[16:17], v17
	v_cvt_f64_f32_e32 v[18:19], v18
	s_branch .LBB135_2377
.LBB135_2359:
	s_mov_b32 s9, -1
	s_mov_b32 s14, 0
                                        ; implicit-def: $vgpr18_vgpr19
	s_branch .LBB135_2411
.LBB135_2360:
	s_mov_b32 s15, -1
	s_mov_b32 s14, 0
	s_mov_b32 s9, 0
                                        ; implicit-def: $vgpr18_vgpr19
	s_branch .LBB135_2406
.LBB135_2361:
	s_mov_b32 s15, -1
	s_mov_b32 s14, 0
	s_mov_b32 s9, 0
                                        ; implicit-def: $vgpr18_vgpr19
	s_branch .LBB135_2389
.LBB135_2362:
	s_or_b32 s12, s12, exec_lo
	s_trap 2
	s_cbranch_execz .LBB135_2352
	s_branch .LBB135_3357
.LBB135_2363:
	s_mov_b32 s13, -1
	s_mov_b32 s15, exec_lo
	v_cmpx_eq_u16_e32 0x80, v14
; %bb.2364:
	s_xor_b32 s13, exec_lo, -1
; %bb.2365:
	s_or_b32 exec_lo, exec_lo, s15
	s_delay_alu instid0(SALU_CYCLE_1)
	s_and_b32 s13, s13, exec_lo
	s_or_saveexec_b32 s14, s14
	v_mov_b64_e32 v[12:13], 0x7ff8000020000000
	s_xor_b32 exec_lo, exec_lo, s14
	s_cbranch_execz .LBB135_2259
.LBB135_2366:
	v_cmp_ne_u16_e32 vcc_lo, 0, v14
	v_mov_b64_e32 v[12:13], 0
	s_and_not1_b32 s13, s13, exec_lo
	s_and_b32 s15, vcc_lo, exec_lo
	s_delay_alu instid0(SALU_CYCLE_1)
	s_or_b32 s13, s13, s15
	s_or_b32 exec_lo, exec_lo, s14
	s_and_saveexec_b32 s14, s13
	s_cbranch_execnz .LBB135_2260
	s_branch .LBB135_2261
.LBB135_2367:
	s_mov_b32 s15, -1
	s_mov_b32 s14, 0
	s_mov_b32 s9, 0
                                        ; implicit-def: $vgpr18_vgpr19
	s_branch .LBB135_2383
.LBB135_2368:
	v_bfe_u32 v7, v6, 21, 1
	s_mov_b32 s52, exec_lo
	s_delay_alu instid0(VALU_DEP_1) | instskip(NEXT) | instid1(VALU_DEP_1)
	v_add3_u32 v7, v6, v7, 0x88fffff
	v_lshrrev_b32_e32 v7, 21, v7
	s_and_not1_saveexec_b32 s53, s53
	s_cbranch_execz .LBB135_773
.LBB135_2369:
	v_add_f32_e64 v7, 0x42800000, |v6|
	s_and_not1_b32 s52, s52, exec_lo
	s_delay_alu instid0(VALU_DEP_1) | instskip(NEXT) | instid1(VALU_DEP_1)
	v_and_b32_e32 v7, 0xff, v7
	v_cmp_ne_u32_e32 vcc_lo, 0, v7
	s_and_b32 s55, vcc_lo, exec_lo
	s_delay_alu instid0(SALU_CYCLE_1)
	s_or_b32 s52, s52, s55
	s_or_b32 exec_lo, exec_lo, s53
	v_mov_b32_e32 v9, 0
	s_and_saveexec_b32 s53, s52
	s_cbranch_execnz .LBB135_774
	s_branch .LBB135_775
.LBB135_2370:
	v_bfe_u32 v7, v6, 20, 1
	s_mov_b32 s58, exec_lo
	s_delay_alu instid0(VALU_DEP_1) | instskip(NEXT) | instid1(VALU_DEP_1)
	v_add3_u32 v7, v6, v7, 0x487ffff
	v_lshrrev_b32_e32 v7, 20, v7
	s_and_not1_saveexec_b32 s59, s59
	s_cbranch_execz .LBB135_1192
.LBB135_2371:
	v_add_f32_e64 v7, 0x46000000, |v6|
	s_and_not1_b32 s58, s58, exec_lo
	s_delay_alu instid0(VALU_DEP_1) | instskip(NEXT) | instid1(VALU_DEP_1)
	v_and_b32_e32 v7, 0xff, v7
	v_cmp_ne_u32_e32 vcc_lo, 0, v7
	s_and_b32 s60, vcc_lo, exec_lo
	s_delay_alu instid0(SALU_CYCLE_1)
	s_or_b32 s58, s58, s60
	s_or_b32 exec_lo, exec_lo, s59
	v_mov_b32_e32 v9, 0
	s_and_saveexec_b32 s59, s58
	s_cbranch_execnz .LBB135_1193
	s_branch .LBB135_1194
.LBB135_2372:
	s_mov_b32 s15, -1
	s_mov_b32 s14, 0
	s_mov_b32 s9, 0
	s_branch .LBB135_2376
.LBB135_2373:
	v_bfe_u32 v7, v6, 21, 1
	s_mov_b32 s58, exec_lo
	s_delay_alu instid0(VALU_DEP_1) | instskip(NEXT) | instid1(VALU_DEP_1)
	v_add3_u32 v7, v6, v7, 0x88fffff
	v_lshrrev_b32_e32 v7, 21, v7
	s_and_not1_saveexec_b32 s59, s59
	s_cbranch_execz .LBB135_1205
.LBB135_2374:
	v_add_f32_e64 v7, 0x42800000, |v6|
	s_and_not1_b32 s58, s58, exec_lo
	s_delay_alu instid0(VALU_DEP_1) | instskip(NEXT) | instid1(VALU_DEP_1)
	v_and_b32_e32 v7, 0xff, v7
	v_cmp_ne_u32_e32 vcc_lo, 0, v7
	s_and_b32 s60, vcc_lo, exec_lo
	s_delay_alu instid0(SALU_CYCLE_1)
	s_or_b32 s58, s58, s60
	s_or_b32 exec_lo, exec_lo, s59
	v_mov_b32_e32 v9, 0
	s_and_saveexec_b32 s59, s58
	s_cbranch_execnz .LBB135_1206
	s_branch .LBB135_1207
.LBB135_2375:
	s_mov_b32 s9, -1
	s_mov_b32 s14, 0
.LBB135_2376:
                                        ; implicit-def: $vgpr18_vgpr19
.LBB135_2377:
	s_and_b32 vcc_lo, exec_lo, s15
	s_cbranch_vccz .LBB135_2382
; %bb.2378:
	s_cmp_eq_u32 s6, 44
	s_cbranch_scc0 .LBB135_2380
; %bb.2379:
	global_load_u8 v18, v[22:23], off
	s_mov_b32 s9, 0
	s_mov_b32 s14, -1
	s_wait_loadcnt 0x0
	v_cmp_ne_u32_e32 vcc_lo, 0xff, v18
	v_lshlrev_b32_e32 v16, 23, v18
	s_delay_alu instid0(VALU_DEP_1) | instskip(NEXT) | instid1(VALU_DEP_1)
	v_cvt_f64_f32_e32 v[16:17], v16
	v_cndmask_b32_e32 v16, 0x20000000, v16, vcc_lo
	s_delay_alu instid0(VALU_DEP_2) | instskip(SKIP_1) | instid1(VALU_DEP_2)
	v_cndmask_b32_e32 v17, 0x7ff80000, v17, vcc_lo
	v_cmp_ne_u32_e32 vcc_lo, 0, v18
	v_cndmask_b32_e32 v17, 0x38000000, v17, vcc_lo
	s_delay_alu instid0(VALU_DEP_4)
	v_cndmask_b32_e32 v16, 0, v16, vcc_lo
	s_branch .LBB135_2381
.LBB135_2380:
	s_mov_b32 s9, -1
                                        ; implicit-def: $vgpr16_vgpr17
.LBB135_2381:
	s_wait_xcnt 0x0
	v_mov_b64_e32 v[18:19], 0
.LBB135_2382:
	s_mov_b32 s15, 0
.LBB135_2383:
	s_delay_alu instid0(SALU_CYCLE_1)
	s_and_b32 vcc_lo, exec_lo, s15
	s_cbranch_vccz .LBB135_2388
; %bb.2384:
	s_cmp_eq_u32 s6, 29
	s_cbranch_scc0 .LBB135_2386
; %bb.2385:
	global_load_b64 v[16:17], v[22:23], off
	s_mov_b32 s9, 0
	s_mov_b32 s14, -1
	s_wait_loadcnt 0x0
	s_wait_xcnt 0x1
	v_cvt_f64_u32_e32 v[18:19], v17
	v_cvt_f64_u32_e32 v[16:17], v16
	s_delay_alu instid0(VALU_DEP_2) | instskip(NEXT) | instid1(VALU_DEP_1)
	v_ldexp_f64 v[18:19], v[18:19], 32
	v_add_f64_e32 v[16:17], v[18:19], v[16:17]
	s_branch .LBB135_2387
.LBB135_2386:
	s_mov_b32 s9, -1
                                        ; implicit-def: $vgpr16_vgpr17
.LBB135_2387:
	s_wait_xcnt 0x0
	v_mov_b64_e32 v[18:19], 0
.LBB135_2388:
	s_mov_b32 s15, 0
.LBB135_2389:
	s_delay_alu instid0(SALU_CYCLE_1)
	s_and_b32 vcc_lo, exec_lo, s15
	s_cbranch_vccz .LBB135_2405
; %bb.2390:
	s_cmp_lt_i32 s6, 27
	s_cbranch_scc1 .LBB135_2393
; %bb.2391:
	s_cmp_gt_i32 s6, 27
	s_cbranch_scc0 .LBB135_2394
; %bb.2392:
	global_load_b32 v16, v[22:23], off
	s_mov_b32 s14, 0
	s_wait_loadcnt 0x0
	v_cvt_f64_u32_e32 v[16:17], v16
	s_branch .LBB135_2395
.LBB135_2393:
	s_mov_b32 s14, -1
                                        ; implicit-def: $vgpr16_vgpr17
	s_branch .LBB135_2398
.LBB135_2394:
	s_mov_b32 s14, -1
                                        ; implicit-def: $vgpr16_vgpr17
.LBB135_2395:
	s_delay_alu instid0(SALU_CYCLE_1)
	s_and_not1_b32 vcc_lo, exec_lo, s14
	s_cbranch_vccnz .LBB135_2397
; %bb.2396:
	global_load_u16 v16, v[22:23], off
	s_wait_loadcnt 0x0
	v_cvt_f64_u32_e32 v[16:17], v16
.LBB135_2397:
	s_mov_b32 s14, 0
.LBB135_2398:
	s_delay_alu instid0(SALU_CYCLE_1)
	s_and_not1_b32 vcc_lo, exec_lo, s14
	s_cbranch_vccnz .LBB135_2404
; %bb.2399:
	global_load_u8 v18, v[22:23], off
	s_mov_b32 s14, 0
	s_mov_b32 s15, exec_lo
	s_wait_loadcnt 0x0
	v_cmpx_lt_i16_e32 0x7f, v18
	s_xor_b32 s15, exec_lo, s15
	s_cbranch_execnz .LBB135_2430
; %bb.2400:
	s_or_saveexec_b32 s15, s15
	v_mov_b64_e32 v[16:17], 0x7ff8000020000000
	s_xor_b32 exec_lo, exec_lo, s15
	s_cbranch_execnz .LBB135_2433
.LBB135_2401:
	s_or_b32 exec_lo, exec_lo, s15
	s_and_saveexec_b32 s15, s14
	s_cbranch_execz .LBB135_2403
.LBB135_2402:
	v_and_b32_e32 v16, 0xffff, v18
	s_delay_alu instid0(VALU_DEP_1) | instskip(SKIP_1) | instid1(VALU_DEP_2)
	v_and_b32_e32 v17, 7, v16
	v_bfe_u32 v25, v16, 3, 4
	v_clz_i32_u32_e32 v19, v17
	s_delay_alu instid0(VALU_DEP_2) | instskip(NEXT) | instid1(VALU_DEP_2)
	v_cmp_eq_u32_e32 vcc_lo, 0, v25
	v_min_u32_e32 v19, 32, v19
	s_delay_alu instid0(VALU_DEP_1) | instskip(NEXT) | instid1(VALU_DEP_1)
	v_subrev_nc_u32_e32 v21, 28, v19
	v_dual_lshlrev_b32 v16, v21, v16 :: v_dual_sub_nc_u32 v19, 29, v19
	s_delay_alu instid0(VALU_DEP_1) | instskip(NEXT) | instid1(VALU_DEP_2)
	v_dual_lshlrev_b32 v18, 24, v18 :: v_dual_bitop2_b32 v16, 7, v16 bitop3:0x40
	v_cndmask_b32_e32 v19, v25, v19, vcc_lo
	s_delay_alu instid0(VALU_DEP_2) | instskip(NEXT) | instid1(VALU_DEP_3)
	v_cndmask_b32_e32 v16, v17, v16, vcc_lo
	v_and_b32_e32 v17, 0x80000000, v18
	s_delay_alu instid0(VALU_DEP_3) | instskip(NEXT) | instid1(VALU_DEP_3)
	v_lshl_add_u32 v18, v19, 23, 0x3b800000
	v_lshlrev_b32_e32 v16, 20, v16
	s_delay_alu instid0(VALU_DEP_1) | instskip(NEXT) | instid1(VALU_DEP_1)
	v_or3_b32 v16, v17, v18, v16
	v_cvt_f64_f32_e32 v[16:17], v16
.LBB135_2403:
	s_or_b32 exec_lo, exec_lo, s15
.LBB135_2404:
	s_wait_xcnt 0x0
	v_mov_b64_e32 v[18:19], 0
	s_mov_b32 s14, -1
.LBB135_2405:
	s_mov_b32 s15, 0
.LBB135_2406:
	s_delay_alu instid0(SALU_CYCLE_1)
	s_and_b32 vcc_lo, exec_lo, s15
	s_cbranch_vccnz .LBB135_2417
; %bb.2407:
	s_and_b32 vcc_lo, exec_lo, s9
	s_cbranch_vccnz .LBB135_2478
.LBB135_2408:
	s_and_not1_b32 vcc_lo, exec_lo, s13
	s_cbranch_vccnz .LBB135_2410
.LBB135_2409:
	global_load_u8 v16, v[22:23], off
	s_wait_xcnt 0x1
	v_mov_b64_e32 v[18:19], 0
	s_mov_b32 s14, -1
	s_wait_loadcnt 0x0
	v_cmp_ne_u16_e32 vcc_lo, 0, v16
	v_mov_b32_e32 v16, 0
	v_cndmask_b32_e64 v17, 0, 0x3ff00000, vcc_lo
.LBB135_2410:
	s_mov_b32 s9, 0
.LBB135_2411:
	s_delay_alu instid0(SALU_CYCLE_1)
	s_and_b32 vcc_lo, exec_lo, s9
	s_cbranch_vccz .LBB135_2494
; %bb.2412:
	s_cmp_lt_i32 s6, 5
	s_cbranch_scc1 .LBB135_2425
; %bb.2413:
	s_cmp_lt_i32 s6, 8
	s_cbranch_scc1 .LBB135_2426
; %bb.2414:
	s_cmp_lt_i32 s6, 9
	s_cbranch_scc1 .LBB135_2428
; %bb.2415:
	s_cmp_gt_i32 s6, 9
	s_cbranch_scc0 .LBB135_2434
; %bb.2416:
	global_load_b128 v[16:19], v[22:23], off
	s_mov_b32 s9, 0
	s_branch .LBB135_2435
.LBB135_2417:
	s_cmp_gt_i32 s6, 22
	s_cbranch_scc0 .LBB135_2427
; %bb.2418:
	s_cmp_lt_i32 s6, 24
	s_cbranch_scc1 .LBB135_2429
; %bb.2419:
	s_cmp_gt_i32 s6, 24
	s_cbranch_scc0 .LBB135_2446
; %bb.2420:
	global_load_u8 v18, v[22:23], off
	s_mov_b32 s14, exec_lo
	s_wait_loadcnt 0x0
	v_cmpx_lt_i16_e32 0x7f, v18
	s_xor_b32 s14, exec_lo, s14
	s_cbranch_execnz .LBB135_2506
; %bb.2421:
	s_or_saveexec_b32 s14, s14
	v_mov_b64_e32 v[16:17], 0x7ff8000020000000
	s_xor_b32 exec_lo, exec_lo, s14
	s_cbranch_execnz .LBB135_2509
.LBB135_2422:
	s_or_b32 exec_lo, exec_lo, s14
	s_and_saveexec_b32 s14, s13
	s_cbranch_execz .LBB135_2424
.LBB135_2423:
	v_and_b32_e32 v16, 0xffff, v18
	s_delay_alu instid0(VALU_DEP_1) | instskip(SKIP_1) | instid1(VALU_DEP_2)
	v_and_b32_e32 v17, 3, v16
	v_bfe_u32 v25, v16, 2, 5
	v_clz_i32_u32_e32 v19, v17
	s_delay_alu instid0(VALU_DEP_2) | instskip(NEXT) | instid1(VALU_DEP_2)
	v_cmp_eq_u32_e32 vcc_lo, 0, v25
	v_min_u32_e32 v19, 32, v19
	s_delay_alu instid0(VALU_DEP_1) | instskip(NEXT) | instid1(VALU_DEP_1)
	v_subrev_nc_u32_e32 v21, 29, v19
	v_dual_lshlrev_b32 v16, v21, v16 :: v_dual_sub_nc_u32 v19, 30, v19
	s_delay_alu instid0(VALU_DEP_1) | instskip(NEXT) | instid1(VALU_DEP_2)
	v_dual_lshlrev_b32 v18, 24, v18 :: v_dual_bitop2_b32 v16, 3, v16 bitop3:0x40
	v_cndmask_b32_e32 v19, v25, v19, vcc_lo
	s_delay_alu instid0(VALU_DEP_2) | instskip(NEXT) | instid1(VALU_DEP_3)
	v_cndmask_b32_e32 v16, v17, v16, vcc_lo
	v_and_b32_e32 v17, 0x80000000, v18
	s_delay_alu instid0(VALU_DEP_3) | instskip(NEXT) | instid1(VALU_DEP_3)
	v_lshl_add_u32 v18, v19, 23, 0x37800000
	v_lshlrev_b32_e32 v16, 21, v16
	s_delay_alu instid0(VALU_DEP_1) | instskip(NEXT) | instid1(VALU_DEP_1)
	v_or3_b32 v16, v17, v18, v16
	v_cvt_f64_f32_e32 v[16:17], v16
.LBB135_2424:
	s_or_b32 exec_lo, exec_lo, s14
	s_mov_b32 s13, 0
	s_branch .LBB135_2447
.LBB135_2425:
	s_mov_b32 s9, -1
                                        ; implicit-def: $vgpr18_vgpr19
	s_branch .LBB135_2466
.LBB135_2426:
	s_mov_b32 s9, -1
                                        ; implicit-def: $vgpr18_vgpr19
	s_branch .LBB135_2441
.LBB135_2427:
	s_mov_b32 s13, -1
                                        ; implicit-def: $vgpr16_vgpr17
	s_branch .LBB135_2453
.LBB135_2428:
	s_mov_b32 s9, -1
                                        ; implicit-def: $vgpr18_vgpr19
	s_branch .LBB135_2438
.LBB135_2429:
	s_mov_b32 s13, -1
                                        ; implicit-def: $vgpr16_vgpr17
	s_branch .LBB135_2450
.LBB135_2430:
	s_mov_b32 s14, -1
	s_mov_b32 s16, exec_lo
	v_cmpx_eq_u16_e32 0x80, v18
; %bb.2431:
	s_xor_b32 s14, exec_lo, -1
; %bb.2432:
	s_or_b32 exec_lo, exec_lo, s16
	s_delay_alu instid0(SALU_CYCLE_1)
	s_and_b32 s14, s14, exec_lo
	s_or_saveexec_b32 s15, s15
	v_mov_b64_e32 v[16:17], 0x7ff8000020000000
	s_xor_b32 exec_lo, exec_lo, s15
	s_cbranch_execz .LBB135_2401
.LBB135_2433:
	v_cmp_ne_u16_e32 vcc_lo, 0, v18
	v_mov_b64_e32 v[16:17], 0
	s_and_not1_b32 s14, s14, exec_lo
	s_and_b32 s16, vcc_lo, exec_lo
	s_delay_alu instid0(SALU_CYCLE_1)
	s_or_b32 s14, s14, s16
	s_or_b32 exec_lo, exec_lo, s15
	s_and_saveexec_b32 s15, s14
	s_cbranch_execnz .LBB135_2402
	s_branch .LBB135_2403
.LBB135_2434:
	s_mov_b32 s9, -1
                                        ; implicit-def: $vgpr18_vgpr19
.LBB135_2435:
	s_delay_alu instid0(SALU_CYCLE_1)
	s_and_not1_b32 vcc_lo, exec_lo, s9
	s_cbranch_vccnz .LBB135_2437
; %bb.2436:
	s_wait_loadcnt 0x0
	global_load_b64 v[18:19], v[22:23], off
	s_wait_loadcnt 0x0
	v_cvt_f64_f32_e32 v[16:17], v18
	v_cvt_f64_f32_e32 v[18:19], v19
.LBB135_2437:
	s_mov_b32 s9, 0
.LBB135_2438:
	s_delay_alu instid0(SALU_CYCLE_1)
	s_and_not1_b32 vcc_lo, exec_lo, s9
	s_cbranch_vccnz .LBB135_2440
; %bb.2439:
	s_wait_loadcnt 0x0
	global_load_b32 v16, v[22:23], off
	s_wait_loadcnt 0x0
	v_lshrrev_b32_e32 v17, 16, v16
	v_cvt_f32_f16_e32 v16, v16
	s_wait_xcnt 0x1
	s_delay_alu instid0(VALU_DEP_2) | instskip(NEXT) | instid1(VALU_DEP_2)
	v_cvt_f32_f16_e32 v18, v17
	v_cvt_f64_f32_e32 v[16:17], v16
	s_delay_alu instid0(VALU_DEP_2)
	v_cvt_f64_f32_e32 v[18:19], v18
.LBB135_2440:
	s_mov_b32 s9, 0
.LBB135_2441:
	s_delay_alu instid0(SALU_CYCLE_1)
	s_and_not1_b32 vcc_lo, exec_lo, s9
	s_cbranch_vccnz .LBB135_2465
; %bb.2442:
	s_cmp_lt_i32 s6, 6
	s_cbranch_scc1 .LBB135_2445
; %bb.2443:
	s_cmp_gt_i32 s6, 6
	s_cbranch_scc0 .LBB135_2458
; %bb.2444:
	s_wait_loadcnt 0x0
	global_load_b64 v[16:17], v[22:23], off
	s_mov_b32 s9, 0
	s_branch .LBB135_2459
.LBB135_2445:
	s_mov_b32 s9, -1
                                        ; implicit-def: $vgpr16_vgpr17
	s_branch .LBB135_2462
.LBB135_2446:
	s_mov_b32 s13, -1
                                        ; implicit-def: $vgpr16_vgpr17
.LBB135_2447:
	s_delay_alu instid0(SALU_CYCLE_1)
	s_and_b32 vcc_lo, exec_lo, s13
	s_cbranch_vccz .LBB135_2449
; %bb.2448:
	global_load_u8 v16, v[22:23], off
	s_wait_loadcnt 0x0
	v_lshlrev_b32_e32 v16, 24, v16
	s_delay_alu instid0(VALU_DEP_1) | instskip(SKIP_1) | instid1(VALU_DEP_1)
	v_and_b32_e32 v17, 0x7f000000, v16
	s_wait_xcnt 0x1
	v_clz_i32_u32_e32 v18, v17
	v_add_nc_u32_e32 v21, 0x1000000, v17
	v_cmp_ne_u32_e32 vcc_lo, 0, v17
	s_delay_alu instid0(VALU_DEP_3) | instskip(NEXT) | instid1(VALU_DEP_1)
	v_min_u32_e32 v18, 32, v18
	v_sub_nc_u32_e64 v18, v18, 4 clamp
	s_delay_alu instid0(VALU_DEP_1) | instskip(NEXT) | instid1(VALU_DEP_1)
	v_dual_lshlrev_b32 v19, v18, v17 :: v_dual_lshlrev_b32 v18, 23, v18
	v_lshrrev_b32_e32 v19, 4, v19
	s_delay_alu instid0(VALU_DEP_1) | instskip(NEXT) | instid1(VALU_DEP_1)
	v_dual_sub_nc_u32 v18, v19, v18 :: v_dual_ashrrev_i32 v19, 8, v21
	v_add_nc_u32_e32 v18, 0x3c000000, v18
	s_delay_alu instid0(VALU_DEP_1) | instskip(NEXT) | instid1(VALU_DEP_1)
	v_and_or_b32 v18, 0x7f800000, v19, v18
	v_cndmask_b32_e32 v17, 0, v18, vcc_lo
	s_delay_alu instid0(VALU_DEP_1) | instskip(NEXT) | instid1(VALU_DEP_1)
	v_and_or_b32 v16, 0x80000000, v16, v17
	v_cvt_f64_f32_e32 v[16:17], v16
.LBB135_2449:
	s_mov_b32 s13, 0
.LBB135_2450:
	s_delay_alu instid0(SALU_CYCLE_1)
	s_and_not1_b32 vcc_lo, exec_lo, s13
	s_cbranch_vccnz .LBB135_2452
; %bb.2451:
	global_load_u8 v16, v[22:23], off
	s_wait_loadcnt 0x0
	v_lshlrev_b32_e32 v17, 25, v16
	v_lshlrev_b16 v16, 8, v16
	s_wait_xcnt 0x1
	s_delay_alu instid0(VALU_DEP_1) | instskip(SKIP_1) | instid1(VALU_DEP_2)
	v_and_or_b32 v19, 0x7f00, v16, 0.5
	v_bfe_i32 v16, v16, 0, 16
	v_dual_add_f32 v19, -0.5, v19 :: v_dual_lshrrev_b32 v18, 4, v17
	v_cmp_gt_u32_e32 vcc_lo, 0x8000000, v17
	s_delay_alu instid0(VALU_DEP_2) | instskip(NEXT) | instid1(VALU_DEP_1)
	v_or_b32_e32 v18, 0x70000000, v18
	v_mul_f32_e32 v18, 0x7800000, v18
	s_delay_alu instid0(VALU_DEP_1) | instskip(NEXT) | instid1(VALU_DEP_1)
	v_cndmask_b32_e32 v17, v18, v19, vcc_lo
	v_and_or_b32 v16, 0x80000000, v16, v17
	s_delay_alu instid0(VALU_DEP_1)
	v_cvt_f64_f32_e32 v[16:17], v16
.LBB135_2452:
	s_mov_b32 s13, 0
	s_mov_b32 s14, -1
.LBB135_2453:
	s_and_not1_b32 vcc_lo, exec_lo, s13
	s_mov_b32 s13, 0
	s_cbranch_vccnz .LBB135_2477
; %bb.2454:
	s_cmp_gt_i32 s6, 14
	s_cbranch_scc0 .LBB135_2457
; %bb.2455:
	s_cmp_eq_u32 s6, 15
	s_cbranch_scc0 .LBB135_2473
; %bb.2456:
	global_load_u16 v16, v[22:23], off
	s_mov_b32 s9, 0
	s_mov_b32 s14, -1
	s_wait_loadcnt 0x0
	v_lshlrev_b32_e32 v16, 16, v16
	s_delay_alu instid0(VALU_DEP_1)
	v_cvt_f64_f32_e32 v[16:17], v16
	s_branch .LBB135_2475
.LBB135_2457:
	s_mov_b32 s13, -1
	s_branch .LBB135_2474
.LBB135_2458:
	s_mov_b32 s9, -1
                                        ; implicit-def: $vgpr16_vgpr17
.LBB135_2459:
	s_delay_alu instid0(SALU_CYCLE_1)
	s_and_not1_b32 vcc_lo, exec_lo, s9
	s_cbranch_vccnz .LBB135_2461
; %bb.2460:
	s_wait_loadcnt 0x0
	global_load_b32 v16, v[22:23], off
	s_wait_loadcnt 0x0
	v_cvt_f64_f32_e32 v[16:17], v16
.LBB135_2461:
	s_mov_b32 s9, 0
.LBB135_2462:
	s_delay_alu instid0(SALU_CYCLE_1)
	s_and_not1_b32 vcc_lo, exec_lo, s9
	s_cbranch_vccnz .LBB135_2464
; %bb.2463:
	s_wait_loadcnt 0x0
	global_load_u16 v16, v[22:23], off
	s_wait_loadcnt 0x0
	v_cvt_f32_f16_e32 v16, v16
	s_delay_alu instid0(VALU_DEP_1)
	v_cvt_f64_f32_e32 v[16:17], v16
.LBB135_2464:
	s_wait_loadcnt 0x0
	v_mov_b64_e32 v[18:19], 0
.LBB135_2465:
	s_mov_b32 s9, 0
.LBB135_2466:
	s_delay_alu instid0(SALU_CYCLE_1)
	s_and_not1_b32 vcc_lo, exec_lo, s9
	s_cbranch_vccnz .LBB135_2493
; %bb.2467:
	s_cmp_lt_i32 s6, 2
	s_cbranch_scc1 .LBB135_2471
; %bb.2468:
	s_cmp_lt_i32 s6, 3
	s_cbranch_scc1 .LBB135_2472
; %bb.2469:
	s_cmp_gt_i32 s6, 3
	s_cbranch_scc0 .LBB135_2479
; %bb.2470:
	s_wait_loadcnt 0x0
	global_load_b64 v[16:17], v[22:23], off
	s_mov_b32 s9, 0
	s_wait_loadcnt 0x0
	s_wait_xcnt 0x1
	v_cvt_f64_i32_e32 v[18:19], v17
	v_cvt_f64_u32_e32 v[16:17], v16
	s_delay_alu instid0(VALU_DEP_2) | instskip(NEXT) | instid1(VALU_DEP_1)
	v_ldexp_f64 v[18:19], v[18:19], 32
	v_add_f64_e32 v[16:17], v[18:19], v[16:17]
	s_branch .LBB135_2480
.LBB135_2471:
	s_mov_b32 s9, -1
                                        ; implicit-def: $vgpr16_vgpr17
	s_branch .LBB135_2486
.LBB135_2472:
	s_mov_b32 s9, -1
                                        ; implicit-def: $vgpr16_vgpr17
	s_branch .LBB135_2483
.LBB135_2473:
	s_mov_b32 s9, -1
.LBB135_2474:
                                        ; implicit-def: $vgpr16_vgpr17
.LBB135_2475:
	s_and_b32 vcc_lo, exec_lo, s13
	s_mov_b32 s13, 0
	s_cbranch_vccz .LBB135_2477
; %bb.2476:
	s_cmp_lg_u32 s6, 11
	s_mov_b32 s13, -1
	s_cselect_b32 s9, -1, 0
.LBB135_2477:
	s_wait_xcnt 0x0
	v_mov_b64_e32 v[18:19], 0
	s_and_b32 vcc_lo, exec_lo, s9
	s_cbranch_vccz .LBB135_2408
.LBB135_2478:
	s_or_b32 s12, s12, exec_lo
	s_trap 2
	s_cbranch_execz .LBB135_2409
	s_branch .LBB135_2410
.LBB135_2479:
	s_mov_b32 s9, -1
                                        ; implicit-def: $vgpr16_vgpr17
.LBB135_2480:
	s_delay_alu instid0(SALU_CYCLE_1)
	s_and_not1_b32 vcc_lo, exec_lo, s9
	s_cbranch_vccnz .LBB135_2482
; %bb.2481:
	s_wait_loadcnt 0x0
	global_load_b32 v16, v[22:23], off
	s_wait_loadcnt 0x0
	v_cvt_f64_i32_e32 v[16:17], v16
.LBB135_2482:
	s_mov_b32 s9, 0
.LBB135_2483:
	s_delay_alu instid0(SALU_CYCLE_1)
	s_and_not1_b32 vcc_lo, exec_lo, s9
	s_cbranch_vccnz .LBB135_2485
; %bb.2484:
	s_wait_loadcnt 0x0
	global_load_i16 v16, v[22:23], off
	s_wait_loadcnt 0x0
	v_cvt_f64_i32_e32 v[16:17], v16
.LBB135_2485:
	s_mov_b32 s9, 0
.LBB135_2486:
	s_delay_alu instid0(SALU_CYCLE_1)
	s_and_not1_b32 vcc_lo, exec_lo, s9
	s_cbranch_vccnz .LBB135_2492
; %bb.2487:
	s_cmp_gt_i32 s6, 0
	s_mov_b32 s9, 0
	s_cbranch_scc0 .LBB135_2489
; %bb.2488:
	s_wait_loadcnt 0x0
	global_load_i8 v16, v[22:23], off
	s_wait_loadcnt 0x0
	v_cvt_f64_i32_e32 v[16:17], v16
	s_branch .LBB135_2490
.LBB135_2489:
	s_mov_b32 s9, -1
                                        ; implicit-def: $vgpr16_vgpr17
.LBB135_2490:
	s_delay_alu instid0(SALU_CYCLE_1)
	s_and_not1_b32 vcc_lo, exec_lo, s9
	s_cbranch_vccnz .LBB135_2492
; %bb.2491:
	s_wait_loadcnt 0x0
	global_load_u8 v16, v[22:23], off
	s_wait_loadcnt 0x0
	v_cvt_f64_u32_e32 v[16:17], v16
.LBB135_2492:
	s_wait_loadcnt 0x0
	v_mov_b64_e32 v[18:19], 0
.LBB135_2493:
	s_mov_b32 s14, -1
.LBB135_2494:
	s_delay_alu instid0(SALU_CYCLE_1)
	s_and_not1_b32 vcc_lo, exec_lo, s14
	s_cbranch_vccnz .LBB135_3357
; %bb.2495:
	v_mov_b32_e32 v21, 0
	s_cmp_lt_i32 s7, 11
	s_delay_alu instid0(VALU_DEP_1)
	v_add_nc_u64_e32 v[26:27], s[4:5], v[20:21]
	s_cbranch_scc1 .LBB135_2502
; %bb.2496:
	s_cmp_gt_i32 s7, 25
	s_mov_b32 s13, 0
	s_cbranch_scc0 .LBB135_2503
; %bb.2497:
	s_cmp_gt_i32 s7, 28
	s_cbranch_scc0 .LBB135_2504
; %bb.2498:
	s_cmp_gt_i32 s7, 43
	;; [unrolled: 3-line block ×3, first 2 shown]
	s_cbranch_scc0 .LBB135_2510
; %bb.2500:
	s_cmp_eq_u32 s7, 46
	s_mov_b32 s15, 0
	s_cbranch_scc0 .LBB135_2511
; %bb.2501:
	global_load_b32 v20, v[26:27], off
	s_mov_b32 s9, 0
	s_mov_b32 s14, -1
	s_wait_loadcnt 0x0
	v_lshlrev_b32_e32 v21, 16, v20
	s_wait_xcnt 0x1
	v_and_b32_e32 v22, 0xffff0000, v20
	s_delay_alu instid0(VALU_DEP_2) | instskip(NEXT) | instid1(VALU_DEP_2)
	v_cvt_f64_f32_e32 v[20:21], v21
	v_cvt_f64_f32_e32 v[22:23], v22
	s_branch .LBB135_2513
.LBB135_2502:
	s_mov_b32 s9, -1
	s_mov_b32 s14, 0
                                        ; implicit-def: $vgpr22_vgpr23
	s_branch .LBB135_2547
.LBB135_2503:
	s_mov_b32 s15, -1
	s_mov_b32 s14, 0
	s_mov_b32 s9, 0
                                        ; implicit-def: $vgpr22_vgpr23
	s_branch .LBB135_2542
.LBB135_2504:
	s_mov_b32 s15, -1
	s_mov_b32 s14, 0
	s_mov_b32 s9, 0
                                        ; implicit-def: $vgpr22_vgpr23
	s_branch .LBB135_2525
.LBB135_2505:
	s_mov_b32 s15, -1
	s_mov_b32 s14, 0
	s_mov_b32 s9, 0
                                        ; implicit-def: $vgpr22_vgpr23
	s_branch .LBB135_2519
.LBB135_2506:
	s_mov_b32 s13, -1
	s_mov_b32 s15, exec_lo
	v_cmpx_eq_u16_e32 0x80, v18
; %bb.2507:
	s_xor_b32 s13, exec_lo, -1
; %bb.2508:
	s_or_b32 exec_lo, exec_lo, s15
	s_delay_alu instid0(SALU_CYCLE_1)
	s_and_b32 s13, s13, exec_lo
	s_or_saveexec_b32 s14, s14
	v_mov_b64_e32 v[16:17], 0x7ff8000020000000
	s_xor_b32 exec_lo, exec_lo, s14
	s_cbranch_execz .LBB135_2422
.LBB135_2509:
	v_cmp_ne_u16_e32 vcc_lo, 0, v18
	v_mov_b64_e32 v[16:17], 0
	s_and_not1_b32 s13, s13, exec_lo
	s_and_b32 s15, vcc_lo, exec_lo
	s_delay_alu instid0(SALU_CYCLE_1)
	s_or_b32 s13, s13, s15
	s_or_b32 exec_lo, exec_lo, s14
	s_and_saveexec_b32 s14, s13
	s_cbranch_execnz .LBB135_2423
	s_branch .LBB135_2424
.LBB135_2510:
	s_mov_b32 s15, -1
	s_mov_b32 s14, 0
	s_mov_b32 s9, 0
	s_branch .LBB135_2512
.LBB135_2511:
	s_mov_b32 s9, -1
	s_mov_b32 s14, 0
.LBB135_2512:
                                        ; implicit-def: $vgpr22_vgpr23
.LBB135_2513:
	s_and_b32 vcc_lo, exec_lo, s15
	s_cbranch_vccz .LBB135_2518
; %bb.2514:
	s_cmp_eq_u32 s7, 44
	s_cbranch_scc0 .LBB135_2516
; %bb.2515:
	global_load_u8 v22, v[26:27], off
	s_mov_b32 s9, 0
	s_mov_b32 s14, -1
	s_wait_loadcnt 0x0
	v_cmp_ne_u32_e32 vcc_lo, 0xff, v22
	v_lshlrev_b32_e32 v20, 23, v22
	s_delay_alu instid0(VALU_DEP_1) | instskip(NEXT) | instid1(VALU_DEP_1)
	v_cvt_f64_f32_e32 v[20:21], v20
	v_cndmask_b32_e32 v20, 0x20000000, v20, vcc_lo
	s_delay_alu instid0(VALU_DEP_2) | instskip(SKIP_1) | instid1(VALU_DEP_2)
	v_cndmask_b32_e32 v21, 0x7ff80000, v21, vcc_lo
	v_cmp_ne_u32_e32 vcc_lo, 0, v22
	v_cndmask_b32_e32 v21, 0x38000000, v21, vcc_lo
	s_delay_alu instid0(VALU_DEP_4)
	v_cndmask_b32_e32 v20, 0, v20, vcc_lo
	s_branch .LBB135_2517
.LBB135_2516:
	s_mov_b32 s9, -1
                                        ; implicit-def: $vgpr20_vgpr21
.LBB135_2517:
	s_wait_xcnt 0x0
	v_mov_b64_e32 v[22:23], 0
.LBB135_2518:
	s_mov_b32 s15, 0
.LBB135_2519:
	s_delay_alu instid0(SALU_CYCLE_1)
	s_and_b32 vcc_lo, exec_lo, s15
	s_cbranch_vccz .LBB135_2524
; %bb.2520:
	s_cmp_eq_u32 s7, 29
	s_cbranch_scc0 .LBB135_2522
; %bb.2521:
	global_load_b64 v[20:21], v[26:27], off
	s_mov_b32 s9, 0
	s_mov_b32 s14, -1
	s_wait_loadcnt 0x0
	s_wait_xcnt 0x1
	v_cvt_f64_u32_e32 v[22:23], v21
	v_cvt_f64_u32_e32 v[20:21], v20
	s_delay_alu instid0(VALU_DEP_2) | instskip(NEXT) | instid1(VALU_DEP_1)
	v_ldexp_f64 v[22:23], v[22:23], 32
	v_add_f64_e32 v[20:21], v[22:23], v[20:21]
	s_branch .LBB135_2523
.LBB135_2522:
	s_mov_b32 s9, -1
                                        ; implicit-def: $vgpr20_vgpr21
.LBB135_2523:
	s_wait_xcnt 0x0
	v_mov_b64_e32 v[22:23], 0
.LBB135_2524:
	s_mov_b32 s15, 0
.LBB135_2525:
	s_delay_alu instid0(SALU_CYCLE_1)
	s_and_b32 vcc_lo, exec_lo, s15
	s_cbranch_vccz .LBB135_2541
; %bb.2526:
	s_cmp_lt_i32 s7, 27
	s_cbranch_scc1 .LBB135_2529
; %bb.2527:
	s_cmp_gt_i32 s7, 27
	s_cbranch_scc0 .LBB135_2530
; %bb.2528:
	global_load_b32 v20, v[26:27], off
	s_mov_b32 s14, 0
	s_wait_loadcnt 0x0
	v_cvt_f64_u32_e32 v[20:21], v20
	s_branch .LBB135_2531
.LBB135_2529:
	s_mov_b32 s14, -1
                                        ; implicit-def: $vgpr20_vgpr21
	s_branch .LBB135_2534
.LBB135_2530:
	s_mov_b32 s14, -1
                                        ; implicit-def: $vgpr20_vgpr21
.LBB135_2531:
	s_delay_alu instid0(SALU_CYCLE_1)
	s_and_not1_b32 vcc_lo, exec_lo, s14
	s_cbranch_vccnz .LBB135_2533
; %bb.2532:
	global_load_u16 v20, v[26:27], off
	s_wait_loadcnt 0x0
	v_cvt_f64_u32_e32 v[20:21], v20
.LBB135_2533:
	s_mov_b32 s14, 0
.LBB135_2534:
	s_delay_alu instid0(SALU_CYCLE_1)
	s_and_not1_b32 vcc_lo, exec_lo, s14
	s_cbranch_vccnz .LBB135_2540
; %bb.2535:
	global_load_u8 v22, v[26:27], off
	s_mov_b32 s14, 0
	s_mov_b32 s15, exec_lo
	s_wait_loadcnt 0x0
	v_cmpx_lt_i16_e32 0x7f, v22
	s_xor_b32 s15, exec_lo, s15
	s_cbranch_execnz .LBB135_2566
; %bb.2536:
	s_or_saveexec_b32 s15, s15
	v_mov_b64_e32 v[20:21], 0x7ff8000020000000
	s_xor_b32 exec_lo, exec_lo, s15
	s_cbranch_execnz .LBB135_2569
.LBB135_2537:
	s_or_b32 exec_lo, exec_lo, s15
	s_and_saveexec_b32 s15, s14
	s_cbranch_execz .LBB135_2539
.LBB135_2538:
	v_and_b32_e32 v20, 0xffff, v22
	s_delay_alu instid0(VALU_DEP_1) | instskip(SKIP_1) | instid1(VALU_DEP_2)
	v_and_b32_e32 v21, 7, v20
	v_bfe_u32 v29, v20, 3, 4
	v_clz_i32_u32_e32 v23, v21
	s_delay_alu instid0(VALU_DEP_2) | instskip(NEXT) | instid1(VALU_DEP_2)
	v_cmp_eq_u32_e32 vcc_lo, 0, v29
	v_min_u32_e32 v23, 32, v23
	s_delay_alu instid0(VALU_DEP_1) | instskip(NEXT) | instid1(VALU_DEP_1)
	v_subrev_nc_u32_e32 v25, 28, v23
	v_dual_lshlrev_b32 v20, v25, v20 :: v_dual_sub_nc_u32 v23, 29, v23
	s_delay_alu instid0(VALU_DEP_1) | instskip(NEXT) | instid1(VALU_DEP_2)
	v_dual_lshlrev_b32 v22, 24, v22 :: v_dual_bitop2_b32 v20, 7, v20 bitop3:0x40
	v_cndmask_b32_e32 v23, v29, v23, vcc_lo
	s_delay_alu instid0(VALU_DEP_2) | instskip(NEXT) | instid1(VALU_DEP_3)
	v_cndmask_b32_e32 v20, v21, v20, vcc_lo
	v_and_b32_e32 v21, 0x80000000, v22
	s_delay_alu instid0(VALU_DEP_3) | instskip(NEXT) | instid1(VALU_DEP_3)
	v_lshl_add_u32 v22, v23, 23, 0x3b800000
	v_lshlrev_b32_e32 v20, 20, v20
	s_delay_alu instid0(VALU_DEP_1) | instskip(NEXT) | instid1(VALU_DEP_1)
	v_or3_b32 v20, v21, v22, v20
	v_cvt_f64_f32_e32 v[20:21], v20
.LBB135_2539:
	s_or_b32 exec_lo, exec_lo, s15
.LBB135_2540:
	s_wait_xcnt 0x0
	v_mov_b64_e32 v[22:23], 0
	s_mov_b32 s14, -1
.LBB135_2541:
	s_mov_b32 s15, 0
.LBB135_2542:
	s_delay_alu instid0(SALU_CYCLE_1)
	s_and_b32 vcc_lo, exec_lo, s15
	s_cbranch_vccnz .LBB135_2553
; %bb.2543:
	s_and_b32 vcc_lo, exec_lo, s9
	s_cbranch_vccnz .LBB135_2614
.LBB135_2544:
	s_and_not1_b32 vcc_lo, exec_lo, s13
	s_cbranch_vccnz .LBB135_2546
.LBB135_2545:
	global_load_u8 v20, v[26:27], off
	s_wait_xcnt 0x1
	v_mov_b64_e32 v[22:23], 0
	s_mov_b32 s14, -1
	s_wait_loadcnt 0x0
	v_cmp_ne_u16_e32 vcc_lo, 0, v20
	v_mov_b32_e32 v20, 0
	v_cndmask_b32_e64 v21, 0, 0x3ff00000, vcc_lo
.LBB135_2546:
	s_mov_b32 s9, 0
.LBB135_2547:
	s_delay_alu instid0(SALU_CYCLE_1)
	s_and_b32 vcc_lo, exec_lo, s9
	s_cbranch_vccz .LBB135_2630
; %bb.2548:
	s_cmp_lt_i32 s7, 5
	s_cbranch_scc1 .LBB135_2561
; %bb.2549:
	s_cmp_lt_i32 s7, 8
	s_cbranch_scc1 .LBB135_2562
	;; [unrolled: 3-line block ×3, first 2 shown]
; %bb.2551:
	s_cmp_gt_i32 s7, 9
	s_cbranch_scc0 .LBB135_2570
; %bb.2552:
	global_load_b128 v[20:23], v[26:27], off
	s_mov_b32 s9, 0
	s_branch .LBB135_2571
.LBB135_2553:
	s_cmp_gt_i32 s7, 22
	s_cbranch_scc0 .LBB135_2563
; %bb.2554:
	s_cmp_lt_i32 s7, 24
	s_cbranch_scc1 .LBB135_2565
; %bb.2555:
	s_cmp_gt_i32 s7, 24
	s_cbranch_scc0 .LBB135_2582
; %bb.2556:
	global_load_u8 v22, v[26:27], off
	s_mov_b32 s14, exec_lo
	s_wait_loadcnt 0x0
	v_cmpx_lt_i16_e32 0x7f, v22
	s_xor_b32 s14, exec_lo, s14
	s_cbranch_execnz .LBB135_2662
; %bb.2557:
	s_or_saveexec_b32 s14, s14
	v_mov_b64_e32 v[20:21], 0x7ff8000020000000
	s_xor_b32 exec_lo, exec_lo, s14
	s_cbranch_execnz .LBB135_2665
.LBB135_2558:
	s_or_b32 exec_lo, exec_lo, s14
	s_and_saveexec_b32 s14, s13
	s_cbranch_execz .LBB135_2560
.LBB135_2559:
	v_and_b32_e32 v20, 0xffff, v22
	s_delay_alu instid0(VALU_DEP_1) | instskip(SKIP_1) | instid1(VALU_DEP_2)
	v_and_b32_e32 v21, 3, v20
	v_bfe_u32 v29, v20, 2, 5
	v_clz_i32_u32_e32 v23, v21
	s_delay_alu instid0(VALU_DEP_2) | instskip(NEXT) | instid1(VALU_DEP_2)
	v_cmp_eq_u32_e32 vcc_lo, 0, v29
	v_min_u32_e32 v23, 32, v23
	s_delay_alu instid0(VALU_DEP_1) | instskip(NEXT) | instid1(VALU_DEP_1)
	v_subrev_nc_u32_e32 v25, 29, v23
	v_dual_lshlrev_b32 v20, v25, v20 :: v_dual_sub_nc_u32 v23, 30, v23
	s_delay_alu instid0(VALU_DEP_1) | instskip(NEXT) | instid1(VALU_DEP_2)
	v_dual_lshlrev_b32 v22, 24, v22 :: v_dual_bitop2_b32 v20, 3, v20 bitop3:0x40
	v_cndmask_b32_e32 v23, v29, v23, vcc_lo
	s_delay_alu instid0(VALU_DEP_2) | instskip(NEXT) | instid1(VALU_DEP_3)
	v_cndmask_b32_e32 v20, v21, v20, vcc_lo
	v_and_b32_e32 v21, 0x80000000, v22
	s_delay_alu instid0(VALU_DEP_3) | instskip(NEXT) | instid1(VALU_DEP_3)
	v_lshl_add_u32 v22, v23, 23, 0x37800000
	v_lshlrev_b32_e32 v20, 21, v20
	s_delay_alu instid0(VALU_DEP_1) | instskip(NEXT) | instid1(VALU_DEP_1)
	v_or3_b32 v20, v21, v22, v20
	v_cvt_f64_f32_e32 v[20:21], v20
.LBB135_2560:
	s_or_b32 exec_lo, exec_lo, s14
	s_mov_b32 s13, 0
	s_branch .LBB135_2583
.LBB135_2561:
	s_mov_b32 s9, -1
                                        ; implicit-def: $vgpr22_vgpr23
	s_branch .LBB135_2602
.LBB135_2562:
	s_mov_b32 s9, -1
                                        ; implicit-def: $vgpr22_vgpr23
	s_branch .LBB135_2577
.LBB135_2563:
	s_mov_b32 s13, -1
                                        ; implicit-def: $vgpr20_vgpr21
	s_branch .LBB135_2589
.LBB135_2564:
	s_mov_b32 s9, -1
                                        ; implicit-def: $vgpr22_vgpr23
	s_branch .LBB135_2574
.LBB135_2565:
	s_mov_b32 s13, -1
                                        ; implicit-def: $vgpr20_vgpr21
	s_branch .LBB135_2586
.LBB135_2566:
	s_mov_b32 s14, -1
	s_mov_b32 s16, exec_lo
	v_cmpx_eq_u16_e32 0x80, v22
; %bb.2567:
	s_xor_b32 s14, exec_lo, -1
; %bb.2568:
	s_or_b32 exec_lo, exec_lo, s16
	s_delay_alu instid0(SALU_CYCLE_1)
	s_and_b32 s14, s14, exec_lo
	s_or_saveexec_b32 s15, s15
	v_mov_b64_e32 v[20:21], 0x7ff8000020000000
	s_xor_b32 exec_lo, exec_lo, s15
	s_cbranch_execz .LBB135_2537
.LBB135_2569:
	v_cmp_ne_u16_e32 vcc_lo, 0, v22
	v_mov_b64_e32 v[20:21], 0
	s_and_not1_b32 s14, s14, exec_lo
	s_and_b32 s16, vcc_lo, exec_lo
	s_delay_alu instid0(SALU_CYCLE_1)
	s_or_b32 s14, s14, s16
	s_or_b32 exec_lo, exec_lo, s15
	s_and_saveexec_b32 s15, s14
	s_cbranch_execnz .LBB135_2538
	s_branch .LBB135_2539
.LBB135_2570:
	s_mov_b32 s9, -1
                                        ; implicit-def: $vgpr22_vgpr23
.LBB135_2571:
	s_delay_alu instid0(SALU_CYCLE_1)
	s_and_not1_b32 vcc_lo, exec_lo, s9
	s_cbranch_vccnz .LBB135_2573
; %bb.2572:
	s_wait_loadcnt 0x0
	global_load_b64 v[22:23], v[26:27], off
	s_wait_loadcnt 0x0
	v_cvt_f64_f32_e32 v[20:21], v22
	v_cvt_f64_f32_e32 v[22:23], v23
.LBB135_2573:
	s_mov_b32 s9, 0
.LBB135_2574:
	s_delay_alu instid0(SALU_CYCLE_1)
	s_and_not1_b32 vcc_lo, exec_lo, s9
	s_cbranch_vccnz .LBB135_2576
; %bb.2575:
	s_wait_loadcnt 0x0
	global_load_b32 v20, v[26:27], off
	s_wait_loadcnt 0x0
	v_lshrrev_b32_e32 v21, 16, v20
	v_cvt_f32_f16_e32 v20, v20
	s_wait_xcnt 0x1
	s_delay_alu instid0(VALU_DEP_2) | instskip(NEXT) | instid1(VALU_DEP_2)
	v_cvt_f32_f16_e32 v22, v21
	v_cvt_f64_f32_e32 v[20:21], v20
	s_delay_alu instid0(VALU_DEP_2)
	v_cvt_f64_f32_e32 v[22:23], v22
.LBB135_2576:
	s_mov_b32 s9, 0
.LBB135_2577:
	s_delay_alu instid0(SALU_CYCLE_1)
	s_and_not1_b32 vcc_lo, exec_lo, s9
	s_cbranch_vccnz .LBB135_2601
; %bb.2578:
	s_cmp_lt_i32 s7, 6
	s_cbranch_scc1 .LBB135_2581
; %bb.2579:
	s_cmp_gt_i32 s7, 6
	s_cbranch_scc0 .LBB135_2594
; %bb.2580:
	s_wait_loadcnt 0x0
	global_load_b64 v[20:21], v[26:27], off
	s_mov_b32 s9, 0
	s_branch .LBB135_2595
.LBB135_2581:
	s_mov_b32 s9, -1
                                        ; implicit-def: $vgpr20_vgpr21
	s_branch .LBB135_2598
.LBB135_2582:
	s_mov_b32 s13, -1
                                        ; implicit-def: $vgpr20_vgpr21
.LBB135_2583:
	s_delay_alu instid0(SALU_CYCLE_1)
	s_and_b32 vcc_lo, exec_lo, s13
	s_cbranch_vccz .LBB135_2585
; %bb.2584:
	global_load_u8 v20, v[26:27], off
	s_wait_loadcnt 0x0
	v_lshlrev_b32_e32 v20, 24, v20
	s_delay_alu instid0(VALU_DEP_1) | instskip(SKIP_1) | instid1(VALU_DEP_1)
	v_and_b32_e32 v21, 0x7f000000, v20
	s_wait_xcnt 0x1
	v_clz_i32_u32_e32 v22, v21
	v_add_nc_u32_e32 v25, 0x1000000, v21
	v_cmp_ne_u32_e32 vcc_lo, 0, v21
	s_delay_alu instid0(VALU_DEP_3) | instskip(NEXT) | instid1(VALU_DEP_1)
	v_min_u32_e32 v22, 32, v22
	v_sub_nc_u32_e64 v22, v22, 4 clamp
	s_delay_alu instid0(VALU_DEP_1) | instskip(NEXT) | instid1(VALU_DEP_1)
	v_dual_lshlrev_b32 v23, v22, v21 :: v_dual_lshlrev_b32 v22, 23, v22
	v_lshrrev_b32_e32 v23, 4, v23
	s_delay_alu instid0(VALU_DEP_1) | instskip(NEXT) | instid1(VALU_DEP_1)
	v_dual_sub_nc_u32 v22, v23, v22 :: v_dual_ashrrev_i32 v23, 8, v25
	v_add_nc_u32_e32 v22, 0x3c000000, v22
	s_delay_alu instid0(VALU_DEP_1) | instskip(NEXT) | instid1(VALU_DEP_1)
	v_and_or_b32 v22, 0x7f800000, v23, v22
	v_cndmask_b32_e32 v21, 0, v22, vcc_lo
	s_delay_alu instid0(VALU_DEP_1) | instskip(NEXT) | instid1(VALU_DEP_1)
	v_and_or_b32 v20, 0x80000000, v20, v21
	v_cvt_f64_f32_e32 v[20:21], v20
.LBB135_2585:
	s_mov_b32 s13, 0
.LBB135_2586:
	s_delay_alu instid0(SALU_CYCLE_1)
	s_and_not1_b32 vcc_lo, exec_lo, s13
	s_cbranch_vccnz .LBB135_2588
; %bb.2587:
	global_load_u8 v20, v[26:27], off
	s_wait_loadcnt 0x0
	v_lshlrev_b32_e32 v21, 25, v20
	v_lshlrev_b16 v20, 8, v20
	s_wait_xcnt 0x1
	s_delay_alu instid0(VALU_DEP_1) | instskip(SKIP_1) | instid1(VALU_DEP_2)
	v_and_or_b32 v23, 0x7f00, v20, 0.5
	v_bfe_i32 v20, v20, 0, 16
	v_dual_add_f32 v23, -0.5, v23 :: v_dual_lshrrev_b32 v22, 4, v21
	v_cmp_gt_u32_e32 vcc_lo, 0x8000000, v21
	s_delay_alu instid0(VALU_DEP_2) | instskip(NEXT) | instid1(VALU_DEP_1)
	v_or_b32_e32 v22, 0x70000000, v22
	v_mul_f32_e32 v22, 0x7800000, v22
	s_delay_alu instid0(VALU_DEP_1) | instskip(NEXT) | instid1(VALU_DEP_1)
	v_cndmask_b32_e32 v21, v22, v23, vcc_lo
	v_and_or_b32 v20, 0x80000000, v20, v21
	s_delay_alu instid0(VALU_DEP_1)
	v_cvt_f64_f32_e32 v[20:21], v20
.LBB135_2588:
	s_mov_b32 s13, 0
	s_mov_b32 s14, -1
.LBB135_2589:
	s_and_not1_b32 vcc_lo, exec_lo, s13
	s_mov_b32 s13, 0
	s_cbranch_vccnz .LBB135_2613
; %bb.2590:
	s_cmp_gt_i32 s7, 14
	s_cbranch_scc0 .LBB135_2593
; %bb.2591:
	s_cmp_eq_u32 s7, 15
	s_cbranch_scc0 .LBB135_2609
; %bb.2592:
	global_load_u16 v20, v[26:27], off
	s_mov_b32 s9, 0
	s_mov_b32 s14, -1
	s_wait_loadcnt 0x0
	v_lshlrev_b32_e32 v20, 16, v20
	s_delay_alu instid0(VALU_DEP_1)
	v_cvt_f64_f32_e32 v[20:21], v20
	s_branch .LBB135_2611
.LBB135_2593:
	s_mov_b32 s13, -1
	s_branch .LBB135_2610
.LBB135_2594:
	s_mov_b32 s9, -1
                                        ; implicit-def: $vgpr20_vgpr21
.LBB135_2595:
	s_delay_alu instid0(SALU_CYCLE_1)
	s_and_not1_b32 vcc_lo, exec_lo, s9
	s_cbranch_vccnz .LBB135_2597
; %bb.2596:
	s_wait_loadcnt 0x0
	global_load_b32 v20, v[26:27], off
	s_wait_loadcnt 0x0
	v_cvt_f64_f32_e32 v[20:21], v20
.LBB135_2597:
	s_mov_b32 s9, 0
.LBB135_2598:
	s_delay_alu instid0(SALU_CYCLE_1)
	s_and_not1_b32 vcc_lo, exec_lo, s9
	s_cbranch_vccnz .LBB135_2600
; %bb.2599:
	s_wait_loadcnt 0x0
	global_load_u16 v20, v[26:27], off
	s_wait_loadcnt 0x0
	v_cvt_f32_f16_e32 v20, v20
	s_delay_alu instid0(VALU_DEP_1)
	v_cvt_f64_f32_e32 v[20:21], v20
.LBB135_2600:
	s_wait_loadcnt 0x0
	v_mov_b64_e32 v[22:23], 0
.LBB135_2601:
	s_mov_b32 s9, 0
.LBB135_2602:
	s_delay_alu instid0(SALU_CYCLE_1)
	s_and_not1_b32 vcc_lo, exec_lo, s9
	s_cbranch_vccnz .LBB135_2629
; %bb.2603:
	s_cmp_lt_i32 s7, 2
	s_cbranch_scc1 .LBB135_2607
; %bb.2604:
	s_cmp_lt_i32 s7, 3
	s_cbranch_scc1 .LBB135_2608
; %bb.2605:
	s_cmp_gt_i32 s7, 3
	s_cbranch_scc0 .LBB135_2615
; %bb.2606:
	s_wait_loadcnt 0x0
	global_load_b64 v[20:21], v[26:27], off
	s_mov_b32 s9, 0
	s_wait_loadcnt 0x0
	s_wait_xcnt 0x1
	v_cvt_f64_i32_e32 v[22:23], v21
	v_cvt_f64_u32_e32 v[20:21], v20
	s_delay_alu instid0(VALU_DEP_2) | instskip(NEXT) | instid1(VALU_DEP_1)
	v_ldexp_f64 v[22:23], v[22:23], 32
	v_add_f64_e32 v[20:21], v[22:23], v[20:21]
	s_branch .LBB135_2616
.LBB135_2607:
	s_mov_b32 s9, -1
                                        ; implicit-def: $vgpr20_vgpr21
	s_branch .LBB135_2622
.LBB135_2608:
	s_mov_b32 s9, -1
                                        ; implicit-def: $vgpr20_vgpr21
	s_branch .LBB135_2619
.LBB135_2609:
	s_mov_b32 s9, -1
.LBB135_2610:
                                        ; implicit-def: $vgpr20_vgpr21
.LBB135_2611:
	s_and_b32 vcc_lo, exec_lo, s13
	s_mov_b32 s13, 0
	s_cbranch_vccz .LBB135_2613
; %bb.2612:
	s_cmp_lg_u32 s7, 11
	s_mov_b32 s13, -1
	s_cselect_b32 s9, -1, 0
.LBB135_2613:
	s_wait_xcnt 0x0
	v_mov_b64_e32 v[22:23], 0
	s_and_b32 vcc_lo, exec_lo, s9
	s_cbranch_vccz .LBB135_2544
.LBB135_2614:
	s_or_b32 s12, s12, exec_lo
	s_trap 2
	s_cbranch_execz .LBB135_2545
	s_branch .LBB135_2546
.LBB135_2615:
	s_mov_b32 s9, -1
                                        ; implicit-def: $vgpr20_vgpr21
.LBB135_2616:
	s_delay_alu instid0(SALU_CYCLE_1)
	s_and_not1_b32 vcc_lo, exec_lo, s9
	s_cbranch_vccnz .LBB135_2618
; %bb.2617:
	s_wait_loadcnt 0x0
	global_load_b32 v20, v[26:27], off
	s_wait_loadcnt 0x0
	v_cvt_f64_i32_e32 v[20:21], v20
.LBB135_2618:
	s_mov_b32 s9, 0
.LBB135_2619:
	s_delay_alu instid0(SALU_CYCLE_1)
	s_and_not1_b32 vcc_lo, exec_lo, s9
	s_cbranch_vccnz .LBB135_2621
; %bb.2620:
	s_wait_loadcnt 0x0
	global_load_i16 v20, v[26:27], off
	s_wait_loadcnt 0x0
	v_cvt_f64_i32_e32 v[20:21], v20
.LBB135_2621:
	s_mov_b32 s9, 0
.LBB135_2622:
	s_delay_alu instid0(SALU_CYCLE_1)
	s_and_not1_b32 vcc_lo, exec_lo, s9
	s_cbranch_vccnz .LBB135_2628
; %bb.2623:
	s_cmp_gt_i32 s7, 0
	s_mov_b32 s9, 0
	s_cbranch_scc0 .LBB135_2625
; %bb.2624:
	s_wait_loadcnt 0x0
	global_load_i8 v20, v[26:27], off
	s_wait_loadcnt 0x0
	v_cvt_f64_i32_e32 v[20:21], v20
	s_branch .LBB135_2626
.LBB135_2625:
	s_mov_b32 s9, -1
                                        ; implicit-def: $vgpr20_vgpr21
.LBB135_2626:
	s_delay_alu instid0(SALU_CYCLE_1)
	s_and_not1_b32 vcc_lo, exec_lo, s9
	s_cbranch_vccnz .LBB135_2628
; %bb.2627:
	s_wait_loadcnt 0x0
	global_load_u8 v20, v[26:27], off
	s_wait_loadcnt 0x0
	v_cvt_f64_u32_e32 v[20:21], v20
.LBB135_2628:
	s_wait_loadcnt 0x0
	v_mov_b64_e32 v[22:23], 0
.LBB135_2629:
	s_mov_b32 s14, -1
.LBB135_2630:
	s_delay_alu instid0(SALU_CYCLE_1)
	s_and_not1_b32 vcc_lo, exec_lo, s14
	s_cbranch_vccnz .LBB135_3357
; %bb.2631:
	s_cmp_lt_i32 s8, 23
	s_cbranch_scc1 .LBB135_2635
; %bb.2632:
	s_cmp_gt_i32 s8, 43
	s_cbranch_scc0 .LBB135_2636
; %bb.2633:
	s_cmp_gt_i32 s8, 45
	s_cbranch_scc0 .LBB135_2637
; %bb.2634:
	s_cmp_lg_u32 s8, 46
	s_mov_b32 s14, 0
	s_mov_b32 s9, -1
	s_cselect_b32 s13, -1, 0
	s_branch .LBB135_2638
.LBB135_2635:
	s_mov_b32 s14, -1
	s_mov_b32 s9, 0
	s_mov_b32 s13, 0
	s_branch .LBB135_2644
.LBB135_2636:
	s_mov_b32 s14, -1
	s_mov_b32 s9, 0
	s_mov_b32 s13, 0
	s_branch .LBB135_2641
.LBB135_2637:
	s_mov_b32 s14, -1
	s_mov_b32 s9, 0
	s_mov_b32 s13, 0
.LBB135_2638:
	s_and_not1_b32 vcc_lo, exec_lo, s14
	s_cbranch_vccnz .LBB135_2640
; %bb.2639:
	s_cmp_eq_u32 s8, 44
	s_cselect_b32 s9, -1, 0
	s_cmp_lg_u32 s8, 44
	s_cselect_b32 s13, -1, 0
.LBB135_2640:
	s_mov_b32 s14, 0
.LBB135_2641:
	s_delay_alu instid0(SALU_CYCLE_1)
	s_and_b32 vcc_lo, exec_lo, s14
	s_cbranch_vccz .LBB135_2643
; %bb.2642:
	s_cmp_lt_i32 s8, 30
	s_cselect_b32 s9, -1, 0
	s_cmp_gt_i32 s8, 29
	s_cselect_b32 s13, -1, 0
.LBB135_2643:
	s_mov_b32 s14, 0
.LBB135_2644:
	s_delay_alu instid0(SALU_CYCLE_1)
	s_and_b32 vcc_lo, exec_lo, s14
	s_cbranch_vccz .LBB135_2649
; %bb.2645:
	s_cmp_gt_i32 s8, 14
	s_mov_b32 s14, -1
	s_cbranch_scc0 .LBB135_2647
; %bb.2646:
	s_cmp_eq_u32 s8, 15
	s_mov_b32 s14, 0
	s_cselect_b32 s9, -1, 0
	s_cmp_lg_u32 s8, 15
	s_cselect_b32 s13, -1, 0
.LBB135_2647:
	s_and_not1_b32 vcc_lo, exec_lo, s14
	s_cbranch_vccnz .LBB135_2649
; %bb.2648:
	s_cmp_lt_i32 s8, 12
	s_cselect_b32 s9, -1, 0
	s_cmp_gt_i32 s8, 11
	s_cselect_b32 s13, -1, 0
.LBB135_2649:
	s_delay_alu instid0(SALU_CYCLE_1)
	s_and_b32 vcc_lo, exec_lo, s13
	s_cbranch_vccnz .LBB135_2661
; %bb.2650:
	s_and_not1_b32 vcc_lo, exec_lo, s9
	s_cbranch_vccnz .LBB135_3357
.LBB135_2651:
	v_mov_b32_e32 v25, 0
	s_cmp_lt_i32 s6, 11
	s_delay_alu instid0(VALU_DEP_1)
	v_add_nc_u64_e32 v[30:31], s[0:1], v[24:25]
	s_cbranch_scc1 .LBB135_2658
; %bb.2652:
	s_cmp_gt_i32 s6, 25
	s_mov_b32 s1, 0
	s_cbranch_scc0 .LBB135_2659
; %bb.2653:
	s_cmp_gt_i32 s6, 28
	s_cbranch_scc0 .LBB135_2660
; %bb.2654:
	s_cmp_gt_i32 s6, 43
	;; [unrolled: 3-line block ×3, first 2 shown]
	s_cbranch_scc0 .LBB135_2667
; %bb.2656:
	s_cmp_eq_u32 s6, 46
	s_mov_b32 s9, 0
	s_cbranch_scc0 .LBB135_2668
; %bb.2657:
	global_load_b32 v24, v[30:31], off
	s_mov_b32 s0, 0
	s_mov_b32 s8, -1
	s_wait_loadcnt 0x0
	v_lshlrev_b32_e32 v25, 16, v24
	s_wait_xcnt 0x1
	v_and_b32_e32 v26, 0xffff0000, v24
	s_delay_alu instid0(VALU_DEP_2) | instskip(NEXT) | instid1(VALU_DEP_2)
	v_cvt_f64_f32_e32 v[24:25], v25
	v_cvt_f64_f32_e32 v[26:27], v26
	s_branch .LBB135_2670
.LBB135_2658:
	s_mov_b32 s0, -1
	s_mov_b32 s8, 0
                                        ; implicit-def: $vgpr26_vgpr27
	s_branch .LBB135_2704
.LBB135_2659:
	s_mov_b32 s9, -1
	s_mov_b32 s8, 0
	s_mov_b32 s0, 0
                                        ; implicit-def: $vgpr26_vgpr27
	s_branch .LBB135_2699
.LBB135_2660:
	s_mov_b32 s9, -1
	s_mov_b32 s8, 0
	s_mov_b32 s0, 0
                                        ; implicit-def: $vgpr26_vgpr27
	s_branch .LBB135_2682
.LBB135_2661:
	s_or_b32 s12, s12, exec_lo
	s_trap 2
	s_cbranch_execz .LBB135_2651
	s_branch .LBB135_3357
.LBB135_2662:
	s_mov_b32 s13, -1
	s_mov_b32 s15, exec_lo
	v_cmpx_eq_u16_e32 0x80, v22
; %bb.2663:
	s_xor_b32 s13, exec_lo, -1
; %bb.2664:
	s_or_b32 exec_lo, exec_lo, s15
	s_delay_alu instid0(SALU_CYCLE_1)
	s_and_b32 s13, s13, exec_lo
	s_or_saveexec_b32 s14, s14
	v_mov_b64_e32 v[20:21], 0x7ff8000020000000
	s_xor_b32 exec_lo, exec_lo, s14
	s_cbranch_execz .LBB135_2558
.LBB135_2665:
	v_cmp_ne_u16_e32 vcc_lo, 0, v22
	v_mov_b64_e32 v[20:21], 0
	s_and_not1_b32 s13, s13, exec_lo
	s_and_b32 s15, vcc_lo, exec_lo
	s_delay_alu instid0(SALU_CYCLE_1)
	s_or_b32 s13, s13, s15
	s_or_b32 exec_lo, exec_lo, s14
	s_and_saveexec_b32 s14, s13
	s_cbranch_execnz .LBB135_2559
	s_branch .LBB135_2560
.LBB135_2666:
	s_mov_b32 s9, -1
	s_mov_b32 s8, 0
	s_mov_b32 s0, 0
                                        ; implicit-def: $vgpr26_vgpr27
	s_branch .LBB135_2676
.LBB135_2667:
	s_mov_b32 s9, -1
	s_mov_b32 s8, 0
	s_mov_b32 s0, 0
	s_branch .LBB135_2669
.LBB135_2668:
	s_mov_b32 s0, -1
	s_mov_b32 s8, 0
.LBB135_2669:
                                        ; implicit-def: $vgpr26_vgpr27
.LBB135_2670:
	s_and_b32 vcc_lo, exec_lo, s9
	s_cbranch_vccz .LBB135_2675
; %bb.2671:
	s_cmp_eq_u32 s6, 44
	s_cbranch_scc0 .LBB135_2673
; %bb.2672:
	global_load_u8 v26, v[30:31], off
	s_mov_b32 s0, 0
	s_mov_b32 s8, -1
	s_wait_loadcnt 0x0
	v_cmp_ne_u32_e32 vcc_lo, 0xff, v26
	v_lshlrev_b32_e32 v24, 23, v26
	s_delay_alu instid0(VALU_DEP_1) | instskip(NEXT) | instid1(VALU_DEP_1)
	v_cvt_f64_f32_e32 v[24:25], v24
	v_cndmask_b32_e32 v24, 0x20000000, v24, vcc_lo
	s_delay_alu instid0(VALU_DEP_2) | instskip(SKIP_1) | instid1(VALU_DEP_2)
	v_cndmask_b32_e32 v25, 0x7ff80000, v25, vcc_lo
	v_cmp_ne_u32_e32 vcc_lo, 0, v26
	v_cndmask_b32_e32 v25, 0x38000000, v25, vcc_lo
	s_delay_alu instid0(VALU_DEP_4)
	v_cndmask_b32_e32 v24, 0, v24, vcc_lo
	s_branch .LBB135_2674
.LBB135_2673:
	s_mov_b32 s0, -1
                                        ; implicit-def: $vgpr24_vgpr25
.LBB135_2674:
	s_wait_xcnt 0x0
	v_mov_b64_e32 v[26:27], 0
.LBB135_2675:
	s_mov_b32 s9, 0
.LBB135_2676:
	s_delay_alu instid0(SALU_CYCLE_1)
	s_and_b32 vcc_lo, exec_lo, s9
	s_cbranch_vccz .LBB135_2681
; %bb.2677:
	s_cmp_eq_u32 s6, 29
	s_cbranch_scc0 .LBB135_2679
; %bb.2678:
	global_load_b64 v[24:25], v[30:31], off
	s_mov_b32 s0, 0
	s_mov_b32 s8, -1
	s_wait_loadcnt 0x0
	s_wait_xcnt 0x1
	v_cvt_f64_u32_e32 v[26:27], v25
	v_cvt_f64_u32_e32 v[24:25], v24
	s_delay_alu instid0(VALU_DEP_2) | instskip(NEXT) | instid1(VALU_DEP_1)
	v_ldexp_f64 v[26:27], v[26:27], 32
	v_add_f64_e32 v[24:25], v[26:27], v[24:25]
	s_branch .LBB135_2680
.LBB135_2679:
	s_mov_b32 s0, -1
                                        ; implicit-def: $vgpr24_vgpr25
.LBB135_2680:
	s_wait_xcnt 0x0
	v_mov_b64_e32 v[26:27], 0
.LBB135_2681:
	s_mov_b32 s9, 0
.LBB135_2682:
	s_delay_alu instid0(SALU_CYCLE_1)
	s_and_b32 vcc_lo, exec_lo, s9
	s_cbranch_vccz .LBB135_2698
; %bb.2683:
	s_cmp_lt_i32 s6, 27
	s_cbranch_scc1 .LBB135_2686
; %bb.2684:
	s_cmp_gt_i32 s6, 27
	s_cbranch_scc0 .LBB135_2687
; %bb.2685:
	global_load_b32 v24, v[30:31], off
	s_mov_b32 s8, 0
	s_wait_loadcnt 0x0
	v_cvt_f64_u32_e32 v[24:25], v24
	s_branch .LBB135_2688
.LBB135_2686:
	s_mov_b32 s8, -1
                                        ; implicit-def: $vgpr24_vgpr25
	s_branch .LBB135_2691
.LBB135_2687:
	s_mov_b32 s8, -1
                                        ; implicit-def: $vgpr24_vgpr25
.LBB135_2688:
	s_delay_alu instid0(SALU_CYCLE_1)
	s_and_not1_b32 vcc_lo, exec_lo, s8
	s_cbranch_vccnz .LBB135_2690
; %bb.2689:
	global_load_u16 v24, v[30:31], off
	s_wait_loadcnt 0x0
	v_cvt_f64_u32_e32 v[24:25], v24
.LBB135_2690:
	s_mov_b32 s8, 0
.LBB135_2691:
	s_delay_alu instid0(SALU_CYCLE_1)
	s_and_not1_b32 vcc_lo, exec_lo, s8
	s_cbranch_vccnz .LBB135_2697
; %bb.2692:
	global_load_u8 v26, v[30:31], off
	s_mov_b32 s8, 0
	s_mov_b32 s9, exec_lo
	s_wait_loadcnt 0x0
	v_cmpx_lt_i16_e32 0x7f, v26
	s_xor_b32 s9, exec_lo, s9
	s_cbranch_execnz .LBB135_2723
; %bb.2693:
	s_or_saveexec_b32 s9, s9
	v_mov_b64_e32 v[24:25], 0x7ff8000020000000
	s_xor_b32 exec_lo, exec_lo, s9
	s_cbranch_execnz .LBB135_2726
.LBB135_2694:
	s_or_b32 exec_lo, exec_lo, s9
	s_and_saveexec_b32 s9, s8
	s_cbranch_execz .LBB135_2696
.LBB135_2695:
	v_and_b32_e32 v24, 0xffff, v26
	s_delay_alu instid0(VALU_DEP_1) | instskip(SKIP_1) | instid1(VALU_DEP_2)
	v_and_b32_e32 v25, 7, v24
	v_bfe_u32 v33, v24, 3, 4
	v_clz_i32_u32_e32 v27, v25
	s_delay_alu instid0(VALU_DEP_2) | instskip(NEXT) | instid1(VALU_DEP_2)
	v_cmp_eq_u32_e32 vcc_lo, 0, v33
	v_min_u32_e32 v27, 32, v27
	s_delay_alu instid0(VALU_DEP_1) | instskip(NEXT) | instid1(VALU_DEP_1)
	v_subrev_nc_u32_e32 v29, 28, v27
	v_dual_lshlrev_b32 v24, v29, v24 :: v_dual_sub_nc_u32 v27, 29, v27
	s_delay_alu instid0(VALU_DEP_1) | instskip(NEXT) | instid1(VALU_DEP_2)
	v_dual_lshlrev_b32 v26, 24, v26 :: v_dual_bitop2_b32 v24, 7, v24 bitop3:0x40
	v_cndmask_b32_e32 v27, v33, v27, vcc_lo
	s_delay_alu instid0(VALU_DEP_2) | instskip(NEXT) | instid1(VALU_DEP_3)
	v_cndmask_b32_e32 v24, v25, v24, vcc_lo
	v_and_b32_e32 v25, 0x80000000, v26
	s_delay_alu instid0(VALU_DEP_3) | instskip(NEXT) | instid1(VALU_DEP_3)
	v_lshl_add_u32 v26, v27, 23, 0x3b800000
	v_lshlrev_b32_e32 v24, 20, v24
	s_delay_alu instid0(VALU_DEP_1) | instskip(NEXT) | instid1(VALU_DEP_1)
	v_or3_b32 v24, v25, v26, v24
	v_cvt_f64_f32_e32 v[24:25], v24
.LBB135_2696:
	s_or_b32 exec_lo, exec_lo, s9
.LBB135_2697:
	s_wait_xcnt 0x0
	v_mov_b64_e32 v[26:27], 0
	s_mov_b32 s8, -1
.LBB135_2698:
	s_mov_b32 s9, 0
.LBB135_2699:
	s_delay_alu instid0(SALU_CYCLE_1)
	s_and_b32 vcc_lo, exec_lo, s9
	s_cbranch_vccnz .LBB135_2710
; %bb.2700:
	s_and_b32 vcc_lo, exec_lo, s0
	s_cbranch_vccnz .LBB135_2771
.LBB135_2701:
	s_and_not1_b32 vcc_lo, exec_lo, s1
	s_cbranch_vccnz .LBB135_2703
.LBB135_2702:
	global_load_u8 v24, v[30:31], off
	s_wait_xcnt 0x1
	v_mov_b64_e32 v[26:27], 0
	s_mov_b32 s8, -1
	s_wait_loadcnt 0x0
	v_cmp_ne_u16_e32 vcc_lo, 0, v24
	v_mov_b32_e32 v24, 0
	v_cndmask_b32_e64 v25, 0, 0x3ff00000, vcc_lo
.LBB135_2703:
	s_mov_b32 s0, 0
.LBB135_2704:
	s_delay_alu instid0(SALU_CYCLE_1)
	s_and_b32 vcc_lo, exec_lo, s0
	s_cbranch_vccz .LBB135_2787
; %bb.2705:
	s_cmp_lt_i32 s6, 5
	s_cbranch_scc1 .LBB135_2718
; %bb.2706:
	s_cmp_lt_i32 s6, 8
	s_cbranch_scc1 .LBB135_2719
	;; [unrolled: 3-line block ×3, first 2 shown]
; %bb.2708:
	s_cmp_gt_i32 s6, 9
	s_cbranch_scc0 .LBB135_2727
; %bb.2709:
	global_load_b128 v[24:27], v[30:31], off
	s_mov_b32 s0, 0
	s_branch .LBB135_2728
.LBB135_2710:
	s_cmp_gt_i32 s6, 22
	s_cbranch_scc0 .LBB135_2720
; %bb.2711:
	s_cmp_lt_i32 s6, 24
	s_cbranch_scc1 .LBB135_2722
; %bb.2712:
	s_cmp_gt_i32 s6, 24
	s_cbranch_scc0 .LBB135_2739
; %bb.2713:
	global_load_u8 v26, v[30:31], off
	s_mov_b32 s8, exec_lo
	s_wait_loadcnt 0x0
	v_cmpx_lt_i16_e32 0x7f, v26
	s_xor_b32 s8, exec_lo, s8
	s_cbranch_execnz .LBB135_2799
; %bb.2714:
	s_or_saveexec_b32 s8, s8
	v_mov_b64_e32 v[24:25], 0x7ff8000020000000
	s_xor_b32 exec_lo, exec_lo, s8
	s_cbranch_execnz .LBB135_2802
.LBB135_2715:
	s_or_b32 exec_lo, exec_lo, s8
	s_and_saveexec_b32 s8, s1
	s_cbranch_execz .LBB135_2717
.LBB135_2716:
	v_and_b32_e32 v24, 0xffff, v26
	s_delay_alu instid0(VALU_DEP_1) | instskip(SKIP_1) | instid1(VALU_DEP_2)
	v_and_b32_e32 v25, 3, v24
	v_bfe_u32 v33, v24, 2, 5
	v_clz_i32_u32_e32 v27, v25
	s_delay_alu instid0(VALU_DEP_2) | instskip(NEXT) | instid1(VALU_DEP_2)
	v_cmp_eq_u32_e32 vcc_lo, 0, v33
	v_min_u32_e32 v27, 32, v27
	s_delay_alu instid0(VALU_DEP_1) | instskip(NEXT) | instid1(VALU_DEP_1)
	v_subrev_nc_u32_e32 v29, 29, v27
	v_dual_lshlrev_b32 v24, v29, v24 :: v_dual_sub_nc_u32 v27, 30, v27
	s_delay_alu instid0(VALU_DEP_1) | instskip(NEXT) | instid1(VALU_DEP_2)
	v_dual_lshlrev_b32 v26, 24, v26 :: v_dual_bitop2_b32 v24, 3, v24 bitop3:0x40
	v_cndmask_b32_e32 v27, v33, v27, vcc_lo
	s_delay_alu instid0(VALU_DEP_2) | instskip(NEXT) | instid1(VALU_DEP_3)
	v_cndmask_b32_e32 v24, v25, v24, vcc_lo
	v_and_b32_e32 v25, 0x80000000, v26
	s_delay_alu instid0(VALU_DEP_3) | instskip(NEXT) | instid1(VALU_DEP_3)
	v_lshl_add_u32 v26, v27, 23, 0x37800000
	v_lshlrev_b32_e32 v24, 21, v24
	s_delay_alu instid0(VALU_DEP_1) | instskip(NEXT) | instid1(VALU_DEP_1)
	v_or3_b32 v24, v25, v26, v24
	v_cvt_f64_f32_e32 v[24:25], v24
.LBB135_2717:
	s_or_b32 exec_lo, exec_lo, s8
	s_mov_b32 s1, 0
	s_branch .LBB135_2740
.LBB135_2718:
	s_mov_b32 s0, -1
                                        ; implicit-def: $vgpr26_vgpr27
	s_branch .LBB135_2759
.LBB135_2719:
	s_mov_b32 s0, -1
                                        ; implicit-def: $vgpr26_vgpr27
	s_branch .LBB135_2734
.LBB135_2720:
	s_mov_b32 s1, -1
                                        ; implicit-def: $vgpr24_vgpr25
	s_branch .LBB135_2746
.LBB135_2721:
	s_mov_b32 s0, -1
                                        ; implicit-def: $vgpr26_vgpr27
	s_branch .LBB135_2731
.LBB135_2722:
	s_mov_b32 s1, -1
                                        ; implicit-def: $vgpr24_vgpr25
	s_branch .LBB135_2743
.LBB135_2723:
	s_mov_b32 s8, -1
	s_mov_b32 s13, exec_lo
	v_cmpx_eq_u16_e32 0x80, v26
; %bb.2724:
	s_xor_b32 s8, exec_lo, -1
; %bb.2725:
	s_or_b32 exec_lo, exec_lo, s13
	s_delay_alu instid0(SALU_CYCLE_1)
	s_and_b32 s8, s8, exec_lo
	s_or_saveexec_b32 s9, s9
	v_mov_b64_e32 v[24:25], 0x7ff8000020000000
	s_xor_b32 exec_lo, exec_lo, s9
	s_cbranch_execz .LBB135_2694
.LBB135_2726:
	v_cmp_ne_u16_e32 vcc_lo, 0, v26
	v_mov_b64_e32 v[24:25], 0
	s_and_not1_b32 s8, s8, exec_lo
	s_and_b32 s13, vcc_lo, exec_lo
	s_delay_alu instid0(SALU_CYCLE_1)
	s_or_b32 s8, s8, s13
	s_or_b32 exec_lo, exec_lo, s9
	s_and_saveexec_b32 s9, s8
	s_cbranch_execnz .LBB135_2695
	s_branch .LBB135_2696
.LBB135_2727:
	s_mov_b32 s0, -1
                                        ; implicit-def: $vgpr26_vgpr27
.LBB135_2728:
	s_delay_alu instid0(SALU_CYCLE_1)
	s_and_not1_b32 vcc_lo, exec_lo, s0
	s_cbranch_vccnz .LBB135_2730
; %bb.2729:
	s_wait_loadcnt 0x0
	global_load_b64 v[26:27], v[30:31], off
	s_wait_loadcnt 0x0
	v_cvt_f64_f32_e32 v[24:25], v26
	v_cvt_f64_f32_e32 v[26:27], v27
.LBB135_2730:
	s_mov_b32 s0, 0
.LBB135_2731:
	s_delay_alu instid0(SALU_CYCLE_1)
	s_and_not1_b32 vcc_lo, exec_lo, s0
	s_cbranch_vccnz .LBB135_2733
; %bb.2732:
	s_wait_loadcnt 0x0
	global_load_b32 v24, v[30:31], off
	s_wait_loadcnt 0x0
	v_lshrrev_b32_e32 v25, 16, v24
	v_cvt_f32_f16_e32 v24, v24
	s_wait_xcnt 0x1
	s_delay_alu instid0(VALU_DEP_2) | instskip(NEXT) | instid1(VALU_DEP_2)
	v_cvt_f32_f16_e32 v26, v25
	v_cvt_f64_f32_e32 v[24:25], v24
	s_delay_alu instid0(VALU_DEP_2)
	v_cvt_f64_f32_e32 v[26:27], v26
.LBB135_2733:
	s_mov_b32 s0, 0
.LBB135_2734:
	s_delay_alu instid0(SALU_CYCLE_1)
	s_and_not1_b32 vcc_lo, exec_lo, s0
	s_cbranch_vccnz .LBB135_2758
; %bb.2735:
	s_cmp_lt_i32 s6, 6
	s_cbranch_scc1 .LBB135_2738
; %bb.2736:
	s_cmp_gt_i32 s6, 6
	s_cbranch_scc0 .LBB135_2751
; %bb.2737:
	s_wait_loadcnt 0x0
	global_load_b64 v[24:25], v[30:31], off
	s_mov_b32 s0, 0
	s_branch .LBB135_2752
.LBB135_2738:
	s_mov_b32 s0, -1
                                        ; implicit-def: $vgpr24_vgpr25
	s_branch .LBB135_2755
.LBB135_2739:
	s_mov_b32 s1, -1
                                        ; implicit-def: $vgpr24_vgpr25
.LBB135_2740:
	s_delay_alu instid0(SALU_CYCLE_1)
	s_and_b32 vcc_lo, exec_lo, s1
	s_cbranch_vccz .LBB135_2742
; %bb.2741:
	global_load_u8 v24, v[30:31], off
	s_wait_loadcnt 0x0
	v_lshlrev_b32_e32 v24, 24, v24
	s_delay_alu instid0(VALU_DEP_1) | instskip(SKIP_1) | instid1(VALU_DEP_1)
	v_and_b32_e32 v25, 0x7f000000, v24
	s_wait_xcnt 0x1
	v_clz_i32_u32_e32 v26, v25
	v_add_nc_u32_e32 v29, 0x1000000, v25
	v_cmp_ne_u32_e32 vcc_lo, 0, v25
	s_delay_alu instid0(VALU_DEP_3) | instskip(NEXT) | instid1(VALU_DEP_1)
	v_min_u32_e32 v26, 32, v26
	v_sub_nc_u32_e64 v26, v26, 4 clamp
	s_delay_alu instid0(VALU_DEP_1) | instskip(NEXT) | instid1(VALU_DEP_1)
	v_dual_lshlrev_b32 v27, v26, v25 :: v_dual_lshlrev_b32 v26, 23, v26
	v_lshrrev_b32_e32 v27, 4, v27
	s_delay_alu instid0(VALU_DEP_1) | instskip(NEXT) | instid1(VALU_DEP_1)
	v_dual_sub_nc_u32 v26, v27, v26 :: v_dual_ashrrev_i32 v27, 8, v29
	v_add_nc_u32_e32 v26, 0x3c000000, v26
	s_delay_alu instid0(VALU_DEP_1) | instskip(NEXT) | instid1(VALU_DEP_1)
	v_and_or_b32 v26, 0x7f800000, v27, v26
	v_cndmask_b32_e32 v25, 0, v26, vcc_lo
	s_delay_alu instid0(VALU_DEP_1) | instskip(NEXT) | instid1(VALU_DEP_1)
	v_and_or_b32 v24, 0x80000000, v24, v25
	v_cvt_f64_f32_e32 v[24:25], v24
.LBB135_2742:
	s_mov_b32 s1, 0
.LBB135_2743:
	s_delay_alu instid0(SALU_CYCLE_1)
	s_and_not1_b32 vcc_lo, exec_lo, s1
	s_cbranch_vccnz .LBB135_2745
; %bb.2744:
	global_load_u8 v24, v[30:31], off
	s_wait_loadcnt 0x0
	v_lshlrev_b32_e32 v25, 25, v24
	v_lshlrev_b16 v24, 8, v24
	s_wait_xcnt 0x1
	s_delay_alu instid0(VALU_DEP_1) | instskip(SKIP_1) | instid1(VALU_DEP_2)
	v_and_or_b32 v27, 0x7f00, v24, 0.5
	v_bfe_i32 v24, v24, 0, 16
	v_dual_add_f32 v27, -0.5, v27 :: v_dual_lshrrev_b32 v26, 4, v25
	v_cmp_gt_u32_e32 vcc_lo, 0x8000000, v25
	s_delay_alu instid0(VALU_DEP_2) | instskip(NEXT) | instid1(VALU_DEP_1)
	v_or_b32_e32 v26, 0x70000000, v26
	v_mul_f32_e32 v26, 0x7800000, v26
	s_delay_alu instid0(VALU_DEP_1) | instskip(NEXT) | instid1(VALU_DEP_1)
	v_cndmask_b32_e32 v25, v26, v27, vcc_lo
	v_and_or_b32 v24, 0x80000000, v24, v25
	s_delay_alu instid0(VALU_DEP_1)
	v_cvt_f64_f32_e32 v[24:25], v24
.LBB135_2745:
	s_mov_b32 s1, 0
	s_mov_b32 s8, -1
.LBB135_2746:
	s_and_not1_b32 vcc_lo, exec_lo, s1
	s_mov_b32 s1, 0
	s_cbranch_vccnz .LBB135_2770
; %bb.2747:
	s_cmp_gt_i32 s6, 14
	s_cbranch_scc0 .LBB135_2750
; %bb.2748:
	s_cmp_eq_u32 s6, 15
	s_cbranch_scc0 .LBB135_2766
; %bb.2749:
	global_load_u16 v24, v[30:31], off
	s_mov_b32 s0, 0
	s_mov_b32 s8, -1
	s_wait_loadcnt 0x0
	v_lshlrev_b32_e32 v24, 16, v24
	s_delay_alu instid0(VALU_DEP_1)
	v_cvt_f64_f32_e32 v[24:25], v24
	s_branch .LBB135_2768
.LBB135_2750:
	s_mov_b32 s1, -1
	s_branch .LBB135_2767
.LBB135_2751:
	s_mov_b32 s0, -1
                                        ; implicit-def: $vgpr24_vgpr25
.LBB135_2752:
	s_delay_alu instid0(SALU_CYCLE_1)
	s_and_not1_b32 vcc_lo, exec_lo, s0
	s_cbranch_vccnz .LBB135_2754
; %bb.2753:
	s_wait_loadcnt 0x0
	global_load_b32 v24, v[30:31], off
	s_wait_loadcnt 0x0
	v_cvt_f64_f32_e32 v[24:25], v24
.LBB135_2754:
	s_mov_b32 s0, 0
.LBB135_2755:
	s_delay_alu instid0(SALU_CYCLE_1)
	s_and_not1_b32 vcc_lo, exec_lo, s0
	s_cbranch_vccnz .LBB135_2757
; %bb.2756:
	s_wait_loadcnt 0x0
	global_load_u16 v24, v[30:31], off
	s_wait_loadcnt 0x0
	v_cvt_f32_f16_e32 v24, v24
	s_delay_alu instid0(VALU_DEP_1)
	v_cvt_f64_f32_e32 v[24:25], v24
.LBB135_2757:
	s_wait_loadcnt 0x0
	v_mov_b64_e32 v[26:27], 0
.LBB135_2758:
	s_mov_b32 s0, 0
.LBB135_2759:
	s_delay_alu instid0(SALU_CYCLE_1)
	s_and_not1_b32 vcc_lo, exec_lo, s0
	s_cbranch_vccnz .LBB135_2786
; %bb.2760:
	s_cmp_lt_i32 s6, 2
	s_cbranch_scc1 .LBB135_2764
; %bb.2761:
	s_cmp_lt_i32 s6, 3
	s_cbranch_scc1 .LBB135_2765
; %bb.2762:
	s_cmp_gt_i32 s6, 3
	s_cbranch_scc0 .LBB135_2772
; %bb.2763:
	s_wait_loadcnt 0x0
	global_load_b64 v[24:25], v[30:31], off
	s_mov_b32 s0, 0
	s_wait_loadcnt 0x0
	s_wait_xcnt 0x1
	v_cvt_f64_i32_e32 v[26:27], v25
	v_cvt_f64_u32_e32 v[24:25], v24
	s_delay_alu instid0(VALU_DEP_2) | instskip(NEXT) | instid1(VALU_DEP_1)
	v_ldexp_f64 v[26:27], v[26:27], 32
	v_add_f64_e32 v[24:25], v[26:27], v[24:25]
	s_branch .LBB135_2773
.LBB135_2764:
	s_mov_b32 s0, -1
                                        ; implicit-def: $vgpr24_vgpr25
	s_branch .LBB135_2779
.LBB135_2765:
	s_mov_b32 s0, -1
                                        ; implicit-def: $vgpr24_vgpr25
	s_branch .LBB135_2776
.LBB135_2766:
	s_mov_b32 s0, -1
.LBB135_2767:
                                        ; implicit-def: $vgpr24_vgpr25
.LBB135_2768:
	s_and_b32 vcc_lo, exec_lo, s1
	s_mov_b32 s1, 0
	s_cbranch_vccz .LBB135_2770
; %bb.2769:
	s_cmp_lg_u32 s6, 11
	s_mov_b32 s1, -1
	s_cselect_b32 s0, -1, 0
.LBB135_2770:
	s_wait_xcnt 0x0
	v_mov_b64_e32 v[26:27], 0
	s_and_b32 vcc_lo, exec_lo, s0
	s_cbranch_vccz .LBB135_2701
.LBB135_2771:
	s_or_b32 s12, s12, exec_lo
	s_trap 2
	s_cbranch_execz .LBB135_2702
	s_branch .LBB135_2703
.LBB135_2772:
	s_mov_b32 s0, -1
                                        ; implicit-def: $vgpr24_vgpr25
.LBB135_2773:
	s_delay_alu instid0(SALU_CYCLE_1)
	s_and_not1_b32 vcc_lo, exec_lo, s0
	s_cbranch_vccnz .LBB135_2775
; %bb.2774:
	s_wait_loadcnt 0x0
	global_load_b32 v24, v[30:31], off
	s_wait_loadcnt 0x0
	v_cvt_f64_i32_e32 v[24:25], v24
.LBB135_2775:
	s_mov_b32 s0, 0
.LBB135_2776:
	s_delay_alu instid0(SALU_CYCLE_1)
	s_and_not1_b32 vcc_lo, exec_lo, s0
	s_cbranch_vccnz .LBB135_2778
; %bb.2777:
	s_wait_loadcnt 0x0
	global_load_i16 v24, v[30:31], off
	s_wait_loadcnt 0x0
	v_cvt_f64_i32_e32 v[24:25], v24
.LBB135_2778:
	s_mov_b32 s0, 0
.LBB135_2779:
	s_delay_alu instid0(SALU_CYCLE_1)
	s_and_not1_b32 vcc_lo, exec_lo, s0
	s_cbranch_vccnz .LBB135_2785
; %bb.2780:
	s_cmp_gt_i32 s6, 0
	s_mov_b32 s0, 0
	s_cbranch_scc0 .LBB135_2782
; %bb.2781:
	s_wait_loadcnt 0x0
	global_load_i8 v24, v[30:31], off
	s_wait_loadcnt 0x0
	v_cvt_f64_i32_e32 v[24:25], v24
	s_branch .LBB135_2783
.LBB135_2782:
	s_mov_b32 s0, -1
                                        ; implicit-def: $vgpr24_vgpr25
.LBB135_2783:
	s_delay_alu instid0(SALU_CYCLE_1)
	s_and_not1_b32 vcc_lo, exec_lo, s0
	s_cbranch_vccnz .LBB135_2785
; %bb.2784:
	s_wait_loadcnt 0x0
	global_load_u8 v24, v[30:31], off
	s_wait_loadcnt 0x0
	v_cvt_f64_u32_e32 v[24:25], v24
.LBB135_2785:
	s_wait_loadcnt 0x0
	v_mov_b64_e32 v[26:27], 0
.LBB135_2786:
	s_mov_b32 s8, -1
.LBB135_2787:
	s_delay_alu instid0(SALU_CYCLE_1)
	s_and_not1_b32 vcc_lo, exec_lo, s8
	s_cbranch_vccnz .LBB135_3357
; %bb.2788:
	v_mov_b32_e32 v29, 0
	s_cmp_lt_i32 s7, 11
	s_delay_alu instid0(VALU_DEP_1)
	v_add_nc_u64_e32 v[40:41], s[4:5], v[28:29]
	s_cbranch_scc1 .LBB135_2795
; %bb.2789:
	s_cmp_gt_i32 s7, 25
	s_mov_b32 s1, 0
	s_cbranch_scc0 .LBB135_2796
; %bb.2790:
	s_cmp_gt_i32 s7, 28
	s_cbranch_scc0 .LBB135_2797
; %bb.2791:
	s_cmp_gt_i32 s7, 43
	;; [unrolled: 3-line block ×3, first 2 shown]
	s_cbranch_scc0 .LBB135_2803
; %bb.2793:
	s_cmp_eq_u32 s7, 46
	s_mov_b32 s5, 0
	s_cbranch_scc0 .LBB135_2804
; %bb.2794:
	global_load_b32 v28, v[40:41], off
	s_mov_b32 s0, 0
	s_mov_b32 s4, -1
	s_wait_loadcnt 0x0
	v_lshlrev_b32_e32 v29, 16, v28
	s_wait_xcnt 0x1
	v_and_b32_e32 v30, 0xffff0000, v28
	s_delay_alu instid0(VALU_DEP_2) | instskip(NEXT) | instid1(VALU_DEP_2)
	v_cvt_f64_f32_e32 v[28:29], v29
	v_cvt_f64_f32_e32 v[30:31], v30
	s_branch .LBB135_2806
.LBB135_2795:
	s_mov_b32 s0, -1
	s_mov_b32 s4, 0
                                        ; implicit-def: $vgpr30_vgpr31
	s_branch .LBB135_2840
.LBB135_2796:
	s_mov_b32 s5, -1
	s_mov_b32 s4, 0
	s_mov_b32 s0, 0
                                        ; implicit-def: $vgpr30_vgpr31
	s_branch .LBB135_2835
.LBB135_2797:
	s_mov_b32 s5, -1
	s_mov_b32 s4, 0
	s_mov_b32 s0, 0
                                        ; implicit-def: $vgpr30_vgpr31
	s_branch .LBB135_2818
.LBB135_2798:
	s_mov_b32 s5, -1
	s_mov_b32 s4, 0
	s_mov_b32 s0, 0
                                        ; implicit-def: $vgpr30_vgpr31
	s_branch .LBB135_2812
.LBB135_2799:
	s_mov_b32 s1, -1
	s_mov_b32 s9, exec_lo
	v_cmpx_eq_u16_e32 0x80, v26
; %bb.2800:
	s_xor_b32 s1, exec_lo, -1
; %bb.2801:
	s_or_b32 exec_lo, exec_lo, s9
	s_delay_alu instid0(SALU_CYCLE_1)
	s_and_b32 s1, s1, exec_lo
	s_or_saveexec_b32 s8, s8
	v_mov_b64_e32 v[24:25], 0x7ff8000020000000
	s_xor_b32 exec_lo, exec_lo, s8
	s_cbranch_execz .LBB135_2715
.LBB135_2802:
	v_cmp_ne_u16_e32 vcc_lo, 0, v26
	v_mov_b64_e32 v[24:25], 0
	s_and_not1_b32 s1, s1, exec_lo
	s_and_b32 s9, vcc_lo, exec_lo
	s_delay_alu instid0(SALU_CYCLE_1)
	s_or_b32 s1, s1, s9
	s_or_b32 exec_lo, exec_lo, s8
	s_and_saveexec_b32 s8, s1
	s_cbranch_execnz .LBB135_2716
	s_branch .LBB135_2717
.LBB135_2803:
	s_mov_b32 s5, -1
	s_mov_b32 s4, 0
	s_mov_b32 s0, 0
	s_branch .LBB135_2805
.LBB135_2804:
	s_mov_b32 s0, -1
	s_mov_b32 s4, 0
.LBB135_2805:
                                        ; implicit-def: $vgpr30_vgpr31
.LBB135_2806:
	s_and_b32 vcc_lo, exec_lo, s5
	s_cbranch_vccz .LBB135_2811
; %bb.2807:
	s_cmp_eq_u32 s7, 44
	s_cbranch_scc0 .LBB135_2809
; %bb.2808:
	global_load_u8 v30, v[40:41], off
	s_mov_b32 s0, 0
	s_mov_b32 s4, -1
	s_wait_loadcnt 0x0
	v_cmp_ne_u32_e32 vcc_lo, 0xff, v30
	v_lshlrev_b32_e32 v28, 23, v30
	s_delay_alu instid0(VALU_DEP_1) | instskip(NEXT) | instid1(VALU_DEP_1)
	v_cvt_f64_f32_e32 v[28:29], v28
	v_cndmask_b32_e32 v28, 0x20000000, v28, vcc_lo
	s_delay_alu instid0(VALU_DEP_2) | instskip(SKIP_1) | instid1(VALU_DEP_2)
	v_cndmask_b32_e32 v29, 0x7ff80000, v29, vcc_lo
	v_cmp_ne_u32_e32 vcc_lo, 0, v30
	v_cndmask_b32_e32 v29, 0x38000000, v29, vcc_lo
	s_delay_alu instid0(VALU_DEP_4)
	v_cndmask_b32_e32 v28, 0, v28, vcc_lo
	s_branch .LBB135_2810
.LBB135_2809:
	s_mov_b32 s0, -1
                                        ; implicit-def: $vgpr28_vgpr29
.LBB135_2810:
	s_wait_xcnt 0x0
	v_mov_b64_e32 v[30:31], 0
.LBB135_2811:
	s_mov_b32 s5, 0
.LBB135_2812:
	s_delay_alu instid0(SALU_CYCLE_1)
	s_and_b32 vcc_lo, exec_lo, s5
	s_cbranch_vccz .LBB135_2817
; %bb.2813:
	s_cmp_eq_u32 s7, 29
	s_cbranch_scc0 .LBB135_2815
; %bb.2814:
	global_load_b64 v[28:29], v[40:41], off
	s_mov_b32 s0, 0
	s_mov_b32 s4, -1
	s_wait_loadcnt 0x0
	s_wait_xcnt 0x1
	v_cvt_f64_u32_e32 v[30:31], v29
	v_cvt_f64_u32_e32 v[28:29], v28
	s_delay_alu instid0(VALU_DEP_2) | instskip(NEXT) | instid1(VALU_DEP_1)
	v_ldexp_f64 v[30:31], v[30:31], 32
	v_add_f64_e32 v[28:29], v[30:31], v[28:29]
	s_branch .LBB135_2816
.LBB135_2815:
	s_mov_b32 s0, -1
                                        ; implicit-def: $vgpr28_vgpr29
.LBB135_2816:
	s_wait_xcnt 0x0
	v_mov_b64_e32 v[30:31], 0
.LBB135_2817:
	s_mov_b32 s5, 0
.LBB135_2818:
	s_delay_alu instid0(SALU_CYCLE_1)
	s_and_b32 vcc_lo, exec_lo, s5
	s_cbranch_vccz .LBB135_2834
; %bb.2819:
	s_cmp_lt_i32 s7, 27
	s_cbranch_scc1 .LBB135_2822
; %bb.2820:
	s_cmp_gt_i32 s7, 27
	s_cbranch_scc0 .LBB135_2823
; %bb.2821:
	global_load_b32 v28, v[40:41], off
	s_mov_b32 s4, 0
	s_wait_loadcnt 0x0
	v_cvt_f64_u32_e32 v[28:29], v28
	s_branch .LBB135_2824
.LBB135_2822:
	s_mov_b32 s4, -1
                                        ; implicit-def: $vgpr28_vgpr29
	s_branch .LBB135_2827
.LBB135_2823:
	s_mov_b32 s4, -1
                                        ; implicit-def: $vgpr28_vgpr29
.LBB135_2824:
	s_delay_alu instid0(SALU_CYCLE_1)
	s_and_not1_b32 vcc_lo, exec_lo, s4
	s_cbranch_vccnz .LBB135_2826
; %bb.2825:
	global_load_u16 v28, v[40:41], off
	s_wait_loadcnt 0x0
	v_cvt_f64_u32_e32 v[28:29], v28
.LBB135_2826:
	s_mov_b32 s4, 0
.LBB135_2827:
	s_delay_alu instid0(SALU_CYCLE_1)
	s_and_not1_b32 vcc_lo, exec_lo, s4
	s_cbranch_vccnz .LBB135_2833
; %bb.2828:
	global_load_u8 v30, v[40:41], off
	s_mov_b32 s4, 0
	s_mov_b32 s5, exec_lo
	s_wait_loadcnt 0x0
	v_cmpx_lt_i16_e32 0x7f, v30
	s_xor_b32 s5, exec_lo, s5
	s_cbranch_execnz .LBB135_2859
; %bb.2829:
	s_or_saveexec_b32 s5, s5
	v_mov_b64_e32 v[28:29], 0x7ff8000020000000
	s_xor_b32 exec_lo, exec_lo, s5
	s_cbranch_execnz .LBB135_2862
.LBB135_2830:
	s_or_b32 exec_lo, exec_lo, s5
	s_and_saveexec_b32 s5, s4
	s_cbranch_execz .LBB135_2832
.LBB135_2831:
	v_and_b32_e32 v28, 0xffff, v30
	s_delay_alu instid0(VALU_DEP_1) | instskip(SKIP_1) | instid1(VALU_DEP_2)
	v_and_b32_e32 v29, 7, v28
	v_bfe_u32 v35, v28, 3, 4
	v_clz_i32_u32_e32 v31, v29
	s_delay_alu instid0(VALU_DEP_2) | instskip(NEXT) | instid1(VALU_DEP_2)
	v_cmp_eq_u32_e32 vcc_lo, 0, v35
	v_min_u32_e32 v31, 32, v31
	s_delay_alu instid0(VALU_DEP_1) | instskip(NEXT) | instid1(VALU_DEP_1)
	v_subrev_nc_u32_e32 v33, 28, v31
	v_dual_lshlrev_b32 v28, v33, v28 :: v_dual_sub_nc_u32 v31, 29, v31
	s_delay_alu instid0(VALU_DEP_1) | instskip(NEXT) | instid1(VALU_DEP_1)
	v_dual_lshlrev_b32 v30, 24, v30 :: v_dual_bitop2_b32 v28, 7, v28 bitop3:0x40
	v_dual_cndmask_b32 v31, v35, v31 :: v_dual_cndmask_b32 v28, v29, v28
	s_delay_alu instid0(VALU_DEP_2) | instskip(NEXT) | instid1(VALU_DEP_2)
	v_and_b32_e32 v29, 0x80000000, v30
	v_lshl_add_u32 v30, v31, 23, 0x3b800000
	s_delay_alu instid0(VALU_DEP_3) | instskip(NEXT) | instid1(VALU_DEP_1)
	v_lshlrev_b32_e32 v28, 20, v28
	v_or3_b32 v28, v29, v30, v28
	s_delay_alu instid0(VALU_DEP_1)
	v_cvt_f64_f32_e32 v[28:29], v28
.LBB135_2832:
	s_or_b32 exec_lo, exec_lo, s5
.LBB135_2833:
	s_wait_xcnt 0x0
	v_mov_b64_e32 v[30:31], 0
	s_mov_b32 s4, -1
.LBB135_2834:
	s_mov_b32 s5, 0
.LBB135_2835:
	s_delay_alu instid0(SALU_CYCLE_1)
	s_and_b32 vcc_lo, exec_lo, s5
	s_cbranch_vccnz .LBB135_2846
; %bb.2836:
	s_and_b32 vcc_lo, exec_lo, s0
	s_cbranch_vccnz .LBB135_2907
.LBB135_2837:
	s_and_not1_b32 vcc_lo, exec_lo, s1
	s_cbranch_vccnz .LBB135_2839
.LBB135_2838:
	global_load_u8 v28, v[40:41], off
	s_wait_xcnt 0x1
	v_mov_b64_e32 v[30:31], 0
	s_mov_b32 s4, -1
	s_wait_loadcnt 0x0
	v_cmp_ne_u16_e32 vcc_lo, 0, v28
	v_mov_b32_e32 v28, 0
	v_cndmask_b32_e64 v29, 0, 0x3ff00000, vcc_lo
.LBB135_2839:
	s_mov_b32 s0, 0
.LBB135_2840:
	s_delay_alu instid0(SALU_CYCLE_1)
	s_and_b32 vcc_lo, exec_lo, s0
	s_cbranch_vccz .LBB135_2923
; %bb.2841:
	s_cmp_lt_i32 s7, 5
	s_cbranch_scc1 .LBB135_2854
; %bb.2842:
	s_cmp_lt_i32 s7, 8
	s_cbranch_scc1 .LBB135_2855
	;; [unrolled: 3-line block ×3, first 2 shown]
; %bb.2844:
	s_cmp_gt_i32 s7, 9
	s_cbranch_scc0 .LBB135_2863
; %bb.2845:
	global_load_b128 v[28:31], v[40:41], off
	s_mov_b32 s0, 0
	s_branch .LBB135_2864
.LBB135_2846:
	s_cmp_gt_i32 s7, 22
	s_cbranch_scc0 .LBB135_2856
; %bb.2847:
	s_cmp_lt_i32 s7, 24
	s_cbranch_scc1 .LBB135_2858
; %bb.2848:
	s_cmp_gt_i32 s7, 24
	s_cbranch_scc0 .LBB135_2875
; %bb.2849:
	global_load_u8 v30, v[40:41], off
	s_mov_b32 s4, exec_lo
	s_wait_loadcnt 0x0
	v_cmpx_lt_i16_e32 0x7f, v30
	s_xor_b32 s4, exec_lo, s4
	s_cbranch_execnz .LBB135_3403
; %bb.2850:
	s_or_saveexec_b32 s4, s4
	v_mov_b64_e32 v[28:29], 0x7ff8000020000000
	s_xor_b32 exec_lo, exec_lo, s4
	s_cbranch_execnz .LBB135_3406
.LBB135_2851:
	s_or_b32 exec_lo, exec_lo, s4
	s_and_saveexec_b32 s4, s1
	s_cbranch_execz .LBB135_2853
.LBB135_2852:
	v_and_b32_e32 v28, 0xffff, v30
	s_delay_alu instid0(VALU_DEP_1) | instskip(SKIP_1) | instid1(VALU_DEP_2)
	v_and_b32_e32 v29, 3, v28
	v_bfe_u32 v35, v28, 2, 5
	v_clz_i32_u32_e32 v31, v29
	s_delay_alu instid0(VALU_DEP_2) | instskip(NEXT) | instid1(VALU_DEP_2)
	v_cmp_eq_u32_e32 vcc_lo, 0, v35
	v_min_u32_e32 v31, 32, v31
	s_delay_alu instid0(VALU_DEP_1) | instskip(NEXT) | instid1(VALU_DEP_1)
	v_subrev_nc_u32_e32 v33, 29, v31
	v_dual_lshlrev_b32 v28, v33, v28 :: v_dual_sub_nc_u32 v31, 30, v31
	s_delay_alu instid0(VALU_DEP_1) | instskip(NEXT) | instid1(VALU_DEP_1)
	v_dual_lshlrev_b32 v30, 24, v30 :: v_dual_bitop2_b32 v28, 3, v28 bitop3:0x40
	v_dual_cndmask_b32 v31, v35, v31 :: v_dual_cndmask_b32 v28, v29, v28
	s_delay_alu instid0(VALU_DEP_2) | instskip(NEXT) | instid1(VALU_DEP_2)
	v_and_b32_e32 v29, 0x80000000, v30
	v_lshl_add_u32 v30, v31, 23, 0x37800000
	s_delay_alu instid0(VALU_DEP_3) | instskip(NEXT) | instid1(VALU_DEP_1)
	v_lshlrev_b32_e32 v28, 21, v28
	v_or3_b32 v28, v29, v30, v28
	s_delay_alu instid0(VALU_DEP_1)
	v_cvt_f64_f32_e32 v[28:29], v28
.LBB135_2853:
	s_or_b32 exec_lo, exec_lo, s4
	s_mov_b32 s1, 0
	s_branch .LBB135_2876
.LBB135_2854:
	s_mov_b32 s0, -1
                                        ; implicit-def: $vgpr30_vgpr31
	s_branch .LBB135_2895
.LBB135_2855:
	s_mov_b32 s0, -1
                                        ; implicit-def: $vgpr30_vgpr31
	s_branch .LBB135_2870
.LBB135_2856:
	s_mov_b32 s1, -1
                                        ; implicit-def: $vgpr28_vgpr29
	s_branch .LBB135_2882
.LBB135_2857:
	s_mov_b32 s0, -1
                                        ; implicit-def: $vgpr30_vgpr31
	s_branch .LBB135_2867
.LBB135_2858:
	s_mov_b32 s1, -1
                                        ; implicit-def: $vgpr28_vgpr29
	s_branch .LBB135_2879
.LBB135_2859:
	s_mov_b32 s4, -1
	s_mov_b32 s6, exec_lo
	v_cmpx_eq_u16_e32 0x80, v30
; %bb.2860:
	s_xor_b32 s4, exec_lo, -1
; %bb.2861:
	s_or_b32 exec_lo, exec_lo, s6
	s_delay_alu instid0(SALU_CYCLE_1)
	s_and_b32 s4, s4, exec_lo
	s_or_saveexec_b32 s5, s5
	v_mov_b64_e32 v[28:29], 0x7ff8000020000000
	s_xor_b32 exec_lo, exec_lo, s5
	s_cbranch_execz .LBB135_2830
.LBB135_2862:
	v_cmp_ne_u16_e32 vcc_lo, 0, v30
	v_mov_b64_e32 v[28:29], 0
	s_and_not1_b32 s4, s4, exec_lo
	s_and_b32 s6, vcc_lo, exec_lo
	s_delay_alu instid0(SALU_CYCLE_1)
	s_or_b32 s4, s4, s6
	s_or_b32 exec_lo, exec_lo, s5
	s_and_saveexec_b32 s5, s4
	s_cbranch_execnz .LBB135_2831
	s_branch .LBB135_2832
.LBB135_2863:
	s_mov_b32 s0, -1
                                        ; implicit-def: $vgpr30_vgpr31
.LBB135_2864:
	s_delay_alu instid0(SALU_CYCLE_1)
	s_and_not1_b32 vcc_lo, exec_lo, s0
	s_cbranch_vccnz .LBB135_2866
; %bb.2865:
	s_wait_loadcnt 0x0
	global_load_b64 v[30:31], v[40:41], off
	s_wait_loadcnt 0x0
	v_cvt_f64_f32_e32 v[28:29], v30
	v_cvt_f64_f32_e32 v[30:31], v31
.LBB135_2866:
	s_mov_b32 s0, 0
.LBB135_2867:
	s_delay_alu instid0(SALU_CYCLE_1)
	s_and_not1_b32 vcc_lo, exec_lo, s0
	s_cbranch_vccnz .LBB135_2869
; %bb.2868:
	s_wait_loadcnt 0x0
	global_load_b32 v28, v[40:41], off
	s_wait_loadcnt 0x0
	v_lshrrev_b32_e32 v29, 16, v28
	v_cvt_f32_f16_e32 v28, v28
	s_wait_xcnt 0x1
	s_delay_alu instid0(VALU_DEP_2) | instskip(NEXT) | instid1(VALU_DEP_2)
	v_cvt_f32_f16_e32 v30, v29
	v_cvt_f64_f32_e32 v[28:29], v28
	s_delay_alu instid0(VALU_DEP_2)
	v_cvt_f64_f32_e32 v[30:31], v30
.LBB135_2869:
	s_mov_b32 s0, 0
.LBB135_2870:
	s_delay_alu instid0(SALU_CYCLE_1)
	s_and_not1_b32 vcc_lo, exec_lo, s0
	s_cbranch_vccnz .LBB135_2894
; %bb.2871:
	s_cmp_lt_i32 s7, 6
	s_cbranch_scc1 .LBB135_2874
; %bb.2872:
	s_cmp_gt_i32 s7, 6
	s_cbranch_scc0 .LBB135_2887
; %bb.2873:
	s_wait_loadcnt 0x0
	global_load_b64 v[28:29], v[40:41], off
	s_mov_b32 s0, 0
	s_branch .LBB135_2888
.LBB135_2874:
	s_mov_b32 s0, -1
                                        ; implicit-def: $vgpr28_vgpr29
	s_branch .LBB135_2891
.LBB135_2875:
	s_mov_b32 s1, -1
                                        ; implicit-def: $vgpr28_vgpr29
.LBB135_2876:
	s_delay_alu instid0(SALU_CYCLE_1)
	s_and_b32 vcc_lo, exec_lo, s1
	s_cbranch_vccz .LBB135_2878
; %bb.2877:
	global_load_u8 v28, v[40:41], off
	s_wait_loadcnt 0x0
	v_lshlrev_b32_e32 v28, 24, v28
	s_delay_alu instid0(VALU_DEP_1) | instskip(SKIP_1) | instid1(VALU_DEP_1)
	v_and_b32_e32 v29, 0x7f000000, v28
	s_wait_xcnt 0x1
	v_clz_i32_u32_e32 v30, v29
	v_add_nc_u32_e32 v33, 0x1000000, v29
	v_cmp_ne_u32_e32 vcc_lo, 0, v29
	s_delay_alu instid0(VALU_DEP_3) | instskip(NEXT) | instid1(VALU_DEP_1)
	v_min_u32_e32 v30, 32, v30
	v_sub_nc_u32_e64 v30, v30, 4 clamp
	s_delay_alu instid0(VALU_DEP_1) | instskip(NEXT) | instid1(VALU_DEP_1)
	v_dual_lshlrev_b32 v31, v30, v29 :: v_dual_lshlrev_b32 v30, 23, v30
	v_lshrrev_b32_e32 v31, 4, v31
	s_delay_alu instid0(VALU_DEP_1) | instskip(NEXT) | instid1(VALU_DEP_1)
	v_dual_sub_nc_u32 v30, v31, v30 :: v_dual_ashrrev_i32 v31, 8, v33
	v_add_nc_u32_e32 v30, 0x3c000000, v30
	s_delay_alu instid0(VALU_DEP_1) | instskip(NEXT) | instid1(VALU_DEP_1)
	v_and_or_b32 v30, 0x7f800000, v31, v30
	v_cndmask_b32_e32 v29, 0, v30, vcc_lo
	s_delay_alu instid0(VALU_DEP_1) | instskip(NEXT) | instid1(VALU_DEP_1)
	v_and_or_b32 v28, 0x80000000, v28, v29
	v_cvt_f64_f32_e32 v[28:29], v28
.LBB135_2878:
	s_mov_b32 s1, 0
.LBB135_2879:
	s_delay_alu instid0(SALU_CYCLE_1)
	s_and_not1_b32 vcc_lo, exec_lo, s1
	s_cbranch_vccnz .LBB135_2881
; %bb.2880:
	global_load_u8 v28, v[40:41], off
	s_wait_loadcnt 0x0
	v_lshlrev_b32_e32 v29, 25, v28
	v_lshlrev_b16 v28, 8, v28
	s_wait_xcnt 0x1
	s_delay_alu instid0(VALU_DEP_1) | instskip(SKIP_1) | instid1(VALU_DEP_2)
	v_and_or_b32 v31, 0x7f00, v28, 0.5
	v_bfe_i32 v28, v28, 0, 16
	v_dual_add_f32 v31, -0.5, v31 :: v_dual_lshrrev_b32 v30, 4, v29
	v_cmp_gt_u32_e32 vcc_lo, 0x8000000, v29
	s_delay_alu instid0(VALU_DEP_2) | instskip(NEXT) | instid1(VALU_DEP_1)
	v_or_b32_e32 v30, 0x70000000, v30
	v_mul_f32_e32 v30, 0x7800000, v30
	s_delay_alu instid0(VALU_DEP_1) | instskip(NEXT) | instid1(VALU_DEP_1)
	v_cndmask_b32_e32 v29, v30, v31, vcc_lo
	v_and_or_b32 v28, 0x80000000, v28, v29
	s_delay_alu instid0(VALU_DEP_1)
	v_cvt_f64_f32_e32 v[28:29], v28
.LBB135_2881:
	s_mov_b32 s1, 0
	s_mov_b32 s4, -1
.LBB135_2882:
	s_and_not1_b32 vcc_lo, exec_lo, s1
	s_mov_b32 s1, 0
	s_cbranch_vccnz .LBB135_2906
; %bb.2883:
	s_cmp_gt_i32 s7, 14
	s_cbranch_scc0 .LBB135_2886
; %bb.2884:
	s_cmp_eq_u32 s7, 15
	s_cbranch_scc0 .LBB135_2902
; %bb.2885:
	global_load_u16 v28, v[40:41], off
	s_mov_b32 s0, 0
	s_mov_b32 s4, -1
	s_wait_loadcnt 0x0
	v_lshlrev_b32_e32 v28, 16, v28
	s_delay_alu instid0(VALU_DEP_1)
	v_cvt_f64_f32_e32 v[28:29], v28
	s_branch .LBB135_2904
.LBB135_2886:
	s_mov_b32 s1, -1
	s_branch .LBB135_2903
.LBB135_2887:
	s_mov_b32 s0, -1
                                        ; implicit-def: $vgpr28_vgpr29
.LBB135_2888:
	s_delay_alu instid0(SALU_CYCLE_1)
	s_and_not1_b32 vcc_lo, exec_lo, s0
	s_cbranch_vccnz .LBB135_2890
; %bb.2889:
	s_wait_loadcnt 0x0
	global_load_b32 v28, v[40:41], off
	s_wait_loadcnt 0x0
	v_cvt_f64_f32_e32 v[28:29], v28
.LBB135_2890:
	s_mov_b32 s0, 0
.LBB135_2891:
	s_delay_alu instid0(SALU_CYCLE_1)
	s_and_not1_b32 vcc_lo, exec_lo, s0
	s_cbranch_vccnz .LBB135_2893
; %bb.2892:
	s_wait_loadcnt 0x0
	global_load_u16 v28, v[40:41], off
	s_wait_loadcnt 0x0
	v_cvt_f32_f16_e32 v28, v28
	s_delay_alu instid0(VALU_DEP_1)
	v_cvt_f64_f32_e32 v[28:29], v28
.LBB135_2893:
	s_wait_loadcnt 0x0
	v_mov_b64_e32 v[30:31], 0
.LBB135_2894:
	s_mov_b32 s0, 0
.LBB135_2895:
	s_delay_alu instid0(SALU_CYCLE_1)
	s_and_not1_b32 vcc_lo, exec_lo, s0
	s_cbranch_vccnz .LBB135_2922
; %bb.2896:
	s_cmp_lt_i32 s7, 2
	s_cbranch_scc1 .LBB135_2900
; %bb.2897:
	s_cmp_lt_i32 s7, 3
	s_cbranch_scc1 .LBB135_2901
; %bb.2898:
	s_cmp_gt_i32 s7, 3
	s_cbranch_scc0 .LBB135_2908
; %bb.2899:
	s_wait_loadcnt 0x0
	global_load_b64 v[28:29], v[40:41], off
	s_mov_b32 s0, 0
	s_wait_loadcnt 0x0
	s_wait_xcnt 0x1
	v_cvt_f64_i32_e32 v[30:31], v29
	v_cvt_f64_u32_e32 v[28:29], v28
	s_delay_alu instid0(VALU_DEP_2) | instskip(NEXT) | instid1(VALU_DEP_1)
	v_ldexp_f64 v[30:31], v[30:31], 32
	v_add_f64_e32 v[28:29], v[30:31], v[28:29]
	s_branch .LBB135_2909
.LBB135_2900:
	s_mov_b32 s0, -1
                                        ; implicit-def: $vgpr28_vgpr29
	s_branch .LBB135_2915
.LBB135_2901:
	s_mov_b32 s0, -1
                                        ; implicit-def: $vgpr28_vgpr29
	s_branch .LBB135_2912
.LBB135_2902:
	s_mov_b32 s0, -1
.LBB135_2903:
                                        ; implicit-def: $vgpr28_vgpr29
.LBB135_2904:
	s_and_b32 vcc_lo, exec_lo, s1
	s_mov_b32 s1, 0
	s_cbranch_vccz .LBB135_2906
; %bb.2905:
	s_cmp_lg_u32 s7, 11
	s_mov_b32 s1, -1
	s_cselect_b32 s0, -1, 0
.LBB135_2906:
	s_wait_xcnt 0x0
	v_mov_b64_e32 v[30:31], 0
	s_and_b32 vcc_lo, exec_lo, s0
	s_cbranch_vccz .LBB135_2837
.LBB135_2907:
	s_or_b32 s12, s12, exec_lo
	s_trap 2
	s_cbranch_execz .LBB135_2838
	s_branch .LBB135_2839
.LBB135_2908:
	s_mov_b32 s0, -1
                                        ; implicit-def: $vgpr28_vgpr29
.LBB135_2909:
	s_delay_alu instid0(SALU_CYCLE_1)
	s_and_not1_b32 vcc_lo, exec_lo, s0
	s_cbranch_vccnz .LBB135_2911
; %bb.2910:
	s_wait_loadcnt 0x0
	global_load_b32 v28, v[40:41], off
	s_wait_loadcnt 0x0
	v_cvt_f64_i32_e32 v[28:29], v28
.LBB135_2911:
	s_mov_b32 s0, 0
.LBB135_2912:
	s_delay_alu instid0(SALU_CYCLE_1)
	s_and_not1_b32 vcc_lo, exec_lo, s0
	s_cbranch_vccnz .LBB135_2914
; %bb.2913:
	s_wait_loadcnt 0x0
	global_load_i16 v28, v[40:41], off
	s_wait_loadcnt 0x0
	v_cvt_f64_i32_e32 v[28:29], v28
.LBB135_2914:
	s_mov_b32 s0, 0
.LBB135_2915:
	s_delay_alu instid0(SALU_CYCLE_1)
	s_and_not1_b32 vcc_lo, exec_lo, s0
	s_cbranch_vccnz .LBB135_2921
; %bb.2916:
	s_cmp_gt_i32 s7, 0
	s_mov_b32 s0, 0
	s_cbranch_scc0 .LBB135_2918
; %bb.2917:
	s_wait_loadcnt 0x0
	global_load_i8 v28, v[40:41], off
	s_wait_loadcnt 0x0
	v_cvt_f64_i32_e32 v[28:29], v28
	s_branch .LBB135_2919
.LBB135_2918:
	s_mov_b32 s0, -1
                                        ; implicit-def: $vgpr28_vgpr29
.LBB135_2919:
	s_delay_alu instid0(SALU_CYCLE_1)
	s_and_not1_b32 vcc_lo, exec_lo, s0
	s_cbranch_vccnz .LBB135_2921
; %bb.2920:
	s_wait_loadcnt 0x0
	global_load_u8 v28, v[40:41], off
	s_wait_loadcnt 0x0
	v_cvt_f64_u32_e32 v[28:29], v28
.LBB135_2921:
	s_wait_loadcnt 0x0
	v_mov_b64_e32 v[30:31], 0
.LBB135_2922:
	s_mov_b32 s4, -1
.LBB135_2923:
	s_delay_alu instid0(SALU_CYCLE_1)
	s_and_not1_b32 vcc_lo, exec_lo, s4
	s_cbranch_vccnz .LBB135_3357
; %bb.2924:
	s_clause 0x2
	s_load_b128 s[4:7], s[2:3], 0x1f0
	s_load_b64 s[8:9], s[2:3], 0x1c8
	s_load_b32 s0, s[2:3], 0x200
	s_wait_kmcnt 0x0
	v_dual_mul_f64 v[40:41], s[4:5], v[2:3] :: v_dual_mov_b32 v39, 0
	v_mul_f64_e32 v[2:3], s[6:7], v[2:3]
	s_and_b32 s1, s0, 0xff
	s_delay_alu instid0(SALU_CYCLE_1) | instskip(NEXT) | instid1(VALU_DEP_2)
	s_cmp_lt_i32 s1, 11
	v_fmac_f64_e32 v[40:41], s[6:7], v[0:1]
	s_delay_alu instid0(VALU_DEP_2) | instskip(SKIP_1) | instid1(VALU_DEP_2)
	v_fma_f64 v[0:1], s[4:5], v[0:1], -v[2:3]
	s_wait_loadcnt 0x0
	v_mul_f64_e32 v[42:43], v[40:41], v[6:7]
	s_delay_alu instid0(VALU_DEP_2) | instskip(NEXT) | instid1(VALU_DEP_2)
	v_mul_f64_e32 v[2:3], v[0:1], v[6:7]
	v_fma_f64 v[0:1], v[0:1], v[4:5], -v[42:43]
	s_delay_alu instid0(VALU_DEP_2)
	v_fmac_f64_e32 v[2:3], v[40:41], v[4:5]
	v_add_nc_u64_e32 v[4:5], s[8:9], v[38:39]
	s_cbranch_scc1 .LBB135_3002
; %bb.2925:
	s_and_b32 s2, 0xffff, s1
	s_mov_b32 s14, -1
	s_mov_b32 s3, 0
	s_cmp_gt_i32 s2, 25
	s_mov_b32 s13, 0
	s_mov_b32 s0, 0
	s_cbranch_scc0 .LBB135_2958
; %bb.2926:
	s_cmp_gt_i32 s2, 28
	s_cbranch_scc0 .LBB135_2941
; %bb.2927:
	s_cmp_gt_i32 s2, 43
	;; [unrolled: 3-line block ×3, first 2 shown]
	s_cbranch_scc0 .LBB135_2931
; %bb.2929:
	s_mov_b32 s0, -1
	s_mov_b32 s14, 0
	s_cmp_eq_u32 s2, 46
	s_cbranch_scc0 .LBB135_2931
; %bb.2930:
	s_delay_alu instid0(VALU_DEP_2) | instskip(NEXT) | instid1(VALU_DEP_4)
	v_cvt_f32_f64_e32 v6, v[2:3]
	v_cvt_f32_f64_e32 v7, v[0:1]
	s_mov_b32 s0, 0
	s_mov_b32 s13, -1
	s_delay_alu instid0(VALU_DEP_2) | instskip(NEXT) | instid1(VALU_DEP_2)
	v_bfe_u32 v33, v6, 16, 1
	v_bfe_u32 v35, v7, 16, 1
	v_cmp_o_f32_e32 vcc_lo, v6, v6
	s_delay_alu instid0(VALU_DEP_3) | instskip(NEXT) | instid1(VALU_DEP_3)
	v_add3_u32 v33, v6, v33, 0x7fff
	v_add3_u32 v35, v7, v35, 0x7fff
	s_delay_alu instid0(VALU_DEP_2) | instskip(NEXT) | instid1(VALU_DEP_1)
	v_and_b32_e32 v33, 0xffff0000, v33
	v_dual_cndmask_b32 v6, 0x7fc00000, v33 :: v_dual_lshrrev_b32 v35, 16, v35
	v_cmp_o_f32_e32 vcc_lo, v7, v7
	s_delay_alu instid0(VALU_DEP_2) | instskip(NEXT) | instid1(VALU_DEP_1)
	v_cndmask_b32_e32 v7, 0x7fc0, v35, vcc_lo
	v_or_b32_e32 v6, v6, v7
	global_store_b32 v[4:5], v6, off
.LBB135_2931:
	s_and_b32 vcc_lo, exec_lo, s14
	s_cbranch_vccz .LBB135_2936
; %bb.2932:
	s_cmp_eq_u32 s2, 44
	s_mov_b32 s0, -1
	s_cbranch_scc0 .LBB135_2936
; %bb.2933:
	s_wait_xcnt 0x0
	s_delay_alu instid0(VALU_DEP_3) | instskip(SKIP_2) | instid1(VALU_DEP_2)
	v_cvt_f32_f64_e32 v6, v[0:1]
	v_mov_b32_e32 v7, 0xff
	s_mov_b32 s13, exec_lo
	v_bfe_u32 v33, v6, 23, 8
	s_delay_alu instid0(VALU_DEP_1)
	v_cmpx_ne_u32_e32 0xff, v33
	s_cbranch_execz .LBB135_2935
; %bb.2934:
	v_and_b32_e32 v7, 0x400000, v6
	v_and_or_b32 v33, 0x3fffff, v6, v33
	v_lshrrev_b32_e32 v6, 23, v6
	s_delay_alu instid0(VALU_DEP_3) | instskip(NEXT) | instid1(VALU_DEP_3)
	v_cmp_ne_u32_e32 vcc_lo, 0, v7
	v_cmp_ne_u32_e64 s0, 0, v33
	s_and_b32 s0, vcc_lo, s0
	s_delay_alu instid0(SALU_CYCLE_1) | instskip(NEXT) | instid1(VALU_DEP_1)
	v_cndmask_b32_e64 v7, 0, 1, s0
	v_add_nc_u32_e32 v7, v6, v7
.LBB135_2935:
	s_or_b32 exec_lo, exec_lo, s13
	s_mov_b32 s0, 0
	s_mov_b32 s13, -1
	global_store_b8 v[4:5], v7, off
.LBB135_2936:
	s_mov_b32 s14, 0
.LBB135_2937:
	s_delay_alu instid0(SALU_CYCLE_1)
	s_and_b32 vcc_lo, exec_lo, s14
	s_cbranch_vccz .LBB135_2940
; %bb.2938:
	s_cmp_eq_u32 s2, 29
	s_mov_b32 s0, -1
	s_cbranch_scc0 .LBB135_2940
; %bb.2939:
	s_wait_xcnt 0x0
	s_delay_alu instid0(VALU_DEP_3) | instskip(SKIP_2) | instid1(VALU_DEP_1)
	v_trunc_f64_e32 v[6:7], v[0:1]
	s_mov_b32 s0, 0
	s_mov_b32 s13, -1
	v_ldexp_f64 v[38:39], v[6:7], 0xffffffe0
	s_delay_alu instid0(VALU_DEP_1) | instskip(NEXT) | instid1(VALU_DEP_1)
	v_floor_f64_e32 v[38:39], v[38:39]
	v_fmamk_f64 v[6:7], v[38:39], 0xc1f00000, v[6:7]
	v_cvt_u32_f64_e32 v39, v[38:39]
	s_delay_alu instid0(VALU_DEP_2)
	v_cvt_u32_f64_e32 v38, v[6:7]
	global_store_b64 v[4:5], v[38:39], off
.LBB135_2940:
	s_mov_b32 s14, 0
.LBB135_2941:
	s_delay_alu instid0(SALU_CYCLE_1)
	s_and_b32 vcc_lo, exec_lo, s14
	s_cbranch_vccz .LBB135_2957
; %bb.2942:
	s_cmp_lt_i32 s2, 27
	s_mov_b32 s13, -1
	s_cbranch_scc1 .LBB135_2948
; %bb.2943:
	s_wait_xcnt 0x0
	s_delay_alu instid0(VALU_DEP_3)
	v_cvt_u32_f64_e32 v6, v[0:1]
	s_cmp_gt_i32 s2, 27
	s_cbranch_scc0 .LBB135_2945
; %bb.2944:
	s_mov_b32 s13, 0
	global_store_b32 v[4:5], v6, off
.LBB135_2945:
	s_and_not1_b32 vcc_lo, exec_lo, s13
	s_cbranch_vccnz .LBB135_2947
; %bb.2946:
	global_store_b16 v[4:5], v6, off
.LBB135_2947:
	s_mov_b32 s13, 0
.LBB135_2948:
	s_delay_alu instid0(SALU_CYCLE_1)
	s_and_not1_b32 vcc_lo, exec_lo, s13
	s_cbranch_vccnz .LBB135_2956
; %bb.2949:
	s_wait_xcnt 0x0
	s_delay_alu instid0(VALU_DEP_3) | instskip(SKIP_2) | instid1(VALU_DEP_2)
	v_cvt_f32_f64_e32 v6, v[0:1]
	v_mov_b32_e32 v33, 0x80
	s_mov_b32 s13, exec_lo
	v_and_b32_e32 v7, 0x7fffffff, v6
	s_delay_alu instid0(VALU_DEP_1)
	v_cmpx_gt_u32_e32 0x43800000, v7
	s_cbranch_execz .LBB135_2955
; %bb.2950:
	v_cmp_lt_u32_e32 vcc_lo, 0x3bffffff, v7
	s_mov_b32 s14, 0
                                        ; implicit-def: $vgpr7
	s_and_saveexec_b32 s15, vcc_lo
	s_delay_alu instid0(SALU_CYCLE_1)
	s_xor_b32 s15, exec_lo, s15
	s_cbranch_execnz .LBB135_3408
; %bb.2951:
	s_and_not1_saveexec_b32 s15, s15
	s_cbranch_execnz .LBB135_3409
.LBB135_2952:
	s_or_b32 exec_lo, exec_lo, s15
	v_mov_b32_e32 v33, 0
	s_and_saveexec_b32 s15, s14
.LBB135_2953:
	v_lshrrev_b32_e32 v6, 24, v6
	s_delay_alu instid0(VALU_DEP_1)
	v_and_or_b32 v33, 0x80, v6, v7
.LBB135_2954:
	s_or_b32 exec_lo, exec_lo, s15
.LBB135_2955:
	s_delay_alu instid0(SALU_CYCLE_1)
	s_or_b32 exec_lo, exec_lo, s13
	global_store_b8 v[4:5], v33, off
.LBB135_2956:
	s_mov_b32 s13, -1
.LBB135_2957:
	s_mov_b32 s14, 0
.LBB135_2958:
	s_delay_alu instid0(SALU_CYCLE_1)
	s_and_b32 vcc_lo, exec_lo, s14
	s_cbranch_vccz .LBB135_2998
; %bb.2959:
	s_cmp_gt_i32 s2, 22
	s_mov_b32 s3, -1
	s_cbranch_scc0 .LBB135_2991
; %bb.2960:
	s_cmp_lt_i32 s2, 24
	s_cbranch_scc1 .LBB135_2980
; %bb.2961:
	s_cmp_gt_i32 s2, 24
	s_cbranch_scc0 .LBB135_2969
; %bb.2962:
	s_wait_xcnt 0x0
	s_delay_alu instid0(VALU_DEP_3) | instskip(SKIP_2) | instid1(VALU_DEP_2)
	v_cvt_f32_f64_e32 v6, v[0:1]
	v_mov_b32_e32 v33, 0x80
	s_mov_b32 s3, exec_lo
	v_and_b32_e32 v7, 0x7fffffff, v6
	s_delay_alu instid0(VALU_DEP_1)
	v_cmpx_gt_u32_e32 0x47800000, v7
	s_cbranch_execz .LBB135_2968
; %bb.2963:
	v_cmp_lt_u32_e32 vcc_lo, 0x37ffffff, v7
	s_mov_b32 s13, 0
                                        ; implicit-def: $vgpr7
	s_and_saveexec_b32 s14, vcc_lo
	s_delay_alu instid0(SALU_CYCLE_1)
	s_xor_b32 s14, exec_lo, s14
	s_cbranch_execnz .LBB135_3411
; %bb.2964:
	s_and_not1_saveexec_b32 s14, s14
	s_cbranch_execnz .LBB135_3412
.LBB135_2965:
	s_or_b32 exec_lo, exec_lo, s14
	v_mov_b32_e32 v33, 0
	s_and_saveexec_b32 s14, s13
.LBB135_2966:
	v_lshrrev_b32_e32 v6, 24, v6
	s_delay_alu instid0(VALU_DEP_1)
	v_and_or_b32 v33, 0x80, v6, v7
.LBB135_2967:
	s_or_b32 exec_lo, exec_lo, s14
.LBB135_2968:
	s_delay_alu instid0(SALU_CYCLE_1)
	s_or_b32 exec_lo, exec_lo, s3
	s_mov_b32 s3, 0
	global_store_b8 v[4:5], v33, off
.LBB135_2969:
	s_and_b32 vcc_lo, exec_lo, s3
	s_cbranch_vccz .LBB135_2979
; %bb.2970:
	s_wait_xcnt 0x0
	s_delay_alu instid0(VALU_DEP_3) | instskip(SKIP_1) | instid1(VALU_DEP_1)
	v_cvt_f32_f64_e32 v6, v[0:1]
	s_mov_b32 s3, exec_lo
                                        ; implicit-def: $vgpr7
	v_and_b32_e32 v33, 0x7fffffff, v6
	s_delay_alu instid0(VALU_DEP_1)
	v_cmpx_gt_u32_e32 0x43f00000, v33
	s_xor_b32 s3, exec_lo, s3
	s_cbranch_execz .LBB135_2976
; %bb.2971:
	s_mov_b32 s13, exec_lo
                                        ; implicit-def: $vgpr7
	v_cmpx_lt_u32_e32 0x3c7fffff, v33
	s_xor_b32 s13, exec_lo, s13
; %bb.2972:
	v_bfe_u32 v7, v6, 20, 1
	s_delay_alu instid0(VALU_DEP_1) | instskip(NEXT) | instid1(VALU_DEP_1)
	v_add3_u32 v7, v6, v7, 0x407ffff
	v_and_b32_e32 v33, 0xff00000, v7
	v_lshrrev_b32_e32 v7, 20, v7
	s_delay_alu instid0(VALU_DEP_2) | instskip(NEXT) | instid1(VALU_DEP_2)
	v_cmp_ne_u32_e32 vcc_lo, 0x7f00000, v33
	v_cndmask_b32_e32 v7, 0x7e, v7, vcc_lo
; %bb.2973:
	s_and_not1_saveexec_b32 s13, s13
; %bb.2974:
	v_add_f32_e64 v7, 0x46800000, |v6|
; %bb.2975:
	s_or_b32 exec_lo, exec_lo, s13
                                        ; implicit-def: $vgpr33
.LBB135_2976:
	s_and_not1_saveexec_b32 s3, s3
; %bb.2977:
	v_mov_b32_e32 v7, 0x7f
	v_cmp_lt_u32_e32 vcc_lo, 0x7f800000, v33
	s_delay_alu instid0(VALU_DEP_2)
	v_cndmask_b32_e32 v7, 0x7e, v7, vcc_lo
; %bb.2978:
	s_or_b32 exec_lo, exec_lo, s3
	v_lshrrev_b32_e32 v6, 24, v6
	s_delay_alu instid0(VALU_DEP_1)
	v_and_or_b32 v6, 0x80, v6, v7
	global_store_b8 v[4:5], v6, off
.LBB135_2979:
	s_mov_b32 s3, 0
.LBB135_2980:
	s_delay_alu instid0(SALU_CYCLE_1)
	s_and_not1_b32 vcc_lo, exec_lo, s3
	s_cbranch_vccnz .LBB135_2990
; %bb.2981:
	s_wait_xcnt 0x0
	s_delay_alu instid0(VALU_DEP_3) | instskip(SKIP_1) | instid1(VALU_DEP_1)
	v_cvt_f32_f64_e32 v6, v[0:1]
	s_mov_b32 s3, exec_lo
                                        ; implicit-def: $vgpr7
	v_and_b32_e32 v33, 0x7fffffff, v6
	s_delay_alu instid0(VALU_DEP_1)
	v_cmpx_gt_u32_e32 0x47800000, v33
	s_xor_b32 s3, exec_lo, s3
	s_cbranch_execz .LBB135_2987
; %bb.2982:
	s_mov_b32 s13, exec_lo
                                        ; implicit-def: $vgpr7
	v_cmpx_lt_u32_e32 0x387fffff, v33
	s_xor_b32 s13, exec_lo, s13
; %bb.2983:
	v_bfe_u32 v7, v6, 21, 1
	s_delay_alu instid0(VALU_DEP_1) | instskip(NEXT) | instid1(VALU_DEP_1)
	v_add3_u32 v7, v6, v7, 0x80fffff
	v_lshrrev_b32_e32 v7, 21, v7
; %bb.2984:
	s_and_not1_saveexec_b32 s13, s13
; %bb.2985:
	v_add_f32_e64 v7, 0x43000000, |v6|
; %bb.2986:
	s_or_b32 exec_lo, exec_lo, s13
                                        ; implicit-def: $vgpr33
.LBB135_2987:
	s_and_not1_saveexec_b32 s3, s3
; %bb.2988:
	v_mov_b32_e32 v7, 0x7f
	v_cmp_lt_u32_e32 vcc_lo, 0x7f800000, v33
	s_delay_alu instid0(VALU_DEP_2)
	v_cndmask_b32_e32 v7, 0x7c, v7, vcc_lo
; %bb.2989:
	s_or_b32 exec_lo, exec_lo, s3
	v_lshrrev_b32_e32 v6, 24, v6
	s_delay_alu instid0(VALU_DEP_1)
	v_and_or_b32 v6, 0x80, v6, v7
	global_store_b8 v[4:5], v6, off
.LBB135_2990:
	s_mov_b32 s3, 0
	s_mov_b32 s13, -1
.LBB135_2991:
	s_and_not1_b32 vcc_lo, exec_lo, s3
	s_mov_b32 s3, 0
	s_cbranch_vccnz .LBB135_2998
; %bb.2992:
	s_cmp_gt_i32 s2, 14
	s_mov_b32 s3, -1
	s_cbranch_scc0 .LBB135_2996
; %bb.2993:
	s_cmp_eq_u32 s2, 15
	s_mov_b32 s0, -1
	s_cbranch_scc0 .LBB135_2995
; %bb.2994:
	s_wait_xcnt 0x0
	s_delay_alu instid0(VALU_DEP_3) | instskip(SKIP_2) | instid1(VALU_DEP_1)
	v_cvt_f32_f64_e32 v6, v[0:1]
	s_mov_b32 s0, 0
	s_mov_b32 s13, -1
	v_bfe_u32 v7, v6, 16, 1
	v_cmp_o_f32_e32 vcc_lo, v6, v6
	s_delay_alu instid0(VALU_DEP_2) | instskip(NEXT) | instid1(VALU_DEP_1)
	v_add3_u32 v7, v6, v7, 0x7fff
	v_lshrrev_b32_e32 v7, 16, v7
	s_delay_alu instid0(VALU_DEP_1)
	v_cndmask_b32_e32 v6, 0x7fc0, v7, vcc_lo
	global_store_b16 v[4:5], v6, off
.LBB135_2995:
	s_mov_b32 s3, 0
.LBB135_2996:
	s_delay_alu instid0(SALU_CYCLE_1)
	s_and_b32 vcc_lo, exec_lo, s3
	s_mov_b32 s3, 0
	s_cbranch_vccz .LBB135_2998
; %bb.2997:
	s_cmp_lg_u32 s2, 11
	s_mov_b32 s3, -1
	s_cselect_b32 s0, -1, 0
.LBB135_2998:
	s_delay_alu instid0(SALU_CYCLE_1)
	s_and_b32 vcc_lo, exec_lo, s0
	s_cbranch_vccnz .LBB135_3407
; %bb.2999:
	s_and_not1_b32 vcc_lo, exec_lo, s3
	s_cbranch_vccnz .LBB135_3001
.LBB135_3000:
	s_delay_alu instid0(VALU_DEP_3) | instskip(NEXT) | instid1(VALU_DEP_3)
	v_cmp_neq_f64_e32 vcc_lo, 0, v[0:1]
	v_cmp_neq_f64_e64 s0, 0, v[2:3]
	s_mov_b32 s13, -1
	s_or_b32 s0, vcc_lo, s0
	s_wait_xcnt 0x0
	v_cndmask_b32_e64 v6, 0, 1, s0
	global_store_b8 v[4:5], v6, off
.LBB135_3001:
	s_mov_b32 s0, 0
	s_branch .LBB135_3003
.LBB135_3002:
	s_mov_b32 s0, -1
	s_mov_b32 s13, 0
.LBB135_3003:
	s_and_b32 vcc_lo, exec_lo, s0
	s_cbranch_vccz .LBB135_3042
; %bb.3004:
	s_and_b32 s0, 0xffff, s1
	s_mov_b32 s2, -1
	s_cmp_lt_i32 s0, 5
	s_cbranch_scc1 .LBB135_3025
; %bb.3005:
	s_cmp_lt_i32 s0, 8
	s_cbranch_scc1 .LBB135_3015
; %bb.3006:
	;; [unrolled: 3-line block ×3, first 2 shown]
	s_cmp_gt_i32 s0, 9
	s_cbranch_scc0 .LBB135_3009
; %bb.3008:
	s_mov_b32 s2, 0
	global_store_b128 v[4:5], v[0:3], off
.LBB135_3009:
	s_and_not1_b32 vcc_lo, exec_lo, s2
	s_cbranch_vccnz .LBB135_3011
; %bb.3010:
	s_wait_xcnt 0x0
	s_delay_alu instid0(VALU_DEP_3) | instskip(NEXT) | instid1(VALU_DEP_3)
	v_cvt_f32_f64_e32 v6, v[0:1]
	v_cvt_f32_f64_e32 v7, v[2:3]
	global_store_b64 v[4:5], v[6:7], off
.LBB135_3011:
	s_mov_b32 s2, 0
.LBB135_3012:
	s_delay_alu instid0(SALU_CYCLE_1)
	s_and_not1_b32 vcc_lo, exec_lo, s2
	s_cbranch_vccnz .LBB135_3014
; %bb.3013:
	s_wait_xcnt 0x0
	s_delay_alu instid0(VALU_DEP_3) | instskip(NEXT) | instid1(VALU_DEP_3)
	v_and_or_b32 v6, 0x1ff, v1, v0
	v_and_or_b32 v2, 0x1ff, v3, v2
	v_dual_lshrrev_b32 v7, 8, v1 :: v_dual_lshrrev_b32 v37, 8, v3
	v_bfe_u32 v33, v1, 20, 11
	s_delay_alu instid0(VALU_DEP_4) | instskip(SKIP_2) | instid1(VALU_DEP_4)
	v_cmp_ne_u32_e32 vcc_lo, 0, v6
	v_bfe_u32 v35, v3, 20, 11
	v_dual_lshrrev_b32 v3, 16, v3 :: v_dual_lshrrev_b32 v43, 16, v1
	v_sub_nc_u32_e32 v38, 0x3f1, v33
	v_cndmask_b32_e64 v6, 0, 1, vcc_lo
	v_cmp_ne_u32_e32 vcc_lo, 0, v2
	v_add_nc_u32_e32 v33, 0xfffffc10, v33
	s_delay_alu instid0(VALU_DEP_3) | instskip(SKIP_3) | instid1(VALU_DEP_3)
	v_and_or_b32 v6, 0xffe, v7, v6
	v_cndmask_b32_e64 v2, 0, 1, vcc_lo
	v_sub_nc_u32_e32 v7, 0x3f1, v35
	v_add_nc_u32_e32 v35, 0xfffffc10, v35
	v_and_or_b32 v2, 0xffe, v37, v2
	v_med3_i32 v37, v38, 0, 13
	v_or_b32_e32 v38, 0x1000, v6
	v_med3_i32 v7, v7, 0, 13
	s_delay_alu instid0(VALU_DEP_4) | instskip(NEXT) | instid1(VALU_DEP_1)
	v_or_b32_e32 v39, 0x1000, v2
	v_dual_lshrrev_b32 v40, v37, v38 :: v_dual_lshrrev_b32 v41, v7, v39
	s_delay_alu instid0(VALU_DEP_1) | instskip(NEXT) | instid1(VALU_DEP_1)
	v_dual_lshlrev_b32 v37, v37, v40 :: v_dual_lshlrev_b32 v7, v7, v41
	v_cmp_ne_u32_e32 vcc_lo, v37, v38
	v_lshl_or_b32 v38, v33, 12, v6
	v_cndmask_b32_e64 v37, 0, 1, vcc_lo
	s_delay_alu instid0(VALU_DEP_4) | instskip(SKIP_1) | instid1(VALU_DEP_3)
	v_cmp_ne_u32_e32 vcc_lo, v7, v39
	v_lshl_or_b32 v39, v35, 12, v2
	v_or_b32_e32 v37, v40, v37
	v_cndmask_b32_e64 v7, 0, 1, vcc_lo
	v_cmp_gt_i32_e32 vcc_lo, 1, v33
	v_mov_b32_e32 v40, 0x7e00
	s_delay_alu instid0(VALU_DEP_3) | instskip(SKIP_1) | instid1(VALU_DEP_2)
	v_dual_cndmask_b32 v37, v38, v37, vcc_lo :: v_dual_bitop2_b32 v7, v41, v7 bitop3:0x54
	v_cmp_gt_i32_e32 vcc_lo, 1, v35
	v_dual_lshrrev_b32 v37, 2, v37 :: v_dual_bitop2_b32 v38, 7, v37 bitop3:0x40
	s_delay_alu instid0(VALU_DEP_3) | instskip(NEXT) | instid1(VALU_DEP_2)
	v_cndmask_b32_e32 v7, v39, v7, vcc_lo
	v_cmp_lt_i32_e32 vcc_lo, 5, v38
	s_delay_alu instid0(VALU_DEP_2) | instskip(SKIP_1) | instid1(VALU_DEP_2)
	v_dual_lshrrev_b32 v7, 2, v7 :: v_dual_bitop2_b32 v39, 7, v7 bitop3:0x40
	v_cndmask_b32_e64 v41, 0, 1, vcc_lo
	v_cmp_lt_i32_e32 vcc_lo, 5, v39
	v_cndmask_b32_e64 v42, 0, 1, vcc_lo
	v_cmp_eq_u32_e32 vcc_lo, 3, v39
	v_cndmask_b32_e64 v39, 0, 1, vcc_lo
	v_cmp_eq_u32_e32 vcc_lo, 3, v38
	s_delay_alu instid0(VALU_DEP_2) | instskip(SKIP_2) | instid1(VALU_DEP_2)
	v_or_b32_e32 v39, v39, v42
	v_cndmask_b32_e64 v38, 0, 1, vcc_lo
	v_cmp_ne_u32_e32 vcc_lo, 0, v6
	v_dual_add_nc_u32 v7, v7, v39 :: v_dual_bitop2_b32 v38, v38, v41 bitop3:0x54
	v_cndmask_b32_e32 v6, 0x7c00, v40, vcc_lo
	v_cmp_ne_u32_e32 vcc_lo, 0, v2
	s_delay_alu instid0(VALU_DEP_3)
	v_add_nc_u32_e32 v37, v37, v38
	v_and_b32_e32 v38, 0x8000, v43
	v_cndmask_b32_e32 v2, 0x7c00, v40, vcc_lo
	v_cmp_gt_i32_e32 vcc_lo, 31, v35
	v_cndmask_b32_e32 v7, 0x7c00, v7, vcc_lo
	v_cmp_gt_i32_e32 vcc_lo, 31, v33
	v_cndmask_b32_e32 v37, 0x7c00, v37, vcc_lo
	v_cmp_eq_u32_e32 vcc_lo, 0x40f, v35
	s_delay_alu instid0(VALU_DEP_4) | instskip(SKIP_1) | instid1(VALU_DEP_2)
	v_cndmask_b32_e32 v2, v7, v2, vcc_lo
	v_cmp_eq_u32_e32 vcc_lo, 0x40f, v33
	v_and_or_b32 v2, 0x8000, v3, v2
	v_cndmask_b32_e32 v6, v37, v6, vcc_lo
	s_delay_alu instid0(VALU_DEP_1) | instskip(NEXT) | instid1(VALU_DEP_1)
	v_bitop3_b32 v3, v38, 0xffff, v6 bitop3:0xc8
	v_lshl_or_b32 v2, v2, 16, v3
	global_store_b32 v[4:5], v2, off
.LBB135_3014:
	s_mov_b32 s2, 0
.LBB135_3015:
	s_delay_alu instid0(SALU_CYCLE_1)
	s_and_not1_b32 vcc_lo, exec_lo, s2
	s_cbranch_vccnz .LBB135_3024
; %bb.3016:
	s_cmp_lt_i32 s0, 6
	s_mov_b32 s2, -1
	s_cbranch_scc1 .LBB135_3022
; %bb.3017:
	s_cmp_gt_i32 s0, 6
	s_cbranch_scc0 .LBB135_3019
; %bb.3018:
	s_mov_b32 s2, 0
	global_store_b64 v[4:5], v[0:1], off
.LBB135_3019:
	s_and_not1_b32 vcc_lo, exec_lo, s2
	s_cbranch_vccnz .LBB135_3021
; %bb.3020:
	s_wait_xcnt 0x0
	s_delay_alu instid0(VALU_DEP_3)
	v_cvt_f32_f64_e32 v2, v[0:1]
	global_store_b32 v[4:5], v2, off
.LBB135_3021:
	s_mov_b32 s2, 0
.LBB135_3022:
	s_delay_alu instid0(SALU_CYCLE_1)
	s_and_not1_b32 vcc_lo, exec_lo, s2
	s_cbranch_vccnz .LBB135_3024
; %bb.3023:
	s_wait_xcnt 0x0
	s_delay_alu instid0(VALU_DEP_3) | instskip(SKIP_2) | instid1(VALU_DEP_3)
	v_and_or_b32 v2, 0x1ff, v1, v0
	v_lshrrev_b32_e32 v3, 8, v1
	v_bfe_u32 v6, v1, 20, 11
	v_cmp_ne_u32_e32 vcc_lo, 0, v2
	s_delay_alu instid0(VALU_DEP_2) | instskip(SKIP_1) | instid1(VALU_DEP_1)
	v_sub_nc_u32_e32 v7, 0x3f1, v6
	v_cndmask_b32_e64 v2, 0, 1, vcc_lo
	v_and_or_b32 v2, 0xffe, v3, v2
	s_delay_alu instid0(VALU_DEP_3) | instskip(NEXT) | instid1(VALU_DEP_2)
	v_med3_i32 v3, v7, 0, 13
	v_or_b32_e32 v7, 0x1000, v2
	s_delay_alu instid0(VALU_DEP_1) | instskip(NEXT) | instid1(VALU_DEP_1)
	v_lshrrev_b32_e32 v33, v3, v7
	v_lshlrev_b32_e32 v3, v3, v33
	s_delay_alu instid0(VALU_DEP_1) | instskip(SKIP_1) | instid1(VALU_DEP_1)
	v_cmp_ne_u32_e32 vcc_lo, v3, v7
	v_cndmask_b32_e64 v3, 0, 1, vcc_lo
	v_or_b32_e32 v3, v33, v3
	v_add_nc_u32_e32 v6, 0xfffffc10, v6
	s_delay_alu instid0(VALU_DEP_1) | instskip(SKIP_1) | instid1(VALU_DEP_2)
	v_lshl_or_b32 v7, v6, 12, v2
	v_cmp_gt_i32_e32 vcc_lo, 1, v6
	v_cndmask_b32_e32 v3, v7, v3, vcc_lo
	s_delay_alu instid0(VALU_DEP_1) | instskip(NEXT) | instid1(VALU_DEP_1)
	v_dual_lshrrev_b32 v3, 2, v3 :: v_dual_bitop2_b32 v7, 7, v3 bitop3:0x40
	v_cmp_lt_i32_e32 vcc_lo, 5, v7
	v_cndmask_b32_e64 v33, 0, 1, vcc_lo
	v_cmp_eq_u32_e32 vcc_lo, 3, v7
	v_cndmask_b32_e64 v7, 0, 1, vcc_lo
	v_cmp_ne_u32_e32 vcc_lo, 0, v2
	s_delay_alu instid0(VALU_DEP_2) | instskip(SKIP_1) | instid1(VALU_DEP_1)
	v_or_b32_e32 v7, v7, v33
	v_mov_b32_e32 v33, 0x7e00
	v_dual_cndmask_b32 v2, 0x7c00, v33 :: v_dual_add_nc_u32 v3, v3, v7
	v_cmp_gt_i32_e32 vcc_lo, 31, v6
	s_delay_alu instid0(VALU_DEP_2) | instskip(SKIP_1) | instid1(VALU_DEP_2)
	v_cndmask_b32_e32 v3, 0x7c00, v3, vcc_lo
	v_cmp_eq_u32_e32 vcc_lo, 0x40f, v6
	v_dual_cndmask_b32 v2, v3, v2 :: v_dual_lshrrev_b32 v3, 16, v1
	s_delay_alu instid0(VALU_DEP_1)
	v_and_or_b32 v2, 0x8000, v3, v2
	global_store_b16 v[4:5], v2, off
.LBB135_3024:
	s_mov_b32 s2, 0
.LBB135_3025:
	s_delay_alu instid0(SALU_CYCLE_1)
	s_and_not1_b32 vcc_lo, exec_lo, s2
	s_cbranch_vccnz .LBB135_3041
; %bb.3026:
	s_cmp_lt_i32 s0, 2
	s_mov_b32 s2, -1
	s_cbranch_scc1 .LBB135_3036
; %bb.3027:
	s_cmp_lt_i32 s0, 3
	s_cbranch_scc1 .LBB135_3033
; %bb.3028:
	s_cmp_gt_i32 s0, 3
	s_cbranch_scc0 .LBB135_3030
; %bb.3029:
	s_wait_xcnt 0x0
	s_delay_alu instid0(VALU_DEP_3) | instskip(SKIP_1) | instid1(VALU_DEP_1)
	v_trunc_f64_e32 v[2:3], v[0:1]
	s_mov_b32 s2, 0
	v_ldexp_f64 v[6:7], v[2:3], 0xffffffe0
	s_delay_alu instid0(VALU_DEP_1) | instskip(NEXT) | instid1(VALU_DEP_1)
	v_floor_f64_e32 v[6:7], v[6:7]
	v_fmamk_f64 v[2:3], v[6:7], 0xc1f00000, v[2:3]
	v_cvt_i32_f64_e32 v7, v[6:7]
	s_delay_alu instid0(VALU_DEP_2)
	v_cvt_u32_f64_e32 v6, v[2:3]
	global_store_b64 v[4:5], v[6:7], off
.LBB135_3030:
	s_and_not1_b32 vcc_lo, exec_lo, s2
	s_cbranch_vccnz .LBB135_3032
; %bb.3031:
	s_wait_xcnt 0x0
	s_delay_alu instid0(VALU_DEP_3)
	v_cvt_i32_f64_e32 v2, v[0:1]
	global_store_b32 v[4:5], v2, off
.LBB135_3032:
	s_mov_b32 s2, 0
.LBB135_3033:
	s_delay_alu instid0(SALU_CYCLE_1)
	s_and_not1_b32 vcc_lo, exec_lo, s2
	s_cbranch_vccnz .LBB135_3035
; %bb.3034:
	s_wait_xcnt 0x0
	s_delay_alu instid0(VALU_DEP_3)
	v_cvt_i32_f64_e32 v2, v[0:1]
	global_store_b16 v[4:5], v2, off
.LBB135_3035:
	s_mov_b32 s2, 0
.LBB135_3036:
	s_delay_alu instid0(SALU_CYCLE_1)
	s_and_not1_b32 vcc_lo, exec_lo, s2
	s_cbranch_vccnz .LBB135_3041
; %bb.3037:
	s_cmp_gt_i32 s0, 0
	s_mov_b32 s0, -1
	s_cbranch_scc0 .LBB135_3039
; %bb.3038:
	s_wait_xcnt 0x0
	s_delay_alu instid0(VALU_DEP_3)
	v_cvt_i32_f64_e32 v2, v[0:1]
	s_mov_b32 s0, 0
	global_store_b8 v[4:5], v2, off
.LBB135_3039:
	s_and_not1_b32 vcc_lo, exec_lo, s0
	s_cbranch_vccnz .LBB135_3041
; %bb.3040:
	s_wait_xcnt 0x0
	s_delay_alu instid0(VALU_DEP_3) | instskip(NEXT) | instid1(VALU_DEP_1)
	v_trunc_f64_e32 v[0:1], v[0:1]
	v_ldexp_f64 v[2:3], v[0:1], 0xffffffe0
	s_delay_alu instid0(VALU_DEP_1) | instskip(NEXT) | instid1(VALU_DEP_1)
	v_floor_f64_e32 v[2:3], v[2:3]
	v_fmamk_f64 v[0:1], v[2:3], 0xc1f00000, v[0:1]
	s_delay_alu instid0(VALU_DEP_1)
	v_cvt_u32_f64_e32 v0, v[0:1]
	global_store_b8 v[4:5], v0, off
.LBB135_3041:
	s_mov_b32 s13, -1
.LBB135_3042:
	s_delay_alu instid0(SALU_CYCLE_1)
	s_and_not1_b32 vcc_lo, exec_lo, s13
	s_cbranch_vccnz .LBB135_3357
; %bb.3043:
	s_wait_xcnt 0x0
	v_dual_mul_f64 v[4:5], s[4:5], v[10:11] :: v_dual_mov_b32 v37, 0
	v_mul_f64_e32 v[0:1], s[6:7], v[10:11]
	s_and_b32 s2, 0xffff, s1
	s_delay_alu instid0(SALU_CYCLE_1) | instskip(NEXT) | instid1(VALU_DEP_2)
	s_cmp_lt_i32 s2, 11
	v_fmac_f64_e32 v[4:5], s[6:7], v[8:9]
	s_delay_alu instid0(VALU_DEP_2) | instskip(NEXT) | instid1(VALU_DEP_2)
	v_fma_f64 v[0:1], s[4:5], v[8:9], -v[0:1]
	v_mul_f64_e32 v[6:7], v[4:5], v[14:15]
	s_delay_alu instid0(VALU_DEP_2) | instskip(NEXT) | instid1(VALU_DEP_2)
	v_mul_f64_e32 v[2:3], v[0:1], v[14:15]
	v_fma_f64 v[0:1], v[0:1], v[12:13], -v[6:7]
	s_delay_alu instid0(VALU_DEP_2)
	v_fmac_f64_e32 v[2:3], v[4:5], v[12:13]
	v_add_nc_u64_e32 v[4:5], s[8:9], v[36:37]
	s_cbranch_scc1 .LBB135_3121
; %bb.3044:
	s_mov_b32 s14, -1
	s_mov_b32 s3, 0
	s_cmp_gt_i32 s2, 25
	s_mov_b32 s13, 0
	s_mov_b32 s0, 0
	s_cbranch_scc0 .LBB135_3077
; %bb.3045:
	s_cmp_gt_i32 s2, 28
	s_cbranch_scc0 .LBB135_3060
; %bb.3046:
	s_cmp_gt_i32 s2, 43
	;; [unrolled: 3-line block ×3, first 2 shown]
	s_cbranch_scc0 .LBB135_3050
; %bb.3048:
	s_mov_b32 s0, -1
	s_mov_b32 s14, 0
	s_cmp_eq_u32 s2, 46
	s_cbranch_scc0 .LBB135_3050
; %bb.3049:
	s_delay_alu instid0(VALU_DEP_2) | instskip(NEXT) | instid1(VALU_DEP_4)
	v_cvt_f32_f64_e32 v6, v[2:3]
	v_cvt_f32_f64_e32 v7, v[0:1]
	s_mov_b32 s0, 0
	s_mov_b32 s13, -1
	s_delay_alu instid0(VALU_DEP_2) | instskip(NEXT) | instid1(VALU_DEP_2)
	v_bfe_u32 v8, v6, 16, 1
	v_bfe_u32 v9, v7, 16, 1
	v_cmp_o_f32_e32 vcc_lo, v6, v6
	s_delay_alu instid0(VALU_DEP_3) | instskip(NEXT) | instid1(VALU_DEP_3)
	v_add3_u32 v8, v6, v8, 0x7fff
	v_add3_u32 v9, v7, v9, 0x7fff
	s_delay_alu instid0(VALU_DEP_2) | instskip(NEXT) | instid1(VALU_DEP_1)
	v_and_b32_e32 v8, 0xffff0000, v8
	v_dual_cndmask_b32 v6, 0x7fc00000, v8 :: v_dual_lshrrev_b32 v9, 16, v9
	v_cmp_o_f32_e32 vcc_lo, v7, v7
	s_delay_alu instid0(VALU_DEP_2) | instskip(NEXT) | instid1(VALU_DEP_1)
	v_cndmask_b32_e32 v7, 0x7fc0, v9, vcc_lo
	v_or_b32_e32 v6, v6, v7
	global_store_b32 v[4:5], v6, off
.LBB135_3050:
	s_and_b32 vcc_lo, exec_lo, s14
	s_cbranch_vccz .LBB135_3055
; %bb.3051:
	s_cmp_eq_u32 s2, 44
	s_mov_b32 s0, -1
	s_cbranch_scc0 .LBB135_3055
; %bb.3052:
	s_wait_xcnt 0x0
	s_delay_alu instid0(VALU_DEP_3) | instskip(SKIP_2) | instid1(VALU_DEP_2)
	v_cvt_f32_f64_e32 v6, v[0:1]
	v_mov_b32_e32 v7, 0xff
	s_mov_b32 s13, exec_lo
	v_bfe_u32 v8, v6, 23, 8
	s_delay_alu instid0(VALU_DEP_1)
	v_cmpx_ne_u32_e32 0xff, v8
	s_cbranch_execz .LBB135_3054
; %bb.3053:
	v_and_b32_e32 v7, 0x400000, v6
	v_and_or_b32 v8, 0x3fffff, v6, v8
	v_lshrrev_b32_e32 v6, 23, v6
	s_delay_alu instid0(VALU_DEP_3) | instskip(NEXT) | instid1(VALU_DEP_3)
	v_cmp_ne_u32_e32 vcc_lo, 0, v7
	v_cmp_ne_u32_e64 s0, 0, v8
	s_and_b32 s0, vcc_lo, s0
	s_delay_alu instid0(SALU_CYCLE_1) | instskip(NEXT) | instid1(VALU_DEP_1)
	v_cndmask_b32_e64 v7, 0, 1, s0
	v_add_nc_u32_e32 v7, v6, v7
.LBB135_3054:
	s_or_b32 exec_lo, exec_lo, s13
	s_mov_b32 s0, 0
	s_mov_b32 s13, -1
	global_store_b8 v[4:5], v7, off
.LBB135_3055:
	s_mov_b32 s14, 0
.LBB135_3056:
	s_delay_alu instid0(SALU_CYCLE_1)
	s_and_b32 vcc_lo, exec_lo, s14
	s_cbranch_vccz .LBB135_3059
; %bb.3057:
	s_cmp_eq_u32 s2, 29
	s_mov_b32 s0, -1
	s_cbranch_scc0 .LBB135_3059
; %bb.3058:
	s_wait_xcnt 0x0
	s_delay_alu instid0(VALU_DEP_3) | instskip(SKIP_2) | instid1(VALU_DEP_1)
	v_trunc_f64_e32 v[6:7], v[0:1]
	s_mov_b32 s0, 0
	s_mov_b32 s13, -1
	v_ldexp_f64 v[8:9], v[6:7], 0xffffffe0
	s_delay_alu instid0(VALU_DEP_1) | instskip(NEXT) | instid1(VALU_DEP_1)
	v_floor_f64_e32 v[8:9], v[8:9]
	v_fmamk_f64 v[6:7], v[8:9], 0xc1f00000, v[6:7]
	v_cvt_u32_f64_e32 v9, v[8:9]
	s_delay_alu instid0(VALU_DEP_2)
	v_cvt_u32_f64_e32 v8, v[6:7]
	global_store_b64 v[4:5], v[8:9], off
.LBB135_3059:
	s_mov_b32 s14, 0
.LBB135_3060:
	s_delay_alu instid0(SALU_CYCLE_1)
	s_and_b32 vcc_lo, exec_lo, s14
	s_cbranch_vccz .LBB135_3076
; %bb.3061:
	s_cmp_lt_i32 s2, 27
	s_mov_b32 s13, -1
	s_cbranch_scc1 .LBB135_3067
; %bb.3062:
	s_cmp_gt_i32 s2, 27
	s_cbranch_scc0 .LBB135_3064
; %bb.3063:
	s_wait_xcnt 0x0
	s_delay_alu instid0(VALU_DEP_3)
	v_cvt_u32_f64_e32 v6, v[0:1]
	s_mov_b32 s13, 0
	global_store_b32 v[4:5], v6, off
.LBB135_3064:
	s_and_not1_b32 vcc_lo, exec_lo, s13
	s_cbranch_vccnz .LBB135_3066
; %bb.3065:
	s_wait_xcnt 0x0
	s_delay_alu instid0(VALU_DEP_3)
	v_cvt_u32_f64_e32 v6, v[0:1]
	global_store_b16 v[4:5], v6, off
.LBB135_3066:
	s_mov_b32 s13, 0
.LBB135_3067:
	s_delay_alu instid0(SALU_CYCLE_1)
	s_and_not1_b32 vcc_lo, exec_lo, s13
	s_cbranch_vccnz .LBB135_3075
; %bb.3068:
	s_wait_xcnt 0x0
	s_delay_alu instid0(VALU_DEP_3) | instskip(SKIP_2) | instid1(VALU_DEP_2)
	v_cvt_f32_f64_e32 v6, v[0:1]
	v_mov_b32_e32 v8, 0x80
	s_mov_b32 s13, exec_lo
	v_and_b32_e32 v7, 0x7fffffff, v6
	s_delay_alu instid0(VALU_DEP_1)
	v_cmpx_gt_u32_e32 0x43800000, v7
	s_cbranch_execz .LBB135_3074
; %bb.3069:
	v_cmp_lt_u32_e32 vcc_lo, 0x3bffffff, v7
	s_mov_b32 s14, 0
                                        ; implicit-def: $vgpr7
	s_and_saveexec_b32 s15, vcc_lo
	s_delay_alu instid0(SALU_CYCLE_1)
	s_xor_b32 s15, exec_lo, s15
	s_cbranch_execnz .LBB135_3413
; %bb.3070:
	s_and_not1_saveexec_b32 s15, s15
	s_cbranch_execnz .LBB135_3414
.LBB135_3071:
	s_or_b32 exec_lo, exec_lo, s15
	v_mov_b32_e32 v8, 0
	s_and_saveexec_b32 s15, s14
.LBB135_3072:
	v_lshrrev_b32_e32 v6, 24, v6
	s_delay_alu instid0(VALU_DEP_1)
	v_and_or_b32 v8, 0x80, v6, v7
.LBB135_3073:
	s_or_b32 exec_lo, exec_lo, s15
.LBB135_3074:
	s_delay_alu instid0(SALU_CYCLE_1)
	s_or_b32 exec_lo, exec_lo, s13
	global_store_b8 v[4:5], v8, off
.LBB135_3075:
	s_mov_b32 s13, -1
.LBB135_3076:
	s_mov_b32 s14, 0
.LBB135_3077:
	s_delay_alu instid0(SALU_CYCLE_1)
	s_and_b32 vcc_lo, exec_lo, s14
	s_cbranch_vccz .LBB135_3117
; %bb.3078:
	s_cmp_gt_i32 s2, 22
	s_mov_b32 s3, -1
	s_cbranch_scc0 .LBB135_3110
; %bb.3079:
	s_cmp_lt_i32 s2, 24
	s_cbranch_scc1 .LBB135_3099
; %bb.3080:
	s_cmp_gt_i32 s2, 24
	s_cbranch_scc0 .LBB135_3088
; %bb.3081:
	s_wait_xcnt 0x0
	s_delay_alu instid0(VALU_DEP_3) | instskip(SKIP_2) | instid1(VALU_DEP_2)
	v_cvt_f32_f64_e32 v6, v[0:1]
	v_mov_b32_e32 v8, 0x80
	s_mov_b32 s3, exec_lo
	v_and_b32_e32 v7, 0x7fffffff, v6
	s_delay_alu instid0(VALU_DEP_1)
	v_cmpx_gt_u32_e32 0x47800000, v7
	s_cbranch_execz .LBB135_3087
; %bb.3082:
	v_cmp_lt_u32_e32 vcc_lo, 0x37ffffff, v7
	s_mov_b32 s13, 0
                                        ; implicit-def: $vgpr7
	s_and_saveexec_b32 s14, vcc_lo
	s_delay_alu instid0(SALU_CYCLE_1)
	s_xor_b32 s14, exec_lo, s14
	s_cbranch_execnz .LBB135_3416
; %bb.3083:
	s_and_not1_saveexec_b32 s14, s14
	s_cbranch_execnz .LBB135_3417
.LBB135_3084:
	s_or_b32 exec_lo, exec_lo, s14
	v_mov_b32_e32 v8, 0
	s_and_saveexec_b32 s14, s13
.LBB135_3085:
	v_lshrrev_b32_e32 v6, 24, v6
	s_delay_alu instid0(VALU_DEP_1)
	v_and_or_b32 v8, 0x80, v6, v7
.LBB135_3086:
	s_or_b32 exec_lo, exec_lo, s14
.LBB135_3087:
	s_delay_alu instid0(SALU_CYCLE_1)
	s_or_b32 exec_lo, exec_lo, s3
	s_mov_b32 s3, 0
	global_store_b8 v[4:5], v8, off
.LBB135_3088:
	s_and_b32 vcc_lo, exec_lo, s3
	s_cbranch_vccz .LBB135_3098
; %bb.3089:
	s_wait_xcnt 0x0
	s_delay_alu instid0(VALU_DEP_3) | instskip(SKIP_1) | instid1(VALU_DEP_1)
	v_cvt_f32_f64_e32 v6, v[0:1]
	s_mov_b32 s3, exec_lo
                                        ; implicit-def: $vgpr7
	v_and_b32_e32 v8, 0x7fffffff, v6
	s_delay_alu instid0(VALU_DEP_1)
	v_cmpx_gt_u32_e32 0x43f00000, v8
	s_xor_b32 s3, exec_lo, s3
	s_cbranch_execz .LBB135_3095
; %bb.3090:
	s_mov_b32 s13, exec_lo
                                        ; implicit-def: $vgpr7
	v_cmpx_lt_u32_e32 0x3c7fffff, v8
	s_xor_b32 s13, exec_lo, s13
; %bb.3091:
	v_bfe_u32 v7, v6, 20, 1
	s_delay_alu instid0(VALU_DEP_1) | instskip(NEXT) | instid1(VALU_DEP_1)
	v_add3_u32 v7, v6, v7, 0x407ffff
	v_and_b32_e32 v8, 0xff00000, v7
	v_lshrrev_b32_e32 v7, 20, v7
	s_delay_alu instid0(VALU_DEP_2) | instskip(NEXT) | instid1(VALU_DEP_2)
	v_cmp_ne_u32_e32 vcc_lo, 0x7f00000, v8
	v_cndmask_b32_e32 v7, 0x7e, v7, vcc_lo
; %bb.3092:
	s_and_not1_saveexec_b32 s13, s13
; %bb.3093:
	v_add_f32_e64 v7, 0x46800000, |v6|
; %bb.3094:
	s_or_b32 exec_lo, exec_lo, s13
                                        ; implicit-def: $vgpr8
.LBB135_3095:
	s_and_not1_saveexec_b32 s3, s3
; %bb.3096:
	v_mov_b32_e32 v7, 0x7f
	v_cmp_lt_u32_e32 vcc_lo, 0x7f800000, v8
	s_delay_alu instid0(VALU_DEP_2)
	v_cndmask_b32_e32 v7, 0x7e, v7, vcc_lo
; %bb.3097:
	s_or_b32 exec_lo, exec_lo, s3
	v_lshrrev_b32_e32 v6, 24, v6
	s_delay_alu instid0(VALU_DEP_1)
	v_and_or_b32 v6, 0x80, v6, v7
	global_store_b8 v[4:5], v6, off
.LBB135_3098:
	s_mov_b32 s3, 0
.LBB135_3099:
	s_delay_alu instid0(SALU_CYCLE_1)
	s_and_not1_b32 vcc_lo, exec_lo, s3
	s_cbranch_vccnz .LBB135_3109
; %bb.3100:
	s_wait_xcnt 0x0
	s_delay_alu instid0(VALU_DEP_3) | instskip(SKIP_1) | instid1(VALU_DEP_1)
	v_cvt_f32_f64_e32 v6, v[0:1]
	s_mov_b32 s3, exec_lo
                                        ; implicit-def: $vgpr7
	v_and_b32_e32 v8, 0x7fffffff, v6
	s_delay_alu instid0(VALU_DEP_1)
	v_cmpx_gt_u32_e32 0x47800000, v8
	s_xor_b32 s3, exec_lo, s3
	s_cbranch_execz .LBB135_3106
; %bb.3101:
	s_mov_b32 s13, exec_lo
                                        ; implicit-def: $vgpr7
	v_cmpx_lt_u32_e32 0x387fffff, v8
	s_xor_b32 s13, exec_lo, s13
; %bb.3102:
	v_bfe_u32 v7, v6, 21, 1
	s_delay_alu instid0(VALU_DEP_1) | instskip(NEXT) | instid1(VALU_DEP_1)
	v_add3_u32 v7, v6, v7, 0x80fffff
	v_lshrrev_b32_e32 v7, 21, v7
; %bb.3103:
	s_and_not1_saveexec_b32 s13, s13
; %bb.3104:
	v_add_f32_e64 v7, 0x43000000, |v6|
; %bb.3105:
	s_or_b32 exec_lo, exec_lo, s13
                                        ; implicit-def: $vgpr8
.LBB135_3106:
	s_and_not1_saveexec_b32 s3, s3
; %bb.3107:
	v_mov_b32_e32 v7, 0x7f
	v_cmp_lt_u32_e32 vcc_lo, 0x7f800000, v8
	s_delay_alu instid0(VALU_DEP_2)
	v_cndmask_b32_e32 v7, 0x7c, v7, vcc_lo
; %bb.3108:
	s_or_b32 exec_lo, exec_lo, s3
	v_lshrrev_b32_e32 v6, 24, v6
	s_delay_alu instid0(VALU_DEP_1)
	v_and_or_b32 v6, 0x80, v6, v7
	global_store_b8 v[4:5], v6, off
.LBB135_3109:
	s_mov_b32 s3, 0
	s_mov_b32 s13, -1
.LBB135_3110:
	s_and_not1_b32 vcc_lo, exec_lo, s3
	s_mov_b32 s3, 0
	s_cbranch_vccnz .LBB135_3117
; %bb.3111:
	s_cmp_gt_i32 s2, 14
	s_mov_b32 s3, -1
	s_cbranch_scc0 .LBB135_3115
; %bb.3112:
	s_cmp_eq_u32 s2, 15
	s_mov_b32 s0, -1
	s_cbranch_scc0 .LBB135_3114
; %bb.3113:
	s_wait_xcnt 0x0
	s_delay_alu instid0(VALU_DEP_3) | instskip(SKIP_2) | instid1(VALU_DEP_1)
	v_cvt_f32_f64_e32 v6, v[0:1]
	s_mov_b32 s0, 0
	s_mov_b32 s13, -1
	v_bfe_u32 v7, v6, 16, 1
	v_cmp_o_f32_e32 vcc_lo, v6, v6
	s_delay_alu instid0(VALU_DEP_2) | instskip(NEXT) | instid1(VALU_DEP_1)
	v_add3_u32 v7, v6, v7, 0x7fff
	v_lshrrev_b32_e32 v7, 16, v7
	s_delay_alu instid0(VALU_DEP_1)
	v_cndmask_b32_e32 v6, 0x7fc0, v7, vcc_lo
	global_store_b16 v[4:5], v6, off
.LBB135_3114:
	s_mov_b32 s3, 0
.LBB135_3115:
	s_delay_alu instid0(SALU_CYCLE_1)
	s_and_b32 vcc_lo, exec_lo, s3
	s_mov_b32 s3, 0
	s_cbranch_vccz .LBB135_3117
; %bb.3116:
	s_cmp_lg_u32 s2, 11
	s_mov_b32 s3, -1
	s_cselect_b32 s0, -1, 0
.LBB135_3117:
	s_delay_alu instid0(SALU_CYCLE_1)
	s_and_b32 vcc_lo, exec_lo, s0
	s_cbranch_vccnz .LBB135_3410
; %bb.3118:
	s_and_not1_b32 vcc_lo, exec_lo, s3
	s_cbranch_vccnz .LBB135_3120
.LBB135_3119:
	s_delay_alu instid0(VALU_DEP_3) | instskip(NEXT) | instid1(VALU_DEP_3)
	v_cmp_neq_f64_e32 vcc_lo, 0, v[0:1]
	v_cmp_neq_f64_e64 s0, 0, v[2:3]
	s_mov_b32 s13, -1
	s_or_b32 s0, vcc_lo, s0
	s_wait_xcnt 0x0
	v_cndmask_b32_e64 v6, 0, 1, s0
	global_store_b8 v[4:5], v6, off
.LBB135_3120:
	s_mov_b32 s0, 0
	s_branch .LBB135_3122
.LBB135_3121:
	s_mov_b32 s0, -1
	s_mov_b32 s13, 0
.LBB135_3122:
	s_and_b32 vcc_lo, exec_lo, s0
	s_cbranch_vccz .LBB135_3161
; %bb.3123:
	s_cmp_lt_i32 s2, 5
	s_mov_b32 s0, -1
	s_cbranch_scc1 .LBB135_3144
; %bb.3124:
	s_cmp_lt_i32 s2, 8
	s_cbranch_scc1 .LBB135_3134
; %bb.3125:
	s_cmp_lt_i32 s2, 9
	s_cbranch_scc1 .LBB135_3131
; %bb.3126:
	s_cmp_gt_i32 s2, 9
	s_cbranch_scc0 .LBB135_3128
; %bb.3127:
	s_mov_b32 s0, 0
	global_store_b128 v[4:5], v[0:3], off
.LBB135_3128:
	s_and_not1_b32 vcc_lo, exec_lo, s0
	s_cbranch_vccnz .LBB135_3130
; %bb.3129:
	s_wait_xcnt 0x0
	s_delay_alu instid0(VALU_DEP_3) | instskip(NEXT) | instid1(VALU_DEP_3)
	v_cvt_f32_f64_e32 v6, v[0:1]
	v_cvt_f32_f64_e32 v7, v[2:3]
	global_store_b64 v[4:5], v[6:7], off
.LBB135_3130:
	s_mov_b32 s0, 0
.LBB135_3131:
	s_delay_alu instid0(SALU_CYCLE_1)
	s_and_not1_b32 vcc_lo, exec_lo, s0
	s_cbranch_vccnz .LBB135_3133
; %bb.3132:
	s_wait_xcnt 0x0
	s_delay_alu instid0(VALU_DEP_3) | instskip(NEXT) | instid1(VALU_DEP_3)
	v_and_or_b32 v6, 0x1ff, v1, v0
	v_and_or_b32 v2, 0x1ff, v3, v2
	v_dual_lshrrev_b32 v7, 8, v1 :: v_dual_lshrrev_b32 v10, 8, v3
	v_bfe_u32 v8, v1, 20, 11
	s_delay_alu instid0(VALU_DEP_4) | instskip(SKIP_2) | instid1(VALU_DEP_4)
	v_cmp_ne_u32_e32 vcc_lo, 0, v6
	v_bfe_u32 v9, v3, 20, 11
	v_dual_lshrrev_b32 v33, 16, v1 :: v_dual_lshrrev_b32 v3, 16, v3
	v_sub_nc_u32_e32 v11, 0x3f1, v8
	v_cndmask_b32_e64 v6, 0, 1, vcc_lo
	v_cmp_ne_u32_e32 vcc_lo, 0, v2
	v_add_nc_u32_e32 v8, 0xfffffc10, v8
	s_delay_alu instid0(VALU_DEP_3) | instskip(SKIP_1) | instid1(VALU_DEP_1)
	v_and_or_b32 v6, 0xffe, v7, v6
	v_cndmask_b32_e64 v2, 0, 1, vcc_lo
	v_and_or_b32 v2, 0xffe, v10, v2
	v_med3_i32 v10, v11, 0, 13
	s_delay_alu instid0(VALU_DEP_4) | instskip(NEXT) | instid1(VALU_DEP_3)
	v_or_b32_e32 v11, 0x1000, v6
	v_or_b32_e32 v12, 0x1000, v2
	s_delay_alu instid0(VALU_DEP_2) | instskip(NEXT) | instid1(VALU_DEP_1)
	v_lshrrev_b32_e32 v13, v10, v11
	v_lshlrev_b32_e32 v10, v10, v13
	s_delay_alu instid0(VALU_DEP_1) | instskip(SKIP_2) | instid1(VALU_DEP_1)
	v_cmp_ne_u32_e32 vcc_lo, v10, v11
	v_lshl_or_b32 v11, v8, 12, v6
	v_cndmask_b32_e64 v10, 0, 1, vcc_lo
	v_or_b32_e32 v10, v13, v10
	v_sub_nc_u32_e32 v7, 0x3f1, v9
	v_add_nc_u32_e32 v9, 0xfffffc10, v9
	s_delay_alu instid0(VALU_DEP_2) | instskip(NEXT) | instid1(VALU_DEP_1)
	v_med3_i32 v7, v7, 0, 13
	v_lshrrev_b32_e32 v14, v7, v12
	s_delay_alu instid0(VALU_DEP_1) | instskip(NEXT) | instid1(VALU_DEP_1)
	v_lshlrev_b32_e32 v7, v7, v14
	v_cmp_ne_u32_e32 vcc_lo, v7, v12
	v_lshl_or_b32 v12, v9, 12, v2
	v_cndmask_b32_e64 v7, 0, 1, vcc_lo
	v_cmp_gt_i32_e32 vcc_lo, 1, v8
	s_delay_alu instid0(VALU_DEP_2) | instskip(SKIP_1) | instid1(VALU_DEP_2)
	v_dual_cndmask_b32 v10, v11, v10, vcc_lo :: v_dual_bitop2_b32 v7, v14, v7 bitop3:0x54
	v_cmp_gt_i32_e32 vcc_lo, 1, v9
	v_dual_lshrrev_b32 v10, 2, v10 :: v_dual_bitop2_b32 v11, 7, v10 bitop3:0x40
	s_delay_alu instid0(VALU_DEP_3) | instskip(NEXT) | instid1(VALU_DEP_1)
	v_cndmask_b32_e32 v7, v12, v7, vcc_lo
	v_dual_lshrrev_b32 v7, 2, v7 :: v_dual_bitop2_b32 v12, 7, v7 bitop3:0x40
	s_delay_alu instid0(VALU_DEP_3) | instskip(SKIP_1) | instid1(VALU_DEP_3)
	v_cmp_lt_i32_e32 vcc_lo, 5, v11
	v_cndmask_b32_e64 v14, 0, 1, vcc_lo
	v_cmp_lt_i32_e32 vcc_lo, 5, v12
	v_cndmask_b32_e64 v15, 0, 1, vcc_lo
	v_cmp_eq_u32_e32 vcc_lo, 3, v12
	v_cndmask_b32_e64 v12, 0, 1, vcc_lo
	v_cmp_eq_u32_e32 vcc_lo, 3, v11
	s_delay_alu instid0(VALU_DEP_2) | instskip(SKIP_2) | instid1(VALU_DEP_3)
	v_or_b32_e32 v12, v12, v15
	v_cndmask_b32_e64 v11, 0, 1, vcc_lo
	v_cmp_ne_u32_e32 vcc_lo, 0, v6
	v_add_nc_u32_e32 v7, v7, v12
	s_delay_alu instid0(VALU_DEP_3) | instskip(NEXT) | instid1(VALU_DEP_1)
	v_or_b32_e32 v11, v11, v14
	v_dual_mov_b32 v13, 0x7e00 :: v_dual_add_nc_u32 v10, v10, v11
	s_delay_alu instid0(VALU_DEP_1)
	v_cndmask_b32_e32 v6, 0x7c00, v13, vcc_lo
	v_cmp_ne_u32_e32 vcc_lo, 0, v2
	v_and_b32_e32 v11, 0x8000, v33
	v_cndmask_b32_e32 v2, 0x7c00, v13, vcc_lo
	v_cmp_gt_i32_e32 vcc_lo, 31, v9
	v_cndmask_b32_e32 v7, 0x7c00, v7, vcc_lo
	v_cmp_gt_i32_e32 vcc_lo, 31, v8
	v_cndmask_b32_e32 v10, 0x7c00, v10, vcc_lo
	v_cmp_eq_u32_e32 vcc_lo, 0x40f, v9
	s_delay_alu instid0(VALU_DEP_4) | instskip(SKIP_1) | instid1(VALU_DEP_2)
	v_cndmask_b32_e32 v2, v7, v2, vcc_lo
	v_cmp_eq_u32_e32 vcc_lo, 0x40f, v8
	v_and_or_b32 v2, 0x8000, v3, v2
	v_cndmask_b32_e32 v6, v10, v6, vcc_lo
	s_delay_alu instid0(VALU_DEP_1) | instskip(NEXT) | instid1(VALU_DEP_1)
	v_bitop3_b32 v3, v11, 0xffff, v6 bitop3:0xc8
	v_lshl_or_b32 v2, v2, 16, v3
	global_store_b32 v[4:5], v2, off
.LBB135_3133:
	s_mov_b32 s0, 0
.LBB135_3134:
	s_delay_alu instid0(SALU_CYCLE_1)
	s_and_not1_b32 vcc_lo, exec_lo, s0
	s_cbranch_vccnz .LBB135_3143
; %bb.3135:
	s_cmp_lt_i32 s2, 6
	s_mov_b32 s0, -1
	s_cbranch_scc1 .LBB135_3141
; %bb.3136:
	s_cmp_gt_i32 s2, 6
	s_cbranch_scc0 .LBB135_3138
; %bb.3137:
	s_mov_b32 s0, 0
	global_store_b64 v[4:5], v[0:1], off
.LBB135_3138:
	s_and_not1_b32 vcc_lo, exec_lo, s0
	s_cbranch_vccnz .LBB135_3140
; %bb.3139:
	s_wait_xcnt 0x0
	s_delay_alu instid0(VALU_DEP_3)
	v_cvt_f32_f64_e32 v2, v[0:1]
	global_store_b32 v[4:5], v2, off
.LBB135_3140:
	s_mov_b32 s0, 0
.LBB135_3141:
	s_delay_alu instid0(SALU_CYCLE_1)
	s_and_not1_b32 vcc_lo, exec_lo, s0
	s_cbranch_vccnz .LBB135_3143
; %bb.3142:
	s_wait_xcnt 0x0
	s_delay_alu instid0(VALU_DEP_3) | instskip(SKIP_2) | instid1(VALU_DEP_3)
	v_and_or_b32 v2, 0x1ff, v1, v0
	v_lshrrev_b32_e32 v3, 8, v1
	v_bfe_u32 v6, v1, 20, 11
	v_cmp_ne_u32_e32 vcc_lo, 0, v2
	s_delay_alu instid0(VALU_DEP_2) | instskip(SKIP_1) | instid1(VALU_DEP_1)
	v_sub_nc_u32_e32 v7, 0x3f1, v6
	v_cndmask_b32_e64 v2, 0, 1, vcc_lo
	v_and_or_b32 v2, 0xffe, v3, v2
	s_delay_alu instid0(VALU_DEP_3) | instskip(NEXT) | instid1(VALU_DEP_2)
	v_med3_i32 v3, v7, 0, 13
	v_or_b32_e32 v7, 0x1000, v2
	s_delay_alu instid0(VALU_DEP_1) | instskip(NEXT) | instid1(VALU_DEP_1)
	v_lshrrev_b32_e32 v8, v3, v7
	v_lshlrev_b32_e32 v3, v3, v8
	s_delay_alu instid0(VALU_DEP_1) | instskip(SKIP_1) | instid1(VALU_DEP_1)
	v_cmp_ne_u32_e32 vcc_lo, v3, v7
	v_cndmask_b32_e64 v3, 0, 1, vcc_lo
	v_or_b32_e32 v3, v8, v3
	v_add_nc_u32_e32 v6, 0xfffffc10, v6
	s_delay_alu instid0(VALU_DEP_1) | instskip(SKIP_1) | instid1(VALU_DEP_2)
	v_lshl_or_b32 v7, v6, 12, v2
	v_cmp_gt_i32_e32 vcc_lo, 1, v6
	v_cndmask_b32_e32 v3, v7, v3, vcc_lo
	s_delay_alu instid0(VALU_DEP_1) | instskip(NEXT) | instid1(VALU_DEP_1)
	v_dual_lshrrev_b32 v3, 2, v3 :: v_dual_bitop2_b32 v7, 7, v3 bitop3:0x40
	v_cmp_lt_i32_e32 vcc_lo, 5, v7
	v_cndmask_b32_e64 v8, 0, 1, vcc_lo
	v_cmp_eq_u32_e32 vcc_lo, 3, v7
	v_cndmask_b32_e64 v7, 0, 1, vcc_lo
	v_cmp_ne_u32_e32 vcc_lo, 0, v2
	s_delay_alu instid0(VALU_DEP_2) | instskip(NEXT) | instid1(VALU_DEP_1)
	v_or_b32_e32 v7, v7, v8
	v_dual_mov_b32 v8, 0x7e00 :: v_dual_add_nc_u32 v3, v3, v7
	s_delay_alu instid0(VALU_DEP_1) | instskip(SKIP_1) | instid1(VALU_DEP_3)
	v_cndmask_b32_e32 v2, 0x7c00, v8, vcc_lo
	v_cmp_gt_i32_e32 vcc_lo, 31, v6
	v_cndmask_b32_e32 v3, 0x7c00, v3, vcc_lo
	v_cmp_eq_u32_e32 vcc_lo, 0x40f, v6
	s_delay_alu instid0(VALU_DEP_2) | instskip(NEXT) | instid1(VALU_DEP_1)
	v_dual_cndmask_b32 v2, v3, v2 :: v_dual_lshrrev_b32 v3, 16, v1
	v_and_or_b32 v2, 0x8000, v3, v2
	global_store_b16 v[4:5], v2, off
.LBB135_3143:
	s_mov_b32 s0, 0
.LBB135_3144:
	s_delay_alu instid0(SALU_CYCLE_1)
	s_and_not1_b32 vcc_lo, exec_lo, s0
	s_cbranch_vccnz .LBB135_3160
; %bb.3145:
	s_cmp_lt_i32 s2, 2
	s_mov_b32 s0, -1
	s_cbranch_scc1 .LBB135_3155
; %bb.3146:
	s_cmp_lt_i32 s2, 3
	s_cbranch_scc1 .LBB135_3152
; %bb.3147:
	s_cmp_gt_i32 s2, 3
	s_cbranch_scc0 .LBB135_3149
; %bb.3148:
	s_wait_xcnt 0x0
	s_delay_alu instid0(VALU_DEP_3) | instskip(SKIP_1) | instid1(VALU_DEP_1)
	v_trunc_f64_e32 v[2:3], v[0:1]
	s_mov_b32 s0, 0
	v_ldexp_f64 v[6:7], v[2:3], 0xffffffe0
	s_delay_alu instid0(VALU_DEP_1) | instskip(NEXT) | instid1(VALU_DEP_1)
	v_floor_f64_e32 v[6:7], v[6:7]
	v_fmamk_f64 v[2:3], v[6:7], 0xc1f00000, v[2:3]
	v_cvt_i32_f64_e32 v7, v[6:7]
	s_delay_alu instid0(VALU_DEP_2)
	v_cvt_u32_f64_e32 v6, v[2:3]
	global_store_b64 v[4:5], v[6:7], off
.LBB135_3149:
	s_and_not1_b32 vcc_lo, exec_lo, s0
	s_cbranch_vccnz .LBB135_3151
; %bb.3150:
	s_wait_xcnt 0x0
	s_delay_alu instid0(VALU_DEP_3)
	v_cvt_i32_f64_e32 v2, v[0:1]
	global_store_b32 v[4:5], v2, off
.LBB135_3151:
	s_mov_b32 s0, 0
.LBB135_3152:
	s_delay_alu instid0(SALU_CYCLE_1)
	s_and_not1_b32 vcc_lo, exec_lo, s0
	s_cbranch_vccnz .LBB135_3154
; %bb.3153:
	s_wait_xcnt 0x0
	s_delay_alu instid0(VALU_DEP_3)
	v_cvt_i32_f64_e32 v2, v[0:1]
	global_store_b16 v[4:5], v2, off
.LBB135_3154:
	s_mov_b32 s0, 0
.LBB135_3155:
	s_delay_alu instid0(SALU_CYCLE_1)
	s_and_not1_b32 vcc_lo, exec_lo, s0
	s_cbranch_vccnz .LBB135_3160
; %bb.3156:
	s_cmp_gt_i32 s2, 0
	s_mov_b32 s0, -1
	s_cbranch_scc0 .LBB135_3158
; %bb.3157:
	s_wait_xcnt 0x0
	s_delay_alu instid0(VALU_DEP_3)
	v_cvt_i32_f64_e32 v2, v[0:1]
	s_mov_b32 s0, 0
	global_store_b8 v[4:5], v2, off
.LBB135_3158:
	s_and_not1_b32 vcc_lo, exec_lo, s0
	s_cbranch_vccnz .LBB135_3160
; %bb.3159:
	s_wait_xcnt 0x0
	s_delay_alu instid0(VALU_DEP_3) | instskip(NEXT) | instid1(VALU_DEP_1)
	v_trunc_f64_e32 v[0:1], v[0:1]
	v_ldexp_f64 v[2:3], v[0:1], 0xffffffe0
	s_delay_alu instid0(VALU_DEP_1) | instskip(NEXT) | instid1(VALU_DEP_1)
	v_floor_f64_e32 v[2:3], v[2:3]
	v_fmamk_f64 v[0:1], v[2:3], 0xc1f00000, v[0:1]
	s_delay_alu instid0(VALU_DEP_1)
	v_cvt_u32_f64_e32 v0, v[0:1]
	global_store_b8 v[4:5], v0, off
.LBB135_3160:
	s_mov_b32 s13, -1
.LBB135_3161:
	s_delay_alu instid0(SALU_CYCLE_1)
	s_and_not1_b32 vcc_lo, exec_lo, s13
	s_cbranch_vccnz .LBB135_3357
; %bb.3162:
	s_wait_xcnt 0x0
	v_dual_mul_f64 v[4:5], s[4:5], v[18:19] :: v_dual_mov_b32 v35, 0
	v_mul_f64_e32 v[0:1], s[6:7], v[18:19]
	s_cmp_lt_i32 s2, 11
	s_delay_alu instid0(VALU_DEP_2) | instskip(NEXT) | instid1(VALU_DEP_2)
	v_fmac_f64_e32 v[4:5], s[6:7], v[16:17]
	v_fma_f64 v[0:1], s[4:5], v[16:17], -v[0:1]
	s_delay_alu instid0(VALU_DEP_2) | instskip(NEXT) | instid1(VALU_DEP_2)
	v_mul_f64_e32 v[6:7], v[4:5], v[22:23]
	v_mul_f64_e32 v[2:3], v[0:1], v[22:23]
	s_delay_alu instid0(VALU_DEP_2) | instskip(NEXT) | instid1(VALU_DEP_2)
	v_fma_f64 v[0:1], v[0:1], v[20:21], -v[6:7]
	v_fmac_f64_e32 v[2:3], v[4:5], v[20:21]
	v_add_nc_u64_e32 v[4:5], s[8:9], v[34:35]
	s_cbranch_scc1 .LBB135_3240
; %bb.3163:
	s_mov_b32 s14, -1
	s_mov_b32 s3, 0
	s_cmp_gt_i32 s2, 25
	s_mov_b32 s13, 0
	s_mov_b32 s0, 0
	s_cbranch_scc0 .LBB135_3196
; %bb.3164:
	s_cmp_gt_i32 s2, 28
	s_cbranch_scc0 .LBB135_3179
; %bb.3165:
	s_cmp_gt_i32 s2, 43
	;; [unrolled: 3-line block ×3, first 2 shown]
	s_cbranch_scc0 .LBB135_3169
; %bb.3167:
	s_mov_b32 s0, -1
	s_mov_b32 s14, 0
	s_cmp_eq_u32 s2, 46
	s_cbranch_scc0 .LBB135_3169
; %bb.3168:
	s_delay_alu instid0(VALU_DEP_2) | instskip(NEXT) | instid1(VALU_DEP_4)
	v_cvt_f32_f64_e32 v6, v[2:3]
	v_cvt_f32_f64_e32 v7, v[0:1]
	s_mov_b32 s0, 0
	s_mov_b32 s13, -1
	s_delay_alu instid0(VALU_DEP_2) | instskip(NEXT) | instid1(VALU_DEP_2)
	v_bfe_u32 v8, v6, 16, 1
	v_bfe_u32 v9, v7, 16, 1
	v_cmp_o_f32_e32 vcc_lo, v6, v6
	s_delay_alu instid0(VALU_DEP_3) | instskip(NEXT) | instid1(VALU_DEP_3)
	v_add3_u32 v8, v6, v8, 0x7fff
	v_add3_u32 v9, v7, v9, 0x7fff
	s_delay_alu instid0(VALU_DEP_2) | instskip(NEXT) | instid1(VALU_DEP_1)
	v_and_b32_e32 v8, 0xffff0000, v8
	v_dual_cndmask_b32 v6, 0x7fc00000, v8 :: v_dual_lshrrev_b32 v9, 16, v9
	v_cmp_o_f32_e32 vcc_lo, v7, v7
	s_delay_alu instid0(VALU_DEP_2) | instskip(NEXT) | instid1(VALU_DEP_1)
	v_cndmask_b32_e32 v7, 0x7fc0, v9, vcc_lo
	v_or_b32_e32 v6, v6, v7
	global_store_b32 v[4:5], v6, off
.LBB135_3169:
	s_and_b32 vcc_lo, exec_lo, s14
	s_cbranch_vccz .LBB135_3174
; %bb.3170:
	s_cmp_eq_u32 s2, 44
	s_mov_b32 s0, -1
	s_cbranch_scc0 .LBB135_3174
; %bb.3171:
	s_wait_xcnt 0x0
	s_delay_alu instid0(VALU_DEP_3) | instskip(SKIP_2) | instid1(VALU_DEP_2)
	v_cvt_f32_f64_e32 v6, v[0:1]
	v_mov_b32_e32 v7, 0xff
	s_mov_b32 s13, exec_lo
	v_bfe_u32 v8, v6, 23, 8
	s_delay_alu instid0(VALU_DEP_1)
	v_cmpx_ne_u32_e32 0xff, v8
	s_cbranch_execz .LBB135_3173
; %bb.3172:
	v_and_b32_e32 v7, 0x400000, v6
	v_and_or_b32 v8, 0x3fffff, v6, v8
	v_lshrrev_b32_e32 v6, 23, v6
	s_delay_alu instid0(VALU_DEP_3) | instskip(NEXT) | instid1(VALU_DEP_3)
	v_cmp_ne_u32_e32 vcc_lo, 0, v7
	v_cmp_ne_u32_e64 s0, 0, v8
	s_and_b32 s0, vcc_lo, s0
	s_delay_alu instid0(SALU_CYCLE_1) | instskip(NEXT) | instid1(VALU_DEP_1)
	v_cndmask_b32_e64 v7, 0, 1, s0
	v_add_nc_u32_e32 v7, v6, v7
.LBB135_3173:
	s_or_b32 exec_lo, exec_lo, s13
	s_mov_b32 s0, 0
	s_mov_b32 s13, -1
	global_store_b8 v[4:5], v7, off
.LBB135_3174:
	s_mov_b32 s14, 0
.LBB135_3175:
	s_delay_alu instid0(SALU_CYCLE_1)
	s_and_b32 vcc_lo, exec_lo, s14
	s_cbranch_vccz .LBB135_3178
; %bb.3176:
	s_cmp_eq_u32 s2, 29
	s_mov_b32 s0, -1
	s_cbranch_scc0 .LBB135_3178
; %bb.3177:
	s_wait_xcnt 0x0
	s_delay_alu instid0(VALU_DEP_3) | instskip(SKIP_2) | instid1(VALU_DEP_1)
	v_trunc_f64_e32 v[6:7], v[0:1]
	s_mov_b32 s0, 0
	s_mov_b32 s13, -1
	v_ldexp_f64 v[8:9], v[6:7], 0xffffffe0
	s_delay_alu instid0(VALU_DEP_1) | instskip(NEXT) | instid1(VALU_DEP_1)
	v_floor_f64_e32 v[8:9], v[8:9]
	v_fmamk_f64 v[6:7], v[8:9], 0xc1f00000, v[6:7]
	v_cvt_u32_f64_e32 v9, v[8:9]
	s_delay_alu instid0(VALU_DEP_2)
	v_cvt_u32_f64_e32 v8, v[6:7]
	global_store_b64 v[4:5], v[8:9], off
.LBB135_3178:
	s_mov_b32 s14, 0
.LBB135_3179:
	s_delay_alu instid0(SALU_CYCLE_1)
	s_and_b32 vcc_lo, exec_lo, s14
	s_cbranch_vccz .LBB135_3195
; %bb.3180:
	s_cmp_lt_i32 s2, 27
	s_mov_b32 s13, -1
	s_cbranch_scc1 .LBB135_3186
; %bb.3181:
	s_cmp_gt_i32 s2, 27
	s_cbranch_scc0 .LBB135_3183
; %bb.3182:
	s_wait_xcnt 0x0
	s_delay_alu instid0(VALU_DEP_3)
	v_cvt_u32_f64_e32 v6, v[0:1]
	s_mov_b32 s13, 0
	global_store_b32 v[4:5], v6, off
.LBB135_3183:
	s_and_not1_b32 vcc_lo, exec_lo, s13
	s_cbranch_vccnz .LBB135_3185
; %bb.3184:
	s_wait_xcnt 0x0
	s_delay_alu instid0(VALU_DEP_3)
	v_cvt_u32_f64_e32 v6, v[0:1]
	global_store_b16 v[4:5], v6, off
.LBB135_3185:
	s_mov_b32 s13, 0
.LBB135_3186:
	s_delay_alu instid0(SALU_CYCLE_1)
	s_and_not1_b32 vcc_lo, exec_lo, s13
	s_cbranch_vccnz .LBB135_3194
; %bb.3187:
	s_wait_xcnt 0x0
	s_delay_alu instid0(VALU_DEP_3) | instskip(SKIP_2) | instid1(VALU_DEP_2)
	v_cvt_f32_f64_e32 v6, v[0:1]
	v_mov_b32_e32 v8, 0x80
	s_mov_b32 s13, exec_lo
	v_and_b32_e32 v7, 0x7fffffff, v6
	s_delay_alu instid0(VALU_DEP_1)
	v_cmpx_gt_u32_e32 0x43800000, v7
	s_cbranch_execz .LBB135_3193
; %bb.3188:
	v_cmp_lt_u32_e32 vcc_lo, 0x3bffffff, v7
	s_mov_b32 s14, 0
                                        ; implicit-def: $vgpr7
	s_and_saveexec_b32 s15, vcc_lo
	s_delay_alu instid0(SALU_CYCLE_1)
	s_xor_b32 s15, exec_lo, s15
	s_cbranch_execnz .LBB135_3418
; %bb.3189:
	s_and_not1_saveexec_b32 s15, s15
	s_cbranch_execnz .LBB135_3419
.LBB135_3190:
	s_or_b32 exec_lo, exec_lo, s15
	v_mov_b32_e32 v8, 0
	s_and_saveexec_b32 s15, s14
.LBB135_3191:
	v_lshrrev_b32_e32 v6, 24, v6
	s_delay_alu instid0(VALU_DEP_1)
	v_and_or_b32 v8, 0x80, v6, v7
.LBB135_3192:
	s_or_b32 exec_lo, exec_lo, s15
.LBB135_3193:
	s_delay_alu instid0(SALU_CYCLE_1)
	s_or_b32 exec_lo, exec_lo, s13
	global_store_b8 v[4:5], v8, off
.LBB135_3194:
	s_mov_b32 s13, -1
.LBB135_3195:
	s_mov_b32 s14, 0
.LBB135_3196:
	s_delay_alu instid0(SALU_CYCLE_1)
	s_and_b32 vcc_lo, exec_lo, s14
	s_cbranch_vccz .LBB135_3236
; %bb.3197:
	s_cmp_gt_i32 s2, 22
	s_mov_b32 s3, -1
	s_cbranch_scc0 .LBB135_3229
; %bb.3198:
	s_cmp_lt_i32 s2, 24
	s_cbranch_scc1 .LBB135_3218
; %bb.3199:
	s_cmp_gt_i32 s2, 24
	s_cbranch_scc0 .LBB135_3207
; %bb.3200:
	s_wait_xcnt 0x0
	s_delay_alu instid0(VALU_DEP_3) | instskip(SKIP_2) | instid1(VALU_DEP_2)
	v_cvt_f32_f64_e32 v6, v[0:1]
	v_mov_b32_e32 v8, 0x80
	s_mov_b32 s3, exec_lo
	v_and_b32_e32 v7, 0x7fffffff, v6
	s_delay_alu instid0(VALU_DEP_1)
	v_cmpx_gt_u32_e32 0x47800000, v7
	s_cbranch_execz .LBB135_3206
; %bb.3201:
	v_cmp_lt_u32_e32 vcc_lo, 0x37ffffff, v7
	s_mov_b32 s13, 0
                                        ; implicit-def: $vgpr7
	s_and_saveexec_b32 s14, vcc_lo
	s_delay_alu instid0(SALU_CYCLE_1)
	s_xor_b32 s14, exec_lo, s14
	s_cbranch_execnz .LBB135_3421
; %bb.3202:
	s_and_not1_saveexec_b32 s14, s14
	s_cbranch_execnz .LBB135_3422
.LBB135_3203:
	s_or_b32 exec_lo, exec_lo, s14
	v_mov_b32_e32 v8, 0
	s_and_saveexec_b32 s14, s13
.LBB135_3204:
	v_lshrrev_b32_e32 v6, 24, v6
	s_delay_alu instid0(VALU_DEP_1)
	v_and_or_b32 v8, 0x80, v6, v7
.LBB135_3205:
	s_or_b32 exec_lo, exec_lo, s14
.LBB135_3206:
	s_delay_alu instid0(SALU_CYCLE_1)
	s_or_b32 exec_lo, exec_lo, s3
	s_mov_b32 s3, 0
	global_store_b8 v[4:5], v8, off
.LBB135_3207:
	s_and_b32 vcc_lo, exec_lo, s3
	s_cbranch_vccz .LBB135_3217
; %bb.3208:
	s_wait_xcnt 0x0
	s_delay_alu instid0(VALU_DEP_3) | instskip(SKIP_1) | instid1(VALU_DEP_1)
	v_cvt_f32_f64_e32 v6, v[0:1]
	s_mov_b32 s3, exec_lo
                                        ; implicit-def: $vgpr7
	v_and_b32_e32 v8, 0x7fffffff, v6
	s_delay_alu instid0(VALU_DEP_1)
	v_cmpx_gt_u32_e32 0x43f00000, v8
	s_xor_b32 s3, exec_lo, s3
	s_cbranch_execz .LBB135_3214
; %bb.3209:
	s_mov_b32 s13, exec_lo
                                        ; implicit-def: $vgpr7
	v_cmpx_lt_u32_e32 0x3c7fffff, v8
	s_xor_b32 s13, exec_lo, s13
; %bb.3210:
	v_bfe_u32 v7, v6, 20, 1
	s_delay_alu instid0(VALU_DEP_1) | instskip(NEXT) | instid1(VALU_DEP_1)
	v_add3_u32 v7, v6, v7, 0x407ffff
	v_and_b32_e32 v8, 0xff00000, v7
	v_lshrrev_b32_e32 v7, 20, v7
	s_delay_alu instid0(VALU_DEP_2) | instskip(NEXT) | instid1(VALU_DEP_2)
	v_cmp_ne_u32_e32 vcc_lo, 0x7f00000, v8
	v_cndmask_b32_e32 v7, 0x7e, v7, vcc_lo
; %bb.3211:
	s_and_not1_saveexec_b32 s13, s13
; %bb.3212:
	v_add_f32_e64 v7, 0x46800000, |v6|
; %bb.3213:
	s_or_b32 exec_lo, exec_lo, s13
                                        ; implicit-def: $vgpr8
.LBB135_3214:
	s_and_not1_saveexec_b32 s3, s3
; %bb.3215:
	v_mov_b32_e32 v7, 0x7f
	v_cmp_lt_u32_e32 vcc_lo, 0x7f800000, v8
	s_delay_alu instid0(VALU_DEP_2)
	v_cndmask_b32_e32 v7, 0x7e, v7, vcc_lo
; %bb.3216:
	s_or_b32 exec_lo, exec_lo, s3
	v_lshrrev_b32_e32 v6, 24, v6
	s_delay_alu instid0(VALU_DEP_1)
	v_and_or_b32 v6, 0x80, v6, v7
	global_store_b8 v[4:5], v6, off
.LBB135_3217:
	s_mov_b32 s3, 0
.LBB135_3218:
	s_delay_alu instid0(SALU_CYCLE_1)
	s_and_not1_b32 vcc_lo, exec_lo, s3
	s_cbranch_vccnz .LBB135_3228
; %bb.3219:
	s_wait_xcnt 0x0
	s_delay_alu instid0(VALU_DEP_3) | instskip(SKIP_1) | instid1(VALU_DEP_1)
	v_cvt_f32_f64_e32 v6, v[0:1]
	s_mov_b32 s3, exec_lo
                                        ; implicit-def: $vgpr7
	v_and_b32_e32 v8, 0x7fffffff, v6
	s_delay_alu instid0(VALU_DEP_1)
	v_cmpx_gt_u32_e32 0x47800000, v8
	s_xor_b32 s3, exec_lo, s3
	s_cbranch_execz .LBB135_3225
; %bb.3220:
	s_mov_b32 s13, exec_lo
                                        ; implicit-def: $vgpr7
	v_cmpx_lt_u32_e32 0x387fffff, v8
	s_xor_b32 s13, exec_lo, s13
; %bb.3221:
	v_bfe_u32 v7, v6, 21, 1
	s_delay_alu instid0(VALU_DEP_1) | instskip(NEXT) | instid1(VALU_DEP_1)
	v_add3_u32 v7, v6, v7, 0x80fffff
	v_lshrrev_b32_e32 v7, 21, v7
; %bb.3222:
	s_and_not1_saveexec_b32 s13, s13
; %bb.3223:
	v_add_f32_e64 v7, 0x43000000, |v6|
; %bb.3224:
	s_or_b32 exec_lo, exec_lo, s13
                                        ; implicit-def: $vgpr8
.LBB135_3225:
	s_and_not1_saveexec_b32 s3, s3
; %bb.3226:
	v_mov_b32_e32 v7, 0x7f
	v_cmp_lt_u32_e32 vcc_lo, 0x7f800000, v8
	s_delay_alu instid0(VALU_DEP_2)
	v_cndmask_b32_e32 v7, 0x7c, v7, vcc_lo
; %bb.3227:
	s_or_b32 exec_lo, exec_lo, s3
	v_lshrrev_b32_e32 v6, 24, v6
	s_delay_alu instid0(VALU_DEP_1)
	v_and_or_b32 v6, 0x80, v6, v7
	global_store_b8 v[4:5], v6, off
.LBB135_3228:
	s_mov_b32 s3, 0
	s_mov_b32 s13, -1
.LBB135_3229:
	s_and_not1_b32 vcc_lo, exec_lo, s3
	s_mov_b32 s3, 0
	s_cbranch_vccnz .LBB135_3236
; %bb.3230:
	s_cmp_gt_i32 s2, 14
	s_mov_b32 s3, -1
	s_cbranch_scc0 .LBB135_3234
; %bb.3231:
	s_cmp_eq_u32 s2, 15
	s_mov_b32 s0, -1
	s_cbranch_scc0 .LBB135_3233
; %bb.3232:
	s_wait_xcnt 0x0
	s_delay_alu instid0(VALU_DEP_3) | instskip(SKIP_2) | instid1(VALU_DEP_1)
	v_cvt_f32_f64_e32 v6, v[0:1]
	s_mov_b32 s0, 0
	s_mov_b32 s13, -1
	v_bfe_u32 v7, v6, 16, 1
	v_cmp_o_f32_e32 vcc_lo, v6, v6
	s_delay_alu instid0(VALU_DEP_2) | instskip(NEXT) | instid1(VALU_DEP_1)
	v_add3_u32 v7, v6, v7, 0x7fff
	v_lshrrev_b32_e32 v7, 16, v7
	s_delay_alu instid0(VALU_DEP_1)
	v_cndmask_b32_e32 v6, 0x7fc0, v7, vcc_lo
	global_store_b16 v[4:5], v6, off
.LBB135_3233:
	s_mov_b32 s3, 0
.LBB135_3234:
	s_delay_alu instid0(SALU_CYCLE_1)
	s_and_b32 vcc_lo, exec_lo, s3
	s_mov_b32 s3, 0
	s_cbranch_vccz .LBB135_3236
; %bb.3235:
	s_cmp_lg_u32 s2, 11
	s_mov_b32 s3, -1
	s_cselect_b32 s0, -1, 0
.LBB135_3236:
	s_delay_alu instid0(SALU_CYCLE_1)
	s_and_b32 vcc_lo, exec_lo, s0
	s_cbranch_vccnz .LBB135_3415
; %bb.3237:
	s_and_not1_b32 vcc_lo, exec_lo, s3
	s_cbranch_vccnz .LBB135_3239
.LBB135_3238:
	s_delay_alu instid0(VALU_DEP_3) | instskip(NEXT) | instid1(VALU_DEP_3)
	v_cmp_neq_f64_e32 vcc_lo, 0, v[0:1]
	v_cmp_neq_f64_e64 s0, 0, v[2:3]
	s_mov_b32 s13, -1
	s_or_b32 s0, vcc_lo, s0
	s_wait_xcnt 0x0
	v_cndmask_b32_e64 v6, 0, 1, s0
	global_store_b8 v[4:5], v6, off
.LBB135_3239:
	s_mov_b32 s0, 0
	s_branch .LBB135_3241
.LBB135_3240:
	s_mov_b32 s0, -1
	s_mov_b32 s13, 0
.LBB135_3241:
	s_and_b32 vcc_lo, exec_lo, s0
	s_cbranch_vccz .LBB135_3280
; %bb.3242:
	s_cmp_lt_i32 s2, 5
	s_mov_b32 s0, -1
	s_cbranch_scc1 .LBB135_3263
; %bb.3243:
	s_cmp_lt_i32 s2, 8
	s_cbranch_scc1 .LBB135_3253
; %bb.3244:
	s_cmp_lt_i32 s2, 9
	s_cbranch_scc1 .LBB135_3250
; %bb.3245:
	s_cmp_gt_i32 s2, 9
	s_cbranch_scc0 .LBB135_3247
; %bb.3246:
	s_mov_b32 s0, 0
	global_store_b128 v[4:5], v[0:3], off
.LBB135_3247:
	s_and_not1_b32 vcc_lo, exec_lo, s0
	s_cbranch_vccnz .LBB135_3249
; %bb.3248:
	s_wait_xcnt 0x0
	s_delay_alu instid0(VALU_DEP_3) | instskip(NEXT) | instid1(VALU_DEP_3)
	v_cvt_f32_f64_e32 v6, v[0:1]
	v_cvt_f32_f64_e32 v7, v[2:3]
	global_store_b64 v[4:5], v[6:7], off
.LBB135_3249:
	s_mov_b32 s0, 0
.LBB135_3250:
	s_delay_alu instid0(SALU_CYCLE_1)
	s_and_not1_b32 vcc_lo, exec_lo, s0
	s_cbranch_vccnz .LBB135_3252
; %bb.3251:
	s_wait_xcnt 0x0
	s_delay_alu instid0(VALU_DEP_3) | instskip(NEXT) | instid1(VALU_DEP_3)
	v_and_or_b32 v6, 0x1ff, v1, v0
	v_and_or_b32 v2, 0x1ff, v3, v2
	v_dual_lshrrev_b32 v7, 8, v1 :: v_dual_lshrrev_b32 v10, 8, v3
	v_bfe_u32 v8, v1, 20, 11
	s_delay_alu instid0(VALU_DEP_4) | instskip(SKIP_2) | instid1(VALU_DEP_4)
	v_cmp_ne_u32_e32 vcc_lo, 0, v6
	v_bfe_u32 v9, v3, 20, 11
	v_dual_lshrrev_b32 v16, 16, v1 :: v_dual_lshrrev_b32 v3, 16, v3
	v_sub_nc_u32_e32 v11, 0x3f1, v8
	v_cndmask_b32_e64 v6, 0, 1, vcc_lo
	v_cmp_ne_u32_e32 vcc_lo, 0, v2
	v_add_nc_u32_e32 v8, 0xfffffc10, v8
	s_delay_alu instid0(VALU_DEP_3) | instskip(SKIP_1) | instid1(VALU_DEP_1)
	v_and_or_b32 v6, 0xffe, v7, v6
	v_cndmask_b32_e64 v2, 0, 1, vcc_lo
	v_and_or_b32 v2, 0xffe, v10, v2
	v_med3_i32 v10, v11, 0, 13
	s_delay_alu instid0(VALU_DEP_4) | instskip(NEXT) | instid1(VALU_DEP_3)
	v_or_b32_e32 v11, 0x1000, v6
	v_or_b32_e32 v12, 0x1000, v2
	s_delay_alu instid0(VALU_DEP_2) | instskip(NEXT) | instid1(VALU_DEP_1)
	v_lshrrev_b32_e32 v13, v10, v11
	v_lshlrev_b32_e32 v10, v10, v13
	s_delay_alu instid0(VALU_DEP_1) | instskip(SKIP_2) | instid1(VALU_DEP_1)
	v_cmp_ne_u32_e32 vcc_lo, v10, v11
	v_lshl_or_b32 v11, v8, 12, v6
	v_cndmask_b32_e64 v10, 0, 1, vcc_lo
	v_or_b32_e32 v10, v13, v10
	v_sub_nc_u32_e32 v7, 0x3f1, v9
	v_add_nc_u32_e32 v9, 0xfffffc10, v9
	s_delay_alu instid0(VALU_DEP_2) | instskip(NEXT) | instid1(VALU_DEP_1)
	v_med3_i32 v7, v7, 0, 13
	v_lshrrev_b32_e32 v14, v7, v12
	s_delay_alu instid0(VALU_DEP_1) | instskip(NEXT) | instid1(VALU_DEP_1)
	v_lshlrev_b32_e32 v7, v7, v14
	v_cmp_ne_u32_e32 vcc_lo, v7, v12
	v_lshl_or_b32 v12, v9, 12, v2
	v_cndmask_b32_e64 v7, 0, 1, vcc_lo
	v_cmp_gt_i32_e32 vcc_lo, 1, v8
	s_delay_alu instid0(VALU_DEP_2) | instskip(SKIP_1) | instid1(VALU_DEP_2)
	v_dual_cndmask_b32 v10, v11, v10, vcc_lo :: v_dual_bitop2_b32 v7, v14, v7 bitop3:0x54
	v_cmp_gt_i32_e32 vcc_lo, 1, v9
	v_dual_lshrrev_b32 v10, 2, v10 :: v_dual_bitop2_b32 v11, 7, v10 bitop3:0x40
	s_delay_alu instid0(VALU_DEP_3) | instskip(NEXT) | instid1(VALU_DEP_1)
	v_cndmask_b32_e32 v7, v12, v7, vcc_lo
	v_dual_lshrrev_b32 v7, 2, v7 :: v_dual_bitop2_b32 v12, 7, v7 bitop3:0x40
	s_delay_alu instid0(VALU_DEP_3) | instskip(SKIP_1) | instid1(VALU_DEP_3)
	v_cmp_lt_i32_e32 vcc_lo, 5, v11
	v_cndmask_b32_e64 v14, 0, 1, vcc_lo
	v_cmp_lt_i32_e32 vcc_lo, 5, v12
	v_cndmask_b32_e64 v15, 0, 1, vcc_lo
	v_cmp_eq_u32_e32 vcc_lo, 3, v12
	v_cndmask_b32_e64 v12, 0, 1, vcc_lo
	v_cmp_eq_u32_e32 vcc_lo, 3, v11
	s_delay_alu instid0(VALU_DEP_2) | instskip(SKIP_2) | instid1(VALU_DEP_3)
	v_or_b32_e32 v12, v12, v15
	v_cndmask_b32_e64 v11, 0, 1, vcc_lo
	v_cmp_ne_u32_e32 vcc_lo, 0, v6
	v_add_nc_u32_e32 v7, v7, v12
	s_delay_alu instid0(VALU_DEP_3) | instskip(NEXT) | instid1(VALU_DEP_1)
	v_or_b32_e32 v11, v11, v14
	v_dual_mov_b32 v13, 0x7e00 :: v_dual_add_nc_u32 v10, v10, v11
	s_delay_alu instid0(VALU_DEP_1)
	v_cndmask_b32_e32 v6, 0x7c00, v13, vcc_lo
	v_cmp_ne_u32_e32 vcc_lo, 0, v2
	v_and_b32_e32 v11, 0x8000, v16
	v_cndmask_b32_e32 v2, 0x7c00, v13, vcc_lo
	v_cmp_gt_i32_e32 vcc_lo, 31, v9
	v_cndmask_b32_e32 v7, 0x7c00, v7, vcc_lo
	v_cmp_gt_i32_e32 vcc_lo, 31, v8
	v_cndmask_b32_e32 v10, 0x7c00, v10, vcc_lo
	v_cmp_eq_u32_e32 vcc_lo, 0x40f, v9
	s_delay_alu instid0(VALU_DEP_4) | instskip(SKIP_1) | instid1(VALU_DEP_2)
	v_cndmask_b32_e32 v2, v7, v2, vcc_lo
	v_cmp_eq_u32_e32 vcc_lo, 0x40f, v8
	v_and_or_b32 v2, 0x8000, v3, v2
	v_cndmask_b32_e32 v6, v10, v6, vcc_lo
	s_delay_alu instid0(VALU_DEP_1) | instskip(NEXT) | instid1(VALU_DEP_1)
	v_bitop3_b32 v3, v11, 0xffff, v6 bitop3:0xc8
	v_lshl_or_b32 v2, v2, 16, v3
	global_store_b32 v[4:5], v2, off
.LBB135_3252:
	s_mov_b32 s0, 0
.LBB135_3253:
	s_delay_alu instid0(SALU_CYCLE_1)
	s_and_not1_b32 vcc_lo, exec_lo, s0
	s_cbranch_vccnz .LBB135_3262
; %bb.3254:
	s_cmp_lt_i32 s2, 6
	s_mov_b32 s0, -1
	s_cbranch_scc1 .LBB135_3260
; %bb.3255:
	s_cmp_gt_i32 s2, 6
	s_cbranch_scc0 .LBB135_3257
; %bb.3256:
	s_mov_b32 s0, 0
	global_store_b64 v[4:5], v[0:1], off
.LBB135_3257:
	s_and_not1_b32 vcc_lo, exec_lo, s0
	s_cbranch_vccnz .LBB135_3259
; %bb.3258:
	s_wait_xcnt 0x0
	s_delay_alu instid0(VALU_DEP_3)
	v_cvt_f32_f64_e32 v2, v[0:1]
	global_store_b32 v[4:5], v2, off
.LBB135_3259:
	s_mov_b32 s0, 0
.LBB135_3260:
	s_delay_alu instid0(SALU_CYCLE_1)
	s_and_not1_b32 vcc_lo, exec_lo, s0
	s_cbranch_vccnz .LBB135_3262
; %bb.3261:
	s_wait_xcnt 0x0
	s_delay_alu instid0(VALU_DEP_3) | instskip(SKIP_2) | instid1(VALU_DEP_3)
	v_and_or_b32 v2, 0x1ff, v1, v0
	v_lshrrev_b32_e32 v3, 8, v1
	v_bfe_u32 v6, v1, 20, 11
	v_cmp_ne_u32_e32 vcc_lo, 0, v2
	s_delay_alu instid0(VALU_DEP_2) | instskip(SKIP_1) | instid1(VALU_DEP_1)
	v_sub_nc_u32_e32 v7, 0x3f1, v6
	v_cndmask_b32_e64 v2, 0, 1, vcc_lo
	v_and_or_b32 v2, 0xffe, v3, v2
	s_delay_alu instid0(VALU_DEP_3) | instskip(NEXT) | instid1(VALU_DEP_2)
	v_med3_i32 v3, v7, 0, 13
	v_or_b32_e32 v7, 0x1000, v2
	s_delay_alu instid0(VALU_DEP_1) | instskip(NEXT) | instid1(VALU_DEP_1)
	v_lshrrev_b32_e32 v8, v3, v7
	v_lshlrev_b32_e32 v3, v3, v8
	s_delay_alu instid0(VALU_DEP_1) | instskip(SKIP_1) | instid1(VALU_DEP_1)
	v_cmp_ne_u32_e32 vcc_lo, v3, v7
	v_cndmask_b32_e64 v3, 0, 1, vcc_lo
	v_or_b32_e32 v3, v8, v3
	v_add_nc_u32_e32 v6, 0xfffffc10, v6
	s_delay_alu instid0(VALU_DEP_1) | instskip(SKIP_1) | instid1(VALU_DEP_2)
	v_lshl_or_b32 v7, v6, 12, v2
	v_cmp_gt_i32_e32 vcc_lo, 1, v6
	v_cndmask_b32_e32 v3, v7, v3, vcc_lo
	s_delay_alu instid0(VALU_DEP_1) | instskip(NEXT) | instid1(VALU_DEP_1)
	v_dual_lshrrev_b32 v3, 2, v3 :: v_dual_bitop2_b32 v7, 7, v3 bitop3:0x40
	v_cmp_lt_i32_e32 vcc_lo, 5, v7
	v_cndmask_b32_e64 v8, 0, 1, vcc_lo
	v_cmp_eq_u32_e32 vcc_lo, 3, v7
	v_cndmask_b32_e64 v7, 0, 1, vcc_lo
	v_cmp_ne_u32_e32 vcc_lo, 0, v2
	s_delay_alu instid0(VALU_DEP_2) | instskip(NEXT) | instid1(VALU_DEP_1)
	v_or_b32_e32 v7, v7, v8
	v_dual_mov_b32 v8, 0x7e00 :: v_dual_add_nc_u32 v3, v3, v7
	s_delay_alu instid0(VALU_DEP_1) | instskip(SKIP_1) | instid1(VALU_DEP_3)
	v_cndmask_b32_e32 v2, 0x7c00, v8, vcc_lo
	v_cmp_gt_i32_e32 vcc_lo, 31, v6
	v_cndmask_b32_e32 v3, 0x7c00, v3, vcc_lo
	v_cmp_eq_u32_e32 vcc_lo, 0x40f, v6
	s_delay_alu instid0(VALU_DEP_2) | instskip(NEXT) | instid1(VALU_DEP_1)
	v_dual_cndmask_b32 v2, v3, v2 :: v_dual_lshrrev_b32 v3, 16, v1
	v_and_or_b32 v2, 0x8000, v3, v2
	global_store_b16 v[4:5], v2, off
.LBB135_3262:
	s_mov_b32 s0, 0
.LBB135_3263:
	s_delay_alu instid0(SALU_CYCLE_1)
	s_and_not1_b32 vcc_lo, exec_lo, s0
	s_cbranch_vccnz .LBB135_3279
; %bb.3264:
	s_cmp_lt_i32 s2, 2
	s_mov_b32 s0, -1
	s_cbranch_scc1 .LBB135_3274
; %bb.3265:
	s_cmp_lt_i32 s2, 3
	s_cbranch_scc1 .LBB135_3271
; %bb.3266:
	s_cmp_gt_i32 s2, 3
	s_cbranch_scc0 .LBB135_3268
; %bb.3267:
	s_wait_xcnt 0x0
	s_delay_alu instid0(VALU_DEP_3) | instskip(SKIP_1) | instid1(VALU_DEP_1)
	v_trunc_f64_e32 v[2:3], v[0:1]
	s_mov_b32 s0, 0
	v_ldexp_f64 v[6:7], v[2:3], 0xffffffe0
	s_delay_alu instid0(VALU_DEP_1) | instskip(NEXT) | instid1(VALU_DEP_1)
	v_floor_f64_e32 v[6:7], v[6:7]
	v_fmamk_f64 v[2:3], v[6:7], 0xc1f00000, v[2:3]
	v_cvt_i32_f64_e32 v7, v[6:7]
	s_delay_alu instid0(VALU_DEP_2)
	v_cvt_u32_f64_e32 v6, v[2:3]
	global_store_b64 v[4:5], v[6:7], off
.LBB135_3268:
	s_and_not1_b32 vcc_lo, exec_lo, s0
	s_cbranch_vccnz .LBB135_3270
; %bb.3269:
	s_wait_xcnt 0x0
	s_delay_alu instid0(VALU_DEP_3)
	v_cvt_i32_f64_e32 v2, v[0:1]
	global_store_b32 v[4:5], v2, off
.LBB135_3270:
	s_mov_b32 s0, 0
.LBB135_3271:
	s_delay_alu instid0(SALU_CYCLE_1)
	s_and_not1_b32 vcc_lo, exec_lo, s0
	s_cbranch_vccnz .LBB135_3273
; %bb.3272:
	s_wait_xcnt 0x0
	s_delay_alu instid0(VALU_DEP_3)
	v_cvt_i32_f64_e32 v2, v[0:1]
	global_store_b16 v[4:5], v2, off
.LBB135_3273:
	s_mov_b32 s0, 0
.LBB135_3274:
	s_delay_alu instid0(SALU_CYCLE_1)
	s_and_not1_b32 vcc_lo, exec_lo, s0
	s_cbranch_vccnz .LBB135_3279
; %bb.3275:
	s_cmp_gt_i32 s2, 0
	s_mov_b32 s0, -1
	s_cbranch_scc0 .LBB135_3277
; %bb.3276:
	s_wait_xcnt 0x0
	s_delay_alu instid0(VALU_DEP_3)
	v_cvt_i32_f64_e32 v2, v[0:1]
	s_mov_b32 s0, 0
	global_store_b8 v[4:5], v2, off
.LBB135_3277:
	s_and_not1_b32 vcc_lo, exec_lo, s0
	s_cbranch_vccnz .LBB135_3279
; %bb.3278:
	s_wait_xcnt 0x0
	s_delay_alu instid0(VALU_DEP_3) | instskip(NEXT) | instid1(VALU_DEP_1)
	v_trunc_f64_e32 v[0:1], v[0:1]
	v_ldexp_f64 v[2:3], v[0:1], 0xffffffe0
	s_delay_alu instid0(VALU_DEP_1) | instskip(NEXT) | instid1(VALU_DEP_1)
	v_floor_f64_e32 v[2:3], v[2:3]
	v_fmamk_f64 v[0:1], v[2:3], 0xc1f00000, v[0:1]
	s_delay_alu instid0(VALU_DEP_1)
	v_cvt_u32_f64_e32 v0, v[0:1]
	global_store_b8 v[4:5], v0, off
.LBB135_3279:
	s_mov_b32 s13, -1
.LBB135_3280:
	s_delay_alu instid0(SALU_CYCLE_1)
	s_and_not1_b32 vcc_lo, exec_lo, s13
	s_cbranch_vccnz .LBB135_3357
; %bb.3281:
	s_wait_xcnt 0x0
	v_dual_mul_f64 v[4:5], s[4:5], v[26:27] :: v_dual_mov_b32 v33, 0
	v_mul_f64_e32 v[0:1], s[6:7], v[26:27]
	s_cmp_lt_i32 s2, 11
	s_delay_alu instid0(VALU_DEP_2) | instskip(NEXT) | instid1(VALU_DEP_2)
	v_fmac_f64_e32 v[4:5], s[6:7], v[24:25]
	v_fma_f64 v[0:1], s[4:5], v[24:25], -v[0:1]
	s_delay_alu instid0(VALU_DEP_2) | instskip(NEXT) | instid1(VALU_DEP_2)
	v_mul_f64_e32 v[6:7], v[4:5], v[30:31]
	v_mul_f64_e32 v[2:3], v[0:1], v[30:31]
	s_delay_alu instid0(VALU_DEP_2) | instskip(NEXT) | instid1(VALU_DEP_2)
	v_fma_f64 v[0:1], v[0:1], v[28:29], -v[6:7]
	v_fmac_f64_e32 v[2:3], v[4:5], v[28:29]
	v_add_nc_u64_e32 v[4:5], s[8:9], v[32:33]
	s_cbranch_scc1 .LBB135_3402
; %bb.3282:
	s_mov_b32 s4, -1
	s_mov_b32 s3, 0
	s_cmp_gt_i32 s2, 25
	s_mov_b32 s0, 0
	s_cbranch_scc0 .LBB135_3315
; %bb.3283:
	s_cmp_gt_i32 s2, 28
	s_cbranch_scc0 .LBB135_3299
; %bb.3284:
	s_cmp_gt_i32 s2, 43
	;; [unrolled: 3-line block ×3, first 2 shown]
	s_cbranch_scc0 .LBB135_3289
; %bb.3286:
	s_cmp_eq_u32 s2, 46
	s_mov_b32 s0, -1
	s_cbranch_scc0 .LBB135_3288
; %bb.3287:
	s_delay_alu instid0(VALU_DEP_2) | instskip(NEXT) | instid1(VALU_DEP_4)
	v_cvt_f32_f64_e32 v6, v[2:3]
	v_cvt_f32_f64_e32 v7, v[0:1]
	s_mov_b32 s0, 0
	s_delay_alu instid0(VALU_DEP_2) | instskip(NEXT) | instid1(VALU_DEP_2)
	v_bfe_u32 v8, v6, 16, 1
	v_bfe_u32 v9, v7, 16, 1
	v_cmp_o_f32_e32 vcc_lo, v6, v6
	s_delay_alu instid0(VALU_DEP_3) | instskip(NEXT) | instid1(VALU_DEP_3)
	v_add3_u32 v8, v6, v8, 0x7fff
	v_add3_u32 v9, v7, v9, 0x7fff
	s_delay_alu instid0(VALU_DEP_2) | instskip(NEXT) | instid1(VALU_DEP_1)
	v_and_b32_e32 v8, 0xffff0000, v8
	v_dual_cndmask_b32 v6, 0x7fc00000, v8 :: v_dual_lshrrev_b32 v9, 16, v9
	v_cmp_o_f32_e32 vcc_lo, v7, v7
	s_delay_alu instid0(VALU_DEP_2) | instskip(NEXT) | instid1(VALU_DEP_1)
	v_cndmask_b32_e32 v7, 0x7fc0, v9, vcc_lo
	v_or_b32_e32 v6, v6, v7
	global_store_b32 v[4:5], v6, off
.LBB135_3288:
	s_mov_b32 s4, 0
.LBB135_3289:
	s_delay_alu instid0(SALU_CYCLE_1)
	s_and_b32 vcc_lo, exec_lo, s4
	s_cbranch_vccz .LBB135_3294
; %bb.3290:
	s_cmp_eq_u32 s2, 44
	s_mov_b32 s0, -1
	s_cbranch_scc0 .LBB135_3294
; %bb.3291:
	s_wait_xcnt 0x0
	s_delay_alu instid0(VALU_DEP_3) | instskip(SKIP_2) | instid1(VALU_DEP_2)
	v_cvt_f32_f64_e32 v6, v[0:1]
	v_mov_b32_e32 v7, 0xff
	s_mov_b32 s4, exec_lo
	v_bfe_u32 v8, v6, 23, 8
	s_delay_alu instid0(VALU_DEP_1)
	v_cmpx_ne_u32_e32 0xff, v8
	s_cbranch_execz .LBB135_3293
; %bb.3292:
	v_and_b32_e32 v7, 0x400000, v6
	v_and_or_b32 v8, 0x3fffff, v6, v8
	v_lshrrev_b32_e32 v6, 23, v6
	s_delay_alu instid0(VALU_DEP_3) | instskip(NEXT) | instid1(VALU_DEP_3)
	v_cmp_ne_u32_e32 vcc_lo, 0, v7
	v_cmp_ne_u32_e64 s0, 0, v8
	s_and_b32 s0, vcc_lo, s0
	s_delay_alu instid0(SALU_CYCLE_1) | instskip(NEXT) | instid1(VALU_DEP_1)
	v_cndmask_b32_e64 v7, 0, 1, s0
	v_add_nc_u32_e32 v7, v6, v7
.LBB135_3293:
	s_or_b32 exec_lo, exec_lo, s4
	s_mov_b32 s0, 0
	global_store_b8 v[4:5], v7, off
.LBB135_3294:
	s_mov_b32 s4, 0
.LBB135_3295:
	s_delay_alu instid0(SALU_CYCLE_1)
	s_and_b32 vcc_lo, exec_lo, s4
	s_cbranch_vccz .LBB135_3298
; %bb.3296:
	s_cmp_eq_u32 s2, 29
	s_mov_b32 s0, -1
	s_cbranch_scc0 .LBB135_3298
; %bb.3297:
	s_wait_xcnt 0x0
	s_delay_alu instid0(VALU_DEP_3) | instskip(SKIP_1) | instid1(VALU_DEP_1)
	v_trunc_f64_e32 v[6:7], v[0:1]
	s_mov_b32 s0, 0
	v_ldexp_f64 v[8:9], v[6:7], 0xffffffe0
	s_delay_alu instid0(VALU_DEP_1) | instskip(NEXT) | instid1(VALU_DEP_1)
	v_floor_f64_e32 v[8:9], v[8:9]
	v_fmamk_f64 v[6:7], v[8:9], 0xc1f00000, v[6:7]
	v_cvt_u32_f64_e32 v9, v[8:9]
	s_delay_alu instid0(VALU_DEP_2)
	v_cvt_u32_f64_e32 v8, v[6:7]
	global_store_b64 v[4:5], v[8:9], off
.LBB135_3298:
	s_mov_b32 s4, 0
.LBB135_3299:
	s_delay_alu instid0(SALU_CYCLE_1)
	s_and_b32 vcc_lo, exec_lo, s4
	s_cbranch_vccz .LBB135_3314
; %bb.3300:
	s_cmp_lt_i32 s2, 27
	s_mov_b32 s4, -1
	s_cbranch_scc1 .LBB135_3306
; %bb.3301:
	s_wait_xcnt 0x0
	s_delay_alu instid0(VALU_DEP_3)
	v_cvt_u32_f64_e32 v6, v[0:1]
	s_cmp_gt_i32 s2, 27
	s_cbranch_scc0 .LBB135_3303
; %bb.3302:
	s_mov_b32 s4, 0
	global_store_b32 v[4:5], v6, off
.LBB135_3303:
	s_and_not1_b32 vcc_lo, exec_lo, s4
	s_cbranch_vccnz .LBB135_3305
; %bb.3304:
	global_store_b16 v[4:5], v6, off
.LBB135_3305:
	s_mov_b32 s4, 0
.LBB135_3306:
	s_delay_alu instid0(SALU_CYCLE_1)
	s_and_not1_b32 vcc_lo, exec_lo, s4
	s_cbranch_vccnz .LBB135_3314
; %bb.3307:
	s_wait_xcnt 0x0
	s_delay_alu instid0(VALU_DEP_3) | instskip(SKIP_2) | instid1(VALU_DEP_2)
	v_cvt_f32_f64_e32 v6, v[0:1]
	v_mov_b32_e32 v8, 0x80
	s_mov_b32 s4, exec_lo
	v_and_b32_e32 v7, 0x7fffffff, v6
	s_delay_alu instid0(VALU_DEP_1)
	v_cmpx_gt_u32_e32 0x43800000, v7
	s_cbranch_execz .LBB135_3313
; %bb.3308:
	v_cmp_lt_u32_e32 vcc_lo, 0x3bffffff, v7
	s_mov_b32 s5, 0
                                        ; implicit-def: $vgpr7
	s_and_saveexec_b32 s6, vcc_lo
	s_delay_alu instid0(SALU_CYCLE_1)
	s_xor_b32 s6, exec_lo, s6
	s_cbranch_execnz .LBB135_3423
; %bb.3309:
	s_and_not1_saveexec_b32 s6, s6
	s_cbranch_execnz .LBB135_3424
.LBB135_3310:
	s_or_b32 exec_lo, exec_lo, s6
	v_mov_b32_e32 v8, 0
	s_and_saveexec_b32 s6, s5
.LBB135_3311:
	v_lshrrev_b32_e32 v6, 24, v6
	s_delay_alu instid0(VALU_DEP_1)
	v_and_or_b32 v8, 0x80, v6, v7
.LBB135_3312:
	s_or_b32 exec_lo, exec_lo, s6
.LBB135_3313:
	s_delay_alu instid0(SALU_CYCLE_1)
	s_or_b32 exec_lo, exec_lo, s4
	global_store_b8 v[4:5], v8, off
.LBB135_3314:
	s_mov_b32 s4, 0
.LBB135_3315:
	s_delay_alu instid0(SALU_CYCLE_1)
	s_and_b32 vcc_lo, exec_lo, s4
	s_cbranch_vccz .LBB135_3355
; %bb.3316:
	s_cmp_gt_i32 s2, 22
	s_mov_b32 s3, -1
	s_cbranch_scc0 .LBB135_3348
; %bb.3317:
	s_cmp_lt_i32 s2, 24
	s_cbranch_scc1 .LBB135_3337
; %bb.3318:
	s_cmp_gt_i32 s2, 24
	s_cbranch_scc0 .LBB135_3326
; %bb.3319:
	s_wait_xcnt 0x0
	s_delay_alu instid0(VALU_DEP_3) | instskip(SKIP_2) | instid1(VALU_DEP_2)
	v_cvt_f32_f64_e32 v6, v[0:1]
	v_mov_b32_e32 v8, 0x80
	s_mov_b32 s3, exec_lo
	v_and_b32_e32 v7, 0x7fffffff, v6
	s_delay_alu instid0(VALU_DEP_1)
	v_cmpx_gt_u32_e32 0x47800000, v7
	s_cbranch_execz .LBB135_3325
; %bb.3320:
	v_cmp_lt_u32_e32 vcc_lo, 0x37ffffff, v7
	s_mov_b32 s4, 0
                                        ; implicit-def: $vgpr7
	s_and_saveexec_b32 s5, vcc_lo
	s_delay_alu instid0(SALU_CYCLE_1)
	s_xor_b32 s5, exec_lo, s5
	s_cbranch_execnz .LBB135_3425
; %bb.3321:
	s_and_not1_saveexec_b32 s5, s5
	s_cbranch_execnz .LBB135_3426
.LBB135_3322:
	s_or_b32 exec_lo, exec_lo, s5
	v_mov_b32_e32 v8, 0
	s_and_saveexec_b32 s5, s4
.LBB135_3323:
	v_lshrrev_b32_e32 v6, 24, v6
	s_delay_alu instid0(VALU_DEP_1)
	v_and_or_b32 v8, 0x80, v6, v7
.LBB135_3324:
	s_or_b32 exec_lo, exec_lo, s5
.LBB135_3325:
	s_delay_alu instid0(SALU_CYCLE_1)
	s_or_b32 exec_lo, exec_lo, s3
	s_mov_b32 s3, 0
	global_store_b8 v[4:5], v8, off
.LBB135_3326:
	s_and_b32 vcc_lo, exec_lo, s3
	s_cbranch_vccz .LBB135_3336
; %bb.3327:
	s_wait_xcnt 0x0
	s_delay_alu instid0(VALU_DEP_3) | instskip(SKIP_1) | instid1(VALU_DEP_1)
	v_cvt_f32_f64_e32 v6, v[0:1]
	s_mov_b32 s3, exec_lo
                                        ; implicit-def: $vgpr7
	v_and_b32_e32 v8, 0x7fffffff, v6
	s_delay_alu instid0(VALU_DEP_1)
	v_cmpx_gt_u32_e32 0x43f00000, v8
	s_xor_b32 s3, exec_lo, s3
	s_cbranch_execz .LBB135_3333
; %bb.3328:
	s_mov_b32 s4, exec_lo
                                        ; implicit-def: $vgpr7
	v_cmpx_lt_u32_e32 0x3c7fffff, v8
	s_xor_b32 s4, exec_lo, s4
; %bb.3329:
	v_bfe_u32 v7, v6, 20, 1
	s_delay_alu instid0(VALU_DEP_1) | instskip(NEXT) | instid1(VALU_DEP_1)
	v_add3_u32 v7, v6, v7, 0x407ffff
	v_and_b32_e32 v8, 0xff00000, v7
	v_lshrrev_b32_e32 v7, 20, v7
	s_delay_alu instid0(VALU_DEP_2) | instskip(NEXT) | instid1(VALU_DEP_2)
	v_cmp_ne_u32_e32 vcc_lo, 0x7f00000, v8
	v_cndmask_b32_e32 v7, 0x7e, v7, vcc_lo
; %bb.3330:
	s_and_not1_saveexec_b32 s4, s4
; %bb.3331:
	v_add_f32_e64 v7, 0x46800000, |v6|
; %bb.3332:
	s_or_b32 exec_lo, exec_lo, s4
                                        ; implicit-def: $vgpr8
.LBB135_3333:
	s_and_not1_saveexec_b32 s3, s3
; %bb.3334:
	v_mov_b32_e32 v7, 0x7f
	v_cmp_lt_u32_e32 vcc_lo, 0x7f800000, v8
	s_delay_alu instid0(VALU_DEP_2)
	v_cndmask_b32_e32 v7, 0x7e, v7, vcc_lo
; %bb.3335:
	s_or_b32 exec_lo, exec_lo, s3
	v_lshrrev_b32_e32 v6, 24, v6
	s_delay_alu instid0(VALU_DEP_1)
	v_and_or_b32 v6, 0x80, v6, v7
	global_store_b8 v[4:5], v6, off
.LBB135_3336:
	s_mov_b32 s3, 0
.LBB135_3337:
	s_delay_alu instid0(SALU_CYCLE_1)
	s_and_not1_b32 vcc_lo, exec_lo, s3
	s_cbranch_vccnz .LBB135_3347
; %bb.3338:
	s_wait_xcnt 0x0
	s_delay_alu instid0(VALU_DEP_3) | instskip(SKIP_1) | instid1(VALU_DEP_1)
	v_cvt_f32_f64_e32 v6, v[0:1]
	s_mov_b32 s3, exec_lo
                                        ; implicit-def: $vgpr7
	v_and_b32_e32 v8, 0x7fffffff, v6
	s_delay_alu instid0(VALU_DEP_1)
	v_cmpx_gt_u32_e32 0x47800000, v8
	s_xor_b32 s3, exec_lo, s3
	s_cbranch_execz .LBB135_3344
; %bb.3339:
	s_mov_b32 s4, exec_lo
                                        ; implicit-def: $vgpr7
	v_cmpx_lt_u32_e32 0x387fffff, v8
	s_xor_b32 s4, exec_lo, s4
; %bb.3340:
	v_bfe_u32 v7, v6, 21, 1
	s_delay_alu instid0(VALU_DEP_1) | instskip(NEXT) | instid1(VALU_DEP_1)
	v_add3_u32 v7, v6, v7, 0x80fffff
	v_lshrrev_b32_e32 v7, 21, v7
; %bb.3341:
	s_and_not1_saveexec_b32 s4, s4
; %bb.3342:
	v_add_f32_e64 v7, 0x43000000, |v6|
; %bb.3343:
	s_or_b32 exec_lo, exec_lo, s4
                                        ; implicit-def: $vgpr8
.LBB135_3344:
	s_and_not1_saveexec_b32 s3, s3
; %bb.3345:
	v_mov_b32_e32 v7, 0x7f
	v_cmp_lt_u32_e32 vcc_lo, 0x7f800000, v8
	s_delay_alu instid0(VALU_DEP_2)
	v_cndmask_b32_e32 v7, 0x7c, v7, vcc_lo
; %bb.3346:
	s_or_b32 exec_lo, exec_lo, s3
	v_lshrrev_b32_e32 v6, 24, v6
	s_delay_alu instid0(VALU_DEP_1)
	v_and_or_b32 v6, 0x80, v6, v7
	global_store_b8 v[4:5], v6, off
.LBB135_3347:
	s_mov_b32 s3, 0
.LBB135_3348:
	s_delay_alu instid0(SALU_CYCLE_1)
	s_and_not1_b32 vcc_lo, exec_lo, s3
	s_mov_b32 s3, 0
	s_cbranch_vccnz .LBB135_3355
; %bb.3349:
	s_cmp_gt_i32 s2, 14
	s_mov_b32 s3, -1
	s_cbranch_scc0 .LBB135_3353
; %bb.3350:
	s_cmp_eq_u32 s2, 15
	s_mov_b32 s0, -1
	s_cbranch_scc0 .LBB135_3352
; %bb.3351:
	s_wait_xcnt 0x0
	s_delay_alu instid0(VALU_DEP_3) | instskip(SKIP_1) | instid1(VALU_DEP_1)
	v_cvt_f32_f64_e32 v6, v[0:1]
	s_mov_b32 s0, 0
	v_bfe_u32 v7, v6, 16, 1
	v_cmp_o_f32_e32 vcc_lo, v6, v6
	s_delay_alu instid0(VALU_DEP_2) | instskip(NEXT) | instid1(VALU_DEP_1)
	v_add3_u32 v7, v6, v7, 0x7fff
	v_lshrrev_b32_e32 v7, 16, v7
	s_delay_alu instid0(VALU_DEP_1)
	v_cndmask_b32_e32 v6, 0x7fc0, v7, vcc_lo
	global_store_b16 v[4:5], v6, off
.LBB135_3352:
	s_mov_b32 s3, 0
.LBB135_3353:
	s_delay_alu instid0(SALU_CYCLE_1)
	s_and_b32 vcc_lo, exec_lo, s3
	s_mov_b32 s3, 0
	s_cbranch_vccz .LBB135_3355
; %bb.3354:
	s_cmp_lg_u32 s2, 11
	s_mov_b32 s3, -1
	s_cselect_b32 s0, -1, 0
.LBB135_3355:
	s_delay_alu instid0(SALU_CYCLE_1)
	s_and_b32 vcc_lo, exec_lo, s0
	s_cbranch_vccnz .LBB135_3420
.LBB135_3356:
	s_mov_b32 s0, 0
	s_branch .LBB135_3358
.LBB135_3357:
	s_mov_b32 s0, 0
	s_wait_xcnt 0x0
	s_mov_b32 s3, 0
                                        ; implicit-def: $vgpr4_vgpr5
                                        ; implicit-def: $sgpr1
                                        ; implicit-def: $vgpr2_vgpr3
.LBB135_3358:
	s_and_b32 s4, s0, exec_lo
	s_and_not1_b32 s0, s10, exec_lo
	s_and_b32 s2, s12, exec_lo
	s_and_b32 s34, s3, exec_lo
	s_or_b32 s10, s0, s2
.LBB135_3359:
	s_wait_xcnt 0x0
	s_or_b32 exec_lo, exec_lo, s11
	s_and_saveexec_b32 s0, s10
	s_cbranch_execnz .LBB135_3363
; %bb.3360:
	s_or_b32 exec_lo, exec_lo, s0
	s_and_saveexec_b32 s0, s34
	s_delay_alu instid0(SALU_CYCLE_1)
	s_xor_b32 s2, exec_lo, s0
	s_cbranch_execnz .LBB135_3364
.LBB135_3361:
	s_or_b32 exec_lo, exec_lo, s2
	s_and_saveexec_b32 s0, s4
	s_cbranch_execnz .LBB135_3365
.LBB135_3362:
	s_endpgm
.LBB135_3363:
	; divergent unreachable
	s_or_b32 exec_lo, exec_lo, s0
	s_and_saveexec_b32 s0, s34
	s_delay_alu instid0(SALU_CYCLE_1)
	s_xor_b32 s2, exec_lo, s0
	s_cbranch_execz .LBB135_3361
.LBB135_3364:
	s_wait_loadcnt 0x0
	s_delay_alu instid0(VALU_DEP_1) | instskip(NEXT) | instid1(VALU_DEP_2)
	v_cmp_neq_f64_e32 vcc_lo, 0, v[0:1]
	v_cmp_neq_f64_e64 s0, 0, v[2:3]
	s_or_b32 s0, vcc_lo, s0
	s_delay_alu instid0(SALU_CYCLE_1)
	v_cndmask_b32_e64 v6, 0, 1, s0
	global_store_b8 v[4:5], v6, off
	s_wait_xcnt 0x0
	s_or_b32 exec_lo, exec_lo, s2
	s_and_saveexec_b32 s0, s4
	s_cbranch_execz .LBB135_3362
.LBB135_3365:
	s_sext_i32_i16 s2, s1
	s_mov_b32 s0, -1
	s_cmp_lt_i32 s2, 5
	s_cbranch_scc1 .LBB135_3386
; %bb.3366:
	s_cmp_lt_i32 s2, 8
	s_cbranch_scc1 .LBB135_3376
; %bb.3367:
	s_cmp_lt_i32 s2, 9
	s_cbranch_scc1 .LBB135_3373
; %bb.3368:
	s_cmp_gt_i32 s2, 9
	s_cbranch_scc0 .LBB135_3370
; %bb.3369:
	s_mov_b32 s0, 0
	s_wait_loadcnt 0x0
	global_store_b128 v[4:5], v[0:3], off
.LBB135_3370:
	s_and_not1_b32 vcc_lo, exec_lo, s0
	s_cbranch_vccnz .LBB135_3372
; %bb.3371:
	s_wait_loadcnt 0x0
	v_cvt_f32_f64_e32 v6, v[0:1]
	v_cvt_f32_f64_e32 v7, v[2:3]
	global_store_b64 v[4:5], v[6:7], off
.LBB135_3372:
	s_mov_b32 s0, 0
.LBB135_3373:
	s_delay_alu instid0(SALU_CYCLE_1)
	s_and_not1_b32 vcc_lo, exec_lo, s0
	s_cbranch_vccnz .LBB135_3375
; %bb.3374:
	s_wait_loadcnt 0x0
	v_and_or_b32 v6, 0x1ff, v1, v0
	v_and_or_b32 v2, 0x1ff, v3, v2
	v_dual_lshrrev_b32 v7, 8, v1 :: v_dual_lshrrev_b32 v10, 8, v3
	v_bfe_u32 v8, v1, 20, 11
	s_delay_alu instid0(VALU_DEP_4) | instskip(SKIP_2) | instid1(VALU_DEP_4)
	v_cmp_ne_u32_e32 vcc_lo, 0, v6
	v_bfe_u32 v9, v3, 20, 11
	v_dual_lshrrev_b32 v16, 16, v1 :: v_dual_lshrrev_b32 v3, 16, v3
	v_sub_nc_u32_e32 v11, 0x3f1, v8
	v_cndmask_b32_e64 v6, 0, 1, vcc_lo
	v_cmp_ne_u32_e32 vcc_lo, 0, v2
	v_add_nc_u32_e32 v8, 0xfffffc10, v8
	s_delay_alu instid0(VALU_DEP_3) | instskip(SKIP_1) | instid1(VALU_DEP_1)
	v_and_or_b32 v6, 0xffe, v7, v6
	v_cndmask_b32_e64 v2, 0, 1, vcc_lo
	v_and_or_b32 v2, 0xffe, v10, v2
	v_med3_i32 v10, v11, 0, 13
	s_delay_alu instid0(VALU_DEP_4) | instskip(NEXT) | instid1(VALU_DEP_3)
	v_or_b32_e32 v11, 0x1000, v6
	v_or_b32_e32 v12, 0x1000, v2
	s_delay_alu instid0(VALU_DEP_2) | instskip(NEXT) | instid1(VALU_DEP_1)
	v_lshrrev_b32_e32 v13, v10, v11
	v_lshlrev_b32_e32 v10, v10, v13
	s_delay_alu instid0(VALU_DEP_1) | instskip(SKIP_2) | instid1(VALU_DEP_1)
	v_cmp_ne_u32_e32 vcc_lo, v10, v11
	v_lshl_or_b32 v11, v8, 12, v6
	v_cndmask_b32_e64 v10, 0, 1, vcc_lo
	v_or_b32_e32 v10, v13, v10
	v_sub_nc_u32_e32 v7, 0x3f1, v9
	v_add_nc_u32_e32 v9, 0xfffffc10, v9
	s_delay_alu instid0(VALU_DEP_2) | instskip(NEXT) | instid1(VALU_DEP_1)
	v_med3_i32 v7, v7, 0, 13
	v_lshrrev_b32_e32 v14, v7, v12
	s_delay_alu instid0(VALU_DEP_1) | instskip(NEXT) | instid1(VALU_DEP_1)
	v_lshlrev_b32_e32 v7, v7, v14
	v_cmp_ne_u32_e32 vcc_lo, v7, v12
	v_lshl_or_b32 v12, v9, 12, v2
	v_cndmask_b32_e64 v7, 0, 1, vcc_lo
	v_cmp_gt_i32_e32 vcc_lo, 1, v8
	s_delay_alu instid0(VALU_DEP_2) | instskip(SKIP_1) | instid1(VALU_DEP_2)
	v_dual_cndmask_b32 v10, v11, v10, vcc_lo :: v_dual_bitop2_b32 v7, v14, v7 bitop3:0x54
	v_cmp_gt_i32_e32 vcc_lo, 1, v9
	v_dual_lshrrev_b32 v10, 2, v10 :: v_dual_bitop2_b32 v11, 7, v10 bitop3:0x40
	s_delay_alu instid0(VALU_DEP_3) | instskip(NEXT) | instid1(VALU_DEP_1)
	v_cndmask_b32_e32 v7, v12, v7, vcc_lo
	v_dual_lshrrev_b32 v7, 2, v7 :: v_dual_bitop2_b32 v12, 7, v7 bitop3:0x40
	s_delay_alu instid0(VALU_DEP_3) | instskip(SKIP_1) | instid1(VALU_DEP_3)
	v_cmp_lt_i32_e32 vcc_lo, 5, v11
	v_cndmask_b32_e64 v14, 0, 1, vcc_lo
	v_cmp_lt_i32_e32 vcc_lo, 5, v12
	v_cndmask_b32_e64 v15, 0, 1, vcc_lo
	v_cmp_eq_u32_e32 vcc_lo, 3, v12
	v_cndmask_b32_e64 v12, 0, 1, vcc_lo
	v_cmp_eq_u32_e32 vcc_lo, 3, v11
	s_delay_alu instid0(VALU_DEP_2) | instskip(SKIP_2) | instid1(VALU_DEP_3)
	v_or_b32_e32 v12, v12, v15
	v_cndmask_b32_e64 v11, 0, 1, vcc_lo
	v_cmp_ne_u32_e32 vcc_lo, 0, v6
	v_add_nc_u32_e32 v7, v7, v12
	s_delay_alu instid0(VALU_DEP_3) | instskip(NEXT) | instid1(VALU_DEP_1)
	v_or_b32_e32 v11, v11, v14
	v_dual_mov_b32 v13, 0x7e00 :: v_dual_add_nc_u32 v10, v10, v11
	s_delay_alu instid0(VALU_DEP_1)
	v_cndmask_b32_e32 v6, 0x7c00, v13, vcc_lo
	v_cmp_ne_u32_e32 vcc_lo, 0, v2
	v_and_b32_e32 v11, 0x8000, v16
	v_cndmask_b32_e32 v2, 0x7c00, v13, vcc_lo
	v_cmp_gt_i32_e32 vcc_lo, 31, v9
	v_cndmask_b32_e32 v7, 0x7c00, v7, vcc_lo
	v_cmp_gt_i32_e32 vcc_lo, 31, v8
	v_cndmask_b32_e32 v10, 0x7c00, v10, vcc_lo
	v_cmp_eq_u32_e32 vcc_lo, 0x40f, v9
	s_delay_alu instid0(VALU_DEP_4) | instskip(SKIP_1) | instid1(VALU_DEP_2)
	v_cndmask_b32_e32 v2, v7, v2, vcc_lo
	v_cmp_eq_u32_e32 vcc_lo, 0x40f, v8
	v_and_or_b32 v2, 0x8000, v3, v2
	v_cndmask_b32_e32 v6, v10, v6, vcc_lo
	s_delay_alu instid0(VALU_DEP_1) | instskip(NEXT) | instid1(VALU_DEP_1)
	v_bitop3_b32 v3, v11, 0xffff, v6 bitop3:0xc8
	v_lshl_or_b32 v2, v2, 16, v3
	global_store_b32 v[4:5], v2, off
.LBB135_3375:
	s_mov_b32 s0, 0
.LBB135_3376:
	s_delay_alu instid0(SALU_CYCLE_1)
	s_and_not1_b32 vcc_lo, exec_lo, s0
	s_cbranch_vccnz .LBB135_3385
; %bb.3377:
	s_sext_i32_i16 s2, s1
	s_mov_b32 s0, -1
	s_cmp_lt_i32 s2, 6
	s_cbranch_scc1 .LBB135_3383
; %bb.3378:
	s_cmp_gt_i32 s2, 6
	s_cbranch_scc0 .LBB135_3380
; %bb.3379:
	s_mov_b32 s0, 0
	s_wait_loadcnt 0x0
	global_store_b64 v[4:5], v[0:1], off
.LBB135_3380:
	s_and_not1_b32 vcc_lo, exec_lo, s0
	s_cbranch_vccnz .LBB135_3382
; %bb.3381:
	s_wait_loadcnt 0x0
	v_cvt_f32_f64_e32 v2, v[0:1]
	global_store_b32 v[4:5], v2, off
.LBB135_3382:
	s_mov_b32 s0, 0
.LBB135_3383:
	s_delay_alu instid0(SALU_CYCLE_1)
	s_and_not1_b32 vcc_lo, exec_lo, s0
	s_cbranch_vccnz .LBB135_3385
; %bb.3384:
	s_wait_loadcnt 0x0
	v_and_or_b32 v2, 0x1ff, v1, v0
	v_lshrrev_b32_e32 v3, 8, v1
	v_bfe_u32 v6, v1, 20, 11
	s_delay_alu instid0(VALU_DEP_3) | instskip(NEXT) | instid1(VALU_DEP_2)
	v_cmp_ne_u32_e32 vcc_lo, 0, v2
	v_sub_nc_u32_e32 v7, 0x3f1, v6
	v_cndmask_b32_e64 v2, 0, 1, vcc_lo
	s_delay_alu instid0(VALU_DEP_1) | instskip(NEXT) | instid1(VALU_DEP_3)
	v_and_or_b32 v2, 0xffe, v3, v2
	v_med3_i32 v3, v7, 0, 13
	s_delay_alu instid0(VALU_DEP_2) | instskip(NEXT) | instid1(VALU_DEP_1)
	v_or_b32_e32 v7, 0x1000, v2
	v_lshrrev_b32_e32 v8, v3, v7
	s_delay_alu instid0(VALU_DEP_1) | instskip(NEXT) | instid1(VALU_DEP_1)
	v_lshlrev_b32_e32 v3, v3, v8
	v_cmp_ne_u32_e32 vcc_lo, v3, v7
	v_cndmask_b32_e64 v3, 0, 1, vcc_lo
	s_delay_alu instid0(VALU_DEP_1) | instskip(SKIP_1) | instid1(VALU_DEP_1)
	v_or_b32_e32 v3, v8, v3
	v_add_nc_u32_e32 v6, 0xfffffc10, v6
	v_lshl_or_b32 v7, v6, 12, v2
	v_cmp_gt_i32_e32 vcc_lo, 1, v6
	s_delay_alu instid0(VALU_DEP_2) | instskip(NEXT) | instid1(VALU_DEP_1)
	v_cndmask_b32_e32 v3, v7, v3, vcc_lo
	v_dual_lshrrev_b32 v3, 2, v3 :: v_dual_bitop2_b32 v7, 7, v3 bitop3:0x40
	s_delay_alu instid0(VALU_DEP_1) | instskip(SKIP_4) | instid1(VALU_DEP_2)
	v_cmp_lt_i32_e32 vcc_lo, 5, v7
	v_cndmask_b32_e64 v8, 0, 1, vcc_lo
	v_cmp_eq_u32_e32 vcc_lo, 3, v7
	v_cndmask_b32_e64 v7, 0, 1, vcc_lo
	v_cmp_ne_u32_e32 vcc_lo, 0, v2
	v_or_b32_e32 v7, v7, v8
	s_delay_alu instid0(VALU_DEP_1) | instskip(NEXT) | instid1(VALU_DEP_1)
	v_dual_mov_b32 v8, 0x7e00 :: v_dual_add_nc_u32 v3, v3, v7
	v_cndmask_b32_e32 v2, 0x7c00, v8, vcc_lo
	v_cmp_gt_i32_e32 vcc_lo, 31, v6
	s_delay_alu instid0(VALU_DEP_3) | instskip(SKIP_1) | instid1(VALU_DEP_2)
	v_cndmask_b32_e32 v3, 0x7c00, v3, vcc_lo
	v_cmp_eq_u32_e32 vcc_lo, 0x40f, v6
	v_dual_cndmask_b32 v2, v3, v2 :: v_dual_lshrrev_b32 v3, 16, v1
	s_delay_alu instid0(VALU_DEP_1)
	v_and_or_b32 v2, 0x8000, v3, v2
	global_store_b16 v[4:5], v2, off
.LBB135_3385:
	s_mov_b32 s0, 0
.LBB135_3386:
	s_delay_alu instid0(SALU_CYCLE_1)
	s_and_not1_b32 vcc_lo, exec_lo, s0
	s_cbranch_vccnz .LBB135_3362
; %bb.3387:
	s_sext_i32_i16 s2, s1
	s_mov_b32 s0, -1
	s_cmp_lt_i32 s2, 2
	s_cbranch_scc1 .LBB135_3397
; %bb.3388:
	s_cmp_lt_i32 s2, 3
	s_cbranch_scc1 .LBB135_3394
; %bb.3389:
	s_cmp_gt_i32 s2, 3
	s_cbranch_scc0 .LBB135_3391
; %bb.3390:
	s_wait_loadcnt 0x0
	v_trunc_f64_e32 v[2:3], v[0:1]
	s_mov_b32 s0, 0
	s_delay_alu instid0(VALU_DEP_1) | instskip(NEXT) | instid1(VALU_DEP_1)
	v_ldexp_f64 v[6:7], v[2:3], 0xffffffe0
	v_floor_f64_e32 v[6:7], v[6:7]
	s_delay_alu instid0(VALU_DEP_1) | instskip(SKIP_1) | instid1(VALU_DEP_2)
	v_fmamk_f64 v[2:3], v[6:7], 0xc1f00000, v[2:3]
	v_cvt_i32_f64_e32 v7, v[6:7]
	v_cvt_u32_f64_e32 v6, v[2:3]
	global_store_b64 v[4:5], v[6:7], off
.LBB135_3391:
	s_and_not1_b32 vcc_lo, exec_lo, s0
	s_cbranch_vccnz .LBB135_3393
; %bb.3392:
	s_wait_loadcnt 0x0
	v_cvt_i32_f64_e32 v2, v[0:1]
	global_store_b32 v[4:5], v2, off
.LBB135_3393:
	s_mov_b32 s0, 0
.LBB135_3394:
	s_delay_alu instid0(SALU_CYCLE_1)
	s_and_not1_b32 vcc_lo, exec_lo, s0
	s_cbranch_vccnz .LBB135_3396
; %bb.3395:
	s_wait_loadcnt 0x0
	v_cvt_i32_f64_e32 v2, v[0:1]
	global_store_b16 v[4:5], v2, off
.LBB135_3396:
	s_mov_b32 s0, 0
.LBB135_3397:
	s_delay_alu instid0(SALU_CYCLE_1)
	s_and_not1_b32 vcc_lo, exec_lo, s0
	s_cbranch_vccnz .LBB135_3362
; %bb.3398:
	s_sext_i32_i16 s0, s1
	s_delay_alu instid0(SALU_CYCLE_1)
	s_cmp_gt_i32 s0, 0
	s_mov_b32 s0, -1
	s_cbranch_scc0 .LBB135_3400
; %bb.3399:
	s_wait_loadcnt 0x0
	v_cvt_i32_f64_e32 v2, v[0:1]
	s_mov_b32 s0, 0
	global_store_b8 v[4:5], v2, off
.LBB135_3400:
	s_and_not1_b32 vcc_lo, exec_lo, s0
	s_cbranch_vccnz .LBB135_3362
; %bb.3401:
	s_wait_loadcnt 0x0
	v_trunc_f64_e32 v[0:1], v[0:1]
	s_delay_alu instid0(VALU_DEP_1) | instskip(NEXT) | instid1(VALU_DEP_1)
	v_ldexp_f64 v[2:3], v[0:1], 0xffffffe0
	v_floor_f64_e32 v[2:3], v[2:3]
	s_delay_alu instid0(VALU_DEP_1) | instskip(NEXT) | instid1(VALU_DEP_1)
	v_fmamk_f64 v[0:1], v[2:3], 0xc1f00000, v[0:1]
	v_cvt_u32_f64_e32 v0, v[0:1]
	global_store_b8 v[4:5], v0, off
	s_endpgm
.LBB135_3402:
	s_mov_b32 s3, 0
	s_mov_b32 s0, -1
	s_branch .LBB135_3358
.LBB135_3403:
	s_mov_b32 s1, -1
	s_mov_b32 s5, exec_lo
	v_cmpx_eq_u16_e32 0x80, v30
; %bb.3404:
	s_xor_b32 s1, exec_lo, -1
; %bb.3405:
	s_or_b32 exec_lo, exec_lo, s5
	s_delay_alu instid0(SALU_CYCLE_1)
	s_and_b32 s1, s1, exec_lo
	s_or_saveexec_b32 s4, s4
	v_mov_b64_e32 v[28:29], 0x7ff8000020000000
	s_xor_b32 exec_lo, exec_lo, s4
	s_cbranch_execz .LBB135_2851
.LBB135_3406:
	v_cmp_ne_u16_e32 vcc_lo, 0, v30
	v_mov_b64_e32 v[28:29], 0
	s_and_not1_b32 s1, s1, exec_lo
	s_and_b32 s5, vcc_lo, exec_lo
	s_delay_alu instid0(SALU_CYCLE_1)
	s_or_b32 s1, s1, s5
	s_or_b32 exec_lo, exec_lo, s4
	s_and_saveexec_b32 s4, s1
	s_cbranch_execnz .LBB135_2852
	s_branch .LBB135_2853
.LBB135_3407:
	s_or_b32 s12, s12, exec_lo
	s_trap 2
	s_cbranch_execz .LBB135_3000
	s_branch .LBB135_3001
.LBB135_3408:
	v_bfe_u32 v7, v6, 20, 1
	s_mov_b32 s14, exec_lo
	s_delay_alu instid0(VALU_DEP_1) | instskip(NEXT) | instid1(VALU_DEP_1)
	v_add3_u32 v7, v6, v7, 0x487ffff
	v_lshrrev_b32_e32 v7, 20, v7
	s_and_not1_saveexec_b32 s15, s15
	s_cbranch_execz .LBB135_2952
.LBB135_3409:
	v_add_f32_e64 v7, 0x46000000, |v6|
	s_and_not1_b32 s14, s14, exec_lo
	s_delay_alu instid0(VALU_DEP_1) | instskip(NEXT) | instid1(VALU_DEP_1)
	v_and_b32_e32 v7, 0xff, v7
	v_cmp_ne_u32_e32 vcc_lo, 0, v7
	s_and_b32 s16, vcc_lo, exec_lo
	s_delay_alu instid0(SALU_CYCLE_1)
	s_or_b32 s14, s14, s16
	s_or_b32 exec_lo, exec_lo, s15
	v_mov_b32_e32 v33, 0
	s_and_saveexec_b32 s15, s14
	s_cbranch_execnz .LBB135_2953
	s_branch .LBB135_2954
.LBB135_3410:
	s_or_b32 s12, s12, exec_lo
	s_trap 2
	s_cbranch_execz .LBB135_3119
	s_branch .LBB135_3120
.LBB135_3411:
	v_bfe_u32 v7, v6, 21, 1
	s_mov_b32 s13, exec_lo
	s_delay_alu instid0(VALU_DEP_1) | instskip(NEXT) | instid1(VALU_DEP_1)
	v_add3_u32 v7, v6, v7, 0x88fffff
	v_lshrrev_b32_e32 v7, 21, v7
	s_and_not1_saveexec_b32 s14, s14
	s_cbranch_execz .LBB135_2965
.LBB135_3412:
	v_add_f32_e64 v7, 0x42800000, |v6|
	s_and_not1_b32 s13, s13, exec_lo
	s_delay_alu instid0(VALU_DEP_1) | instskip(NEXT) | instid1(VALU_DEP_1)
	v_and_b32_e32 v7, 0xff, v7
	v_cmp_ne_u32_e32 vcc_lo, 0, v7
	s_and_b32 s15, vcc_lo, exec_lo
	s_delay_alu instid0(SALU_CYCLE_1)
	s_or_b32 s13, s13, s15
	s_or_b32 exec_lo, exec_lo, s14
	v_mov_b32_e32 v33, 0
	s_and_saveexec_b32 s14, s13
	s_cbranch_execnz .LBB135_2966
	s_branch .LBB135_2967
.LBB135_3413:
	v_bfe_u32 v7, v6, 20, 1
	s_mov_b32 s14, exec_lo
	s_delay_alu instid0(VALU_DEP_1) | instskip(NEXT) | instid1(VALU_DEP_1)
	v_add3_u32 v7, v6, v7, 0x487ffff
	v_lshrrev_b32_e32 v7, 20, v7
	s_and_not1_saveexec_b32 s15, s15
	s_cbranch_execz .LBB135_3071
.LBB135_3414:
	v_add_f32_e64 v7, 0x46000000, |v6|
	s_and_not1_b32 s14, s14, exec_lo
	s_delay_alu instid0(VALU_DEP_1) | instskip(NEXT) | instid1(VALU_DEP_1)
	v_and_b32_e32 v7, 0xff, v7
	v_cmp_ne_u32_e32 vcc_lo, 0, v7
	s_and_b32 s16, vcc_lo, exec_lo
	s_delay_alu instid0(SALU_CYCLE_1)
	s_or_b32 s14, s14, s16
	s_or_b32 exec_lo, exec_lo, s15
	v_mov_b32_e32 v8, 0
	s_and_saveexec_b32 s15, s14
	s_cbranch_execnz .LBB135_3072
	s_branch .LBB135_3073
.LBB135_3415:
	s_or_b32 s12, s12, exec_lo
	s_trap 2
	s_cbranch_execz .LBB135_3238
	s_branch .LBB135_3239
.LBB135_3416:
	v_bfe_u32 v7, v6, 21, 1
	s_mov_b32 s13, exec_lo
	s_delay_alu instid0(VALU_DEP_1) | instskip(NEXT) | instid1(VALU_DEP_1)
	v_add3_u32 v7, v6, v7, 0x88fffff
	v_lshrrev_b32_e32 v7, 21, v7
	s_and_not1_saveexec_b32 s14, s14
	s_cbranch_execz .LBB135_3084
.LBB135_3417:
	v_add_f32_e64 v7, 0x42800000, |v6|
	s_and_not1_b32 s13, s13, exec_lo
	s_delay_alu instid0(VALU_DEP_1) | instskip(NEXT) | instid1(VALU_DEP_1)
	v_and_b32_e32 v7, 0xff, v7
	v_cmp_ne_u32_e32 vcc_lo, 0, v7
	s_and_b32 s15, vcc_lo, exec_lo
	s_delay_alu instid0(SALU_CYCLE_1)
	s_or_b32 s13, s13, s15
	s_or_b32 exec_lo, exec_lo, s14
	v_mov_b32_e32 v8, 0
	s_and_saveexec_b32 s14, s13
	s_cbranch_execnz .LBB135_3085
	s_branch .LBB135_3086
.LBB135_3418:
	v_bfe_u32 v7, v6, 20, 1
	s_mov_b32 s14, exec_lo
	s_delay_alu instid0(VALU_DEP_1) | instskip(NEXT) | instid1(VALU_DEP_1)
	v_add3_u32 v7, v6, v7, 0x487ffff
	v_lshrrev_b32_e32 v7, 20, v7
	s_and_not1_saveexec_b32 s15, s15
	s_cbranch_execz .LBB135_3190
.LBB135_3419:
	v_add_f32_e64 v7, 0x46000000, |v6|
	s_and_not1_b32 s14, s14, exec_lo
	s_delay_alu instid0(VALU_DEP_1) | instskip(NEXT) | instid1(VALU_DEP_1)
	v_and_b32_e32 v7, 0xff, v7
	v_cmp_ne_u32_e32 vcc_lo, 0, v7
	s_and_b32 s16, vcc_lo, exec_lo
	s_delay_alu instid0(SALU_CYCLE_1)
	s_or_b32 s14, s14, s16
	s_or_b32 exec_lo, exec_lo, s15
	v_mov_b32_e32 v8, 0
	s_and_saveexec_b32 s15, s14
	s_cbranch_execnz .LBB135_3191
	s_branch .LBB135_3192
.LBB135_3420:
	s_mov_b32 s3, 0
	s_or_b32 s12, s12, exec_lo
	s_trap 2
	s_branch .LBB135_3356
.LBB135_3421:
	v_bfe_u32 v7, v6, 21, 1
	s_mov_b32 s13, exec_lo
	s_delay_alu instid0(VALU_DEP_1) | instskip(NEXT) | instid1(VALU_DEP_1)
	v_add3_u32 v7, v6, v7, 0x88fffff
	v_lshrrev_b32_e32 v7, 21, v7
	s_and_not1_saveexec_b32 s14, s14
	s_cbranch_execz .LBB135_3203
.LBB135_3422:
	v_add_f32_e64 v7, 0x42800000, |v6|
	s_and_not1_b32 s13, s13, exec_lo
	s_delay_alu instid0(VALU_DEP_1) | instskip(NEXT) | instid1(VALU_DEP_1)
	v_and_b32_e32 v7, 0xff, v7
	v_cmp_ne_u32_e32 vcc_lo, 0, v7
	s_and_b32 s15, vcc_lo, exec_lo
	s_delay_alu instid0(SALU_CYCLE_1)
	s_or_b32 s13, s13, s15
	s_or_b32 exec_lo, exec_lo, s14
	v_mov_b32_e32 v8, 0
	s_and_saveexec_b32 s14, s13
	s_cbranch_execnz .LBB135_3204
	s_branch .LBB135_3205
.LBB135_3423:
	v_bfe_u32 v7, v6, 20, 1
	s_mov_b32 s5, exec_lo
	s_delay_alu instid0(VALU_DEP_1) | instskip(NEXT) | instid1(VALU_DEP_1)
	v_add3_u32 v7, v6, v7, 0x487ffff
	v_lshrrev_b32_e32 v7, 20, v7
	s_and_not1_saveexec_b32 s6, s6
	s_cbranch_execz .LBB135_3310
.LBB135_3424:
	v_add_f32_e64 v7, 0x46000000, |v6|
	s_and_not1_b32 s5, s5, exec_lo
	s_delay_alu instid0(VALU_DEP_1) | instskip(NEXT) | instid1(VALU_DEP_1)
	v_and_b32_e32 v7, 0xff, v7
	v_cmp_ne_u32_e32 vcc_lo, 0, v7
	s_and_b32 s7, vcc_lo, exec_lo
	s_delay_alu instid0(SALU_CYCLE_1)
	s_or_b32 s5, s5, s7
	s_or_b32 exec_lo, exec_lo, s6
	v_mov_b32_e32 v8, 0
	s_and_saveexec_b32 s6, s5
	s_cbranch_execnz .LBB135_3311
	s_branch .LBB135_3312
.LBB135_3425:
	v_bfe_u32 v7, v6, 21, 1
	s_mov_b32 s4, exec_lo
	s_delay_alu instid0(VALU_DEP_1) | instskip(NEXT) | instid1(VALU_DEP_1)
	v_add3_u32 v7, v6, v7, 0x88fffff
	v_lshrrev_b32_e32 v7, 21, v7
	s_and_not1_saveexec_b32 s5, s5
	s_cbranch_execz .LBB135_3322
.LBB135_3426:
	v_add_f32_e64 v7, 0x42800000, |v6|
	s_and_not1_b32 s4, s4, exec_lo
	s_delay_alu instid0(VALU_DEP_1) | instskip(NEXT) | instid1(VALU_DEP_1)
	v_and_b32_e32 v7, 0xff, v7
	v_cmp_ne_u32_e32 vcc_lo, 0, v7
	s_and_b32 s6, vcc_lo, exec_lo
	s_delay_alu instid0(SALU_CYCLE_1)
	s_or_b32 s4, s4, s6
	s_or_b32 exec_lo, exec_lo, s5
	v_mov_b32_e32 v8, 0
	s_and_saveexec_b32 s5, s4
	s_cbranch_execnz .LBB135_3323
	s_branch .LBB135_3324
	.section	.rodata,"a",@progbits
	.p2align	6, 0x0
	.amdhsa_kernel _ZN2at6native32elementwise_kernel_manual_unrollILi128ELi4EZNS0_15gpu_kernel_implIZZZNS0_12_GLOBAL__N_116addr_kernel_cudaERNS_14TensorIteratorERKN3c106ScalarES9_ENKUlvE_clEvENKUlvE6_clEvEUlNS6_7complexIdEESD_SD_E_EEvRNS_18TensorIteratorBaseERKT_EUlibE0_EEviT1_
		.amdhsa_group_segment_fixed_size 0
		.amdhsa_private_segment_fixed_size 0
		.amdhsa_kernarg_size 544
		.amdhsa_user_sgpr_count 2
		.amdhsa_user_sgpr_dispatch_ptr 0
		.amdhsa_user_sgpr_queue_ptr 0
		.amdhsa_user_sgpr_kernarg_segment_ptr 1
		.amdhsa_user_sgpr_dispatch_id 0
		.amdhsa_user_sgpr_kernarg_preload_length 0
		.amdhsa_user_sgpr_kernarg_preload_offset 0
		.amdhsa_user_sgpr_private_segment_size 0
		.amdhsa_wavefront_size32 1
		.amdhsa_uses_dynamic_stack 0
		.amdhsa_enable_private_segment 0
		.amdhsa_system_sgpr_workgroup_id_x 1
		.amdhsa_system_sgpr_workgroup_id_y 0
		.amdhsa_system_sgpr_workgroup_id_z 0
		.amdhsa_system_sgpr_workgroup_info 0
		.amdhsa_system_vgpr_workitem_id 0
		.amdhsa_next_free_vgpr 44
		.amdhsa_next_free_sgpr 66
		.amdhsa_named_barrier_count 0
		.amdhsa_reserve_vcc 1
		.amdhsa_float_round_mode_32 0
		.amdhsa_float_round_mode_16_64 0
		.amdhsa_float_denorm_mode_32 3
		.amdhsa_float_denorm_mode_16_64 3
		.amdhsa_fp16_overflow 0
		.amdhsa_memory_ordered 1
		.amdhsa_forward_progress 1
		.amdhsa_inst_pref_size 255
		.amdhsa_round_robin_scheduling 0
		.amdhsa_exception_fp_ieee_invalid_op 0
		.amdhsa_exception_fp_denorm_src 0
		.amdhsa_exception_fp_ieee_div_zero 0
		.amdhsa_exception_fp_ieee_overflow 0
		.amdhsa_exception_fp_ieee_underflow 0
		.amdhsa_exception_fp_ieee_inexact 0
		.amdhsa_exception_int_div_zero 0
	.end_amdhsa_kernel
	.section	.text._ZN2at6native32elementwise_kernel_manual_unrollILi128ELi4EZNS0_15gpu_kernel_implIZZZNS0_12_GLOBAL__N_116addr_kernel_cudaERNS_14TensorIteratorERKN3c106ScalarES9_ENKUlvE_clEvENKUlvE6_clEvEUlNS6_7complexIdEESD_SD_E_EEvRNS_18TensorIteratorBaseERKT_EUlibE0_EEviT1_,"axG",@progbits,_ZN2at6native32elementwise_kernel_manual_unrollILi128ELi4EZNS0_15gpu_kernel_implIZZZNS0_12_GLOBAL__N_116addr_kernel_cudaERNS_14TensorIteratorERKN3c106ScalarES9_ENKUlvE_clEvENKUlvE6_clEvEUlNS6_7complexIdEESD_SD_E_EEvRNS_18TensorIteratorBaseERKT_EUlibE0_EEviT1_,comdat
.Lfunc_end135:
	.size	_ZN2at6native32elementwise_kernel_manual_unrollILi128ELi4EZNS0_15gpu_kernel_implIZZZNS0_12_GLOBAL__N_116addr_kernel_cudaERNS_14TensorIteratorERKN3c106ScalarES9_ENKUlvE_clEvENKUlvE6_clEvEUlNS6_7complexIdEESD_SD_E_EEvRNS_18TensorIteratorBaseERKT_EUlibE0_EEviT1_, .Lfunc_end135-_ZN2at6native32elementwise_kernel_manual_unrollILi128ELi4EZNS0_15gpu_kernel_implIZZZNS0_12_GLOBAL__N_116addr_kernel_cudaERNS_14TensorIteratorERKN3c106ScalarES9_ENKUlvE_clEvENKUlvE6_clEvEUlNS6_7complexIdEESD_SD_E_EEvRNS_18TensorIteratorBaseERKT_EUlibE0_EEviT1_
                                        ; -- End function
	.set _ZN2at6native32elementwise_kernel_manual_unrollILi128ELi4EZNS0_15gpu_kernel_implIZZZNS0_12_GLOBAL__N_116addr_kernel_cudaERNS_14TensorIteratorERKN3c106ScalarES9_ENKUlvE_clEvENKUlvE6_clEvEUlNS6_7complexIdEESD_SD_E_EEvRNS_18TensorIteratorBaseERKT_EUlibE0_EEviT1_.num_vgpr, 44
	.set _ZN2at6native32elementwise_kernel_manual_unrollILi128ELi4EZNS0_15gpu_kernel_implIZZZNS0_12_GLOBAL__N_116addr_kernel_cudaERNS_14TensorIteratorERKN3c106ScalarES9_ENKUlvE_clEvENKUlvE6_clEvEUlNS6_7complexIdEESD_SD_E_EEvRNS_18TensorIteratorBaseERKT_EUlibE0_EEviT1_.num_agpr, 0
	.set _ZN2at6native32elementwise_kernel_manual_unrollILi128ELi4EZNS0_15gpu_kernel_implIZZZNS0_12_GLOBAL__N_116addr_kernel_cudaERNS_14TensorIteratorERKN3c106ScalarES9_ENKUlvE_clEvENKUlvE6_clEvEUlNS6_7complexIdEESD_SD_E_EEvRNS_18TensorIteratorBaseERKT_EUlibE0_EEviT1_.numbered_sgpr, 66
	.set _ZN2at6native32elementwise_kernel_manual_unrollILi128ELi4EZNS0_15gpu_kernel_implIZZZNS0_12_GLOBAL__N_116addr_kernel_cudaERNS_14TensorIteratorERKN3c106ScalarES9_ENKUlvE_clEvENKUlvE6_clEvEUlNS6_7complexIdEESD_SD_E_EEvRNS_18TensorIteratorBaseERKT_EUlibE0_EEviT1_.num_named_barrier, 0
	.set _ZN2at6native32elementwise_kernel_manual_unrollILi128ELi4EZNS0_15gpu_kernel_implIZZZNS0_12_GLOBAL__N_116addr_kernel_cudaERNS_14TensorIteratorERKN3c106ScalarES9_ENKUlvE_clEvENKUlvE6_clEvEUlNS6_7complexIdEESD_SD_E_EEvRNS_18TensorIteratorBaseERKT_EUlibE0_EEviT1_.private_seg_size, 0
	.set _ZN2at6native32elementwise_kernel_manual_unrollILi128ELi4EZNS0_15gpu_kernel_implIZZZNS0_12_GLOBAL__N_116addr_kernel_cudaERNS_14TensorIteratorERKN3c106ScalarES9_ENKUlvE_clEvENKUlvE6_clEvEUlNS6_7complexIdEESD_SD_E_EEvRNS_18TensorIteratorBaseERKT_EUlibE0_EEviT1_.uses_vcc, 1
	.set _ZN2at6native32elementwise_kernel_manual_unrollILi128ELi4EZNS0_15gpu_kernel_implIZZZNS0_12_GLOBAL__N_116addr_kernel_cudaERNS_14TensorIteratorERKN3c106ScalarES9_ENKUlvE_clEvENKUlvE6_clEvEUlNS6_7complexIdEESD_SD_E_EEvRNS_18TensorIteratorBaseERKT_EUlibE0_EEviT1_.uses_flat_scratch, 0
	.set _ZN2at6native32elementwise_kernel_manual_unrollILi128ELi4EZNS0_15gpu_kernel_implIZZZNS0_12_GLOBAL__N_116addr_kernel_cudaERNS_14TensorIteratorERKN3c106ScalarES9_ENKUlvE_clEvENKUlvE6_clEvEUlNS6_7complexIdEESD_SD_E_EEvRNS_18TensorIteratorBaseERKT_EUlibE0_EEviT1_.has_dyn_sized_stack, 0
	.set _ZN2at6native32elementwise_kernel_manual_unrollILi128ELi4EZNS0_15gpu_kernel_implIZZZNS0_12_GLOBAL__N_116addr_kernel_cudaERNS_14TensorIteratorERKN3c106ScalarES9_ENKUlvE_clEvENKUlvE6_clEvEUlNS6_7complexIdEESD_SD_E_EEvRNS_18TensorIteratorBaseERKT_EUlibE0_EEviT1_.has_recursion, 0
	.set _ZN2at6native32elementwise_kernel_manual_unrollILi128ELi4EZNS0_15gpu_kernel_implIZZZNS0_12_GLOBAL__N_116addr_kernel_cudaERNS_14TensorIteratorERKN3c106ScalarES9_ENKUlvE_clEvENKUlvE6_clEvEUlNS6_7complexIdEESD_SD_E_EEvRNS_18TensorIteratorBaseERKT_EUlibE0_EEviT1_.has_indirect_call, 0
	.section	.AMDGPU.csdata,"",@progbits
; Kernel info:
; codeLenInByte = 72600
; TotalNumSgprs: 68
; NumVgprs: 44
; ScratchSize: 0
; MemoryBound: 1
; FloatMode: 240
; IeeeMode: 1
; LDSByteSize: 0 bytes/workgroup (compile time only)
; SGPRBlocks: 0
; VGPRBlocks: 2
; NumSGPRsForWavesPerEU: 68
; NumVGPRsForWavesPerEU: 44
; NamedBarCnt: 0
; Occupancy: 16
; WaveLimiterHint : 1
; COMPUTE_PGM_RSRC2:SCRATCH_EN: 0
; COMPUTE_PGM_RSRC2:USER_SGPR: 2
; COMPUTE_PGM_RSRC2:TRAP_HANDLER: 0
; COMPUTE_PGM_RSRC2:TGID_X_EN: 1
; COMPUTE_PGM_RSRC2:TGID_Y_EN: 0
; COMPUTE_PGM_RSRC2:TGID_Z_EN: 0
; COMPUTE_PGM_RSRC2:TIDIG_COMP_CNT: 0
	.section	.text._ZN2at6native29vectorized_elementwise_kernelILi16EZZZNS0_12_GLOBAL__N_116addr_kernel_cudaERNS_14TensorIteratorERKN3c106ScalarES8_ENKUlvE_clEvENKUlvE6_clEvEUlNS5_7complexIdEESC_SC_E0_St5arrayIPcLm4EEEEviT0_T1_,"axG",@progbits,_ZN2at6native29vectorized_elementwise_kernelILi16EZZZNS0_12_GLOBAL__N_116addr_kernel_cudaERNS_14TensorIteratorERKN3c106ScalarES8_ENKUlvE_clEvENKUlvE6_clEvEUlNS5_7complexIdEESC_SC_E0_St5arrayIPcLm4EEEEviT0_T1_,comdat
	.globl	_ZN2at6native29vectorized_elementwise_kernelILi16EZZZNS0_12_GLOBAL__N_116addr_kernel_cudaERNS_14TensorIteratorERKN3c106ScalarES8_ENKUlvE_clEvENKUlvE6_clEvEUlNS5_7complexIdEESC_SC_E0_St5arrayIPcLm4EEEEviT0_T1_ ; -- Begin function _ZN2at6native29vectorized_elementwise_kernelILi16EZZZNS0_12_GLOBAL__N_116addr_kernel_cudaERNS_14TensorIteratorERKN3c106ScalarES8_ENKUlvE_clEvENKUlvE6_clEvEUlNS5_7complexIdEESC_SC_E0_St5arrayIPcLm4EEEEviT0_T1_
	.p2align	8
	.type	_ZN2at6native29vectorized_elementwise_kernelILi16EZZZNS0_12_GLOBAL__N_116addr_kernel_cudaERNS_14TensorIteratorERKN3c106ScalarES8_ENKUlvE_clEvENKUlvE6_clEvEUlNS5_7complexIdEESC_SC_E0_St5arrayIPcLm4EEEEviT0_T1_,@function
_ZN2at6native29vectorized_elementwise_kernelILi16EZZZNS0_12_GLOBAL__N_116addr_kernel_cudaERNS_14TensorIteratorERKN3c106ScalarES8_ENKUlvE_clEvENKUlvE6_clEvEUlNS5_7complexIdEESC_SC_E0_St5arrayIPcLm4EEEEviT0_T1_: ; @_ZN2at6native29vectorized_elementwise_kernelILi16EZZZNS0_12_GLOBAL__N_116addr_kernel_cudaERNS_14TensorIteratorERKN3c106ScalarES8_ENKUlvE_clEvENKUlvE6_clEvEUlNS5_7complexIdEESC_SC_E0_St5arrayIPcLm4EEEEviT0_T1_
; %bb.0:
	s_clause 0x1
	s_load_b32 s3, s[0:1], 0x0
	s_load_b512 s[4:19], s[0:1], 0x10
	s_wait_xcnt 0x0
	s_bfe_u32 s0, ttmp6, 0x4000c
	s_and_b32 s1, ttmp6, 15
	s_add_co_i32 s0, s0, 1
	s_getreg_b32 s2, hwreg(HW_REG_IB_STS2, 6, 4)
	s_mul_i32 s0, ttmp9, s0
	s_delay_alu instid0(SALU_CYCLE_1) | instskip(SKIP_2) | instid1(SALU_CYCLE_1)
	s_add_co_i32 s1, s1, s0
	s_cmp_eq_u32 s2, 0
	s_cselect_b32 s0, ttmp9, s1
	s_lshl_b32 s2, s0, 10
	s_mov_b32 s0, -1
	s_wait_kmcnt 0x0
	s_sub_co_i32 s20, s3, s2
	s_delay_alu instid0(SALU_CYCLE_1)
	s_cmp_gt_i32 s20, 0x3ff
	s_cbranch_scc0 .LBB136_2
; %bb.1:
	s_ashr_i32 s3, s2, 31
	v_lshlrev_b32_e32 v1, 6, v0
	s_lshl_b64 s[0:1], s[2:3], 4
	s_delay_alu instid0(SALU_CYCLE_1)
	s_add_nc_u64 s[22:23], s[14:15], s[0:1]
	s_add_nc_u64 s[24:25], s[16:17], s[0:1]
	global_load_b128 v[2:5], v1, s[22:23]
	s_wait_loadcnt 0x0
	v_mul_f64_e32 v[50:51], s[6:7], v[4:5]
	v_mul_f64_e32 v[4:5], s[4:5], v[4:5]
	s_delay_alu instid0(VALU_DEP_2)
	v_fma_f64 v[50:51], s[4:5], v[2:3], -v[50:51]
	s_clause 0x6
	global_load_b128 v[6:9], v1, s[24:25]
	global_load_b128 v[10:13], v1, s[22:23] offset:16
	global_load_b128 v[14:17], v1, s[24:25] offset:16
	;; [unrolled: 1-line block ×6, first 2 shown]
	s_wait_xcnt 0x0
	s_add_nc_u64 s[22:23], s[18:19], s[0:1]
	s_clause 0x3
	global_load_b128 v[34:37], v1, s[22:23]
	global_load_b128 v[38:41], v1, s[22:23] offset:16
	global_load_b128 v[42:45], v1, s[22:23] offset:32
	;; [unrolled: 1-line block ×3, first 2 shown]
	v_fmac_f64_e32 v[4:5], s[6:7], v[2:3]
	s_wait_xcnt 0x0
	s_add_nc_u64 s[22:23], s[12:13], s[0:1]
	s_mov_b32 s0, 0
	s_wait_loadcnt 0xa
	v_mul_f64_e32 v[52:53], s[10:11], v[8:9]
	v_mul_f64_e32 v[8:9], s[8:9], v[8:9]
	s_wait_loadcnt 0x9
	v_mul_f64_e32 v[54:55], s[6:7], v[12:13]
	v_mul_f64_e32 v[12:13], s[4:5], v[12:13]
	s_wait_loadcnt 0x8
	v_mul_f64_e32 v[2:3], s[10:11], v[16:17]
	v_fma_f64 v[52:53], s[8:9], v[6:7], -v[52:53]
	v_fmac_f64_e32 v[8:9], s[10:11], v[6:7]
	v_mul_f64_e32 v[6:7], s[8:9], v[16:17]
	s_wait_loadcnt 0x7
	v_mul_f64_e32 v[16:17], s[6:7], v[20:21]
	v_mul_f64_e32 v[20:21], s[4:5], v[20:21]
	v_fma_f64 v[54:55], s[4:5], v[10:11], -v[54:55]
	v_fmac_f64_e32 v[12:13], s[6:7], v[10:11]
	s_wait_loadcnt 0x6
	v_mul_f64_e32 v[10:11], s[10:11], v[24:25]
	v_fma_f64 v[2:3], s[8:9], v[14:15], -v[2:3]
	v_fmac_f64_e32 v[6:7], s[10:11], v[14:15]
	v_mul_f64_e32 v[14:15], s[8:9], v[24:25]
	s_wait_loadcnt 0x5
	v_mul_f64_e32 v[24:25], s[10:11], v[28:29]
	v_fma_f64 v[16:17], s[4:5], v[18:19], -v[16:17]
	v_fmac_f64_e32 v[20:21], s[6:7], v[18:19]
	v_mul_f64_e32 v[18:19], s[8:9], v[28:29]
	s_wait_loadcnt 0x4
	v_mul_f64_e32 v[28:29], s[6:7], v[32:33]
	v_fma_f64 v[10:11], s[8:9], v[22:23], -v[10:11]
	v_fmac_f64_e32 v[14:15], s[10:11], v[22:23]
	v_mul_f64_e32 v[22:23], s[4:5], v[32:33]
	v_fma_f64 v[24:25], s[8:9], v[26:27], -v[24:25]
	s_wait_loadcnt 0x3
	v_mul_f64_e32 v[32:33], v[8:9], v[36:37]
	v_fmac_f64_e32 v[18:19], s[10:11], v[26:27]
	v_mul_f64_e32 v[26:27], v[52:53], v[36:37]
	v_fma_f64 v[28:29], s[4:5], v[30:31], -v[28:29]
	s_wait_loadcnt 0x2
	v_mul_f64_e32 v[36:37], v[2:3], v[40:41]
	v_fmac_f64_e32 v[22:23], s[6:7], v[30:31]
	v_mul_f64_e32 v[30:31], v[6:7], v[40:41]
	s_wait_loadcnt 0x1
	v_mul_f64_e32 v[40:41], v[14:15], v[44:45]
	v_mul_f64_e32 v[44:45], v[10:11], v[44:45]
	v_fma_f64 v[32:33], v[52:53], v[34:35], -v[32:33]
	v_fmac_f64_e32 v[26:27], v[8:9], v[34:35]
	s_wait_loadcnt 0x0
	v_mul_f64_e32 v[8:9], v[18:19], v[48:49]
	v_mul_f64_e32 v[34:35], v[24:25], v[48:49]
	v_fmac_f64_e32 v[36:37], v[6:7], v[38:39]
	v_fma_f64 v[30:31], v[2:3], v[38:39], -v[30:31]
	v_fma_f64 v[10:11], v[10:11], v[42:43], -v[40:41]
	v_fmac_f64_e32 v[44:45], v[14:15], v[42:43]
	v_add_f64_e32 v[2:3], v[50:51], v[32:33]
	v_add_f64_e32 v[4:5], v[4:5], v[26:27]
	v_fma_f64 v[14:15], v[24:25], v[46:47], -v[8:9]
	v_fmac_f64_e32 v[34:35], v[18:19], v[46:47]
	v_add_f64_e32 v[8:9], v[12:13], v[36:37]
	v_add_f64_e32 v[6:7], v[54:55], v[30:31]
	;; [unrolled: 1-line block ×6, first 2 shown]
	s_clause 0x3
	global_store_b128 v1, v[2:5], s[22:23]
	global_store_b128 v1, v[6:9], s[22:23] offset:16
	global_store_b128 v1, v[10:13], s[22:23] offset:32
	;; [unrolled: 1-line block ×3, first 2 shown]
.LBB136_2:
	s_and_not1_b32 vcc_lo, exec_lo, s0
	s_cbranch_vccnz .LBB136_23
; %bb.3:
	s_wait_xcnt 0x3
	v_mov_b64_e32 v[2:3], 0
	s_wait_xcnt 0x0
	v_mov_b64_e32 v[14:15], 0
	v_mov_b64_e32 v[16:17], 0
	;; [unrolled: 1-line block ×6, first 2 shown]
	v_cmp_gt_i32_e32 vcc_lo, s20, v0
	v_dual_mov_b32 v50, v0 :: v_dual_bitop2_b32 v1, s2, v0 bitop3:0x54
	v_or_b32_e32 v58, 0x100, v0
	s_and_saveexec_b32 s0, vcc_lo
	s_cbranch_execz .LBB136_5
; %bb.4:
	s_clause 0x2
	global_load_b128 v[10:13], v1, s[14:15] scale_offset
	global_load_b128 v[18:21], v1, s[16:17] scale_offset
	;; [unrolled: 1-line block ×3, first 2 shown]
	v_or_b32_e32 v50, 0x100, v0
.LBB136_5:
	s_wait_xcnt 0x0
	s_or_b32 exec_lo, exec_lo, s0
	v_mov_b64_e32 v[4:5], 0
	v_mov_b64_e32 v[26:27], 0
	;; [unrolled: 1-line block ×5, first 2 shown]
	s_mov_b32 s1, exec_lo
	v_cmpx_gt_i32_e64 s20, v50
	s_cbranch_execz .LBB136_7
; %bb.6:
	v_add_nc_u32_e32 v6, s2, v50
	v_add_nc_u32_e32 v50, 0x100, v50
	s_clause 0x2
	global_load_b128 v[22:25], v6, s[14:15] scale_offset
	global_load_b128 v[26:29], v6, s[16:17] scale_offset
	;; [unrolled: 1-line block ×3, first 2 shown]
.LBB136_7:
	s_wait_xcnt 0x0
	s_or_b32 exec_lo, exec_lo, s1
	v_mov_b64_e32 v[6:7], 0
	v_mov_b64_e32 v[34:35], 0
	;; [unrolled: 1-line block ×7, first 2 shown]
	s_mov_b32 s1, exec_lo
	v_cmpx_gt_i32_e64 s20, v50
	s_cbranch_execz .LBB136_9
; %bb.8:
	v_add_nc_u32_e32 v8, s2, v50
	v_add_nc_u32_e32 v50, 0x100, v50
	s_clause 0x2
	global_load_b128 v[30:33], v8, s[14:15] scale_offset
	global_load_b128 v[38:41], v8, s[16:17] scale_offset
	;; [unrolled: 1-line block ×3, first 2 shown]
.LBB136_9:
	s_wait_xcnt 0x0
	s_or_b32 exec_lo, exec_lo, s1
	v_mov_b64_e32 v[8:9], 0
	v_mov_b64_e32 v[46:47], 0
	;; [unrolled: 1-line block ×5, first 2 shown]
	s_mov_b32 s1, exec_lo
	v_cmpx_gt_i32_e64 s20, v50
	s_cbranch_execz .LBB136_11
; %bb.10:
	v_add_nc_u32_e32 v50, s2, v50
	s_clause 0x2
	global_load_b128 v[42:45], v50, s[14:15] scale_offset
	global_load_b128 v[46:49], v50, s[16:17] scale_offset
	;; [unrolled: 1-line block ×3, first 2 shown]
.LBB136_11:
	s_wait_xcnt 0x0
	s_or_b32 exec_lo, exec_lo, s1
	v_mov_b64_e32 v[52:53], 0
	v_mov_b64_e32 v[56:57], 0
	;; [unrolled: 1-line block ×3, first 2 shown]
	s_and_saveexec_b32 s0, vcc_lo
	s_cbranch_execz .LBB136_13
; %bb.12:
	s_wait_loadcnt 0x1
	v_mul_f64_e32 v[50:51], s[8:9], v[20:21]
	v_mul_f64_e32 v[20:21], s[10:11], v[20:21]
	;; [unrolled: 1-line block ×4, first 2 shown]
	s_delay_alu instid0(VALU_DEP_4) | instskip(NEXT) | instid1(VALU_DEP_4)
	v_fmac_f64_e32 v[50:51], s[10:11], v[18:19]
	v_fma_f64 v[18:19], s[8:9], v[18:19], -v[20:21]
	s_delay_alu instid0(VALU_DEP_4) | instskip(NEXT) | instid1(VALU_DEP_4)
	v_fma_f64 v[54:55], s[4:5], v[10:11], -v[54:55]
	v_fmac_f64_e32 v[12:13], s[6:7], v[10:11]
	s_wait_loadcnt 0x0
	s_delay_alu instid0(VALU_DEP_4) | instskip(SKIP_1) | instid1(VALU_DEP_2)
	v_mul_f64_e32 v[20:21], v[16:17], v[50:51]
	v_mul_f64_e32 v[50:51], v[14:15], v[50:51]
	v_fma_f64 v[10:11], v[14:15], v[18:19], -v[20:21]
	s_delay_alu instid0(VALU_DEP_2) | instskip(NEXT) | instid1(VALU_DEP_2)
	v_fmac_f64_e32 v[50:51], v[16:17], v[18:19]
	v_add_f64_e32 v[54:55], v[54:55], v[10:11]
	s_delay_alu instid0(VALU_DEP_2)
	v_add_f64_e32 v[56:57], v[12:13], v[50:51]
.LBB136_13:
	s_or_b32 exec_lo, exec_lo, s0
	v_mov_b64_e32 v[50:51], 0
	s_mov_b32 s1, exec_lo
	v_cmpx_gt_i32_e64 s20, v58
	s_cbranch_execz .LBB136_15
; %bb.14:
	s_wait_loadcnt 0x1
	v_mul_f64_e32 v[10:11], s[8:9], v[28:29]
	v_mul_f64_e32 v[12:13], s[10:11], v[28:29]
	s_wait_loadcnt 0x0
	v_mul_f64_e32 v[14:15], s[6:7], v[24:25]
	v_mul_f64_e32 v[16:17], s[4:5], v[24:25]
	s_delay_alu instid0(VALU_DEP_4) | instskip(NEXT) | instid1(VALU_DEP_4)
	v_fmac_f64_e32 v[10:11], s[10:11], v[26:27]
	v_fma_f64 v[12:13], s[8:9], v[26:27], -v[12:13]
	s_delay_alu instid0(VALU_DEP_4) | instskip(NEXT) | instid1(VALU_DEP_4)
	v_fma_f64 v[14:15], s[4:5], v[22:23], -v[14:15]
	v_fmac_f64_e32 v[16:17], s[6:7], v[22:23]
	s_delay_alu instid0(VALU_DEP_4) | instskip(SKIP_1) | instid1(VALU_DEP_2)
	v_mul_f64_e32 v[18:19], v[4:5], v[10:11]
	v_mul_f64_e32 v[10:11], v[2:3], v[10:11]
	v_fma_f64 v[2:3], v[2:3], v[12:13], -v[18:19]
	s_delay_alu instid0(VALU_DEP_2) | instskip(NEXT) | instid1(VALU_DEP_2)
	v_fmac_f64_e32 v[10:11], v[4:5], v[12:13]
	v_add_f64_e32 v[50:51], v[14:15], v[2:3]
	s_delay_alu instid0(VALU_DEP_2)
	v_add_f64_e32 v[52:53], v[16:17], v[10:11]
.LBB136_15:
	s_or_b32 exec_lo, exec_lo, s1
	s_wait_loadcnt 0x0
	v_mov_b64_e32 v[4:5], 0
	v_mov_b64_e32 v[12:13], 0
	;; [unrolled: 1-line block ×3, first 2 shown]
	v_or_b32_e32 v2, 0x200, v0
	s_mov_b32 s1, exec_lo
	s_delay_alu instid0(VALU_DEP_1)
	v_cmpx_gt_i32_e64 s20, v2
	s_cbranch_execz .LBB136_17
; %bb.16:
	v_mul_f64_e32 v[2:3], s[8:9], v[40:41]
	v_mul_f64_e32 v[10:11], s[10:11], v[40:41]
	;; [unrolled: 1-line block ×4, first 2 shown]
	s_delay_alu instid0(VALU_DEP_4) | instskip(NEXT) | instid1(VALU_DEP_4)
	v_fmac_f64_e32 v[2:3], s[10:11], v[38:39]
	v_fma_f64 v[10:11], s[8:9], v[38:39], -v[10:11]
	s_delay_alu instid0(VALU_DEP_4) | instskip(NEXT) | instid1(VALU_DEP_4)
	v_fma_f64 v[12:13], s[4:5], v[30:31], -v[12:13]
	v_fmac_f64_e32 v[14:15], s[6:7], v[30:31]
	s_delay_alu instid0(VALU_DEP_4) | instskip(SKIP_1) | instid1(VALU_DEP_2)
	v_mul_f64_e32 v[16:17], v[36:37], v[2:3]
	v_mul_f64_e32 v[2:3], v[34:35], v[2:3]
	v_fma_f64 v[16:17], v[34:35], v[10:11], -v[16:17]
	s_delay_alu instid0(VALU_DEP_2) | instskip(NEXT) | instid1(VALU_DEP_2)
	v_fmac_f64_e32 v[2:3], v[36:37], v[10:11]
	v_add_f64_e32 v[10:11], v[12:13], v[16:17]
	s_delay_alu instid0(VALU_DEP_2)
	v_add_f64_e32 v[12:13], v[14:15], v[2:3]
.LBB136_17:
	s_or_b32 exec_lo, exec_lo, s1
	v_mov_b64_e32 v[2:3], 0
	v_or_b32_e32 v14, 0x300, v0
	s_mov_b32 s1, exec_lo
	s_delay_alu instid0(VALU_DEP_1)
	v_cmpx_gt_i32_e64 s20, v14
	s_cbranch_execnz .LBB136_24
; %bb.18:
	s_or_b32 exec_lo, exec_lo, s1
	s_and_saveexec_b32 s0, vcc_lo
	s_delay_alu instid0(SALU_CYCLE_1)
	s_xor_b32 s0, exec_lo, s0
	s_cbranch_execnz .LBB136_25
.LBB136_19:
	s_or_b32 exec_lo, exec_lo, s0
	s_delay_alu instid0(SALU_CYCLE_1)
	s_mov_b32 s0, exec_lo
	v_cmpx_gt_i32_e64 s20, v0
	s_cbranch_execnz .LBB136_26
.LBB136_20:
	s_or_b32 exec_lo, exec_lo, s0
	s_delay_alu instid0(SALU_CYCLE_1)
	s_mov_b32 s0, exec_lo
	v_cmpx_gt_i32_e64 s20, v0
	s_cbranch_execnz .LBB136_27
.LBB136_21:
	s_or_b32 exec_lo, exec_lo, s0
	s_delay_alu instid0(SALU_CYCLE_1)
	s_mov_b32 s0, exec_lo
	v_cmpx_gt_i32_e64 s20, v0
	s_cbranch_execz .LBB136_23
.LBB136_22:
	v_add_nc_u32_e32 v0, s2, v0
	global_store_b128 v0, v[2:5], s[12:13] scale_offset
.LBB136_23:
	s_endpgm
.LBB136_24:
	v_mul_f64_e32 v[2:3], s[8:9], v[48:49]
	v_mul_f64_e32 v[4:5], s[10:11], v[48:49]
	;; [unrolled: 1-line block ×4, first 2 shown]
	s_delay_alu instid0(VALU_DEP_4) | instskip(NEXT) | instid1(VALU_DEP_4)
	v_fmac_f64_e32 v[2:3], s[10:11], v[46:47]
	v_fma_f64 v[4:5], s[8:9], v[46:47], -v[4:5]
	s_delay_alu instid0(VALU_DEP_3) | instskip(NEXT) | instid1(VALU_DEP_3)
	v_fmac_f64_e32 v[16:17], s[6:7], v[42:43]
	v_mul_f64_e32 v[18:19], v[8:9], v[2:3]
	v_mul_f64_e32 v[20:21], v[6:7], v[2:3]
	v_fma_f64 v[2:3], s[4:5], v[42:43], -v[14:15]
	s_delay_alu instid0(VALU_DEP_3) | instskip(NEXT) | instid1(VALU_DEP_3)
	v_fma_f64 v[6:7], v[6:7], v[4:5], -v[18:19]
	v_fmac_f64_e32 v[20:21], v[8:9], v[4:5]
	s_delay_alu instid0(VALU_DEP_2) | instskip(NEXT) | instid1(VALU_DEP_2)
	v_add_f64_e32 v[2:3], v[2:3], v[6:7]
	v_add_f64_e32 v[4:5], v[16:17], v[20:21]
	s_or_b32 exec_lo, exec_lo, s1
	s_and_saveexec_b32 s0, vcc_lo
	s_delay_alu instid0(SALU_CYCLE_1)
	s_xor_b32 s0, exec_lo, s0
	s_cbranch_execz .LBB136_19
.LBB136_25:
	v_mov_b32_e32 v0, v58
	global_store_b128 v1, v[54:57], s[12:13] scale_offset
	s_wait_xcnt 0x0
	s_or_b32 exec_lo, exec_lo, s0
	s_delay_alu instid0(SALU_CYCLE_1)
	s_mov_b32 s0, exec_lo
	v_cmpx_gt_i32_e64 s20, v0
	s_cbranch_execz .LBB136_20
.LBB136_26:
	v_add_nc_u32_e32 v1, s2, v0
	v_add_nc_u32_e32 v0, 0x100, v0
	global_store_b128 v1, v[50:53], s[12:13] scale_offset
	s_wait_xcnt 0x0
	s_or_b32 exec_lo, exec_lo, s0
	s_delay_alu instid0(SALU_CYCLE_1)
	s_mov_b32 s0, exec_lo
	v_cmpx_gt_i32_e64 s20, v0
	s_cbranch_execz .LBB136_21
.LBB136_27:
	v_add_nc_u32_e32 v1, s2, v0
	v_add_nc_u32_e32 v0, 0x100, v0
	global_store_b128 v1, v[10:13], s[12:13] scale_offset
	s_wait_xcnt 0x0
	s_or_b32 exec_lo, exec_lo, s0
	s_delay_alu instid0(SALU_CYCLE_1)
	s_mov_b32 s0, exec_lo
	v_cmpx_gt_i32_e64 s20, v0
	s_cbranch_execnz .LBB136_22
	s_branch .LBB136_23
	.section	.rodata,"a",@progbits
	.p2align	6, 0x0
	.amdhsa_kernel _ZN2at6native29vectorized_elementwise_kernelILi16EZZZNS0_12_GLOBAL__N_116addr_kernel_cudaERNS_14TensorIteratorERKN3c106ScalarES8_ENKUlvE_clEvENKUlvE6_clEvEUlNS5_7complexIdEESC_SC_E0_St5arrayIPcLm4EEEEviT0_T1_
		.amdhsa_group_segment_fixed_size 0
		.amdhsa_private_segment_fixed_size 0
		.amdhsa_kernarg_size 80
		.amdhsa_user_sgpr_count 2
		.amdhsa_user_sgpr_dispatch_ptr 0
		.amdhsa_user_sgpr_queue_ptr 0
		.amdhsa_user_sgpr_kernarg_segment_ptr 1
		.amdhsa_user_sgpr_dispatch_id 0
		.amdhsa_user_sgpr_kernarg_preload_length 0
		.amdhsa_user_sgpr_kernarg_preload_offset 0
		.amdhsa_user_sgpr_private_segment_size 0
		.amdhsa_wavefront_size32 1
		.amdhsa_uses_dynamic_stack 0
		.amdhsa_enable_private_segment 0
		.amdhsa_system_sgpr_workgroup_id_x 1
		.amdhsa_system_sgpr_workgroup_id_y 0
		.amdhsa_system_sgpr_workgroup_id_z 0
		.amdhsa_system_sgpr_workgroup_info 0
		.amdhsa_system_vgpr_workitem_id 0
		.amdhsa_next_free_vgpr 59
		.amdhsa_next_free_sgpr 26
		.amdhsa_named_barrier_count 0
		.amdhsa_reserve_vcc 1
		.amdhsa_float_round_mode_32 0
		.amdhsa_float_round_mode_16_64 0
		.amdhsa_float_denorm_mode_32 3
		.amdhsa_float_denorm_mode_16_64 3
		.amdhsa_fp16_overflow 0
		.amdhsa_memory_ordered 1
		.amdhsa_forward_progress 1
		.amdhsa_inst_pref_size 15
		.amdhsa_round_robin_scheduling 0
		.amdhsa_exception_fp_ieee_invalid_op 0
		.amdhsa_exception_fp_denorm_src 0
		.amdhsa_exception_fp_ieee_div_zero 0
		.amdhsa_exception_fp_ieee_overflow 0
		.amdhsa_exception_fp_ieee_underflow 0
		.amdhsa_exception_fp_ieee_inexact 0
		.amdhsa_exception_int_div_zero 0
	.end_amdhsa_kernel
	.section	.text._ZN2at6native29vectorized_elementwise_kernelILi16EZZZNS0_12_GLOBAL__N_116addr_kernel_cudaERNS_14TensorIteratorERKN3c106ScalarES8_ENKUlvE_clEvENKUlvE6_clEvEUlNS5_7complexIdEESC_SC_E0_St5arrayIPcLm4EEEEviT0_T1_,"axG",@progbits,_ZN2at6native29vectorized_elementwise_kernelILi16EZZZNS0_12_GLOBAL__N_116addr_kernel_cudaERNS_14TensorIteratorERKN3c106ScalarES8_ENKUlvE_clEvENKUlvE6_clEvEUlNS5_7complexIdEESC_SC_E0_St5arrayIPcLm4EEEEviT0_T1_,comdat
.Lfunc_end136:
	.size	_ZN2at6native29vectorized_elementwise_kernelILi16EZZZNS0_12_GLOBAL__N_116addr_kernel_cudaERNS_14TensorIteratorERKN3c106ScalarES8_ENKUlvE_clEvENKUlvE6_clEvEUlNS5_7complexIdEESC_SC_E0_St5arrayIPcLm4EEEEviT0_T1_, .Lfunc_end136-_ZN2at6native29vectorized_elementwise_kernelILi16EZZZNS0_12_GLOBAL__N_116addr_kernel_cudaERNS_14TensorIteratorERKN3c106ScalarES8_ENKUlvE_clEvENKUlvE6_clEvEUlNS5_7complexIdEESC_SC_E0_St5arrayIPcLm4EEEEviT0_T1_
                                        ; -- End function
	.set _ZN2at6native29vectorized_elementwise_kernelILi16EZZZNS0_12_GLOBAL__N_116addr_kernel_cudaERNS_14TensorIteratorERKN3c106ScalarES8_ENKUlvE_clEvENKUlvE6_clEvEUlNS5_7complexIdEESC_SC_E0_St5arrayIPcLm4EEEEviT0_T1_.num_vgpr, 59
	.set _ZN2at6native29vectorized_elementwise_kernelILi16EZZZNS0_12_GLOBAL__N_116addr_kernel_cudaERNS_14TensorIteratorERKN3c106ScalarES8_ENKUlvE_clEvENKUlvE6_clEvEUlNS5_7complexIdEESC_SC_E0_St5arrayIPcLm4EEEEviT0_T1_.num_agpr, 0
	.set _ZN2at6native29vectorized_elementwise_kernelILi16EZZZNS0_12_GLOBAL__N_116addr_kernel_cudaERNS_14TensorIteratorERKN3c106ScalarES8_ENKUlvE_clEvENKUlvE6_clEvEUlNS5_7complexIdEESC_SC_E0_St5arrayIPcLm4EEEEviT0_T1_.numbered_sgpr, 26
	.set _ZN2at6native29vectorized_elementwise_kernelILi16EZZZNS0_12_GLOBAL__N_116addr_kernel_cudaERNS_14TensorIteratorERKN3c106ScalarES8_ENKUlvE_clEvENKUlvE6_clEvEUlNS5_7complexIdEESC_SC_E0_St5arrayIPcLm4EEEEviT0_T1_.num_named_barrier, 0
	.set _ZN2at6native29vectorized_elementwise_kernelILi16EZZZNS0_12_GLOBAL__N_116addr_kernel_cudaERNS_14TensorIteratorERKN3c106ScalarES8_ENKUlvE_clEvENKUlvE6_clEvEUlNS5_7complexIdEESC_SC_E0_St5arrayIPcLm4EEEEviT0_T1_.private_seg_size, 0
	.set _ZN2at6native29vectorized_elementwise_kernelILi16EZZZNS0_12_GLOBAL__N_116addr_kernel_cudaERNS_14TensorIteratorERKN3c106ScalarES8_ENKUlvE_clEvENKUlvE6_clEvEUlNS5_7complexIdEESC_SC_E0_St5arrayIPcLm4EEEEviT0_T1_.uses_vcc, 1
	.set _ZN2at6native29vectorized_elementwise_kernelILi16EZZZNS0_12_GLOBAL__N_116addr_kernel_cudaERNS_14TensorIteratorERKN3c106ScalarES8_ENKUlvE_clEvENKUlvE6_clEvEUlNS5_7complexIdEESC_SC_E0_St5arrayIPcLm4EEEEviT0_T1_.uses_flat_scratch, 0
	.set _ZN2at6native29vectorized_elementwise_kernelILi16EZZZNS0_12_GLOBAL__N_116addr_kernel_cudaERNS_14TensorIteratorERKN3c106ScalarES8_ENKUlvE_clEvENKUlvE6_clEvEUlNS5_7complexIdEESC_SC_E0_St5arrayIPcLm4EEEEviT0_T1_.has_dyn_sized_stack, 0
	.set _ZN2at6native29vectorized_elementwise_kernelILi16EZZZNS0_12_GLOBAL__N_116addr_kernel_cudaERNS_14TensorIteratorERKN3c106ScalarES8_ENKUlvE_clEvENKUlvE6_clEvEUlNS5_7complexIdEESC_SC_E0_St5arrayIPcLm4EEEEviT0_T1_.has_recursion, 0
	.set _ZN2at6native29vectorized_elementwise_kernelILi16EZZZNS0_12_GLOBAL__N_116addr_kernel_cudaERNS_14TensorIteratorERKN3c106ScalarES8_ENKUlvE_clEvENKUlvE6_clEvEUlNS5_7complexIdEESC_SC_E0_St5arrayIPcLm4EEEEviT0_T1_.has_indirect_call, 0
	.section	.AMDGPU.csdata,"",@progbits
; Kernel info:
; codeLenInByte = 1864
; TotalNumSgprs: 28
; NumVgprs: 59
; ScratchSize: 0
; MemoryBound: 1
; FloatMode: 240
; IeeeMode: 1
; LDSByteSize: 0 bytes/workgroup (compile time only)
; SGPRBlocks: 0
; VGPRBlocks: 3
; NumSGPRsForWavesPerEU: 28
; NumVGPRsForWavesPerEU: 59
; NamedBarCnt: 0
; Occupancy: 16
; WaveLimiterHint : 0
; COMPUTE_PGM_RSRC2:SCRATCH_EN: 0
; COMPUTE_PGM_RSRC2:USER_SGPR: 2
; COMPUTE_PGM_RSRC2:TRAP_HANDLER: 0
; COMPUTE_PGM_RSRC2:TGID_X_EN: 1
; COMPUTE_PGM_RSRC2:TGID_Y_EN: 0
; COMPUTE_PGM_RSRC2:TGID_Z_EN: 0
; COMPUTE_PGM_RSRC2:TIDIG_COMP_CNT: 0
	.section	.text._ZN2at6native29vectorized_elementwise_kernelILi8EZZZNS0_12_GLOBAL__N_116addr_kernel_cudaERNS_14TensorIteratorERKN3c106ScalarES8_ENKUlvE_clEvENKUlvE6_clEvEUlNS5_7complexIdEESC_SC_E0_St5arrayIPcLm4EEEEviT0_T1_,"axG",@progbits,_ZN2at6native29vectorized_elementwise_kernelILi8EZZZNS0_12_GLOBAL__N_116addr_kernel_cudaERNS_14TensorIteratorERKN3c106ScalarES8_ENKUlvE_clEvENKUlvE6_clEvEUlNS5_7complexIdEESC_SC_E0_St5arrayIPcLm4EEEEviT0_T1_,comdat
	.globl	_ZN2at6native29vectorized_elementwise_kernelILi8EZZZNS0_12_GLOBAL__N_116addr_kernel_cudaERNS_14TensorIteratorERKN3c106ScalarES8_ENKUlvE_clEvENKUlvE6_clEvEUlNS5_7complexIdEESC_SC_E0_St5arrayIPcLm4EEEEviT0_T1_ ; -- Begin function _ZN2at6native29vectorized_elementwise_kernelILi8EZZZNS0_12_GLOBAL__N_116addr_kernel_cudaERNS_14TensorIteratorERKN3c106ScalarES8_ENKUlvE_clEvENKUlvE6_clEvEUlNS5_7complexIdEESC_SC_E0_St5arrayIPcLm4EEEEviT0_T1_
	.p2align	8
	.type	_ZN2at6native29vectorized_elementwise_kernelILi8EZZZNS0_12_GLOBAL__N_116addr_kernel_cudaERNS_14TensorIteratorERKN3c106ScalarES8_ENKUlvE_clEvENKUlvE6_clEvEUlNS5_7complexIdEESC_SC_E0_St5arrayIPcLm4EEEEviT0_T1_,@function
_ZN2at6native29vectorized_elementwise_kernelILi8EZZZNS0_12_GLOBAL__N_116addr_kernel_cudaERNS_14TensorIteratorERKN3c106ScalarES8_ENKUlvE_clEvENKUlvE6_clEvEUlNS5_7complexIdEESC_SC_E0_St5arrayIPcLm4EEEEviT0_T1_: ; @_ZN2at6native29vectorized_elementwise_kernelILi8EZZZNS0_12_GLOBAL__N_116addr_kernel_cudaERNS_14TensorIteratorERKN3c106ScalarES8_ENKUlvE_clEvENKUlvE6_clEvEUlNS5_7complexIdEESC_SC_E0_St5arrayIPcLm4EEEEviT0_T1_
; %bb.0:
	s_clause 0x1
	s_load_b32 s3, s[0:1], 0x0
	s_load_b512 s[4:19], s[0:1], 0x10
	s_wait_xcnt 0x0
	s_bfe_u32 s0, ttmp6, 0x4000c
	s_and_b32 s1, ttmp6, 15
	s_add_co_i32 s0, s0, 1
	s_getreg_b32 s2, hwreg(HW_REG_IB_STS2, 6, 4)
	s_mul_i32 s0, ttmp9, s0
	s_delay_alu instid0(SALU_CYCLE_1) | instskip(SKIP_2) | instid1(SALU_CYCLE_1)
	s_add_co_i32 s1, s1, s0
	s_cmp_eq_u32 s2, 0
	s_cselect_b32 s0, ttmp9, s1
	s_lshl_b32 s2, s0, 10
	s_mov_b32 s0, -1
	s_wait_kmcnt 0x0
	s_sub_co_i32 s20, s3, s2
	s_delay_alu instid0(SALU_CYCLE_1)
	s_cmp_gt_i32 s20, 0x3ff
	s_cbranch_scc0 .LBB137_2
; %bb.1:
	s_ashr_i32 s3, s2, 31
	v_lshlrev_b32_e32 v1, 6, v0
	s_lshl_b64 s[0:1], s[2:3], 4
	s_delay_alu instid0(SALU_CYCLE_1)
	s_add_nc_u64 s[22:23], s[14:15], s[0:1]
	s_add_nc_u64 s[24:25], s[16:17], s[0:1]
	global_load_b128 v[2:5], v1, s[22:23]
	s_wait_loadcnt 0x0
	v_mul_f64_e32 v[50:51], s[6:7], v[4:5]
	v_mul_f64_e32 v[4:5], s[4:5], v[4:5]
	s_delay_alu instid0(VALU_DEP_2)
	v_fma_f64 v[50:51], s[4:5], v[2:3], -v[50:51]
	s_clause 0x6
	global_load_b128 v[6:9], v1, s[24:25]
	global_load_b128 v[10:13], v1, s[22:23] offset:16
	global_load_b128 v[14:17], v1, s[24:25] offset:16
	;; [unrolled: 1-line block ×6, first 2 shown]
	s_wait_xcnt 0x0
	s_add_nc_u64 s[22:23], s[18:19], s[0:1]
	s_clause 0x3
	global_load_b128 v[34:37], v1, s[22:23]
	global_load_b128 v[38:41], v1, s[22:23] offset:16
	global_load_b128 v[42:45], v1, s[22:23] offset:32
	;; [unrolled: 1-line block ×3, first 2 shown]
	v_fmac_f64_e32 v[4:5], s[6:7], v[2:3]
	s_wait_xcnt 0x0
	s_add_nc_u64 s[22:23], s[12:13], s[0:1]
	s_mov_b32 s0, 0
	s_wait_loadcnt 0xa
	v_mul_f64_e32 v[52:53], s[10:11], v[8:9]
	v_mul_f64_e32 v[8:9], s[8:9], v[8:9]
	s_wait_loadcnt 0x9
	v_mul_f64_e32 v[54:55], s[6:7], v[12:13]
	v_mul_f64_e32 v[12:13], s[4:5], v[12:13]
	s_wait_loadcnt 0x8
	v_mul_f64_e32 v[2:3], s[10:11], v[16:17]
	v_fma_f64 v[52:53], s[8:9], v[6:7], -v[52:53]
	v_fmac_f64_e32 v[8:9], s[10:11], v[6:7]
	v_mul_f64_e32 v[6:7], s[8:9], v[16:17]
	s_wait_loadcnt 0x7
	v_mul_f64_e32 v[16:17], s[6:7], v[20:21]
	v_mul_f64_e32 v[20:21], s[4:5], v[20:21]
	v_fma_f64 v[54:55], s[4:5], v[10:11], -v[54:55]
	v_fmac_f64_e32 v[12:13], s[6:7], v[10:11]
	s_wait_loadcnt 0x6
	v_mul_f64_e32 v[10:11], s[10:11], v[24:25]
	v_fma_f64 v[2:3], s[8:9], v[14:15], -v[2:3]
	v_fmac_f64_e32 v[6:7], s[10:11], v[14:15]
	v_mul_f64_e32 v[14:15], s[8:9], v[24:25]
	s_wait_loadcnt 0x5
	v_mul_f64_e32 v[24:25], s[10:11], v[28:29]
	v_fma_f64 v[16:17], s[4:5], v[18:19], -v[16:17]
	v_fmac_f64_e32 v[20:21], s[6:7], v[18:19]
	v_mul_f64_e32 v[18:19], s[8:9], v[28:29]
	;; [unrolled: 5-line block ×3, first 2 shown]
	v_fma_f64 v[24:25], s[8:9], v[26:27], -v[24:25]
	s_wait_loadcnt 0x3
	v_mul_f64_e32 v[32:33], v[8:9], v[36:37]
	v_fmac_f64_e32 v[18:19], s[10:11], v[26:27]
	v_mul_f64_e32 v[26:27], v[52:53], v[36:37]
	v_fma_f64 v[28:29], s[4:5], v[30:31], -v[28:29]
	s_wait_loadcnt 0x2
	v_mul_f64_e32 v[36:37], v[2:3], v[40:41]
	v_fmac_f64_e32 v[22:23], s[6:7], v[30:31]
	v_mul_f64_e32 v[30:31], v[6:7], v[40:41]
	s_wait_loadcnt 0x1
	v_mul_f64_e32 v[40:41], v[14:15], v[44:45]
	v_mul_f64_e32 v[44:45], v[10:11], v[44:45]
	v_fma_f64 v[32:33], v[52:53], v[34:35], -v[32:33]
	v_fmac_f64_e32 v[26:27], v[8:9], v[34:35]
	s_wait_loadcnt 0x0
	v_mul_f64_e32 v[8:9], v[18:19], v[48:49]
	v_mul_f64_e32 v[34:35], v[24:25], v[48:49]
	v_fmac_f64_e32 v[36:37], v[6:7], v[38:39]
	v_fma_f64 v[30:31], v[2:3], v[38:39], -v[30:31]
	v_fma_f64 v[10:11], v[10:11], v[42:43], -v[40:41]
	v_fmac_f64_e32 v[44:45], v[14:15], v[42:43]
	v_add_f64_e32 v[2:3], v[50:51], v[32:33]
	v_add_f64_e32 v[4:5], v[4:5], v[26:27]
	v_fma_f64 v[14:15], v[24:25], v[46:47], -v[8:9]
	v_fmac_f64_e32 v[34:35], v[18:19], v[46:47]
	v_add_f64_e32 v[8:9], v[12:13], v[36:37]
	v_add_f64_e32 v[6:7], v[54:55], v[30:31]
	;; [unrolled: 1-line block ×6, first 2 shown]
	s_clause 0x3
	global_store_b128 v1, v[2:5], s[22:23]
	global_store_b128 v1, v[6:9], s[22:23] offset:16
	global_store_b128 v1, v[10:13], s[22:23] offset:32
	;; [unrolled: 1-line block ×3, first 2 shown]
.LBB137_2:
	s_and_not1_b32 vcc_lo, exec_lo, s0
	s_cbranch_vccnz .LBB137_23
; %bb.3:
	s_wait_xcnt 0x3
	v_mov_b64_e32 v[2:3], 0
	s_wait_xcnt 0x0
	v_mov_b64_e32 v[14:15], 0
	v_mov_b64_e32 v[16:17], 0
	;; [unrolled: 1-line block ×6, first 2 shown]
	v_cmp_gt_i32_e32 vcc_lo, s20, v0
	v_dual_mov_b32 v50, v0 :: v_dual_bitop2_b32 v1, s2, v0 bitop3:0x54
	v_or_b32_e32 v58, 0x100, v0
	s_and_saveexec_b32 s0, vcc_lo
	s_cbranch_execz .LBB137_5
; %bb.4:
	s_clause 0x2
	global_load_b128 v[10:13], v1, s[14:15] scale_offset
	global_load_b128 v[18:21], v1, s[16:17] scale_offset
	;; [unrolled: 1-line block ×3, first 2 shown]
	v_or_b32_e32 v50, 0x100, v0
.LBB137_5:
	s_wait_xcnt 0x0
	s_or_b32 exec_lo, exec_lo, s0
	v_mov_b64_e32 v[4:5], 0
	v_mov_b64_e32 v[26:27], 0
	;; [unrolled: 1-line block ×5, first 2 shown]
	s_mov_b32 s1, exec_lo
	v_cmpx_gt_i32_e64 s20, v50
	s_cbranch_execz .LBB137_7
; %bb.6:
	v_add_nc_u32_e32 v6, s2, v50
	v_add_nc_u32_e32 v50, 0x100, v50
	s_clause 0x2
	global_load_b128 v[22:25], v6, s[14:15] scale_offset
	global_load_b128 v[26:29], v6, s[16:17] scale_offset
	;; [unrolled: 1-line block ×3, first 2 shown]
.LBB137_7:
	s_wait_xcnt 0x0
	s_or_b32 exec_lo, exec_lo, s1
	v_mov_b64_e32 v[6:7], 0
	v_mov_b64_e32 v[34:35], 0
	v_mov_b64_e32 v[36:37], 0
	v_mov_b64_e32 v[38:39], 0
	v_mov_b64_e32 v[40:41], 0
	v_mov_b64_e32 v[30:31], 0
	v_mov_b64_e32 v[32:33], 0
	s_mov_b32 s1, exec_lo
	v_cmpx_gt_i32_e64 s20, v50
	s_cbranch_execz .LBB137_9
; %bb.8:
	v_add_nc_u32_e32 v8, s2, v50
	v_add_nc_u32_e32 v50, 0x100, v50
	s_clause 0x2
	global_load_b128 v[30:33], v8, s[14:15] scale_offset
	global_load_b128 v[38:41], v8, s[16:17] scale_offset
	;; [unrolled: 1-line block ×3, first 2 shown]
.LBB137_9:
	s_wait_xcnt 0x0
	s_or_b32 exec_lo, exec_lo, s1
	v_mov_b64_e32 v[8:9], 0
	v_mov_b64_e32 v[46:47], 0
	;; [unrolled: 1-line block ×5, first 2 shown]
	s_mov_b32 s1, exec_lo
	v_cmpx_gt_i32_e64 s20, v50
	s_cbranch_execz .LBB137_11
; %bb.10:
	v_add_nc_u32_e32 v50, s2, v50
	s_clause 0x2
	global_load_b128 v[42:45], v50, s[14:15] scale_offset
	global_load_b128 v[46:49], v50, s[16:17] scale_offset
	;; [unrolled: 1-line block ×3, first 2 shown]
.LBB137_11:
	s_wait_xcnt 0x0
	s_or_b32 exec_lo, exec_lo, s1
	v_mov_b64_e32 v[52:53], 0
	v_mov_b64_e32 v[56:57], 0
	;; [unrolled: 1-line block ×3, first 2 shown]
	s_and_saveexec_b32 s0, vcc_lo
	s_cbranch_execz .LBB137_13
; %bb.12:
	s_wait_loadcnt 0x1
	v_mul_f64_e32 v[50:51], s[8:9], v[20:21]
	v_mul_f64_e32 v[20:21], s[10:11], v[20:21]
	;; [unrolled: 1-line block ×4, first 2 shown]
	s_delay_alu instid0(VALU_DEP_4) | instskip(NEXT) | instid1(VALU_DEP_4)
	v_fmac_f64_e32 v[50:51], s[10:11], v[18:19]
	v_fma_f64 v[18:19], s[8:9], v[18:19], -v[20:21]
	s_delay_alu instid0(VALU_DEP_4) | instskip(NEXT) | instid1(VALU_DEP_4)
	v_fma_f64 v[54:55], s[4:5], v[10:11], -v[54:55]
	v_fmac_f64_e32 v[12:13], s[6:7], v[10:11]
	s_wait_loadcnt 0x0
	s_delay_alu instid0(VALU_DEP_4) | instskip(SKIP_1) | instid1(VALU_DEP_2)
	v_mul_f64_e32 v[20:21], v[16:17], v[50:51]
	v_mul_f64_e32 v[50:51], v[14:15], v[50:51]
	v_fma_f64 v[10:11], v[14:15], v[18:19], -v[20:21]
	s_delay_alu instid0(VALU_DEP_2) | instskip(NEXT) | instid1(VALU_DEP_2)
	v_fmac_f64_e32 v[50:51], v[16:17], v[18:19]
	v_add_f64_e32 v[54:55], v[54:55], v[10:11]
	s_delay_alu instid0(VALU_DEP_2)
	v_add_f64_e32 v[56:57], v[12:13], v[50:51]
.LBB137_13:
	s_or_b32 exec_lo, exec_lo, s0
	v_mov_b64_e32 v[50:51], 0
	s_mov_b32 s1, exec_lo
	v_cmpx_gt_i32_e64 s20, v58
	s_cbranch_execz .LBB137_15
; %bb.14:
	s_wait_loadcnt 0x1
	v_mul_f64_e32 v[10:11], s[8:9], v[28:29]
	v_mul_f64_e32 v[12:13], s[10:11], v[28:29]
	s_wait_loadcnt 0x0
	v_mul_f64_e32 v[14:15], s[6:7], v[24:25]
	v_mul_f64_e32 v[16:17], s[4:5], v[24:25]
	s_delay_alu instid0(VALU_DEP_4) | instskip(NEXT) | instid1(VALU_DEP_4)
	v_fmac_f64_e32 v[10:11], s[10:11], v[26:27]
	v_fma_f64 v[12:13], s[8:9], v[26:27], -v[12:13]
	s_delay_alu instid0(VALU_DEP_4) | instskip(NEXT) | instid1(VALU_DEP_4)
	v_fma_f64 v[14:15], s[4:5], v[22:23], -v[14:15]
	v_fmac_f64_e32 v[16:17], s[6:7], v[22:23]
	s_delay_alu instid0(VALU_DEP_4) | instskip(SKIP_1) | instid1(VALU_DEP_2)
	v_mul_f64_e32 v[18:19], v[4:5], v[10:11]
	v_mul_f64_e32 v[10:11], v[2:3], v[10:11]
	v_fma_f64 v[2:3], v[2:3], v[12:13], -v[18:19]
	s_delay_alu instid0(VALU_DEP_2) | instskip(NEXT) | instid1(VALU_DEP_2)
	v_fmac_f64_e32 v[10:11], v[4:5], v[12:13]
	v_add_f64_e32 v[50:51], v[14:15], v[2:3]
	s_delay_alu instid0(VALU_DEP_2)
	v_add_f64_e32 v[52:53], v[16:17], v[10:11]
.LBB137_15:
	s_or_b32 exec_lo, exec_lo, s1
	s_wait_loadcnt 0x0
	v_mov_b64_e32 v[4:5], 0
	v_mov_b64_e32 v[12:13], 0
	v_mov_b64_e32 v[10:11], 0
	v_or_b32_e32 v2, 0x200, v0
	s_mov_b32 s1, exec_lo
	s_delay_alu instid0(VALU_DEP_1)
	v_cmpx_gt_i32_e64 s20, v2
	s_cbranch_execz .LBB137_17
; %bb.16:
	v_mul_f64_e32 v[2:3], s[8:9], v[40:41]
	v_mul_f64_e32 v[10:11], s[10:11], v[40:41]
	;; [unrolled: 1-line block ×4, first 2 shown]
	s_delay_alu instid0(VALU_DEP_4) | instskip(NEXT) | instid1(VALU_DEP_4)
	v_fmac_f64_e32 v[2:3], s[10:11], v[38:39]
	v_fma_f64 v[10:11], s[8:9], v[38:39], -v[10:11]
	s_delay_alu instid0(VALU_DEP_4) | instskip(NEXT) | instid1(VALU_DEP_4)
	v_fma_f64 v[12:13], s[4:5], v[30:31], -v[12:13]
	v_fmac_f64_e32 v[14:15], s[6:7], v[30:31]
	s_delay_alu instid0(VALU_DEP_4) | instskip(SKIP_1) | instid1(VALU_DEP_2)
	v_mul_f64_e32 v[16:17], v[36:37], v[2:3]
	v_mul_f64_e32 v[2:3], v[34:35], v[2:3]
	v_fma_f64 v[16:17], v[34:35], v[10:11], -v[16:17]
	s_delay_alu instid0(VALU_DEP_2) | instskip(NEXT) | instid1(VALU_DEP_2)
	v_fmac_f64_e32 v[2:3], v[36:37], v[10:11]
	v_add_f64_e32 v[10:11], v[12:13], v[16:17]
	s_delay_alu instid0(VALU_DEP_2)
	v_add_f64_e32 v[12:13], v[14:15], v[2:3]
.LBB137_17:
	s_or_b32 exec_lo, exec_lo, s1
	v_mov_b64_e32 v[2:3], 0
	v_or_b32_e32 v14, 0x300, v0
	s_mov_b32 s1, exec_lo
	s_delay_alu instid0(VALU_DEP_1)
	v_cmpx_gt_i32_e64 s20, v14
	s_cbranch_execnz .LBB137_24
; %bb.18:
	s_or_b32 exec_lo, exec_lo, s1
	s_and_saveexec_b32 s0, vcc_lo
	s_delay_alu instid0(SALU_CYCLE_1)
	s_xor_b32 s0, exec_lo, s0
	s_cbranch_execnz .LBB137_25
.LBB137_19:
	s_or_b32 exec_lo, exec_lo, s0
	s_delay_alu instid0(SALU_CYCLE_1)
	s_mov_b32 s0, exec_lo
	v_cmpx_gt_i32_e64 s20, v0
	s_cbranch_execnz .LBB137_26
.LBB137_20:
	s_or_b32 exec_lo, exec_lo, s0
	s_delay_alu instid0(SALU_CYCLE_1)
	s_mov_b32 s0, exec_lo
	v_cmpx_gt_i32_e64 s20, v0
	s_cbranch_execnz .LBB137_27
.LBB137_21:
	s_or_b32 exec_lo, exec_lo, s0
	s_delay_alu instid0(SALU_CYCLE_1)
	s_mov_b32 s0, exec_lo
	v_cmpx_gt_i32_e64 s20, v0
	s_cbranch_execz .LBB137_23
.LBB137_22:
	v_add_nc_u32_e32 v0, s2, v0
	global_store_b128 v0, v[2:5], s[12:13] scale_offset
.LBB137_23:
	s_endpgm
.LBB137_24:
	v_mul_f64_e32 v[2:3], s[8:9], v[48:49]
	v_mul_f64_e32 v[4:5], s[10:11], v[48:49]
	;; [unrolled: 1-line block ×4, first 2 shown]
	s_delay_alu instid0(VALU_DEP_4) | instskip(NEXT) | instid1(VALU_DEP_4)
	v_fmac_f64_e32 v[2:3], s[10:11], v[46:47]
	v_fma_f64 v[4:5], s[8:9], v[46:47], -v[4:5]
	s_delay_alu instid0(VALU_DEP_3) | instskip(NEXT) | instid1(VALU_DEP_3)
	v_fmac_f64_e32 v[16:17], s[6:7], v[42:43]
	v_mul_f64_e32 v[18:19], v[8:9], v[2:3]
	v_mul_f64_e32 v[20:21], v[6:7], v[2:3]
	v_fma_f64 v[2:3], s[4:5], v[42:43], -v[14:15]
	s_delay_alu instid0(VALU_DEP_3) | instskip(NEXT) | instid1(VALU_DEP_3)
	v_fma_f64 v[6:7], v[6:7], v[4:5], -v[18:19]
	v_fmac_f64_e32 v[20:21], v[8:9], v[4:5]
	s_delay_alu instid0(VALU_DEP_2) | instskip(NEXT) | instid1(VALU_DEP_2)
	v_add_f64_e32 v[2:3], v[2:3], v[6:7]
	v_add_f64_e32 v[4:5], v[16:17], v[20:21]
	s_or_b32 exec_lo, exec_lo, s1
	s_and_saveexec_b32 s0, vcc_lo
	s_delay_alu instid0(SALU_CYCLE_1)
	s_xor_b32 s0, exec_lo, s0
	s_cbranch_execz .LBB137_19
.LBB137_25:
	v_mov_b32_e32 v0, v58
	global_store_b128 v1, v[54:57], s[12:13] scale_offset
	s_wait_xcnt 0x0
	s_or_b32 exec_lo, exec_lo, s0
	s_delay_alu instid0(SALU_CYCLE_1)
	s_mov_b32 s0, exec_lo
	v_cmpx_gt_i32_e64 s20, v0
	s_cbranch_execz .LBB137_20
.LBB137_26:
	v_add_nc_u32_e32 v1, s2, v0
	v_add_nc_u32_e32 v0, 0x100, v0
	global_store_b128 v1, v[50:53], s[12:13] scale_offset
	s_wait_xcnt 0x0
	s_or_b32 exec_lo, exec_lo, s0
	s_delay_alu instid0(SALU_CYCLE_1)
	s_mov_b32 s0, exec_lo
	v_cmpx_gt_i32_e64 s20, v0
	s_cbranch_execz .LBB137_21
.LBB137_27:
	v_add_nc_u32_e32 v1, s2, v0
	v_add_nc_u32_e32 v0, 0x100, v0
	global_store_b128 v1, v[10:13], s[12:13] scale_offset
	s_wait_xcnt 0x0
	s_or_b32 exec_lo, exec_lo, s0
	s_delay_alu instid0(SALU_CYCLE_1)
	s_mov_b32 s0, exec_lo
	v_cmpx_gt_i32_e64 s20, v0
	s_cbranch_execnz .LBB137_22
	s_branch .LBB137_23
	.section	.rodata,"a",@progbits
	.p2align	6, 0x0
	.amdhsa_kernel _ZN2at6native29vectorized_elementwise_kernelILi8EZZZNS0_12_GLOBAL__N_116addr_kernel_cudaERNS_14TensorIteratorERKN3c106ScalarES8_ENKUlvE_clEvENKUlvE6_clEvEUlNS5_7complexIdEESC_SC_E0_St5arrayIPcLm4EEEEviT0_T1_
		.amdhsa_group_segment_fixed_size 0
		.amdhsa_private_segment_fixed_size 0
		.amdhsa_kernarg_size 80
		.amdhsa_user_sgpr_count 2
		.amdhsa_user_sgpr_dispatch_ptr 0
		.amdhsa_user_sgpr_queue_ptr 0
		.amdhsa_user_sgpr_kernarg_segment_ptr 1
		.amdhsa_user_sgpr_dispatch_id 0
		.amdhsa_user_sgpr_kernarg_preload_length 0
		.amdhsa_user_sgpr_kernarg_preload_offset 0
		.amdhsa_user_sgpr_private_segment_size 0
		.amdhsa_wavefront_size32 1
		.amdhsa_uses_dynamic_stack 0
		.amdhsa_enable_private_segment 0
		.amdhsa_system_sgpr_workgroup_id_x 1
		.amdhsa_system_sgpr_workgroup_id_y 0
		.amdhsa_system_sgpr_workgroup_id_z 0
		.amdhsa_system_sgpr_workgroup_info 0
		.amdhsa_system_vgpr_workitem_id 0
		.amdhsa_next_free_vgpr 59
		.amdhsa_next_free_sgpr 26
		.amdhsa_named_barrier_count 0
		.amdhsa_reserve_vcc 1
		.amdhsa_float_round_mode_32 0
		.amdhsa_float_round_mode_16_64 0
		.amdhsa_float_denorm_mode_32 3
		.amdhsa_float_denorm_mode_16_64 3
		.amdhsa_fp16_overflow 0
		.amdhsa_memory_ordered 1
		.amdhsa_forward_progress 1
		.amdhsa_inst_pref_size 15
		.amdhsa_round_robin_scheduling 0
		.amdhsa_exception_fp_ieee_invalid_op 0
		.amdhsa_exception_fp_denorm_src 0
		.amdhsa_exception_fp_ieee_div_zero 0
		.amdhsa_exception_fp_ieee_overflow 0
		.amdhsa_exception_fp_ieee_underflow 0
		.amdhsa_exception_fp_ieee_inexact 0
		.amdhsa_exception_int_div_zero 0
	.end_amdhsa_kernel
	.section	.text._ZN2at6native29vectorized_elementwise_kernelILi8EZZZNS0_12_GLOBAL__N_116addr_kernel_cudaERNS_14TensorIteratorERKN3c106ScalarES8_ENKUlvE_clEvENKUlvE6_clEvEUlNS5_7complexIdEESC_SC_E0_St5arrayIPcLm4EEEEviT0_T1_,"axG",@progbits,_ZN2at6native29vectorized_elementwise_kernelILi8EZZZNS0_12_GLOBAL__N_116addr_kernel_cudaERNS_14TensorIteratorERKN3c106ScalarES8_ENKUlvE_clEvENKUlvE6_clEvEUlNS5_7complexIdEESC_SC_E0_St5arrayIPcLm4EEEEviT0_T1_,comdat
.Lfunc_end137:
	.size	_ZN2at6native29vectorized_elementwise_kernelILi8EZZZNS0_12_GLOBAL__N_116addr_kernel_cudaERNS_14TensorIteratorERKN3c106ScalarES8_ENKUlvE_clEvENKUlvE6_clEvEUlNS5_7complexIdEESC_SC_E0_St5arrayIPcLm4EEEEviT0_T1_, .Lfunc_end137-_ZN2at6native29vectorized_elementwise_kernelILi8EZZZNS0_12_GLOBAL__N_116addr_kernel_cudaERNS_14TensorIteratorERKN3c106ScalarES8_ENKUlvE_clEvENKUlvE6_clEvEUlNS5_7complexIdEESC_SC_E0_St5arrayIPcLm4EEEEviT0_T1_
                                        ; -- End function
	.set _ZN2at6native29vectorized_elementwise_kernelILi8EZZZNS0_12_GLOBAL__N_116addr_kernel_cudaERNS_14TensorIteratorERKN3c106ScalarES8_ENKUlvE_clEvENKUlvE6_clEvEUlNS5_7complexIdEESC_SC_E0_St5arrayIPcLm4EEEEviT0_T1_.num_vgpr, 59
	.set _ZN2at6native29vectorized_elementwise_kernelILi8EZZZNS0_12_GLOBAL__N_116addr_kernel_cudaERNS_14TensorIteratorERKN3c106ScalarES8_ENKUlvE_clEvENKUlvE6_clEvEUlNS5_7complexIdEESC_SC_E0_St5arrayIPcLm4EEEEviT0_T1_.num_agpr, 0
	.set _ZN2at6native29vectorized_elementwise_kernelILi8EZZZNS0_12_GLOBAL__N_116addr_kernel_cudaERNS_14TensorIteratorERKN3c106ScalarES8_ENKUlvE_clEvENKUlvE6_clEvEUlNS5_7complexIdEESC_SC_E0_St5arrayIPcLm4EEEEviT0_T1_.numbered_sgpr, 26
	.set _ZN2at6native29vectorized_elementwise_kernelILi8EZZZNS0_12_GLOBAL__N_116addr_kernel_cudaERNS_14TensorIteratorERKN3c106ScalarES8_ENKUlvE_clEvENKUlvE6_clEvEUlNS5_7complexIdEESC_SC_E0_St5arrayIPcLm4EEEEviT0_T1_.num_named_barrier, 0
	.set _ZN2at6native29vectorized_elementwise_kernelILi8EZZZNS0_12_GLOBAL__N_116addr_kernel_cudaERNS_14TensorIteratorERKN3c106ScalarES8_ENKUlvE_clEvENKUlvE6_clEvEUlNS5_7complexIdEESC_SC_E0_St5arrayIPcLm4EEEEviT0_T1_.private_seg_size, 0
	.set _ZN2at6native29vectorized_elementwise_kernelILi8EZZZNS0_12_GLOBAL__N_116addr_kernel_cudaERNS_14TensorIteratorERKN3c106ScalarES8_ENKUlvE_clEvENKUlvE6_clEvEUlNS5_7complexIdEESC_SC_E0_St5arrayIPcLm4EEEEviT0_T1_.uses_vcc, 1
	.set _ZN2at6native29vectorized_elementwise_kernelILi8EZZZNS0_12_GLOBAL__N_116addr_kernel_cudaERNS_14TensorIteratorERKN3c106ScalarES8_ENKUlvE_clEvENKUlvE6_clEvEUlNS5_7complexIdEESC_SC_E0_St5arrayIPcLm4EEEEviT0_T1_.uses_flat_scratch, 0
	.set _ZN2at6native29vectorized_elementwise_kernelILi8EZZZNS0_12_GLOBAL__N_116addr_kernel_cudaERNS_14TensorIteratorERKN3c106ScalarES8_ENKUlvE_clEvENKUlvE6_clEvEUlNS5_7complexIdEESC_SC_E0_St5arrayIPcLm4EEEEviT0_T1_.has_dyn_sized_stack, 0
	.set _ZN2at6native29vectorized_elementwise_kernelILi8EZZZNS0_12_GLOBAL__N_116addr_kernel_cudaERNS_14TensorIteratorERKN3c106ScalarES8_ENKUlvE_clEvENKUlvE6_clEvEUlNS5_7complexIdEESC_SC_E0_St5arrayIPcLm4EEEEviT0_T1_.has_recursion, 0
	.set _ZN2at6native29vectorized_elementwise_kernelILi8EZZZNS0_12_GLOBAL__N_116addr_kernel_cudaERNS_14TensorIteratorERKN3c106ScalarES8_ENKUlvE_clEvENKUlvE6_clEvEUlNS5_7complexIdEESC_SC_E0_St5arrayIPcLm4EEEEviT0_T1_.has_indirect_call, 0
	.section	.AMDGPU.csdata,"",@progbits
; Kernel info:
; codeLenInByte = 1864
; TotalNumSgprs: 28
; NumVgprs: 59
; ScratchSize: 0
; MemoryBound: 1
; FloatMode: 240
; IeeeMode: 1
; LDSByteSize: 0 bytes/workgroup (compile time only)
; SGPRBlocks: 0
; VGPRBlocks: 3
; NumSGPRsForWavesPerEU: 28
; NumVGPRsForWavesPerEU: 59
; NamedBarCnt: 0
; Occupancy: 16
; WaveLimiterHint : 0
; COMPUTE_PGM_RSRC2:SCRATCH_EN: 0
; COMPUTE_PGM_RSRC2:USER_SGPR: 2
; COMPUTE_PGM_RSRC2:TRAP_HANDLER: 0
; COMPUTE_PGM_RSRC2:TGID_X_EN: 1
; COMPUTE_PGM_RSRC2:TGID_Y_EN: 0
; COMPUTE_PGM_RSRC2:TGID_Z_EN: 0
; COMPUTE_PGM_RSRC2:TIDIG_COMP_CNT: 0
	.section	.text._ZN2at6native29vectorized_elementwise_kernelILi4EZZZNS0_12_GLOBAL__N_116addr_kernel_cudaERNS_14TensorIteratorERKN3c106ScalarES8_ENKUlvE_clEvENKUlvE6_clEvEUlNS5_7complexIdEESC_SC_E0_St5arrayIPcLm4EEEEviT0_T1_,"axG",@progbits,_ZN2at6native29vectorized_elementwise_kernelILi4EZZZNS0_12_GLOBAL__N_116addr_kernel_cudaERNS_14TensorIteratorERKN3c106ScalarES8_ENKUlvE_clEvENKUlvE6_clEvEUlNS5_7complexIdEESC_SC_E0_St5arrayIPcLm4EEEEviT0_T1_,comdat
	.globl	_ZN2at6native29vectorized_elementwise_kernelILi4EZZZNS0_12_GLOBAL__N_116addr_kernel_cudaERNS_14TensorIteratorERKN3c106ScalarES8_ENKUlvE_clEvENKUlvE6_clEvEUlNS5_7complexIdEESC_SC_E0_St5arrayIPcLm4EEEEviT0_T1_ ; -- Begin function _ZN2at6native29vectorized_elementwise_kernelILi4EZZZNS0_12_GLOBAL__N_116addr_kernel_cudaERNS_14TensorIteratorERKN3c106ScalarES8_ENKUlvE_clEvENKUlvE6_clEvEUlNS5_7complexIdEESC_SC_E0_St5arrayIPcLm4EEEEviT0_T1_
	.p2align	8
	.type	_ZN2at6native29vectorized_elementwise_kernelILi4EZZZNS0_12_GLOBAL__N_116addr_kernel_cudaERNS_14TensorIteratorERKN3c106ScalarES8_ENKUlvE_clEvENKUlvE6_clEvEUlNS5_7complexIdEESC_SC_E0_St5arrayIPcLm4EEEEviT0_T1_,@function
_ZN2at6native29vectorized_elementwise_kernelILi4EZZZNS0_12_GLOBAL__N_116addr_kernel_cudaERNS_14TensorIteratorERKN3c106ScalarES8_ENKUlvE_clEvENKUlvE6_clEvEUlNS5_7complexIdEESC_SC_E0_St5arrayIPcLm4EEEEviT0_T1_: ; @_ZN2at6native29vectorized_elementwise_kernelILi4EZZZNS0_12_GLOBAL__N_116addr_kernel_cudaERNS_14TensorIteratorERKN3c106ScalarES8_ENKUlvE_clEvENKUlvE6_clEvEUlNS5_7complexIdEESC_SC_E0_St5arrayIPcLm4EEEEviT0_T1_
; %bb.0:
	s_clause 0x1
	s_load_b32 s3, s[0:1], 0x0
	s_load_b512 s[4:19], s[0:1], 0x10
	s_wait_xcnt 0x0
	s_bfe_u32 s0, ttmp6, 0x4000c
	s_and_b32 s1, ttmp6, 15
	s_add_co_i32 s0, s0, 1
	s_getreg_b32 s2, hwreg(HW_REG_IB_STS2, 6, 4)
	s_mul_i32 s0, ttmp9, s0
	s_delay_alu instid0(SALU_CYCLE_1) | instskip(SKIP_2) | instid1(SALU_CYCLE_1)
	s_add_co_i32 s1, s1, s0
	s_cmp_eq_u32 s2, 0
	s_cselect_b32 s0, ttmp9, s1
	s_lshl_b32 s2, s0, 10
	s_mov_b32 s0, -1
	s_wait_kmcnt 0x0
	s_sub_co_i32 s20, s3, s2
	s_delay_alu instid0(SALU_CYCLE_1)
	s_cmp_gt_i32 s20, 0x3ff
	s_cbranch_scc0 .LBB138_2
; %bb.1:
	s_ashr_i32 s3, s2, 31
	v_lshlrev_b32_e32 v1, 6, v0
	s_lshl_b64 s[0:1], s[2:3], 4
	s_delay_alu instid0(SALU_CYCLE_1)
	s_add_nc_u64 s[22:23], s[14:15], s[0:1]
	s_add_nc_u64 s[24:25], s[16:17], s[0:1]
	global_load_b128 v[2:5], v1, s[22:23]
	s_wait_loadcnt 0x0
	v_mul_f64_e32 v[50:51], s[6:7], v[4:5]
	v_mul_f64_e32 v[4:5], s[4:5], v[4:5]
	s_delay_alu instid0(VALU_DEP_2)
	v_fma_f64 v[50:51], s[4:5], v[2:3], -v[50:51]
	s_clause 0x6
	global_load_b128 v[6:9], v1, s[24:25]
	global_load_b128 v[10:13], v1, s[22:23] offset:16
	global_load_b128 v[14:17], v1, s[24:25] offset:16
	;; [unrolled: 1-line block ×6, first 2 shown]
	s_wait_xcnt 0x0
	s_add_nc_u64 s[22:23], s[18:19], s[0:1]
	s_clause 0x3
	global_load_b128 v[34:37], v1, s[22:23]
	global_load_b128 v[38:41], v1, s[22:23] offset:16
	global_load_b128 v[42:45], v1, s[22:23] offset:32
	;; [unrolled: 1-line block ×3, first 2 shown]
	v_fmac_f64_e32 v[4:5], s[6:7], v[2:3]
	s_wait_xcnt 0x0
	s_add_nc_u64 s[22:23], s[12:13], s[0:1]
	s_mov_b32 s0, 0
	s_wait_loadcnt 0xa
	v_mul_f64_e32 v[52:53], s[10:11], v[8:9]
	v_mul_f64_e32 v[8:9], s[8:9], v[8:9]
	s_wait_loadcnt 0x9
	v_mul_f64_e32 v[54:55], s[6:7], v[12:13]
	v_mul_f64_e32 v[12:13], s[4:5], v[12:13]
	s_wait_loadcnt 0x8
	v_mul_f64_e32 v[2:3], s[10:11], v[16:17]
	v_fma_f64 v[52:53], s[8:9], v[6:7], -v[52:53]
	v_fmac_f64_e32 v[8:9], s[10:11], v[6:7]
	v_mul_f64_e32 v[6:7], s[8:9], v[16:17]
	s_wait_loadcnt 0x7
	v_mul_f64_e32 v[16:17], s[6:7], v[20:21]
	v_mul_f64_e32 v[20:21], s[4:5], v[20:21]
	v_fma_f64 v[54:55], s[4:5], v[10:11], -v[54:55]
	v_fmac_f64_e32 v[12:13], s[6:7], v[10:11]
	s_wait_loadcnt 0x6
	v_mul_f64_e32 v[10:11], s[10:11], v[24:25]
	v_fma_f64 v[2:3], s[8:9], v[14:15], -v[2:3]
	v_fmac_f64_e32 v[6:7], s[10:11], v[14:15]
	v_mul_f64_e32 v[14:15], s[8:9], v[24:25]
	s_wait_loadcnt 0x5
	v_mul_f64_e32 v[24:25], s[10:11], v[28:29]
	v_fma_f64 v[16:17], s[4:5], v[18:19], -v[16:17]
	v_fmac_f64_e32 v[20:21], s[6:7], v[18:19]
	v_mul_f64_e32 v[18:19], s[8:9], v[28:29]
	s_wait_loadcnt 0x4
	v_mul_f64_e32 v[28:29], s[6:7], v[32:33]
	v_fma_f64 v[10:11], s[8:9], v[22:23], -v[10:11]
	v_fmac_f64_e32 v[14:15], s[10:11], v[22:23]
	v_mul_f64_e32 v[22:23], s[4:5], v[32:33]
	v_fma_f64 v[24:25], s[8:9], v[26:27], -v[24:25]
	s_wait_loadcnt 0x3
	v_mul_f64_e32 v[32:33], v[8:9], v[36:37]
	v_fmac_f64_e32 v[18:19], s[10:11], v[26:27]
	v_mul_f64_e32 v[26:27], v[52:53], v[36:37]
	v_fma_f64 v[28:29], s[4:5], v[30:31], -v[28:29]
	s_wait_loadcnt 0x2
	v_mul_f64_e32 v[36:37], v[2:3], v[40:41]
	v_fmac_f64_e32 v[22:23], s[6:7], v[30:31]
	v_mul_f64_e32 v[30:31], v[6:7], v[40:41]
	s_wait_loadcnt 0x1
	v_mul_f64_e32 v[40:41], v[14:15], v[44:45]
	v_mul_f64_e32 v[44:45], v[10:11], v[44:45]
	v_fma_f64 v[32:33], v[52:53], v[34:35], -v[32:33]
	v_fmac_f64_e32 v[26:27], v[8:9], v[34:35]
	s_wait_loadcnt 0x0
	v_mul_f64_e32 v[8:9], v[18:19], v[48:49]
	v_mul_f64_e32 v[34:35], v[24:25], v[48:49]
	v_fmac_f64_e32 v[36:37], v[6:7], v[38:39]
	v_fma_f64 v[30:31], v[2:3], v[38:39], -v[30:31]
	v_fma_f64 v[10:11], v[10:11], v[42:43], -v[40:41]
	v_fmac_f64_e32 v[44:45], v[14:15], v[42:43]
	v_add_f64_e32 v[2:3], v[50:51], v[32:33]
	v_add_f64_e32 v[4:5], v[4:5], v[26:27]
	v_fma_f64 v[14:15], v[24:25], v[46:47], -v[8:9]
	v_fmac_f64_e32 v[34:35], v[18:19], v[46:47]
	v_add_f64_e32 v[8:9], v[12:13], v[36:37]
	v_add_f64_e32 v[6:7], v[54:55], v[30:31]
	;; [unrolled: 1-line block ×6, first 2 shown]
	s_clause 0x3
	global_store_b128 v1, v[2:5], s[22:23]
	global_store_b128 v1, v[6:9], s[22:23] offset:16
	global_store_b128 v1, v[10:13], s[22:23] offset:32
	;; [unrolled: 1-line block ×3, first 2 shown]
.LBB138_2:
	s_and_not1_b32 vcc_lo, exec_lo, s0
	s_cbranch_vccnz .LBB138_23
; %bb.3:
	s_wait_xcnt 0x3
	v_mov_b64_e32 v[2:3], 0
	s_wait_xcnt 0x0
	v_mov_b64_e32 v[14:15], 0
	v_mov_b64_e32 v[16:17], 0
	;; [unrolled: 1-line block ×6, first 2 shown]
	v_cmp_gt_i32_e32 vcc_lo, s20, v0
	v_dual_mov_b32 v50, v0 :: v_dual_bitop2_b32 v1, s2, v0 bitop3:0x54
	v_or_b32_e32 v58, 0x100, v0
	s_and_saveexec_b32 s0, vcc_lo
	s_cbranch_execz .LBB138_5
; %bb.4:
	s_clause 0x2
	global_load_b128 v[10:13], v1, s[14:15] scale_offset
	global_load_b128 v[18:21], v1, s[16:17] scale_offset
	global_load_b128 v[14:17], v1, s[18:19] scale_offset
	v_or_b32_e32 v50, 0x100, v0
.LBB138_5:
	s_wait_xcnt 0x0
	s_or_b32 exec_lo, exec_lo, s0
	v_mov_b64_e32 v[4:5], 0
	v_mov_b64_e32 v[26:27], 0
	;; [unrolled: 1-line block ×5, first 2 shown]
	s_mov_b32 s1, exec_lo
	v_cmpx_gt_i32_e64 s20, v50
	s_cbranch_execz .LBB138_7
; %bb.6:
	v_add_nc_u32_e32 v6, s2, v50
	v_add_nc_u32_e32 v50, 0x100, v50
	s_clause 0x2
	global_load_b128 v[22:25], v6, s[14:15] scale_offset
	global_load_b128 v[26:29], v6, s[16:17] scale_offset
	;; [unrolled: 1-line block ×3, first 2 shown]
.LBB138_7:
	s_wait_xcnt 0x0
	s_or_b32 exec_lo, exec_lo, s1
	v_mov_b64_e32 v[6:7], 0
	v_mov_b64_e32 v[34:35], 0
	v_mov_b64_e32 v[36:37], 0
	v_mov_b64_e32 v[38:39], 0
	v_mov_b64_e32 v[40:41], 0
	v_mov_b64_e32 v[30:31], 0
	v_mov_b64_e32 v[32:33], 0
	s_mov_b32 s1, exec_lo
	v_cmpx_gt_i32_e64 s20, v50
	s_cbranch_execz .LBB138_9
; %bb.8:
	v_add_nc_u32_e32 v8, s2, v50
	v_add_nc_u32_e32 v50, 0x100, v50
	s_clause 0x2
	global_load_b128 v[30:33], v8, s[14:15] scale_offset
	global_load_b128 v[38:41], v8, s[16:17] scale_offset
	;; [unrolled: 1-line block ×3, first 2 shown]
.LBB138_9:
	s_wait_xcnt 0x0
	s_or_b32 exec_lo, exec_lo, s1
	v_mov_b64_e32 v[8:9], 0
	v_mov_b64_e32 v[46:47], 0
	;; [unrolled: 1-line block ×5, first 2 shown]
	s_mov_b32 s1, exec_lo
	v_cmpx_gt_i32_e64 s20, v50
	s_cbranch_execz .LBB138_11
; %bb.10:
	v_add_nc_u32_e32 v50, s2, v50
	s_clause 0x2
	global_load_b128 v[42:45], v50, s[14:15] scale_offset
	global_load_b128 v[46:49], v50, s[16:17] scale_offset
	;; [unrolled: 1-line block ×3, first 2 shown]
.LBB138_11:
	s_wait_xcnt 0x0
	s_or_b32 exec_lo, exec_lo, s1
	v_mov_b64_e32 v[52:53], 0
	v_mov_b64_e32 v[56:57], 0
	;; [unrolled: 1-line block ×3, first 2 shown]
	s_and_saveexec_b32 s0, vcc_lo
	s_cbranch_execz .LBB138_13
; %bb.12:
	s_wait_loadcnt 0x1
	v_mul_f64_e32 v[50:51], s[8:9], v[20:21]
	v_mul_f64_e32 v[20:21], s[10:11], v[20:21]
	;; [unrolled: 1-line block ×4, first 2 shown]
	s_delay_alu instid0(VALU_DEP_4) | instskip(NEXT) | instid1(VALU_DEP_4)
	v_fmac_f64_e32 v[50:51], s[10:11], v[18:19]
	v_fma_f64 v[18:19], s[8:9], v[18:19], -v[20:21]
	s_delay_alu instid0(VALU_DEP_4) | instskip(NEXT) | instid1(VALU_DEP_4)
	v_fma_f64 v[54:55], s[4:5], v[10:11], -v[54:55]
	v_fmac_f64_e32 v[12:13], s[6:7], v[10:11]
	s_wait_loadcnt 0x0
	s_delay_alu instid0(VALU_DEP_4) | instskip(SKIP_1) | instid1(VALU_DEP_2)
	v_mul_f64_e32 v[20:21], v[16:17], v[50:51]
	v_mul_f64_e32 v[50:51], v[14:15], v[50:51]
	v_fma_f64 v[10:11], v[14:15], v[18:19], -v[20:21]
	s_delay_alu instid0(VALU_DEP_2) | instskip(NEXT) | instid1(VALU_DEP_2)
	v_fmac_f64_e32 v[50:51], v[16:17], v[18:19]
	v_add_f64_e32 v[54:55], v[54:55], v[10:11]
	s_delay_alu instid0(VALU_DEP_2)
	v_add_f64_e32 v[56:57], v[12:13], v[50:51]
.LBB138_13:
	s_or_b32 exec_lo, exec_lo, s0
	v_mov_b64_e32 v[50:51], 0
	s_mov_b32 s1, exec_lo
	v_cmpx_gt_i32_e64 s20, v58
	s_cbranch_execz .LBB138_15
; %bb.14:
	s_wait_loadcnt 0x1
	v_mul_f64_e32 v[10:11], s[8:9], v[28:29]
	v_mul_f64_e32 v[12:13], s[10:11], v[28:29]
	s_wait_loadcnt 0x0
	v_mul_f64_e32 v[14:15], s[6:7], v[24:25]
	v_mul_f64_e32 v[16:17], s[4:5], v[24:25]
	s_delay_alu instid0(VALU_DEP_4) | instskip(NEXT) | instid1(VALU_DEP_4)
	v_fmac_f64_e32 v[10:11], s[10:11], v[26:27]
	v_fma_f64 v[12:13], s[8:9], v[26:27], -v[12:13]
	s_delay_alu instid0(VALU_DEP_4) | instskip(NEXT) | instid1(VALU_DEP_4)
	v_fma_f64 v[14:15], s[4:5], v[22:23], -v[14:15]
	v_fmac_f64_e32 v[16:17], s[6:7], v[22:23]
	s_delay_alu instid0(VALU_DEP_4) | instskip(SKIP_1) | instid1(VALU_DEP_2)
	v_mul_f64_e32 v[18:19], v[4:5], v[10:11]
	v_mul_f64_e32 v[10:11], v[2:3], v[10:11]
	v_fma_f64 v[2:3], v[2:3], v[12:13], -v[18:19]
	s_delay_alu instid0(VALU_DEP_2) | instskip(NEXT) | instid1(VALU_DEP_2)
	v_fmac_f64_e32 v[10:11], v[4:5], v[12:13]
	v_add_f64_e32 v[50:51], v[14:15], v[2:3]
	s_delay_alu instid0(VALU_DEP_2)
	v_add_f64_e32 v[52:53], v[16:17], v[10:11]
.LBB138_15:
	s_or_b32 exec_lo, exec_lo, s1
	s_wait_loadcnt 0x0
	v_mov_b64_e32 v[4:5], 0
	v_mov_b64_e32 v[12:13], 0
	;; [unrolled: 1-line block ×3, first 2 shown]
	v_or_b32_e32 v2, 0x200, v0
	s_mov_b32 s1, exec_lo
	s_delay_alu instid0(VALU_DEP_1)
	v_cmpx_gt_i32_e64 s20, v2
	s_cbranch_execz .LBB138_17
; %bb.16:
	v_mul_f64_e32 v[2:3], s[8:9], v[40:41]
	v_mul_f64_e32 v[10:11], s[10:11], v[40:41]
	;; [unrolled: 1-line block ×4, first 2 shown]
	s_delay_alu instid0(VALU_DEP_4) | instskip(NEXT) | instid1(VALU_DEP_4)
	v_fmac_f64_e32 v[2:3], s[10:11], v[38:39]
	v_fma_f64 v[10:11], s[8:9], v[38:39], -v[10:11]
	s_delay_alu instid0(VALU_DEP_4) | instskip(NEXT) | instid1(VALU_DEP_4)
	v_fma_f64 v[12:13], s[4:5], v[30:31], -v[12:13]
	v_fmac_f64_e32 v[14:15], s[6:7], v[30:31]
	s_delay_alu instid0(VALU_DEP_4) | instskip(SKIP_1) | instid1(VALU_DEP_2)
	v_mul_f64_e32 v[16:17], v[36:37], v[2:3]
	v_mul_f64_e32 v[2:3], v[34:35], v[2:3]
	v_fma_f64 v[16:17], v[34:35], v[10:11], -v[16:17]
	s_delay_alu instid0(VALU_DEP_2) | instskip(NEXT) | instid1(VALU_DEP_2)
	v_fmac_f64_e32 v[2:3], v[36:37], v[10:11]
	v_add_f64_e32 v[10:11], v[12:13], v[16:17]
	s_delay_alu instid0(VALU_DEP_2)
	v_add_f64_e32 v[12:13], v[14:15], v[2:3]
.LBB138_17:
	s_or_b32 exec_lo, exec_lo, s1
	v_mov_b64_e32 v[2:3], 0
	v_or_b32_e32 v14, 0x300, v0
	s_mov_b32 s1, exec_lo
	s_delay_alu instid0(VALU_DEP_1)
	v_cmpx_gt_i32_e64 s20, v14
	s_cbranch_execnz .LBB138_24
; %bb.18:
	s_or_b32 exec_lo, exec_lo, s1
	s_and_saveexec_b32 s0, vcc_lo
	s_delay_alu instid0(SALU_CYCLE_1)
	s_xor_b32 s0, exec_lo, s0
	s_cbranch_execnz .LBB138_25
.LBB138_19:
	s_or_b32 exec_lo, exec_lo, s0
	s_delay_alu instid0(SALU_CYCLE_1)
	s_mov_b32 s0, exec_lo
	v_cmpx_gt_i32_e64 s20, v0
	s_cbranch_execnz .LBB138_26
.LBB138_20:
	s_or_b32 exec_lo, exec_lo, s0
	s_delay_alu instid0(SALU_CYCLE_1)
	s_mov_b32 s0, exec_lo
	v_cmpx_gt_i32_e64 s20, v0
	s_cbranch_execnz .LBB138_27
.LBB138_21:
	s_or_b32 exec_lo, exec_lo, s0
	s_delay_alu instid0(SALU_CYCLE_1)
	s_mov_b32 s0, exec_lo
	v_cmpx_gt_i32_e64 s20, v0
	s_cbranch_execz .LBB138_23
.LBB138_22:
	v_add_nc_u32_e32 v0, s2, v0
	global_store_b128 v0, v[2:5], s[12:13] scale_offset
.LBB138_23:
	s_endpgm
.LBB138_24:
	v_mul_f64_e32 v[2:3], s[8:9], v[48:49]
	v_mul_f64_e32 v[4:5], s[10:11], v[48:49]
	;; [unrolled: 1-line block ×4, first 2 shown]
	s_delay_alu instid0(VALU_DEP_4) | instskip(NEXT) | instid1(VALU_DEP_4)
	v_fmac_f64_e32 v[2:3], s[10:11], v[46:47]
	v_fma_f64 v[4:5], s[8:9], v[46:47], -v[4:5]
	s_delay_alu instid0(VALU_DEP_3) | instskip(NEXT) | instid1(VALU_DEP_3)
	v_fmac_f64_e32 v[16:17], s[6:7], v[42:43]
	v_mul_f64_e32 v[18:19], v[8:9], v[2:3]
	v_mul_f64_e32 v[20:21], v[6:7], v[2:3]
	v_fma_f64 v[2:3], s[4:5], v[42:43], -v[14:15]
	s_delay_alu instid0(VALU_DEP_3) | instskip(NEXT) | instid1(VALU_DEP_3)
	v_fma_f64 v[6:7], v[6:7], v[4:5], -v[18:19]
	v_fmac_f64_e32 v[20:21], v[8:9], v[4:5]
	s_delay_alu instid0(VALU_DEP_2) | instskip(NEXT) | instid1(VALU_DEP_2)
	v_add_f64_e32 v[2:3], v[2:3], v[6:7]
	v_add_f64_e32 v[4:5], v[16:17], v[20:21]
	s_or_b32 exec_lo, exec_lo, s1
	s_and_saveexec_b32 s0, vcc_lo
	s_delay_alu instid0(SALU_CYCLE_1)
	s_xor_b32 s0, exec_lo, s0
	s_cbranch_execz .LBB138_19
.LBB138_25:
	v_mov_b32_e32 v0, v58
	global_store_b128 v1, v[54:57], s[12:13] scale_offset
	s_wait_xcnt 0x0
	s_or_b32 exec_lo, exec_lo, s0
	s_delay_alu instid0(SALU_CYCLE_1)
	s_mov_b32 s0, exec_lo
	v_cmpx_gt_i32_e64 s20, v0
	s_cbranch_execz .LBB138_20
.LBB138_26:
	v_add_nc_u32_e32 v1, s2, v0
	v_add_nc_u32_e32 v0, 0x100, v0
	global_store_b128 v1, v[50:53], s[12:13] scale_offset
	s_wait_xcnt 0x0
	s_or_b32 exec_lo, exec_lo, s0
	s_delay_alu instid0(SALU_CYCLE_1)
	s_mov_b32 s0, exec_lo
	v_cmpx_gt_i32_e64 s20, v0
	s_cbranch_execz .LBB138_21
.LBB138_27:
	v_add_nc_u32_e32 v1, s2, v0
	v_add_nc_u32_e32 v0, 0x100, v0
	global_store_b128 v1, v[10:13], s[12:13] scale_offset
	s_wait_xcnt 0x0
	s_or_b32 exec_lo, exec_lo, s0
	s_delay_alu instid0(SALU_CYCLE_1)
	s_mov_b32 s0, exec_lo
	v_cmpx_gt_i32_e64 s20, v0
	s_cbranch_execnz .LBB138_22
	s_branch .LBB138_23
	.section	.rodata,"a",@progbits
	.p2align	6, 0x0
	.amdhsa_kernel _ZN2at6native29vectorized_elementwise_kernelILi4EZZZNS0_12_GLOBAL__N_116addr_kernel_cudaERNS_14TensorIteratorERKN3c106ScalarES8_ENKUlvE_clEvENKUlvE6_clEvEUlNS5_7complexIdEESC_SC_E0_St5arrayIPcLm4EEEEviT0_T1_
		.amdhsa_group_segment_fixed_size 0
		.amdhsa_private_segment_fixed_size 0
		.amdhsa_kernarg_size 80
		.amdhsa_user_sgpr_count 2
		.amdhsa_user_sgpr_dispatch_ptr 0
		.amdhsa_user_sgpr_queue_ptr 0
		.amdhsa_user_sgpr_kernarg_segment_ptr 1
		.amdhsa_user_sgpr_dispatch_id 0
		.amdhsa_user_sgpr_kernarg_preload_length 0
		.amdhsa_user_sgpr_kernarg_preload_offset 0
		.amdhsa_user_sgpr_private_segment_size 0
		.amdhsa_wavefront_size32 1
		.amdhsa_uses_dynamic_stack 0
		.amdhsa_enable_private_segment 0
		.amdhsa_system_sgpr_workgroup_id_x 1
		.amdhsa_system_sgpr_workgroup_id_y 0
		.amdhsa_system_sgpr_workgroup_id_z 0
		.amdhsa_system_sgpr_workgroup_info 0
		.amdhsa_system_vgpr_workitem_id 0
		.amdhsa_next_free_vgpr 59
		.amdhsa_next_free_sgpr 26
		.amdhsa_named_barrier_count 0
		.amdhsa_reserve_vcc 1
		.amdhsa_float_round_mode_32 0
		.amdhsa_float_round_mode_16_64 0
		.amdhsa_float_denorm_mode_32 3
		.amdhsa_float_denorm_mode_16_64 3
		.amdhsa_fp16_overflow 0
		.amdhsa_memory_ordered 1
		.amdhsa_forward_progress 1
		.amdhsa_inst_pref_size 15
		.amdhsa_round_robin_scheduling 0
		.amdhsa_exception_fp_ieee_invalid_op 0
		.amdhsa_exception_fp_denorm_src 0
		.amdhsa_exception_fp_ieee_div_zero 0
		.amdhsa_exception_fp_ieee_overflow 0
		.amdhsa_exception_fp_ieee_underflow 0
		.amdhsa_exception_fp_ieee_inexact 0
		.amdhsa_exception_int_div_zero 0
	.end_amdhsa_kernel
	.section	.text._ZN2at6native29vectorized_elementwise_kernelILi4EZZZNS0_12_GLOBAL__N_116addr_kernel_cudaERNS_14TensorIteratorERKN3c106ScalarES8_ENKUlvE_clEvENKUlvE6_clEvEUlNS5_7complexIdEESC_SC_E0_St5arrayIPcLm4EEEEviT0_T1_,"axG",@progbits,_ZN2at6native29vectorized_elementwise_kernelILi4EZZZNS0_12_GLOBAL__N_116addr_kernel_cudaERNS_14TensorIteratorERKN3c106ScalarES8_ENKUlvE_clEvENKUlvE6_clEvEUlNS5_7complexIdEESC_SC_E0_St5arrayIPcLm4EEEEviT0_T1_,comdat
.Lfunc_end138:
	.size	_ZN2at6native29vectorized_elementwise_kernelILi4EZZZNS0_12_GLOBAL__N_116addr_kernel_cudaERNS_14TensorIteratorERKN3c106ScalarES8_ENKUlvE_clEvENKUlvE6_clEvEUlNS5_7complexIdEESC_SC_E0_St5arrayIPcLm4EEEEviT0_T1_, .Lfunc_end138-_ZN2at6native29vectorized_elementwise_kernelILi4EZZZNS0_12_GLOBAL__N_116addr_kernel_cudaERNS_14TensorIteratorERKN3c106ScalarES8_ENKUlvE_clEvENKUlvE6_clEvEUlNS5_7complexIdEESC_SC_E0_St5arrayIPcLm4EEEEviT0_T1_
                                        ; -- End function
	.set _ZN2at6native29vectorized_elementwise_kernelILi4EZZZNS0_12_GLOBAL__N_116addr_kernel_cudaERNS_14TensorIteratorERKN3c106ScalarES8_ENKUlvE_clEvENKUlvE6_clEvEUlNS5_7complexIdEESC_SC_E0_St5arrayIPcLm4EEEEviT0_T1_.num_vgpr, 59
	.set _ZN2at6native29vectorized_elementwise_kernelILi4EZZZNS0_12_GLOBAL__N_116addr_kernel_cudaERNS_14TensorIteratorERKN3c106ScalarES8_ENKUlvE_clEvENKUlvE6_clEvEUlNS5_7complexIdEESC_SC_E0_St5arrayIPcLm4EEEEviT0_T1_.num_agpr, 0
	.set _ZN2at6native29vectorized_elementwise_kernelILi4EZZZNS0_12_GLOBAL__N_116addr_kernel_cudaERNS_14TensorIteratorERKN3c106ScalarES8_ENKUlvE_clEvENKUlvE6_clEvEUlNS5_7complexIdEESC_SC_E0_St5arrayIPcLm4EEEEviT0_T1_.numbered_sgpr, 26
	.set _ZN2at6native29vectorized_elementwise_kernelILi4EZZZNS0_12_GLOBAL__N_116addr_kernel_cudaERNS_14TensorIteratorERKN3c106ScalarES8_ENKUlvE_clEvENKUlvE6_clEvEUlNS5_7complexIdEESC_SC_E0_St5arrayIPcLm4EEEEviT0_T1_.num_named_barrier, 0
	.set _ZN2at6native29vectorized_elementwise_kernelILi4EZZZNS0_12_GLOBAL__N_116addr_kernel_cudaERNS_14TensorIteratorERKN3c106ScalarES8_ENKUlvE_clEvENKUlvE6_clEvEUlNS5_7complexIdEESC_SC_E0_St5arrayIPcLm4EEEEviT0_T1_.private_seg_size, 0
	.set _ZN2at6native29vectorized_elementwise_kernelILi4EZZZNS0_12_GLOBAL__N_116addr_kernel_cudaERNS_14TensorIteratorERKN3c106ScalarES8_ENKUlvE_clEvENKUlvE6_clEvEUlNS5_7complexIdEESC_SC_E0_St5arrayIPcLm4EEEEviT0_T1_.uses_vcc, 1
	.set _ZN2at6native29vectorized_elementwise_kernelILi4EZZZNS0_12_GLOBAL__N_116addr_kernel_cudaERNS_14TensorIteratorERKN3c106ScalarES8_ENKUlvE_clEvENKUlvE6_clEvEUlNS5_7complexIdEESC_SC_E0_St5arrayIPcLm4EEEEviT0_T1_.uses_flat_scratch, 0
	.set _ZN2at6native29vectorized_elementwise_kernelILi4EZZZNS0_12_GLOBAL__N_116addr_kernel_cudaERNS_14TensorIteratorERKN3c106ScalarES8_ENKUlvE_clEvENKUlvE6_clEvEUlNS5_7complexIdEESC_SC_E0_St5arrayIPcLm4EEEEviT0_T1_.has_dyn_sized_stack, 0
	.set _ZN2at6native29vectorized_elementwise_kernelILi4EZZZNS0_12_GLOBAL__N_116addr_kernel_cudaERNS_14TensorIteratorERKN3c106ScalarES8_ENKUlvE_clEvENKUlvE6_clEvEUlNS5_7complexIdEESC_SC_E0_St5arrayIPcLm4EEEEviT0_T1_.has_recursion, 0
	.set _ZN2at6native29vectorized_elementwise_kernelILi4EZZZNS0_12_GLOBAL__N_116addr_kernel_cudaERNS_14TensorIteratorERKN3c106ScalarES8_ENKUlvE_clEvENKUlvE6_clEvEUlNS5_7complexIdEESC_SC_E0_St5arrayIPcLm4EEEEviT0_T1_.has_indirect_call, 0
	.section	.AMDGPU.csdata,"",@progbits
; Kernel info:
; codeLenInByte = 1864
; TotalNumSgprs: 28
; NumVgprs: 59
; ScratchSize: 0
; MemoryBound: 1
; FloatMode: 240
; IeeeMode: 1
; LDSByteSize: 0 bytes/workgroup (compile time only)
; SGPRBlocks: 0
; VGPRBlocks: 3
; NumSGPRsForWavesPerEU: 28
; NumVGPRsForWavesPerEU: 59
; NamedBarCnt: 0
; Occupancy: 16
; WaveLimiterHint : 0
; COMPUTE_PGM_RSRC2:SCRATCH_EN: 0
; COMPUTE_PGM_RSRC2:USER_SGPR: 2
; COMPUTE_PGM_RSRC2:TRAP_HANDLER: 0
; COMPUTE_PGM_RSRC2:TGID_X_EN: 1
; COMPUTE_PGM_RSRC2:TGID_Y_EN: 0
; COMPUTE_PGM_RSRC2:TGID_Z_EN: 0
; COMPUTE_PGM_RSRC2:TIDIG_COMP_CNT: 0
	.section	.text._ZN2at6native29vectorized_elementwise_kernelILi2EZZZNS0_12_GLOBAL__N_116addr_kernel_cudaERNS_14TensorIteratorERKN3c106ScalarES8_ENKUlvE_clEvENKUlvE6_clEvEUlNS5_7complexIdEESC_SC_E0_St5arrayIPcLm4EEEEviT0_T1_,"axG",@progbits,_ZN2at6native29vectorized_elementwise_kernelILi2EZZZNS0_12_GLOBAL__N_116addr_kernel_cudaERNS_14TensorIteratorERKN3c106ScalarES8_ENKUlvE_clEvENKUlvE6_clEvEUlNS5_7complexIdEESC_SC_E0_St5arrayIPcLm4EEEEviT0_T1_,comdat
	.globl	_ZN2at6native29vectorized_elementwise_kernelILi2EZZZNS0_12_GLOBAL__N_116addr_kernel_cudaERNS_14TensorIteratorERKN3c106ScalarES8_ENKUlvE_clEvENKUlvE6_clEvEUlNS5_7complexIdEESC_SC_E0_St5arrayIPcLm4EEEEviT0_T1_ ; -- Begin function _ZN2at6native29vectorized_elementwise_kernelILi2EZZZNS0_12_GLOBAL__N_116addr_kernel_cudaERNS_14TensorIteratorERKN3c106ScalarES8_ENKUlvE_clEvENKUlvE6_clEvEUlNS5_7complexIdEESC_SC_E0_St5arrayIPcLm4EEEEviT0_T1_
	.p2align	8
	.type	_ZN2at6native29vectorized_elementwise_kernelILi2EZZZNS0_12_GLOBAL__N_116addr_kernel_cudaERNS_14TensorIteratorERKN3c106ScalarES8_ENKUlvE_clEvENKUlvE6_clEvEUlNS5_7complexIdEESC_SC_E0_St5arrayIPcLm4EEEEviT0_T1_,@function
_ZN2at6native29vectorized_elementwise_kernelILi2EZZZNS0_12_GLOBAL__N_116addr_kernel_cudaERNS_14TensorIteratorERKN3c106ScalarES8_ENKUlvE_clEvENKUlvE6_clEvEUlNS5_7complexIdEESC_SC_E0_St5arrayIPcLm4EEEEviT0_T1_: ; @_ZN2at6native29vectorized_elementwise_kernelILi2EZZZNS0_12_GLOBAL__N_116addr_kernel_cudaERNS_14TensorIteratorERKN3c106ScalarES8_ENKUlvE_clEvENKUlvE6_clEvEUlNS5_7complexIdEESC_SC_E0_St5arrayIPcLm4EEEEviT0_T1_
; %bb.0:
	s_clause 0x1
	s_load_b32 s3, s[0:1], 0x0
	s_load_b512 s[4:19], s[0:1], 0x10
	s_wait_xcnt 0x0
	s_bfe_u32 s0, ttmp6, 0x4000c
	s_and_b32 s1, ttmp6, 15
	s_add_co_i32 s0, s0, 1
	s_getreg_b32 s2, hwreg(HW_REG_IB_STS2, 6, 4)
	s_mul_i32 s0, ttmp9, s0
	s_delay_alu instid0(SALU_CYCLE_1) | instskip(SKIP_2) | instid1(SALU_CYCLE_1)
	s_add_co_i32 s1, s1, s0
	s_cmp_eq_u32 s2, 0
	s_cselect_b32 s0, ttmp9, s1
	s_lshl_b32 s2, s0, 10
	s_mov_b32 s0, -1
	s_wait_kmcnt 0x0
	s_sub_co_i32 s20, s3, s2
	s_delay_alu instid0(SALU_CYCLE_1)
	s_cmp_gt_i32 s20, 0x3ff
	s_cbranch_scc0 .LBB139_2
; %bb.1:
	s_ashr_i32 s3, s2, 31
	v_lshlrev_b32_e32 v1, 5, v0
	s_lshl_b64 s[0:1], s[2:3], 4
	s_delay_alu instid0(SALU_CYCLE_1)
	s_add_nc_u64 s[22:23], s[14:15], s[0:1]
	s_add_nc_u64 s[24:25], s[16:17], s[0:1]
	global_load_b128 v[2:5], v1, s[22:23]
	s_wait_loadcnt 0x0
	v_mul_f64_e32 v[50:51], s[6:7], v[4:5]
	v_mul_f64_e32 v[4:5], s[4:5], v[4:5]
	s_delay_alu instid0(VALU_DEP_2)
	v_fma_f64 v[50:51], s[4:5], v[2:3], -v[50:51]
	s_clause 0x6
	global_load_b128 v[6:9], v1, s[24:25]
	global_load_b128 v[10:13], v1, s[22:23] offset:16
	global_load_b128 v[14:17], v1, s[24:25] offset:16
	;; [unrolled: 1-line block ×6, first 2 shown]
	s_wait_xcnt 0x0
	s_add_nc_u64 s[22:23], s[18:19], s[0:1]
	s_clause 0x3
	global_load_b128 v[34:37], v1, s[22:23]
	global_load_b128 v[38:41], v1, s[22:23] offset:16
	global_load_b128 v[42:45], v1, s[22:23] offset:8192
	;; [unrolled: 1-line block ×3, first 2 shown]
	v_fmac_f64_e32 v[4:5], s[6:7], v[2:3]
	s_wait_xcnt 0x0
	s_add_nc_u64 s[22:23], s[12:13], s[0:1]
	s_mov_b32 s0, 0
	s_wait_loadcnt 0xa
	v_mul_f64_e32 v[52:53], s[10:11], v[8:9]
	v_mul_f64_e32 v[8:9], s[8:9], v[8:9]
	s_wait_loadcnt 0x9
	v_mul_f64_e32 v[54:55], s[6:7], v[12:13]
	v_mul_f64_e32 v[12:13], s[4:5], v[12:13]
	s_wait_loadcnt 0x8
	v_mul_f64_e32 v[2:3], s[10:11], v[16:17]
	v_fma_f64 v[52:53], s[8:9], v[6:7], -v[52:53]
	v_fmac_f64_e32 v[8:9], s[10:11], v[6:7]
	v_mul_f64_e32 v[6:7], s[8:9], v[16:17]
	s_wait_loadcnt 0x7
	v_mul_f64_e32 v[16:17], s[6:7], v[20:21]
	v_mul_f64_e32 v[20:21], s[4:5], v[20:21]
	v_fma_f64 v[54:55], s[4:5], v[10:11], -v[54:55]
	v_fmac_f64_e32 v[12:13], s[6:7], v[10:11]
	s_wait_loadcnt 0x6
	v_mul_f64_e32 v[10:11], s[10:11], v[24:25]
	v_fma_f64 v[2:3], s[8:9], v[14:15], -v[2:3]
	v_fmac_f64_e32 v[6:7], s[10:11], v[14:15]
	v_mul_f64_e32 v[14:15], s[8:9], v[24:25]
	s_wait_loadcnt 0x5
	v_mul_f64_e32 v[24:25], s[10:11], v[28:29]
	v_fma_f64 v[16:17], s[4:5], v[18:19], -v[16:17]
	v_fmac_f64_e32 v[20:21], s[6:7], v[18:19]
	v_mul_f64_e32 v[18:19], s[8:9], v[28:29]
	;; [unrolled: 5-line block ×3, first 2 shown]
	v_fma_f64 v[24:25], s[8:9], v[26:27], -v[24:25]
	s_wait_loadcnt 0x3
	v_mul_f64_e32 v[32:33], v[8:9], v[36:37]
	v_fmac_f64_e32 v[18:19], s[10:11], v[26:27]
	v_mul_f64_e32 v[26:27], v[52:53], v[36:37]
	v_fma_f64 v[28:29], s[4:5], v[30:31], -v[28:29]
	s_wait_loadcnt 0x2
	v_mul_f64_e32 v[36:37], v[2:3], v[40:41]
	v_fmac_f64_e32 v[22:23], s[6:7], v[30:31]
	v_mul_f64_e32 v[30:31], v[6:7], v[40:41]
	s_wait_loadcnt 0x1
	v_mul_f64_e32 v[40:41], v[14:15], v[44:45]
	v_mul_f64_e32 v[44:45], v[10:11], v[44:45]
	v_fma_f64 v[32:33], v[52:53], v[34:35], -v[32:33]
	v_fmac_f64_e32 v[26:27], v[8:9], v[34:35]
	s_wait_loadcnt 0x0
	v_mul_f64_e32 v[8:9], v[18:19], v[48:49]
	v_mul_f64_e32 v[34:35], v[24:25], v[48:49]
	v_fmac_f64_e32 v[36:37], v[6:7], v[38:39]
	v_fma_f64 v[30:31], v[2:3], v[38:39], -v[30:31]
	v_fma_f64 v[10:11], v[10:11], v[42:43], -v[40:41]
	v_fmac_f64_e32 v[44:45], v[14:15], v[42:43]
	v_add_f64_e32 v[2:3], v[50:51], v[32:33]
	v_add_f64_e32 v[4:5], v[4:5], v[26:27]
	v_fma_f64 v[14:15], v[24:25], v[46:47], -v[8:9]
	v_fmac_f64_e32 v[34:35], v[18:19], v[46:47]
	v_add_f64_e32 v[8:9], v[12:13], v[36:37]
	v_add_f64_e32 v[6:7], v[54:55], v[30:31]
	;; [unrolled: 1-line block ×6, first 2 shown]
	s_clause 0x3
	global_store_b128 v1, v[2:5], s[22:23]
	global_store_b128 v1, v[6:9], s[22:23] offset:16
	global_store_b128 v1, v[10:13], s[22:23] offset:8192
	;; [unrolled: 1-line block ×3, first 2 shown]
.LBB139_2:
	s_and_not1_b32 vcc_lo, exec_lo, s0
	s_cbranch_vccnz .LBB139_23
; %bb.3:
	s_wait_xcnt 0x3
	v_mov_b64_e32 v[2:3], 0
	s_wait_xcnt 0x0
	v_mov_b64_e32 v[14:15], 0
	v_mov_b64_e32 v[16:17], 0
	;; [unrolled: 1-line block ×6, first 2 shown]
	v_cmp_gt_i32_e32 vcc_lo, s20, v0
	v_dual_mov_b32 v50, v0 :: v_dual_bitop2_b32 v1, s2, v0 bitop3:0x54
	v_or_b32_e32 v58, 0x100, v0
	s_and_saveexec_b32 s0, vcc_lo
	s_cbranch_execz .LBB139_5
; %bb.4:
	s_clause 0x2
	global_load_b128 v[10:13], v1, s[14:15] scale_offset
	global_load_b128 v[18:21], v1, s[16:17] scale_offset
	;; [unrolled: 1-line block ×3, first 2 shown]
	v_or_b32_e32 v50, 0x100, v0
.LBB139_5:
	s_wait_xcnt 0x0
	s_or_b32 exec_lo, exec_lo, s0
	v_mov_b64_e32 v[4:5], 0
	v_mov_b64_e32 v[26:27], 0
	;; [unrolled: 1-line block ×5, first 2 shown]
	s_mov_b32 s1, exec_lo
	v_cmpx_gt_i32_e64 s20, v50
	s_cbranch_execz .LBB139_7
; %bb.6:
	v_add_nc_u32_e32 v6, s2, v50
	v_add_nc_u32_e32 v50, 0x100, v50
	s_clause 0x2
	global_load_b128 v[22:25], v6, s[14:15] scale_offset
	global_load_b128 v[26:29], v6, s[16:17] scale_offset
	;; [unrolled: 1-line block ×3, first 2 shown]
.LBB139_7:
	s_wait_xcnt 0x0
	s_or_b32 exec_lo, exec_lo, s1
	v_mov_b64_e32 v[6:7], 0
	v_mov_b64_e32 v[34:35], 0
	;; [unrolled: 1-line block ×7, first 2 shown]
	s_mov_b32 s1, exec_lo
	v_cmpx_gt_i32_e64 s20, v50
	s_cbranch_execz .LBB139_9
; %bb.8:
	v_add_nc_u32_e32 v8, s2, v50
	v_add_nc_u32_e32 v50, 0x100, v50
	s_clause 0x2
	global_load_b128 v[30:33], v8, s[14:15] scale_offset
	global_load_b128 v[38:41], v8, s[16:17] scale_offset
	;; [unrolled: 1-line block ×3, first 2 shown]
.LBB139_9:
	s_wait_xcnt 0x0
	s_or_b32 exec_lo, exec_lo, s1
	v_mov_b64_e32 v[8:9], 0
	v_mov_b64_e32 v[46:47], 0
	v_mov_b64_e32 v[48:49], 0
	v_mov_b64_e32 v[42:43], 0
	v_mov_b64_e32 v[44:45], 0
	s_mov_b32 s1, exec_lo
	v_cmpx_gt_i32_e64 s20, v50
	s_cbranch_execz .LBB139_11
; %bb.10:
	v_add_nc_u32_e32 v50, s2, v50
	s_clause 0x2
	global_load_b128 v[42:45], v50, s[14:15] scale_offset
	global_load_b128 v[46:49], v50, s[16:17] scale_offset
	global_load_b128 v[6:9], v50, s[18:19] scale_offset
.LBB139_11:
	s_wait_xcnt 0x0
	s_or_b32 exec_lo, exec_lo, s1
	v_mov_b64_e32 v[52:53], 0
	v_mov_b64_e32 v[56:57], 0
	;; [unrolled: 1-line block ×3, first 2 shown]
	s_and_saveexec_b32 s0, vcc_lo
	s_cbranch_execz .LBB139_13
; %bb.12:
	s_wait_loadcnt 0x1
	v_mul_f64_e32 v[50:51], s[8:9], v[20:21]
	v_mul_f64_e32 v[20:21], s[10:11], v[20:21]
	;; [unrolled: 1-line block ×4, first 2 shown]
	s_delay_alu instid0(VALU_DEP_4) | instskip(NEXT) | instid1(VALU_DEP_4)
	v_fmac_f64_e32 v[50:51], s[10:11], v[18:19]
	v_fma_f64 v[18:19], s[8:9], v[18:19], -v[20:21]
	s_delay_alu instid0(VALU_DEP_4) | instskip(NEXT) | instid1(VALU_DEP_4)
	v_fma_f64 v[54:55], s[4:5], v[10:11], -v[54:55]
	v_fmac_f64_e32 v[12:13], s[6:7], v[10:11]
	s_wait_loadcnt 0x0
	s_delay_alu instid0(VALU_DEP_4) | instskip(SKIP_1) | instid1(VALU_DEP_2)
	v_mul_f64_e32 v[20:21], v[16:17], v[50:51]
	v_mul_f64_e32 v[50:51], v[14:15], v[50:51]
	v_fma_f64 v[10:11], v[14:15], v[18:19], -v[20:21]
	s_delay_alu instid0(VALU_DEP_2) | instskip(NEXT) | instid1(VALU_DEP_2)
	v_fmac_f64_e32 v[50:51], v[16:17], v[18:19]
	v_add_f64_e32 v[54:55], v[54:55], v[10:11]
	s_delay_alu instid0(VALU_DEP_2)
	v_add_f64_e32 v[56:57], v[12:13], v[50:51]
.LBB139_13:
	s_or_b32 exec_lo, exec_lo, s0
	v_mov_b64_e32 v[50:51], 0
	s_mov_b32 s1, exec_lo
	v_cmpx_gt_i32_e64 s20, v58
	s_cbranch_execz .LBB139_15
; %bb.14:
	s_wait_loadcnt 0x1
	v_mul_f64_e32 v[10:11], s[8:9], v[28:29]
	v_mul_f64_e32 v[12:13], s[10:11], v[28:29]
	s_wait_loadcnt 0x0
	v_mul_f64_e32 v[14:15], s[6:7], v[24:25]
	v_mul_f64_e32 v[16:17], s[4:5], v[24:25]
	s_delay_alu instid0(VALU_DEP_4) | instskip(NEXT) | instid1(VALU_DEP_4)
	v_fmac_f64_e32 v[10:11], s[10:11], v[26:27]
	v_fma_f64 v[12:13], s[8:9], v[26:27], -v[12:13]
	s_delay_alu instid0(VALU_DEP_4) | instskip(NEXT) | instid1(VALU_DEP_4)
	v_fma_f64 v[14:15], s[4:5], v[22:23], -v[14:15]
	v_fmac_f64_e32 v[16:17], s[6:7], v[22:23]
	s_delay_alu instid0(VALU_DEP_4) | instskip(SKIP_1) | instid1(VALU_DEP_2)
	v_mul_f64_e32 v[18:19], v[4:5], v[10:11]
	v_mul_f64_e32 v[10:11], v[2:3], v[10:11]
	v_fma_f64 v[2:3], v[2:3], v[12:13], -v[18:19]
	s_delay_alu instid0(VALU_DEP_2) | instskip(NEXT) | instid1(VALU_DEP_2)
	v_fmac_f64_e32 v[10:11], v[4:5], v[12:13]
	v_add_f64_e32 v[50:51], v[14:15], v[2:3]
	s_delay_alu instid0(VALU_DEP_2)
	v_add_f64_e32 v[52:53], v[16:17], v[10:11]
.LBB139_15:
	s_or_b32 exec_lo, exec_lo, s1
	s_wait_loadcnt 0x0
	v_mov_b64_e32 v[4:5], 0
	v_mov_b64_e32 v[12:13], 0
	;; [unrolled: 1-line block ×3, first 2 shown]
	v_or_b32_e32 v2, 0x200, v0
	s_mov_b32 s1, exec_lo
	s_delay_alu instid0(VALU_DEP_1)
	v_cmpx_gt_i32_e64 s20, v2
	s_cbranch_execz .LBB139_17
; %bb.16:
	v_mul_f64_e32 v[2:3], s[8:9], v[40:41]
	v_mul_f64_e32 v[10:11], s[10:11], v[40:41]
	;; [unrolled: 1-line block ×4, first 2 shown]
	s_delay_alu instid0(VALU_DEP_4) | instskip(NEXT) | instid1(VALU_DEP_4)
	v_fmac_f64_e32 v[2:3], s[10:11], v[38:39]
	v_fma_f64 v[10:11], s[8:9], v[38:39], -v[10:11]
	s_delay_alu instid0(VALU_DEP_4) | instskip(NEXT) | instid1(VALU_DEP_4)
	v_fma_f64 v[12:13], s[4:5], v[30:31], -v[12:13]
	v_fmac_f64_e32 v[14:15], s[6:7], v[30:31]
	s_delay_alu instid0(VALU_DEP_4) | instskip(SKIP_1) | instid1(VALU_DEP_2)
	v_mul_f64_e32 v[16:17], v[36:37], v[2:3]
	v_mul_f64_e32 v[2:3], v[34:35], v[2:3]
	v_fma_f64 v[16:17], v[34:35], v[10:11], -v[16:17]
	s_delay_alu instid0(VALU_DEP_2) | instskip(NEXT) | instid1(VALU_DEP_2)
	v_fmac_f64_e32 v[2:3], v[36:37], v[10:11]
	v_add_f64_e32 v[10:11], v[12:13], v[16:17]
	s_delay_alu instid0(VALU_DEP_2)
	v_add_f64_e32 v[12:13], v[14:15], v[2:3]
.LBB139_17:
	s_or_b32 exec_lo, exec_lo, s1
	v_mov_b64_e32 v[2:3], 0
	v_or_b32_e32 v14, 0x300, v0
	s_mov_b32 s1, exec_lo
	s_delay_alu instid0(VALU_DEP_1)
	v_cmpx_gt_i32_e64 s20, v14
	s_cbranch_execnz .LBB139_24
; %bb.18:
	s_or_b32 exec_lo, exec_lo, s1
	s_and_saveexec_b32 s0, vcc_lo
	s_delay_alu instid0(SALU_CYCLE_1)
	s_xor_b32 s0, exec_lo, s0
	s_cbranch_execnz .LBB139_25
.LBB139_19:
	s_or_b32 exec_lo, exec_lo, s0
	s_delay_alu instid0(SALU_CYCLE_1)
	s_mov_b32 s0, exec_lo
	v_cmpx_gt_i32_e64 s20, v0
	s_cbranch_execnz .LBB139_26
.LBB139_20:
	s_or_b32 exec_lo, exec_lo, s0
	s_delay_alu instid0(SALU_CYCLE_1)
	s_mov_b32 s0, exec_lo
	v_cmpx_gt_i32_e64 s20, v0
	s_cbranch_execnz .LBB139_27
.LBB139_21:
	s_or_b32 exec_lo, exec_lo, s0
	s_delay_alu instid0(SALU_CYCLE_1)
	s_mov_b32 s0, exec_lo
	v_cmpx_gt_i32_e64 s20, v0
	s_cbranch_execz .LBB139_23
.LBB139_22:
	v_add_nc_u32_e32 v0, s2, v0
	global_store_b128 v0, v[2:5], s[12:13] scale_offset
.LBB139_23:
	s_endpgm
.LBB139_24:
	v_mul_f64_e32 v[2:3], s[8:9], v[48:49]
	v_mul_f64_e32 v[4:5], s[10:11], v[48:49]
	;; [unrolled: 1-line block ×4, first 2 shown]
	s_delay_alu instid0(VALU_DEP_4) | instskip(NEXT) | instid1(VALU_DEP_4)
	v_fmac_f64_e32 v[2:3], s[10:11], v[46:47]
	v_fma_f64 v[4:5], s[8:9], v[46:47], -v[4:5]
	s_delay_alu instid0(VALU_DEP_3) | instskip(NEXT) | instid1(VALU_DEP_3)
	v_fmac_f64_e32 v[16:17], s[6:7], v[42:43]
	v_mul_f64_e32 v[18:19], v[8:9], v[2:3]
	v_mul_f64_e32 v[20:21], v[6:7], v[2:3]
	v_fma_f64 v[2:3], s[4:5], v[42:43], -v[14:15]
	s_delay_alu instid0(VALU_DEP_3) | instskip(NEXT) | instid1(VALU_DEP_3)
	v_fma_f64 v[6:7], v[6:7], v[4:5], -v[18:19]
	v_fmac_f64_e32 v[20:21], v[8:9], v[4:5]
	s_delay_alu instid0(VALU_DEP_2) | instskip(NEXT) | instid1(VALU_DEP_2)
	v_add_f64_e32 v[2:3], v[2:3], v[6:7]
	v_add_f64_e32 v[4:5], v[16:17], v[20:21]
	s_or_b32 exec_lo, exec_lo, s1
	s_and_saveexec_b32 s0, vcc_lo
	s_delay_alu instid0(SALU_CYCLE_1)
	s_xor_b32 s0, exec_lo, s0
	s_cbranch_execz .LBB139_19
.LBB139_25:
	v_mov_b32_e32 v0, v58
	global_store_b128 v1, v[54:57], s[12:13] scale_offset
	s_wait_xcnt 0x0
	s_or_b32 exec_lo, exec_lo, s0
	s_delay_alu instid0(SALU_CYCLE_1)
	s_mov_b32 s0, exec_lo
	v_cmpx_gt_i32_e64 s20, v0
	s_cbranch_execz .LBB139_20
.LBB139_26:
	v_add_nc_u32_e32 v1, s2, v0
	v_add_nc_u32_e32 v0, 0x100, v0
	global_store_b128 v1, v[50:53], s[12:13] scale_offset
	s_wait_xcnt 0x0
	s_or_b32 exec_lo, exec_lo, s0
	s_delay_alu instid0(SALU_CYCLE_1)
	s_mov_b32 s0, exec_lo
	v_cmpx_gt_i32_e64 s20, v0
	s_cbranch_execz .LBB139_21
.LBB139_27:
	v_add_nc_u32_e32 v1, s2, v0
	v_add_nc_u32_e32 v0, 0x100, v0
	global_store_b128 v1, v[10:13], s[12:13] scale_offset
	s_wait_xcnt 0x0
	s_or_b32 exec_lo, exec_lo, s0
	s_delay_alu instid0(SALU_CYCLE_1)
	s_mov_b32 s0, exec_lo
	v_cmpx_gt_i32_e64 s20, v0
	s_cbranch_execnz .LBB139_22
	s_branch .LBB139_23
	.section	.rodata,"a",@progbits
	.p2align	6, 0x0
	.amdhsa_kernel _ZN2at6native29vectorized_elementwise_kernelILi2EZZZNS0_12_GLOBAL__N_116addr_kernel_cudaERNS_14TensorIteratorERKN3c106ScalarES8_ENKUlvE_clEvENKUlvE6_clEvEUlNS5_7complexIdEESC_SC_E0_St5arrayIPcLm4EEEEviT0_T1_
		.amdhsa_group_segment_fixed_size 0
		.amdhsa_private_segment_fixed_size 0
		.amdhsa_kernarg_size 80
		.amdhsa_user_sgpr_count 2
		.amdhsa_user_sgpr_dispatch_ptr 0
		.amdhsa_user_sgpr_queue_ptr 0
		.amdhsa_user_sgpr_kernarg_segment_ptr 1
		.amdhsa_user_sgpr_dispatch_id 0
		.amdhsa_user_sgpr_kernarg_preload_length 0
		.amdhsa_user_sgpr_kernarg_preload_offset 0
		.amdhsa_user_sgpr_private_segment_size 0
		.amdhsa_wavefront_size32 1
		.amdhsa_uses_dynamic_stack 0
		.amdhsa_enable_private_segment 0
		.amdhsa_system_sgpr_workgroup_id_x 1
		.amdhsa_system_sgpr_workgroup_id_y 0
		.amdhsa_system_sgpr_workgroup_id_z 0
		.amdhsa_system_sgpr_workgroup_info 0
		.amdhsa_system_vgpr_workitem_id 0
		.amdhsa_next_free_vgpr 59
		.amdhsa_next_free_sgpr 26
		.amdhsa_named_barrier_count 0
		.amdhsa_reserve_vcc 1
		.amdhsa_float_round_mode_32 0
		.amdhsa_float_round_mode_16_64 0
		.amdhsa_float_denorm_mode_32 3
		.amdhsa_float_denorm_mode_16_64 3
		.amdhsa_fp16_overflow 0
		.amdhsa_memory_ordered 1
		.amdhsa_forward_progress 1
		.amdhsa_inst_pref_size 15
		.amdhsa_round_robin_scheduling 0
		.amdhsa_exception_fp_ieee_invalid_op 0
		.amdhsa_exception_fp_denorm_src 0
		.amdhsa_exception_fp_ieee_div_zero 0
		.amdhsa_exception_fp_ieee_overflow 0
		.amdhsa_exception_fp_ieee_underflow 0
		.amdhsa_exception_fp_ieee_inexact 0
		.amdhsa_exception_int_div_zero 0
	.end_amdhsa_kernel
	.section	.text._ZN2at6native29vectorized_elementwise_kernelILi2EZZZNS0_12_GLOBAL__N_116addr_kernel_cudaERNS_14TensorIteratorERKN3c106ScalarES8_ENKUlvE_clEvENKUlvE6_clEvEUlNS5_7complexIdEESC_SC_E0_St5arrayIPcLm4EEEEviT0_T1_,"axG",@progbits,_ZN2at6native29vectorized_elementwise_kernelILi2EZZZNS0_12_GLOBAL__N_116addr_kernel_cudaERNS_14TensorIteratorERKN3c106ScalarES8_ENKUlvE_clEvENKUlvE6_clEvEUlNS5_7complexIdEESC_SC_E0_St5arrayIPcLm4EEEEviT0_T1_,comdat
.Lfunc_end139:
	.size	_ZN2at6native29vectorized_elementwise_kernelILi2EZZZNS0_12_GLOBAL__N_116addr_kernel_cudaERNS_14TensorIteratorERKN3c106ScalarES8_ENKUlvE_clEvENKUlvE6_clEvEUlNS5_7complexIdEESC_SC_E0_St5arrayIPcLm4EEEEviT0_T1_, .Lfunc_end139-_ZN2at6native29vectorized_elementwise_kernelILi2EZZZNS0_12_GLOBAL__N_116addr_kernel_cudaERNS_14TensorIteratorERKN3c106ScalarES8_ENKUlvE_clEvENKUlvE6_clEvEUlNS5_7complexIdEESC_SC_E0_St5arrayIPcLm4EEEEviT0_T1_
                                        ; -- End function
	.set _ZN2at6native29vectorized_elementwise_kernelILi2EZZZNS0_12_GLOBAL__N_116addr_kernel_cudaERNS_14TensorIteratorERKN3c106ScalarES8_ENKUlvE_clEvENKUlvE6_clEvEUlNS5_7complexIdEESC_SC_E0_St5arrayIPcLm4EEEEviT0_T1_.num_vgpr, 59
	.set _ZN2at6native29vectorized_elementwise_kernelILi2EZZZNS0_12_GLOBAL__N_116addr_kernel_cudaERNS_14TensorIteratorERKN3c106ScalarES8_ENKUlvE_clEvENKUlvE6_clEvEUlNS5_7complexIdEESC_SC_E0_St5arrayIPcLm4EEEEviT0_T1_.num_agpr, 0
	.set _ZN2at6native29vectorized_elementwise_kernelILi2EZZZNS0_12_GLOBAL__N_116addr_kernel_cudaERNS_14TensorIteratorERKN3c106ScalarES8_ENKUlvE_clEvENKUlvE6_clEvEUlNS5_7complexIdEESC_SC_E0_St5arrayIPcLm4EEEEviT0_T1_.numbered_sgpr, 26
	.set _ZN2at6native29vectorized_elementwise_kernelILi2EZZZNS0_12_GLOBAL__N_116addr_kernel_cudaERNS_14TensorIteratorERKN3c106ScalarES8_ENKUlvE_clEvENKUlvE6_clEvEUlNS5_7complexIdEESC_SC_E0_St5arrayIPcLm4EEEEviT0_T1_.num_named_barrier, 0
	.set _ZN2at6native29vectorized_elementwise_kernelILi2EZZZNS0_12_GLOBAL__N_116addr_kernel_cudaERNS_14TensorIteratorERKN3c106ScalarES8_ENKUlvE_clEvENKUlvE6_clEvEUlNS5_7complexIdEESC_SC_E0_St5arrayIPcLm4EEEEviT0_T1_.private_seg_size, 0
	.set _ZN2at6native29vectorized_elementwise_kernelILi2EZZZNS0_12_GLOBAL__N_116addr_kernel_cudaERNS_14TensorIteratorERKN3c106ScalarES8_ENKUlvE_clEvENKUlvE6_clEvEUlNS5_7complexIdEESC_SC_E0_St5arrayIPcLm4EEEEviT0_T1_.uses_vcc, 1
	.set _ZN2at6native29vectorized_elementwise_kernelILi2EZZZNS0_12_GLOBAL__N_116addr_kernel_cudaERNS_14TensorIteratorERKN3c106ScalarES8_ENKUlvE_clEvENKUlvE6_clEvEUlNS5_7complexIdEESC_SC_E0_St5arrayIPcLm4EEEEviT0_T1_.uses_flat_scratch, 0
	.set _ZN2at6native29vectorized_elementwise_kernelILi2EZZZNS0_12_GLOBAL__N_116addr_kernel_cudaERNS_14TensorIteratorERKN3c106ScalarES8_ENKUlvE_clEvENKUlvE6_clEvEUlNS5_7complexIdEESC_SC_E0_St5arrayIPcLm4EEEEviT0_T1_.has_dyn_sized_stack, 0
	.set _ZN2at6native29vectorized_elementwise_kernelILi2EZZZNS0_12_GLOBAL__N_116addr_kernel_cudaERNS_14TensorIteratorERKN3c106ScalarES8_ENKUlvE_clEvENKUlvE6_clEvEUlNS5_7complexIdEESC_SC_E0_St5arrayIPcLm4EEEEviT0_T1_.has_recursion, 0
	.set _ZN2at6native29vectorized_elementwise_kernelILi2EZZZNS0_12_GLOBAL__N_116addr_kernel_cudaERNS_14TensorIteratorERKN3c106ScalarES8_ENKUlvE_clEvENKUlvE6_clEvEUlNS5_7complexIdEESC_SC_E0_St5arrayIPcLm4EEEEviT0_T1_.has_indirect_call, 0
	.section	.AMDGPU.csdata,"",@progbits
; Kernel info:
; codeLenInByte = 1864
; TotalNumSgprs: 28
; NumVgprs: 59
; ScratchSize: 0
; MemoryBound: 1
; FloatMode: 240
; IeeeMode: 1
; LDSByteSize: 0 bytes/workgroup (compile time only)
; SGPRBlocks: 0
; VGPRBlocks: 3
; NumSGPRsForWavesPerEU: 28
; NumVGPRsForWavesPerEU: 59
; NamedBarCnt: 0
; Occupancy: 16
; WaveLimiterHint : 1
; COMPUTE_PGM_RSRC2:SCRATCH_EN: 0
; COMPUTE_PGM_RSRC2:USER_SGPR: 2
; COMPUTE_PGM_RSRC2:TRAP_HANDLER: 0
; COMPUTE_PGM_RSRC2:TGID_X_EN: 1
; COMPUTE_PGM_RSRC2:TGID_Y_EN: 0
; COMPUTE_PGM_RSRC2:TGID_Z_EN: 0
; COMPUTE_PGM_RSRC2:TIDIG_COMP_CNT: 0
	.section	.text._ZN2at6native27unrolled_elementwise_kernelIZZZNS0_12_GLOBAL__N_116addr_kernel_cudaERNS_14TensorIteratorERKN3c106ScalarES8_ENKUlvE_clEvENKUlvE6_clEvEUlNS5_7complexIdEESC_SC_E0_St5arrayIPcLm4EELi4E23TrivialOffsetCalculatorILi3EjESH_ILi1EjENS0_6memory15LoadWithoutCastENSK_16StoreWithoutCastEEEviT_T0_T2_T3_T4_T5_,"axG",@progbits,_ZN2at6native27unrolled_elementwise_kernelIZZZNS0_12_GLOBAL__N_116addr_kernel_cudaERNS_14TensorIteratorERKN3c106ScalarES8_ENKUlvE_clEvENKUlvE6_clEvEUlNS5_7complexIdEESC_SC_E0_St5arrayIPcLm4EELi4E23TrivialOffsetCalculatorILi3EjESH_ILi1EjENS0_6memory15LoadWithoutCastENSK_16StoreWithoutCastEEEviT_T0_T2_T3_T4_T5_,comdat
	.globl	_ZN2at6native27unrolled_elementwise_kernelIZZZNS0_12_GLOBAL__N_116addr_kernel_cudaERNS_14TensorIteratorERKN3c106ScalarES8_ENKUlvE_clEvENKUlvE6_clEvEUlNS5_7complexIdEESC_SC_E0_St5arrayIPcLm4EELi4E23TrivialOffsetCalculatorILi3EjESH_ILi1EjENS0_6memory15LoadWithoutCastENSK_16StoreWithoutCastEEEviT_T0_T2_T3_T4_T5_ ; -- Begin function _ZN2at6native27unrolled_elementwise_kernelIZZZNS0_12_GLOBAL__N_116addr_kernel_cudaERNS_14TensorIteratorERKN3c106ScalarES8_ENKUlvE_clEvENKUlvE6_clEvEUlNS5_7complexIdEESC_SC_E0_St5arrayIPcLm4EELi4E23TrivialOffsetCalculatorILi3EjESH_ILi1EjENS0_6memory15LoadWithoutCastENSK_16StoreWithoutCastEEEviT_T0_T2_T3_T4_T5_
	.p2align	8
	.type	_ZN2at6native27unrolled_elementwise_kernelIZZZNS0_12_GLOBAL__N_116addr_kernel_cudaERNS_14TensorIteratorERKN3c106ScalarES8_ENKUlvE_clEvENKUlvE6_clEvEUlNS5_7complexIdEESC_SC_E0_St5arrayIPcLm4EELi4E23TrivialOffsetCalculatorILi3EjESH_ILi1EjENS0_6memory15LoadWithoutCastENSK_16StoreWithoutCastEEEviT_T0_T2_T3_T4_T5_,@function
_ZN2at6native27unrolled_elementwise_kernelIZZZNS0_12_GLOBAL__N_116addr_kernel_cudaERNS_14TensorIteratorERKN3c106ScalarES8_ENKUlvE_clEvENKUlvE6_clEvEUlNS5_7complexIdEESC_SC_E0_St5arrayIPcLm4EELi4E23TrivialOffsetCalculatorILi3EjESH_ILi1EjENS0_6memory15LoadWithoutCastENSK_16StoreWithoutCastEEEviT_T0_T2_T3_T4_T5_: ; @_ZN2at6native27unrolled_elementwise_kernelIZZZNS0_12_GLOBAL__N_116addr_kernel_cudaERNS_14TensorIteratorERKN3c106ScalarES8_ENKUlvE_clEvENKUlvE6_clEvEUlNS5_7complexIdEESC_SC_E0_St5arrayIPcLm4EELi4E23TrivialOffsetCalculatorILi3EjESH_ILi1EjENS0_6memory15LoadWithoutCastENSK_16StoreWithoutCastEEEviT_T0_T2_T3_T4_T5_
; %bb.0:
	s_load_b32 s2, s[0:1], 0x0
	s_bfe_u32 s20, ttmp6, 0x4000c
	s_load_b512 s[4:19], s[0:1], 0x10
	s_add_co_i32 s20, s20, 1
	s_and_b32 s3, ttmp6, 15
	s_wait_xcnt 0x0
	s_mul_i32 s0, ttmp9, s20
	s_getreg_b32 s21, hwreg(HW_REG_IB_STS2, 6, 4)
	s_add_co_i32 s3, s3, s0
	s_cmp_eq_u32 s21, 0
	v_mov_b64_e32 v[2:3], 0
	s_cselect_b32 s0, ttmp9, s3
	v_mov_b64_e32 v[14:15], 0
	s_lshl_b32 s1, s0, 10
	v_mov_b64_e32 v[16:17], 0
	v_mov_b64_e32 v[18:19], 0
	;; [unrolled: 1-line block ×5, first 2 shown]
	v_or_b32_e32 v1, 0x100, v0
	v_dual_mov_b32 v50, v0 :: v_dual_bitop2_b32 v58, s1, v0 bitop3:0x54
	s_wait_kmcnt 0x0
	s_sub_co_i32 s2, s2, s1
	s_delay_alu instid0(SALU_CYCLE_1)
	v_cmp_gt_i32_e32 vcc_lo, s2, v0
	s_and_saveexec_b32 s0, vcc_lo
	s_cbranch_execz .LBB140_2
; %bb.1:
	s_clause 0x2
	global_load_b128 v[10:13], v58, s[14:15] scale_offset
	global_load_b128 v[18:21], v58, s[16:17] scale_offset
	;; [unrolled: 1-line block ×3, first 2 shown]
	v_or_b32_e32 v50, 0x100, v0
.LBB140_2:
	s_wait_xcnt 0x0
	s_or_b32 exec_lo, exec_lo, s0
	v_mov_b64_e32 v[4:5], 0
	v_mov_b64_e32 v[26:27], 0
	;; [unrolled: 1-line block ×5, first 2 shown]
	s_mov_b32 s3, exec_lo
	v_cmpx_gt_i32_e64 s2, v50
	s_cbranch_execz .LBB140_4
; %bb.3:
	v_add_nc_u32_e32 v6, s1, v50
	v_add_nc_u32_e32 v50, 0x100, v50
	s_clause 0x2
	global_load_b128 v[22:25], v6, s[14:15] scale_offset
	global_load_b128 v[26:29], v6, s[16:17] scale_offset
	global_load_b128 v[2:5], v6, s[18:19] scale_offset
.LBB140_4:
	s_wait_xcnt 0x0
	s_or_b32 exec_lo, exec_lo, s3
	v_mov_b64_e32 v[6:7], 0
	v_mov_b64_e32 v[34:35], 0
	;; [unrolled: 1-line block ×7, first 2 shown]
	s_mov_b32 s3, exec_lo
	v_cmpx_gt_i32_e64 s2, v50
	s_cbranch_execz .LBB140_6
; %bb.5:
	v_add_nc_u32_e32 v8, s1, v50
	v_add_nc_u32_e32 v50, 0x100, v50
	s_clause 0x2
	global_load_b128 v[30:33], v8, s[14:15] scale_offset
	global_load_b128 v[38:41], v8, s[16:17] scale_offset
	;; [unrolled: 1-line block ×3, first 2 shown]
.LBB140_6:
	s_wait_xcnt 0x0
	s_or_b32 exec_lo, exec_lo, s3
	v_mov_b64_e32 v[8:9], 0
	v_mov_b64_e32 v[46:47], 0
	v_mov_b64_e32 v[48:49], 0
	v_mov_b64_e32 v[42:43], 0
	v_mov_b64_e32 v[44:45], 0
	s_mov_b32 s3, exec_lo
	v_cmpx_gt_i32_e64 s2, v50
	s_cbranch_execz .LBB140_8
; %bb.7:
	v_add_nc_u32_e32 v50, s1, v50
	s_clause 0x2
	global_load_b128 v[42:45], v50, s[14:15] scale_offset
	global_load_b128 v[46:49], v50, s[16:17] scale_offset
	;; [unrolled: 1-line block ×3, first 2 shown]
.LBB140_8:
	s_wait_xcnt 0x0
	s_or_b32 exec_lo, exec_lo, s3
	v_mov_b64_e32 v[52:53], 0
	v_mov_b64_e32 v[56:57], 0
	;; [unrolled: 1-line block ×3, first 2 shown]
	s_and_saveexec_b32 s0, vcc_lo
	s_cbranch_execz .LBB140_10
; %bb.9:
	s_wait_loadcnt 0x1
	v_mul_f64_e32 v[50:51], s[8:9], v[20:21]
	v_mul_f64_e32 v[20:21], s[10:11], v[20:21]
	;; [unrolled: 1-line block ×4, first 2 shown]
	s_delay_alu instid0(VALU_DEP_4) | instskip(NEXT) | instid1(VALU_DEP_4)
	v_fmac_f64_e32 v[50:51], s[10:11], v[18:19]
	v_fma_f64 v[18:19], s[8:9], v[18:19], -v[20:21]
	s_delay_alu instid0(VALU_DEP_4) | instskip(NEXT) | instid1(VALU_DEP_4)
	v_fma_f64 v[54:55], s[4:5], v[10:11], -v[54:55]
	v_fmac_f64_e32 v[12:13], s[6:7], v[10:11]
	s_wait_loadcnt 0x0
	s_delay_alu instid0(VALU_DEP_4) | instskip(SKIP_1) | instid1(VALU_DEP_2)
	v_mul_f64_e32 v[20:21], v[16:17], v[50:51]
	v_mul_f64_e32 v[50:51], v[14:15], v[50:51]
	v_fma_f64 v[10:11], v[14:15], v[18:19], -v[20:21]
	s_delay_alu instid0(VALU_DEP_2) | instskip(NEXT) | instid1(VALU_DEP_2)
	v_fmac_f64_e32 v[50:51], v[16:17], v[18:19]
	v_add_f64_e32 v[54:55], v[54:55], v[10:11]
	s_delay_alu instid0(VALU_DEP_2)
	v_add_f64_e32 v[56:57], v[12:13], v[50:51]
.LBB140_10:
	s_or_b32 exec_lo, exec_lo, s0
	v_mov_b64_e32 v[50:51], 0
	s_mov_b32 s3, exec_lo
	v_cmpx_gt_i32_e64 s2, v1
	s_cbranch_execz .LBB140_12
; %bb.11:
	s_wait_loadcnt 0x1
	v_mul_f64_e32 v[10:11], s[8:9], v[28:29]
	v_mul_f64_e32 v[12:13], s[10:11], v[28:29]
	s_wait_loadcnt 0x0
	v_mul_f64_e32 v[14:15], s[6:7], v[24:25]
	v_mul_f64_e32 v[16:17], s[4:5], v[24:25]
	s_delay_alu instid0(VALU_DEP_4) | instskip(NEXT) | instid1(VALU_DEP_4)
	v_fmac_f64_e32 v[10:11], s[10:11], v[26:27]
	v_fma_f64 v[12:13], s[8:9], v[26:27], -v[12:13]
	s_delay_alu instid0(VALU_DEP_4) | instskip(NEXT) | instid1(VALU_DEP_4)
	v_fma_f64 v[14:15], s[4:5], v[22:23], -v[14:15]
	v_fmac_f64_e32 v[16:17], s[6:7], v[22:23]
	s_delay_alu instid0(VALU_DEP_4) | instskip(SKIP_1) | instid1(VALU_DEP_2)
	v_mul_f64_e32 v[18:19], v[4:5], v[10:11]
	v_mul_f64_e32 v[10:11], v[2:3], v[10:11]
	v_fma_f64 v[2:3], v[2:3], v[12:13], -v[18:19]
	s_delay_alu instid0(VALU_DEP_2) | instskip(NEXT) | instid1(VALU_DEP_2)
	v_fmac_f64_e32 v[10:11], v[4:5], v[12:13]
	v_add_f64_e32 v[50:51], v[14:15], v[2:3]
	s_delay_alu instid0(VALU_DEP_2)
	v_add_f64_e32 v[52:53], v[16:17], v[10:11]
.LBB140_12:
	s_or_b32 exec_lo, exec_lo, s3
	s_wait_loadcnt 0x0
	v_mov_b64_e32 v[4:5], 0
	v_mov_b64_e32 v[12:13], 0
	;; [unrolled: 1-line block ×3, first 2 shown]
	v_or_b32_e32 v2, 0x200, v0
	s_mov_b32 s3, exec_lo
	s_delay_alu instid0(VALU_DEP_1)
	v_cmpx_gt_i32_e64 s2, v2
	s_cbranch_execz .LBB140_14
; %bb.13:
	v_mul_f64_e32 v[2:3], s[8:9], v[40:41]
	v_mul_f64_e32 v[10:11], s[10:11], v[40:41]
	;; [unrolled: 1-line block ×4, first 2 shown]
	s_delay_alu instid0(VALU_DEP_4) | instskip(NEXT) | instid1(VALU_DEP_4)
	v_fmac_f64_e32 v[2:3], s[10:11], v[38:39]
	v_fma_f64 v[10:11], s[8:9], v[38:39], -v[10:11]
	s_delay_alu instid0(VALU_DEP_4) | instskip(NEXT) | instid1(VALU_DEP_4)
	v_fma_f64 v[12:13], s[4:5], v[30:31], -v[12:13]
	v_fmac_f64_e32 v[14:15], s[6:7], v[30:31]
	s_delay_alu instid0(VALU_DEP_4) | instskip(SKIP_1) | instid1(VALU_DEP_2)
	v_mul_f64_e32 v[16:17], v[36:37], v[2:3]
	v_mul_f64_e32 v[2:3], v[34:35], v[2:3]
	v_fma_f64 v[16:17], v[34:35], v[10:11], -v[16:17]
	s_delay_alu instid0(VALU_DEP_2) | instskip(NEXT) | instid1(VALU_DEP_2)
	v_fmac_f64_e32 v[2:3], v[36:37], v[10:11]
	v_add_f64_e32 v[10:11], v[12:13], v[16:17]
	s_delay_alu instid0(VALU_DEP_2)
	v_add_f64_e32 v[12:13], v[14:15], v[2:3]
.LBB140_14:
	s_or_b32 exec_lo, exec_lo, s3
	v_mov_b64_e32 v[2:3], 0
	v_or_b32_e32 v14, 0x300, v0
	s_mov_b32 s3, exec_lo
	s_delay_alu instid0(VALU_DEP_1)
	v_cmpx_gt_i32_e64 s2, v14
	s_cbranch_execnz .LBB140_20
; %bb.15:
	s_or_b32 exec_lo, exec_lo, s3
	s_and_saveexec_b32 s0, vcc_lo
	s_delay_alu instid0(SALU_CYCLE_1)
	s_xor_b32 s0, exec_lo, s0
	s_cbranch_execnz .LBB140_21
.LBB140_16:
	s_or_b32 exec_lo, exec_lo, s0
	s_delay_alu instid0(SALU_CYCLE_1)
	s_mov_b32 s0, exec_lo
	v_cmpx_gt_i32_e64 s2, v0
	s_cbranch_execnz .LBB140_22
.LBB140_17:
	s_or_b32 exec_lo, exec_lo, s0
	s_delay_alu instid0(SALU_CYCLE_1)
	s_mov_b32 s0, exec_lo
	v_cmpx_gt_i32_e64 s2, v0
	s_cbranch_execnz .LBB140_23
.LBB140_18:
	s_or_b32 exec_lo, exec_lo, s0
	s_delay_alu instid0(SALU_CYCLE_1)
	s_mov_b32 s0, exec_lo
	v_cmpx_gt_i32_e64 s2, v0
	s_cbranch_execnz .LBB140_24
.LBB140_19:
	s_endpgm
.LBB140_20:
	v_mul_f64_e32 v[2:3], s[8:9], v[48:49]
	v_mul_f64_e32 v[4:5], s[10:11], v[48:49]
	;; [unrolled: 1-line block ×4, first 2 shown]
	s_delay_alu instid0(VALU_DEP_4) | instskip(NEXT) | instid1(VALU_DEP_4)
	v_fmac_f64_e32 v[2:3], s[10:11], v[46:47]
	v_fma_f64 v[4:5], s[8:9], v[46:47], -v[4:5]
	s_delay_alu instid0(VALU_DEP_3) | instskip(NEXT) | instid1(VALU_DEP_3)
	v_fmac_f64_e32 v[16:17], s[6:7], v[42:43]
	v_mul_f64_e32 v[18:19], v[8:9], v[2:3]
	v_mul_f64_e32 v[20:21], v[6:7], v[2:3]
	v_fma_f64 v[2:3], s[4:5], v[42:43], -v[14:15]
	s_delay_alu instid0(VALU_DEP_3) | instskip(NEXT) | instid1(VALU_DEP_3)
	v_fma_f64 v[6:7], v[6:7], v[4:5], -v[18:19]
	v_fmac_f64_e32 v[20:21], v[8:9], v[4:5]
	s_delay_alu instid0(VALU_DEP_2) | instskip(NEXT) | instid1(VALU_DEP_2)
	v_add_f64_e32 v[2:3], v[2:3], v[6:7]
	v_add_f64_e32 v[4:5], v[16:17], v[20:21]
	s_or_b32 exec_lo, exec_lo, s3
	s_and_saveexec_b32 s0, vcc_lo
	s_delay_alu instid0(SALU_CYCLE_1)
	s_xor_b32 s0, exec_lo, s0
	s_cbranch_execz .LBB140_16
.LBB140_21:
	v_mov_b32_e32 v0, v1
	global_store_b128 v58, v[54:57], s[12:13] scale_offset
	s_wait_xcnt 0x0
	s_or_b32 exec_lo, exec_lo, s0
	s_delay_alu instid0(SALU_CYCLE_1)
	s_mov_b32 s0, exec_lo
	v_cmpx_gt_i32_e64 s2, v0
	s_cbranch_execz .LBB140_17
.LBB140_22:
	v_add_nc_u32_e32 v1, 0x100, v0
	s_delay_alu instid0(VALU_DEP_1) | instskip(SKIP_3) | instid1(SALU_CYCLE_1)
	v_dual_add_nc_u32 v6, s1, v0 :: v_dual_mov_b32 v0, v1
	global_store_b128 v6, v[50:53], s[12:13] scale_offset
	s_wait_xcnt 0x0
	s_or_b32 exec_lo, exec_lo, s0
	s_mov_b32 s0, exec_lo
	v_cmpx_gt_i32_e64 s2, v0
	s_cbranch_execz .LBB140_18
.LBB140_23:
	v_add_nc_u32_e32 v1, 0x100, v0
	s_delay_alu instid0(VALU_DEP_1) | instskip(SKIP_3) | instid1(SALU_CYCLE_1)
	v_dual_add_nc_u32 v6, s1, v0 :: v_dual_mov_b32 v0, v1
	global_store_b128 v6, v[10:13], s[12:13] scale_offset
	s_wait_xcnt 0x0
	s_or_b32 exec_lo, exec_lo, s0
	s_mov_b32 s0, exec_lo
	v_cmpx_gt_i32_e64 s2, v0
	s_cbranch_execz .LBB140_19
.LBB140_24:
	v_add_nc_u32_e32 v0, s1, v0
	global_store_b128 v0, v[2:5], s[12:13] scale_offset
	s_endpgm
	.section	.rodata,"a",@progbits
	.p2align	6, 0x0
	.amdhsa_kernel _ZN2at6native27unrolled_elementwise_kernelIZZZNS0_12_GLOBAL__N_116addr_kernel_cudaERNS_14TensorIteratorERKN3c106ScalarES8_ENKUlvE_clEvENKUlvE6_clEvEUlNS5_7complexIdEESC_SC_E0_St5arrayIPcLm4EELi4E23TrivialOffsetCalculatorILi3EjESH_ILi1EjENS0_6memory15LoadWithoutCastENSK_16StoreWithoutCastEEEviT_T0_T2_T3_T4_T5_
		.amdhsa_group_segment_fixed_size 0
		.amdhsa_private_segment_fixed_size 0
		.amdhsa_kernarg_size 84
		.amdhsa_user_sgpr_count 2
		.amdhsa_user_sgpr_dispatch_ptr 0
		.amdhsa_user_sgpr_queue_ptr 0
		.amdhsa_user_sgpr_kernarg_segment_ptr 1
		.amdhsa_user_sgpr_dispatch_id 0
		.amdhsa_user_sgpr_kernarg_preload_length 0
		.amdhsa_user_sgpr_kernarg_preload_offset 0
		.amdhsa_user_sgpr_private_segment_size 0
		.amdhsa_wavefront_size32 1
		.amdhsa_uses_dynamic_stack 0
		.amdhsa_enable_private_segment 0
		.amdhsa_system_sgpr_workgroup_id_x 1
		.amdhsa_system_sgpr_workgroup_id_y 0
		.amdhsa_system_sgpr_workgroup_id_z 0
		.amdhsa_system_sgpr_workgroup_info 0
		.amdhsa_system_vgpr_workitem_id 0
		.amdhsa_next_free_vgpr 59
		.amdhsa_next_free_sgpr 22
		.amdhsa_named_barrier_count 0
		.amdhsa_reserve_vcc 1
		.amdhsa_float_round_mode_32 0
		.amdhsa_float_round_mode_16_64 0
		.amdhsa_float_denorm_mode_32 3
		.amdhsa_float_denorm_mode_16_64 3
		.amdhsa_fp16_overflow 0
		.amdhsa_memory_ordered 1
		.amdhsa_forward_progress 1
		.amdhsa_inst_pref_size 10
		.amdhsa_round_robin_scheduling 0
		.amdhsa_exception_fp_ieee_invalid_op 0
		.amdhsa_exception_fp_denorm_src 0
		.amdhsa_exception_fp_ieee_div_zero 0
		.amdhsa_exception_fp_ieee_overflow 0
		.amdhsa_exception_fp_ieee_underflow 0
		.amdhsa_exception_fp_ieee_inexact 0
		.amdhsa_exception_int_div_zero 0
	.end_amdhsa_kernel
	.section	.text._ZN2at6native27unrolled_elementwise_kernelIZZZNS0_12_GLOBAL__N_116addr_kernel_cudaERNS_14TensorIteratorERKN3c106ScalarES8_ENKUlvE_clEvENKUlvE6_clEvEUlNS5_7complexIdEESC_SC_E0_St5arrayIPcLm4EELi4E23TrivialOffsetCalculatorILi3EjESH_ILi1EjENS0_6memory15LoadWithoutCastENSK_16StoreWithoutCastEEEviT_T0_T2_T3_T4_T5_,"axG",@progbits,_ZN2at6native27unrolled_elementwise_kernelIZZZNS0_12_GLOBAL__N_116addr_kernel_cudaERNS_14TensorIteratorERKN3c106ScalarES8_ENKUlvE_clEvENKUlvE6_clEvEUlNS5_7complexIdEESC_SC_E0_St5arrayIPcLm4EELi4E23TrivialOffsetCalculatorILi3EjESH_ILi1EjENS0_6memory15LoadWithoutCastENSK_16StoreWithoutCastEEEviT_T0_T2_T3_T4_T5_,comdat
.Lfunc_end140:
	.size	_ZN2at6native27unrolled_elementwise_kernelIZZZNS0_12_GLOBAL__N_116addr_kernel_cudaERNS_14TensorIteratorERKN3c106ScalarES8_ENKUlvE_clEvENKUlvE6_clEvEUlNS5_7complexIdEESC_SC_E0_St5arrayIPcLm4EELi4E23TrivialOffsetCalculatorILi3EjESH_ILi1EjENS0_6memory15LoadWithoutCastENSK_16StoreWithoutCastEEEviT_T0_T2_T3_T4_T5_, .Lfunc_end140-_ZN2at6native27unrolled_elementwise_kernelIZZZNS0_12_GLOBAL__N_116addr_kernel_cudaERNS_14TensorIteratorERKN3c106ScalarES8_ENKUlvE_clEvENKUlvE6_clEvEUlNS5_7complexIdEESC_SC_E0_St5arrayIPcLm4EELi4E23TrivialOffsetCalculatorILi3EjESH_ILi1EjENS0_6memory15LoadWithoutCastENSK_16StoreWithoutCastEEEviT_T0_T2_T3_T4_T5_
                                        ; -- End function
	.set _ZN2at6native27unrolled_elementwise_kernelIZZZNS0_12_GLOBAL__N_116addr_kernel_cudaERNS_14TensorIteratorERKN3c106ScalarES8_ENKUlvE_clEvENKUlvE6_clEvEUlNS5_7complexIdEESC_SC_E0_St5arrayIPcLm4EELi4E23TrivialOffsetCalculatorILi3EjESH_ILi1EjENS0_6memory15LoadWithoutCastENSK_16StoreWithoutCastEEEviT_T0_T2_T3_T4_T5_.num_vgpr, 59
	.set _ZN2at6native27unrolled_elementwise_kernelIZZZNS0_12_GLOBAL__N_116addr_kernel_cudaERNS_14TensorIteratorERKN3c106ScalarES8_ENKUlvE_clEvENKUlvE6_clEvEUlNS5_7complexIdEESC_SC_E0_St5arrayIPcLm4EELi4E23TrivialOffsetCalculatorILi3EjESH_ILi1EjENS0_6memory15LoadWithoutCastENSK_16StoreWithoutCastEEEviT_T0_T2_T3_T4_T5_.num_agpr, 0
	.set _ZN2at6native27unrolled_elementwise_kernelIZZZNS0_12_GLOBAL__N_116addr_kernel_cudaERNS_14TensorIteratorERKN3c106ScalarES8_ENKUlvE_clEvENKUlvE6_clEvEUlNS5_7complexIdEESC_SC_E0_St5arrayIPcLm4EELi4E23TrivialOffsetCalculatorILi3EjESH_ILi1EjENS0_6memory15LoadWithoutCastENSK_16StoreWithoutCastEEEviT_T0_T2_T3_T4_T5_.numbered_sgpr, 22
	.set _ZN2at6native27unrolled_elementwise_kernelIZZZNS0_12_GLOBAL__N_116addr_kernel_cudaERNS_14TensorIteratorERKN3c106ScalarES8_ENKUlvE_clEvENKUlvE6_clEvEUlNS5_7complexIdEESC_SC_E0_St5arrayIPcLm4EELi4E23TrivialOffsetCalculatorILi3EjESH_ILi1EjENS0_6memory15LoadWithoutCastENSK_16StoreWithoutCastEEEviT_T0_T2_T3_T4_T5_.num_named_barrier, 0
	.set _ZN2at6native27unrolled_elementwise_kernelIZZZNS0_12_GLOBAL__N_116addr_kernel_cudaERNS_14TensorIteratorERKN3c106ScalarES8_ENKUlvE_clEvENKUlvE6_clEvEUlNS5_7complexIdEESC_SC_E0_St5arrayIPcLm4EELi4E23TrivialOffsetCalculatorILi3EjESH_ILi1EjENS0_6memory15LoadWithoutCastENSK_16StoreWithoutCastEEEviT_T0_T2_T3_T4_T5_.private_seg_size, 0
	.set _ZN2at6native27unrolled_elementwise_kernelIZZZNS0_12_GLOBAL__N_116addr_kernel_cudaERNS_14TensorIteratorERKN3c106ScalarES8_ENKUlvE_clEvENKUlvE6_clEvEUlNS5_7complexIdEESC_SC_E0_St5arrayIPcLm4EELi4E23TrivialOffsetCalculatorILi3EjESH_ILi1EjENS0_6memory15LoadWithoutCastENSK_16StoreWithoutCastEEEviT_T0_T2_T3_T4_T5_.uses_vcc, 1
	.set _ZN2at6native27unrolled_elementwise_kernelIZZZNS0_12_GLOBAL__N_116addr_kernel_cudaERNS_14TensorIteratorERKN3c106ScalarES8_ENKUlvE_clEvENKUlvE6_clEvEUlNS5_7complexIdEESC_SC_E0_St5arrayIPcLm4EELi4E23TrivialOffsetCalculatorILi3EjESH_ILi1EjENS0_6memory15LoadWithoutCastENSK_16StoreWithoutCastEEEviT_T0_T2_T3_T4_T5_.uses_flat_scratch, 0
	.set _ZN2at6native27unrolled_elementwise_kernelIZZZNS0_12_GLOBAL__N_116addr_kernel_cudaERNS_14TensorIteratorERKN3c106ScalarES8_ENKUlvE_clEvENKUlvE6_clEvEUlNS5_7complexIdEESC_SC_E0_St5arrayIPcLm4EELi4E23TrivialOffsetCalculatorILi3EjESH_ILi1EjENS0_6memory15LoadWithoutCastENSK_16StoreWithoutCastEEEviT_T0_T2_T3_T4_T5_.has_dyn_sized_stack, 0
	.set _ZN2at6native27unrolled_elementwise_kernelIZZZNS0_12_GLOBAL__N_116addr_kernel_cudaERNS_14TensorIteratorERKN3c106ScalarES8_ENKUlvE_clEvENKUlvE6_clEvEUlNS5_7complexIdEESC_SC_E0_St5arrayIPcLm4EELi4E23TrivialOffsetCalculatorILi3EjESH_ILi1EjENS0_6memory15LoadWithoutCastENSK_16StoreWithoutCastEEEviT_T0_T2_T3_T4_T5_.has_recursion, 0
	.set _ZN2at6native27unrolled_elementwise_kernelIZZZNS0_12_GLOBAL__N_116addr_kernel_cudaERNS_14TensorIteratorERKN3c106ScalarES8_ENKUlvE_clEvENKUlvE6_clEvEUlNS5_7complexIdEESC_SC_E0_St5arrayIPcLm4EELi4E23TrivialOffsetCalculatorILi3EjESH_ILi1EjENS0_6memory15LoadWithoutCastENSK_16StoreWithoutCastEEEviT_T0_T2_T3_T4_T5_.has_indirect_call, 0
	.section	.AMDGPU.csdata,"",@progbits
; Kernel info:
; codeLenInByte = 1268
; TotalNumSgprs: 24
; NumVgprs: 59
; ScratchSize: 0
; MemoryBound: 1
; FloatMode: 240
; IeeeMode: 1
; LDSByteSize: 0 bytes/workgroup (compile time only)
; SGPRBlocks: 0
; VGPRBlocks: 3
; NumSGPRsForWavesPerEU: 24
; NumVGPRsForWavesPerEU: 59
; NamedBarCnt: 0
; Occupancy: 16
; WaveLimiterHint : 0
; COMPUTE_PGM_RSRC2:SCRATCH_EN: 0
; COMPUTE_PGM_RSRC2:USER_SGPR: 2
; COMPUTE_PGM_RSRC2:TRAP_HANDLER: 0
; COMPUTE_PGM_RSRC2:TGID_X_EN: 1
; COMPUTE_PGM_RSRC2:TGID_Y_EN: 0
; COMPUTE_PGM_RSRC2:TGID_Z_EN: 0
; COMPUTE_PGM_RSRC2:TIDIG_COMP_CNT: 0
	.section	.text._ZN2at6native32elementwise_kernel_manual_unrollILi128ELi4EZNS0_22gpu_kernel_impl_nocastIZZZNS0_12_GLOBAL__N_116addr_kernel_cudaERNS_14TensorIteratorERKN3c106ScalarES9_ENKUlvE_clEvENKUlvE6_clEvEUlNS6_7complexIdEESD_SD_E0_EEvRNS_18TensorIteratorBaseERKT_EUlibE_EEviT1_,"axG",@progbits,_ZN2at6native32elementwise_kernel_manual_unrollILi128ELi4EZNS0_22gpu_kernel_impl_nocastIZZZNS0_12_GLOBAL__N_116addr_kernel_cudaERNS_14TensorIteratorERKN3c106ScalarES9_ENKUlvE_clEvENKUlvE6_clEvEUlNS6_7complexIdEESD_SD_E0_EEvRNS_18TensorIteratorBaseERKT_EUlibE_EEviT1_,comdat
	.globl	_ZN2at6native32elementwise_kernel_manual_unrollILi128ELi4EZNS0_22gpu_kernel_impl_nocastIZZZNS0_12_GLOBAL__N_116addr_kernel_cudaERNS_14TensorIteratorERKN3c106ScalarES9_ENKUlvE_clEvENKUlvE6_clEvEUlNS6_7complexIdEESD_SD_E0_EEvRNS_18TensorIteratorBaseERKT_EUlibE_EEviT1_ ; -- Begin function _ZN2at6native32elementwise_kernel_manual_unrollILi128ELi4EZNS0_22gpu_kernel_impl_nocastIZZZNS0_12_GLOBAL__N_116addr_kernel_cudaERNS_14TensorIteratorERKN3c106ScalarES9_ENKUlvE_clEvENKUlvE6_clEvEUlNS6_7complexIdEESD_SD_E0_EEvRNS_18TensorIteratorBaseERKT_EUlibE_EEviT1_
	.p2align	8
	.type	_ZN2at6native32elementwise_kernel_manual_unrollILi128ELi4EZNS0_22gpu_kernel_impl_nocastIZZZNS0_12_GLOBAL__N_116addr_kernel_cudaERNS_14TensorIteratorERKN3c106ScalarES9_ENKUlvE_clEvENKUlvE6_clEvEUlNS6_7complexIdEESD_SD_E0_EEvRNS_18TensorIteratorBaseERKT_EUlibE_EEviT1_,@function
_ZN2at6native32elementwise_kernel_manual_unrollILi128ELi4EZNS0_22gpu_kernel_impl_nocastIZZZNS0_12_GLOBAL__N_116addr_kernel_cudaERNS_14TensorIteratorERKN3c106ScalarES9_ENKUlvE_clEvENKUlvE6_clEvEUlNS6_7complexIdEESD_SD_E0_EEvRNS_18TensorIteratorBaseERKT_EUlibE_EEviT1_: ; @_ZN2at6native32elementwise_kernel_manual_unrollILi128ELi4EZNS0_22gpu_kernel_impl_nocastIZZZNS0_12_GLOBAL__N_116addr_kernel_cudaERNS_14TensorIteratorERKN3c106ScalarES9_ENKUlvE_clEvENKUlvE6_clEvEUlNS6_7complexIdEESD_SD_E0_EEvRNS_18TensorIteratorBaseERKT_EUlibE_EEviT1_
; %bb.0:
	s_clause 0x1
	s_load_b32 s33, s[0:1], 0x10
	s_load_b32 s47, s[0:1], 0x0
	s_bfe_u32 s2, ttmp6, 0x4000c
	s_and_b32 s3, ttmp6, 15
	s_add_co_i32 s2, s2, 1
	s_getreg_b32 s4, hwreg(HW_REG_IB_STS2, 6, 4)
	s_mul_i32 s2, ttmp9, s2
	s_add_nc_u64 s[28:29], s[0:1], 16
	s_add_co_i32 s3, s3, s2
	s_cmp_eq_u32 s4, 0
	s_mov_b32 s12, 0
	s_cselect_b32 s2, ttmp9, s3
                                        ; implicit-def: $vgpr4_vgpr5
                                        ; implicit-def: $vgpr6_vgpr7
	s_wait_xcnt 0x0
	s_mov_b32 s0, exec_lo
	v_lshl_or_b32 v0, s2, 9, v0
	s_delay_alu instid0(VALU_DEP_1) | instskip(SKIP_2) | instid1(SALU_CYCLE_1)
	v_or_b32_e32 v8, 0x180, v0
	s_wait_kmcnt 0x0
	s_add_co_i32 s42, s33, -1
	s_cmp_gt_u32 s42, 1
	s_cselect_b32 s43, -1, 0
	v_cmpx_le_i32_e64 s47, v8
	s_xor_b32 s44, exec_lo, s0
	s_cbranch_execnz .LBB141_4
; %bb.1:
	s_and_not1_saveexec_b32 s13, s44
	s_cbranch_execnz .LBB141_57
.LBB141_2:
	s_or_b32 exec_lo, exec_lo, s13
	s_and_saveexec_b32 s0, s12
	s_cbranch_execnz .LBB141_102
.LBB141_3:
	s_sendmsg sendmsg(MSG_DEALLOC_VGPRS)
	s_endpgm
.LBB141_4:
	s_clause 0x4
	s_load_b128 s[24:27], s[28:29], 0x4
	s_load_b64 s[30:31], s[28:29], 0x14
	s_load_b256 s[16:23], s[28:29], 0xc4
	s_load_b256 s[0:7], s[28:29], 0x1c8
	;; [unrolled: 1-line block ×3, first 2 shown]
	s_cmp_lg_u32 s33, 0
	s_mov_b32 s37, 0
	s_cselect_b32 s48, -1, 0
	s_min_u32 s46, s42, 15
	s_cmp_gt_u32 s33, 1
	s_mov_b32 s35, s37
	s_cselect_b32 s45, -1, 0
	s_wait_kmcnt 0x0
	s_mov_b32 s36, s25
	s_mov_b32 s34, s30
	s_mov_b32 s25, exec_lo
	v_cmpx_gt_i32_e64 s47, v0
	s_cbranch_execnz .LBB141_7
; %bb.5:
	s_or_b32 exec_lo, exec_lo, s25
	s_delay_alu instid0(SALU_CYCLE_1)
	s_mov_b32 s25, exec_lo
	v_cmpx_gt_i32_e64 s47, v0
	s_cbranch_execnz .LBB141_19
.LBB141_6:
	s_or_b32 exec_lo, exec_lo, s25
	s_delay_alu instid0(SALU_CYCLE_1)
	s_mov_b32 s25, exec_lo
	v_cmpx_gt_i32_e64 s47, v0
	s_cbranch_execnz .LBB141_31
	s_branch .LBB141_43
.LBB141_7:
	s_and_not1_b32 vcc_lo, exec_lo, s43
	s_cbranch_vccnz .LBB141_13
; %bb.8:
	s_and_not1_b32 vcc_lo, exec_lo, s48
	s_cbranch_vccnz .LBB141_14
; %bb.9:
	v_dual_mov_b32 v5, 0 :: v_dual_mov_b32 v1, v0
	v_dual_mov_b32 v7, 0 :: v_dual_mov_b32 v4, 0
	v_mov_b32_e32 v6, 0
	s_add_co_i32 s30, s46, 1
	s_mov_b64 s[38:39], 0xffffffffffffffe0
	s_and_b32 s30, s30, 30
	s_add_nc_u64 s[38:39], s[28:29], s[38:39]
	s_mov_b64 s[40:41], s[28:29]
.LBB141_10:                             ; =>This Inner Loop Header: Depth=1
	s_clause 0x1
	s_load_b128 s[60:63], s[40:41], 0x4
	s_load_b64 s[50:51], s[40:41], 0x14
	s_load_b256 s[52:59], s[38:39], 0xe4
	s_add_co_i32 s30, s30, -2
	s_wait_xcnt 0x0
	s_add_nc_u64 s[40:41], s[40:41], 24
	s_cmp_lg_u32 s30, 0
	s_add_nc_u64 s[38:39], s[38:39], 32
	s_wait_kmcnt 0x0
	v_mul_hi_u32 v2, s61, v1
	s_delay_alu instid0(VALU_DEP_1) | instskip(NEXT) | instid1(VALU_DEP_1)
	v_add_nc_u32_e32 v2, v1, v2
	v_lshrrev_b32_e32 v2, s62, v2
	s_delay_alu instid0(VALU_DEP_1) | instskip(SKIP_1) | instid1(VALU_DEP_1)
	v_mul_hi_u32 v3, s50, v2
	v_mul_lo_u32 v8, v2, s60
	v_dual_add_nc_u32 v3, v2, v3 :: v_dual_sub_nc_u32 v8, v1, v8
	s_delay_alu instid0(VALU_DEP_1) | instskip(NEXT) | instid1(VALU_DEP_2)
	v_lshrrev_b32_e32 v1, s51, v3
	v_mad_u32 v6, v8, s53, v6
	v_mad_u32 v4, v8, s52, v4
	;; [unrolled: 1-line block ×4, first 2 shown]
	v_mul_lo_u32 v3, v1, s63
	s_delay_alu instid0(VALU_DEP_1) | instskip(NEXT) | instid1(VALU_DEP_1)
	v_sub_nc_u32_e32 v2, v2, v3
	v_mad_u32 v6, v2, s57, v6
	v_mad_u32 v4, v2, s56, v4
	;; [unrolled: 1-line block ×4, first 2 shown]
	s_cbranch_scc1 .LBB141_10
; %bb.11:
	s_bitcmp1_b32 s46, 0
	s_cselect_b32 s30, -1, 0
	s_delay_alu instid0(SALU_CYCLE_1)
	s_and_b32 vcc_lo, exec_lo, s30
	s_cbranch_vccnz .LBB141_15
; %bb.12:
	s_load_b96 s[56:58], s[40:41], 0x4
	s_load_b128 s[52:55], s[38:39], 0xe4
	s_wait_kmcnt 0x0
	v_mul_hi_u32 v2, s57, v1
	s_delay_alu instid0(VALU_DEP_1) | instskip(NEXT) | instid1(VALU_DEP_1)
	v_add_nc_u32_e32 v2, v1, v2
	v_lshrrev_b32_e32 v2, s58, v2
	s_delay_alu instid0(VALU_DEP_1) | instskip(NEXT) | instid1(VALU_DEP_1)
	v_mul_lo_u32 v2, v2, s56
	v_sub_nc_u32_e32 v1, v1, v2
	s_delay_alu instid0(VALU_DEP_1)
	v_mad_u32 v4, v1, s52, v4
	v_mad_u32 v6, v1, s53, v6
	;; [unrolled: 1-line block ×4, first 2 shown]
	s_cbranch_execz .LBB141_16
	s_branch .LBB141_18
.LBB141_13:
                                        ; implicit-def: $vgpr6
                                        ; implicit-def: $vgpr4
                                        ; implicit-def: $vgpr7
                                        ; implicit-def: $vgpr5
	s_branch .LBB141_16
.LBB141_14:
	v_dual_mov_b32 v6, 0 :: v_dual_mov_b32 v4, 0
	v_dual_mov_b32 v7, 0 :: v_dual_mov_b32 v5, 0
.LBB141_15:
	s_cbranch_execnz .LBB141_18
.LBB141_16:
	v_mov_b32_e32 v1, 0
	s_and_not1_b32 vcc_lo, exec_lo, s45
	s_delay_alu instid0(VALU_DEP_1) | instskip(NEXT) | instid1(VALU_DEP_1)
	v_mul_u64_e32 v[2:3], s[36:37], v[0:1]
	v_add_nc_u32_e32 v2, v0, v3
	s_delay_alu instid0(VALU_DEP_1) | instskip(NEXT) | instid1(VALU_DEP_1)
	v_lshrrev_b32_e32 v2, s26, v2
	v_mul_lo_u32 v3, v2, s24
	s_delay_alu instid0(VALU_DEP_1) | instskip(NEXT) | instid1(VALU_DEP_1)
	v_sub_nc_u32_e32 v3, v0, v3
	v_mul_lo_u32 v6, v3, s17
	v_mul_lo_u32 v4, v3, s16
	;; [unrolled: 1-line block ×4, first 2 shown]
	s_cbranch_vccnz .LBB141_18
; %bb.17:
	v_mov_b32_e32 v3, v1
	s_delay_alu instid0(VALU_DEP_1) | instskip(NEXT) | instid1(VALU_DEP_1)
	v_mul_u64_e32 v[8:9], s[34:35], v[2:3]
	v_add_nc_u32_e32 v1, v2, v9
	s_delay_alu instid0(VALU_DEP_1) | instskip(NEXT) | instid1(VALU_DEP_1)
	v_lshrrev_b32_e32 v1, s31, v1
	v_mul_lo_u32 v1, v1, s27
	s_delay_alu instid0(VALU_DEP_1) | instskip(NEXT) | instid1(VALU_DEP_1)
	v_sub_nc_u32_e32 v1, v2, v1
	v_mad_u32 v4, v1, s20, v4
	v_mad_u32 v6, v1, s21, v6
	;; [unrolled: 1-line block ×4, first 2 shown]
.LBB141_18:
	global_load_b128 v[8:11], v5, s[4:5]
	global_load_b128 v[12:15], v6, s[2:3]
	;; [unrolled: 1-line block ×3, first 2 shown]
	v_add_nc_u32_e32 v0, 0x80, v0
	s_wait_loadcnt 0x2
	v_mul_f64_e32 v[2:3], s[14:15], v[8:9]
	s_wait_xcnt 0x0
	v_mul_f64_e32 v[6:7], s[14:15], v[10:11]
	s_wait_loadcnt 0x1
	v_mul_f64_e32 v[20:21], s[10:11], v[12:13]
	s_delay_alu instid0(VALU_DEP_3) | instskip(SKIP_1) | instid1(VALU_DEP_4)
	v_fmac_f64_e32 v[2:3], s[12:13], v[10:11]
	v_mul_f64_e32 v[10:11], s[10:11], v[14:15]
	v_fma_f64 v[6:7], v[8:9], s[12:13], -v[6:7]
	s_delay_alu instid0(VALU_DEP_4) | instskip(SKIP_1) | instid1(VALU_DEP_4)
	v_fmac_f64_e32 v[20:21], s[8:9], v[14:15]
	s_wait_loadcnt 0x0
	v_mul_f64_e32 v[8:9], v[18:19], v[2:3]
	v_mul_f64_e32 v[2:3], v[16:17], v[2:3]
	v_fma_f64 v[10:11], v[12:13], s[8:9], -v[10:11]
	s_delay_alu instid0(VALU_DEP_3) | instskip(NEXT) | instid1(VALU_DEP_3)
	v_fma_f64 v[8:9], v[16:17], v[6:7], -v[8:9]
	v_fmac_f64_e32 v[2:3], v[18:19], v[6:7]
	s_delay_alu instid0(VALU_DEP_2) | instskip(NEXT) | instid1(VALU_DEP_2)
	v_add_f64_e32 v[6:7], v[10:11], v[8:9]
	v_add_f64_e32 v[8:9], v[20:21], v[2:3]
	global_store_b128 v4, v[6:9], s[0:1]
	s_wait_xcnt 0x0
	s_or_b32 exec_lo, exec_lo, s25
	s_delay_alu instid0(SALU_CYCLE_1)
	s_mov_b32 s25, exec_lo
	v_cmpx_gt_i32_e64 s47, v0
	s_cbranch_execz .LBB141_6
.LBB141_19:
	s_and_not1_b32 vcc_lo, exec_lo, s43
	s_cbranch_vccnz .LBB141_25
; %bb.20:
	s_and_not1_b32 vcc_lo, exec_lo, s48
	s_cbranch_vccnz .LBB141_26
; %bb.21:
	v_dual_mov_b32 v6, 0 :: v_dual_mov_b32 v1, v0
	v_dual_mov_b32 v7, 0 :: v_dual_mov_b32 v4, 0
	v_mov_b32_e32 v5, 0
	s_add_co_i32 s30, s46, 1
	s_mov_b64 s[38:39], 0xffffffffffffffe0
	s_and_b32 s30, s30, 30
	s_add_nc_u64 s[38:39], s[28:29], s[38:39]
	s_mov_b64 s[40:41], s[28:29]
.LBB141_22:                             ; =>This Inner Loop Header: Depth=1
	s_clause 0x1
	s_load_b128 s[60:63], s[40:41], 0x4
	s_load_b64 s[50:51], s[40:41], 0x14
	s_load_b256 s[52:59], s[38:39], 0xe4
	s_add_co_i32 s30, s30, -2
	s_wait_xcnt 0x0
	s_add_nc_u64 s[40:41], s[40:41], 24
	s_cmp_eq_u32 s30, 0
	s_add_nc_u64 s[38:39], s[38:39], 32
	s_wait_kmcnt 0x0
	v_mul_hi_u32 v2, s61, v1
	s_delay_alu instid0(VALU_DEP_1) | instskip(NEXT) | instid1(VALU_DEP_1)
	v_add_nc_u32_e32 v2, v1, v2
	v_lshrrev_b32_e32 v2, s62, v2
	s_delay_alu instid0(VALU_DEP_1) | instskip(SKIP_1) | instid1(VALU_DEP_1)
	v_mul_hi_u32 v3, s50, v2
	v_mul_lo_u32 v8, v2, s60
	v_dual_add_nc_u32 v3, v2, v3 :: v_dual_sub_nc_u32 v8, v1, v8
	s_delay_alu instid0(VALU_DEP_1) | instskip(NEXT) | instid1(VALU_DEP_2)
	v_lshrrev_b32_e32 v1, s51, v3
	v_mad_u32 v5, v8, s53, v5
	v_mad_u32 v4, v8, s52, v4
	;; [unrolled: 1-line block ×4, first 2 shown]
	v_mul_lo_u32 v3, v1, s63
	s_delay_alu instid0(VALU_DEP_1) | instskip(NEXT) | instid1(VALU_DEP_1)
	v_sub_nc_u32_e32 v2, v2, v3
	v_mad_u32 v5, v2, s57, v5
	v_mad_u32 v4, v2, s56, v4
	;; [unrolled: 1-line block ×4, first 2 shown]
	s_cbranch_scc0 .LBB141_22
; %bb.23:
	s_bitcmp1_b32 s46, 0
	s_cselect_b32 s30, -1, 0
	s_delay_alu instid0(SALU_CYCLE_1)
	s_and_b32 vcc_lo, exec_lo, s30
	s_cbranch_vccnz .LBB141_27
; %bb.24:
	s_load_b96 s[56:58], s[40:41], 0x4
	s_load_b128 s[52:55], s[38:39], 0xe4
	s_wait_kmcnt 0x0
	v_mul_hi_u32 v2, s57, v1
	s_delay_alu instid0(VALU_DEP_1) | instskip(NEXT) | instid1(VALU_DEP_1)
	v_add_nc_u32_e32 v2, v1, v2
	v_lshrrev_b32_e32 v2, s58, v2
	s_delay_alu instid0(VALU_DEP_1) | instskip(NEXT) | instid1(VALU_DEP_1)
	v_mul_lo_u32 v2, v2, s56
	v_sub_nc_u32_e32 v1, v1, v2
	s_delay_alu instid0(VALU_DEP_1)
	v_mad_u32 v4, v1, s52, v4
	v_mad_u32 v5, v1, s53, v5
	;; [unrolled: 1-line block ×4, first 2 shown]
	s_branch .LBB141_27
.LBB141_25:
                                        ; implicit-def: $vgpr5
                                        ; implicit-def: $vgpr4
                                        ; implicit-def: $vgpr7
                                        ; implicit-def: $vgpr6
	s_branch .LBB141_28
.LBB141_26:
	v_dual_mov_b32 v5, 0 :: v_dual_mov_b32 v4, 0
	v_dual_mov_b32 v7, 0 :: v_dual_mov_b32 v6, 0
.LBB141_27:
	s_cbranch_execnz .LBB141_30
.LBB141_28:
	v_mov_b32_e32 v1, 0
	s_and_not1_b32 vcc_lo, exec_lo, s45
	s_delay_alu instid0(VALU_DEP_1) | instskip(NEXT) | instid1(VALU_DEP_1)
	v_mul_u64_e32 v[2:3], s[36:37], v[0:1]
	v_add_nc_u32_e32 v2, v0, v3
	s_delay_alu instid0(VALU_DEP_1) | instskip(NEXT) | instid1(VALU_DEP_1)
	v_lshrrev_b32_e32 v2, s26, v2
	v_mul_lo_u32 v3, v2, s24
	s_delay_alu instid0(VALU_DEP_1) | instskip(NEXT) | instid1(VALU_DEP_1)
	v_sub_nc_u32_e32 v3, v0, v3
	v_mul_lo_u32 v5, v3, s17
	v_mul_lo_u32 v4, v3, s16
	;; [unrolled: 1-line block ×4, first 2 shown]
	s_cbranch_vccnz .LBB141_30
; %bb.29:
	v_mov_b32_e32 v3, v1
	s_delay_alu instid0(VALU_DEP_1) | instskip(NEXT) | instid1(VALU_DEP_1)
	v_mul_u64_e32 v[8:9], s[34:35], v[2:3]
	v_add_nc_u32_e32 v1, v2, v9
	s_delay_alu instid0(VALU_DEP_1) | instskip(NEXT) | instid1(VALU_DEP_1)
	v_lshrrev_b32_e32 v1, s31, v1
	v_mul_lo_u32 v1, v1, s27
	s_delay_alu instid0(VALU_DEP_1) | instskip(NEXT) | instid1(VALU_DEP_1)
	v_sub_nc_u32_e32 v1, v2, v1
	v_mad_u32 v4, v1, s20, v4
	v_mad_u32 v5, v1, s21, v5
	;; [unrolled: 1-line block ×4, first 2 shown]
.LBB141_30:
	global_load_b128 v[8:11], v6, s[4:5]
	global_load_b128 v[12:15], v5, s[2:3]
	;; [unrolled: 1-line block ×3, first 2 shown]
	v_add_nc_u32_e32 v0, 0x80, v0
	s_wait_loadcnt 0x2
	v_mul_f64_e32 v[2:3], s[14:15], v[8:9]
	s_wait_xcnt 0x0
	v_mul_f64_e32 v[6:7], s[14:15], v[10:11]
	s_wait_loadcnt 0x1
	v_mul_f64_e32 v[20:21], s[10:11], v[12:13]
	s_delay_alu instid0(VALU_DEP_3) | instskip(SKIP_1) | instid1(VALU_DEP_4)
	v_fmac_f64_e32 v[2:3], s[12:13], v[10:11]
	v_mul_f64_e32 v[10:11], s[10:11], v[14:15]
	v_fma_f64 v[6:7], v[8:9], s[12:13], -v[6:7]
	s_delay_alu instid0(VALU_DEP_4) | instskip(SKIP_1) | instid1(VALU_DEP_4)
	v_fmac_f64_e32 v[20:21], s[8:9], v[14:15]
	s_wait_loadcnt 0x0
	v_mul_f64_e32 v[8:9], v[18:19], v[2:3]
	v_mul_f64_e32 v[2:3], v[16:17], v[2:3]
	v_fma_f64 v[10:11], v[12:13], s[8:9], -v[10:11]
	s_delay_alu instid0(VALU_DEP_3) | instskip(NEXT) | instid1(VALU_DEP_3)
	v_fma_f64 v[8:9], v[16:17], v[6:7], -v[8:9]
	v_fmac_f64_e32 v[2:3], v[18:19], v[6:7]
	s_delay_alu instid0(VALU_DEP_2) | instskip(NEXT) | instid1(VALU_DEP_2)
	v_add_f64_e32 v[6:7], v[10:11], v[8:9]
	v_add_f64_e32 v[8:9], v[20:21], v[2:3]
	global_store_b128 v4, v[6:9], s[0:1]
	s_wait_xcnt 0x0
	s_or_b32 exec_lo, exec_lo, s25
	s_delay_alu instid0(SALU_CYCLE_1)
	s_mov_b32 s25, exec_lo
	v_cmpx_gt_i32_e64 s47, v0
	s_cbranch_execz .LBB141_43
.LBB141_31:
	s_and_not1_b32 vcc_lo, exec_lo, s43
	s_cbranch_vccnz .LBB141_37
; %bb.32:
	s_and_not1_b32 vcc_lo, exec_lo, s48
	s_cbranch_vccnz .LBB141_38
; %bb.33:
	v_dual_mov_b32 v6, 0 :: v_dual_mov_b32 v1, v0
	v_dual_mov_b32 v7, 0 :: v_dual_mov_b32 v4, 0
	v_mov_b32_e32 v5, 0
	s_add_co_i32 s30, s46, 1
	s_mov_b64 s[38:39], 0xffffffffffffffe0
	s_and_b32 s30, s30, 30
	s_add_nc_u64 s[38:39], s[28:29], s[38:39]
	s_mov_b64 s[40:41], s[28:29]
.LBB141_34:                             ; =>This Inner Loop Header: Depth=1
	s_clause 0x1
	s_load_b128 s[60:63], s[40:41], 0x4
	s_load_b64 s[50:51], s[40:41], 0x14
	s_load_b256 s[52:59], s[38:39], 0xe4
	s_add_co_i32 s30, s30, -2
	s_wait_xcnt 0x0
	s_add_nc_u64 s[40:41], s[40:41], 24
	s_cmp_eq_u32 s30, 0
	s_add_nc_u64 s[38:39], s[38:39], 32
	s_wait_kmcnt 0x0
	v_mul_hi_u32 v2, s61, v1
	s_delay_alu instid0(VALU_DEP_1) | instskip(NEXT) | instid1(VALU_DEP_1)
	v_add_nc_u32_e32 v2, v1, v2
	v_lshrrev_b32_e32 v2, s62, v2
	s_delay_alu instid0(VALU_DEP_1) | instskip(SKIP_1) | instid1(VALU_DEP_1)
	v_mul_hi_u32 v3, s50, v2
	v_mul_lo_u32 v8, v2, s60
	v_dual_add_nc_u32 v3, v2, v3 :: v_dual_sub_nc_u32 v8, v1, v8
	s_delay_alu instid0(VALU_DEP_1) | instskip(NEXT) | instid1(VALU_DEP_2)
	v_lshrrev_b32_e32 v1, s51, v3
	v_mad_u32 v5, v8, s53, v5
	v_mad_u32 v4, v8, s52, v4
	;; [unrolled: 1-line block ×4, first 2 shown]
	v_mul_lo_u32 v3, v1, s63
	s_delay_alu instid0(VALU_DEP_1) | instskip(NEXT) | instid1(VALU_DEP_1)
	v_sub_nc_u32_e32 v2, v2, v3
	v_mad_u32 v5, v2, s57, v5
	v_mad_u32 v4, v2, s56, v4
	;; [unrolled: 1-line block ×4, first 2 shown]
	s_cbranch_scc0 .LBB141_34
; %bb.35:
	s_bitcmp1_b32 s46, 0
	s_cselect_b32 s30, -1, 0
	s_delay_alu instid0(SALU_CYCLE_1)
	s_and_b32 vcc_lo, exec_lo, s30
	s_cbranch_vccnz .LBB141_39
; %bb.36:
	s_load_b96 s[56:58], s[40:41], 0x4
	s_load_b128 s[52:55], s[38:39], 0xe4
	s_wait_kmcnt 0x0
	v_mul_hi_u32 v2, s57, v1
	s_delay_alu instid0(VALU_DEP_1) | instskip(NEXT) | instid1(VALU_DEP_1)
	v_add_nc_u32_e32 v2, v1, v2
	v_lshrrev_b32_e32 v2, s58, v2
	s_delay_alu instid0(VALU_DEP_1) | instskip(NEXT) | instid1(VALU_DEP_1)
	v_mul_lo_u32 v2, v2, s56
	v_sub_nc_u32_e32 v1, v1, v2
	s_delay_alu instid0(VALU_DEP_1)
	v_mad_u32 v4, v1, s52, v4
	v_mad_u32 v5, v1, s53, v5
	;; [unrolled: 1-line block ×4, first 2 shown]
	s_branch .LBB141_39
.LBB141_37:
                                        ; implicit-def: $vgpr5
                                        ; implicit-def: $vgpr4
                                        ; implicit-def: $vgpr7
                                        ; implicit-def: $vgpr6
	s_branch .LBB141_40
.LBB141_38:
	v_dual_mov_b32 v5, 0 :: v_dual_mov_b32 v4, 0
	v_dual_mov_b32 v7, 0 :: v_dual_mov_b32 v6, 0
.LBB141_39:
	s_cbranch_execnz .LBB141_42
.LBB141_40:
	v_mov_b32_e32 v1, 0
	s_and_not1_b32 vcc_lo, exec_lo, s45
	s_delay_alu instid0(VALU_DEP_1) | instskip(NEXT) | instid1(VALU_DEP_1)
	v_mul_u64_e32 v[2:3], s[36:37], v[0:1]
	v_add_nc_u32_e32 v2, v0, v3
	s_delay_alu instid0(VALU_DEP_1) | instskip(NEXT) | instid1(VALU_DEP_1)
	v_lshrrev_b32_e32 v2, s26, v2
	v_mul_lo_u32 v3, v2, s24
	s_delay_alu instid0(VALU_DEP_1) | instskip(NEXT) | instid1(VALU_DEP_1)
	v_sub_nc_u32_e32 v3, v0, v3
	v_mul_lo_u32 v5, v3, s17
	v_mul_lo_u32 v4, v3, s16
	;; [unrolled: 1-line block ×4, first 2 shown]
	s_cbranch_vccnz .LBB141_42
; %bb.41:
	v_mov_b32_e32 v3, v1
	s_delay_alu instid0(VALU_DEP_1) | instskip(NEXT) | instid1(VALU_DEP_1)
	v_mul_u64_e32 v[8:9], s[34:35], v[2:3]
	v_add_nc_u32_e32 v1, v2, v9
	s_delay_alu instid0(VALU_DEP_1) | instskip(NEXT) | instid1(VALU_DEP_1)
	v_lshrrev_b32_e32 v1, s31, v1
	v_mul_lo_u32 v1, v1, s27
	s_delay_alu instid0(VALU_DEP_1) | instskip(NEXT) | instid1(VALU_DEP_1)
	v_sub_nc_u32_e32 v1, v2, v1
	v_mad_u32 v4, v1, s20, v4
	v_mad_u32 v5, v1, s21, v5
	;; [unrolled: 1-line block ×4, first 2 shown]
.LBB141_42:
	global_load_b128 v[8:11], v6, s[4:5]
	global_load_b128 v[12:15], v5, s[2:3]
	;; [unrolled: 1-line block ×3, first 2 shown]
	v_add_nc_u32_e32 v0, 0x80, v0
	s_wait_loadcnt 0x2
	v_mul_f64_e32 v[2:3], s[14:15], v[8:9]
	s_wait_xcnt 0x0
	v_mul_f64_e32 v[6:7], s[14:15], v[10:11]
	s_wait_loadcnt 0x1
	v_mul_f64_e32 v[20:21], s[10:11], v[12:13]
	s_delay_alu instid0(VALU_DEP_3) | instskip(SKIP_1) | instid1(VALU_DEP_4)
	v_fmac_f64_e32 v[2:3], s[12:13], v[10:11]
	v_mul_f64_e32 v[10:11], s[10:11], v[14:15]
	v_fma_f64 v[6:7], v[8:9], s[12:13], -v[6:7]
	s_delay_alu instid0(VALU_DEP_4) | instskip(SKIP_1) | instid1(VALU_DEP_4)
	v_fmac_f64_e32 v[20:21], s[8:9], v[14:15]
	s_wait_loadcnt 0x0
	v_mul_f64_e32 v[8:9], v[18:19], v[2:3]
	v_mul_f64_e32 v[2:3], v[16:17], v[2:3]
	v_fma_f64 v[10:11], v[12:13], s[8:9], -v[10:11]
	s_delay_alu instid0(VALU_DEP_3) | instskip(NEXT) | instid1(VALU_DEP_3)
	v_fma_f64 v[8:9], v[16:17], v[6:7], -v[8:9]
	v_fmac_f64_e32 v[2:3], v[18:19], v[6:7]
	s_delay_alu instid0(VALU_DEP_2) | instskip(NEXT) | instid1(VALU_DEP_2)
	v_add_f64_e32 v[6:7], v[10:11], v[8:9]
	v_add_f64_e32 v[8:9], v[20:21], v[2:3]
	global_store_b128 v4, v[6:9], s[0:1]
.LBB141_43:
	s_wait_xcnt 0x0
	s_or_b32 exec_lo, exec_lo, s25
	s_mov_b32 s30, 0
	s_mov_b32 s25, exec_lo
                                        ; implicit-def: $vgpr4_vgpr5
                                        ; implicit-def: $vgpr6_vgpr7
	v_cmpx_gt_i32_e64 s47, v0
	s_cbranch_execz .LBB141_56
; %bb.44:
	s_and_not1_b32 vcc_lo, exec_lo, s43
	s_cbranch_vccnz .LBB141_50
; %bb.45:
	s_and_not1_b32 vcc_lo, exec_lo, s48
	s_cbranch_vccnz .LBB141_51
; %bb.46:
	v_dual_mov_b32 v3, 0 :: v_dual_mov_b32 v1, v0
	v_dual_mov_b32 v7, 0 :: v_dual_mov_b32 v2, 0
	v_mov_b32_e32 v6, 0
	s_add_co_i32 s30, s46, 1
	s_mov_b64 s[38:39], 0xffffffffffffffe0
	s_and_b32 s30, s30, 30
	s_add_nc_u64 s[38:39], s[28:29], s[38:39]
	s_mov_b64 s[40:41], s[28:29]
.LBB141_47:                             ; =>This Inner Loop Header: Depth=1
	s_clause 0x1
	s_load_b128 s[56:59], s[40:41], 0x4
	s_load_b64 s[60:61], s[40:41], 0x14
	s_load_b256 s[48:55], s[38:39], 0xe4
	s_add_co_i32 s30, s30, -2
	s_wait_xcnt 0x0
	s_add_nc_u64 s[40:41], s[40:41], 24
	s_cmp_eq_u32 s30, 0
	s_add_nc_u64 s[38:39], s[38:39], 32
	s_wait_kmcnt 0x0
	v_mul_hi_u32 v4, s57, v1
	s_delay_alu instid0(VALU_DEP_1) | instskip(NEXT) | instid1(VALU_DEP_1)
	v_add_nc_u32_e32 v4, v1, v4
	v_lshrrev_b32_e32 v4, s58, v4
	s_delay_alu instid0(VALU_DEP_1) | instskip(SKIP_1) | instid1(VALU_DEP_1)
	v_mul_hi_u32 v5, s60, v4
	v_mul_lo_u32 v8, v4, s56
	v_dual_add_nc_u32 v5, v4, v5 :: v_dual_sub_nc_u32 v8, v1, v8
	s_delay_alu instid0(VALU_DEP_1) | instskip(NEXT) | instid1(VALU_DEP_2)
	v_lshrrev_b32_e32 v1, s61, v5
	v_mad_u32 v6, v8, s49, v6
	v_mad_u32 v2, v8, s48, v2
	;; [unrolled: 1-line block ×4, first 2 shown]
	v_mul_lo_u32 v5, v1, s59
	s_delay_alu instid0(VALU_DEP_1) | instskip(NEXT) | instid1(VALU_DEP_1)
	v_sub_nc_u32_e32 v4, v4, v5
	v_mad_u32 v6, v4, s53, v6
	v_mad_u32 v2, v4, s52, v2
	;; [unrolled: 1-line block ×4, first 2 shown]
	s_cbranch_scc0 .LBB141_47
; %bb.48:
	s_bitcmp1_b32 s46, 0
	s_cselect_b32 s30, -1, 0
	s_delay_alu instid0(SALU_CYCLE_1)
	s_and_b32 vcc_lo, exec_lo, s30
	s_cbranch_vccnz .LBB141_52
; %bb.49:
	s_load_b96 s[52:54], s[40:41], 0x4
	s_load_b128 s[48:51], s[38:39], 0xe4
	s_wait_kmcnt 0x0
	v_mul_hi_u32 v4, s53, v1
	s_delay_alu instid0(VALU_DEP_1) | instskip(NEXT) | instid1(VALU_DEP_1)
	v_add_nc_u32_e32 v4, v1, v4
	v_lshrrev_b32_e32 v4, s54, v4
	s_delay_alu instid0(VALU_DEP_1) | instskip(NEXT) | instid1(VALU_DEP_1)
	v_mul_lo_u32 v4, v4, s52
	v_sub_nc_u32_e32 v1, v1, v4
	s_delay_alu instid0(VALU_DEP_1)
	v_mad_u32 v2, v1, s48, v2
	v_mad_u32 v6, v1, s49, v6
	v_mad_u32 v3, v1, s50, v3
	v_mad_u32 v7, v1, s51, v7
	s_branch .LBB141_52
.LBB141_50:
                                        ; implicit-def: $vgpr6
                                        ; implicit-def: $vgpr2
                                        ; implicit-def: $vgpr7
                                        ; implicit-def: $vgpr3
	s_branch .LBB141_53
.LBB141_51:
	v_dual_mov_b32 v6, 0 :: v_dual_mov_b32 v2, 0
	v_dual_mov_b32 v7, 0 :: v_dual_mov_b32 v3, 0
.LBB141_52:
	s_cbranch_execnz .LBB141_55
.LBB141_53:
	v_mov_b32_e32 v1, 0
	s_and_not1_b32 vcc_lo, exec_lo, s45
	s_delay_alu instid0(VALU_DEP_1) | instskip(NEXT) | instid1(VALU_DEP_1)
	v_mul_u64_e32 v[2:3], s[36:37], v[0:1]
	v_add_nc_u32_e32 v2, v0, v3
	s_delay_alu instid0(VALU_DEP_1) | instskip(NEXT) | instid1(VALU_DEP_1)
	v_lshrrev_b32_e32 v4, s26, v2
	v_mul_lo_u32 v2, v4, s24
	s_delay_alu instid0(VALU_DEP_1) | instskip(NEXT) | instid1(VALU_DEP_1)
	v_sub_nc_u32_e32 v0, v0, v2
	v_mul_lo_u32 v6, v0, s17
	v_mul_lo_u32 v2, v0, s16
	;; [unrolled: 1-line block ×4, first 2 shown]
	s_cbranch_vccnz .LBB141_55
; %bb.54:
	v_mov_b32_e32 v5, v1
	s_delay_alu instid0(VALU_DEP_1) | instskip(NEXT) | instid1(VALU_DEP_1)
	v_mul_u64_e32 v[0:1], s[34:35], v[4:5]
	v_add_nc_u32_e32 v0, v4, v1
	s_delay_alu instid0(VALU_DEP_1) | instskip(NEXT) | instid1(VALU_DEP_1)
	v_lshrrev_b32_e32 v0, s31, v0
	v_mul_lo_u32 v0, v0, s27
	s_delay_alu instid0(VALU_DEP_1) | instskip(NEXT) | instid1(VALU_DEP_1)
	v_sub_nc_u32_e32 v0, v4, v0
	v_mad_u32 v2, v0, s20, v2
	v_mad_u32 v6, v0, s21, v6
	;; [unrolled: 1-line block ×4, first 2 shown]
.LBB141_55:
	global_load_b128 v[8:11], v3, s[4:5]
	global_load_b128 v[12:15], v6, s[2:3]
	;; [unrolled: 1-line block ×3, first 2 shown]
	s_mov_b32 s30, exec_lo
	s_wait_loadcnt 0x2
	s_wait_xcnt 0x2
	v_dual_mul_f64 v[0:1], s[14:15], v[8:9] :: v_dual_mov_b32 v3, 0
	v_mul_f64_e32 v[4:5], s[14:15], v[10:11]
	s_wait_loadcnt 0x1
	s_wait_xcnt 0x0
	v_mul_f64_e32 v[6:7], s[10:11], v[14:15]
	s_delay_alu instid0(VALU_DEP_3) | instskip(SKIP_1) | instid1(VALU_DEP_4)
	v_fmac_f64_e32 v[0:1], s[12:13], v[10:11]
	v_mul_f64_e32 v[10:11], s[10:11], v[12:13]
	v_fma_f64 v[4:5], v[8:9], s[12:13], -v[4:5]
	s_delay_alu instid0(VALU_DEP_4) | instskip(SKIP_1) | instid1(VALU_DEP_4)
	v_fma_f64 v[6:7], v[12:13], s[8:9], -v[6:7]
	s_wait_loadcnt 0x0
	v_mul_f64_e32 v[8:9], v[18:19], v[0:1]
	v_mul_f64_e32 v[0:1], v[16:17], v[0:1]
	v_fmac_f64_e32 v[10:11], s[8:9], v[14:15]
	s_delay_alu instid0(VALU_DEP_3) | instskip(NEXT) | instid1(VALU_DEP_3)
	v_fma_f64 v[8:9], v[16:17], v[4:5], -v[8:9]
	v_fmac_f64_e32 v[0:1], v[18:19], v[4:5]
	s_delay_alu instid0(VALU_DEP_2) | instskip(NEXT) | instid1(VALU_DEP_2)
	v_add_f64_e32 v[8:9], v[6:7], v[8:9]
	v_add_f64_e32 v[4:5], v[10:11], v[0:1]
	v_add_nc_u64_e32 v[6:7], s[0:1], v[2:3]
	global_store_b64 v2, v[8:9], s[0:1]
.LBB141_56:
	s_wait_xcnt 0x0
	s_or_b32 exec_lo, exec_lo, s25
	s_delay_alu instid0(SALU_CYCLE_1)
	s_and_b32 s12, s30, exec_lo
                                        ; implicit-def: $vgpr8
                                        ; implicit-def: $vgpr0
	s_and_not1_saveexec_b32 s13, s44
	s_cbranch_execz .LBB141_2
.LBB141_57:
	v_cndmask_b32_e64 v10, 0, 1, s43
	s_and_not1_b32 vcc_lo, exec_lo, s43
	s_cbranch_vccnz .LBB141_63
; %bb.58:
	s_cmp_lg_u32 s33, 0
	s_mov_b32 s4, 0
	s_cbranch_scc0 .LBB141_67
; %bb.59:
	s_min_u32 s5, s42, 15
	v_dual_mov_b32 v4, 0 :: v_dual_mov_b32 v5, v0
	v_dual_mov_b32 v3, 0 :: v_dual_mov_b32 v2, 0
	v_mov_b32_e32 v1, 0
	s_add_co_i32 s2, s5, 1
	s_mov_b64 s[0:1], 0xffffffffffffffe0
	s_and_b32 s6, s2, 30
	s_add_nc_u64 s[0:1], s[28:29], s[0:1]
	s_mov_b64 s[2:3], s[28:29]
.LBB141_60:                             ; =>This Inner Loop Header: Depth=1
	s_clause 0x1
	s_load_b128 s[8:11], s[2:3], 0x4
	s_load_b64 s[14:15], s[2:3], 0x14
	s_load_b256 s[16:23], s[0:1], 0xe4
	s_add_co_i32 s6, s6, -2
	s_wait_xcnt 0x0
	s_add_nc_u64 s[2:3], s[2:3], 24
	s_cmp_lg_u32 s6, 0
	s_add_nc_u64 s[0:1], s[0:1], 32
	s_wait_kmcnt 0x0
	v_mul_hi_u32 v6, s9, v5
	s_delay_alu instid0(VALU_DEP_1) | instskip(NEXT) | instid1(VALU_DEP_1)
	v_add_nc_u32_e32 v6, v5, v6
	v_lshrrev_b32_e32 v6, s10, v6
	s_delay_alu instid0(VALU_DEP_1) | instskip(SKIP_1) | instid1(VALU_DEP_1)
	v_mul_hi_u32 v7, s14, v6
	v_mul_lo_u32 v9, v6, s8
	v_dual_add_nc_u32 v7, v6, v7 :: v_dual_sub_nc_u32 v9, v5, v9
	s_delay_alu instid0(VALU_DEP_1) | instskip(NEXT) | instid1(VALU_DEP_2)
	v_lshrrev_b32_e32 v5, s15, v7
	v_mad_u32 v1, v9, s17, v1
	v_mad_u32 v2, v9, s16, v2
	;; [unrolled: 1-line block ×4, first 2 shown]
	v_mul_lo_u32 v7, v5, s11
	s_delay_alu instid0(VALU_DEP_1) | instskip(NEXT) | instid1(VALU_DEP_1)
	v_sub_nc_u32_e32 v6, v6, v7
	v_mad_u32 v1, v6, s21, v1
	v_mad_u32 v2, v6, s20, v2
	v_mad_u32 v3, v6, s23, v3
	v_mad_u32 v4, v6, s22, v4
	s_cbranch_scc1 .LBB141_60
; %bb.61:
	s_bitcmp1_b32 s5, 0
	s_cselect_b32 s5, -1, 0
	s_delay_alu instid0(SALU_CYCLE_1)
	s_and_b32 vcc_lo, exec_lo, s5
	s_cbranch_vccnz .LBB141_64
; %bb.62:
	s_load_b96 s[16:18], s[2:3], 0x4
	s_load_b128 s[8:11], s[0:1], 0xe4
	s_wait_kmcnt 0x0
	v_mul_hi_u32 v6, s17, v5
	s_delay_alu instid0(VALU_DEP_1) | instskip(NEXT) | instid1(VALU_DEP_1)
	v_add_nc_u32_e32 v6, v5, v6
	v_lshrrev_b32_e32 v6, s18, v6
	s_delay_alu instid0(VALU_DEP_1) | instskip(NEXT) | instid1(VALU_DEP_1)
	v_mul_lo_u32 v6, v6, s16
	v_sub_nc_u32_e32 v5, v5, v6
	s_delay_alu instid0(VALU_DEP_1)
	v_mad_u32 v2, v5, s8, v2
	v_mad_u32 v1, v5, s9, v1
	;; [unrolled: 1-line block ×4, first 2 shown]
	s_and_not1_b32 vcc_lo, exec_lo, s4
	s_cbranch_vccz .LBB141_65
	s_branch .LBB141_68
.LBB141_63:
	s_mov_b32 s4, -1
                                        ; implicit-def: $vgpr1
                                        ; implicit-def: $vgpr2
                                        ; implicit-def: $vgpr3
                                        ; implicit-def: $vgpr4
.LBB141_64:
	s_delay_alu instid0(SALU_CYCLE_1)
	s_and_not1_b32 vcc_lo, exec_lo, s4
	s_cbranch_vccnz .LBB141_68
.LBB141_65:
	s_clause 0x1
	s_load_b96 s[4:6], s[28:29], 0x4
	s_load_b128 s[0:3], s[28:29], 0xc4
	s_cmp_lt_u32 s33, 2
	s_wait_kmcnt 0x0
	v_mul_hi_u32 v1, s5, v0
	s_delay_alu instid0(VALU_DEP_1) | instskip(NEXT) | instid1(VALU_DEP_1)
	v_add_nc_u32_e32 v1, v0, v1
	v_lshrrev_b32_e32 v5, s6, v1
	s_delay_alu instid0(VALU_DEP_1) | instskip(NEXT) | instid1(VALU_DEP_1)
	v_mul_lo_u32 v1, v5, s4
	v_sub_nc_u32_e32 v4, v0, v1
	s_delay_alu instid0(VALU_DEP_1)
	v_mul_lo_u32 v1, v4, s1
	v_mul_lo_u32 v2, v4, s0
	;; [unrolled: 1-line block ×4, first 2 shown]
	s_cbranch_scc1 .LBB141_68
; %bb.66:
	s_clause 0x1
	s_load_b96 s[4:6], s[28:29], 0x10
	s_load_b128 s[0:3], s[28:29], 0xd4
	s_wait_kmcnt 0x0
	v_mul_hi_u32 v6, s5, v5
	s_delay_alu instid0(VALU_DEP_1) | instskip(NEXT) | instid1(VALU_DEP_1)
	v_add_nc_u32_e32 v6, v5, v6
	v_lshrrev_b32_e32 v6, s6, v6
	s_delay_alu instid0(VALU_DEP_1) | instskip(NEXT) | instid1(VALU_DEP_1)
	v_mul_lo_u32 v6, v6, s4
	v_sub_nc_u32_e32 v5, v5, v6
	s_delay_alu instid0(VALU_DEP_1)
	v_mad_u32 v2, v5, s0, v2
	v_mad_u32 v1, v5, s1, v1
	;; [unrolled: 1-line block ×4, first 2 shown]
	s_branch .LBB141_68
.LBB141_67:
	v_dual_mov_b32 v1, 0 :: v_dual_mov_b32 v2, 0
	v_dual_mov_b32 v3, 0 :: v_dual_mov_b32 v4, 0
	s_and_not1_b32 vcc_lo, exec_lo, s4
	s_cbranch_vccz .LBB141_65
.LBB141_68:
	v_cmp_ne_u32_e32 vcc_lo, 1, v10
	v_add_nc_u32_e32 v11, 0x80, v0
	s_cbranch_vccnz .LBB141_74
; %bb.69:
	s_cmp_lg_u32 s33, 0
	s_mov_b32 s4, 0
	s_cbranch_scc0 .LBB141_78
; %bb.70:
	s_min_u32 s5, s42, 15
	v_dual_mov_b32 v6, 0 :: v_dual_mov_b32 v12, v11
	v_dual_mov_b32 v7, 0 :: v_dual_mov_b32 v9, 0
	v_mov_b32_e32 v5, 0
	s_add_co_i32 s2, s5, 1
	s_mov_b64 s[0:1], 0xffffffffffffffe0
	s_and_b32 s6, s2, 30
	s_add_nc_u64 s[0:1], s[28:29], s[0:1]
	s_mov_b64 s[2:3], s[28:29]
.LBB141_71:                             ; =>This Inner Loop Header: Depth=1
	s_clause 0x1
	s_load_b128 s[8:11], s[2:3], 0x4
	s_load_b64 s[14:15], s[2:3], 0x14
	s_load_b256 s[16:23], s[0:1], 0xe4
	s_add_co_i32 s6, s6, -2
	s_wait_xcnt 0x0
	s_add_nc_u64 s[2:3], s[2:3], 24
	s_cmp_lg_u32 s6, 0
	s_add_nc_u64 s[0:1], s[0:1], 32
	s_wait_kmcnt 0x0
	v_mul_hi_u32 v13, s9, v12
	s_delay_alu instid0(VALU_DEP_1) | instskip(NEXT) | instid1(VALU_DEP_1)
	v_add_nc_u32_e32 v13, v12, v13
	v_lshrrev_b32_e32 v13, s10, v13
	s_delay_alu instid0(VALU_DEP_1) | instskip(SKIP_1) | instid1(VALU_DEP_1)
	v_mul_hi_u32 v14, s14, v13
	v_mul_lo_u32 v15, v13, s8
	v_dual_add_nc_u32 v14, v13, v14 :: v_dual_sub_nc_u32 v15, v12, v15
	s_delay_alu instid0(VALU_DEP_1) | instskip(NEXT) | instid1(VALU_DEP_2)
	v_lshrrev_b32_e32 v12, s15, v14
	v_mad_u32 v5, v15, s17, v5
	v_mad_u32 v9, v15, s16, v9
	v_mad_u32 v7, v15, s19, v7
	v_mad_u32 v6, v15, s18, v6
	v_mul_lo_u32 v14, v12, s11
	s_delay_alu instid0(VALU_DEP_1) | instskip(NEXT) | instid1(VALU_DEP_1)
	v_sub_nc_u32_e32 v13, v13, v14
	v_mad_u32 v5, v13, s21, v5
	v_mad_u32 v9, v13, s20, v9
	;; [unrolled: 1-line block ×4, first 2 shown]
	s_cbranch_scc1 .LBB141_71
; %bb.72:
	s_bitcmp1_b32 s5, 0
	s_cselect_b32 s5, -1, 0
	s_delay_alu instid0(SALU_CYCLE_1)
	s_and_b32 vcc_lo, exec_lo, s5
	s_cbranch_vccnz .LBB141_75
; %bb.73:
	s_load_b96 s[16:18], s[2:3], 0x4
	s_load_b128 s[8:11], s[0:1], 0xe4
	s_wait_kmcnt 0x0
	v_mul_hi_u32 v13, s17, v12
	s_delay_alu instid0(VALU_DEP_1) | instskip(NEXT) | instid1(VALU_DEP_1)
	v_add_nc_u32_e32 v13, v12, v13
	v_lshrrev_b32_e32 v13, s18, v13
	s_delay_alu instid0(VALU_DEP_1) | instskip(NEXT) | instid1(VALU_DEP_1)
	v_mul_lo_u32 v13, v13, s16
	v_sub_nc_u32_e32 v12, v12, v13
	s_delay_alu instid0(VALU_DEP_1)
	v_mad_u32 v9, v12, s8, v9
	v_mad_u32 v5, v12, s9, v5
	v_mad_u32 v6, v12, s10, v6
	v_mad_u32 v7, v12, s11, v7
	s_and_not1_b32 vcc_lo, exec_lo, s4
	s_cbranch_vccz .LBB141_76
	s_branch .LBB141_79
.LBB141_74:
	s_mov_b32 s4, -1
                                        ; implicit-def: $vgpr5
                                        ; implicit-def: $vgpr9
                                        ; implicit-def: $vgpr7
                                        ; implicit-def: $vgpr6
.LBB141_75:
	s_delay_alu instid0(SALU_CYCLE_1)
	s_and_not1_b32 vcc_lo, exec_lo, s4
	s_cbranch_vccnz .LBB141_79
.LBB141_76:
	s_clause 0x1
	s_load_b96 s[4:6], s[28:29], 0x4
	s_load_b128 s[0:3], s[28:29], 0xc4
	s_cmp_lt_u32 s33, 2
	s_wait_kmcnt 0x0
	v_mul_hi_u32 v5, s5, v11
	s_delay_alu instid0(VALU_DEP_1) | instskip(NEXT) | instid1(VALU_DEP_1)
	v_add_nc_u32_e32 v5, v11, v5
	v_lshrrev_b32_e32 v12, s6, v5
	s_delay_alu instid0(VALU_DEP_1) | instskip(NEXT) | instid1(VALU_DEP_1)
	v_mul_lo_u32 v5, v12, s4
	v_sub_nc_u32_e32 v6, v11, v5
	s_delay_alu instid0(VALU_DEP_1)
	v_mul_lo_u32 v5, v6, s1
	v_mul_lo_u32 v9, v6, s0
	;; [unrolled: 1-line block ×4, first 2 shown]
	s_cbranch_scc1 .LBB141_79
; %bb.77:
	s_clause 0x1
	s_load_b96 s[4:6], s[28:29], 0x10
	s_load_b128 s[0:3], s[28:29], 0xd4
	s_wait_kmcnt 0x0
	v_mul_hi_u32 v11, s5, v12
	s_delay_alu instid0(VALU_DEP_1) | instskip(NEXT) | instid1(VALU_DEP_1)
	v_add_nc_u32_e32 v11, v12, v11
	v_lshrrev_b32_e32 v11, s6, v11
	s_delay_alu instid0(VALU_DEP_1) | instskip(NEXT) | instid1(VALU_DEP_1)
	v_mul_lo_u32 v11, v11, s4
	v_sub_nc_u32_e32 v11, v12, v11
	s_delay_alu instid0(VALU_DEP_1)
	v_mad_u32 v9, v11, s0, v9
	v_mad_u32 v5, v11, s1, v5
	;; [unrolled: 1-line block ×4, first 2 shown]
	s_branch .LBB141_79
.LBB141_78:
	v_dual_mov_b32 v5, 0 :: v_dual_mov_b32 v9, 0
	v_dual_mov_b32 v7, 0 :: v_dual_mov_b32 v6, 0
	s_and_not1_b32 vcc_lo, exec_lo, s4
	s_cbranch_vccz .LBB141_76
.LBB141_79:
	v_cmp_ne_u32_e32 vcc_lo, 1, v10
	v_add_nc_u32_e32 v0, 0x100, v0
	s_cbranch_vccnz .LBB141_85
; %bb.80:
	s_cmp_lg_u32 s33, 0
	s_mov_b32 s4, 0
	s_cbranch_scc0 .LBB141_89
; %bb.81:
	s_min_u32 s5, s42, 15
	v_dual_mov_b32 v12, 0 :: v_dual_mov_b32 v15, v0
	v_dual_mov_b32 v14, 0 :: v_dual_mov_b32 v11, 0
	v_mov_b32_e32 v13, 0
	s_add_co_i32 s2, s5, 1
	s_mov_b64 s[0:1], 0xffffffffffffffe0
	s_and_b32 s6, s2, 30
	s_add_nc_u64 s[0:1], s[28:29], s[0:1]
	s_mov_b64 s[2:3], s[28:29]
.LBB141_82:                             ; =>This Inner Loop Header: Depth=1
	s_clause 0x1
	s_load_b128 s[8:11], s[2:3], 0x4
	s_load_b64 s[14:15], s[2:3], 0x14
	s_load_b256 s[16:23], s[0:1], 0xe4
	s_add_co_i32 s6, s6, -2
	s_wait_xcnt 0x0
	s_add_nc_u64 s[2:3], s[2:3], 24
	s_cmp_lg_u32 s6, 0
	s_add_nc_u64 s[0:1], s[0:1], 32
	s_wait_kmcnt 0x0
	v_mul_hi_u32 v16, s9, v15
	s_delay_alu instid0(VALU_DEP_1) | instskip(NEXT) | instid1(VALU_DEP_1)
	v_add_nc_u32_e32 v16, v15, v16
	v_lshrrev_b32_e32 v16, s10, v16
	s_delay_alu instid0(VALU_DEP_1) | instskip(SKIP_1) | instid1(VALU_DEP_1)
	v_mul_hi_u32 v17, s14, v16
	v_mul_lo_u32 v18, v16, s8
	v_dual_add_nc_u32 v17, v16, v17 :: v_dual_sub_nc_u32 v18, v15, v18
	s_delay_alu instid0(VALU_DEP_1) | instskip(NEXT) | instid1(VALU_DEP_2)
	v_lshrrev_b32_e32 v15, s15, v17
	v_mad_u32 v13, v18, s17, v13
	v_mad_u32 v11, v18, s16, v11
	;; [unrolled: 1-line block ×4, first 2 shown]
	v_mul_lo_u32 v17, v15, s11
	s_delay_alu instid0(VALU_DEP_1) | instskip(NEXT) | instid1(VALU_DEP_1)
	v_sub_nc_u32_e32 v16, v16, v17
	v_mad_u32 v13, v16, s21, v13
	v_mad_u32 v11, v16, s20, v11
	;; [unrolled: 1-line block ×4, first 2 shown]
	s_cbranch_scc1 .LBB141_82
; %bb.83:
	s_bitcmp1_b32 s5, 0
	s_cselect_b32 s5, -1, 0
	s_delay_alu instid0(SALU_CYCLE_1)
	s_and_b32 vcc_lo, exec_lo, s5
	s_cbranch_vccnz .LBB141_86
; %bb.84:
	s_load_b96 s[16:18], s[2:3], 0x4
	s_load_b128 s[8:11], s[0:1], 0xe4
	s_wait_kmcnt 0x0
	v_mul_hi_u32 v16, s17, v15
	s_delay_alu instid0(VALU_DEP_1) | instskip(NEXT) | instid1(VALU_DEP_1)
	v_add_nc_u32_e32 v16, v15, v16
	v_lshrrev_b32_e32 v16, s18, v16
	s_delay_alu instid0(VALU_DEP_1) | instskip(NEXT) | instid1(VALU_DEP_1)
	v_mul_lo_u32 v16, v16, s16
	v_sub_nc_u32_e32 v15, v15, v16
	s_delay_alu instid0(VALU_DEP_1)
	v_mad_u32 v11, v15, s8, v11
	v_mad_u32 v13, v15, s9, v13
	;; [unrolled: 1-line block ×4, first 2 shown]
	s_and_not1_b32 vcc_lo, exec_lo, s4
	s_cbranch_vccz .LBB141_87
	s_branch .LBB141_90
.LBB141_85:
	s_mov_b32 s4, -1
                                        ; implicit-def: $vgpr13
                                        ; implicit-def: $vgpr11
                                        ; implicit-def: $vgpr14
                                        ; implicit-def: $vgpr12
.LBB141_86:
	s_delay_alu instid0(SALU_CYCLE_1)
	s_and_not1_b32 vcc_lo, exec_lo, s4
	s_cbranch_vccnz .LBB141_90
.LBB141_87:
	s_clause 0x1
	s_load_b96 s[4:6], s[28:29], 0x4
	s_load_b128 s[0:3], s[28:29], 0xc4
	s_cmp_lt_u32 s33, 2
	s_wait_kmcnt 0x0
	v_mul_hi_u32 v11, s5, v0
	s_delay_alu instid0(VALU_DEP_1) | instskip(NEXT) | instid1(VALU_DEP_1)
	v_add_nc_u32_e32 v11, v0, v11
	v_lshrrev_b32_e32 v15, s6, v11
	s_delay_alu instid0(VALU_DEP_1) | instskip(NEXT) | instid1(VALU_DEP_1)
	v_mul_lo_u32 v11, v15, s4
	v_sub_nc_u32_e32 v0, v0, v11
	s_delay_alu instid0(VALU_DEP_1)
	v_mul_lo_u32 v13, v0, s1
	v_mul_lo_u32 v11, v0, s0
	;; [unrolled: 1-line block ×4, first 2 shown]
	s_cbranch_scc1 .LBB141_90
; %bb.88:
	s_clause 0x1
	s_load_b96 s[4:6], s[28:29], 0x10
	s_load_b128 s[0:3], s[28:29], 0xd4
	s_wait_kmcnt 0x0
	v_mul_hi_u32 v0, s5, v15
	s_delay_alu instid0(VALU_DEP_1) | instskip(NEXT) | instid1(VALU_DEP_1)
	v_add_nc_u32_e32 v0, v15, v0
	v_lshrrev_b32_e32 v0, s6, v0
	s_delay_alu instid0(VALU_DEP_1) | instskip(NEXT) | instid1(VALU_DEP_1)
	v_mul_lo_u32 v0, v0, s4
	v_sub_nc_u32_e32 v0, v15, v0
	s_delay_alu instid0(VALU_DEP_1)
	v_mad_u32 v11, v0, s0, v11
	v_mad_u32 v13, v0, s1, v13
	;; [unrolled: 1-line block ×4, first 2 shown]
	s_branch .LBB141_90
.LBB141_89:
	v_dual_mov_b32 v13, 0 :: v_dual_mov_b32 v11, 0
	v_dual_mov_b32 v14, 0 :: v_dual_mov_b32 v12, 0
	s_and_not1_b32 vcc_lo, exec_lo, s4
	s_cbranch_vccz .LBB141_87
.LBB141_90:
	v_cmp_ne_u32_e32 vcc_lo, 1, v10
	s_cbranch_vccnz .LBB141_96
; %bb.91:
	s_cmp_lg_u32 s33, 0
	s_mov_b32 s4, 0
	s_cbranch_scc0 .LBB141_100
; %bb.92:
	s_min_u32 s5, s42, 15
	v_dual_mov_b32 v16, 0 :: v_dual_mov_b32 v17, v8
	v_dual_mov_b32 v15, 0 :: v_dual_mov_b32 v0, 0
	v_mov_b32_e32 v10, 0
	s_add_co_i32 s2, s5, 1
	s_mov_b64 s[0:1], 0xffffffffffffffe0
	s_and_b32 s6, s2, 30
	s_add_nc_u64 s[0:1], s[28:29], s[0:1]
	s_mov_b64 s[2:3], s[28:29]
.LBB141_93:                             ; =>This Inner Loop Header: Depth=1
	s_clause 0x1
	s_load_b128 s[8:11], s[2:3], 0x4
	s_load_b64 s[14:15], s[2:3], 0x14
	s_load_b256 s[16:23], s[0:1], 0xe4
	s_add_co_i32 s6, s6, -2
	s_wait_xcnt 0x0
	s_add_nc_u64 s[2:3], s[2:3], 24
	s_cmp_lg_u32 s6, 0
	s_add_nc_u64 s[0:1], s[0:1], 32
	s_wait_kmcnt 0x0
	v_mul_hi_u32 v18, s9, v17
	s_delay_alu instid0(VALU_DEP_1) | instskip(NEXT) | instid1(VALU_DEP_1)
	v_add_nc_u32_e32 v18, v17, v18
	v_lshrrev_b32_e32 v18, s10, v18
	s_delay_alu instid0(VALU_DEP_1) | instskip(SKIP_1) | instid1(VALU_DEP_1)
	v_mul_hi_u32 v19, s14, v18
	v_mul_lo_u32 v20, v18, s8
	v_dual_add_nc_u32 v19, v18, v19 :: v_dual_sub_nc_u32 v20, v17, v20
	s_delay_alu instid0(VALU_DEP_1) | instskip(NEXT) | instid1(VALU_DEP_2)
	v_lshrrev_b32_e32 v17, s15, v19
	v_mad_u32 v10, v20, s17, v10
	v_mad_u32 v0, v20, s16, v0
	;; [unrolled: 1-line block ×4, first 2 shown]
	v_mul_lo_u32 v19, v17, s11
	s_delay_alu instid0(VALU_DEP_1) | instskip(NEXT) | instid1(VALU_DEP_1)
	v_sub_nc_u32_e32 v18, v18, v19
	v_mad_u32 v10, v18, s21, v10
	v_mad_u32 v0, v18, s20, v0
	;; [unrolled: 1-line block ×4, first 2 shown]
	s_cbranch_scc1 .LBB141_93
; %bb.94:
	s_bitcmp1_b32 s5, 0
	s_cselect_b32 s5, -1, 0
	s_delay_alu instid0(SALU_CYCLE_1)
	s_and_b32 vcc_lo, exec_lo, s5
	s_cbranch_vccnz .LBB141_97
; %bb.95:
	s_load_b96 s[16:18], s[2:3], 0x4
	s_load_b128 s[8:11], s[0:1], 0xe4
	s_wait_kmcnt 0x0
	v_mul_hi_u32 v18, s17, v17
	s_delay_alu instid0(VALU_DEP_1) | instskip(NEXT) | instid1(VALU_DEP_1)
	v_add_nc_u32_e32 v18, v17, v18
	v_lshrrev_b32_e32 v18, s18, v18
	s_delay_alu instid0(VALU_DEP_1) | instskip(NEXT) | instid1(VALU_DEP_1)
	v_mul_lo_u32 v18, v18, s16
	v_sub_nc_u32_e32 v17, v17, v18
	s_delay_alu instid0(VALU_DEP_1)
	v_mad_u32 v0, v17, s8, v0
	v_mad_u32 v10, v17, s9, v10
	;; [unrolled: 1-line block ×4, first 2 shown]
	s_and_not1_b32 vcc_lo, exec_lo, s4
	s_cbranch_vccz .LBB141_98
	s_branch .LBB141_101
.LBB141_96:
	s_mov_b32 s4, -1
                                        ; implicit-def: $vgpr10
                                        ; implicit-def: $vgpr0
                                        ; implicit-def: $vgpr15
                                        ; implicit-def: $vgpr16
.LBB141_97:
	s_delay_alu instid0(SALU_CYCLE_1)
	s_and_not1_b32 vcc_lo, exec_lo, s4
	s_cbranch_vccnz .LBB141_101
.LBB141_98:
	s_clause 0x1
	s_load_b96 s[4:6], s[28:29], 0x4
	s_load_b128 s[0:3], s[28:29], 0xc4
	s_cmp_lt_u32 s33, 2
	s_wait_kmcnt 0x0
	v_mul_hi_u32 v0, s5, v8
	s_delay_alu instid0(VALU_DEP_1) | instskip(NEXT) | instid1(VALU_DEP_1)
	v_add_nc_u32_e32 v0, v8, v0
	v_lshrrev_b32_e32 v17, s6, v0
	s_delay_alu instid0(VALU_DEP_1) | instskip(NEXT) | instid1(VALU_DEP_1)
	v_mul_lo_u32 v0, v17, s4
	v_sub_nc_u32_e32 v8, v8, v0
	s_delay_alu instid0(VALU_DEP_1)
	v_mul_lo_u32 v10, v8, s1
	v_mul_lo_u32 v0, v8, s0
	;; [unrolled: 1-line block ×4, first 2 shown]
	s_cbranch_scc1 .LBB141_101
; %bb.99:
	s_clause 0x1
	s_load_b96 s[4:6], s[28:29], 0x10
	s_load_b128 s[0:3], s[28:29], 0xd4
	s_wait_kmcnt 0x0
	v_mul_hi_u32 v8, s5, v17
	s_delay_alu instid0(VALU_DEP_1) | instskip(NEXT) | instid1(VALU_DEP_1)
	v_add_nc_u32_e32 v8, v17, v8
	v_lshrrev_b32_e32 v8, s6, v8
	s_delay_alu instid0(VALU_DEP_1) | instskip(NEXT) | instid1(VALU_DEP_1)
	v_mul_lo_u32 v8, v8, s4
	v_sub_nc_u32_e32 v8, v17, v8
	s_delay_alu instid0(VALU_DEP_1)
	v_mad_u32 v0, v8, s0, v0
	v_mad_u32 v10, v8, s1, v10
	;; [unrolled: 1-line block ×4, first 2 shown]
	s_branch .LBB141_101
.LBB141_100:
	v_dual_mov_b32 v10, 0 :: v_dual_mov_b32 v0, 0
	v_dual_mov_b32 v15, 0 :: v_dual_mov_b32 v16, 0
	s_and_not1_b32 vcc_lo, exec_lo, s4
	s_cbranch_vccz .LBB141_98
.LBB141_101:
	s_load_b256 s[0:7], s[28:29], 0x1c8
	s_or_b32 s12, s12, exec_lo
	s_wait_kmcnt 0x0
	global_load_b128 v[18:21], v1, s[2:3]
	global_load_b128 v[22:25], v4, s[4:5]
	global_load_b128 v[26:29], v5, s[2:3]
	global_load_b128 v[30:33], v6, s[4:5]
	global_load_b128 v[34:37], v13, s[2:3]
	s_clause 0x1
	global_load_b128 v[38:41], v12, s[4:5]
	global_load_b128 v[42:45], v16, s[4:5]
	;; [unrolled: 1-line block ×4, first 2 shown]
	s_clause 0x2
	global_load_b128 v[54:57], v7, s[6:7]
	global_load_b128 v[58:61], v14, s[6:7]
	;; [unrolled: 1-line block ×3, first 2 shown]
	s_wait_xcnt 0x0
	s_load_b256 s[4:11], s[28:29], 0x1f0
	s_wait_loadcnt 0xb
	s_wait_kmcnt 0x0
	v_dual_mul_f64 v[4:5], s[6:7], v[20:21] :: v_dual_mov_b32 v1, 0
	v_mul_f64_e32 v[6:7], s[6:7], v[18:19]
	s_wait_loadcnt 0xa
	v_mul_f64_e32 v[12:13], s[10:11], v[24:25]
	v_mul_f64_e32 v[14:15], s[10:11], v[22:23]
	s_wait_loadcnt 0x9
	v_mul_f64_e32 v[16:17], s[6:7], v[28:29]
	v_fma_f64 v[4:5], v[18:19], s[4:5], -v[4:5]
	v_fmac_f64_e32 v[6:7], s[4:5], v[20:21]
	v_fma_f64 v[12:13], v[22:23], s[8:9], -v[12:13]
	v_mul_f64_e32 v[18:19], s[4:5], v[28:29]
	s_wait_loadcnt 0x8
	v_mul_f64_e32 v[20:21], s[10:11], v[32:33]
	v_mul_f64_e32 v[22:23], s[8:9], v[32:33]
	v_fmac_f64_e32 v[14:15], s[8:9], v[24:25]
	v_fma_f64 v[16:17], s[4:5], v[26:27], -v[16:17]
	s_wait_loadcnt 0x7
	v_mul_f64_e32 v[24:25], s[6:7], v[36:37]
	s_wait_loadcnt 0x5
	v_mul_f64_e32 v[32:33], s[8:9], v[44:45]
	v_mul_f64_e32 v[28:29], s[10:11], v[40:41]
	v_fmac_f64_e32 v[18:19], s[6:7], v[26:27]
	v_fma_f64 v[20:21], s[8:9], v[30:31], -v[20:21]
	v_fmac_f64_e32 v[22:23], s[10:11], v[30:31]
	v_mul_f64_e32 v[26:27], s[4:5], v[36:37]
	v_mul_f64_e32 v[30:31], s[8:9], v[40:41]
	s_wait_loadcnt 0x4
	v_mul_f64_e32 v[36:37], v[48:49], v[14:15]
	v_mul_f64_e32 v[14:15], v[46:47], v[14:15]
	v_fma_f64 v[24:25], s[4:5], v[34:35], -v[24:25]
	v_fmac_f64_e32 v[32:33], s[10:11], v[42:43]
	v_fma_f64 v[28:29], s[8:9], v[38:39], -v[28:29]
	s_wait_loadcnt 0x3
	v_mul_f64_e32 v[40:41], s[4:5], v[52:53]
	v_fmac_f64_e32 v[26:27], s[6:7], v[34:35]
	v_fmac_f64_e32 v[30:31], s[10:11], v[38:39]
	v_mul_f64_e32 v[34:35], s[10:11], v[44:45]
	v_fma_f64 v[36:37], v[46:47], v[12:13], -v[36:37]
	v_fmac_f64_e32 v[14:15], v[48:49], v[12:13]
	s_wait_loadcnt 0x2
	v_mul_f64_e32 v[12:13], v[56:57], v[22:23]
	v_mul_f64_e32 v[22:23], v[54:55], v[22:23]
	;; [unrolled: 1-line block ×3, first 2 shown]
	s_wait_loadcnt 0x0
	v_mul_f64_e32 v[44:45], v[64:65], v[32:33]
	v_mul_f64_e32 v[32:33], v[62:63], v[32:33]
	v_fmac_f64_e32 v[40:41], s[6:7], v[50:51]
	v_fma_f64 v[34:35], s[8:9], v[42:43], -v[34:35]
	v_mul_f64_e32 v[42:43], v[60:61], v[30:31]
	v_mul_f64_e32 v[30:31], v[58:59], v[30:31]
	v_fma_f64 v[46:47], v[54:55], v[20:21], -v[12:13]
	v_fmac_f64_e32 v[22:23], v[56:57], v[20:21]
	v_fma_f64 v[38:39], s[4:5], v[50:51], -v[38:39]
	v_add_f64_e32 v[12:13], v[4:5], v[36:37]
	v_add_f64_e32 v[14:15], v[6:7], v[14:15]
	v_add_nc_u64_e32 v[6:7], s[0:1], v[0:1]
	v_fmac_f64_e32 v[32:33], v[64:65], v[34:35]
	v_fma_f64 v[20:21], v[58:59], v[28:29], -v[42:43]
	v_fmac_f64_e32 v[30:31], v[60:61], v[28:29]
	v_fma_f64 v[28:29], v[62:63], v[34:35], -v[44:45]
	v_add_f64_e32 v[16:17], v[16:17], v[46:47]
	v_add_f64_e32 v[18:19], v[18:19], v[22:23]
	;; [unrolled: 1-line block ×6, first 2 shown]
	s_clause 0x3
	global_store_b128 v2, v[12:15], s[0:1]
	global_store_b128 v9, v[16:19], s[0:1]
	;; [unrolled: 1-line block ×3, first 2 shown]
	global_store_b64 v0, v[24:25], s[0:1]
	s_wait_xcnt 0x0
	s_or_b32 exec_lo, exec_lo, s13
	s_and_saveexec_b32 s0, s12
	s_cbranch_execz .LBB141_3
.LBB141_102:
	global_store_b64 v[6:7], v[4:5], off offset:8
	s_sendmsg sendmsg(MSG_DEALLOC_VGPRS)
	s_endpgm
	.section	.rodata,"a",@progbits
	.p2align	6, 0x0
	.amdhsa_kernel _ZN2at6native32elementwise_kernel_manual_unrollILi128ELi4EZNS0_22gpu_kernel_impl_nocastIZZZNS0_12_GLOBAL__N_116addr_kernel_cudaERNS_14TensorIteratorERKN3c106ScalarES9_ENKUlvE_clEvENKUlvE6_clEvEUlNS6_7complexIdEESD_SD_E0_EEvRNS_18TensorIteratorBaseERKT_EUlibE_EEviT1_
		.amdhsa_group_segment_fixed_size 0
		.amdhsa_private_segment_fixed_size 0
		.amdhsa_kernarg_size 544
		.amdhsa_user_sgpr_count 2
		.amdhsa_user_sgpr_dispatch_ptr 0
		.amdhsa_user_sgpr_queue_ptr 0
		.amdhsa_user_sgpr_kernarg_segment_ptr 1
		.amdhsa_user_sgpr_dispatch_id 0
		.amdhsa_user_sgpr_kernarg_preload_length 0
		.amdhsa_user_sgpr_kernarg_preload_offset 0
		.amdhsa_user_sgpr_private_segment_size 0
		.amdhsa_wavefront_size32 1
		.amdhsa_uses_dynamic_stack 0
		.amdhsa_enable_private_segment 0
		.amdhsa_system_sgpr_workgroup_id_x 1
		.amdhsa_system_sgpr_workgroup_id_y 0
		.amdhsa_system_sgpr_workgroup_id_z 0
		.amdhsa_system_sgpr_workgroup_info 0
		.amdhsa_system_vgpr_workitem_id 0
		.amdhsa_next_free_vgpr 66
		.amdhsa_next_free_sgpr 64
		.amdhsa_named_barrier_count 0
		.amdhsa_reserve_vcc 1
		.amdhsa_float_round_mode_32 0
		.amdhsa_float_round_mode_16_64 0
		.amdhsa_float_denorm_mode_32 3
		.amdhsa_float_denorm_mode_16_64 3
		.amdhsa_fp16_overflow 0
		.amdhsa_memory_ordered 1
		.amdhsa_forward_progress 1
		.amdhsa_inst_pref_size 51
		.amdhsa_round_robin_scheduling 0
		.amdhsa_exception_fp_ieee_invalid_op 0
		.amdhsa_exception_fp_denorm_src 0
		.amdhsa_exception_fp_ieee_div_zero 0
		.amdhsa_exception_fp_ieee_overflow 0
		.amdhsa_exception_fp_ieee_underflow 0
		.amdhsa_exception_fp_ieee_inexact 0
		.amdhsa_exception_int_div_zero 0
	.end_amdhsa_kernel
	.section	.text._ZN2at6native32elementwise_kernel_manual_unrollILi128ELi4EZNS0_22gpu_kernel_impl_nocastIZZZNS0_12_GLOBAL__N_116addr_kernel_cudaERNS_14TensorIteratorERKN3c106ScalarES9_ENKUlvE_clEvENKUlvE6_clEvEUlNS6_7complexIdEESD_SD_E0_EEvRNS_18TensorIteratorBaseERKT_EUlibE_EEviT1_,"axG",@progbits,_ZN2at6native32elementwise_kernel_manual_unrollILi128ELi4EZNS0_22gpu_kernel_impl_nocastIZZZNS0_12_GLOBAL__N_116addr_kernel_cudaERNS_14TensorIteratorERKN3c106ScalarES9_ENKUlvE_clEvENKUlvE6_clEvEUlNS6_7complexIdEESD_SD_E0_EEvRNS_18TensorIteratorBaseERKT_EUlibE_EEviT1_,comdat
.Lfunc_end141:
	.size	_ZN2at6native32elementwise_kernel_manual_unrollILi128ELi4EZNS0_22gpu_kernel_impl_nocastIZZZNS0_12_GLOBAL__N_116addr_kernel_cudaERNS_14TensorIteratorERKN3c106ScalarES9_ENKUlvE_clEvENKUlvE6_clEvEUlNS6_7complexIdEESD_SD_E0_EEvRNS_18TensorIteratorBaseERKT_EUlibE_EEviT1_, .Lfunc_end141-_ZN2at6native32elementwise_kernel_manual_unrollILi128ELi4EZNS0_22gpu_kernel_impl_nocastIZZZNS0_12_GLOBAL__N_116addr_kernel_cudaERNS_14TensorIteratorERKN3c106ScalarES9_ENKUlvE_clEvENKUlvE6_clEvEUlNS6_7complexIdEESD_SD_E0_EEvRNS_18TensorIteratorBaseERKT_EUlibE_EEviT1_
                                        ; -- End function
	.set _ZN2at6native32elementwise_kernel_manual_unrollILi128ELi4EZNS0_22gpu_kernel_impl_nocastIZZZNS0_12_GLOBAL__N_116addr_kernel_cudaERNS_14TensorIteratorERKN3c106ScalarES9_ENKUlvE_clEvENKUlvE6_clEvEUlNS6_7complexIdEESD_SD_E0_EEvRNS_18TensorIteratorBaseERKT_EUlibE_EEviT1_.num_vgpr, 66
	.set _ZN2at6native32elementwise_kernel_manual_unrollILi128ELi4EZNS0_22gpu_kernel_impl_nocastIZZZNS0_12_GLOBAL__N_116addr_kernel_cudaERNS_14TensorIteratorERKN3c106ScalarES9_ENKUlvE_clEvENKUlvE6_clEvEUlNS6_7complexIdEESD_SD_E0_EEvRNS_18TensorIteratorBaseERKT_EUlibE_EEviT1_.num_agpr, 0
	.set _ZN2at6native32elementwise_kernel_manual_unrollILi128ELi4EZNS0_22gpu_kernel_impl_nocastIZZZNS0_12_GLOBAL__N_116addr_kernel_cudaERNS_14TensorIteratorERKN3c106ScalarES9_ENKUlvE_clEvENKUlvE6_clEvEUlNS6_7complexIdEESD_SD_E0_EEvRNS_18TensorIteratorBaseERKT_EUlibE_EEviT1_.numbered_sgpr, 64
	.set _ZN2at6native32elementwise_kernel_manual_unrollILi128ELi4EZNS0_22gpu_kernel_impl_nocastIZZZNS0_12_GLOBAL__N_116addr_kernel_cudaERNS_14TensorIteratorERKN3c106ScalarES9_ENKUlvE_clEvENKUlvE6_clEvEUlNS6_7complexIdEESD_SD_E0_EEvRNS_18TensorIteratorBaseERKT_EUlibE_EEviT1_.num_named_barrier, 0
	.set _ZN2at6native32elementwise_kernel_manual_unrollILi128ELi4EZNS0_22gpu_kernel_impl_nocastIZZZNS0_12_GLOBAL__N_116addr_kernel_cudaERNS_14TensorIteratorERKN3c106ScalarES9_ENKUlvE_clEvENKUlvE6_clEvEUlNS6_7complexIdEESD_SD_E0_EEvRNS_18TensorIteratorBaseERKT_EUlibE_EEviT1_.private_seg_size, 0
	.set _ZN2at6native32elementwise_kernel_manual_unrollILi128ELi4EZNS0_22gpu_kernel_impl_nocastIZZZNS0_12_GLOBAL__N_116addr_kernel_cudaERNS_14TensorIteratorERKN3c106ScalarES9_ENKUlvE_clEvENKUlvE6_clEvEUlNS6_7complexIdEESD_SD_E0_EEvRNS_18TensorIteratorBaseERKT_EUlibE_EEviT1_.uses_vcc, 1
	.set _ZN2at6native32elementwise_kernel_manual_unrollILi128ELi4EZNS0_22gpu_kernel_impl_nocastIZZZNS0_12_GLOBAL__N_116addr_kernel_cudaERNS_14TensorIteratorERKN3c106ScalarES9_ENKUlvE_clEvENKUlvE6_clEvEUlNS6_7complexIdEESD_SD_E0_EEvRNS_18TensorIteratorBaseERKT_EUlibE_EEviT1_.uses_flat_scratch, 0
	.set _ZN2at6native32elementwise_kernel_manual_unrollILi128ELi4EZNS0_22gpu_kernel_impl_nocastIZZZNS0_12_GLOBAL__N_116addr_kernel_cudaERNS_14TensorIteratorERKN3c106ScalarES9_ENKUlvE_clEvENKUlvE6_clEvEUlNS6_7complexIdEESD_SD_E0_EEvRNS_18TensorIteratorBaseERKT_EUlibE_EEviT1_.has_dyn_sized_stack, 0
	.set _ZN2at6native32elementwise_kernel_manual_unrollILi128ELi4EZNS0_22gpu_kernel_impl_nocastIZZZNS0_12_GLOBAL__N_116addr_kernel_cudaERNS_14TensorIteratorERKN3c106ScalarES9_ENKUlvE_clEvENKUlvE6_clEvEUlNS6_7complexIdEESD_SD_E0_EEvRNS_18TensorIteratorBaseERKT_EUlibE_EEviT1_.has_recursion, 0
	.set _ZN2at6native32elementwise_kernel_manual_unrollILi128ELi4EZNS0_22gpu_kernel_impl_nocastIZZZNS0_12_GLOBAL__N_116addr_kernel_cudaERNS_14TensorIteratorERKN3c106ScalarES9_ENKUlvE_clEvENKUlvE6_clEvEUlNS6_7complexIdEESD_SD_E0_EEvRNS_18TensorIteratorBaseERKT_EUlibE_EEviT1_.has_indirect_call, 0
	.section	.AMDGPU.csdata,"",@progbits
; Kernel info:
; codeLenInByte = 6440
; TotalNumSgprs: 66
; NumVgprs: 66
; ScratchSize: 0
; MemoryBound: 0
; FloatMode: 240
; IeeeMode: 1
; LDSByteSize: 0 bytes/workgroup (compile time only)
; SGPRBlocks: 0
; VGPRBlocks: 4
; NumSGPRsForWavesPerEU: 66
; NumVGPRsForWavesPerEU: 66
; NamedBarCnt: 0
; Occupancy: 12
; WaveLimiterHint : 1
; COMPUTE_PGM_RSRC2:SCRATCH_EN: 0
; COMPUTE_PGM_RSRC2:USER_SGPR: 2
; COMPUTE_PGM_RSRC2:TRAP_HANDLER: 0
; COMPUTE_PGM_RSRC2:TGID_X_EN: 1
; COMPUTE_PGM_RSRC2:TGID_Y_EN: 0
; COMPUTE_PGM_RSRC2:TGID_Z_EN: 0
; COMPUTE_PGM_RSRC2:TIDIG_COMP_CNT: 0
	.section	.text._ZN2at6native32elementwise_kernel_manual_unrollILi128ELi4EZNS0_15gpu_kernel_implIZZZNS0_12_GLOBAL__N_116addr_kernel_cudaERNS_14TensorIteratorERKN3c106ScalarES9_ENKUlvE_clEvENKUlvE6_clEvEUlNS6_7complexIdEESD_SD_E0_EEvRNS_18TensorIteratorBaseERKT_EUlibE_EEviT1_,"axG",@progbits,_ZN2at6native32elementwise_kernel_manual_unrollILi128ELi4EZNS0_15gpu_kernel_implIZZZNS0_12_GLOBAL__N_116addr_kernel_cudaERNS_14TensorIteratorERKN3c106ScalarES9_ENKUlvE_clEvENKUlvE6_clEvEUlNS6_7complexIdEESD_SD_E0_EEvRNS_18TensorIteratorBaseERKT_EUlibE_EEviT1_,comdat
	.globl	_ZN2at6native32elementwise_kernel_manual_unrollILi128ELi4EZNS0_15gpu_kernel_implIZZZNS0_12_GLOBAL__N_116addr_kernel_cudaERNS_14TensorIteratorERKN3c106ScalarES9_ENKUlvE_clEvENKUlvE6_clEvEUlNS6_7complexIdEESD_SD_E0_EEvRNS_18TensorIteratorBaseERKT_EUlibE_EEviT1_ ; -- Begin function _ZN2at6native32elementwise_kernel_manual_unrollILi128ELi4EZNS0_15gpu_kernel_implIZZZNS0_12_GLOBAL__N_116addr_kernel_cudaERNS_14TensorIteratorERKN3c106ScalarES9_ENKUlvE_clEvENKUlvE6_clEvEUlNS6_7complexIdEESD_SD_E0_EEvRNS_18TensorIteratorBaseERKT_EUlibE_EEviT1_
	.p2align	8
	.type	_ZN2at6native32elementwise_kernel_manual_unrollILi128ELi4EZNS0_15gpu_kernel_implIZZZNS0_12_GLOBAL__N_116addr_kernel_cudaERNS_14TensorIteratorERKN3c106ScalarES9_ENKUlvE_clEvENKUlvE6_clEvEUlNS6_7complexIdEESD_SD_E0_EEvRNS_18TensorIteratorBaseERKT_EUlibE_EEviT1_,@function
_ZN2at6native32elementwise_kernel_manual_unrollILi128ELi4EZNS0_15gpu_kernel_implIZZZNS0_12_GLOBAL__N_116addr_kernel_cudaERNS_14TensorIteratorERKN3c106ScalarES9_ENKUlvE_clEvENKUlvE6_clEvEUlNS6_7complexIdEESD_SD_E0_EEvRNS_18TensorIteratorBaseERKT_EUlibE_EEviT1_: ; @_ZN2at6native32elementwise_kernel_manual_unrollILi128ELi4EZNS0_15gpu_kernel_implIZZZNS0_12_GLOBAL__N_116addr_kernel_cudaERNS_14TensorIteratorERKN3c106ScalarES9_ENKUlvE_clEvENKUlvE6_clEvEUlNS6_7complexIdEESD_SD_E0_EEvRNS_18TensorIteratorBaseERKT_EUlibE_EEviT1_
; %bb.0:
	s_load_b32 s2, s[0:1], 0x60
	s_bfe_u32 s3, ttmp6, 0x4000c
	s_load_b256 s[12:19], s[0:1], 0x40
	s_add_co_i32 s3, s3, 1
	s_clause 0x2
	s_load_b32 s28, s[0:1], 0x0
	s_load_b256 s[4:11], s[0:1], 0x10
	s_load_b128 s[20:23], s[0:1], 0x30
	s_and_b32 s24, ttmp6, 15
	s_wait_xcnt 0x0
	s_mul_i32 s0, ttmp9, s3
	s_getreg_b32 s26, hwreg(HW_REG_IB_STS2, 6, 4)
	s_add_co_i32 s24, s24, s0
	s_mov_b32 s27, 0
	s_wait_kmcnt 0x0
	s_lshr_b32 s3, s2, 16
	s_lshr_b32 s25, s2, 8
	;; [unrolled: 1-line block ×3, first 2 shown]
	s_cmp_eq_u32 s26, 0
	s_cselect_b32 s0, ttmp9, s24
	s_mov_b32 s24, 0
	v_lshl_or_b32 v50, s0, 9, v0
	s_mov_b32 s0, exec_lo
	s_delay_alu instid0(VALU_DEP_1) | instskip(NEXT) | instid1(VALU_DEP_1)
	v_or_b32_e32 v0, 0x180, v50
	v_cmpx_le_i32_e64 s28, v0
	s_xor_b32 s26, exec_lo, s0
	s_cbranch_execz .LBB142_2116
; %bb.1:
	s_mov_b32 s37, -1
	s_mov_b32 s34, 0
	s_mov_b32 s31, 0
	;; [unrolled: 1-line block ×4, first 2 shown]
	s_mov_b32 s33, exec_lo
	v_cmpx_gt_i32_e64 s28, v50
	s_cbranch_execz .LBB142_526
; %bb.2:
	v_mul_lo_u32 v0, v50, s21
	s_and_b32 s0, s25, 0xff
	s_delay_alu instid0(SALU_CYCLE_1) | instskip(NEXT) | instid1(VALU_DEP_1)
	s_cmp_lt_i32 s0, 11
	v_ashrrev_i32_e32 v1, 31, v0
	s_delay_alu instid0(VALU_DEP_1)
	v_add_nc_u64_e32 v[4:5], s[6:7], v[0:1]
	s_cbranch_scc1 .LBB142_9
; %bb.3:
	s_and_b32 s27, 0xffff, s0
	s_delay_alu instid0(SALU_CYCLE_1)
	s_cmp_gt_i32 s27, 25
	s_cbranch_scc0 .LBB142_18
; %bb.4:
	s_cmp_gt_i32 s27, 28
	s_cbranch_scc0 .LBB142_28
; %bb.5:
	;; [unrolled: 3-line block ×4, first 2 shown]
	s_cmp_eq_u32 s27, 46
	s_cbranch_scc0 .LBB142_37
; %bb.8:
	global_load_b32 v0, v[4:5], off
	s_mov_b32 s29, -1
	s_wait_loadcnt 0x0
	v_lshlrev_b32_e32 v1, 16, v0
	v_and_b32_e32 v2, 0xffff0000, v0
	s_delay_alu instid0(VALU_DEP_2) | instskip(NEXT) | instid1(VALU_DEP_2)
	v_cvt_f64_f32_e32 v[0:1], v1
	v_cvt_f64_f32_e32 v[2:3], v2
	s_branch .LBB142_39
.LBB142_9:
                                        ; implicit-def: $vgpr2_vgpr3
	s_cbranch_execnz .LBB142_103
.LBB142_10:
	s_and_not1_b32 vcc_lo, exec_lo, s29
	s_cbranch_vccnz .LBB142_152
.LBB142_11:
	s_wait_xcnt 0x0
	v_mul_lo_u32 v4, v50, s22
	s_and_b32 s0, s3, 0xff
	s_delay_alu instid0(SALU_CYCLE_1) | instskip(NEXT) | instid1(VALU_DEP_1)
	s_cmp_lt_i32 s0, 11
	v_ashrrev_i32_e32 v5, 31, v4
	s_delay_alu instid0(VALU_DEP_1)
	v_add_nc_u64_e32 v[8:9], s[8:9], v[4:5]
	s_cbranch_scc1 .LBB142_19
; %bb.12:
	s_and_b32 s27, 0xffff, s0
	s_delay_alu instid0(SALU_CYCLE_1)
	s_cmp_gt_i32 s27, 25
	s_cbranch_scc0 .LBB142_29
; %bb.13:
	s_cmp_gt_i32 s27, 28
	s_cbranch_scc0 .LBB142_32
; %bb.14:
	;; [unrolled: 3-line block ×4, first 2 shown]
	s_cmp_eq_u32 s27, 46
	s_mov_b32 s35, 0
	s_cbranch_scc0 .LBB142_157
; %bb.17:
	global_load_b32 v4, v[8:9], off
	s_mov_b32 s29, -1
	s_mov_b32 s30, 0
	s_wait_loadcnt 0x0
	v_lshlrev_b32_e32 v5, 16, v4
	v_and_b32_e32 v6, 0xffff0000, v4
	s_delay_alu instid0(VALU_DEP_2) | instskip(NEXT) | instid1(VALU_DEP_2)
	v_cvt_f64_f32_e32 v[4:5], v5
	v_cvt_f64_f32_e32 v[6:7], v6
	s_branch .LBB142_159
.LBB142_18:
                                        ; implicit-def: $vgpr2_vgpr3
	s_cbranch_execnz .LBB142_70
	s_branch .LBB142_102
.LBB142_19:
	s_mov_b32 s30, 0
	s_mov_b32 s29, 0
                                        ; implicit-def: $vgpr6_vgpr7
	s_cbranch_execnz .LBB142_224
.LBB142_20:
	s_and_not1_b32 vcc_lo, exec_lo, s29
	s_cbranch_vccnz .LBB142_274
.LBB142_21:
	s_wait_xcnt 0x0
	v_mul_lo_u32 v8, v50, s23
	s_and_b32 s0, 0xffff, s1
	s_delay_alu instid0(SALU_CYCLE_1) | instskip(NEXT) | instid1(VALU_DEP_1)
	s_cmp_lt_i32 s0, 11
	v_ashrrev_i32_e32 v9, 31, v8
	s_delay_alu instid0(VALU_DEP_1)
	v_add_nc_u64_e32 v[12:13], s[10:11], v[8:9]
	s_cbranch_scc1 .LBB142_30
; %bb.22:
	s_cmp_gt_i32 s0, 25
	s_cbranch_scc0 .LBB142_33
; %bb.23:
	s_cmp_gt_i32 s0, 28
	s_cbranch_scc0 .LBB142_36
	;; [unrolled: 3-line block ×4, first 2 shown]
; %bb.26:
	s_cmp_eq_u32 s0, 46
	s_mov_b32 s35, 0
	s_cbranch_scc0 .LBB142_279
; %bb.27:
	global_load_b32 v8, v[12:13], off
	s_mov_b32 s27, -1
	s_mov_b32 s29, 0
	s_wait_loadcnt 0x0
	v_lshlrev_b32_e32 v9, 16, v8
	v_and_b32_e32 v10, 0xffff0000, v8
	s_delay_alu instid0(VALU_DEP_2) | instskip(NEXT) | instid1(VALU_DEP_2)
	v_cvt_f64_f32_e32 v[8:9], v9
	v_cvt_f64_f32_e32 v[10:11], v10
	s_branch .LBB142_281
.LBB142_28:
	s_mov_b32 s30, -1
                                        ; implicit-def: $vgpr2_vgpr3
	s_branch .LBB142_53
.LBB142_29:
	s_mov_b32 s35, -1
	s_mov_b32 s30, 0
	s_mov_b32 s29, 0
                                        ; implicit-def: $vgpr6_vgpr7
	s_branch .LBB142_189
.LBB142_30:
	s_mov_b32 s35, -1
	s_mov_b32 s29, 0
	s_mov_b32 s27, 0
                                        ; implicit-def: $vgpr10_vgpr11
	s_branch .LBB142_345
.LBB142_31:
	s_mov_b32 s30, -1
                                        ; implicit-def: $vgpr2_vgpr3
	s_branch .LBB142_47
.LBB142_32:
	s_mov_b32 s35, -1
	s_mov_b32 s30, 0
	s_mov_b32 s29, 0
                                        ; implicit-def: $vgpr6_vgpr7
	s_branch .LBB142_172
.LBB142_33:
	s_mov_b32 s35, -1
	s_mov_b32 s29, 0
	s_mov_b32 s27, 0
                                        ; implicit-def: $vgpr10_vgpr11
	s_branch .LBB142_310
.LBB142_34:
	s_mov_b32 s30, -1
	s_branch .LBB142_38
.LBB142_35:
	s_mov_b32 s35, -1
	s_mov_b32 s30, 0
	s_mov_b32 s29, 0
                                        ; implicit-def: $vgpr6_vgpr7
	s_branch .LBB142_166
.LBB142_36:
	s_mov_b32 s35, -1
	s_mov_b32 s29, 0
	s_mov_b32 s27, 0
                                        ; implicit-def: $vgpr10_vgpr11
	s_branch .LBB142_293
.LBB142_37:
	s_mov_b32 s31, -1
.LBB142_38:
                                        ; implicit-def: $vgpr2_vgpr3
.LBB142_39:
	s_and_b32 vcc_lo, exec_lo, s30
	s_cbranch_vccz .LBB142_46
; %bb.40:
	s_cmp_eq_u32 s27, 44
	s_cbranch_scc0 .LBB142_44
; %bb.41:
	global_load_u8 v2, v[4:5], off
	s_mov_b32 s31, 0
	s_mov_b32 s29, -1
	s_wait_loadcnt 0x0
	v_cmp_ne_u32_e32 vcc_lo, 0xff, v2
	v_lshlrev_b32_e32 v0, 23, v2
	s_delay_alu instid0(VALU_DEP_1) | instskip(NEXT) | instid1(VALU_DEP_1)
	v_cvt_f64_f32_e32 v[0:1], v0
	v_cndmask_b32_e32 v0, 0x20000000, v0, vcc_lo
	s_delay_alu instid0(VALU_DEP_2) | instskip(SKIP_1) | instid1(VALU_DEP_2)
	v_cndmask_b32_e32 v1, 0x7ff80000, v1, vcc_lo
	v_cmp_ne_u32_e32 vcc_lo, 0, v2
	v_cndmask_b32_e32 v1, 0x38000000, v1, vcc_lo
	s_delay_alu instid0(VALU_DEP_4)
	v_cndmask_b32_e32 v0, 0, v0, vcc_lo
	s_branch .LBB142_45
.LBB142_42:
	s_mov_b32 s35, -1
	s_mov_b32 s30, 0
	s_branch .LBB142_158
.LBB142_43:
	s_mov_b32 s35, -1
	s_mov_b32 s29, 0
	s_mov_b32 s27, 0
                                        ; implicit-def: $vgpr10_vgpr11
	s_branch .LBB142_287
.LBB142_44:
	s_mov_b32 s31, -1
                                        ; implicit-def: $vgpr0_vgpr1
.LBB142_45:
	v_mov_b64_e32 v[2:3], 0
.LBB142_46:
	s_mov_b32 s30, 0
.LBB142_47:
	s_delay_alu instid0(SALU_CYCLE_1)
	s_and_b32 vcc_lo, exec_lo, s30
	s_cbranch_vccz .LBB142_52
; %bb.48:
	s_cmp_eq_u32 s27, 29
	s_cbranch_scc0 .LBB142_50
; %bb.49:
	global_load_b64 v[0:1], v[4:5], off
	s_mov_b32 s29, -1
	s_mov_b32 s31, 0
	s_wait_loadcnt 0x0
	v_cvt_f64_u32_e32 v[2:3], v1
	v_cvt_f64_u32_e32 v[0:1], v0
	s_delay_alu instid0(VALU_DEP_2) | instskip(NEXT) | instid1(VALU_DEP_1)
	v_ldexp_f64 v[2:3], v[2:3], 32
	v_add_f64_e32 v[0:1], v[2:3], v[0:1]
	s_branch .LBB142_51
.LBB142_50:
	s_mov_b32 s31, -1
                                        ; implicit-def: $vgpr0_vgpr1
.LBB142_51:
	v_mov_b64_e32 v[2:3], 0
.LBB142_52:
	s_mov_b32 s30, 0
.LBB142_53:
	s_delay_alu instid0(SALU_CYCLE_1)
	s_and_b32 vcc_lo, exec_lo, s30
	s_cbranch_vccz .LBB142_69
; %bb.54:
	s_cmp_lt_i32 s27, 27
	s_cbranch_scc1 .LBB142_57
; %bb.55:
	s_cmp_gt_i32 s27, 27
	s_cbranch_scc0 .LBB142_58
; %bb.56:
	global_load_b32 v0, v[4:5], off
	s_mov_b32 s29, 0
	s_wait_loadcnt 0x0
	v_cvt_f64_u32_e32 v[0:1], v0
	s_branch .LBB142_59
.LBB142_57:
	s_mov_b32 s29, -1
                                        ; implicit-def: $vgpr0_vgpr1
	s_branch .LBB142_62
.LBB142_58:
	s_mov_b32 s29, -1
                                        ; implicit-def: $vgpr0_vgpr1
.LBB142_59:
	s_delay_alu instid0(SALU_CYCLE_1)
	s_and_not1_b32 vcc_lo, exec_lo, s29
	s_cbranch_vccnz .LBB142_61
; %bb.60:
	global_load_u16 v0, v[4:5], off
	s_wait_loadcnt 0x0
	v_cvt_f64_u32_e32 v[0:1], v0
.LBB142_61:
	s_mov_b32 s29, 0
.LBB142_62:
	s_delay_alu instid0(SALU_CYCLE_1)
	s_and_not1_b32 vcc_lo, exec_lo, s29
	s_cbranch_vccnz .LBB142_68
; %bb.63:
	global_load_u8 v2, v[4:5], off
	s_mov_b32 s29, 0
	s_mov_b32 s30, exec_lo
	s_wait_loadcnt 0x0
	v_cmpx_lt_i16_e32 0x7f, v2
	s_xor_b32 s30, exec_lo, s30
	s_cbranch_execnz .LBB142_80
; %bb.64:
	s_or_saveexec_b32 s30, s30
	v_mov_b64_e32 v[0:1], 0x7ff8000020000000
	s_xor_b32 exec_lo, exec_lo, s30
	s_cbranch_execnz .LBB142_83
.LBB142_65:
	s_or_b32 exec_lo, exec_lo, s30
	s_and_saveexec_b32 s30, s29
	s_cbranch_execz .LBB142_67
.LBB142_66:
	v_and_b32_e32 v0, 0xffff, v2
	s_delay_alu instid0(VALU_DEP_1) | instskip(SKIP_1) | instid1(VALU_DEP_2)
	v_and_b32_e32 v1, 7, v0
	v_bfe_u32 v7, v0, 3, 4
	v_clz_i32_u32_e32 v3, v1
	s_delay_alu instid0(VALU_DEP_2) | instskip(NEXT) | instid1(VALU_DEP_2)
	v_cmp_eq_u32_e32 vcc_lo, 0, v7
	v_min_u32_e32 v3, 32, v3
	s_delay_alu instid0(VALU_DEP_1) | instskip(NEXT) | instid1(VALU_DEP_1)
	v_subrev_nc_u32_e32 v6, 28, v3
	v_dual_lshlrev_b32 v0, v6, v0 :: v_dual_sub_nc_u32 v3, 29, v3
	s_delay_alu instid0(VALU_DEP_1) | instskip(NEXT) | instid1(VALU_DEP_1)
	v_dual_lshlrev_b32 v2, 24, v2 :: v_dual_bitop2_b32 v0, 7, v0 bitop3:0x40
	v_dual_cndmask_b32 v3, v7, v3 :: v_dual_cndmask_b32 v0, v1, v0
	s_delay_alu instid0(VALU_DEP_2) | instskip(NEXT) | instid1(VALU_DEP_2)
	v_and_b32_e32 v1, 0x80000000, v2
	v_lshl_add_u32 v2, v3, 23, 0x3b800000
	s_delay_alu instid0(VALU_DEP_3) | instskip(NEXT) | instid1(VALU_DEP_1)
	v_lshlrev_b32_e32 v0, 20, v0
	v_or3_b32 v0, v1, v2, v0
	s_delay_alu instid0(VALU_DEP_1)
	v_cvt_f64_f32_e32 v[0:1], v0
.LBB142_67:
	s_or_b32 exec_lo, exec_lo, s30
.LBB142_68:
	v_mov_b64_e32 v[2:3], 0
	s_mov_b32 s29, -1
.LBB142_69:
	s_branch .LBB142_102
.LBB142_70:
	s_cmp_gt_i32 s27, 22
	s_cbranch_scc0 .LBB142_78
; %bb.71:
	s_cmp_lt_i32 s27, 24
	s_cbranch_scc1 .LBB142_79
; %bb.72:
	s_cmp_gt_i32 s27, 24
	s_cbranch_scc0 .LBB142_84
; %bb.73:
	global_load_u8 v2, v[4:5], off
	s_mov_b32 s29, 0
	s_mov_b32 s30, exec_lo
	s_wait_loadcnt 0x0
	v_cmpx_lt_i16_e32 0x7f, v2
	s_xor_b32 s30, exec_lo, s30
	s_cbranch_execnz .LBB142_153
; %bb.74:
	s_or_saveexec_b32 s30, s30
	v_mov_b64_e32 v[0:1], 0x7ff8000020000000
	s_xor_b32 exec_lo, exec_lo, s30
	s_cbranch_execnz .LBB142_156
.LBB142_75:
	s_or_b32 exec_lo, exec_lo, s30
	s_and_saveexec_b32 s30, s29
	s_cbranch_execz .LBB142_77
.LBB142_76:
	v_and_b32_e32 v0, 0xffff, v2
	s_delay_alu instid0(VALU_DEP_1) | instskip(SKIP_1) | instid1(VALU_DEP_2)
	v_and_b32_e32 v1, 3, v0
	v_bfe_u32 v7, v0, 2, 5
	v_clz_i32_u32_e32 v3, v1
	s_delay_alu instid0(VALU_DEP_2) | instskip(NEXT) | instid1(VALU_DEP_2)
	v_cmp_eq_u32_e32 vcc_lo, 0, v7
	v_min_u32_e32 v3, 32, v3
	s_delay_alu instid0(VALU_DEP_1) | instskip(NEXT) | instid1(VALU_DEP_1)
	v_subrev_nc_u32_e32 v6, 29, v3
	v_dual_lshlrev_b32 v0, v6, v0 :: v_dual_sub_nc_u32 v3, 30, v3
	s_delay_alu instid0(VALU_DEP_1) | instskip(NEXT) | instid1(VALU_DEP_1)
	v_dual_lshlrev_b32 v2, 24, v2 :: v_dual_bitop2_b32 v0, 3, v0 bitop3:0x40
	v_dual_cndmask_b32 v3, v7, v3 :: v_dual_cndmask_b32 v0, v1, v0
	s_delay_alu instid0(VALU_DEP_2) | instskip(NEXT) | instid1(VALU_DEP_2)
	v_and_b32_e32 v1, 0x80000000, v2
	v_lshl_add_u32 v2, v3, 23, 0x37800000
	s_delay_alu instid0(VALU_DEP_3) | instskip(NEXT) | instid1(VALU_DEP_1)
	v_lshlrev_b32_e32 v0, 21, v0
	v_or3_b32 v0, v1, v2, v0
	s_delay_alu instid0(VALU_DEP_1)
	v_cvt_f64_f32_e32 v[0:1], v0
.LBB142_77:
	s_or_b32 exec_lo, exec_lo, s30
	s_mov_b32 s29, 0
	s_branch .LBB142_85
.LBB142_78:
                                        ; implicit-def: $vgpr0_vgpr1
	s_branch .LBB142_91
.LBB142_79:
	s_mov_b32 s29, -1
                                        ; implicit-def: $vgpr0_vgpr1
	s_branch .LBB142_88
.LBB142_80:
	s_mov_b32 s29, -1
	s_mov_b32 s35, exec_lo
	v_cmpx_eq_u16_e32 0x80, v2
; %bb.81:
	s_xor_b32 s29, exec_lo, -1
; %bb.82:
	s_or_b32 exec_lo, exec_lo, s35
	s_delay_alu instid0(SALU_CYCLE_1)
	s_and_b32 s29, s29, exec_lo
	s_or_saveexec_b32 s30, s30
	v_mov_b64_e32 v[0:1], 0x7ff8000020000000
	s_xor_b32 exec_lo, exec_lo, s30
	s_cbranch_execz .LBB142_65
.LBB142_83:
	v_cmp_ne_u16_e32 vcc_lo, 0, v2
	v_mov_b64_e32 v[0:1], 0
	s_and_not1_b32 s29, s29, exec_lo
	s_and_b32 s35, vcc_lo, exec_lo
	s_delay_alu instid0(SALU_CYCLE_1)
	s_or_b32 s29, s29, s35
	s_or_b32 exec_lo, exec_lo, s30
	s_and_saveexec_b32 s30, s29
	s_cbranch_execnz .LBB142_66
	s_branch .LBB142_67
.LBB142_84:
	s_mov_b32 s29, -1
                                        ; implicit-def: $vgpr0_vgpr1
.LBB142_85:
	s_delay_alu instid0(SALU_CYCLE_1)
	s_and_b32 vcc_lo, exec_lo, s29
	s_cbranch_vccz .LBB142_87
; %bb.86:
	global_load_u8 v0, v[4:5], off
	s_wait_loadcnt 0x0
	v_lshlrev_b32_e32 v0, 24, v0
	s_delay_alu instid0(VALU_DEP_1) | instskip(NEXT) | instid1(VALU_DEP_1)
	v_and_b32_e32 v1, 0x7f000000, v0
	v_clz_i32_u32_e32 v2, v1
	v_cmp_ne_u32_e32 vcc_lo, 0, v1
	v_add_nc_u32_e32 v6, 0x1000000, v1
	s_delay_alu instid0(VALU_DEP_3) | instskip(NEXT) | instid1(VALU_DEP_1)
	v_min_u32_e32 v2, 32, v2
	v_sub_nc_u32_e64 v2, v2, 4 clamp
	s_delay_alu instid0(VALU_DEP_1) | instskip(NEXT) | instid1(VALU_DEP_1)
	v_dual_lshlrev_b32 v3, v2, v1 :: v_dual_lshlrev_b32 v2, 23, v2
	v_lshrrev_b32_e32 v3, 4, v3
	s_delay_alu instid0(VALU_DEP_1) | instskip(SKIP_1) | instid1(VALU_DEP_2)
	v_sub_nc_u32_e32 v2, v3, v2
	v_ashrrev_i32_e32 v3, 8, v6
	v_add_nc_u32_e32 v2, 0x3c000000, v2
	s_delay_alu instid0(VALU_DEP_1) | instskip(NEXT) | instid1(VALU_DEP_1)
	v_and_or_b32 v2, 0x7f800000, v3, v2
	v_cndmask_b32_e32 v1, 0, v2, vcc_lo
	s_delay_alu instid0(VALU_DEP_1) | instskip(NEXT) | instid1(VALU_DEP_1)
	v_and_or_b32 v0, 0x80000000, v0, v1
	v_cvt_f64_f32_e32 v[0:1], v0
.LBB142_87:
	s_mov_b32 s29, 0
.LBB142_88:
	s_delay_alu instid0(SALU_CYCLE_1)
	s_and_not1_b32 vcc_lo, exec_lo, s29
	s_cbranch_vccnz .LBB142_90
; %bb.89:
	global_load_u8 v0, v[4:5], off
	s_wait_loadcnt 0x0
	v_lshlrev_b32_e32 v1, 25, v0
	v_lshlrev_b16 v0, 8, v0
	s_delay_alu instid0(VALU_DEP_1) | instskip(SKIP_1) | instid1(VALU_DEP_2)
	v_and_or_b32 v3, 0x7f00, v0, 0.5
	v_bfe_i32 v0, v0, 0, 16
	v_dual_add_f32 v3, -0.5, v3 :: v_dual_lshrrev_b32 v2, 4, v1
	v_cmp_gt_u32_e32 vcc_lo, 0x8000000, v1
	s_delay_alu instid0(VALU_DEP_2) | instskip(NEXT) | instid1(VALU_DEP_1)
	v_or_b32_e32 v2, 0x70000000, v2
	v_mul_f32_e32 v2, 0x7800000, v2
	s_delay_alu instid0(VALU_DEP_1) | instskip(NEXT) | instid1(VALU_DEP_1)
	v_cndmask_b32_e32 v1, v2, v3, vcc_lo
	v_and_or_b32 v0, 0x80000000, v0, v1
	s_delay_alu instid0(VALU_DEP_1)
	v_cvt_f64_f32_e32 v[0:1], v0
.LBB142_90:
	s_mov_b32 s29, -1
	s_cbranch_execnz .LBB142_101
.LBB142_91:
	s_cmp_gt_i32 s27, 14
	s_cbranch_scc0 .LBB142_94
; %bb.92:
	s_cmp_eq_u32 s27, 15
	s_cbranch_scc0 .LBB142_95
; %bb.93:
	global_load_u16 v0, v[4:5], off
	s_mov_b32 s29, -1
	s_mov_b32 s31, 0
	s_wait_loadcnt 0x0
	v_lshlrev_b32_e32 v0, 16, v0
	s_delay_alu instid0(VALU_DEP_1)
	v_cvt_f64_f32_e32 v[0:1], v0
	s_branch .LBB142_96
.LBB142_94:
	s_mov_b32 s30, -1
                                        ; implicit-def: $vgpr0_vgpr1
	s_branch .LBB142_97
.LBB142_95:
	s_mov_b32 s31, -1
                                        ; implicit-def: $vgpr0_vgpr1
.LBB142_96:
	s_mov_b32 s30, 0
.LBB142_97:
	s_delay_alu instid0(SALU_CYCLE_1)
	s_and_b32 vcc_lo, exec_lo, s30
	s_cbranch_vccz .LBB142_101
; %bb.98:
	s_cmp_eq_u32 s27, 11
	s_cbranch_scc0 .LBB142_100
; %bb.99:
	global_load_u8 v0, v[4:5], off
	s_mov_b32 s31, 0
	s_mov_b32 s29, -1
	v_mov_b64_e32 v[2:3], 0
	s_wait_loadcnt 0x0
	v_cmp_ne_u16_e32 vcc_lo, 0, v0
	v_mov_b32_e32 v0, 0
	v_cndmask_b32_e64 v1, 0, 0x3ff00000, vcc_lo
	s_branch .LBB142_102
.LBB142_100:
	s_mov_b32 s31, -1
                                        ; implicit-def: $vgpr0_vgpr1
.LBB142_101:
	v_mov_b64_e32 v[2:3], 0
.LBB142_102:
	s_branch .LBB142_10
.LBB142_103:
	s_and_b32 s0, 0xffff, s0
	s_delay_alu instid0(SALU_CYCLE_1)
	s_cmp_lt_i32 s0, 5
	s_cbranch_scc1 .LBB142_108
; %bb.104:
	s_cmp_lt_i32 s0, 8
	s_cbranch_scc1 .LBB142_109
; %bb.105:
	;; [unrolled: 3-line block ×3, first 2 shown]
	s_cmp_gt_i32 s0, 9
	s_cbranch_scc0 .LBB142_111
; %bb.107:
	global_load_b128 v[0:3], v[4:5], off
	s_mov_b32 s27, 0
	s_branch .LBB142_112
.LBB142_108:
                                        ; implicit-def: $vgpr2_vgpr3
	s_branch .LBB142_131
.LBB142_109:
	s_mov_b32 s27, -1
                                        ; implicit-def: $vgpr2_vgpr3
	s_branch .LBB142_118
.LBB142_110:
	s_mov_b32 s27, -1
                                        ; implicit-def: $vgpr2_vgpr3
	s_branch .LBB142_115
.LBB142_111:
	s_mov_b32 s27, -1
                                        ; implicit-def: $vgpr2_vgpr3
.LBB142_112:
	s_delay_alu instid0(SALU_CYCLE_1)
	s_and_not1_b32 vcc_lo, exec_lo, s27
	s_cbranch_vccnz .LBB142_114
; %bb.113:
	s_wait_loadcnt 0x0
	global_load_b64 v[2:3], v[4:5], off
	s_wait_loadcnt 0x0
	v_cvt_f64_f32_e32 v[0:1], v2
	v_cvt_f64_f32_e32 v[2:3], v3
.LBB142_114:
	s_mov_b32 s27, 0
.LBB142_115:
	s_delay_alu instid0(SALU_CYCLE_1)
	s_and_not1_b32 vcc_lo, exec_lo, s27
	s_cbranch_vccnz .LBB142_117
; %bb.116:
	s_wait_loadcnt 0x0
	global_load_b32 v0, v[4:5], off
	s_wait_loadcnt 0x0
	v_lshrrev_b32_e32 v1, 16, v0
	v_cvt_f32_f16_e32 v0, v0
	s_delay_alu instid0(VALU_DEP_2) | instskip(NEXT) | instid1(VALU_DEP_2)
	v_cvt_f32_f16_e32 v2, v1
	v_cvt_f64_f32_e32 v[0:1], v0
	s_delay_alu instid0(VALU_DEP_2)
	v_cvt_f64_f32_e32 v[2:3], v2
.LBB142_117:
	s_mov_b32 s27, 0
.LBB142_118:
	s_delay_alu instid0(SALU_CYCLE_1)
	s_and_not1_b32 vcc_lo, exec_lo, s27
	s_cbranch_vccnz .LBB142_130
; %bb.119:
	s_cmp_lt_i32 s0, 6
	s_cbranch_scc1 .LBB142_122
; %bb.120:
	s_cmp_gt_i32 s0, 6
	s_cbranch_scc0 .LBB142_123
; %bb.121:
	s_wait_loadcnt 0x0
	global_load_b64 v[0:1], v[4:5], off
	s_mov_b32 s27, 0
	s_branch .LBB142_124
.LBB142_122:
	s_mov_b32 s27, -1
                                        ; implicit-def: $vgpr0_vgpr1
	s_branch .LBB142_127
.LBB142_123:
	s_mov_b32 s27, -1
                                        ; implicit-def: $vgpr0_vgpr1
.LBB142_124:
	s_delay_alu instid0(SALU_CYCLE_1)
	s_and_not1_b32 vcc_lo, exec_lo, s27
	s_cbranch_vccnz .LBB142_126
; %bb.125:
	s_wait_loadcnt 0x0
	global_load_b32 v0, v[4:5], off
	s_wait_loadcnt 0x0
	v_cvt_f64_f32_e32 v[0:1], v0
.LBB142_126:
	s_mov_b32 s27, 0
.LBB142_127:
	s_delay_alu instid0(SALU_CYCLE_1)
	s_and_not1_b32 vcc_lo, exec_lo, s27
	s_cbranch_vccnz .LBB142_129
; %bb.128:
	s_wait_loadcnt 0x0
	global_load_u16 v0, v[4:5], off
	s_wait_loadcnt 0x0
	v_cvt_f32_f16_e32 v0, v0
	s_delay_alu instid0(VALU_DEP_1)
	v_cvt_f64_f32_e32 v[0:1], v0
.LBB142_129:
	s_wait_loadcnt 0x0
	v_mov_b64_e32 v[2:3], 0
.LBB142_130:
	s_cbranch_execnz .LBB142_151
.LBB142_131:
	s_cmp_lt_i32 s0, 2
	s_cbranch_scc1 .LBB142_135
; %bb.132:
	s_cmp_lt_i32 s0, 3
	s_cbranch_scc1 .LBB142_136
; %bb.133:
	s_cmp_gt_i32 s0, 3
	s_cbranch_scc0 .LBB142_137
; %bb.134:
	s_wait_loadcnt 0x0
	global_load_b64 v[0:1], v[4:5], off
	s_mov_b32 s27, 0
	s_wait_loadcnt 0x0
	v_cvt_f64_i32_e32 v[2:3], v1
	v_cvt_f64_u32_e32 v[0:1], v0
	s_delay_alu instid0(VALU_DEP_2) | instskip(NEXT) | instid1(VALU_DEP_1)
	v_ldexp_f64 v[2:3], v[2:3], 32
	v_add_f64_e32 v[0:1], v[2:3], v[0:1]
	s_branch .LBB142_138
.LBB142_135:
	s_mov_b32 s27, -1
                                        ; implicit-def: $vgpr0_vgpr1
	s_branch .LBB142_144
.LBB142_136:
	s_mov_b32 s27, -1
                                        ; implicit-def: $vgpr0_vgpr1
	s_branch .LBB142_141
.LBB142_137:
	s_mov_b32 s27, -1
                                        ; implicit-def: $vgpr0_vgpr1
.LBB142_138:
	s_delay_alu instid0(SALU_CYCLE_1)
	s_and_not1_b32 vcc_lo, exec_lo, s27
	s_cbranch_vccnz .LBB142_140
; %bb.139:
	s_wait_loadcnt 0x0
	global_load_b32 v0, v[4:5], off
	s_wait_loadcnt 0x0
	v_cvt_f64_i32_e32 v[0:1], v0
.LBB142_140:
	s_mov_b32 s27, 0
.LBB142_141:
	s_delay_alu instid0(SALU_CYCLE_1)
	s_and_not1_b32 vcc_lo, exec_lo, s27
	s_cbranch_vccnz .LBB142_143
; %bb.142:
	s_wait_loadcnt 0x0
	global_load_i16 v0, v[4:5], off
	s_wait_loadcnt 0x0
	v_cvt_f64_i32_e32 v[0:1], v0
.LBB142_143:
	s_mov_b32 s27, 0
.LBB142_144:
	s_delay_alu instid0(SALU_CYCLE_1)
	s_and_not1_b32 vcc_lo, exec_lo, s27
	s_cbranch_vccnz .LBB142_150
; %bb.145:
	s_cmp_gt_i32 s0, 0
	s_mov_b32 s0, 0
	s_cbranch_scc0 .LBB142_147
; %bb.146:
	s_wait_loadcnt 0x0
	global_load_i8 v0, v[4:5], off
	s_wait_loadcnt 0x0
	v_cvt_f64_i32_e32 v[0:1], v0
	s_branch .LBB142_148
.LBB142_147:
	s_mov_b32 s0, -1
                                        ; implicit-def: $vgpr0_vgpr1
.LBB142_148:
	s_delay_alu instid0(SALU_CYCLE_1)
	s_and_not1_b32 vcc_lo, exec_lo, s0
	s_cbranch_vccnz .LBB142_150
; %bb.149:
	s_wait_loadcnt 0x0
	global_load_u8 v0, v[4:5], off
	s_wait_loadcnt 0x0
	v_cvt_f64_u32_e32 v[0:1], v0
.LBB142_150:
	s_wait_loadcnt 0x0
	v_mov_b64_e32 v[2:3], 0
.LBB142_151:
	s_branch .LBB142_11
.LBB142_152:
	s_mov_b32 s0, 0
	s_mov_b32 s29, 0
	;; [unrolled: 1-line block ×3, first 2 shown]
	s_branch .LBB142_524
.LBB142_153:
	s_mov_b32 s29, -1
	s_mov_b32 s35, exec_lo
	v_cmpx_eq_u16_e32 0x80, v2
; %bb.154:
	s_xor_b32 s29, exec_lo, -1
; %bb.155:
	s_or_b32 exec_lo, exec_lo, s35
	s_delay_alu instid0(SALU_CYCLE_1)
	s_and_b32 s29, s29, exec_lo
	s_or_saveexec_b32 s30, s30
	v_mov_b64_e32 v[0:1], 0x7ff8000020000000
	s_xor_b32 exec_lo, exec_lo, s30
	s_cbranch_execz .LBB142_75
.LBB142_156:
	v_cmp_ne_u16_e32 vcc_lo, 0, v2
	v_mov_b64_e32 v[0:1], 0
	s_and_not1_b32 s29, s29, exec_lo
	s_and_b32 s35, vcc_lo, exec_lo
	s_delay_alu instid0(SALU_CYCLE_1)
	s_or_b32 s29, s29, s35
	s_or_b32 exec_lo, exec_lo, s30
	s_and_saveexec_b32 s30, s29
	s_cbranch_execnz .LBB142_76
	s_branch .LBB142_77
.LBB142_157:
	s_mov_b32 s30, -1
.LBB142_158:
	s_mov_b32 s29, 0
                                        ; implicit-def: $vgpr6_vgpr7
.LBB142_159:
	s_and_b32 vcc_lo, exec_lo, s35
	s_cbranch_vccz .LBB142_165
; %bb.160:
	s_cmp_eq_u32 s27, 44
	s_cbranch_scc0 .LBB142_163
; %bb.161:
	global_load_u8 v6, v[8:9], off
	s_mov_b32 s30, 0
	s_mov_b32 s29, -1
	s_wait_loadcnt 0x0
	v_cmp_ne_u32_e32 vcc_lo, 0xff, v6
	v_lshlrev_b32_e32 v4, 23, v6
	s_delay_alu instid0(VALU_DEP_1) | instskip(NEXT) | instid1(VALU_DEP_1)
	v_cvt_f64_f32_e32 v[4:5], v4
	v_cndmask_b32_e32 v4, 0x20000000, v4, vcc_lo
	s_delay_alu instid0(VALU_DEP_2) | instskip(SKIP_1) | instid1(VALU_DEP_2)
	v_cndmask_b32_e32 v5, 0x7ff80000, v5, vcc_lo
	v_cmp_ne_u32_e32 vcc_lo, 0, v6
	v_cndmask_b32_e32 v5, 0x38000000, v5, vcc_lo
	s_delay_alu instid0(VALU_DEP_4)
	v_cndmask_b32_e32 v4, 0, v4, vcc_lo
	s_branch .LBB142_164
.LBB142_162:
	s_mov_b32 s35, -1
	s_mov_b32 s29, 0
	s_branch .LBB142_280
.LBB142_163:
	s_mov_b32 s30, -1
                                        ; implicit-def: $vgpr4_vgpr5
.LBB142_164:
	v_mov_b64_e32 v[6:7], 0
.LBB142_165:
	s_mov_b32 s35, 0
.LBB142_166:
	s_delay_alu instid0(SALU_CYCLE_1)
	s_and_b32 vcc_lo, exec_lo, s35
	s_cbranch_vccz .LBB142_171
; %bb.167:
	s_cmp_eq_u32 s27, 29
	s_cbranch_scc0 .LBB142_169
; %bb.168:
	global_load_b64 v[4:5], v[8:9], off
	s_mov_b32 s29, -1
	s_mov_b32 s30, 0
	s_wait_loadcnt 0x0
	v_cvt_f64_u32_e32 v[6:7], v5
	v_cvt_f64_u32_e32 v[4:5], v4
	s_delay_alu instid0(VALU_DEP_2) | instskip(NEXT) | instid1(VALU_DEP_1)
	v_ldexp_f64 v[6:7], v[6:7], 32
	v_add_f64_e32 v[4:5], v[6:7], v[4:5]
	s_branch .LBB142_170
.LBB142_169:
	s_mov_b32 s30, -1
                                        ; implicit-def: $vgpr4_vgpr5
.LBB142_170:
	v_mov_b64_e32 v[6:7], 0
.LBB142_171:
	s_mov_b32 s35, 0
.LBB142_172:
	s_delay_alu instid0(SALU_CYCLE_1)
	s_and_b32 vcc_lo, exec_lo, s35
	s_cbranch_vccz .LBB142_188
; %bb.173:
	s_cmp_lt_i32 s27, 27
	s_cbranch_scc1 .LBB142_176
; %bb.174:
	s_cmp_gt_i32 s27, 27
	s_cbranch_scc0 .LBB142_177
; %bb.175:
	global_load_b32 v4, v[8:9], off
	s_mov_b32 s29, 0
	s_wait_loadcnt 0x0
	v_cvt_f64_u32_e32 v[4:5], v4
	s_branch .LBB142_178
.LBB142_176:
	s_mov_b32 s29, -1
                                        ; implicit-def: $vgpr4_vgpr5
	s_branch .LBB142_181
.LBB142_177:
	s_mov_b32 s29, -1
                                        ; implicit-def: $vgpr4_vgpr5
.LBB142_178:
	s_delay_alu instid0(SALU_CYCLE_1)
	s_and_not1_b32 vcc_lo, exec_lo, s29
	s_cbranch_vccnz .LBB142_180
; %bb.179:
	global_load_u16 v4, v[8:9], off
	s_wait_loadcnt 0x0
	v_cvt_f64_u32_e32 v[4:5], v4
.LBB142_180:
	s_mov_b32 s29, 0
.LBB142_181:
	s_delay_alu instid0(SALU_CYCLE_1)
	s_and_not1_b32 vcc_lo, exec_lo, s29
	s_cbranch_vccnz .LBB142_187
; %bb.182:
	global_load_u8 v6, v[8:9], off
	s_mov_b32 s29, 0
	s_mov_b32 s35, exec_lo
	s_wait_loadcnt 0x0
	v_cmpx_lt_i16_e32 0x7f, v6
	s_xor_b32 s35, exec_lo, s35
	s_cbranch_execnz .LBB142_200
; %bb.183:
	s_or_saveexec_b32 s35, s35
	v_mov_b64_e32 v[4:5], 0x7ff8000020000000
	s_xor_b32 exec_lo, exec_lo, s35
	s_cbranch_execnz .LBB142_203
.LBB142_184:
	s_or_b32 exec_lo, exec_lo, s35
	s_and_saveexec_b32 s35, s29
	s_cbranch_execz .LBB142_186
.LBB142_185:
	v_and_b32_e32 v4, 0xffff, v6
	s_delay_alu instid0(VALU_DEP_1) | instskip(SKIP_1) | instid1(VALU_DEP_2)
	v_and_b32_e32 v5, 7, v4
	v_bfe_u32 v11, v4, 3, 4
	v_clz_i32_u32_e32 v7, v5
	s_delay_alu instid0(VALU_DEP_2) | instskip(NEXT) | instid1(VALU_DEP_2)
	v_cmp_eq_u32_e32 vcc_lo, 0, v11
	v_min_u32_e32 v7, 32, v7
	s_delay_alu instid0(VALU_DEP_1) | instskip(NEXT) | instid1(VALU_DEP_1)
	v_subrev_nc_u32_e32 v10, 28, v7
	v_dual_lshlrev_b32 v4, v10, v4 :: v_dual_sub_nc_u32 v7, 29, v7
	s_delay_alu instid0(VALU_DEP_1) | instskip(NEXT) | instid1(VALU_DEP_1)
	v_dual_lshlrev_b32 v6, 24, v6 :: v_dual_bitop2_b32 v4, 7, v4 bitop3:0x40
	v_dual_cndmask_b32 v7, v11, v7 :: v_dual_cndmask_b32 v4, v5, v4
	s_delay_alu instid0(VALU_DEP_2) | instskip(NEXT) | instid1(VALU_DEP_2)
	v_and_b32_e32 v5, 0x80000000, v6
	v_lshl_add_u32 v6, v7, 23, 0x3b800000
	s_delay_alu instid0(VALU_DEP_3) | instskip(NEXT) | instid1(VALU_DEP_1)
	v_lshlrev_b32_e32 v4, 20, v4
	v_or3_b32 v4, v5, v6, v4
	s_delay_alu instid0(VALU_DEP_1)
	v_cvt_f64_f32_e32 v[4:5], v4
.LBB142_186:
	s_or_b32 exec_lo, exec_lo, s35
.LBB142_187:
	v_mov_b64_e32 v[6:7], 0
	s_mov_b32 s29, -1
.LBB142_188:
	s_mov_b32 s35, 0
.LBB142_189:
	s_delay_alu instid0(SALU_CYCLE_1)
	s_and_b32 vcc_lo, exec_lo, s35
	s_cbranch_vccz .LBB142_223
; %bb.190:
	s_cmp_gt_i32 s27, 22
	s_cbranch_scc0 .LBB142_198
; %bb.191:
	s_cmp_lt_i32 s27, 24
	s_cbranch_scc1 .LBB142_199
; %bb.192:
	s_cmp_gt_i32 s27, 24
	s_cbranch_scc0 .LBB142_204
; %bb.193:
	global_load_u8 v6, v[8:9], off
	s_mov_b32 s29, 0
	s_mov_b32 s35, exec_lo
	s_wait_loadcnt 0x0
	v_cmpx_lt_i16_e32 0x7f, v6
	s_xor_b32 s35, exec_lo, s35
	s_cbranch_execnz .LBB142_275
; %bb.194:
	s_or_saveexec_b32 s35, s35
	v_mov_b64_e32 v[4:5], 0x7ff8000020000000
	s_xor_b32 exec_lo, exec_lo, s35
	s_cbranch_execnz .LBB142_278
.LBB142_195:
	s_or_b32 exec_lo, exec_lo, s35
	s_and_saveexec_b32 s35, s29
	s_cbranch_execz .LBB142_197
.LBB142_196:
	v_and_b32_e32 v4, 0xffff, v6
	s_delay_alu instid0(VALU_DEP_1) | instskip(SKIP_1) | instid1(VALU_DEP_2)
	v_and_b32_e32 v5, 3, v4
	v_bfe_u32 v11, v4, 2, 5
	v_clz_i32_u32_e32 v7, v5
	s_delay_alu instid0(VALU_DEP_2) | instskip(NEXT) | instid1(VALU_DEP_2)
	v_cmp_eq_u32_e32 vcc_lo, 0, v11
	v_min_u32_e32 v7, 32, v7
	s_delay_alu instid0(VALU_DEP_1) | instskip(NEXT) | instid1(VALU_DEP_1)
	v_subrev_nc_u32_e32 v10, 29, v7
	v_dual_lshlrev_b32 v4, v10, v4 :: v_dual_sub_nc_u32 v7, 30, v7
	s_delay_alu instid0(VALU_DEP_1) | instskip(NEXT) | instid1(VALU_DEP_1)
	v_dual_lshlrev_b32 v6, 24, v6 :: v_dual_bitop2_b32 v4, 3, v4 bitop3:0x40
	v_dual_cndmask_b32 v7, v11, v7 :: v_dual_cndmask_b32 v4, v5, v4
	s_delay_alu instid0(VALU_DEP_2) | instskip(NEXT) | instid1(VALU_DEP_2)
	v_and_b32_e32 v5, 0x80000000, v6
	v_lshl_add_u32 v6, v7, 23, 0x37800000
	s_delay_alu instid0(VALU_DEP_3) | instskip(NEXT) | instid1(VALU_DEP_1)
	v_lshlrev_b32_e32 v4, 21, v4
	v_or3_b32 v4, v5, v6, v4
	s_delay_alu instid0(VALU_DEP_1)
	v_cvt_f64_f32_e32 v[4:5], v4
.LBB142_197:
	s_or_b32 exec_lo, exec_lo, s35
	s_mov_b32 s29, 0
	s_branch .LBB142_205
.LBB142_198:
	s_mov_b32 s35, -1
                                        ; implicit-def: $vgpr4_vgpr5
	s_branch .LBB142_211
.LBB142_199:
	s_mov_b32 s29, -1
                                        ; implicit-def: $vgpr4_vgpr5
	s_branch .LBB142_208
.LBB142_200:
	s_mov_b32 s29, -1
	s_mov_b32 s36, exec_lo
	v_cmpx_eq_u16_e32 0x80, v6
; %bb.201:
	s_xor_b32 s29, exec_lo, -1
; %bb.202:
	s_or_b32 exec_lo, exec_lo, s36
	s_delay_alu instid0(SALU_CYCLE_1)
	s_and_b32 s29, s29, exec_lo
	s_or_saveexec_b32 s35, s35
	v_mov_b64_e32 v[4:5], 0x7ff8000020000000
	s_xor_b32 exec_lo, exec_lo, s35
	s_cbranch_execz .LBB142_184
.LBB142_203:
	v_cmp_ne_u16_e32 vcc_lo, 0, v6
	v_mov_b64_e32 v[4:5], 0
	s_and_not1_b32 s29, s29, exec_lo
	s_and_b32 s36, vcc_lo, exec_lo
	s_delay_alu instid0(SALU_CYCLE_1)
	s_or_b32 s29, s29, s36
	s_or_b32 exec_lo, exec_lo, s35
	s_and_saveexec_b32 s35, s29
	s_cbranch_execnz .LBB142_185
	s_branch .LBB142_186
.LBB142_204:
	s_mov_b32 s29, -1
                                        ; implicit-def: $vgpr4_vgpr5
.LBB142_205:
	s_delay_alu instid0(SALU_CYCLE_1)
	s_and_b32 vcc_lo, exec_lo, s29
	s_cbranch_vccz .LBB142_207
; %bb.206:
	global_load_u8 v4, v[8:9], off
	s_wait_loadcnt 0x0
	v_lshlrev_b32_e32 v4, 24, v4
	s_delay_alu instid0(VALU_DEP_1) | instskip(NEXT) | instid1(VALU_DEP_1)
	v_and_b32_e32 v5, 0x7f000000, v4
	v_clz_i32_u32_e32 v6, v5
	v_cmp_ne_u32_e32 vcc_lo, 0, v5
	v_add_nc_u32_e32 v10, 0x1000000, v5
	s_delay_alu instid0(VALU_DEP_3) | instskip(NEXT) | instid1(VALU_DEP_1)
	v_min_u32_e32 v6, 32, v6
	v_sub_nc_u32_e64 v6, v6, 4 clamp
	s_delay_alu instid0(VALU_DEP_1) | instskip(NEXT) | instid1(VALU_DEP_1)
	v_dual_lshlrev_b32 v7, v6, v5 :: v_dual_lshlrev_b32 v6, 23, v6
	v_lshrrev_b32_e32 v7, 4, v7
	s_delay_alu instid0(VALU_DEP_1) | instskip(SKIP_1) | instid1(VALU_DEP_2)
	v_sub_nc_u32_e32 v6, v7, v6
	v_ashrrev_i32_e32 v7, 8, v10
	v_add_nc_u32_e32 v6, 0x3c000000, v6
	s_delay_alu instid0(VALU_DEP_1) | instskip(NEXT) | instid1(VALU_DEP_1)
	v_and_or_b32 v6, 0x7f800000, v7, v6
	v_cndmask_b32_e32 v5, 0, v6, vcc_lo
	s_delay_alu instid0(VALU_DEP_1) | instskip(NEXT) | instid1(VALU_DEP_1)
	v_and_or_b32 v4, 0x80000000, v4, v5
	v_cvt_f64_f32_e32 v[4:5], v4
.LBB142_207:
	s_mov_b32 s29, 0
.LBB142_208:
	s_delay_alu instid0(SALU_CYCLE_1)
	s_and_not1_b32 vcc_lo, exec_lo, s29
	s_cbranch_vccnz .LBB142_210
; %bb.209:
	global_load_u8 v4, v[8:9], off
	s_wait_loadcnt 0x0
	v_lshlrev_b32_e32 v5, 25, v4
	v_lshlrev_b16 v4, 8, v4
	s_delay_alu instid0(VALU_DEP_1) | instskip(SKIP_1) | instid1(VALU_DEP_2)
	v_and_or_b32 v7, 0x7f00, v4, 0.5
	v_bfe_i32 v4, v4, 0, 16
	v_dual_add_f32 v7, -0.5, v7 :: v_dual_lshrrev_b32 v6, 4, v5
	v_cmp_gt_u32_e32 vcc_lo, 0x8000000, v5
	s_delay_alu instid0(VALU_DEP_2) | instskip(NEXT) | instid1(VALU_DEP_1)
	v_or_b32_e32 v6, 0x70000000, v6
	v_mul_f32_e32 v6, 0x7800000, v6
	s_delay_alu instid0(VALU_DEP_1) | instskip(NEXT) | instid1(VALU_DEP_1)
	v_cndmask_b32_e32 v5, v6, v7, vcc_lo
	v_and_or_b32 v4, 0x80000000, v4, v5
	s_delay_alu instid0(VALU_DEP_1)
	v_cvt_f64_f32_e32 v[4:5], v4
.LBB142_210:
	s_mov_b32 s35, 0
	s_mov_b32 s29, -1
.LBB142_211:
	s_and_not1_b32 vcc_lo, exec_lo, s35
	s_cbranch_vccnz .LBB142_222
; %bb.212:
	s_cmp_gt_i32 s27, 14
	s_cbranch_scc0 .LBB142_215
; %bb.213:
	s_cmp_eq_u32 s27, 15
	s_cbranch_scc0 .LBB142_216
; %bb.214:
	global_load_u16 v4, v[8:9], off
	s_mov_b32 s29, -1
	s_mov_b32 s30, 0
	s_wait_loadcnt 0x0
	v_lshlrev_b32_e32 v4, 16, v4
	s_delay_alu instid0(VALU_DEP_1)
	v_cvt_f64_f32_e32 v[4:5], v4
	s_branch .LBB142_217
.LBB142_215:
	s_mov_b32 s35, -1
                                        ; implicit-def: $vgpr4_vgpr5
	s_branch .LBB142_218
.LBB142_216:
	s_mov_b32 s30, -1
                                        ; implicit-def: $vgpr4_vgpr5
.LBB142_217:
	s_mov_b32 s35, 0
.LBB142_218:
	s_delay_alu instid0(SALU_CYCLE_1)
	s_and_b32 vcc_lo, exec_lo, s35
	s_cbranch_vccz .LBB142_222
; %bb.219:
	s_cmp_eq_u32 s27, 11
	s_cbranch_scc0 .LBB142_221
; %bb.220:
	global_load_u8 v4, v[8:9], off
	s_mov_b32 s30, 0
	s_mov_b32 s29, -1
	v_mov_b64_e32 v[6:7], 0
	s_wait_loadcnt 0x0
	v_cmp_ne_u16_e32 vcc_lo, 0, v4
	v_mov_b32_e32 v4, 0
	v_cndmask_b32_e64 v5, 0, 0x3ff00000, vcc_lo
	s_branch .LBB142_223
.LBB142_221:
	s_mov_b32 s30, -1
                                        ; implicit-def: $vgpr4_vgpr5
.LBB142_222:
	v_mov_b64_e32 v[6:7], 0
.LBB142_223:
	s_branch .LBB142_20
.LBB142_224:
	s_and_b32 s0, 0xffff, s0
	s_delay_alu instid0(SALU_CYCLE_1)
	s_cmp_lt_i32 s0, 5
	s_cbranch_scc1 .LBB142_229
; %bb.225:
	s_cmp_lt_i32 s0, 8
	s_cbranch_scc1 .LBB142_230
; %bb.226:
	;; [unrolled: 3-line block ×3, first 2 shown]
	s_cmp_gt_i32 s0, 9
	s_cbranch_scc0 .LBB142_232
; %bb.228:
	global_load_b128 v[4:7], v[8:9], off
	s_mov_b32 s27, 0
	s_branch .LBB142_233
.LBB142_229:
	s_mov_b32 s27, -1
                                        ; implicit-def: $vgpr6_vgpr7
	s_branch .LBB142_252
.LBB142_230:
	s_mov_b32 s27, -1
                                        ; implicit-def: $vgpr6_vgpr7
	s_branch .LBB142_239
.LBB142_231:
	s_mov_b32 s27, -1
                                        ; implicit-def: $vgpr6_vgpr7
	s_branch .LBB142_236
.LBB142_232:
	s_mov_b32 s27, -1
                                        ; implicit-def: $vgpr6_vgpr7
.LBB142_233:
	s_delay_alu instid0(SALU_CYCLE_1)
	s_and_not1_b32 vcc_lo, exec_lo, s27
	s_cbranch_vccnz .LBB142_235
; %bb.234:
	s_wait_loadcnt 0x0
	global_load_b64 v[6:7], v[8:9], off
	s_wait_loadcnt 0x0
	v_cvt_f64_f32_e32 v[4:5], v6
	v_cvt_f64_f32_e32 v[6:7], v7
.LBB142_235:
	s_mov_b32 s27, 0
.LBB142_236:
	s_delay_alu instid0(SALU_CYCLE_1)
	s_and_not1_b32 vcc_lo, exec_lo, s27
	s_cbranch_vccnz .LBB142_238
; %bb.237:
	s_wait_loadcnt 0x0
	global_load_b32 v4, v[8:9], off
	s_wait_loadcnt 0x0
	v_lshrrev_b32_e32 v5, 16, v4
	v_cvt_f32_f16_e32 v4, v4
	s_delay_alu instid0(VALU_DEP_2) | instskip(NEXT) | instid1(VALU_DEP_2)
	v_cvt_f32_f16_e32 v6, v5
	v_cvt_f64_f32_e32 v[4:5], v4
	s_delay_alu instid0(VALU_DEP_2)
	v_cvt_f64_f32_e32 v[6:7], v6
.LBB142_238:
	s_mov_b32 s27, 0
.LBB142_239:
	s_delay_alu instid0(SALU_CYCLE_1)
	s_and_not1_b32 vcc_lo, exec_lo, s27
	s_cbranch_vccnz .LBB142_251
; %bb.240:
	s_cmp_lt_i32 s0, 6
	s_cbranch_scc1 .LBB142_243
; %bb.241:
	s_cmp_gt_i32 s0, 6
	s_cbranch_scc0 .LBB142_244
; %bb.242:
	s_wait_loadcnt 0x0
	global_load_b64 v[4:5], v[8:9], off
	s_mov_b32 s27, 0
	s_branch .LBB142_245
.LBB142_243:
	s_mov_b32 s27, -1
                                        ; implicit-def: $vgpr4_vgpr5
	s_branch .LBB142_248
.LBB142_244:
	s_mov_b32 s27, -1
                                        ; implicit-def: $vgpr4_vgpr5
.LBB142_245:
	s_delay_alu instid0(SALU_CYCLE_1)
	s_and_not1_b32 vcc_lo, exec_lo, s27
	s_cbranch_vccnz .LBB142_247
; %bb.246:
	s_wait_loadcnt 0x0
	global_load_b32 v4, v[8:9], off
	s_wait_loadcnt 0x0
	v_cvt_f64_f32_e32 v[4:5], v4
.LBB142_247:
	s_mov_b32 s27, 0
.LBB142_248:
	s_delay_alu instid0(SALU_CYCLE_1)
	s_and_not1_b32 vcc_lo, exec_lo, s27
	s_cbranch_vccnz .LBB142_250
; %bb.249:
	s_wait_loadcnt 0x0
	global_load_u16 v4, v[8:9], off
	s_wait_loadcnt 0x0
	v_cvt_f32_f16_e32 v4, v4
	s_delay_alu instid0(VALU_DEP_1)
	v_cvt_f64_f32_e32 v[4:5], v4
.LBB142_250:
	s_wait_loadcnt 0x0
	v_mov_b64_e32 v[6:7], 0
.LBB142_251:
	s_mov_b32 s27, 0
.LBB142_252:
	s_delay_alu instid0(SALU_CYCLE_1)
	s_and_not1_b32 vcc_lo, exec_lo, s27
	s_cbranch_vccnz .LBB142_273
; %bb.253:
	s_cmp_lt_i32 s0, 2
	s_cbranch_scc1 .LBB142_257
; %bb.254:
	s_cmp_lt_i32 s0, 3
	s_cbranch_scc1 .LBB142_258
; %bb.255:
	s_cmp_gt_i32 s0, 3
	s_cbranch_scc0 .LBB142_259
; %bb.256:
	s_wait_loadcnt 0x0
	global_load_b64 v[4:5], v[8:9], off
	s_mov_b32 s27, 0
	s_wait_loadcnt 0x0
	v_cvt_f64_i32_e32 v[6:7], v5
	v_cvt_f64_u32_e32 v[4:5], v4
	s_delay_alu instid0(VALU_DEP_2) | instskip(NEXT) | instid1(VALU_DEP_1)
	v_ldexp_f64 v[6:7], v[6:7], 32
	v_add_f64_e32 v[4:5], v[6:7], v[4:5]
	s_branch .LBB142_260
.LBB142_257:
	s_mov_b32 s27, -1
                                        ; implicit-def: $vgpr4_vgpr5
	s_branch .LBB142_266
.LBB142_258:
	s_mov_b32 s27, -1
                                        ; implicit-def: $vgpr4_vgpr5
	s_branch .LBB142_263
.LBB142_259:
	s_mov_b32 s27, -1
                                        ; implicit-def: $vgpr4_vgpr5
.LBB142_260:
	s_delay_alu instid0(SALU_CYCLE_1)
	s_and_not1_b32 vcc_lo, exec_lo, s27
	s_cbranch_vccnz .LBB142_262
; %bb.261:
	s_wait_loadcnt 0x0
	global_load_b32 v4, v[8:9], off
	s_wait_loadcnt 0x0
	v_cvt_f64_i32_e32 v[4:5], v4
.LBB142_262:
	s_mov_b32 s27, 0
.LBB142_263:
	s_delay_alu instid0(SALU_CYCLE_1)
	s_and_not1_b32 vcc_lo, exec_lo, s27
	s_cbranch_vccnz .LBB142_265
; %bb.264:
	s_wait_loadcnt 0x0
	global_load_i16 v4, v[8:9], off
	s_wait_loadcnt 0x0
	v_cvt_f64_i32_e32 v[4:5], v4
.LBB142_265:
	s_mov_b32 s27, 0
.LBB142_266:
	s_delay_alu instid0(SALU_CYCLE_1)
	s_and_not1_b32 vcc_lo, exec_lo, s27
	s_cbranch_vccnz .LBB142_272
; %bb.267:
	s_cmp_gt_i32 s0, 0
	s_mov_b32 s0, 0
	s_cbranch_scc0 .LBB142_269
; %bb.268:
	s_wait_loadcnt 0x0
	global_load_i8 v4, v[8:9], off
	s_wait_loadcnt 0x0
	v_cvt_f64_i32_e32 v[4:5], v4
	s_branch .LBB142_270
.LBB142_269:
	s_mov_b32 s0, -1
                                        ; implicit-def: $vgpr4_vgpr5
.LBB142_270:
	s_delay_alu instid0(SALU_CYCLE_1)
	s_and_not1_b32 vcc_lo, exec_lo, s0
	s_cbranch_vccnz .LBB142_272
; %bb.271:
	s_wait_loadcnt 0x0
	global_load_u8 v4, v[8:9], off
	s_wait_loadcnt 0x0
	v_cvt_f64_u32_e32 v[4:5], v4
.LBB142_272:
	s_wait_loadcnt 0x0
	v_mov_b64_e32 v[6:7], 0
.LBB142_273:
	s_branch .LBB142_21
.LBB142_274:
	s_mov_b32 s0, 0
	s_mov_b32 s29, 0
	s_branch .LBB142_524
.LBB142_275:
	s_mov_b32 s29, -1
	s_mov_b32 s36, exec_lo
	v_cmpx_eq_u16_e32 0x80, v6
; %bb.276:
	s_xor_b32 s29, exec_lo, -1
; %bb.277:
	s_or_b32 exec_lo, exec_lo, s36
	s_delay_alu instid0(SALU_CYCLE_1)
	s_and_b32 s29, s29, exec_lo
	s_or_saveexec_b32 s35, s35
	v_mov_b64_e32 v[4:5], 0x7ff8000020000000
	s_xor_b32 exec_lo, exec_lo, s35
	s_cbranch_execz .LBB142_195
.LBB142_278:
	v_cmp_ne_u16_e32 vcc_lo, 0, v6
	v_mov_b64_e32 v[4:5], 0
	s_and_not1_b32 s29, s29, exec_lo
	s_and_b32 s36, vcc_lo, exec_lo
	s_delay_alu instid0(SALU_CYCLE_1)
	s_or_b32 s29, s29, s36
	s_or_b32 exec_lo, exec_lo, s35
	s_and_saveexec_b32 s35, s29
	s_cbranch_execnz .LBB142_196
	s_branch .LBB142_197
.LBB142_279:
	s_mov_b32 s29, -1
.LBB142_280:
	s_mov_b32 s27, 0
                                        ; implicit-def: $vgpr10_vgpr11
.LBB142_281:
	s_and_b32 vcc_lo, exec_lo, s35
	s_cbranch_vccz .LBB142_286
; %bb.282:
	s_cmp_eq_u32 s0, 44
	s_cbranch_scc0 .LBB142_284
; %bb.283:
	global_load_u8 v10, v[12:13], off
	s_mov_b32 s29, 0
	s_mov_b32 s27, -1
	s_wait_loadcnt 0x0
	v_cmp_ne_u32_e32 vcc_lo, 0xff, v10
	v_lshlrev_b32_e32 v8, 23, v10
	s_delay_alu instid0(VALU_DEP_1) | instskip(NEXT) | instid1(VALU_DEP_1)
	v_cvt_f64_f32_e32 v[8:9], v8
	v_cndmask_b32_e32 v8, 0x20000000, v8, vcc_lo
	s_delay_alu instid0(VALU_DEP_2) | instskip(SKIP_1) | instid1(VALU_DEP_2)
	v_cndmask_b32_e32 v9, 0x7ff80000, v9, vcc_lo
	v_cmp_ne_u32_e32 vcc_lo, 0, v10
	v_cndmask_b32_e32 v9, 0x38000000, v9, vcc_lo
	s_delay_alu instid0(VALU_DEP_4)
	v_cndmask_b32_e32 v8, 0, v8, vcc_lo
	s_branch .LBB142_285
.LBB142_284:
	s_mov_b32 s29, -1
                                        ; implicit-def: $vgpr8_vgpr9
.LBB142_285:
	v_mov_b64_e32 v[10:11], 0
.LBB142_286:
	s_mov_b32 s35, 0
.LBB142_287:
	s_delay_alu instid0(SALU_CYCLE_1)
	s_and_b32 vcc_lo, exec_lo, s35
	s_cbranch_vccz .LBB142_292
; %bb.288:
	s_cmp_eq_u32 s0, 29
	s_cbranch_scc0 .LBB142_290
; %bb.289:
	global_load_b64 v[8:9], v[12:13], off
	s_mov_b32 s27, -1
	s_mov_b32 s29, 0
	s_wait_loadcnt 0x0
	v_cvt_f64_u32_e32 v[10:11], v9
	v_cvt_f64_u32_e32 v[8:9], v8
	s_delay_alu instid0(VALU_DEP_2) | instskip(NEXT) | instid1(VALU_DEP_1)
	v_ldexp_f64 v[10:11], v[10:11], 32
	v_add_f64_e32 v[8:9], v[10:11], v[8:9]
	s_branch .LBB142_291
.LBB142_290:
	s_mov_b32 s29, -1
                                        ; implicit-def: $vgpr8_vgpr9
.LBB142_291:
	v_mov_b64_e32 v[10:11], 0
.LBB142_292:
	s_mov_b32 s35, 0
.LBB142_293:
	s_delay_alu instid0(SALU_CYCLE_1)
	s_and_b32 vcc_lo, exec_lo, s35
	s_cbranch_vccz .LBB142_309
; %bb.294:
	s_cmp_lt_i32 s0, 27
	s_cbranch_scc1 .LBB142_297
; %bb.295:
	s_cmp_gt_i32 s0, 27
	s_cbranch_scc0 .LBB142_298
; %bb.296:
	global_load_b32 v8, v[12:13], off
	s_mov_b32 s27, 0
	s_wait_loadcnt 0x0
	v_cvt_f64_u32_e32 v[8:9], v8
	s_branch .LBB142_299
.LBB142_297:
	s_mov_b32 s27, -1
                                        ; implicit-def: $vgpr8_vgpr9
	s_branch .LBB142_302
.LBB142_298:
	s_mov_b32 s27, -1
                                        ; implicit-def: $vgpr8_vgpr9
.LBB142_299:
	s_delay_alu instid0(SALU_CYCLE_1)
	s_and_not1_b32 vcc_lo, exec_lo, s27
	s_cbranch_vccnz .LBB142_301
; %bb.300:
	global_load_u16 v8, v[12:13], off
	s_wait_loadcnt 0x0
	v_cvt_f64_u32_e32 v[8:9], v8
.LBB142_301:
	s_mov_b32 s27, 0
.LBB142_302:
	s_delay_alu instid0(SALU_CYCLE_1)
	s_and_not1_b32 vcc_lo, exec_lo, s27
	s_cbranch_vccnz .LBB142_308
; %bb.303:
	global_load_u8 v10, v[12:13], off
	s_mov_b32 s27, 0
	s_mov_b32 s35, exec_lo
	s_wait_loadcnt 0x0
	v_cmpx_lt_i16_e32 0x7f, v10
	s_xor_b32 s35, exec_lo, s35
	s_cbranch_execnz .LBB142_321
; %bb.304:
	s_or_saveexec_b32 s35, s35
	v_mov_b64_e32 v[8:9], 0x7ff8000020000000
	s_xor_b32 exec_lo, exec_lo, s35
	s_cbranch_execnz .LBB142_324
.LBB142_305:
	s_or_b32 exec_lo, exec_lo, s35
	s_and_saveexec_b32 s35, s27
	s_cbranch_execz .LBB142_307
.LBB142_306:
	v_and_b32_e32 v8, 0xffff, v10
	s_delay_alu instid0(VALU_DEP_1) | instskip(SKIP_1) | instid1(VALU_DEP_2)
	v_and_b32_e32 v9, 7, v8
	v_bfe_u32 v15, v8, 3, 4
	v_clz_i32_u32_e32 v11, v9
	s_delay_alu instid0(VALU_DEP_2) | instskip(NEXT) | instid1(VALU_DEP_2)
	v_cmp_eq_u32_e32 vcc_lo, 0, v15
	v_min_u32_e32 v11, 32, v11
	s_delay_alu instid0(VALU_DEP_1) | instskip(NEXT) | instid1(VALU_DEP_1)
	v_subrev_nc_u32_e32 v14, 28, v11
	v_dual_lshlrev_b32 v8, v14, v8 :: v_dual_sub_nc_u32 v11, 29, v11
	s_delay_alu instid0(VALU_DEP_1) | instskip(NEXT) | instid1(VALU_DEP_1)
	v_dual_lshlrev_b32 v10, 24, v10 :: v_dual_bitop2_b32 v8, 7, v8 bitop3:0x40
	v_dual_cndmask_b32 v11, v15, v11 :: v_dual_cndmask_b32 v8, v9, v8
	s_delay_alu instid0(VALU_DEP_2) | instskip(NEXT) | instid1(VALU_DEP_2)
	v_and_b32_e32 v9, 0x80000000, v10
	v_lshl_add_u32 v10, v11, 23, 0x3b800000
	s_delay_alu instid0(VALU_DEP_3) | instskip(NEXT) | instid1(VALU_DEP_1)
	v_lshlrev_b32_e32 v8, 20, v8
	v_or3_b32 v8, v9, v10, v8
	s_delay_alu instid0(VALU_DEP_1)
	v_cvt_f64_f32_e32 v[8:9], v8
.LBB142_307:
	s_or_b32 exec_lo, exec_lo, s35
.LBB142_308:
	v_mov_b64_e32 v[10:11], 0
	s_mov_b32 s27, -1
.LBB142_309:
	s_mov_b32 s35, 0
.LBB142_310:
	s_delay_alu instid0(SALU_CYCLE_1)
	s_and_b32 vcc_lo, exec_lo, s35
	s_cbranch_vccz .LBB142_344
; %bb.311:
	s_cmp_gt_i32 s0, 22
	s_cbranch_scc0 .LBB142_319
; %bb.312:
	s_cmp_lt_i32 s0, 24
	s_cbranch_scc1 .LBB142_320
; %bb.313:
	s_cmp_gt_i32 s0, 24
	s_cbranch_scc0 .LBB142_325
; %bb.314:
	global_load_u8 v10, v[12:13], off
	s_mov_b32 s27, 0
	s_mov_b32 s35, exec_lo
	s_wait_loadcnt 0x0
	v_cmpx_lt_i16_e32 0x7f, v10
	s_xor_b32 s35, exec_lo, s35
	s_cbranch_execnz .LBB142_409
; %bb.315:
	s_or_saveexec_b32 s35, s35
	v_mov_b64_e32 v[8:9], 0x7ff8000020000000
	s_xor_b32 exec_lo, exec_lo, s35
	s_cbranch_execnz .LBB142_412
.LBB142_316:
	s_or_b32 exec_lo, exec_lo, s35
	s_and_saveexec_b32 s35, s27
	s_cbranch_execz .LBB142_318
.LBB142_317:
	v_and_b32_e32 v8, 0xffff, v10
	s_delay_alu instid0(VALU_DEP_1) | instskip(SKIP_1) | instid1(VALU_DEP_2)
	v_and_b32_e32 v9, 3, v8
	v_bfe_u32 v15, v8, 2, 5
	v_clz_i32_u32_e32 v11, v9
	s_delay_alu instid0(VALU_DEP_2) | instskip(NEXT) | instid1(VALU_DEP_2)
	v_cmp_eq_u32_e32 vcc_lo, 0, v15
	v_min_u32_e32 v11, 32, v11
	s_delay_alu instid0(VALU_DEP_1) | instskip(NEXT) | instid1(VALU_DEP_1)
	v_subrev_nc_u32_e32 v14, 29, v11
	v_dual_lshlrev_b32 v8, v14, v8 :: v_dual_sub_nc_u32 v11, 30, v11
	s_delay_alu instid0(VALU_DEP_1) | instskip(NEXT) | instid1(VALU_DEP_1)
	v_dual_lshlrev_b32 v10, 24, v10 :: v_dual_bitop2_b32 v8, 3, v8 bitop3:0x40
	v_dual_cndmask_b32 v11, v15, v11 :: v_dual_cndmask_b32 v8, v9, v8
	s_delay_alu instid0(VALU_DEP_2) | instskip(NEXT) | instid1(VALU_DEP_2)
	v_and_b32_e32 v9, 0x80000000, v10
	v_lshl_add_u32 v10, v11, 23, 0x37800000
	s_delay_alu instid0(VALU_DEP_3) | instskip(NEXT) | instid1(VALU_DEP_1)
	v_lshlrev_b32_e32 v8, 21, v8
	v_or3_b32 v8, v9, v10, v8
	s_delay_alu instid0(VALU_DEP_1)
	v_cvt_f64_f32_e32 v[8:9], v8
.LBB142_318:
	s_or_b32 exec_lo, exec_lo, s35
	s_mov_b32 s27, 0
	s_branch .LBB142_326
.LBB142_319:
	s_mov_b32 s35, -1
                                        ; implicit-def: $vgpr8_vgpr9
	s_branch .LBB142_332
.LBB142_320:
	s_mov_b32 s27, -1
                                        ; implicit-def: $vgpr8_vgpr9
	s_branch .LBB142_329
.LBB142_321:
	s_mov_b32 s27, -1
	s_mov_b32 s36, exec_lo
	v_cmpx_eq_u16_e32 0x80, v10
; %bb.322:
	s_xor_b32 s27, exec_lo, -1
; %bb.323:
	s_or_b32 exec_lo, exec_lo, s36
	s_delay_alu instid0(SALU_CYCLE_1)
	s_and_b32 s27, s27, exec_lo
	s_or_saveexec_b32 s35, s35
	v_mov_b64_e32 v[8:9], 0x7ff8000020000000
	s_xor_b32 exec_lo, exec_lo, s35
	s_cbranch_execz .LBB142_305
.LBB142_324:
	v_cmp_ne_u16_e32 vcc_lo, 0, v10
	v_mov_b64_e32 v[8:9], 0
	s_and_not1_b32 s27, s27, exec_lo
	s_and_b32 s36, vcc_lo, exec_lo
	s_delay_alu instid0(SALU_CYCLE_1)
	s_or_b32 s27, s27, s36
	s_or_b32 exec_lo, exec_lo, s35
	s_and_saveexec_b32 s35, s27
	s_cbranch_execnz .LBB142_306
	s_branch .LBB142_307
.LBB142_325:
	s_mov_b32 s27, -1
                                        ; implicit-def: $vgpr8_vgpr9
.LBB142_326:
	s_delay_alu instid0(SALU_CYCLE_1)
	s_and_b32 vcc_lo, exec_lo, s27
	s_cbranch_vccz .LBB142_328
; %bb.327:
	global_load_u8 v8, v[12:13], off
	s_wait_loadcnt 0x0
	v_lshlrev_b32_e32 v8, 24, v8
	s_delay_alu instid0(VALU_DEP_1) | instskip(NEXT) | instid1(VALU_DEP_1)
	v_and_b32_e32 v9, 0x7f000000, v8
	v_clz_i32_u32_e32 v10, v9
	v_cmp_ne_u32_e32 vcc_lo, 0, v9
	v_add_nc_u32_e32 v14, 0x1000000, v9
	s_delay_alu instid0(VALU_DEP_3) | instskip(NEXT) | instid1(VALU_DEP_1)
	v_min_u32_e32 v10, 32, v10
	v_sub_nc_u32_e64 v10, v10, 4 clamp
	s_delay_alu instid0(VALU_DEP_1) | instskip(NEXT) | instid1(VALU_DEP_1)
	v_dual_lshlrev_b32 v11, v10, v9 :: v_dual_lshlrev_b32 v10, 23, v10
	v_lshrrev_b32_e32 v11, 4, v11
	s_delay_alu instid0(VALU_DEP_1) | instskip(SKIP_1) | instid1(VALU_DEP_2)
	v_sub_nc_u32_e32 v10, v11, v10
	v_ashrrev_i32_e32 v11, 8, v14
	v_add_nc_u32_e32 v10, 0x3c000000, v10
	s_delay_alu instid0(VALU_DEP_1) | instskip(NEXT) | instid1(VALU_DEP_1)
	v_and_or_b32 v10, 0x7f800000, v11, v10
	v_cndmask_b32_e32 v9, 0, v10, vcc_lo
	s_delay_alu instid0(VALU_DEP_1) | instskip(NEXT) | instid1(VALU_DEP_1)
	v_and_or_b32 v8, 0x80000000, v8, v9
	v_cvt_f64_f32_e32 v[8:9], v8
.LBB142_328:
	s_mov_b32 s27, 0
.LBB142_329:
	s_delay_alu instid0(SALU_CYCLE_1)
	s_and_not1_b32 vcc_lo, exec_lo, s27
	s_cbranch_vccnz .LBB142_331
; %bb.330:
	global_load_u8 v8, v[12:13], off
	s_wait_loadcnt 0x0
	v_lshlrev_b32_e32 v9, 25, v8
	v_lshlrev_b16 v8, 8, v8
	s_delay_alu instid0(VALU_DEP_1) | instskip(SKIP_1) | instid1(VALU_DEP_2)
	v_and_or_b32 v11, 0x7f00, v8, 0.5
	v_bfe_i32 v8, v8, 0, 16
	v_dual_add_f32 v11, -0.5, v11 :: v_dual_lshrrev_b32 v10, 4, v9
	v_cmp_gt_u32_e32 vcc_lo, 0x8000000, v9
	s_delay_alu instid0(VALU_DEP_2) | instskip(NEXT) | instid1(VALU_DEP_1)
	v_or_b32_e32 v10, 0x70000000, v10
	v_mul_f32_e32 v10, 0x7800000, v10
	s_delay_alu instid0(VALU_DEP_1) | instskip(NEXT) | instid1(VALU_DEP_1)
	v_cndmask_b32_e32 v9, v10, v11, vcc_lo
	v_and_or_b32 v8, 0x80000000, v8, v9
	s_delay_alu instid0(VALU_DEP_1)
	v_cvt_f64_f32_e32 v[8:9], v8
.LBB142_331:
	s_mov_b32 s35, 0
	s_mov_b32 s27, -1
.LBB142_332:
	s_and_not1_b32 vcc_lo, exec_lo, s35
	s_cbranch_vccnz .LBB142_343
; %bb.333:
	s_cmp_gt_i32 s0, 14
	s_cbranch_scc0 .LBB142_336
; %bb.334:
	s_cmp_eq_u32 s0, 15
	s_cbranch_scc0 .LBB142_337
; %bb.335:
	global_load_u16 v8, v[12:13], off
	s_mov_b32 s27, -1
	s_mov_b32 s29, 0
	s_wait_loadcnt 0x0
	v_lshlrev_b32_e32 v8, 16, v8
	s_delay_alu instid0(VALU_DEP_1)
	v_cvt_f64_f32_e32 v[8:9], v8
	s_branch .LBB142_338
.LBB142_336:
	s_mov_b32 s35, -1
                                        ; implicit-def: $vgpr8_vgpr9
	s_branch .LBB142_339
.LBB142_337:
	s_mov_b32 s29, -1
                                        ; implicit-def: $vgpr8_vgpr9
.LBB142_338:
	s_mov_b32 s35, 0
.LBB142_339:
	s_delay_alu instid0(SALU_CYCLE_1)
	s_and_b32 vcc_lo, exec_lo, s35
	s_cbranch_vccz .LBB142_343
; %bb.340:
	s_cmp_eq_u32 s0, 11
	s_cbranch_scc0 .LBB142_342
; %bb.341:
	global_load_u8 v8, v[12:13], off
	s_mov_b32 s29, 0
	s_mov_b32 s27, -1
	v_mov_b64_e32 v[10:11], 0
	s_wait_loadcnt 0x0
	v_cmp_ne_u16_e32 vcc_lo, 0, v8
	v_mov_b32_e32 v8, 0
	v_cndmask_b32_e64 v9, 0, 0x3ff00000, vcc_lo
	s_branch .LBB142_344
.LBB142_342:
	s_mov_b32 s29, -1
                                        ; implicit-def: $vgpr8_vgpr9
.LBB142_343:
	v_mov_b64_e32 v[10:11], 0
.LBB142_344:
	s_mov_b32 s35, 0
.LBB142_345:
	s_delay_alu instid0(SALU_CYCLE_1)
	s_and_b32 vcc_lo, exec_lo, s35
	s_cbranch_vccz .LBB142_396
; %bb.346:
	s_cmp_lt_i32 s0, 5
	s_cbranch_scc1 .LBB142_351
; %bb.347:
	s_cmp_lt_i32 s0, 8
	s_cbranch_scc1 .LBB142_352
	;; [unrolled: 3-line block ×3, first 2 shown]
; %bb.349:
	s_cmp_gt_i32 s0, 9
	s_cbranch_scc0 .LBB142_354
; %bb.350:
	global_load_b128 v[8:11], v[12:13], off
	s_mov_b32 s27, 0
	s_branch .LBB142_355
.LBB142_351:
	s_mov_b32 s27, -1
                                        ; implicit-def: $vgpr10_vgpr11
	s_branch .LBB142_374
.LBB142_352:
	s_mov_b32 s27, -1
                                        ; implicit-def: $vgpr10_vgpr11
	s_branch .LBB142_361
.LBB142_353:
	s_mov_b32 s27, -1
                                        ; implicit-def: $vgpr10_vgpr11
	s_branch .LBB142_358
.LBB142_354:
	s_mov_b32 s27, -1
                                        ; implicit-def: $vgpr10_vgpr11
.LBB142_355:
	s_delay_alu instid0(SALU_CYCLE_1)
	s_and_not1_b32 vcc_lo, exec_lo, s27
	s_cbranch_vccnz .LBB142_357
; %bb.356:
	s_wait_loadcnt 0x0
	global_load_b64 v[10:11], v[12:13], off
	s_wait_loadcnt 0x0
	v_cvt_f64_f32_e32 v[8:9], v10
	v_cvt_f64_f32_e32 v[10:11], v11
.LBB142_357:
	s_mov_b32 s27, 0
.LBB142_358:
	s_delay_alu instid0(SALU_CYCLE_1)
	s_and_not1_b32 vcc_lo, exec_lo, s27
	s_cbranch_vccnz .LBB142_360
; %bb.359:
	s_wait_loadcnt 0x0
	global_load_b32 v8, v[12:13], off
	s_wait_loadcnt 0x0
	v_lshrrev_b32_e32 v9, 16, v8
	v_cvt_f32_f16_e32 v8, v8
	s_delay_alu instid0(VALU_DEP_2) | instskip(NEXT) | instid1(VALU_DEP_2)
	v_cvt_f32_f16_e32 v10, v9
	v_cvt_f64_f32_e32 v[8:9], v8
	s_delay_alu instid0(VALU_DEP_2)
	v_cvt_f64_f32_e32 v[10:11], v10
.LBB142_360:
	s_mov_b32 s27, 0
.LBB142_361:
	s_delay_alu instid0(SALU_CYCLE_1)
	s_and_not1_b32 vcc_lo, exec_lo, s27
	s_cbranch_vccnz .LBB142_373
; %bb.362:
	s_cmp_lt_i32 s0, 6
	s_cbranch_scc1 .LBB142_365
; %bb.363:
	s_cmp_gt_i32 s0, 6
	s_cbranch_scc0 .LBB142_366
; %bb.364:
	s_wait_loadcnt 0x0
	global_load_b64 v[8:9], v[12:13], off
	s_mov_b32 s27, 0
	s_branch .LBB142_367
.LBB142_365:
	s_mov_b32 s27, -1
                                        ; implicit-def: $vgpr8_vgpr9
	s_branch .LBB142_370
.LBB142_366:
	s_mov_b32 s27, -1
                                        ; implicit-def: $vgpr8_vgpr9
.LBB142_367:
	s_delay_alu instid0(SALU_CYCLE_1)
	s_and_not1_b32 vcc_lo, exec_lo, s27
	s_cbranch_vccnz .LBB142_369
; %bb.368:
	s_wait_loadcnt 0x0
	global_load_b32 v8, v[12:13], off
	s_wait_loadcnt 0x0
	v_cvt_f64_f32_e32 v[8:9], v8
.LBB142_369:
	s_mov_b32 s27, 0
.LBB142_370:
	s_delay_alu instid0(SALU_CYCLE_1)
	s_and_not1_b32 vcc_lo, exec_lo, s27
	s_cbranch_vccnz .LBB142_372
; %bb.371:
	s_wait_loadcnt 0x0
	global_load_u16 v8, v[12:13], off
	s_wait_loadcnt 0x0
	v_cvt_f32_f16_e32 v8, v8
	s_delay_alu instid0(VALU_DEP_1)
	v_cvt_f64_f32_e32 v[8:9], v8
.LBB142_372:
	s_wait_loadcnt 0x0
	v_mov_b64_e32 v[10:11], 0
.LBB142_373:
	s_mov_b32 s27, 0
.LBB142_374:
	s_delay_alu instid0(SALU_CYCLE_1)
	s_and_not1_b32 vcc_lo, exec_lo, s27
	s_cbranch_vccnz .LBB142_395
; %bb.375:
	s_cmp_lt_i32 s0, 2
	s_cbranch_scc1 .LBB142_379
; %bb.376:
	s_cmp_lt_i32 s0, 3
	s_cbranch_scc1 .LBB142_380
; %bb.377:
	s_cmp_gt_i32 s0, 3
	s_cbranch_scc0 .LBB142_381
; %bb.378:
	s_wait_loadcnt 0x0
	global_load_b64 v[8:9], v[12:13], off
	s_mov_b32 s27, 0
	s_wait_loadcnt 0x0
	v_cvt_f64_i32_e32 v[10:11], v9
	v_cvt_f64_u32_e32 v[8:9], v8
	s_delay_alu instid0(VALU_DEP_2) | instskip(NEXT) | instid1(VALU_DEP_1)
	v_ldexp_f64 v[10:11], v[10:11], 32
	v_add_f64_e32 v[8:9], v[10:11], v[8:9]
	s_branch .LBB142_382
.LBB142_379:
	s_mov_b32 s27, -1
                                        ; implicit-def: $vgpr8_vgpr9
	s_branch .LBB142_388
.LBB142_380:
	s_mov_b32 s27, -1
                                        ; implicit-def: $vgpr8_vgpr9
	s_branch .LBB142_385
.LBB142_381:
	s_mov_b32 s27, -1
                                        ; implicit-def: $vgpr8_vgpr9
.LBB142_382:
	s_delay_alu instid0(SALU_CYCLE_1)
	s_and_not1_b32 vcc_lo, exec_lo, s27
	s_cbranch_vccnz .LBB142_384
; %bb.383:
	s_wait_loadcnt 0x0
	global_load_b32 v8, v[12:13], off
	s_wait_loadcnt 0x0
	v_cvt_f64_i32_e32 v[8:9], v8
.LBB142_384:
	s_mov_b32 s27, 0
.LBB142_385:
	s_delay_alu instid0(SALU_CYCLE_1)
	s_and_not1_b32 vcc_lo, exec_lo, s27
	s_cbranch_vccnz .LBB142_387
; %bb.386:
	s_wait_loadcnt 0x0
	global_load_i16 v8, v[12:13], off
	s_wait_loadcnt 0x0
	v_cvt_f64_i32_e32 v[8:9], v8
.LBB142_387:
	s_mov_b32 s27, 0
.LBB142_388:
	s_delay_alu instid0(SALU_CYCLE_1)
	s_and_not1_b32 vcc_lo, exec_lo, s27
	s_cbranch_vccnz .LBB142_394
; %bb.389:
	s_cmp_gt_i32 s0, 0
	s_mov_b32 s0, 0
	s_cbranch_scc0 .LBB142_391
; %bb.390:
	s_wait_loadcnt 0x0
	global_load_i8 v8, v[12:13], off
	s_wait_loadcnt 0x0
	v_cvt_f64_i32_e32 v[8:9], v8
	s_branch .LBB142_392
.LBB142_391:
	s_mov_b32 s0, -1
                                        ; implicit-def: $vgpr8_vgpr9
.LBB142_392:
	s_delay_alu instid0(SALU_CYCLE_1)
	s_and_not1_b32 vcc_lo, exec_lo, s0
	s_cbranch_vccnz .LBB142_394
; %bb.393:
	s_wait_loadcnt 0x0
	global_load_u8 v8, v[12:13], off
	s_wait_loadcnt 0x0
	v_cvt_f64_u32_e32 v[8:9], v8
.LBB142_394:
	s_wait_loadcnt 0x0
	v_mov_b64_e32 v[10:11], 0
.LBB142_395:
	s_mov_b32 s27, -1
.LBB142_396:
	s_delay_alu instid0(SALU_CYCLE_1)
	s_and_not1_b32 vcc_lo, exec_lo, s27
	s_cbranch_vccnz .LBB142_404
; %bb.397:
	s_wait_loadcnt 0x0
	s_delay_alu instid0(VALU_DEP_4) | instskip(SKIP_2) | instid1(SALU_CYCLE_1)
	v_mul_f64_e32 v[12:13], s[16:17], v[6:7]
	v_mul_f64_e32 v[6:7], s[18:19], v[6:7]
	s_and_b32 s27, s2, 0xff
	s_cmp_lt_i32 s27, 11
	s_delay_alu instid0(VALU_DEP_2) | instskip(NEXT) | instid1(VALU_DEP_2)
	v_fmac_f64_e32 v[12:13], s[18:19], v[4:5]
	v_fma_f64 v[4:5], s[16:17], v[4:5], -v[6:7]
	v_mul_f64_e32 v[6:7], s[14:15], v[2:3]
	v_mul_f64_e32 v[2:3], s[12:13], v[2:3]
	s_delay_alu instid0(VALU_DEP_4) | instskip(NEXT) | instid1(VALU_DEP_4)
	v_mul_f64_e32 v[14:15], v[12:13], v[10:11]
	v_mul_f64_e32 v[10:11], v[4:5], v[10:11]
	s_delay_alu instid0(VALU_DEP_4) | instskip(NEXT) | instid1(VALU_DEP_4)
	v_fma_f64 v[6:7], s[12:13], v[0:1], -v[6:7]
	v_fmac_f64_e32 v[2:3], s[14:15], v[0:1]
	s_delay_alu instid0(VALU_DEP_4) | instskip(NEXT) | instid1(VALU_DEP_4)
	v_fma_f64 v[0:1], v[4:5], v[8:9], -v[14:15]
	v_fmac_f64_e32 v[10:11], v[12:13], v[8:9]
	v_mul_lo_u32 v4, v50, s20
	s_delay_alu instid0(VALU_DEP_1) | instskip(NEXT) | instid1(VALU_DEP_1)
	v_ashrrev_i32_e32 v5, 31, v4
	v_add_nc_u64_e32 v[4:5], s[4:5], v[4:5]
	v_add_f64_e32 v[0:1], v[6:7], v[0:1]
	v_add_f64_e32 v[2:3], v[2:3], v[10:11]
	s_cbranch_scc1 .LBB142_405
; %bb.398:
	s_and_b32 s35, 0xffff, s27
	s_delay_alu instid0(SALU_CYCLE_1)
	s_cmp_gt_i32 s35, 25
	s_cbranch_scc0 .LBB142_406
; %bb.399:
	s_cmp_gt_i32 s35, 28
	s_cbranch_scc0 .LBB142_407
; %bb.400:
	;; [unrolled: 3-line block ×4, first 2 shown]
	s_mov_b32 s37, 0
	s_mov_b32 s0, -1
	s_cmp_eq_u32 s35, 46
	s_mov_b32 s36, 0
	s_cbranch_scc0 .LBB142_414
; %bb.403:
	s_delay_alu instid0(VALU_DEP_1) | instskip(NEXT) | instid1(VALU_DEP_3)
	v_cvt_f32_f64_e32 v6, v[2:3]
	v_cvt_f32_f64_e32 v7, v[0:1]
	s_mov_b32 s36, -1
	s_mov_b32 s0, 0
	s_delay_alu instid0(VALU_DEP_2) | instskip(NEXT) | instid1(VALU_DEP_2)
	v_bfe_u32 v8, v6, 16, 1
	v_bfe_u32 v9, v7, 16, 1
	v_cmp_o_f32_e32 vcc_lo, v6, v6
	s_delay_alu instid0(VALU_DEP_3) | instskip(NEXT) | instid1(VALU_DEP_3)
	v_add3_u32 v8, v6, v8, 0x7fff
	v_add3_u32 v9, v7, v9, 0x7fff
	s_delay_alu instid0(VALU_DEP_2) | instskip(NEXT) | instid1(VALU_DEP_1)
	v_and_b32_e32 v8, 0xffff0000, v8
	v_dual_cndmask_b32 v6, 0x7fc00000, v8 :: v_dual_lshrrev_b32 v9, 16, v9
	v_cmp_o_f32_e32 vcc_lo, v7, v7
	s_delay_alu instid0(VALU_DEP_2) | instskip(NEXT) | instid1(VALU_DEP_1)
	v_cndmask_b32_e32 v7, 0x7fc0, v9, vcc_lo
	v_or_b32_e32 v6, v6, v7
	global_store_b32 v[4:5], v6, off
	s_branch .LBB142_414
.LBB142_404:
	s_mov_b32 s0, 0
	s_branch .LBB142_524
.LBB142_405:
	s_mov_b32 s35, -1
	s_mov_b32 s0, 0
	s_mov_b32 s36, 0
	s_branch .LBB142_483
.LBB142_406:
	s_mov_b32 s0, 0
	s_mov_b32 s36, 0
	s_branch .LBB142_441
.LBB142_407:
	s_mov_b32 s0, 0
	s_mov_b32 s36, 0
	s_branch .LBB142_424
.LBB142_408:
	s_mov_b32 s0, 0
	s_mov_b32 s36, 0
	s_branch .LBB142_420
.LBB142_409:
	s_mov_b32 s27, -1
	s_mov_b32 s36, exec_lo
	v_cmpx_eq_u16_e32 0x80, v10
; %bb.410:
	s_xor_b32 s27, exec_lo, -1
; %bb.411:
	s_or_b32 exec_lo, exec_lo, s36
	s_delay_alu instid0(SALU_CYCLE_1)
	s_and_b32 s27, s27, exec_lo
	s_or_saveexec_b32 s35, s35
	v_mov_b64_e32 v[8:9], 0x7ff8000020000000
	s_xor_b32 exec_lo, exec_lo, s35
	s_cbranch_execz .LBB142_316
.LBB142_412:
	v_cmp_ne_u16_e32 vcc_lo, 0, v10
	v_mov_b64_e32 v[8:9], 0
	s_and_not1_b32 s27, s27, exec_lo
	s_and_b32 s36, vcc_lo, exec_lo
	s_delay_alu instid0(SALU_CYCLE_1)
	s_or_b32 s27, s27, s36
	s_or_b32 exec_lo, exec_lo, s35
	s_and_saveexec_b32 s35, s27
	s_cbranch_execnz .LBB142_317
	s_branch .LBB142_318
.LBB142_413:
	s_mov_b32 s0, 0
	s_mov_b32 s36, 0
.LBB142_414:
	s_and_b32 vcc_lo, exec_lo, s37
	s_cbranch_vccz .LBB142_419
; %bb.415:
	s_cmp_eq_u32 s35, 44
	s_mov_b32 s0, -1
	s_cbranch_scc0 .LBB142_419
; %bb.416:
	s_wait_xcnt 0x0
	s_delay_alu instid0(VALU_DEP_2) | instskip(SKIP_2) | instid1(VALU_DEP_2)
	v_cvt_f32_f64_e32 v6, v[0:1]
	v_mov_b32_e32 v7, 0xff
	s_mov_b32 s36, exec_lo
	v_bfe_u32 v8, v6, 23, 8
	s_delay_alu instid0(VALU_DEP_1)
	v_cmpx_ne_u32_e32 0xff, v8
	s_cbranch_execz .LBB142_418
; %bb.417:
	v_and_b32_e32 v7, 0x400000, v6
	v_and_or_b32 v8, 0x3fffff, v6, v8
	v_lshrrev_b32_e32 v6, 23, v6
	s_delay_alu instid0(VALU_DEP_3) | instskip(NEXT) | instid1(VALU_DEP_3)
	v_cmp_ne_u32_e32 vcc_lo, 0, v7
	v_cmp_ne_u32_e64 s0, 0, v8
	s_and_b32 s0, vcc_lo, s0
	s_delay_alu instid0(SALU_CYCLE_1) | instskip(NEXT) | instid1(VALU_DEP_1)
	v_cndmask_b32_e64 v7, 0, 1, s0
	v_add_nc_u32_e32 v7, v6, v7
.LBB142_418:
	s_or_b32 exec_lo, exec_lo, s36
	s_mov_b32 s36, -1
	s_mov_b32 s0, 0
	global_store_b8 v[4:5], v7, off
.LBB142_419:
	s_mov_b32 s37, 0
.LBB142_420:
	s_delay_alu instid0(SALU_CYCLE_1)
	s_and_b32 vcc_lo, exec_lo, s37
	s_cbranch_vccz .LBB142_423
; %bb.421:
	s_cmp_eq_u32 s35, 29
	s_mov_b32 s0, -1
	s_cbranch_scc0 .LBB142_423
; %bb.422:
	s_wait_xcnt 0x0
	s_delay_alu instid0(VALU_DEP_2) | instskip(SKIP_3) | instid1(VALU_DEP_1)
	v_trunc_f64_e32 v[6:7], v[0:1]
	s_mov_b32 s36, -1
	s_mov_b32 s0, 0
	s_mov_b32 s37, 0
	v_ldexp_f64 v[8:9], v[6:7], 0xffffffe0
	s_delay_alu instid0(VALU_DEP_1) | instskip(NEXT) | instid1(VALU_DEP_1)
	v_floor_f64_e32 v[8:9], v[8:9]
	v_fmamk_f64 v[6:7], v[8:9], 0xc1f00000, v[6:7]
	v_cvt_u32_f64_e32 v9, v[8:9]
	s_delay_alu instid0(VALU_DEP_2)
	v_cvt_u32_f64_e32 v8, v[6:7]
	global_store_b64 v[4:5], v[8:9], off
	s_branch .LBB142_424
.LBB142_423:
	s_mov_b32 s37, 0
.LBB142_424:
	s_delay_alu instid0(SALU_CYCLE_1)
	s_and_b32 vcc_lo, exec_lo, s37
	s_cbranch_vccz .LBB142_440
; %bb.425:
	s_cmp_lt_i32 s35, 27
	s_mov_b32 s36, -1
	s_cbranch_scc1 .LBB142_431
; %bb.426:
	s_wait_xcnt 0x0
	s_delay_alu instid0(VALU_DEP_2)
	v_cvt_u32_f64_e32 v6, v[0:1]
	s_cmp_gt_i32 s35, 27
	s_cbranch_scc0 .LBB142_428
; %bb.427:
	s_mov_b32 s36, 0
	global_store_b32 v[4:5], v6, off
.LBB142_428:
	s_and_not1_b32 vcc_lo, exec_lo, s36
	s_cbranch_vccnz .LBB142_430
; %bb.429:
	global_store_b16 v[4:5], v6, off
.LBB142_430:
	s_mov_b32 s36, 0
.LBB142_431:
	s_delay_alu instid0(SALU_CYCLE_1)
	s_and_not1_b32 vcc_lo, exec_lo, s36
	s_cbranch_vccnz .LBB142_439
; %bb.432:
	s_wait_xcnt 0x0
	s_delay_alu instid0(VALU_DEP_2) | instskip(SKIP_2) | instid1(VALU_DEP_2)
	v_cvt_f32_f64_e32 v6, v[0:1]
	v_mov_b32_e32 v8, 0x80
	s_mov_b32 s36, exec_lo
	v_and_b32_e32 v7, 0x7fffffff, v6
	s_delay_alu instid0(VALU_DEP_1)
	v_cmpx_gt_u32_e32 0x43800000, v7
	s_cbranch_execz .LBB142_438
; %bb.433:
	v_cmp_lt_u32_e32 vcc_lo, 0x3bffffff, v7
	s_mov_b32 s37, 0
                                        ; implicit-def: $vgpr7
	s_and_saveexec_b32 s38, vcc_lo
	s_delay_alu instid0(SALU_CYCLE_1)
	s_xor_b32 s38, exec_lo, s38
	s_cbranch_execnz .LBB142_812
; %bb.434:
	s_and_not1_saveexec_b32 s38, s38
	s_cbranch_execnz .LBB142_813
.LBB142_435:
	s_or_b32 exec_lo, exec_lo, s38
	v_mov_b32_e32 v8, 0
	s_and_saveexec_b32 s38, s37
.LBB142_436:
	v_lshrrev_b32_e32 v6, 24, v6
	s_delay_alu instid0(VALU_DEP_1)
	v_and_or_b32 v8, 0x80, v6, v7
.LBB142_437:
	s_or_b32 exec_lo, exec_lo, s38
.LBB142_438:
	s_delay_alu instid0(SALU_CYCLE_1)
	s_or_b32 exec_lo, exec_lo, s36
	global_store_b8 v[4:5], v8, off
.LBB142_439:
	s_mov_b32 s36, -1
.LBB142_440:
	s_mov_b32 s37, 0
.LBB142_441:
	s_delay_alu instid0(SALU_CYCLE_1)
	s_and_b32 vcc_lo, exec_lo, s37
	s_cbranch_vccz .LBB142_482
; %bb.442:
	s_cmp_gt_i32 s35, 22
	s_mov_b32 s37, -1
	s_cbranch_scc0 .LBB142_474
; %bb.443:
	s_cmp_lt_i32 s35, 24
	s_mov_b32 s36, -1
	s_cbranch_scc1 .LBB142_463
; %bb.444:
	s_cmp_gt_i32 s35, 24
	s_cbranch_scc0 .LBB142_452
; %bb.445:
	s_wait_xcnt 0x0
	s_delay_alu instid0(VALU_DEP_2) | instskip(SKIP_2) | instid1(VALU_DEP_2)
	v_cvt_f32_f64_e32 v6, v[0:1]
	v_mov_b32_e32 v8, 0x80
	s_mov_b32 s36, exec_lo
	v_and_b32_e32 v7, 0x7fffffff, v6
	s_delay_alu instid0(VALU_DEP_1)
	v_cmpx_gt_u32_e32 0x47800000, v7
	s_cbranch_execz .LBB142_451
; %bb.446:
	v_cmp_lt_u32_e32 vcc_lo, 0x37ffffff, v7
	s_mov_b32 s37, 0
                                        ; implicit-def: $vgpr7
	s_and_saveexec_b32 s38, vcc_lo
	s_delay_alu instid0(SALU_CYCLE_1)
	s_xor_b32 s38, exec_lo, s38
	s_cbranch_execnz .LBB142_1346
; %bb.447:
	s_and_not1_saveexec_b32 s38, s38
	s_cbranch_execnz .LBB142_1347
.LBB142_448:
	s_or_b32 exec_lo, exec_lo, s38
	v_mov_b32_e32 v8, 0
	s_and_saveexec_b32 s38, s37
.LBB142_449:
	v_lshrrev_b32_e32 v6, 24, v6
	s_delay_alu instid0(VALU_DEP_1)
	v_and_or_b32 v8, 0x80, v6, v7
.LBB142_450:
	s_or_b32 exec_lo, exec_lo, s38
.LBB142_451:
	s_delay_alu instid0(SALU_CYCLE_1)
	s_or_b32 exec_lo, exec_lo, s36
	s_mov_b32 s36, 0
	global_store_b8 v[4:5], v8, off
.LBB142_452:
	s_and_b32 vcc_lo, exec_lo, s36
	s_cbranch_vccz .LBB142_462
; %bb.453:
	s_wait_xcnt 0x0
	s_delay_alu instid0(VALU_DEP_2) | instskip(SKIP_1) | instid1(VALU_DEP_1)
	v_cvt_f32_f64_e32 v6, v[0:1]
	s_mov_b32 s36, exec_lo
                                        ; implicit-def: $vgpr7
	v_and_b32_e32 v8, 0x7fffffff, v6
	s_delay_alu instid0(VALU_DEP_1)
	v_cmpx_gt_u32_e32 0x43f00000, v8
	s_xor_b32 s36, exec_lo, s36
	s_cbranch_execz .LBB142_459
; %bb.454:
	s_mov_b32 s37, exec_lo
                                        ; implicit-def: $vgpr7
	v_cmpx_lt_u32_e32 0x3c7fffff, v8
	s_xor_b32 s37, exec_lo, s37
; %bb.455:
	v_bfe_u32 v7, v6, 20, 1
	s_delay_alu instid0(VALU_DEP_1) | instskip(NEXT) | instid1(VALU_DEP_1)
	v_add3_u32 v7, v6, v7, 0x407ffff
	v_and_b32_e32 v8, 0xff00000, v7
	v_lshrrev_b32_e32 v7, 20, v7
	s_delay_alu instid0(VALU_DEP_2) | instskip(NEXT) | instid1(VALU_DEP_2)
	v_cmp_ne_u32_e32 vcc_lo, 0x7f00000, v8
	v_cndmask_b32_e32 v7, 0x7e, v7, vcc_lo
; %bb.456:
	s_and_not1_saveexec_b32 s37, s37
; %bb.457:
	v_add_f32_e64 v7, 0x46800000, |v6|
; %bb.458:
	s_or_b32 exec_lo, exec_lo, s37
                                        ; implicit-def: $vgpr8
.LBB142_459:
	s_and_not1_saveexec_b32 s36, s36
; %bb.460:
	v_mov_b32_e32 v7, 0x7f
	v_cmp_lt_u32_e32 vcc_lo, 0x7f800000, v8
	s_delay_alu instid0(VALU_DEP_2)
	v_cndmask_b32_e32 v7, 0x7e, v7, vcc_lo
; %bb.461:
	s_or_b32 exec_lo, exec_lo, s36
	v_lshrrev_b32_e32 v6, 24, v6
	s_delay_alu instid0(VALU_DEP_1)
	v_and_or_b32 v6, 0x80, v6, v7
	global_store_b8 v[4:5], v6, off
.LBB142_462:
	s_mov_b32 s36, 0
.LBB142_463:
	s_delay_alu instid0(SALU_CYCLE_1)
	s_and_not1_b32 vcc_lo, exec_lo, s36
	s_cbranch_vccnz .LBB142_473
; %bb.464:
	s_wait_xcnt 0x0
	s_delay_alu instid0(VALU_DEP_2) | instskip(SKIP_1) | instid1(VALU_DEP_1)
	v_cvt_f32_f64_e32 v6, v[0:1]
	s_mov_b32 s36, exec_lo
                                        ; implicit-def: $vgpr7
	v_and_b32_e32 v8, 0x7fffffff, v6
	s_delay_alu instid0(VALU_DEP_1)
	v_cmpx_gt_u32_e32 0x47800000, v8
	s_xor_b32 s36, exec_lo, s36
	s_cbranch_execz .LBB142_470
; %bb.465:
	s_mov_b32 s37, exec_lo
                                        ; implicit-def: $vgpr7
	v_cmpx_lt_u32_e32 0x387fffff, v8
	s_xor_b32 s37, exec_lo, s37
; %bb.466:
	v_bfe_u32 v7, v6, 21, 1
	s_delay_alu instid0(VALU_DEP_1) | instskip(NEXT) | instid1(VALU_DEP_1)
	v_add3_u32 v7, v6, v7, 0x80fffff
	v_lshrrev_b32_e32 v7, 21, v7
; %bb.467:
	s_and_not1_saveexec_b32 s37, s37
; %bb.468:
	v_add_f32_e64 v7, 0x43000000, |v6|
; %bb.469:
	s_or_b32 exec_lo, exec_lo, s37
                                        ; implicit-def: $vgpr8
.LBB142_470:
	s_and_not1_saveexec_b32 s36, s36
; %bb.471:
	v_mov_b32_e32 v7, 0x7f
	v_cmp_lt_u32_e32 vcc_lo, 0x7f800000, v8
	s_delay_alu instid0(VALU_DEP_2)
	v_cndmask_b32_e32 v7, 0x7c, v7, vcc_lo
; %bb.472:
	s_or_b32 exec_lo, exec_lo, s36
	v_lshrrev_b32_e32 v6, 24, v6
	s_delay_alu instid0(VALU_DEP_1)
	v_and_or_b32 v6, 0x80, v6, v7
	global_store_b8 v[4:5], v6, off
.LBB142_473:
	s_mov_b32 s37, 0
	s_mov_b32 s36, -1
.LBB142_474:
	s_and_not1_b32 vcc_lo, exec_lo, s37
	s_cbranch_vccnz .LBB142_482
; %bb.475:
	s_cmp_gt_i32 s35, 14
	s_mov_b32 s37, -1
	s_cbranch_scc0 .LBB142_479
; %bb.476:
	s_cmp_eq_u32 s35, 15
	s_mov_b32 s0, -1
	s_cbranch_scc0 .LBB142_478
; %bb.477:
	s_wait_xcnt 0x0
	s_delay_alu instid0(VALU_DEP_2) | instskip(SKIP_2) | instid1(VALU_DEP_1)
	v_cvt_f32_f64_e32 v6, v[0:1]
	s_mov_b32 s36, -1
	s_mov_b32 s0, 0
	v_bfe_u32 v7, v6, 16, 1
	v_cmp_o_f32_e32 vcc_lo, v6, v6
	s_delay_alu instid0(VALU_DEP_2) | instskip(NEXT) | instid1(VALU_DEP_1)
	v_add3_u32 v7, v6, v7, 0x7fff
	v_lshrrev_b32_e32 v7, 16, v7
	s_delay_alu instid0(VALU_DEP_1)
	v_cndmask_b32_e32 v6, 0x7fc0, v7, vcc_lo
	global_store_b16 v[4:5], v6, off
.LBB142_478:
	s_mov_b32 s37, 0
.LBB142_479:
	s_delay_alu instid0(SALU_CYCLE_1)
	s_and_b32 vcc_lo, exec_lo, s37
	s_cbranch_vccz .LBB142_482
; %bb.480:
	s_cmp_eq_u32 s35, 11
	s_mov_b32 s0, -1
	s_cbranch_scc0 .LBB142_482
; %bb.481:
	s_delay_alu instid0(VALU_DEP_2) | instskip(NEXT) | instid1(VALU_DEP_2)
	v_cmp_neq_f64_e32 vcc_lo, 0, v[0:1]
	v_cmp_neq_f64_e64 s0, 0, v[2:3]
	s_mov_b32 s36, -1
	s_or_b32 s0, vcc_lo, s0
	s_wait_xcnt 0x0
	v_cndmask_b32_e64 v6, 0, 1, s0
	s_mov_b32 s0, 0
	global_store_b8 v[4:5], v6, off
.LBB142_482:
	s_mov_b32 s35, 0
.LBB142_483:
	s_delay_alu instid0(SALU_CYCLE_1)
	s_and_b32 vcc_lo, exec_lo, s35
	s_cbranch_vccz .LBB142_522
; %bb.484:
	s_and_b32 s27, 0xffff, s27
	s_mov_b32 s35, -1
	s_cmp_lt_i32 s27, 5
	s_cbranch_scc1 .LBB142_505
; %bb.485:
	s_cmp_lt_i32 s27, 8
	s_cbranch_scc1 .LBB142_495
; %bb.486:
	;; [unrolled: 3-line block ×3, first 2 shown]
	s_cmp_gt_i32 s27, 9
	s_cbranch_scc0 .LBB142_489
; %bb.488:
	s_mov_b32 s35, 0
	global_store_b128 v[4:5], v[0:3], off
.LBB142_489:
	s_and_not1_b32 vcc_lo, exec_lo, s35
	s_cbranch_vccnz .LBB142_491
; %bb.490:
	s_wait_xcnt 0x0
	s_delay_alu instid0(VALU_DEP_2) | instskip(NEXT) | instid1(VALU_DEP_2)
	v_cvt_f32_f64_e32 v6, v[0:1]
	v_cvt_f32_f64_e32 v7, v[2:3]
	global_store_b64 v[4:5], v[6:7], off
.LBB142_491:
	s_mov_b32 s35, 0
.LBB142_492:
	s_delay_alu instid0(SALU_CYCLE_1)
	s_and_not1_b32 vcc_lo, exec_lo, s35
	s_cbranch_vccnz .LBB142_494
; %bb.493:
	s_wait_xcnt 0x0
	s_delay_alu instid0(VALU_DEP_2) | instskip(NEXT) | instid1(VALU_DEP_2)
	v_and_or_b32 v6, 0x1ff, v1, v0
	v_and_or_b32 v2, 0x1ff, v3, v2
	v_dual_lshrrev_b32 v7, 8, v1 :: v_dual_lshrrev_b32 v10, 8, v3
	v_bfe_u32 v8, v1, 20, 11
	s_delay_alu instid0(VALU_DEP_4) | instskip(SKIP_2) | instid1(VALU_DEP_4)
	v_cmp_ne_u32_e32 vcc_lo, 0, v6
	v_bfe_u32 v9, v3, 20, 11
	v_dual_lshrrev_b32 v16, 16, v1 :: v_dual_lshrrev_b32 v3, 16, v3
	v_sub_nc_u32_e32 v11, 0x3f1, v8
	v_cndmask_b32_e64 v6, 0, 1, vcc_lo
	v_cmp_ne_u32_e32 vcc_lo, 0, v2
	v_add_nc_u32_e32 v8, 0xfffffc10, v8
	s_delay_alu instid0(VALU_DEP_3) | instskip(SKIP_1) | instid1(VALU_DEP_1)
	v_and_or_b32 v6, 0xffe, v7, v6
	v_cndmask_b32_e64 v2, 0, 1, vcc_lo
	v_and_or_b32 v2, 0xffe, v10, v2
	v_med3_i32 v10, v11, 0, 13
	s_delay_alu instid0(VALU_DEP_4) | instskip(NEXT) | instid1(VALU_DEP_3)
	v_or_b32_e32 v11, 0x1000, v6
	v_or_b32_e32 v12, 0x1000, v2
	s_delay_alu instid0(VALU_DEP_2) | instskip(NEXT) | instid1(VALU_DEP_1)
	v_lshrrev_b32_e32 v13, v10, v11
	v_lshlrev_b32_e32 v10, v10, v13
	s_delay_alu instid0(VALU_DEP_1) | instskip(SKIP_2) | instid1(VALU_DEP_1)
	v_cmp_ne_u32_e32 vcc_lo, v10, v11
	v_lshl_or_b32 v11, v8, 12, v6
	v_cndmask_b32_e64 v10, 0, 1, vcc_lo
	v_or_b32_e32 v10, v13, v10
	v_sub_nc_u32_e32 v7, 0x3f1, v9
	v_add_nc_u32_e32 v9, 0xfffffc10, v9
	s_delay_alu instid0(VALU_DEP_2) | instskip(NEXT) | instid1(VALU_DEP_1)
	v_med3_i32 v7, v7, 0, 13
	v_lshrrev_b32_e32 v14, v7, v12
	s_delay_alu instid0(VALU_DEP_1) | instskip(NEXT) | instid1(VALU_DEP_1)
	v_lshlrev_b32_e32 v7, v7, v14
	v_cmp_ne_u32_e32 vcc_lo, v7, v12
	v_lshl_or_b32 v12, v9, 12, v2
	v_cndmask_b32_e64 v7, 0, 1, vcc_lo
	v_cmp_gt_i32_e32 vcc_lo, 1, v8
	s_delay_alu instid0(VALU_DEP_2) | instskip(SKIP_1) | instid1(VALU_DEP_2)
	v_dual_cndmask_b32 v10, v11, v10, vcc_lo :: v_dual_bitop2_b32 v7, v14, v7 bitop3:0x54
	v_cmp_gt_i32_e32 vcc_lo, 1, v9
	v_dual_lshrrev_b32 v10, 2, v10 :: v_dual_bitop2_b32 v11, 7, v10 bitop3:0x40
	s_delay_alu instid0(VALU_DEP_3) | instskip(NEXT) | instid1(VALU_DEP_1)
	v_cndmask_b32_e32 v7, v12, v7, vcc_lo
	v_dual_lshrrev_b32 v7, 2, v7 :: v_dual_bitop2_b32 v12, 7, v7 bitop3:0x40
	s_delay_alu instid0(VALU_DEP_3) | instskip(SKIP_1) | instid1(VALU_DEP_3)
	v_cmp_lt_i32_e32 vcc_lo, 5, v11
	v_cndmask_b32_e64 v14, 0, 1, vcc_lo
	v_cmp_lt_i32_e32 vcc_lo, 5, v12
	v_cndmask_b32_e64 v15, 0, 1, vcc_lo
	v_cmp_eq_u32_e32 vcc_lo, 3, v12
	v_cndmask_b32_e64 v12, 0, 1, vcc_lo
	v_cmp_eq_u32_e32 vcc_lo, 3, v11
	s_delay_alu instid0(VALU_DEP_2) | instskip(SKIP_2) | instid1(VALU_DEP_3)
	v_or_b32_e32 v12, v12, v15
	v_cndmask_b32_e64 v11, 0, 1, vcc_lo
	v_cmp_ne_u32_e32 vcc_lo, 0, v6
	v_add_nc_u32_e32 v7, v7, v12
	s_delay_alu instid0(VALU_DEP_3) | instskip(NEXT) | instid1(VALU_DEP_1)
	v_or_b32_e32 v11, v11, v14
	v_dual_mov_b32 v13, 0x7e00 :: v_dual_add_nc_u32 v10, v10, v11
	s_delay_alu instid0(VALU_DEP_1)
	v_cndmask_b32_e32 v6, 0x7c00, v13, vcc_lo
	v_cmp_ne_u32_e32 vcc_lo, 0, v2
	v_and_b32_e32 v11, 0x8000, v16
	v_cndmask_b32_e32 v2, 0x7c00, v13, vcc_lo
	v_cmp_gt_i32_e32 vcc_lo, 31, v9
	v_cndmask_b32_e32 v7, 0x7c00, v7, vcc_lo
	v_cmp_gt_i32_e32 vcc_lo, 31, v8
	v_cndmask_b32_e32 v10, 0x7c00, v10, vcc_lo
	v_cmp_eq_u32_e32 vcc_lo, 0x40f, v9
	s_delay_alu instid0(VALU_DEP_4) | instskip(SKIP_1) | instid1(VALU_DEP_2)
	v_cndmask_b32_e32 v2, v7, v2, vcc_lo
	v_cmp_eq_u32_e32 vcc_lo, 0x40f, v8
	v_and_or_b32 v2, 0x8000, v3, v2
	v_cndmask_b32_e32 v6, v10, v6, vcc_lo
	s_delay_alu instid0(VALU_DEP_1) | instskip(NEXT) | instid1(VALU_DEP_1)
	v_bitop3_b32 v3, v11, 0xffff, v6 bitop3:0xc8
	v_lshl_or_b32 v2, v2, 16, v3
	global_store_b32 v[4:5], v2, off
.LBB142_494:
	s_mov_b32 s35, 0
.LBB142_495:
	s_delay_alu instid0(SALU_CYCLE_1)
	s_and_not1_b32 vcc_lo, exec_lo, s35
	s_cbranch_vccnz .LBB142_504
; %bb.496:
	s_cmp_lt_i32 s27, 6
	s_mov_b32 s35, -1
	s_cbranch_scc1 .LBB142_502
; %bb.497:
	s_cmp_gt_i32 s27, 6
	s_cbranch_scc0 .LBB142_499
; %bb.498:
	s_mov_b32 s35, 0
	global_store_b64 v[4:5], v[0:1], off
.LBB142_499:
	s_and_not1_b32 vcc_lo, exec_lo, s35
	s_cbranch_vccnz .LBB142_501
; %bb.500:
	s_wait_xcnt 0x0
	s_delay_alu instid0(VALU_DEP_2)
	v_cvt_f32_f64_e32 v2, v[0:1]
	global_store_b32 v[4:5], v2, off
.LBB142_501:
	s_mov_b32 s35, 0
.LBB142_502:
	s_delay_alu instid0(SALU_CYCLE_1)
	s_and_not1_b32 vcc_lo, exec_lo, s35
	s_cbranch_vccnz .LBB142_504
; %bb.503:
	s_wait_xcnt 0x0
	s_delay_alu instid0(VALU_DEP_2) | instskip(SKIP_2) | instid1(VALU_DEP_3)
	v_and_or_b32 v2, 0x1ff, v1, v0
	v_lshrrev_b32_e32 v3, 8, v1
	v_bfe_u32 v6, v1, 20, 11
	v_cmp_ne_u32_e32 vcc_lo, 0, v2
	s_delay_alu instid0(VALU_DEP_2) | instskip(SKIP_1) | instid1(VALU_DEP_1)
	v_sub_nc_u32_e32 v7, 0x3f1, v6
	v_cndmask_b32_e64 v2, 0, 1, vcc_lo
	v_and_or_b32 v2, 0xffe, v3, v2
	s_delay_alu instid0(VALU_DEP_3) | instskip(NEXT) | instid1(VALU_DEP_2)
	v_med3_i32 v3, v7, 0, 13
	v_or_b32_e32 v7, 0x1000, v2
	s_delay_alu instid0(VALU_DEP_1) | instskip(NEXT) | instid1(VALU_DEP_1)
	v_lshrrev_b32_e32 v8, v3, v7
	v_lshlrev_b32_e32 v3, v3, v8
	s_delay_alu instid0(VALU_DEP_1) | instskip(SKIP_1) | instid1(VALU_DEP_1)
	v_cmp_ne_u32_e32 vcc_lo, v3, v7
	v_cndmask_b32_e64 v3, 0, 1, vcc_lo
	v_or_b32_e32 v3, v8, v3
	v_add_nc_u32_e32 v6, 0xfffffc10, v6
	s_delay_alu instid0(VALU_DEP_1) | instskip(SKIP_1) | instid1(VALU_DEP_2)
	v_lshl_or_b32 v7, v6, 12, v2
	v_cmp_gt_i32_e32 vcc_lo, 1, v6
	v_cndmask_b32_e32 v3, v7, v3, vcc_lo
	s_delay_alu instid0(VALU_DEP_1) | instskip(NEXT) | instid1(VALU_DEP_1)
	v_dual_lshrrev_b32 v3, 2, v3 :: v_dual_bitop2_b32 v7, 7, v3 bitop3:0x40
	v_cmp_lt_i32_e32 vcc_lo, 5, v7
	v_cndmask_b32_e64 v8, 0, 1, vcc_lo
	v_cmp_eq_u32_e32 vcc_lo, 3, v7
	v_cndmask_b32_e64 v7, 0, 1, vcc_lo
	v_cmp_ne_u32_e32 vcc_lo, 0, v2
	s_delay_alu instid0(VALU_DEP_2) | instskip(NEXT) | instid1(VALU_DEP_1)
	v_or_b32_e32 v7, v7, v8
	v_dual_mov_b32 v8, 0x7e00 :: v_dual_add_nc_u32 v3, v3, v7
	s_delay_alu instid0(VALU_DEP_1) | instskip(SKIP_1) | instid1(VALU_DEP_3)
	v_cndmask_b32_e32 v2, 0x7c00, v8, vcc_lo
	v_cmp_gt_i32_e32 vcc_lo, 31, v6
	v_cndmask_b32_e32 v3, 0x7c00, v3, vcc_lo
	v_cmp_eq_u32_e32 vcc_lo, 0x40f, v6
	s_delay_alu instid0(VALU_DEP_2) | instskip(NEXT) | instid1(VALU_DEP_1)
	v_dual_cndmask_b32 v2, v3, v2 :: v_dual_lshrrev_b32 v3, 16, v1
	v_and_or_b32 v2, 0x8000, v3, v2
	global_store_b16 v[4:5], v2, off
.LBB142_504:
	s_mov_b32 s35, 0
.LBB142_505:
	s_delay_alu instid0(SALU_CYCLE_1)
	s_and_not1_b32 vcc_lo, exec_lo, s35
	s_cbranch_vccnz .LBB142_521
; %bb.506:
	s_cmp_lt_i32 s27, 2
	s_mov_b32 s35, -1
	s_cbranch_scc1 .LBB142_516
; %bb.507:
	s_cmp_lt_i32 s27, 3
	s_cbranch_scc1 .LBB142_513
; %bb.508:
	s_cmp_gt_i32 s27, 3
	s_cbranch_scc0 .LBB142_510
; %bb.509:
	s_wait_xcnt 0x0
	s_delay_alu instid0(VALU_DEP_2) | instskip(SKIP_1) | instid1(VALU_DEP_1)
	v_trunc_f64_e32 v[2:3], v[0:1]
	s_mov_b32 s35, 0
	v_ldexp_f64 v[6:7], v[2:3], 0xffffffe0
	s_delay_alu instid0(VALU_DEP_1) | instskip(NEXT) | instid1(VALU_DEP_1)
	v_floor_f64_e32 v[6:7], v[6:7]
	v_fmamk_f64 v[2:3], v[6:7], 0xc1f00000, v[2:3]
	v_cvt_i32_f64_e32 v7, v[6:7]
	s_delay_alu instid0(VALU_DEP_2)
	v_cvt_u32_f64_e32 v6, v[2:3]
	global_store_b64 v[4:5], v[6:7], off
.LBB142_510:
	s_and_not1_b32 vcc_lo, exec_lo, s35
	s_cbranch_vccnz .LBB142_512
; %bb.511:
	s_wait_xcnt 0x0
	s_delay_alu instid0(VALU_DEP_2)
	v_cvt_i32_f64_e32 v2, v[0:1]
	global_store_b32 v[4:5], v2, off
.LBB142_512:
	s_mov_b32 s35, 0
.LBB142_513:
	s_delay_alu instid0(SALU_CYCLE_1)
	s_and_not1_b32 vcc_lo, exec_lo, s35
	s_cbranch_vccnz .LBB142_515
; %bb.514:
	s_wait_xcnt 0x0
	s_delay_alu instid0(VALU_DEP_2)
	v_cvt_i32_f64_e32 v2, v[0:1]
	global_store_b16 v[4:5], v2, off
.LBB142_515:
	s_mov_b32 s35, 0
.LBB142_516:
	s_delay_alu instid0(SALU_CYCLE_1)
	s_and_not1_b32 vcc_lo, exec_lo, s35
	s_cbranch_vccnz .LBB142_521
; %bb.517:
	s_cmp_gt_i32 s27, 0
	s_mov_b32 s27, -1
	s_cbranch_scc0 .LBB142_519
; %bb.518:
	s_wait_xcnt 0x0
	s_delay_alu instid0(VALU_DEP_2)
	v_cvt_i32_f64_e32 v2, v[0:1]
	s_mov_b32 s27, 0
	global_store_b8 v[4:5], v2, off
.LBB142_519:
	s_and_not1_b32 vcc_lo, exec_lo, s27
	s_cbranch_vccnz .LBB142_521
; %bb.520:
	s_wait_xcnt 0x0
	s_delay_alu instid0(VALU_DEP_2) | instskip(NEXT) | instid1(VALU_DEP_1)
	v_trunc_f64_e32 v[0:1], v[0:1]
	v_ldexp_f64 v[2:3], v[0:1], 0xffffffe0
	s_delay_alu instid0(VALU_DEP_1) | instskip(NEXT) | instid1(VALU_DEP_1)
	v_floor_f64_e32 v[2:3], v[2:3]
	v_fmamk_f64 v[0:1], v[2:3], 0xc1f00000, v[0:1]
	s_delay_alu instid0(VALU_DEP_1)
	v_cvt_u32_f64_e32 v0, v[0:1]
	global_store_b8 v[4:5], v0, off
.LBB142_521:
	s_mov_b32 s36, -1
.LBB142_522:
	s_delay_alu instid0(SALU_CYCLE_1)
	s_and_not1_b32 vcc_lo, exec_lo, s36
	s_cbranch_vccnz .LBB142_524
; %bb.523:
	v_add_nc_u32_e32 v50, 0x80, v50
	s_mov_b32 s35, -1
	s_branch .LBB142_525
.LBB142_524:
	s_mov_b32 s35, 0
                                        ; implicit-def: $vgpr50
.LBB142_525:
	s_and_b32 s27, s0, exec_lo
	s_and_b32 s29, s29, exec_lo
	;; [unrolled: 1-line block ×4, first 2 shown]
	s_or_not1_b32 s37, s35, exec_lo
.LBB142_526:
	s_wait_xcnt 0x0
	s_or_b32 exec_lo, exec_lo, s33
	s_mov_b32 s36, 0
	s_mov_b32 s35, 0
                                        ; implicit-def: $sgpr0
                                        ; implicit-def: $vgpr4_vgpr5
                                        ; implicit-def: $vgpr2_vgpr3
	s_and_saveexec_b32 s33, s37
	s_cbranch_execnz .LBB142_530
; %bb.527:
	s_or_b32 exec_lo, exec_lo, s33
	s_mov_b32 s28, 0
	s_and_saveexec_b32 s33, s31
	s_cbranch_execnz .LBB142_1680
.LBB142_528:
	s_or_b32 exec_lo, exec_lo, s33
	s_and_saveexec_b32 s31, s34
	s_delay_alu instid0(SALU_CYCLE_1)
	s_xor_b32 s31, exec_lo, s31
	s_cbranch_execnz .LBB142_1681
.LBB142_529:
	s_or_b32 exec_lo, exec_lo, s31
	s_and_saveexec_b32 s31, s36
	s_cbranch_execnz .LBB142_1682
	s_branch .LBB142_1729
.LBB142_530:
	s_mov_b32 s40, -1
	s_mov_b32 s34, s31
	s_mov_b32 s37, s30
	;; [unrolled: 1-line block ×4, first 2 shown]
	s_mov_b32 s38, exec_lo
	v_cmpx_gt_i32_e64 s28, v50
	s_cbranch_execz .LBB142_1062
; %bb.531:
	s_wait_loadcnt 0x0
	v_mul_lo_u32 v0, v50, s21
	s_and_b32 s0, s25, 0xff
	s_delay_alu instid0(SALU_CYCLE_1) | instskip(NEXT) | instid1(VALU_DEP_1)
	s_cmp_lt_i32 s0, 11
	v_ashrrev_i32_e32 v1, 31, v0
	s_delay_alu instid0(VALU_DEP_1)
	v_add_nc_u64_e32 v[4:5], s[6:7], v[0:1]
	s_cbranch_scc1 .LBB142_538
; %bb.532:
	s_and_b32 s35, 0xffff, s0
	s_delay_alu instid0(SALU_CYCLE_1)
	s_cmp_gt_i32 s35, 25
	s_cbranch_scc0 .LBB142_547
; %bb.533:
	s_cmp_gt_i32 s35, 28
	s_cbranch_scc0 .LBB142_549
; %bb.534:
	;; [unrolled: 3-line block ×4, first 2 shown]
	s_cmp_eq_u32 s35, 46
	s_mov_b32 s37, 0
	s_cbranch_scc0 .LBB142_555
; %bb.537:
	global_load_b32 v0, v[4:5], off
	s_mov_b32 s36, -1
	s_mov_b32 s34, 0
	s_wait_loadcnt 0x0
	v_lshlrev_b32_e32 v1, 16, v0
	v_and_b32_e32 v2, 0xffff0000, v0
	s_delay_alu instid0(VALU_DEP_2) | instskip(NEXT) | instid1(VALU_DEP_2)
	v_cvt_f64_f32_e32 v[0:1], v1
	v_cvt_f64_f32_e32 v[2:3], v2
	s_branch .LBB142_557
.LBB142_538:
	s_mov_b32 s36, 0
	s_mov_b32 s34, s31
                                        ; implicit-def: $vgpr2_vgpr3
	s_cbranch_execnz .LBB142_622
.LBB142_539:
	s_and_not1_b32 vcc_lo, exec_lo, s36
	s_cbranch_vccnz .LBB142_672
.LBB142_540:
	s_wait_xcnt 0x0
	v_mul_lo_u32 v4, v50, s22
	s_and_b32 s0, s3, 0xff
	s_delay_alu instid0(SALU_CYCLE_1) | instskip(NEXT) | instid1(VALU_DEP_1)
	s_cmp_lt_i32 s0, 11
	v_ashrrev_i32_e32 v5, 31, v4
	s_delay_alu instid0(VALU_DEP_1)
	v_add_nc_u64_e32 v[8:9], s[8:9], v[4:5]
	s_cbranch_scc1 .LBB142_548
; %bb.541:
	s_and_b32 s35, 0xffff, s0
	s_delay_alu instid0(SALU_CYCLE_1)
	s_cmp_gt_i32 s35, 25
	s_cbranch_scc0 .LBB142_550
; %bb.542:
	s_cmp_gt_i32 s35, 28
	s_cbranch_scc0 .LBB142_552
; %bb.543:
	;; [unrolled: 3-line block ×4, first 2 shown]
	s_cmp_eq_u32 s35, 46
	s_mov_b32 s39, 0
	s_cbranch_scc0 .LBB142_677
; %bb.546:
	global_load_b32 v4, v[8:9], off
	s_mov_b32 s36, -1
	s_mov_b32 s37, 0
	s_wait_loadcnt 0x0
	v_lshlrev_b32_e32 v5, 16, v4
	v_and_b32_e32 v6, 0xffff0000, v4
	s_delay_alu instid0(VALU_DEP_2) | instskip(NEXT) | instid1(VALU_DEP_2)
	v_cvt_f64_f32_e32 v[4:5], v5
	v_cvt_f64_f32_e32 v[6:7], v6
	s_branch .LBB142_679
.LBB142_547:
	s_mov_b32 s37, -1
	s_mov_b32 s36, 0
	s_mov_b32 s34, s31
                                        ; implicit-def: $vgpr2_vgpr3
	s_branch .LBB142_587
.LBB142_548:
	s_mov_b32 s35, -1
	s_mov_b32 s36, 0
	s_mov_b32 s37, s30
                                        ; implicit-def: $vgpr6_vgpr7
	s_branch .LBB142_743
.LBB142_549:
	s_mov_b32 s37, -1
	s_mov_b32 s36, 0
	s_mov_b32 s34, s31
                                        ; implicit-def: $vgpr2_vgpr3
	s_branch .LBB142_570
.LBB142_550:
	s_mov_b32 s39, -1
	s_mov_b32 s36, 0
	s_mov_b32 s37, s30
                                        ; implicit-def: $vgpr6_vgpr7
	s_branch .LBB142_708
.LBB142_551:
	s_mov_b32 s37, -1
	s_mov_b32 s36, 0
	s_mov_b32 s34, s31
                                        ; implicit-def: $vgpr2_vgpr3
	s_branch .LBB142_564
.LBB142_552:
	s_mov_b32 s39, -1
	s_mov_b32 s36, 0
	s_mov_b32 s37, s30
                                        ; implicit-def: $vgpr6_vgpr7
	s_branch .LBB142_691
.LBB142_553:
	s_mov_b32 s37, -1
	s_mov_b32 s36, 0
	s_mov_b32 s34, s31
	s_branch .LBB142_556
.LBB142_554:
	s_mov_b32 s39, -1
	s_mov_b32 s36, 0
	s_mov_b32 s37, s30
                                        ; implicit-def: $vgpr6_vgpr7
	s_branch .LBB142_685
.LBB142_555:
	s_mov_b32 s34, -1
	s_mov_b32 s36, 0
.LBB142_556:
                                        ; implicit-def: $vgpr2_vgpr3
.LBB142_557:
	s_and_b32 vcc_lo, exec_lo, s37
	s_cbranch_vccz .LBB142_563
; %bb.558:
	s_cmp_eq_u32 s35, 44
	s_cbranch_scc0 .LBB142_561
; %bb.559:
	global_load_u8 v2, v[4:5], off
	s_mov_b32 s34, 0
	s_mov_b32 s36, -1
	s_wait_loadcnt 0x0
	v_cmp_ne_u32_e32 vcc_lo, 0xff, v2
	v_lshlrev_b32_e32 v0, 23, v2
	s_delay_alu instid0(VALU_DEP_1) | instskip(NEXT) | instid1(VALU_DEP_1)
	v_cvt_f64_f32_e32 v[0:1], v0
	v_cndmask_b32_e32 v0, 0x20000000, v0, vcc_lo
	s_delay_alu instid0(VALU_DEP_2) | instskip(SKIP_1) | instid1(VALU_DEP_2)
	v_cndmask_b32_e32 v1, 0x7ff80000, v1, vcc_lo
	v_cmp_ne_u32_e32 vcc_lo, 0, v2
	v_cndmask_b32_e32 v1, 0x38000000, v1, vcc_lo
	s_delay_alu instid0(VALU_DEP_4)
	v_cndmask_b32_e32 v0, 0, v0, vcc_lo
	s_branch .LBB142_562
.LBB142_560:
	s_mov_b32 s39, -1
	s_mov_b32 s36, 0
	s_mov_b32 s37, s30
	s_branch .LBB142_678
.LBB142_561:
	s_mov_b32 s34, -1
                                        ; implicit-def: $vgpr0_vgpr1
.LBB142_562:
	v_mov_b64_e32 v[2:3], 0
.LBB142_563:
	s_mov_b32 s37, 0
.LBB142_564:
	s_delay_alu instid0(SALU_CYCLE_1)
	s_and_b32 vcc_lo, exec_lo, s37
	s_cbranch_vccz .LBB142_569
; %bb.565:
	s_cmp_eq_u32 s35, 29
	s_cbranch_scc0 .LBB142_567
; %bb.566:
	global_load_b64 v[0:1], v[4:5], off
	s_mov_b32 s36, -1
	s_mov_b32 s34, 0
	s_wait_loadcnt 0x0
	v_cvt_f64_u32_e32 v[2:3], v1
	v_cvt_f64_u32_e32 v[0:1], v0
	s_delay_alu instid0(VALU_DEP_2) | instskip(NEXT) | instid1(VALU_DEP_1)
	v_ldexp_f64 v[2:3], v[2:3], 32
	v_add_f64_e32 v[0:1], v[2:3], v[0:1]
	s_branch .LBB142_568
.LBB142_567:
	s_mov_b32 s34, -1
                                        ; implicit-def: $vgpr0_vgpr1
.LBB142_568:
	v_mov_b64_e32 v[2:3], 0
.LBB142_569:
	s_mov_b32 s37, 0
.LBB142_570:
	s_delay_alu instid0(SALU_CYCLE_1)
	s_and_b32 vcc_lo, exec_lo, s37
	s_cbranch_vccz .LBB142_586
; %bb.571:
	s_cmp_lt_i32 s35, 27
	s_cbranch_scc1 .LBB142_574
; %bb.572:
	s_cmp_gt_i32 s35, 27
	s_cbranch_scc0 .LBB142_575
; %bb.573:
	global_load_b32 v0, v[4:5], off
	s_mov_b32 s36, 0
	s_wait_loadcnt 0x0
	v_cvt_f64_u32_e32 v[0:1], v0
	s_branch .LBB142_576
.LBB142_574:
	s_mov_b32 s36, -1
                                        ; implicit-def: $vgpr0_vgpr1
	s_branch .LBB142_579
.LBB142_575:
	s_mov_b32 s36, -1
                                        ; implicit-def: $vgpr0_vgpr1
.LBB142_576:
	s_delay_alu instid0(SALU_CYCLE_1)
	s_and_not1_b32 vcc_lo, exec_lo, s36
	s_cbranch_vccnz .LBB142_578
; %bb.577:
	global_load_u16 v0, v[4:5], off
	s_wait_loadcnt 0x0
	v_cvt_f64_u32_e32 v[0:1], v0
.LBB142_578:
	s_mov_b32 s36, 0
.LBB142_579:
	s_delay_alu instid0(SALU_CYCLE_1)
	s_and_not1_b32 vcc_lo, exec_lo, s36
	s_cbranch_vccnz .LBB142_585
; %bb.580:
	global_load_u8 v2, v[4:5], off
	s_mov_b32 s36, 0
	s_mov_b32 s37, exec_lo
	s_wait_loadcnt 0x0
	v_cmpx_lt_i16_e32 0x7f, v2
	s_xor_b32 s37, exec_lo, s37
	s_cbranch_execnz .LBB142_598
; %bb.581:
	s_or_saveexec_b32 s37, s37
	v_mov_b64_e32 v[0:1], 0x7ff8000020000000
	s_xor_b32 exec_lo, exec_lo, s37
	s_cbranch_execnz .LBB142_601
.LBB142_582:
	s_or_b32 exec_lo, exec_lo, s37
	s_and_saveexec_b32 s37, s36
	s_cbranch_execz .LBB142_584
.LBB142_583:
	v_and_b32_e32 v0, 0xffff, v2
	s_delay_alu instid0(VALU_DEP_1) | instskip(SKIP_1) | instid1(VALU_DEP_2)
	v_and_b32_e32 v1, 7, v0
	v_bfe_u32 v7, v0, 3, 4
	v_clz_i32_u32_e32 v3, v1
	s_delay_alu instid0(VALU_DEP_2) | instskip(NEXT) | instid1(VALU_DEP_2)
	v_cmp_eq_u32_e32 vcc_lo, 0, v7
	v_min_u32_e32 v3, 32, v3
	s_delay_alu instid0(VALU_DEP_1) | instskip(NEXT) | instid1(VALU_DEP_1)
	v_subrev_nc_u32_e32 v6, 28, v3
	v_dual_lshlrev_b32 v0, v6, v0 :: v_dual_sub_nc_u32 v3, 29, v3
	s_delay_alu instid0(VALU_DEP_1) | instskip(NEXT) | instid1(VALU_DEP_1)
	v_dual_lshlrev_b32 v2, 24, v2 :: v_dual_bitop2_b32 v0, 7, v0 bitop3:0x40
	v_dual_cndmask_b32 v3, v7, v3 :: v_dual_cndmask_b32 v0, v1, v0
	s_delay_alu instid0(VALU_DEP_2) | instskip(NEXT) | instid1(VALU_DEP_2)
	v_and_b32_e32 v1, 0x80000000, v2
	v_lshl_add_u32 v2, v3, 23, 0x3b800000
	s_delay_alu instid0(VALU_DEP_3) | instskip(NEXT) | instid1(VALU_DEP_1)
	v_lshlrev_b32_e32 v0, 20, v0
	v_or3_b32 v0, v1, v2, v0
	s_delay_alu instid0(VALU_DEP_1)
	v_cvt_f64_f32_e32 v[0:1], v0
.LBB142_584:
	s_or_b32 exec_lo, exec_lo, s37
.LBB142_585:
	v_mov_b64_e32 v[2:3], 0
	s_mov_b32 s36, -1
.LBB142_586:
	s_mov_b32 s37, 0
.LBB142_587:
	s_delay_alu instid0(SALU_CYCLE_1)
	s_and_b32 vcc_lo, exec_lo, s37
	s_cbranch_vccz .LBB142_621
; %bb.588:
	s_cmp_gt_i32 s35, 22
	s_cbranch_scc0 .LBB142_596
; %bb.589:
	s_cmp_lt_i32 s35, 24
	s_cbranch_scc1 .LBB142_597
; %bb.590:
	s_cmp_gt_i32 s35, 24
	s_cbranch_scc0 .LBB142_602
; %bb.591:
	global_load_u8 v2, v[4:5], off
	s_mov_b32 s36, 0
	s_mov_b32 s37, exec_lo
	s_wait_loadcnt 0x0
	v_cmpx_lt_i16_e32 0x7f, v2
	s_xor_b32 s37, exec_lo, s37
	s_cbranch_execnz .LBB142_673
; %bb.592:
	s_or_saveexec_b32 s37, s37
	v_mov_b64_e32 v[0:1], 0x7ff8000020000000
	s_xor_b32 exec_lo, exec_lo, s37
	s_cbranch_execnz .LBB142_676
.LBB142_593:
	s_or_b32 exec_lo, exec_lo, s37
	s_and_saveexec_b32 s37, s36
	s_cbranch_execz .LBB142_595
.LBB142_594:
	v_and_b32_e32 v0, 0xffff, v2
	s_delay_alu instid0(VALU_DEP_1) | instskip(SKIP_1) | instid1(VALU_DEP_2)
	v_and_b32_e32 v1, 3, v0
	v_bfe_u32 v7, v0, 2, 5
	v_clz_i32_u32_e32 v3, v1
	s_delay_alu instid0(VALU_DEP_2) | instskip(NEXT) | instid1(VALU_DEP_2)
	v_cmp_eq_u32_e32 vcc_lo, 0, v7
	v_min_u32_e32 v3, 32, v3
	s_delay_alu instid0(VALU_DEP_1) | instskip(NEXT) | instid1(VALU_DEP_1)
	v_subrev_nc_u32_e32 v6, 29, v3
	v_dual_lshlrev_b32 v0, v6, v0 :: v_dual_sub_nc_u32 v3, 30, v3
	s_delay_alu instid0(VALU_DEP_1) | instskip(NEXT) | instid1(VALU_DEP_1)
	v_dual_lshlrev_b32 v2, 24, v2 :: v_dual_bitop2_b32 v0, 3, v0 bitop3:0x40
	v_dual_cndmask_b32 v3, v7, v3 :: v_dual_cndmask_b32 v0, v1, v0
	s_delay_alu instid0(VALU_DEP_2) | instskip(NEXT) | instid1(VALU_DEP_2)
	v_and_b32_e32 v1, 0x80000000, v2
	v_lshl_add_u32 v2, v3, 23, 0x37800000
	s_delay_alu instid0(VALU_DEP_3) | instskip(NEXT) | instid1(VALU_DEP_1)
	v_lshlrev_b32_e32 v0, 21, v0
	v_or3_b32 v0, v1, v2, v0
	s_delay_alu instid0(VALU_DEP_1)
	v_cvt_f64_f32_e32 v[0:1], v0
.LBB142_595:
	s_or_b32 exec_lo, exec_lo, s37
	s_mov_b32 s36, 0
	s_branch .LBB142_603
.LBB142_596:
	s_mov_b32 s37, -1
                                        ; implicit-def: $vgpr0_vgpr1
	s_branch .LBB142_609
.LBB142_597:
	s_mov_b32 s36, -1
                                        ; implicit-def: $vgpr0_vgpr1
	s_branch .LBB142_606
.LBB142_598:
	s_mov_b32 s36, -1
	s_mov_b32 s39, exec_lo
	v_cmpx_eq_u16_e32 0x80, v2
; %bb.599:
	s_xor_b32 s36, exec_lo, -1
; %bb.600:
	s_or_b32 exec_lo, exec_lo, s39
	s_delay_alu instid0(SALU_CYCLE_1)
	s_and_b32 s36, s36, exec_lo
	s_or_saveexec_b32 s37, s37
	v_mov_b64_e32 v[0:1], 0x7ff8000020000000
	s_xor_b32 exec_lo, exec_lo, s37
	s_cbranch_execz .LBB142_582
.LBB142_601:
	v_cmp_ne_u16_e32 vcc_lo, 0, v2
	v_mov_b64_e32 v[0:1], 0
	s_and_not1_b32 s36, s36, exec_lo
	s_and_b32 s39, vcc_lo, exec_lo
	s_delay_alu instid0(SALU_CYCLE_1)
	s_or_b32 s36, s36, s39
	s_or_b32 exec_lo, exec_lo, s37
	s_and_saveexec_b32 s37, s36
	s_cbranch_execnz .LBB142_583
	s_branch .LBB142_584
.LBB142_602:
	s_mov_b32 s36, -1
                                        ; implicit-def: $vgpr0_vgpr1
.LBB142_603:
	s_delay_alu instid0(SALU_CYCLE_1)
	s_and_b32 vcc_lo, exec_lo, s36
	s_cbranch_vccz .LBB142_605
; %bb.604:
	global_load_u8 v0, v[4:5], off
	s_wait_loadcnt 0x0
	v_lshlrev_b32_e32 v0, 24, v0
	s_delay_alu instid0(VALU_DEP_1) | instskip(NEXT) | instid1(VALU_DEP_1)
	v_and_b32_e32 v1, 0x7f000000, v0
	v_clz_i32_u32_e32 v2, v1
	v_cmp_ne_u32_e32 vcc_lo, 0, v1
	v_add_nc_u32_e32 v6, 0x1000000, v1
	s_delay_alu instid0(VALU_DEP_3) | instskip(NEXT) | instid1(VALU_DEP_1)
	v_min_u32_e32 v2, 32, v2
	v_sub_nc_u32_e64 v2, v2, 4 clamp
	s_delay_alu instid0(VALU_DEP_1) | instskip(NEXT) | instid1(VALU_DEP_1)
	v_dual_lshlrev_b32 v3, v2, v1 :: v_dual_lshlrev_b32 v2, 23, v2
	v_lshrrev_b32_e32 v3, 4, v3
	s_delay_alu instid0(VALU_DEP_1) | instskip(SKIP_1) | instid1(VALU_DEP_2)
	v_sub_nc_u32_e32 v2, v3, v2
	v_ashrrev_i32_e32 v3, 8, v6
	v_add_nc_u32_e32 v2, 0x3c000000, v2
	s_delay_alu instid0(VALU_DEP_1) | instskip(NEXT) | instid1(VALU_DEP_1)
	v_and_or_b32 v2, 0x7f800000, v3, v2
	v_cndmask_b32_e32 v1, 0, v2, vcc_lo
	s_delay_alu instid0(VALU_DEP_1) | instskip(NEXT) | instid1(VALU_DEP_1)
	v_and_or_b32 v0, 0x80000000, v0, v1
	v_cvt_f64_f32_e32 v[0:1], v0
.LBB142_605:
	s_mov_b32 s36, 0
.LBB142_606:
	s_delay_alu instid0(SALU_CYCLE_1)
	s_and_not1_b32 vcc_lo, exec_lo, s36
	s_cbranch_vccnz .LBB142_608
; %bb.607:
	global_load_u8 v0, v[4:5], off
	s_wait_loadcnt 0x0
	v_lshlrev_b32_e32 v1, 25, v0
	v_lshlrev_b16 v0, 8, v0
	s_delay_alu instid0(VALU_DEP_1) | instskip(SKIP_1) | instid1(VALU_DEP_2)
	v_and_or_b32 v3, 0x7f00, v0, 0.5
	v_bfe_i32 v0, v0, 0, 16
	v_dual_add_f32 v3, -0.5, v3 :: v_dual_lshrrev_b32 v2, 4, v1
	v_cmp_gt_u32_e32 vcc_lo, 0x8000000, v1
	s_delay_alu instid0(VALU_DEP_2) | instskip(NEXT) | instid1(VALU_DEP_1)
	v_or_b32_e32 v2, 0x70000000, v2
	v_mul_f32_e32 v2, 0x7800000, v2
	s_delay_alu instid0(VALU_DEP_1) | instskip(NEXT) | instid1(VALU_DEP_1)
	v_cndmask_b32_e32 v1, v2, v3, vcc_lo
	v_and_or_b32 v0, 0x80000000, v0, v1
	s_delay_alu instid0(VALU_DEP_1)
	v_cvt_f64_f32_e32 v[0:1], v0
.LBB142_608:
	s_mov_b32 s37, 0
	s_mov_b32 s36, -1
.LBB142_609:
	s_and_not1_b32 vcc_lo, exec_lo, s37
	s_cbranch_vccnz .LBB142_620
; %bb.610:
	s_cmp_gt_i32 s35, 14
	s_cbranch_scc0 .LBB142_613
; %bb.611:
	s_cmp_eq_u32 s35, 15
	s_cbranch_scc0 .LBB142_614
; %bb.612:
	global_load_u16 v0, v[4:5], off
	s_mov_b32 s36, -1
	s_mov_b32 s34, 0
	s_wait_loadcnt 0x0
	v_lshlrev_b32_e32 v0, 16, v0
	s_delay_alu instid0(VALU_DEP_1)
	v_cvt_f64_f32_e32 v[0:1], v0
	s_branch .LBB142_615
.LBB142_613:
	s_mov_b32 s37, -1
                                        ; implicit-def: $vgpr0_vgpr1
	s_branch .LBB142_616
.LBB142_614:
	s_mov_b32 s34, -1
                                        ; implicit-def: $vgpr0_vgpr1
.LBB142_615:
	s_mov_b32 s37, 0
.LBB142_616:
	s_delay_alu instid0(SALU_CYCLE_1)
	s_and_b32 vcc_lo, exec_lo, s37
	s_cbranch_vccz .LBB142_620
; %bb.617:
	s_cmp_eq_u32 s35, 11
	s_cbranch_scc0 .LBB142_619
; %bb.618:
	global_load_u8 v0, v[4:5], off
	s_mov_b32 s34, 0
	s_mov_b32 s36, -1
	v_mov_b64_e32 v[2:3], 0
	s_wait_loadcnt 0x0
	v_cmp_ne_u16_e32 vcc_lo, 0, v0
	v_mov_b32_e32 v0, 0
	v_cndmask_b32_e64 v1, 0, 0x3ff00000, vcc_lo
	s_branch .LBB142_621
.LBB142_619:
	s_mov_b32 s34, -1
                                        ; implicit-def: $vgpr0_vgpr1
.LBB142_620:
	v_mov_b64_e32 v[2:3], 0
.LBB142_621:
	s_branch .LBB142_539
.LBB142_622:
	s_and_b32 s0, 0xffff, s0
	s_delay_alu instid0(SALU_CYCLE_1)
	s_cmp_lt_i32 s0, 5
	s_cbranch_scc1 .LBB142_627
; %bb.623:
	s_cmp_lt_i32 s0, 8
	s_cbranch_scc1 .LBB142_628
; %bb.624:
	;; [unrolled: 3-line block ×3, first 2 shown]
	s_cmp_gt_i32 s0, 9
	s_cbranch_scc0 .LBB142_630
; %bb.626:
	global_load_b128 v[0:3], v[4:5], off
	s_mov_b32 s35, 0
	s_branch .LBB142_631
.LBB142_627:
	s_mov_b32 s35, -1
                                        ; implicit-def: $vgpr2_vgpr3
	s_branch .LBB142_650
.LBB142_628:
	s_mov_b32 s35, -1
                                        ; implicit-def: $vgpr2_vgpr3
	s_branch .LBB142_637
.LBB142_629:
	s_mov_b32 s35, -1
                                        ; implicit-def: $vgpr2_vgpr3
	s_branch .LBB142_634
.LBB142_630:
	s_mov_b32 s35, -1
                                        ; implicit-def: $vgpr2_vgpr3
.LBB142_631:
	s_delay_alu instid0(SALU_CYCLE_1)
	s_and_not1_b32 vcc_lo, exec_lo, s35
	s_cbranch_vccnz .LBB142_633
; %bb.632:
	s_wait_loadcnt 0x0
	global_load_b64 v[2:3], v[4:5], off
	s_wait_loadcnt 0x0
	v_cvt_f64_f32_e32 v[0:1], v2
	v_cvt_f64_f32_e32 v[2:3], v3
.LBB142_633:
	s_mov_b32 s35, 0
.LBB142_634:
	s_delay_alu instid0(SALU_CYCLE_1)
	s_and_not1_b32 vcc_lo, exec_lo, s35
	s_cbranch_vccnz .LBB142_636
; %bb.635:
	s_wait_loadcnt 0x0
	global_load_b32 v0, v[4:5], off
	s_wait_loadcnt 0x0
	v_lshrrev_b32_e32 v1, 16, v0
	v_cvt_f32_f16_e32 v0, v0
	s_delay_alu instid0(VALU_DEP_2) | instskip(NEXT) | instid1(VALU_DEP_2)
	v_cvt_f32_f16_e32 v2, v1
	v_cvt_f64_f32_e32 v[0:1], v0
	s_delay_alu instid0(VALU_DEP_2)
	v_cvt_f64_f32_e32 v[2:3], v2
.LBB142_636:
	s_mov_b32 s35, 0
.LBB142_637:
	s_delay_alu instid0(SALU_CYCLE_1)
	s_and_not1_b32 vcc_lo, exec_lo, s35
	s_cbranch_vccnz .LBB142_649
; %bb.638:
	s_cmp_lt_i32 s0, 6
	s_cbranch_scc1 .LBB142_641
; %bb.639:
	s_cmp_gt_i32 s0, 6
	s_cbranch_scc0 .LBB142_642
; %bb.640:
	s_wait_loadcnt 0x0
	global_load_b64 v[0:1], v[4:5], off
	s_mov_b32 s35, 0
	s_branch .LBB142_643
.LBB142_641:
	s_mov_b32 s35, -1
                                        ; implicit-def: $vgpr0_vgpr1
	s_branch .LBB142_646
.LBB142_642:
	s_mov_b32 s35, -1
                                        ; implicit-def: $vgpr0_vgpr1
.LBB142_643:
	s_delay_alu instid0(SALU_CYCLE_1)
	s_and_not1_b32 vcc_lo, exec_lo, s35
	s_cbranch_vccnz .LBB142_645
; %bb.644:
	s_wait_loadcnt 0x0
	global_load_b32 v0, v[4:5], off
	s_wait_loadcnt 0x0
	v_cvt_f64_f32_e32 v[0:1], v0
.LBB142_645:
	s_mov_b32 s35, 0
.LBB142_646:
	s_delay_alu instid0(SALU_CYCLE_1)
	s_and_not1_b32 vcc_lo, exec_lo, s35
	s_cbranch_vccnz .LBB142_648
; %bb.647:
	s_wait_loadcnt 0x0
	global_load_u16 v0, v[4:5], off
	s_wait_loadcnt 0x0
	v_cvt_f32_f16_e32 v0, v0
	s_delay_alu instid0(VALU_DEP_1)
	v_cvt_f64_f32_e32 v[0:1], v0
.LBB142_648:
	s_wait_loadcnt 0x0
	v_mov_b64_e32 v[2:3], 0
.LBB142_649:
	s_mov_b32 s35, 0
.LBB142_650:
	s_delay_alu instid0(SALU_CYCLE_1)
	s_and_not1_b32 vcc_lo, exec_lo, s35
	s_cbranch_vccnz .LBB142_671
; %bb.651:
	s_cmp_lt_i32 s0, 2
	s_cbranch_scc1 .LBB142_655
; %bb.652:
	s_cmp_lt_i32 s0, 3
	s_cbranch_scc1 .LBB142_656
; %bb.653:
	s_cmp_gt_i32 s0, 3
	s_cbranch_scc0 .LBB142_657
; %bb.654:
	s_wait_loadcnt 0x0
	global_load_b64 v[0:1], v[4:5], off
	s_mov_b32 s35, 0
	s_wait_loadcnt 0x0
	v_cvt_f64_i32_e32 v[2:3], v1
	v_cvt_f64_u32_e32 v[0:1], v0
	s_delay_alu instid0(VALU_DEP_2) | instskip(NEXT) | instid1(VALU_DEP_1)
	v_ldexp_f64 v[2:3], v[2:3], 32
	v_add_f64_e32 v[0:1], v[2:3], v[0:1]
	s_branch .LBB142_658
.LBB142_655:
	s_mov_b32 s35, -1
                                        ; implicit-def: $vgpr0_vgpr1
	s_branch .LBB142_664
.LBB142_656:
	s_mov_b32 s35, -1
                                        ; implicit-def: $vgpr0_vgpr1
	s_branch .LBB142_661
.LBB142_657:
	s_mov_b32 s35, -1
                                        ; implicit-def: $vgpr0_vgpr1
.LBB142_658:
	s_delay_alu instid0(SALU_CYCLE_1)
	s_and_not1_b32 vcc_lo, exec_lo, s35
	s_cbranch_vccnz .LBB142_660
; %bb.659:
	s_wait_loadcnt 0x0
	global_load_b32 v0, v[4:5], off
	s_wait_loadcnt 0x0
	v_cvt_f64_i32_e32 v[0:1], v0
.LBB142_660:
	s_mov_b32 s35, 0
.LBB142_661:
	s_delay_alu instid0(SALU_CYCLE_1)
	s_and_not1_b32 vcc_lo, exec_lo, s35
	s_cbranch_vccnz .LBB142_663
; %bb.662:
	s_wait_loadcnt 0x0
	global_load_i16 v0, v[4:5], off
	s_wait_loadcnt 0x0
	v_cvt_f64_i32_e32 v[0:1], v0
.LBB142_663:
	s_mov_b32 s35, 0
.LBB142_664:
	s_delay_alu instid0(SALU_CYCLE_1)
	s_and_not1_b32 vcc_lo, exec_lo, s35
	s_cbranch_vccnz .LBB142_670
; %bb.665:
	s_cmp_gt_i32 s0, 0
	s_mov_b32 s0, 0
	s_cbranch_scc0 .LBB142_667
; %bb.666:
	s_wait_loadcnt 0x0
	global_load_i8 v0, v[4:5], off
	s_wait_loadcnt 0x0
	v_cvt_f64_i32_e32 v[0:1], v0
	s_branch .LBB142_668
.LBB142_667:
	s_mov_b32 s0, -1
                                        ; implicit-def: $vgpr0_vgpr1
.LBB142_668:
	s_delay_alu instid0(SALU_CYCLE_1)
	s_and_not1_b32 vcc_lo, exec_lo, s0
	s_cbranch_vccnz .LBB142_670
; %bb.669:
	s_wait_loadcnt 0x0
	global_load_u8 v0, v[4:5], off
	s_wait_loadcnt 0x0
	v_cvt_f64_u32_e32 v[0:1], v0
.LBB142_670:
	s_wait_loadcnt 0x0
	v_mov_b64_e32 v[2:3], 0
.LBB142_671:
	s_branch .LBB142_540
.LBB142_672:
	s_mov_b32 s39, 0
	s_mov_b32 s0, s27
	;; [unrolled: 1-line block ×4, first 2 shown]
	s_branch .LBB142_1060
.LBB142_673:
	s_mov_b32 s36, -1
	s_mov_b32 s39, exec_lo
	v_cmpx_eq_u16_e32 0x80, v2
; %bb.674:
	s_xor_b32 s36, exec_lo, -1
; %bb.675:
	s_or_b32 exec_lo, exec_lo, s39
	s_delay_alu instid0(SALU_CYCLE_1)
	s_and_b32 s36, s36, exec_lo
	s_or_saveexec_b32 s37, s37
	v_mov_b64_e32 v[0:1], 0x7ff8000020000000
	s_xor_b32 exec_lo, exec_lo, s37
	s_cbranch_execz .LBB142_593
.LBB142_676:
	v_cmp_ne_u16_e32 vcc_lo, 0, v2
	v_mov_b64_e32 v[0:1], 0
	s_and_not1_b32 s36, s36, exec_lo
	s_and_b32 s39, vcc_lo, exec_lo
	s_delay_alu instid0(SALU_CYCLE_1)
	s_or_b32 s36, s36, s39
	s_or_b32 exec_lo, exec_lo, s37
	s_and_saveexec_b32 s37, s36
	s_cbranch_execnz .LBB142_594
	s_branch .LBB142_595
.LBB142_677:
	s_mov_b32 s37, -1
	s_mov_b32 s36, 0
.LBB142_678:
                                        ; implicit-def: $vgpr6_vgpr7
.LBB142_679:
	s_and_b32 vcc_lo, exec_lo, s39
	s_cbranch_vccz .LBB142_684
; %bb.680:
	s_cmp_eq_u32 s35, 44
	s_cbranch_scc0 .LBB142_682
; %bb.681:
	global_load_u8 v6, v[8:9], off
	s_mov_b32 s37, 0
	s_mov_b32 s36, -1
	s_wait_loadcnt 0x0
	v_cmp_ne_u32_e32 vcc_lo, 0xff, v6
	v_lshlrev_b32_e32 v4, 23, v6
	s_delay_alu instid0(VALU_DEP_1) | instskip(NEXT) | instid1(VALU_DEP_1)
	v_cvt_f64_f32_e32 v[4:5], v4
	v_cndmask_b32_e32 v4, 0x20000000, v4, vcc_lo
	s_delay_alu instid0(VALU_DEP_2) | instskip(SKIP_1) | instid1(VALU_DEP_2)
	v_cndmask_b32_e32 v5, 0x7ff80000, v5, vcc_lo
	v_cmp_ne_u32_e32 vcc_lo, 0, v6
	v_cndmask_b32_e32 v5, 0x38000000, v5, vcc_lo
	s_delay_alu instid0(VALU_DEP_4)
	v_cndmask_b32_e32 v4, 0, v4, vcc_lo
	s_branch .LBB142_683
.LBB142_682:
	s_mov_b32 s37, -1
                                        ; implicit-def: $vgpr4_vgpr5
.LBB142_683:
	v_mov_b64_e32 v[6:7], 0
.LBB142_684:
	s_mov_b32 s39, 0
.LBB142_685:
	s_delay_alu instid0(SALU_CYCLE_1)
	s_and_b32 vcc_lo, exec_lo, s39
	s_cbranch_vccz .LBB142_690
; %bb.686:
	s_cmp_eq_u32 s35, 29
	s_cbranch_scc0 .LBB142_688
; %bb.687:
	global_load_b64 v[4:5], v[8:9], off
	s_mov_b32 s36, -1
	s_mov_b32 s37, 0
	s_wait_loadcnt 0x0
	v_cvt_f64_u32_e32 v[6:7], v5
	v_cvt_f64_u32_e32 v[4:5], v4
	s_delay_alu instid0(VALU_DEP_2) | instskip(NEXT) | instid1(VALU_DEP_1)
	v_ldexp_f64 v[6:7], v[6:7], 32
	v_add_f64_e32 v[4:5], v[6:7], v[4:5]
	s_branch .LBB142_689
.LBB142_688:
	s_mov_b32 s37, -1
                                        ; implicit-def: $vgpr4_vgpr5
.LBB142_689:
	v_mov_b64_e32 v[6:7], 0
.LBB142_690:
	s_mov_b32 s39, 0
.LBB142_691:
	s_delay_alu instid0(SALU_CYCLE_1)
	s_and_b32 vcc_lo, exec_lo, s39
	s_cbranch_vccz .LBB142_707
; %bb.692:
	s_cmp_lt_i32 s35, 27
	s_cbranch_scc1 .LBB142_695
; %bb.693:
	s_cmp_gt_i32 s35, 27
	s_cbranch_scc0 .LBB142_696
; %bb.694:
	global_load_b32 v4, v[8:9], off
	s_mov_b32 s36, 0
	s_wait_loadcnt 0x0
	v_cvt_f64_u32_e32 v[4:5], v4
	s_branch .LBB142_697
.LBB142_695:
	s_mov_b32 s36, -1
                                        ; implicit-def: $vgpr4_vgpr5
	s_branch .LBB142_700
.LBB142_696:
	s_mov_b32 s36, -1
                                        ; implicit-def: $vgpr4_vgpr5
.LBB142_697:
	s_delay_alu instid0(SALU_CYCLE_1)
	s_and_not1_b32 vcc_lo, exec_lo, s36
	s_cbranch_vccnz .LBB142_699
; %bb.698:
	global_load_u16 v4, v[8:9], off
	s_wait_loadcnt 0x0
	v_cvt_f64_u32_e32 v[4:5], v4
.LBB142_699:
	s_mov_b32 s36, 0
.LBB142_700:
	s_delay_alu instid0(SALU_CYCLE_1)
	s_and_not1_b32 vcc_lo, exec_lo, s36
	s_cbranch_vccnz .LBB142_706
; %bb.701:
	global_load_u8 v6, v[8:9], off
	s_mov_b32 s36, 0
	s_mov_b32 s39, exec_lo
	s_wait_loadcnt 0x0
	v_cmpx_lt_i16_e32 0x7f, v6
	s_xor_b32 s39, exec_lo, s39
	s_cbranch_execnz .LBB142_719
; %bb.702:
	s_or_saveexec_b32 s39, s39
	v_mov_b64_e32 v[4:5], 0x7ff8000020000000
	s_xor_b32 exec_lo, exec_lo, s39
	s_cbranch_execnz .LBB142_722
.LBB142_703:
	s_or_b32 exec_lo, exec_lo, s39
	s_and_saveexec_b32 s39, s36
	s_cbranch_execz .LBB142_705
.LBB142_704:
	v_and_b32_e32 v4, 0xffff, v6
	s_delay_alu instid0(VALU_DEP_1) | instskip(SKIP_1) | instid1(VALU_DEP_2)
	v_and_b32_e32 v5, 7, v4
	v_bfe_u32 v11, v4, 3, 4
	v_clz_i32_u32_e32 v7, v5
	s_delay_alu instid0(VALU_DEP_2) | instskip(NEXT) | instid1(VALU_DEP_2)
	v_cmp_eq_u32_e32 vcc_lo, 0, v11
	v_min_u32_e32 v7, 32, v7
	s_delay_alu instid0(VALU_DEP_1) | instskip(NEXT) | instid1(VALU_DEP_1)
	v_subrev_nc_u32_e32 v10, 28, v7
	v_dual_lshlrev_b32 v4, v10, v4 :: v_dual_sub_nc_u32 v7, 29, v7
	s_delay_alu instid0(VALU_DEP_1) | instskip(NEXT) | instid1(VALU_DEP_1)
	v_dual_lshlrev_b32 v6, 24, v6 :: v_dual_bitop2_b32 v4, 7, v4 bitop3:0x40
	v_dual_cndmask_b32 v7, v11, v7 :: v_dual_cndmask_b32 v4, v5, v4
	s_delay_alu instid0(VALU_DEP_2) | instskip(NEXT) | instid1(VALU_DEP_2)
	v_and_b32_e32 v5, 0x80000000, v6
	v_lshl_add_u32 v6, v7, 23, 0x3b800000
	s_delay_alu instid0(VALU_DEP_3) | instskip(NEXT) | instid1(VALU_DEP_1)
	v_lshlrev_b32_e32 v4, 20, v4
	v_or3_b32 v4, v5, v6, v4
	s_delay_alu instid0(VALU_DEP_1)
	v_cvt_f64_f32_e32 v[4:5], v4
.LBB142_705:
	s_or_b32 exec_lo, exec_lo, s39
.LBB142_706:
	v_mov_b64_e32 v[6:7], 0
	s_mov_b32 s36, -1
.LBB142_707:
	s_mov_b32 s39, 0
.LBB142_708:
	s_delay_alu instid0(SALU_CYCLE_1)
	s_and_b32 vcc_lo, exec_lo, s39
	s_cbranch_vccz .LBB142_742
; %bb.709:
	s_cmp_gt_i32 s35, 22
	s_cbranch_scc0 .LBB142_717
; %bb.710:
	s_cmp_lt_i32 s35, 24
	s_cbranch_scc1 .LBB142_718
; %bb.711:
	s_cmp_gt_i32 s35, 24
	s_cbranch_scc0 .LBB142_723
; %bb.712:
	global_load_u8 v6, v[8:9], off
	s_mov_b32 s36, 0
	s_mov_b32 s39, exec_lo
	s_wait_loadcnt 0x0
	v_cmpx_lt_i16_e32 0x7f, v6
	s_xor_b32 s39, exec_lo, s39
	s_cbranch_execnz .LBB142_807
; %bb.713:
	s_or_saveexec_b32 s39, s39
	v_mov_b64_e32 v[4:5], 0x7ff8000020000000
	s_xor_b32 exec_lo, exec_lo, s39
	s_cbranch_execnz .LBB142_810
.LBB142_714:
	s_or_b32 exec_lo, exec_lo, s39
	s_and_saveexec_b32 s39, s36
	s_cbranch_execz .LBB142_716
.LBB142_715:
	v_and_b32_e32 v4, 0xffff, v6
	s_delay_alu instid0(VALU_DEP_1) | instskip(SKIP_1) | instid1(VALU_DEP_2)
	v_and_b32_e32 v5, 3, v4
	v_bfe_u32 v11, v4, 2, 5
	v_clz_i32_u32_e32 v7, v5
	s_delay_alu instid0(VALU_DEP_2) | instskip(NEXT) | instid1(VALU_DEP_2)
	v_cmp_eq_u32_e32 vcc_lo, 0, v11
	v_min_u32_e32 v7, 32, v7
	s_delay_alu instid0(VALU_DEP_1) | instskip(NEXT) | instid1(VALU_DEP_1)
	v_subrev_nc_u32_e32 v10, 29, v7
	v_dual_lshlrev_b32 v4, v10, v4 :: v_dual_sub_nc_u32 v7, 30, v7
	s_delay_alu instid0(VALU_DEP_1) | instskip(NEXT) | instid1(VALU_DEP_1)
	v_dual_lshlrev_b32 v6, 24, v6 :: v_dual_bitop2_b32 v4, 3, v4 bitop3:0x40
	v_dual_cndmask_b32 v7, v11, v7 :: v_dual_cndmask_b32 v4, v5, v4
	s_delay_alu instid0(VALU_DEP_2) | instskip(NEXT) | instid1(VALU_DEP_2)
	v_and_b32_e32 v5, 0x80000000, v6
	v_lshl_add_u32 v6, v7, 23, 0x37800000
	s_delay_alu instid0(VALU_DEP_3) | instskip(NEXT) | instid1(VALU_DEP_1)
	v_lshlrev_b32_e32 v4, 21, v4
	v_or3_b32 v4, v5, v6, v4
	s_delay_alu instid0(VALU_DEP_1)
	v_cvt_f64_f32_e32 v[4:5], v4
.LBB142_716:
	s_or_b32 exec_lo, exec_lo, s39
	s_mov_b32 s36, 0
	s_branch .LBB142_724
.LBB142_717:
	s_mov_b32 s39, -1
                                        ; implicit-def: $vgpr4_vgpr5
	s_branch .LBB142_730
.LBB142_718:
	s_mov_b32 s36, -1
                                        ; implicit-def: $vgpr4_vgpr5
	s_branch .LBB142_727
.LBB142_719:
	s_mov_b32 s36, -1
	s_mov_b32 s40, exec_lo
	v_cmpx_eq_u16_e32 0x80, v6
; %bb.720:
	s_xor_b32 s36, exec_lo, -1
; %bb.721:
	s_or_b32 exec_lo, exec_lo, s40
	s_delay_alu instid0(SALU_CYCLE_1)
	s_and_b32 s36, s36, exec_lo
	s_or_saveexec_b32 s39, s39
	v_mov_b64_e32 v[4:5], 0x7ff8000020000000
	s_xor_b32 exec_lo, exec_lo, s39
	s_cbranch_execz .LBB142_703
.LBB142_722:
	v_cmp_ne_u16_e32 vcc_lo, 0, v6
	v_mov_b64_e32 v[4:5], 0
	s_and_not1_b32 s36, s36, exec_lo
	s_and_b32 s40, vcc_lo, exec_lo
	s_delay_alu instid0(SALU_CYCLE_1)
	s_or_b32 s36, s36, s40
	s_or_b32 exec_lo, exec_lo, s39
	s_and_saveexec_b32 s39, s36
	s_cbranch_execnz .LBB142_704
	s_branch .LBB142_705
.LBB142_723:
	s_mov_b32 s36, -1
                                        ; implicit-def: $vgpr4_vgpr5
.LBB142_724:
	s_delay_alu instid0(SALU_CYCLE_1)
	s_and_b32 vcc_lo, exec_lo, s36
	s_cbranch_vccz .LBB142_726
; %bb.725:
	global_load_u8 v4, v[8:9], off
	s_wait_loadcnt 0x0
	v_lshlrev_b32_e32 v4, 24, v4
	s_delay_alu instid0(VALU_DEP_1) | instskip(NEXT) | instid1(VALU_DEP_1)
	v_and_b32_e32 v5, 0x7f000000, v4
	v_clz_i32_u32_e32 v6, v5
	v_cmp_ne_u32_e32 vcc_lo, 0, v5
	v_add_nc_u32_e32 v10, 0x1000000, v5
	s_delay_alu instid0(VALU_DEP_3) | instskip(NEXT) | instid1(VALU_DEP_1)
	v_min_u32_e32 v6, 32, v6
	v_sub_nc_u32_e64 v6, v6, 4 clamp
	s_delay_alu instid0(VALU_DEP_1) | instskip(NEXT) | instid1(VALU_DEP_1)
	v_dual_lshlrev_b32 v7, v6, v5 :: v_dual_lshlrev_b32 v6, 23, v6
	v_lshrrev_b32_e32 v7, 4, v7
	s_delay_alu instid0(VALU_DEP_1) | instskip(SKIP_1) | instid1(VALU_DEP_2)
	v_sub_nc_u32_e32 v6, v7, v6
	v_ashrrev_i32_e32 v7, 8, v10
	v_add_nc_u32_e32 v6, 0x3c000000, v6
	s_delay_alu instid0(VALU_DEP_1) | instskip(NEXT) | instid1(VALU_DEP_1)
	v_and_or_b32 v6, 0x7f800000, v7, v6
	v_cndmask_b32_e32 v5, 0, v6, vcc_lo
	s_delay_alu instid0(VALU_DEP_1) | instskip(NEXT) | instid1(VALU_DEP_1)
	v_and_or_b32 v4, 0x80000000, v4, v5
	v_cvt_f64_f32_e32 v[4:5], v4
.LBB142_726:
	s_mov_b32 s36, 0
.LBB142_727:
	s_delay_alu instid0(SALU_CYCLE_1)
	s_and_not1_b32 vcc_lo, exec_lo, s36
	s_cbranch_vccnz .LBB142_729
; %bb.728:
	global_load_u8 v4, v[8:9], off
	s_wait_loadcnt 0x0
	v_lshlrev_b32_e32 v5, 25, v4
	v_lshlrev_b16 v4, 8, v4
	s_delay_alu instid0(VALU_DEP_1) | instskip(SKIP_1) | instid1(VALU_DEP_2)
	v_and_or_b32 v7, 0x7f00, v4, 0.5
	v_bfe_i32 v4, v4, 0, 16
	v_dual_add_f32 v7, -0.5, v7 :: v_dual_lshrrev_b32 v6, 4, v5
	v_cmp_gt_u32_e32 vcc_lo, 0x8000000, v5
	s_delay_alu instid0(VALU_DEP_2) | instskip(NEXT) | instid1(VALU_DEP_1)
	v_or_b32_e32 v6, 0x70000000, v6
	v_mul_f32_e32 v6, 0x7800000, v6
	s_delay_alu instid0(VALU_DEP_1) | instskip(NEXT) | instid1(VALU_DEP_1)
	v_cndmask_b32_e32 v5, v6, v7, vcc_lo
	v_and_or_b32 v4, 0x80000000, v4, v5
	s_delay_alu instid0(VALU_DEP_1)
	v_cvt_f64_f32_e32 v[4:5], v4
.LBB142_729:
	s_mov_b32 s39, 0
	s_mov_b32 s36, -1
.LBB142_730:
	s_and_not1_b32 vcc_lo, exec_lo, s39
	s_cbranch_vccnz .LBB142_741
; %bb.731:
	s_cmp_gt_i32 s35, 14
	s_cbranch_scc0 .LBB142_734
; %bb.732:
	s_cmp_eq_u32 s35, 15
	s_cbranch_scc0 .LBB142_735
; %bb.733:
	global_load_u16 v4, v[8:9], off
	s_mov_b32 s36, -1
	s_mov_b32 s37, 0
	s_wait_loadcnt 0x0
	v_lshlrev_b32_e32 v4, 16, v4
	s_delay_alu instid0(VALU_DEP_1)
	v_cvt_f64_f32_e32 v[4:5], v4
	s_branch .LBB142_736
.LBB142_734:
	s_mov_b32 s39, -1
                                        ; implicit-def: $vgpr4_vgpr5
	s_branch .LBB142_737
.LBB142_735:
	s_mov_b32 s37, -1
                                        ; implicit-def: $vgpr4_vgpr5
.LBB142_736:
	s_mov_b32 s39, 0
.LBB142_737:
	s_delay_alu instid0(SALU_CYCLE_1)
	s_and_b32 vcc_lo, exec_lo, s39
	s_cbranch_vccz .LBB142_741
; %bb.738:
	s_cmp_eq_u32 s35, 11
	s_cbranch_scc0 .LBB142_740
; %bb.739:
	global_load_u8 v4, v[8:9], off
	s_mov_b32 s37, 0
	s_mov_b32 s36, -1
	v_mov_b64_e32 v[6:7], 0
	s_wait_loadcnt 0x0
	v_cmp_ne_u16_e32 vcc_lo, 0, v4
	v_mov_b32_e32 v4, 0
	v_cndmask_b32_e64 v5, 0, 0x3ff00000, vcc_lo
	s_branch .LBB142_742
.LBB142_740:
	s_mov_b32 s37, -1
                                        ; implicit-def: $vgpr4_vgpr5
.LBB142_741:
	v_mov_b64_e32 v[6:7], 0
.LBB142_742:
	s_mov_b32 s35, 0
.LBB142_743:
	s_delay_alu instid0(SALU_CYCLE_1)
	s_and_b32 vcc_lo, exec_lo, s35
	s_cbranch_vccz .LBB142_794
; %bb.744:
	s_and_b32 s0, 0xffff, s0
	s_delay_alu instid0(SALU_CYCLE_1)
	s_cmp_lt_i32 s0, 5
	s_cbranch_scc1 .LBB142_749
; %bb.745:
	s_cmp_lt_i32 s0, 8
	s_cbranch_scc1 .LBB142_750
; %bb.746:
	;; [unrolled: 3-line block ×3, first 2 shown]
	s_cmp_gt_i32 s0, 9
	s_cbranch_scc0 .LBB142_752
; %bb.748:
	global_load_b128 v[4:7], v[8:9], off
	s_mov_b32 s35, 0
	s_branch .LBB142_753
.LBB142_749:
	s_mov_b32 s35, -1
                                        ; implicit-def: $vgpr6_vgpr7
	s_branch .LBB142_772
.LBB142_750:
	s_mov_b32 s35, -1
                                        ; implicit-def: $vgpr6_vgpr7
	s_branch .LBB142_759
.LBB142_751:
	s_mov_b32 s35, -1
                                        ; implicit-def: $vgpr6_vgpr7
	s_branch .LBB142_756
.LBB142_752:
	s_mov_b32 s35, -1
                                        ; implicit-def: $vgpr6_vgpr7
.LBB142_753:
	s_delay_alu instid0(SALU_CYCLE_1)
	s_and_not1_b32 vcc_lo, exec_lo, s35
	s_cbranch_vccnz .LBB142_755
; %bb.754:
	s_wait_loadcnt 0x0
	global_load_b64 v[6:7], v[8:9], off
	s_wait_loadcnt 0x0
	v_cvt_f64_f32_e32 v[4:5], v6
	v_cvt_f64_f32_e32 v[6:7], v7
.LBB142_755:
	s_mov_b32 s35, 0
.LBB142_756:
	s_delay_alu instid0(SALU_CYCLE_1)
	s_and_not1_b32 vcc_lo, exec_lo, s35
	s_cbranch_vccnz .LBB142_758
; %bb.757:
	s_wait_loadcnt 0x0
	global_load_b32 v4, v[8:9], off
	s_wait_loadcnt 0x0
	v_lshrrev_b32_e32 v5, 16, v4
	v_cvt_f32_f16_e32 v4, v4
	s_delay_alu instid0(VALU_DEP_2) | instskip(NEXT) | instid1(VALU_DEP_2)
	v_cvt_f32_f16_e32 v6, v5
	v_cvt_f64_f32_e32 v[4:5], v4
	s_delay_alu instid0(VALU_DEP_2)
	v_cvt_f64_f32_e32 v[6:7], v6
.LBB142_758:
	s_mov_b32 s35, 0
.LBB142_759:
	s_delay_alu instid0(SALU_CYCLE_1)
	s_and_not1_b32 vcc_lo, exec_lo, s35
	s_cbranch_vccnz .LBB142_771
; %bb.760:
	s_cmp_lt_i32 s0, 6
	s_cbranch_scc1 .LBB142_763
; %bb.761:
	s_cmp_gt_i32 s0, 6
	s_cbranch_scc0 .LBB142_764
; %bb.762:
	s_wait_loadcnt 0x0
	global_load_b64 v[4:5], v[8:9], off
	s_mov_b32 s35, 0
	s_branch .LBB142_765
.LBB142_763:
	s_mov_b32 s35, -1
                                        ; implicit-def: $vgpr4_vgpr5
	s_branch .LBB142_768
.LBB142_764:
	s_mov_b32 s35, -1
                                        ; implicit-def: $vgpr4_vgpr5
.LBB142_765:
	s_delay_alu instid0(SALU_CYCLE_1)
	s_and_not1_b32 vcc_lo, exec_lo, s35
	s_cbranch_vccnz .LBB142_767
; %bb.766:
	s_wait_loadcnt 0x0
	global_load_b32 v4, v[8:9], off
	s_wait_loadcnt 0x0
	v_cvt_f64_f32_e32 v[4:5], v4
.LBB142_767:
	s_mov_b32 s35, 0
.LBB142_768:
	s_delay_alu instid0(SALU_CYCLE_1)
	s_and_not1_b32 vcc_lo, exec_lo, s35
	s_cbranch_vccnz .LBB142_770
; %bb.769:
	s_wait_loadcnt 0x0
	global_load_u16 v4, v[8:9], off
	s_wait_loadcnt 0x0
	v_cvt_f32_f16_e32 v4, v4
	s_delay_alu instid0(VALU_DEP_1)
	v_cvt_f64_f32_e32 v[4:5], v4
.LBB142_770:
	s_wait_loadcnt 0x0
	v_mov_b64_e32 v[6:7], 0
.LBB142_771:
	s_mov_b32 s35, 0
.LBB142_772:
	s_delay_alu instid0(SALU_CYCLE_1)
	s_and_not1_b32 vcc_lo, exec_lo, s35
	s_cbranch_vccnz .LBB142_793
; %bb.773:
	s_cmp_lt_i32 s0, 2
	s_cbranch_scc1 .LBB142_777
; %bb.774:
	s_cmp_lt_i32 s0, 3
	s_cbranch_scc1 .LBB142_778
; %bb.775:
	s_cmp_gt_i32 s0, 3
	s_cbranch_scc0 .LBB142_779
; %bb.776:
	s_wait_loadcnt 0x0
	global_load_b64 v[4:5], v[8:9], off
	s_mov_b32 s35, 0
	s_wait_loadcnt 0x0
	v_cvt_f64_i32_e32 v[6:7], v5
	v_cvt_f64_u32_e32 v[4:5], v4
	s_delay_alu instid0(VALU_DEP_2) | instskip(NEXT) | instid1(VALU_DEP_1)
	v_ldexp_f64 v[6:7], v[6:7], 32
	v_add_f64_e32 v[4:5], v[6:7], v[4:5]
	s_branch .LBB142_780
.LBB142_777:
	s_mov_b32 s35, -1
                                        ; implicit-def: $vgpr4_vgpr5
	s_branch .LBB142_786
.LBB142_778:
	s_mov_b32 s35, -1
                                        ; implicit-def: $vgpr4_vgpr5
	s_branch .LBB142_783
.LBB142_779:
	s_mov_b32 s35, -1
                                        ; implicit-def: $vgpr4_vgpr5
.LBB142_780:
	s_delay_alu instid0(SALU_CYCLE_1)
	s_and_not1_b32 vcc_lo, exec_lo, s35
	s_cbranch_vccnz .LBB142_782
; %bb.781:
	s_wait_loadcnt 0x0
	global_load_b32 v4, v[8:9], off
	s_wait_loadcnt 0x0
	v_cvt_f64_i32_e32 v[4:5], v4
.LBB142_782:
	s_mov_b32 s35, 0
.LBB142_783:
	s_delay_alu instid0(SALU_CYCLE_1)
	s_and_not1_b32 vcc_lo, exec_lo, s35
	s_cbranch_vccnz .LBB142_785
; %bb.784:
	s_wait_loadcnt 0x0
	global_load_i16 v4, v[8:9], off
	s_wait_loadcnt 0x0
	v_cvt_f64_i32_e32 v[4:5], v4
.LBB142_785:
	s_mov_b32 s35, 0
.LBB142_786:
	s_delay_alu instid0(SALU_CYCLE_1)
	s_and_not1_b32 vcc_lo, exec_lo, s35
	s_cbranch_vccnz .LBB142_792
; %bb.787:
	s_cmp_gt_i32 s0, 0
	s_mov_b32 s0, 0
	s_cbranch_scc0 .LBB142_789
; %bb.788:
	s_wait_loadcnt 0x0
	global_load_i8 v4, v[8:9], off
	s_wait_loadcnt 0x0
	v_cvt_f64_i32_e32 v[4:5], v4
	s_branch .LBB142_790
.LBB142_789:
	s_mov_b32 s0, -1
                                        ; implicit-def: $vgpr4_vgpr5
.LBB142_790:
	s_delay_alu instid0(SALU_CYCLE_1)
	s_and_not1_b32 vcc_lo, exec_lo, s0
	s_cbranch_vccnz .LBB142_792
; %bb.791:
	s_wait_loadcnt 0x0
	global_load_u8 v4, v[8:9], off
	s_wait_loadcnt 0x0
	v_cvt_f64_u32_e32 v[4:5], v4
.LBB142_792:
	s_wait_loadcnt 0x0
	v_mov_b64_e32 v[6:7], 0
.LBB142_793:
	s_mov_b32 s36, -1
.LBB142_794:
	s_delay_alu instid0(SALU_CYCLE_1)
	s_and_not1_b32 vcc_lo, exec_lo, s36
	s_cbranch_vccnz .LBB142_802
; %bb.795:
	s_wait_xcnt 0x0
	v_mul_lo_u32 v8, v50, s23
	s_and_b32 s0, 0xffff, s1
	s_delay_alu instid0(SALU_CYCLE_1) | instskip(NEXT) | instid1(VALU_DEP_1)
	s_cmp_lt_i32 s0, 11
	v_ashrrev_i32_e32 v9, 31, v8
	s_delay_alu instid0(VALU_DEP_1)
	v_add_nc_u64_e32 v[12:13], s[10:11], v[8:9]
	s_cbranch_scc1 .LBB142_803
; %bb.796:
	s_cmp_gt_i32 s0, 25
	s_cbranch_scc0 .LBB142_804
; %bb.797:
	s_cmp_gt_i32 s0, 28
	s_cbranch_scc0 .LBB142_805
	;; [unrolled: 3-line block ×4, first 2 shown]
; %bb.800:
	s_cmp_eq_u32 s0, 46
	s_mov_b32 s39, 0
	s_cbranch_scc0 .LBB142_814
; %bb.801:
	global_load_b32 v8, v[12:13], off
	s_mov_b32 s36, -1
	s_mov_b32 s35, 0
	s_wait_loadcnt 0x0
	v_lshlrev_b32_e32 v9, 16, v8
	v_and_b32_e32 v10, 0xffff0000, v8
	s_delay_alu instid0(VALU_DEP_2) | instskip(NEXT) | instid1(VALU_DEP_2)
	v_cvt_f64_f32_e32 v[8:9], v9
	v_cvt_f64_f32_e32 v[10:11], v10
	s_branch .LBB142_816
.LBB142_802:
	s_mov_b32 s39, 0
	s_mov_b32 s0, s27
	;; [unrolled: 1-line block ×3, first 2 shown]
	s_branch .LBB142_1060
.LBB142_803:
	s_mov_b32 s39, -1
	s_mov_b32 s36, 0
	s_mov_b32 s35, s29
                                        ; implicit-def: $vgpr10_vgpr11
	s_branch .LBB142_880
.LBB142_804:
	s_mov_b32 s39, -1
	s_mov_b32 s36, 0
	s_mov_b32 s35, s29
                                        ; implicit-def: $vgpr10_vgpr11
	s_branch .LBB142_845
.LBB142_805:
	s_mov_b32 s39, -1
	s_mov_b32 s36, 0
	s_mov_b32 s35, s29
                                        ; implicit-def: $vgpr10_vgpr11
	s_branch .LBB142_828
.LBB142_806:
	s_mov_b32 s39, -1
	s_mov_b32 s36, 0
	s_mov_b32 s35, s29
                                        ; implicit-def: $vgpr10_vgpr11
	s_branch .LBB142_822
.LBB142_807:
	s_mov_b32 s36, -1
	s_mov_b32 s40, exec_lo
	v_cmpx_eq_u16_e32 0x80, v6
; %bb.808:
	s_xor_b32 s36, exec_lo, -1
; %bb.809:
	s_or_b32 exec_lo, exec_lo, s40
	s_delay_alu instid0(SALU_CYCLE_1)
	s_and_b32 s36, s36, exec_lo
	s_or_saveexec_b32 s39, s39
	v_mov_b64_e32 v[4:5], 0x7ff8000020000000
	s_xor_b32 exec_lo, exec_lo, s39
	s_cbranch_execz .LBB142_714
.LBB142_810:
	v_cmp_ne_u16_e32 vcc_lo, 0, v6
	v_mov_b64_e32 v[4:5], 0
	s_and_not1_b32 s36, s36, exec_lo
	s_and_b32 s40, vcc_lo, exec_lo
	s_delay_alu instid0(SALU_CYCLE_1)
	s_or_b32 s36, s36, s40
	s_or_b32 exec_lo, exec_lo, s39
	s_and_saveexec_b32 s39, s36
	s_cbranch_execnz .LBB142_715
	s_branch .LBB142_716
.LBB142_811:
	s_mov_b32 s39, -1
	s_mov_b32 s36, 0
	s_mov_b32 s35, s29
	s_branch .LBB142_815
.LBB142_812:
	v_bfe_u32 v7, v6, 20, 1
	s_mov_b32 s37, exec_lo
	s_delay_alu instid0(VALU_DEP_1) | instskip(NEXT) | instid1(VALU_DEP_1)
	v_add3_u32 v7, v6, v7, 0x487ffff
	v_lshrrev_b32_e32 v7, 20, v7
	s_and_not1_saveexec_b32 s38, s38
	s_cbranch_execz .LBB142_435
.LBB142_813:
	v_add_f32_e64 v7, 0x46000000, |v6|
	s_and_not1_b32 s37, s37, exec_lo
	s_delay_alu instid0(VALU_DEP_1) | instskip(NEXT) | instid1(VALU_DEP_1)
	v_and_b32_e32 v7, 0xff, v7
	v_cmp_ne_u32_e32 vcc_lo, 0, v7
	s_and_b32 s39, vcc_lo, exec_lo
	s_delay_alu instid0(SALU_CYCLE_1)
	s_or_b32 s37, s37, s39
	s_or_b32 exec_lo, exec_lo, s38
	v_mov_b32_e32 v8, 0
	s_and_saveexec_b32 s38, s37
	s_cbranch_execnz .LBB142_436
	s_branch .LBB142_437
.LBB142_814:
	s_mov_b32 s35, -1
	s_mov_b32 s36, 0
.LBB142_815:
                                        ; implicit-def: $vgpr10_vgpr11
.LBB142_816:
	s_and_b32 vcc_lo, exec_lo, s39
	s_cbranch_vccz .LBB142_821
; %bb.817:
	s_cmp_eq_u32 s0, 44
	s_cbranch_scc0 .LBB142_819
; %bb.818:
	global_load_u8 v10, v[12:13], off
	s_mov_b32 s35, 0
	s_mov_b32 s36, -1
	s_wait_loadcnt 0x0
	v_cmp_ne_u32_e32 vcc_lo, 0xff, v10
	v_lshlrev_b32_e32 v8, 23, v10
	s_delay_alu instid0(VALU_DEP_1) | instskip(NEXT) | instid1(VALU_DEP_1)
	v_cvt_f64_f32_e32 v[8:9], v8
	v_cndmask_b32_e32 v8, 0x20000000, v8, vcc_lo
	s_delay_alu instid0(VALU_DEP_2) | instskip(SKIP_1) | instid1(VALU_DEP_2)
	v_cndmask_b32_e32 v9, 0x7ff80000, v9, vcc_lo
	v_cmp_ne_u32_e32 vcc_lo, 0, v10
	v_cndmask_b32_e32 v9, 0x38000000, v9, vcc_lo
	s_delay_alu instid0(VALU_DEP_4)
	v_cndmask_b32_e32 v8, 0, v8, vcc_lo
	s_branch .LBB142_820
.LBB142_819:
	s_mov_b32 s35, -1
                                        ; implicit-def: $vgpr8_vgpr9
.LBB142_820:
	v_mov_b64_e32 v[10:11], 0
.LBB142_821:
	s_mov_b32 s39, 0
.LBB142_822:
	s_delay_alu instid0(SALU_CYCLE_1)
	s_and_b32 vcc_lo, exec_lo, s39
	s_cbranch_vccz .LBB142_827
; %bb.823:
	s_cmp_eq_u32 s0, 29
	s_cbranch_scc0 .LBB142_825
; %bb.824:
	global_load_b64 v[8:9], v[12:13], off
	s_mov_b32 s36, -1
	s_mov_b32 s35, 0
	s_wait_loadcnt 0x0
	v_cvt_f64_u32_e32 v[10:11], v9
	v_cvt_f64_u32_e32 v[8:9], v8
	s_delay_alu instid0(VALU_DEP_2) | instskip(NEXT) | instid1(VALU_DEP_1)
	v_ldexp_f64 v[10:11], v[10:11], 32
	v_add_f64_e32 v[8:9], v[10:11], v[8:9]
	s_branch .LBB142_826
.LBB142_825:
	s_mov_b32 s35, -1
                                        ; implicit-def: $vgpr8_vgpr9
.LBB142_826:
	v_mov_b64_e32 v[10:11], 0
.LBB142_827:
	s_mov_b32 s39, 0
.LBB142_828:
	s_delay_alu instid0(SALU_CYCLE_1)
	s_and_b32 vcc_lo, exec_lo, s39
	s_cbranch_vccz .LBB142_844
; %bb.829:
	s_cmp_lt_i32 s0, 27
	s_cbranch_scc1 .LBB142_832
; %bb.830:
	s_cmp_gt_i32 s0, 27
	s_cbranch_scc0 .LBB142_833
; %bb.831:
	global_load_b32 v8, v[12:13], off
	s_mov_b32 s36, 0
	s_wait_loadcnt 0x0
	v_cvt_f64_u32_e32 v[8:9], v8
	s_branch .LBB142_834
.LBB142_832:
	s_mov_b32 s36, -1
                                        ; implicit-def: $vgpr8_vgpr9
	s_branch .LBB142_837
.LBB142_833:
	s_mov_b32 s36, -1
                                        ; implicit-def: $vgpr8_vgpr9
.LBB142_834:
	s_delay_alu instid0(SALU_CYCLE_1)
	s_and_not1_b32 vcc_lo, exec_lo, s36
	s_cbranch_vccnz .LBB142_836
; %bb.835:
	global_load_u16 v8, v[12:13], off
	s_wait_loadcnt 0x0
	v_cvt_f64_u32_e32 v[8:9], v8
.LBB142_836:
	s_mov_b32 s36, 0
.LBB142_837:
	s_delay_alu instid0(SALU_CYCLE_1)
	s_and_not1_b32 vcc_lo, exec_lo, s36
	s_cbranch_vccnz .LBB142_843
; %bb.838:
	global_load_u8 v10, v[12:13], off
	s_mov_b32 s36, 0
	s_mov_b32 s39, exec_lo
	s_wait_loadcnt 0x0
	v_cmpx_lt_i16_e32 0x7f, v10
	s_xor_b32 s39, exec_lo, s39
	s_cbranch_execnz .LBB142_856
; %bb.839:
	s_or_saveexec_b32 s39, s39
	v_mov_b64_e32 v[8:9], 0x7ff8000020000000
	s_xor_b32 exec_lo, exec_lo, s39
	s_cbranch_execnz .LBB142_859
.LBB142_840:
	s_or_b32 exec_lo, exec_lo, s39
	s_and_saveexec_b32 s39, s36
	s_cbranch_execz .LBB142_842
.LBB142_841:
	v_and_b32_e32 v8, 0xffff, v10
	s_delay_alu instid0(VALU_DEP_1) | instskip(SKIP_1) | instid1(VALU_DEP_2)
	v_and_b32_e32 v9, 7, v8
	v_bfe_u32 v15, v8, 3, 4
	v_clz_i32_u32_e32 v11, v9
	s_delay_alu instid0(VALU_DEP_2) | instskip(NEXT) | instid1(VALU_DEP_2)
	v_cmp_eq_u32_e32 vcc_lo, 0, v15
	v_min_u32_e32 v11, 32, v11
	s_delay_alu instid0(VALU_DEP_1) | instskip(NEXT) | instid1(VALU_DEP_1)
	v_subrev_nc_u32_e32 v14, 28, v11
	v_dual_lshlrev_b32 v8, v14, v8 :: v_dual_sub_nc_u32 v11, 29, v11
	s_delay_alu instid0(VALU_DEP_1) | instskip(NEXT) | instid1(VALU_DEP_1)
	v_dual_lshlrev_b32 v10, 24, v10 :: v_dual_bitop2_b32 v8, 7, v8 bitop3:0x40
	v_dual_cndmask_b32 v11, v15, v11 :: v_dual_cndmask_b32 v8, v9, v8
	s_delay_alu instid0(VALU_DEP_2) | instskip(NEXT) | instid1(VALU_DEP_2)
	v_and_b32_e32 v9, 0x80000000, v10
	v_lshl_add_u32 v10, v11, 23, 0x3b800000
	s_delay_alu instid0(VALU_DEP_3) | instskip(NEXT) | instid1(VALU_DEP_1)
	v_lshlrev_b32_e32 v8, 20, v8
	v_or3_b32 v8, v9, v10, v8
	s_delay_alu instid0(VALU_DEP_1)
	v_cvt_f64_f32_e32 v[8:9], v8
.LBB142_842:
	s_or_b32 exec_lo, exec_lo, s39
.LBB142_843:
	v_mov_b64_e32 v[10:11], 0
	s_mov_b32 s36, -1
.LBB142_844:
	s_mov_b32 s39, 0
.LBB142_845:
	s_delay_alu instid0(SALU_CYCLE_1)
	s_and_b32 vcc_lo, exec_lo, s39
	s_cbranch_vccz .LBB142_879
; %bb.846:
	s_cmp_gt_i32 s0, 22
	s_cbranch_scc0 .LBB142_854
; %bb.847:
	s_cmp_lt_i32 s0, 24
	s_cbranch_scc1 .LBB142_855
; %bb.848:
	s_cmp_gt_i32 s0, 24
	s_cbranch_scc0 .LBB142_860
; %bb.849:
	global_load_u8 v10, v[12:13], off
	s_mov_b32 s36, 0
	s_mov_b32 s39, exec_lo
	s_wait_loadcnt 0x0
	v_cmpx_lt_i16_e32 0x7f, v10
	s_xor_b32 s39, exec_lo, s39
	s_cbranch_execnz .LBB142_944
; %bb.850:
	s_or_saveexec_b32 s39, s39
	v_mov_b64_e32 v[8:9], 0x7ff8000020000000
	s_xor_b32 exec_lo, exec_lo, s39
	s_cbranch_execnz .LBB142_947
.LBB142_851:
	s_or_b32 exec_lo, exec_lo, s39
	s_and_saveexec_b32 s39, s36
	s_cbranch_execz .LBB142_853
.LBB142_852:
	v_and_b32_e32 v8, 0xffff, v10
	s_delay_alu instid0(VALU_DEP_1) | instskip(SKIP_1) | instid1(VALU_DEP_2)
	v_and_b32_e32 v9, 3, v8
	v_bfe_u32 v15, v8, 2, 5
	v_clz_i32_u32_e32 v11, v9
	s_delay_alu instid0(VALU_DEP_2) | instskip(NEXT) | instid1(VALU_DEP_2)
	v_cmp_eq_u32_e32 vcc_lo, 0, v15
	v_min_u32_e32 v11, 32, v11
	s_delay_alu instid0(VALU_DEP_1) | instskip(NEXT) | instid1(VALU_DEP_1)
	v_subrev_nc_u32_e32 v14, 29, v11
	v_dual_lshlrev_b32 v8, v14, v8 :: v_dual_sub_nc_u32 v11, 30, v11
	s_delay_alu instid0(VALU_DEP_1) | instskip(NEXT) | instid1(VALU_DEP_1)
	v_dual_lshlrev_b32 v10, 24, v10 :: v_dual_bitop2_b32 v8, 3, v8 bitop3:0x40
	v_dual_cndmask_b32 v11, v15, v11 :: v_dual_cndmask_b32 v8, v9, v8
	s_delay_alu instid0(VALU_DEP_2) | instskip(NEXT) | instid1(VALU_DEP_2)
	v_and_b32_e32 v9, 0x80000000, v10
	v_lshl_add_u32 v10, v11, 23, 0x37800000
	s_delay_alu instid0(VALU_DEP_3) | instskip(NEXT) | instid1(VALU_DEP_1)
	v_lshlrev_b32_e32 v8, 21, v8
	v_or3_b32 v8, v9, v10, v8
	s_delay_alu instid0(VALU_DEP_1)
	v_cvt_f64_f32_e32 v[8:9], v8
.LBB142_853:
	s_or_b32 exec_lo, exec_lo, s39
	s_mov_b32 s36, 0
	s_branch .LBB142_861
.LBB142_854:
	s_mov_b32 s39, -1
                                        ; implicit-def: $vgpr8_vgpr9
	s_branch .LBB142_867
.LBB142_855:
	s_mov_b32 s36, -1
                                        ; implicit-def: $vgpr8_vgpr9
	s_branch .LBB142_864
.LBB142_856:
	s_mov_b32 s36, -1
	s_mov_b32 s40, exec_lo
	v_cmpx_eq_u16_e32 0x80, v10
; %bb.857:
	s_xor_b32 s36, exec_lo, -1
; %bb.858:
	s_or_b32 exec_lo, exec_lo, s40
	s_delay_alu instid0(SALU_CYCLE_1)
	s_and_b32 s36, s36, exec_lo
	s_or_saveexec_b32 s39, s39
	v_mov_b64_e32 v[8:9], 0x7ff8000020000000
	s_xor_b32 exec_lo, exec_lo, s39
	s_cbranch_execz .LBB142_840
.LBB142_859:
	v_cmp_ne_u16_e32 vcc_lo, 0, v10
	v_mov_b64_e32 v[8:9], 0
	s_and_not1_b32 s36, s36, exec_lo
	s_and_b32 s40, vcc_lo, exec_lo
	s_delay_alu instid0(SALU_CYCLE_1)
	s_or_b32 s36, s36, s40
	s_or_b32 exec_lo, exec_lo, s39
	s_and_saveexec_b32 s39, s36
	s_cbranch_execnz .LBB142_841
	s_branch .LBB142_842
.LBB142_860:
	s_mov_b32 s36, -1
                                        ; implicit-def: $vgpr8_vgpr9
.LBB142_861:
	s_delay_alu instid0(SALU_CYCLE_1)
	s_and_b32 vcc_lo, exec_lo, s36
	s_cbranch_vccz .LBB142_863
; %bb.862:
	global_load_u8 v8, v[12:13], off
	s_wait_loadcnt 0x0
	v_lshlrev_b32_e32 v8, 24, v8
	s_delay_alu instid0(VALU_DEP_1) | instskip(NEXT) | instid1(VALU_DEP_1)
	v_and_b32_e32 v9, 0x7f000000, v8
	v_clz_i32_u32_e32 v10, v9
	v_cmp_ne_u32_e32 vcc_lo, 0, v9
	v_add_nc_u32_e32 v14, 0x1000000, v9
	s_delay_alu instid0(VALU_DEP_3) | instskip(NEXT) | instid1(VALU_DEP_1)
	v_min_u32_e32 v10, 32, v10
	v_sub_nc_u32_e64 v10, v10, 4 clamp
	s_delay_alu instid0(VALU_DEP_1) | instskip(NEXT) | instid1(VALU_DEP_1)
	v_dual_lshlrev_b32 v11, v10, v9 :: v_dual_lshlrev_b32 v10, 23, v10
	v_lshrrev_b32_e32 v11, 4, v11
	s_delay_alu instid0(VALU_DEP_1) | instskip(SKIP_1) | instid1(VALU_DEP_2)
	v_sub_nc_u32_e32 v10, v11, v10
	v_ashrrev_i32_e32 v11, 8, v14
	v_add_nc_u32_e32 v10, 0x3c000000, v10
	s_delay_alu instid0(VALU_DEP_1) | instskip(NEXT) | instid1(VALU_DEP_1)
	v_and_or_b32 v10, 0x7f800000, v11, v10
	v_cndmask_b32_e32 v9, 0, v10, vcc_lo
	s_delay_alu instid0(VALU_DEP_1) | instskip(NEXT) | instid1(VALU_DEP_1)
	v_and_or_b32 v8, 0x80000000, v8, v9
	v_cvt_f64_f32_e32 v[8:9], v8
.LBB142_863:
	s_mov_b32 s36, 0
.LBB142_864:
	s_delay_alu instid0(SALU_CYCLE_1)
	s_and_not1_b32 vcc_lo, exec_lo, s36
	s_cbranch_vccnz .LBB142_866
; %bb.865:
	global_load_u8 v8, v[12:13], off
	s_wait_loadcnt 0x0
	v_lshlrev_b32_e32 v9, 25, v8
	v_lshlrev_b16 v8, 8, v8
	s_delay_alu instid0(VALU_DEP_1) | instskip(SKIP_1) | instid1(VALU_DEP_2)
	v_and_or_b32 v11, 0x7f00, v8, 0.5
	v_bfe_i32 v8, v8, 0, 16
	v_dual_add_f32 v11, -0.5, v11 :: v_dual_lshrrev_b32 v10, 4, v9
	v_cmp_gt_u32_e32 vcc_lo, 0x8000000, v9
	s_delay_alu instid0(VALU_DEP_2) | instskip(NEXT) | instid1(VALU_DEP_1)
	v_or_b32_e32 v10, 0x70000000, v10
	v_mul_f32_e32 v10, 0x7800000, v10
	s_delay_alu instid0(VALU_DEP_1) | instskip(NEXT) | instid1(VALU_DEP_1)
	v_cndmask_b32_e32 v9, v10, v11, vcc_lo
	v_and_or_b32 v8, 0x80000000, v8, v9
	s_delay_alu instid0(VALU_DEP_1)
	v_cvt_f64_f32_e32 v[8:9], v8
.LBB142_866:
	s_mov_b32 s39, 0
	s_mov_b32 s36, -1
.LBB142_867:
	s_and_not1_b32 vcc_lo, exec_lo, s39
	s_cbranch_vccnz .LBB142_878
; %bb.868:
	s_cmp_gt_i32 s0, 14
	s_cbranch_scc0 .LBB142_871
; %bb.869:
	s_cmp_eq_u32 s0, 15
	s_cbranch_scc0 .LBB142_872
; %bb.870:
	global_load_u16 v8, v[12:13], off
	s_mov_b32 s36, -1
	s_mov_b32 s35, 0
	s_wait_loadcnt 0x0
	v_lshlrev_b32_e32 v8, 16, v8
	s_delay_alu instid0(VALU_DEP_1)
	v_cvt_f64_f32_e32 v[8:9], v8
	s_branch .LBB142_873
.LBB142_871:
	s_mov_b32 s39, -1
                                        ; implicit-def: $vgpr8_vgpr9
	s_branch .LBB142_874
.LBB142_872:
	s_mov_b32 s35, -1
                                        ; implicit-def: $vgpr8_vgpr9
.LBB142_873:
	s_mov_b32 s39, 0
.LBB142_874:
	s_delay_alu instid0(SALU_CYCLE_1)
	s_and_b32 vcc_lo, exec_lo, s39
	s_cbranch_vccz .LBB142_878
; %bb.875:
	s_cmp_eq_u32 s0, 11
	s_cbranch_scc0 .LBB142_877
; %bb.876:
	global_load_u8 v8, v[12:13], off
	s_mov_b32 s35, 0
	s_mov_b32 s36, -1
	v_mov_b64_e32 v[10:11], 0
	s_wait_loadcnt 0x0
	v_cmp_ne_u16_e32 vcc_lo, 0, v8
	v_mov_b32_e32 v8, 0
	v_cndmask_b32_e64 v9, 0, 0x3ff00000, vcc_lo
	s_branch .LBB142_879
.LBB142_877:
	s_mov_b32 s35, -1
                                        ; implicit-def: $vgpr8_vgpr9
.LBB142_878:
	v_mov_b64_e32 v[10:11], 0
.LBB142_879:
	s_mov_b32 s39, 0
.LBB142_880:
	s_delay_alu instid0(SALU_CYCLE_1)
	s_and_b32 vcc_lo, exec_lo, s39
	s_cbranch_vccz .LBB142_931
; %bb.881:
	s_cmp_lt_i32 s0, 5
	s_cbranch_scc1 .LBB142_886
; %bb.882:
	s_cmp_lt_i32 s0, 8
	s_cbranch_scc1 .LBB142_887
	;; [unrolled: 3-line block ×3, first 2 shown]
; %bb.884:
	s_cmp_gt_i32 s0, 9
	s_cbranch_scc0 .LBB142_889
; %bb.885:
	global_load_b128 v[8:11], v[12:13], off
	s_mov_b32 s36, 0
	s_branch .LBB142_890
.LBB142_886:
	s_mov_b32 s36, -1
                                        ; implicit-def: $vgpr10_vgpr11
	s_branch .LBB142_909
.LBB142_887:
	s_mov_b32 s36, -1
                                        ; implicit-def: $vgpr10_vgpr11
	s_branch .LBB142_896
.LBB142_888:
	s_mov_b32 s36, -1
                                        ; implicit-def: $vgpr10_vgpr11
	s_branch .LBB142_893
.LBB142_889:
	s_mov_b32 s36, -1
                                        ; implicit-def: $vgpr10_vgpr11
.LBB142_890:
	s_delay_alu instid0(SALU_CYCLE_1)
	s_and_not1_b32 vcc_lo, exec_lo, s36
	s_cbranch_vccnz .LBB142_892
; %bb.891:
	s_wait_loadcnt 0x0
	global_load_b64 v[10:11], v[12:13], off
	s_wait_loadcnt 0x0
	v_cvt_f64_f32_e32 v[8:9], v10
	v_cvt_f64_f32_e32 v[10:11], v11
.LBB142_892:
	s_mov_b32 s36, 0
.LBB142_893:
	s_delay_alu instid0(SALU_CYCLE_1)
	s_and_not1_b32 vcc_lo, exec_lo, s36
	s_cbranch_vccnz .LBB142_895
; %bb.894:
	s_wait_loadcnt 0x0
	global_load_b32 v8, v[12:13], off
	s_wait_loadcnt 0x0
	v_lshrrev_b32_e32 v9, 16, v8
	v_cvt_f32_f16_e32 v8, v8
	s_delay_alu instid0(VALU_DEP_2) | instskip(NEXT) | instid1(VALU_DEP_2)
	v_cvt_f32_f16_e32 v10, v9
	v_cvt_f64_f32_e32 v[8:9], v8
	s_delay_alu instid0(VALU_DEP_2)
	v_cvt_f64_f32_e32 v[10:11], v10
.LBB142_895:
	s_mov_b32 s36, 0
.LBB142_896:
	s_delay_alu instid0(SALU_CYCLE_1)
	s_and_not1_b32 vcc_lo, exec_lo, s36
	s_cbranch_vccnz .LBB142_908
; %bb.897:
	s_cmp_lt_i32 s0, 6
	s_cbranch_scc1 .LBB142_900
; %bb.898:
	s_cmp_gt_i32 s0, 6
	s_cbranch_scc0 .LBB142_901
; %bb.899:
	s_wait_loadcnt 0x0
	global_load_b64 v[8:9], v[12:13], off
	s_mov_b32 s36, 0
	s_branch .LBB142_902
.LBB142_900:
	s_mov_b32 s36, -1
                                        ; implicit-def: $vgpr8_vgpr9
	s_branch .LBB142_905
.LBB142_901:
	s_mov_b32 s36, -1
                                        ; implicit-def: $vgpr8_vgpr9
.LBB142_902:
	s_delay_alu instid0(SALU_CYCLE_1)
	s_and_not1_b32 vcc_lo, exec_lo, s36
	s_cbranch_vccnz .LBB142_904
; %bb.903:
	s_wait_loadcnt 0x0
	global_load_b32 v8, v[12:13], off
	s_wait_loadcnt 0x0
	v_cvt_f64_f32_e32 v[8:9], v8
.LBB142_904:
	s_mov_b32 s36, 0
.LBB142_905:
	s_delay_alu instid0(SALU_CYCLE_1)
	s_and_not1_b32 vcc_lo, exec_lo, s36
	s_cbranch_vccnz .LBB142_907
; %bb.906:
	s_wait_loadcnt 0x0
	global_load_u16 v8, v[12:13], off
	s_wait_loadcnt 0x0
	v_cvt_f32_f16_e32 v8, v8
	s_delay_alu instid0(VALU_DEP_1)
	v_cvt_f64_f32_e32 v[8:9], v8
.LBB142_907:
	s_wait_loadcnt 0x0
	v_mov_b64_e32 v[10:11], 0
.LBB142_908:
	s_mov_b32 s36, 0
.LBB142_909:
	s_delay_alu instid0(SALU_CYCLE_1)
	s_and_not1_b32 vcc_lo, exec_lo, s36
	s_cbranch_vccnz .LBB142_930
; %bb.910:
	s_cmp_lt_i32 s0, 2
	s_cbranch_scc1 .LBB142_914
; %bb.911:
	s_cmp_lt_i32 s0, 3
	s_cbranch_scc1 .LBB142_915
; %bb.912:
	s_cmp_gt_i32 s0, 3
	s_cbranch_scc0 .LBB142_916
; %bb.913:
	s_wait_loadcnt 0x0
	global_load_b64 v[8:9], v[12:13], off
	s_mov_b32 s36, 0
	s_wait_loadcnt 0x0
	v_cvt_f64_i32_e32 v[10:11], v9
	v_cvt_f64_u32_e32 v[8:9], v8
	s_delay_alu instid0(VALU_DEP_2) | instskip(NEXT) | instid1(VALU_DEP_1)
	v_ldexp_f64 v[10:11], v[10:11], 32
	v_add_f64_e32 v[8:9], v[10:11], v[8:9]
	s_branch .LBB142_917
.LBB142_914:
	s_mov_b32 s36, -1
                                        ; implicit-def: $vgpr8_vgpr9
	s_branch .LBB142_923
.LBB142_915:
	s_mov_b32 s36, -1
                                        ; implicit-def: $vgpr8_vgpr9
	s_branch .LBB142_920
.LBB142_916:
	s_mov_b32 s36, -1
                                        ; implicit-def: $vgpr8_vgpr9
.LBB142_917:
	s_delay_alu instid0(SALU_CYCLE_1)
	s_and_not1_b32 vcc_lo, exec_lo, s36
	s_cbranch_vccnz .LBB142_919
; %bb.918:
	s_wait_loadcnt 0x0
	global_load_b32 v8, v[12:13], off
	s_wait_loadcnt 0x0
	v_cvt_f64_i32_e32 v[8:9], v8
.LBB142_919:
	s_mov_b32 s36, 0
.LBB142_920:
	s_delay_alu instid0(SALU_CYCLE_1)
	s_and_not1_b32 vcc_lo, exec_lo, s36
	s_cbranch_vccnz .LBB142_922
; %bb.921:
	s_wait_loadcnt 0x0
	global_load_i16 v8, v[12:13], off
	s_wait_loadcnt 0x0
	v_cvt_f64_i32_e32 v[8:9], v8
.LBB142_922:
	s_mov_b32 s36, 0
.LBB142_923:
	s_delay_alu instid0(SALU_CYCLE_1)
	s_and_not1_b32 vcc_lo, exec_lo, s36
	s_cbranch_vccnz .LBB142_929
; %bb.924:
	s_cmp_gt_i32 s0, 0
	s_mov_b32 s0, 0
	s_cbranch_scc0 .LBB142_926
; %bb.925:
	s_wait_loadcnt 0x0
	global_load_i8 v8, v[12:13], off
	s_wait_loadcnt 0x0
	v_cvt_f64_i32_e32 v[8:9], v8
	s_branch .LBB142_927
.LBB142_926:
	s_mov_b32 s0, -1
                                        ; implicit-def: $vgpr8_vgpr9
.LBB142_927:
	s_delay_alu instid0(SALU_CYCLE_1)
	s_and_not1_b32 vcc_lo, exec_lo, s0
	s_cbranch_vccnz .LBB142_929
; %bb.928:
	s_wait_loadcnt 0x0
	global_load_u8 v8, v[12:13], off
	s_wait_loadcnt 0x0
	v_cvt_f64_u32_e32 v[8:9], v8
.LBB142_929:
	s_wait_loadcnt 0x0
	v_mov_b64_e32 v[10:11], 0
.LBB142_930:
	s_mov_b32 s36, -1
.LBB142_931:
	s_delay_alu instid0(SALU_CYCLE_1)
	s_and_not1_b32 vcc_lo, exec_lo, s36
	s_cbranch_vccnz .LBB142_939
; %bb.932:
	s_wait_loadcnt 0x0
	s_delay_alu instid0(VALU_DEP_4) | instskip(SKIP_2) | instid1(SALU_CYCLE_1)
	v_mul_f64_e32 v[12:13], s[16:17], v[6:7]
	v_mul_f64_e32 v[6:7], s[18:19], v[6:7]
	s_and_b32 s36, s2, 0xff
	s_cmp_lt_i32 s36, 11
	s_delay_alu instid0(VALU_DEP_2) | instskip(NEXT) | instid1(VALU_DEP_2)
	v_fmac_f64_e32 v[12:13], s[18:19], v[4:5]
	v_fma_f64 v[4:5], s[16:17], v[4:5], -v[6:7]
	v_mul_f64_e32 v[6:7], s[14:15], v[2:3]
	v_mul_f64_e32 v[2:3], s[12:13], v[2:3]
	s_delay_alu instid0(VALU_DEP_4) | instskip(NEXT) | instid1(VALU_DEP_4)
	v_mul_f64_e32 v[14:15], v[12:13], v[10:11]
	v_mul_f64_e32 v[10:11], v[4:5], v[10:11]
	s_delay_alu instid0(VALU_DEP_4) | instskip(NEXT) | instid1(VALU_DEP_4)
	v_fma_f64 v[6:7], s[12:13], v[0:1], -v[6:7]
	v_fmac_f64_e32 v[2:3], s[14:15], v[0:1]
	s_delay_alu instid0(VALU_DEP_4) | instskip(NEXT) | instid1(VALU_DEP_4)
	v_fma_f64 v[0:1], v[4:5], v[8:9], -v[14:15]
	v_fmac_f64_e32 v[10:11], v[12:13], v[8:9]
	v_mul_lo_u32 v4, v50, s20
	s_delay_alu instid0(VALU_DEP_1) | instskip(NEXT) | instid1(VALU_DEP_1)
	v_ashrrev_i32_e32 v5, 31, v4
	v_add_nc_u64_e32 v[4:5], s[4:5], v[4:5]
	v_add_f64_e32 v[0:1], v[6:7], v[0:1]
	v_add_f64_e32 v[2:3], v[2:3], v[10:11]
	s_cbranch_scc1 .LBB142_940
; %bb.933:
	s_and_b32 s39, 0xffff, s36
	s_delay_alu instid0(SALU_CYCLE_1)
	s_cmp_gt_i32 s39, 25
	s_cbranch_scc0 .LBB142_941
; %bb.934:
	s_cmp_gt_i32 s39, 28
	s_cbranch_scc0 .LBB142_942
; %bb.935:
	;; [unrolled: 3-line block ×4, first 2 shown]
	s_mov_b32 s41, 0
	s_mov_b32 s0, -1
	s_cmp_eq_u32 s39, 46
	s_mov_b32 s40, 0
	s_cbranch_scc0 .LBB142_949
; %bb.938:
	s_delay_alu instid0(VALU_DEP_1) | instskip(NEXT) | instid1(VALU_DEP_3)
	v_cvt_f32_f64_e32 v6, v[2:3]
	v_cvt_f32_f64_e32 v7, v[0:1]
	s_mov_b32 s40, -1
	s_mov_b32 s0, 0
	s_delay_alu instid0(VALU_DEP_2) | instskip(NEXT) | instid1(VALU_DEP_2)
	v_bfe_u32 v8, v6, 16, 1
	v_bfe_u32 v9, v7, 16, 1
	v_cmp_o_f32_e32 vcc_lo, v6, v6
	s_delay_alu instid0(VALU_DEP_3) | instskip(NEXT) | instid1(VALU_DEP_3)
	v_add3_u32 v8, v6, v8, 0x7fff
	v_add3_u32 v9, v7, v9, 0x7fff
	s_delay_alu instid0(VALU_DEP_2) | instskip(NEXT) | instid1(VALU_DEP_1)
	v_and_b32_e32 v8, 0xffff0000, v8
	v_dual_cndmask_b32 v6, 0x7fc00000, v8 :: v_dual_lshrrev_b32 v9, 16, v9
	v_cmp_o_f32_e32 vcc_lo, v7, v7
	s_delay_alu instid0(VALU_DEP_2) | instskip(NEXT) | instid1(VALU_DEP_1)
	v_cndmask_b32_e32 v7, 0x7fc0, v9, vcc_lo
	v_or_b32_e32 v6, v6, v7
	global_store_b32 v[4:5], v6, off
	s_branch .LBB142_949
.LBB142_939:
	s_mov_b32 s39, 0
	s_mov_b32 s0, s27
	s_branch .LBB142_1060
.LBB142_940:
	s_mov_b32 s39, -1
	s_mov_b32 s40, 0
	s_mov_b32 s0, s27
	s_branch .LBB142_1018
.LBB142_941:
	s_mov_b32 s41, -1
	s_mov_b32 s40, 0
	s_mov_b32 s0, s27
	s_branch .LBB142_976
.LBB142_942:
	s_mov_b32 s41, -1
	s_mov_b32 s40, 0
	s_mov_b32 s0, s27
	s_branch .LBB142_959
.LBB142_943:
	s_mov_b32 s41, -1
	s_mov_b32 s40, 0
	s_mov_b32 s0, s27
	s_branch .LBB142_955
.LBB142_944:
	s_mov_b32 s36, -1
	s_mov_b32 s40, exec_lo
	v_cmpx_eq_u16_e32 0x80, v10
; %bb.945:
	s_xor_b32 s36, exec_lo, -1
; %bb.946:
	s_or_b32 exec_lo, exec_lo, s40
	s_delay_alu instid0(SALU_CYCLE_1)
	s_and_b32 s36, s36, exec_lo
	s_or_saveexec_b32 s39, s39
	v_mov_b64_e32 v[8:9], 0x7ff8000020000000
	s_xor_b32 exec_lo, exec_lo, s39
	s_cbranch_execz .LBB142_851
.LBB142_947:
	v_cmp_ne_u16_e32 vcc_lo, 0, v10
	v_mov_b64_e32 v[8:9], 0
	s_and_not1_b32 s36, s36, exec_lo
	s_and_b32 s40, vcc_lo, exec_lo
	s_delay_alu instid0(SALU_CYCLE_1)
	s_or_b32 s36, s36, s40
	s_or_b32 exec_lo, exec_lo, s39
	s_and_saveexec_b32 s39, s36
	s_cbranch_execnz .LBB142_852
	s_branch .LBB142_853
.LBB142_948:
	s_mov_b32 s41, -1
	s_mov_b32 s40, 0
	s_mov_b32 s0, s27
.LBB142_949:
	s_and_b32 vcc_lo, exec_lo, s41
	s_cbranch_vccz .LBB142_954
; %bb.950:
	s_cmp_eq_u32 s39, 44
	s_mov_b32 s0, -1
	s_cbranch_scc0 .LBB142_954
; %bb.951:
	s_wait_xcnt 0x0
	s_delay_alu instid0(VALU_DEP_2) | instskip(SKIP_2) | instid1(VALU_DEP_2)
	v_cvt_f32_f64_e32 v6, v[0:1]
	v_mov_b32_e32 v7, 0xff
	s_mov_b32 s40, exec_lo
	v_bfe_u32 v8, v6, 23, 8
	s_delay_alu instid0(VALU_DEP_1)
	v_cmpx_ne_u32_e32 0xff, v8
	s_cbranch_execz .LBB142_953
; %bb.952:
	v_and_b32_e32 v7, 0x400000, v6
	v_and_or_b32 v8, 0x3fffff, v6, v8
	v_lshrrev_b32_e32 v6, 23, v6
	s_delay_alu instid0(VALU_DEP_3) | instskip(NEXT) | instid1(VALU_DEP_3)
	v_cmp_ne_u32_e32 vcc_lo, 0, v7
	v_cmp_ne_u32_e64 s0, 0, v8
	s_and_b32 s0, vcc_lo, s0
	s_delay_alu instid0(SALU_CYCLE_1) | instskip(NEXT) | instid1(VALU_DEP_1)
	v_cndmask_b32_e64 v7, 0, 1, s0
	v_add_nc_u32_e32 v7, v6, v7
.LBB142_953:
	s_or_b32 exec_lo, exec_lo, s40
	s_mov_b32 s40, -1
	s_mov_b32 s0, 0
	global_store_b8 v[4:5], v7, off
.LBB142_954:
	s_mov_b32 s41, 0
.LBB142_955:
	s_delay_alu instid0(SALU_CYCLE_1)
	s_and_b32 vcc_lo, exec_lo, s41
	s_cbranch_vccz .LBB142_958
; %bb.956:
	s_cmp_eq_u32 s39, 29
	s_mov_b32 s0, -1
	s_cbranch_scc0 .LBB142_958
; %bb.957:
	s_wait_xcnt 0x0
	s_delay_alu instid0(VALU_DEP_2) | instskip(SKIP_3) | instid1(VALU_DEP_1)
	v_trunc_f64_e32 v[6:7], v[0:1]
	s_mov_b32 s40, -1
	s_mov_b32 s0, 0
	s_mov_b32 s41, 0
	v_ldexp_f64 v[8:9], v[6:7], 0xffffffe0
	s_delay_alu instid0(VALU_DEP_1) | instskip(NEXT) | instid1(VALU_DEP_1)
	v_floor_f64_e32 v[8:9], v[8:9]
	v_fmamk_f64 v[6:7], v[8:9], 0xc1f00000, v[6:7]
	v_cvt_u32_f64_e32 v9, v[8:9]
	s_delay_alu instid0(VALU_DEP_2)
	v_cvt_u32_f64_e32 v8, v[6:7]
	global_store_b64 v[4:5], v[8:9], off
	s_branch .LBB142_959
.LBB142_958:
	s_mov_b32 s41, 0
.LBB142_959:
	s_delay_alu instid0(SALU_CYCLE_1)
	s_and_b32 vcc_lo, exec_lo, s41
	s_cbranch_vccz .LBB142_975
; %bb.960:
	s_cmp_lt_i32 s39, 27
	s_mov_b32 s40, -1
	s_cbranch_scc1 .LBB142_966
; %bb.961:
	s_wait_xcnt 0x0
	s_delay_alu instid0(VALU_DEP_2)
	v_cvt_u32_f64_e32 v6, v[0:1]
	s_cmp_gt_i32 s39, 27
	s_cbranch_scc0 .LBB142_963
; %bb.962:
	s_mov_b32 s40, 0
	global_store_b32 v[4:5], v6, off
.LBB142_963:
	s_and_not1_b32 vcc_lo, exec_lo, s40
	s_cbranch_vccnz .LBB142_965
; %bb.964:
	global_store_b16 v[4:5], v6, off
.LBB142_965:
	s_mov_b32 s40, 0
.LBB142_966:
	s_delay_alu instid0(SALU_CYCLE_1)
	s_and_not1_b32 vcc_lo, exec_lo, s40
	s_cbranch_vccnz .LBB142_974
; %bb.967:
	s_wait_xcnt 0x0
	s_delay_alu instid0(VALU_DEP_2) | instskip(SKIP_2) | instid1(VALU_DEP_2)
	v_cvt_f32_f64_e32 v6, v[0:1]
	v_mov_b32_e32 v8, 0x80
	s_mov_b32 s40, exec_lo
	v_and_b32_e32 v7, 0x7fffffff, v6
	s_delay_alu instid0(VALU_DEP_1)
	v_cmpx_gt_u32_e32 0x43800000, v7
	s_cbranch_execz .LBB142_973
; %bb.968:
	v_cmp_lt_u32_e32 vcc_lo, 0x3bffffff, v7
	s_mov_b32 s41, 0
                                        ; implicit-def: $vgpr7
	s_and_saveexec_b32 s42, vcc_lo
	s_delay_alu instid0(SALU_CYCLE_1)
	s_xor_b32 s42, exec_lo, s42
	s_cbranch_execnz .LBB142_1348
; %bb.969:
	s_and_not1_saveexec_b32 s42, s42
	s_cbranch_execnz .LBB142_1349
.LBB142_970:
	s_or_b32 exec_lo, exec_lo, s42
	v_mov_b32_e32 v8, 0
	s_and_saveexec_b32 s42, s41
.LBB142_971:
	v_lshrrev_b32_e32 v6, 24, v6
	s_delay_alu instid0(VALU_DEP_1)
	v_and_or_b32 v8, 0x80, v6, v7
.LBB142_972:
	s_or_b32 exec_lo, exec_lo, s42
.LBB142_973:
	s_delay_alu instid0(SALU_CYCLE_1)
	s_or_b32 exec_lo, exec_lo, s40
	global_store_b8 v[4:5], v8, off
.LBB142_974:
	s_mov_b32 s40, -1
.LBB142_975:
	s_mov_b32 s41, 0
.LBB142_976:
	s_delay_alu instid0(SALU_CYCLE_1)
	s_and_b32 vcc_lo, exec_lo, s41
	s_cbranch_vccz .LBB142_1017
; %bb.977:
	s_cmp_gt_i32 s39, 22
	s_mov_b32 s41, -1
	s_cbranch_scc0 .LBB142_1009
; %bb.978:
	s_cmp_lt_i32 s39, 24
	s_mov_b32 s40, -1
	s_cbranch_scc1 .LBB142_998
; %bb.979:
	s_cmp_gt_i32 s39, 24
	s_cbranch_scc0 .LBB142_987
; %bb.980:
	s_wait_xcnt 0x0
	s_delay_alu instid0(VALU_DEP_2) | instskip(SKIP_2) | instid1(VALU_DEP_2)
	v_cvt_f32_f64_e32 v6, v[0:1]
	v_mov_b32_e32 v8, 0x80
	s_mov_b32 s40, exec_lo
	v_and_b32_e32 v7, 0x7fffffff, v6
	s_delay_alu instid0(VALU_DEP_1)
	v_cmpx_gt_u32_e32 0x47800000, v7
	s_cbranch_execz .LBB142_986
; %bb.981:
	v_cmp_lt_u32_e32 vcc_lo, 0x37ffffff, v7
	s_mov_b32 s41, 0
                                        ; implicit-def: $vgpr7
	s_and_saveexec_b32 s42, vcc_lo
	s_delay_alu instid0(SALU_CYCLE_1)
	s_xor_b32 s42, exec_lo, s42
	s_cbranch_execnz .LBB142_2942
; %bb.982:
	s_and_not1_saveexec_b32 s42, s42
	s_cbranch_execnz .LBB142_2943
.LBB142_983:
	s_or_b32 exec_lo, exec_lo, s42
	v_mov_b32_e32 v8, 0
	s_and_saveexec_b32 s42, s41
.LBB142_984:
	v_lshrrev_b32_e32 v6, 24, v6
	s_delay_alu instid0(VALU_DEP_1)
	v_and_or_b32 v8, 0x80, v6, v7
.LBB142_985:
	s_or_b32 exec_lo, exec_lo, s42
.LBB142_986:
	s_delay_alu instid0(SALU_CYCLE_1)
	s_or_b32 exec_lo, exec_lo, s40
	s_mov_b32 s40, 0
	global_store_b8 v[4:5], v8, off
.LBB142_987:
	s_and_b32 vcc_lo, exec_lo, s40
	s_cbranch_vccz .LBB142_997
; %bb.988:
	s_wait_xcnt 0x0
	s_delay_alu instid0(VALU_DEP_2) | instskip(SKIP_1) | instid1(VALU_DEP_1)
	v_cvt_f32_f64_e32 v6, v[0:1]
	s_mov_b32 s40, exec_lo
                                        ; implicit-def: $vgpr7
	v_and_b32_e32 v8, 0x7fffffff, v6
	s_delay_alu instid0(VALU_DEP_1)
	v_cmpx_gt_u32_e32 0x43f00000, v8
	s_xor_b32 s40, exec_lo, s40
	s_cbranch_execz .LBB142_994
; %bb.989:
	s_mov_b32 s41, exec_lo
                                        ; implicit-def: $vgpr7
	v_cmpx_lt_u32_e32 0x3c7fffff, v8
	s_xor_b32 s41, exec_lo, s41
; %bb.990:
	v_bfe_u32 v7, v6, 20, 1
	s_delay_alu instid0(VALU_DEP_1) | instskip(NEXT) | instid1(VALU_DEP_1)
	v_add3_u32 v7, v6, v7, 0x407ffff
	v_and_b32_e32 v8, 0xff00000, v7
	v_lshrrev_b32_e32 v7, 20, v7
	s_delay_alu instid0(VALU_DEP_2) | instskip(NEXT) | instid1(VALU_DEP_2)
	v_cmp_ne_u32_e32 vcc_lo, 0x7f00000, v8
	v_cndmask_b32_e32 v7, 0x7e, v7, vcc_lo
; %bb.991:
	s_and_not1_saveexec_b32 s41, s41
; %bb.992:
	v_add_f32_e64 v7, 0x46800000, |v6|
; %bb.993:
	s_or_b32 exec_lo, exec_lo, s41
                                        ; implicit-def: $vgpr8
.LBB142_994:
	s_and_not1_saveexec_b32 s40, s40
; %bb.995:
	v_mov_b32_e32 v7, 0x7f
	v_cmp_lt_u32_e32 vcc_lo, 0x7f800000, v8
	s_delay_alu instid0(VALU_DEP_2)
	v_cndmask_b32_e32 v7, 0x7e, v7, vcc_lo
; %bb.996:
	s_or_b32 exec_lo, exec_lo, s40
	v_lshrrev_b32_e32 v6, 24, v6
	s_delay_alu instid0(VALU_DEP_1)
	v_and_or_b32 v6, 0x80, v6, v7
	global_store_b8 v[4:5], v6, off
.LBB142_997:
	s_mov_b32 s40, 0
.LBB142_998:
	s_delay_alu instid0(SALU_CYCLE_1)
	s_and_not1_b32 vcc_lo, exec_lo, s40
	s_cbranch_vccnz .LBB142_1008
; %bb.999:
	s_wait_xcnt 0x0
	s_delay_alu instid0(VALU_DEP_2) | instskip(SKIP_1) | instid1(VALU_DEP_1)
	v_cvt_f32_f64_e32 v6, v[0:1]
	s_mov_b32 s40, exec_lo
                                        ; implicit-def: $vgpr7
	v_and_b32_e32 v8, 0x7fffffff, v6
	s_delay_alu instid0(VALU_DEP_1)
	v_cmpx_gt_u32_e32 0x47800000, v8
	s_xor_b32 s40, exec_lo, s40
	s_cbranch_execz .LBB142_1005
; %bb.1000:
	s_mov_b32 s41, exec_lo
                                        ; implicit-def: $vgpr7
	v_cmpx_lt_u32_e32 0x387fffff, v8
	s_xor_b32 s41, exec_lo, s41
; %bb.1001:
	v_bfe_u32 v7, v6, 21, 1
	s_delay_alu instid0(VALU_DEP_1) | instskip(NEXT) | instid1(VALU_DEP_1)
	v_add3_u32 v7, v6, v7, 0x80fffff
	v_lshrrev_b32_e32 v7, 21, v7
; %bb.1002:
	s_and_not1_saveexec_b32 s41, s41
; %bb.1003:
	v_add_f32_e64 v7, 0x43000000, |v6|
; %bb.1004:
	s_or_b32 exec_lo, exec_lo, s41
                                        ; implicit-def: $vgpr8
.LBB142_1005:
	s_and_not1_saveexec_b32 s40, s40
; %bb.1006:
	v_mov_b32_e32 v7, 0x7f
	v_cmp_lt_u32_e32 vcc_lo, 0x7f800000, v8
	s_delay_alu instid0(VALU_DEP_2)
	v_cndmask_b32_e32 v7, 0x7c, v7, vcc_lo
; %bb.1007:
	s_or_b32 exec_lo, exec_lo, s40
	v_lshrrev_b32_e32 v6, 24, v6
	s_delay_alu instid0(VALU_DEP_1)
	v_and_or_b32 v6, 0x80, v6, v7
	global_store_b8 v[4:5], v6, off
.LBB142_1008:
	s_mov_b32 s41, 0
	s_mov_b32 s40, -1
.LBB142_1009:
	s_and_not1_b32 vcc_lo, exec_lo, s41
	s_cbranch_vccnz .LBB142_1017
; %bb.1010:
	s_cmp_gt_i32 s39, 14
	s_mov_b32 s41, -1
	s_cbranch_scc0 .LBB142_1014
; %bb.1011:
	s_cmp_eq_u32 s39, 15
	s_mov_b32 s0, -1
	s_cbranch_scc0 .LBB142_1013
; %bb.1012:
	s_wait_xcnt 0x0
	s_delay_alu instid0(VALU_DEP_2) | instskip(SKIP_2) | instid1(VALU_DEP_1)
	v_cvt_f32_f64_e32 v6, v[0:1]
	s_mov_b32 s40, -1
	s_mov_b32 s0, 0
	v_bfe_u32 v7, v6, 16, 1
	v_cmp_o_f32_e32 vcc_lo, v6, v6
	s_delay_alu instid0(VALU_DEP_2) | instskip(NEXT) | instid1(VALU_DEP_1)
	v_add3_u32 v7, v6, v7, 0x7fff
	v_lshrrev_b32_e32 v7, 16, v7
	s_delay_alu instid0(VALU_DEP_1)
	v_cndmask_b32_e32 v6, 0x7fc0, v7, vcc_lo
	global_store_b16 v[4:5], v6, off
.LBB142_1013:
	s_mov_b32 s41, 0
.LBB142_1014:
	s_delay_alu instid0(SALU_CYCLE_1)
	s_and_b32 vcc_lo, exec_lo, s41
	s_cbranch_vccz .LBB142_1017
; %bb.1015:
	s_cmp_eq_u32 s39, 11
	s_mov_b32 s0, -1
	s_cbranch_scc0 .LBB142_1017
; %bb.1016:
	s_delay_alu instid0(VALU_DEP_2) | instskip(NEXT) | instid1(VALU_DEP_2)
	v_cmp_neq_f64_e32 vcc_lo, 0, v[0:1]
	v_cmp_neq_f64_e64 s0, 0, v[2:3]
	s_mov_b32 s40, -1
	s_or_b32 s0, vcc_lo, s0
	s_wait_xcnt 0x0
	v_cndmask_b32_e64 v6, 0, 1, s0
	s_mov_b32 s0, 0
	global_store_b8 v[4:5], v6, off
.LBB142_1017:
	s_mov_b32 s39, 0
.LBB142_1018:
	s_delay_alu instid0(SALU_CYCLE_1)
	s_and_b32 vcc_lo, exec_lo, s39
	s_cbranch_vccz .LBB142_1057
; %bb.1019:
	s_and_b32 s36, 0xffff, s36
	s_mov_b32 s39, -1
	s_cmp_lt_i32 s36, 5
	s_cbranch_scc1 .LBB142_1040
; %bb.1020:
	s_cmp_lt_i32 s36, 8
	s_cbranch_scc1 .LBB142_1030
; %bb.1021:
	;; [unrolled: 3-line block ×3, first 2 shown]
	s_cmp_gt_i32 s36, 9
	s_cbranch_scc0 .LBB142_1024
; %bb.1023:
	s_mov_b32 s39, 0
	global_store_b128 v[4:5], v[0:3], off
.LBB142_1024:
	s_and_not1_b32 vcc_lo, exec_lo, s39
	s_cbranch_vccnz .LBB142_1026
; %bb.1025:
	s_wait_xcnt 0x0
	s_delay_alu instid0(VALU_DEP_2) | instskip(NEXT) | instid1(VALU_DEP_2)
	v_cvt_f32_f64_e32 v6, v[0:1]
	v_cvt_f32_f64_e32 v7, v[2:3]
	global_store_b64 v[4:5], v[6:7], off
.LBB142_1026:
	s_mov_b32 s39, 0
.LBB142_1027:
	s_delay_alu instid0(SALU_CYCLE_1)
	s_and_not1_b32 vcc_lo, exec_lo, s39
	s_cbranch_vccnz .LBB142_1029
; %bb.1028:
	s_wait_xcnt 0x0
	s_delay_alu instid0(VALU_DEP_2) | instskip(NEXT) | instid1(VALU_DEP_2)
	v_and_or_b32 v6, 0x1ff, v1, v0
	v_and_or_b32 v2, 0x1ff, v3, v2
	v_dual_lshrrev_b32 v7, 8, v1 :: v_dual_lshrrev_b32 v10, 8, v3
	v_bfe_u32 v8, v1, 20, 11
	s_delay_alu instid0(VALU_DEP_4) | instskip(SKIP_2) | instid1(VALU_DEP_4)
	v_cmp_ne_u32_e32 vcc_lo, 0, v6
	v_bfe_u32 v9, v3, 20, 11
	v_dual_lshrrev_b32 v16, 16, v1 :: v_dual_lshrrev_b32 v3, 16, v3
	v_sub_nc_u32_e32 v11, 0x3f1, v8
	v_cndmask_b32_e64 v6, 0, 1, vcc_lo
	v_cmp_ne_u32_e32 vcc_lo, 0, v2
	v_add_nc_u32_e32 v8, 0xfffffc10, v8
	s_delay_alu instid0(VALU_DEP_3) | instskip(SKIP_1) | instid1(VALU_DEP_1)
	v_and_or_b32 v6, 0xffe, v7, v6
	v_cndmask_b32_e64 v2, 0, 1, vcc_lo
	v_and_or_b32 v2, 0xffe, v10, v2
	v_med3_i32 v10, v11, 0, 13
	s_delay_alu instid0(VALU_DEP_4) | instskip(NEXT) | instid1(VALU_DEP_3)
	v_or_b32_e32 v11, 0x1000, v6
	v_or_b32_e32 v12, 0x1000, v2
	s_delay_alu instid0(VALU_DEP_2) | instskip(NEXT) | instid1(VALU_DEP_1)
	v_lshrrev_b32_e32 v13, v10, v11
	v_lshlrev_b32_e32 v10, v10, v13
	s_delay_alu instid0(VALU_DEP_1) | instskip(SKIP_2) | instid1(VALU_DEP_1)
	v_cmp_ne_u32_e32 vcc_lo, v10, v11
	v_lshl_or_b32 v11, v8, 12, v6
	v_cndmask_b32_e64 v10, 0, 1, vcc_lo
	v_or_b32_e32 v10, v13, v10
	v_sub_nc_u32_e32 v7, 0x3f1, v9
	v_add_nc_u32_e32 v9, 0xfffffc10, v9
	s_delay_alu instid0(VALU_DEP_2) | instskip(NEXT) | instid1(VALU_DEP_1)
	v_med3_i32 v7, v7, 0, 13
	v_lshrrev_b32_e32 v14, v7, v12
	s_delay_alu instid0(VALU_DEP_1) | instskip(NEXT) | instid1(VALU_DEP_1)
	v_lshlrev_b32_e32 v7, v7, v14
	v_cmp_ne_u32_e32 vcc_lo, v7, v12
	v_lshl_or_b32 v12, v9, 12, v2
	v_cndmask_b32_e64 v7, 0, 1, vcc_lo
	v_cmp_gt_i32_e32 vcc_lo, 1, v8
	s_delay_alu instid0(VALU_DEP_2) | instskip(SKIP_1) | instid1(VALU_DEP_2)
	v_dual_cndmask_b32 v10, v11, v10, vcc_lo :: v_dual_bitop2_b32 v7, v14, v7 bitop3:0x54
	v_cmp_gt_i32_e32 vcc_lo, 1, v9
	v_dual_lshrrev_b32 v10, 2, v10 :: v_dual_bitop2_b32 v11, 7, v10 bitop3:0x40
	s_delay_alu instid0(VALU_DEP_3) | instskip(NEXT) | instid1(VALU_DEP_1)
	v_cndmask_b32_e32 v7, v12, v7, vcc_lo
	v_dual_lshrrev_b32 v7, 2, v7 :: v_dual_bitop2_b32 v12, 7, v7 bitop3:0x40
	s_delay_alu instid0(VALU_DEP_3) | instskip(SKIP_1) | instid1(VALU_DEP_3)
	v_cmp_lt_i32_e32 vcc_lo, 5, v11
	v_cndmask_b32_e64 v14, 0, 1, vcc_lo
	v_cmp_lt_i32_e32 vcc_lo, 5, v12
	v_cndmask_b32_e64 v15, 0, 1, vcc_lo
	v_cmp_eq_u32_e32 vcc_lo, 3, v12
	v_cndmask_b32_e64 v12, 0, 1, vcc_lo
	v_cmp_eq_u32_e32 vcc_lo, 3, v11
	s_delay_alu instid0(VALU_DEP_2) | instskip(SKIP_2) | instid1(VALU_DEP_3)
	v_or_b32_e32 v12, v12, v15
	v_cndmask_b32_e64 v11, 0, 1, vcc_lo
	v_cmp_ne_u32_e32 vcc_lo, 0, v6
	v_add_nc_u32_e32 v7, v7, v12
	s_delay_alu instid0(VALU_DEP_3) | instskip(NEXT) | instid1(VALU_DEP_1)
	v_or_b32_e32 v11, v11, v14
	v_dual_mov_b32 v13, 0x7e00 :: v_dual_add_nc_u32 v10, v10, v11
	s_delay_alu instid0(VALU_DEP_1)
	v_cndmask_b32_e32 v6, 0x7c00, v13, vcc_lo
	v_cmp_ne_u32_e32 vcc_lo, 0, v2
	v_and_b32_e32 v11, 0x8000, v16
	v_cndmask_b32_e32 v2, 0x7c00, v13, vcc_lo
	v_cmp_gt_i32_e32 vcc_lo, 31, v9
	v_cndmask_b32_e32 v7, 0x7c00, v7, vcc_lo
	v_cmp_gt_i32_e32 vcc_lo, 31, v8
	v_cndmask_b32_e32 v10, 0x7c00, v10, vcc_lo
	v_cmp_eq_u32_e32 vcc_lo, 0x40f, v9
	s_delay_alu instid0(VALU_DEP_4) | instskip(SKIP_1) | instid1(VALU_DEP_2)
	v_cndmask_b32_e32 v2, v7, v2, vcc_lo
	v_cmp_eq_u32_e32 vcc_lo, 0x40f, v8
	v_and_or_b32 v2, 0x8000, v3, v2
	v_cndmask_b32_e32 v6, v10, v6, vcc_lo
	s_delay_alu instid0(VALU_DEP_1) | instskip(NEXT) | instid1(VALU_DEP_1)
	v_bitop3_b32 v3, v11, 0xffff, v6 bitop3:0xc8
	v_lshl_or_b32 v2, v2, 16, v3
	global_store_b32 v[4:5], v2, off
.LBB142_1029:
	s_mov_b32 s39, 0
.LBB142_1030:
	s_delay_alu instid0(SALU_CYCLE_1)
	s_and_not1_b32 vcc_lo, exec_lo, s39
	s_cbranch_vccnz .LBB142_1039
; %bb.1031:
	s_cmp_lt_i32 s36, 6
	s_mov_b32 s39, -1
	s_cbranch_scc1 .LBB142_1037
; %bb.1032:
	s_cmp_gt_i32 s36, 6
	s_cbranch_scc0 .LBB142_1034
; %bb.1033:
	s_mov_b32 s39, 0
	global_store_b64 v[4:5], v[0:1], off
.LBB142_1034:
	s_and_not1_b32 vcc_lo, exec_lo, s39
	s_cbranch_vccnz .LBB142_1036
; %bb.1035:
	s_wait_xcnt 0x0
	s_delay_alu instid0(VALU_DEP_2)
	v_cvt_f32_f64_e32 v2, v[0:1]
	global_store_b32 v[4:5], v2, off
.LBB142_1036:
	s_mov_b32 s39, 0
.LBB142_1037:
	s_delay_alu instid0(SALU_CYCLE_1)
	s_and_not1_b32 vcc_lo, exec_lo, s39
	s_cbranch_vccnz .LBB142_1039
; %bb.1038:
	s_wait_xcnt 0x0
	s_delay_alu instid0(VALU_DEP_2) | instskip(SKIP_2) | instid1(VALU_DEP_3)
	v_and_or_b32 v2, 0x1ff, v1, v0
	v_lshrrev_b32_e32 v3, 8, v1
	v_bfe_u32 v6, v1, 20, 11
	v_cmp_ne_u32_e32 vcc_lo, 0, v2
	s_delay_alu instid0(VALU_DEP_2) | instskip(SKIP_1) | instid1(VALU_DEP_1)
	v_sub_nc_u32_e32 v7, 0x3f1, v6
	v_cndmask_b32_e64 v2, 0, 1, vcc_lo
	v_and_or_b32 v2, 0xffe, v3, v2
	s_delay_alu instid0(VALU_DEP_3) | instskip(NEXT) | instid1(VALU_DEP_2)
	v_med3_i32 v3, v7, 0, 13
	v_or_b32_e32 v7, 0x1000, v2
	s_delay_alu instid0(VALU_DEP_1) | instskip(NEXT) | instid1(VALU_DEP_1)
	v_lshrrev_b32_e32 v8, v3, v7
	v_lshlrev_b32_e32 v3, v3, v8
	s_delay_alu instid0(VALU_DEP_1) | instskip(SKIP_1) | instid1(VALU_DEP_1)
	v_cmp_ne_u32_e32 vcc_lo, v3, v7
	v_cndmask_b32_e64 v3, 0, 1, vcc_lo
	v_or_b32_e32 v3, v8, v3
	v_add_nc_u32_e32 v6, 0xfffffc10, v6
	s_delay_alu instid0(VALU_DEP_1) | instskip(SKIP_1) | instid1(VALU_DEP_2)
	v_lshl_or_b32 v7, v6, 12, v2
	v_cmp_gt_i32_e32 vcc_lo, 1, v6
	v_cndmask_b32_e32 v3, v7, v3, vcc_lo
	s_delay_alu instid0(VALU_DEP_1) | instskip(NEXT) | instid1(VALU_DEP_1)
	v_dual_lshrrev_b32 v3, 2, v3 :: v_dual_bitop2_b32 v7, 7, v3 bitop3:0x40
	v_cmp_lt_i32_e32 vcc_lo, 5, v7
	v_cndmask_b32_e64 v8, 0, 1, vcc_lo
	v_cmp_eq_u32_e32 vcc_lo, 3, v7
	v_cndmask_b32_e64 v7, 0, 1, vcc_lo
	v_cmp_ne_u32_e32 vcc_lo, 0, v2
	s_delay_alu instid0(VALU_DEP_2) | instskip(NEXT) | instid1(VALU_DEP_1)
	v_or_b32_e32 v7, v7, v8
	v_dual_mov_b32 v8, 0x7e00 :: v_dual_add_nc_u32 v3, v3, v7
	s_delay_alu instid0(VALU_DEP_1) | instskip(SKIP_1) | instid1(VALU_DEP_3)
	v_cndmask_b32_e32 v2, 0x7c00, v8, vcc_lo
	v_cmp_gt_i32_e32 vcc_lo, 31, v6
	v_cndmask_b32_e32 v3, 0x7c00, v3, vcc_lo
	v_cmp_eq_u32_e32 vcc_lo, 0x40f, v6
	s_delay_alu instid0(VALU_DEP_2) | instskip(NEXT) | instid1(VALU_DEP_1)
	v_dual_cndmask_b32 v2, v3, v2 :: v_dual_lshrrev_b32 v3, 16, v1
	v_and_or_b32 v2, 0x8000, v3, v2
	global_store_b16 v[4:5], v2, off
.LBB142_1039:
	s_mov_b32 s39, 0
.LBB142_1040:
	s_delay_alu instid0(SALU_CYCLE_1)
	s_and_not1_b32 vcc_lo, exec_lo, s39
	s_cbranch_vccnz .LBB142_1056
; %bb.1041:
	s_cmp_lt_i32 s36, 2
	s_mov_b32 s39, -1
	s_cbranch_scc1 .LBB142_1051
; %bb.1042:
	s_cmp_lt_i32 s36, 3
	s_cbranch_scc1 .LBB142_1048
; %bb.1043:
	s_cmp_gt_i32 s36, 3
	s_cbranch_scc0 .LBB142_1045
; %bb.1044:
	s_wait_xcnt 0x0
	s_delay_alu instid0(VALU_DEP_2) | instskip(SKIP_1) | instid1(VALU_DEP_1)
	v_trunc_f64_e32 v[2:3], v[0:1]
	s_mov_b32 s39, 0
	v_ldexp_f64 v[6:7], v[2:3], 0xffffffe0
	s_delay_alu instid0(VALU_DEP_1) | instskip(NEXT) | instid1(VALU_DEP_1)
	v_floor_f64_e32 v[6:7], v[6:7]
	v_fmamk_f64 v[2:3], v[6:7], 0xc1f00000, v[2:3]
	v_cvt_i32_f64_e32 v7, v[6:7]
	s_delay_alu instid0(VALU_DEP_2)
	v_cvt_u32_f64_e32 v6, v[2:3]
	global_store_b64 v[4:5], v[6:7], off
.LBB142_1045:
	s_and_not1_b32 vcc_lo, exec_lo, s39
	s_cbranch_vccnz .LBB142_1047
; %bb.1046:
	s_wait_xcnt 0x0
	s_delay_alu instid0(VALU_DEP_2)
	v_cvt_i32_f64_e32 v2, v[0:1]
	global_store_b32 v[4:5], v2, off
.LBB142_1047:
	s_mov_b32 s39, 0
.LBB142_1048:
	s_delay_alu instid0(SALU_CYCLE_1)
	s_and_not1_b32 vcc_lo, exec_lo, s39
	s_cbranch_vccnz .LBB142_1050
; %bb.1049:
	s_wait_xcnt 0x0
	s_delay_alu instid0(VALU_DEP_2)
	v_cvt_i32_f64_e32 v2, v[0:1]
	global_store_b16 v[4:5], v2, off
.LBB142_1050:
	s_mov_b32 s39, 0
.LBB142_1051:
	s_delay_alu instid0(SALU_CYCLE_1)
	s_and_not1_b32 vcc_lo, exec_lo, s39
	s_cbranch_vccnz .LBB142_1056
; %bb.1052:
	s_cmp_gt_i32 s36, 0
	s_mov_b32 s36, -1
	s_cbranch_scc0 .LBB142_1054
; %bb.1053:
	s_wait_xcnt 0x0
	s_delay_alu instid0(VALU_DEP_2)
	v_cvt_i32_f64_e32 v2, v[0:1]
	s_mov_b32 s36, 0
	global_store_b8 v[4:5], v2, off
.LBB142_1054:
	s_and_not1_b32 vcc_lo, exec_lo, s36
	s_cbranch_vccnz .LBB142_1056
; %bb.1055:
	s_wait_xcnt 0x0
	s_delay_alu instid0(VALU_DEP_2) | instskip(NEXT) | instid1(VALU_DEP_1)
	v_trunc_f64_e32 v[0:1], v[0:1]
	v_ldexp_f64 v[2:3], v[0:1], 0xffffffe0
	s_delay_alu instid0(VALU_DEP_1) | instskip(NEXT) | instid1(VALU_DEP_1)
	v_floor_f64_e32 v[2:3], v[2:3]
	v_fmamk_f64 v[0:1], v[2:3], 0xc1f00000, v[0:1]
	s_delay_alu instid0(VALU_DEP_1)
	v_cvt_u32_f64_e32 v0, v[0:1]
	global_store_b8 v[4:5], v0, off
.LBB142_1056:
	s_mov_b32 s40, -1
.LBB142_1057:
	s_delay_alu instid0(SALU_CYCLE_1)
	s_and_not1_b32 vcc_lo, exec_lo, s40
	s_cbranch_vccnz .LBB142_1059
; %bb.1058:
	v_add_nc_u32_e32 v50, 0x80, v50
	s_mov_b32 s39, -1
	s_branch .LBB142_1061
.LBB142_1059:
	s_mov_b32 s39, 0
.LBB142_1060:
                                        ; implicit-def: $vgpr50
.LBB142_1061:
	s_and_not1_b32 s36, s27, exec_lo
	s_and_b32 s0, s0, exec_lo
	s_and_not1_b32 s40, s29, exec_lo
	s_and_b32 s41, s35, exec_lo
	s_or_b32 s35, s36, s0
	s_or_b32 s36, s40, s41
	s_and_not1_b32 s0, s30, exec_lo
	s_and_b32 s37, s37, exec_lo
	s_and_not1_b32 s40, s31, exec_lo
	s_and_b32 s34, s34, exec_lo
	s_or_b32 s37, s0, s37
	s_or_b32 s34, s40, s34
	s_or_not1_b32 s40, s39, exec_lo
.LBB142_1062:
	s_wait_xcnt 0x0
	s_or_b32 exec_lo, exec_lo, s38
	s_mov_b32 s39, 0
	s_mov_b32 s41, 0
	;; [unrolled: 1-line block ×3, first 2 shown]
                                        ; implicit-def: $sgpr0
                                        ; implicit-def: $vgpr4_vgpr5
                                        ; implicit-def: $vgpr2_vgpr3
	s_and_saveexec_b32 s38, s40
	s_cbranch_execz .LBB142_1679
; %bb.1063:
	s_mov_b32 s47, -1
	s_mov_b32 s40, s34
	s_mov_b32 s41, s37
	s_mov_b32 s42, s36
	s_mov_b32 s43, s35
	s_mov_b32 s39, exec_lo
	v_cmpx_gt_i32_e64 s28, v50
	s_cbranch_execz .LBB142_1598
; %bb.1064:
	s_wait_loadcnt 0x0
	v_mul_lo_u32 v0, v50, s21
	s_and_b32 s0, s25, 0xff
	s_delay_alu instid0(SALU_CYCLE_1) | instskip(NEXT) | instid1(VALU_DEP_1)
	s_cmp_lt_i32 s0, 11
	v_ashrrev_i32_e32 v1, 31, v0
	s_delay_alu instid0(VALU_DEP_1)
	v_add_nc_u64_e32 v[4:5], s[6:7], v[0:1]
	s_cbranch_scc1 .LBB142_1071
; %bb.1065:
	s_and_b32 s41, 0xffff, s0
	s_delay_alu instid0(SALU_CYCLE_1)
	s_cmp_gt_i32 s41, 25
	s_cbranch_scc0 .LBB142_1072
; %bb.1066:
	s_cmp_gt_i32 s41, 28
	s_cbranch_scc0 .LBB142_1073
; %bb.1067:
	;; [unrolled: 3-line block ×4, first 2 shown]
	s_cmp_eq_u32 s41, 46
	s_mov_b32 s43, 0
	s_cbranch_scc0 .LBB142_1076
; %bb.1070:
	global_load_b32 v0, v[4:5], off
	s_mov_b32 s42, -1
	s_mov_b32 s40, 0
	s_wait_loadcnt 0x0
	v_lshlrev_b32_e32 v1, 16, v0
	v_and_b32_e32 v2, 0xffff0000, v0
	s_delay_alu instid0(VALU_DEP_2) | instskip(NEXT) | instid1(VALU_DEP_2)
	v_cvt_f64_f32_e32 v[0:1], v1
	v_cvt_f64_f32_e32 v[2:3], v2
	s_branch .LBB142_1078
.LBB142_1071:
	s_mov_b32 s41, -1
	s_mov_b32 s42, 0
	s_mov_b32 s40, s34
                                        ; implicit-def: $vgpr2_vgpr3
	s_branch .LBB142_1142
.LBB142_1072:
	s_mov_b32 s43, -1
	s_mov_b32 s42, 0
	s_mov_b32 s40, s34
                                        ; implicit-def: $vgpr2_vgpr3
	s_branch .LBB142_1107
.LBB142_1073:
	s_mov_b32 s43, -1
	s_mov_b32 s42, 0
	s_mov_b32 s40, s34
                                        ; implicit-def: $vgpr2_vgpr3
	s_branch .LBB142_1090
.LBB142_1074:
	s_mov_b32 s43, -1
	s_mov_b32 s42, 0
	s_mov_b32 s40, s34
                                        ; implicit-def: $vgpr2_vgpr3
	s_branch .LBB142_1084
.LBB142_1075:
	s_mov_b32 s43, -1
	s_mov_b32 s42, 0
	s_mov_b32 s40, s34
	s_branch .LBB142_1077
.LBB142_1076:
	s_mov_b32 s40, -1
	s_mov_b32 s42, 0
.LBB142_1077:
                                        ; implicit-def: $vgpr2_vgpr3
.LBB142_1078:
	s_and_b32 vcc_lo, exec_lo, s43
	s_cbranch_vccz .LBB142_1083
; %bb.1079:
	s_cmp_eq_u32 s41, 44
	s_cbranch_scc0 .LBB142_1081
; %bb.1080:
	global_load_u8 v2, v[4:5], off
	s_mov_b32 s40, 0
	s_mov_b32 s42, -1
	s_wait_loadcnt 0x0
	v_cmp_ne_u32_e32 vcc_lo, 0xff, v2
	v_lshlrev_b32_e32 v0, 23, v2
	s_delay_alu instid0(VALU_DEP_1) | instskip(NEXT) | instid1(VALU_DEP_1)
	v_cvt_f64_f32_e32 v[0:1], v0
	v_cndmask_b32_e32 v0, 0x20000000, v0, vcc_lo
	s_delay_alu instid0(VALU_DEP_2) | instskip(SKIP_1) | instid1(VALU_DEP_2)
	v_cndmask_b32_e32 v1, 0x7ff80000, v1, vcc_lo
	v_cmp_ne_u32_e32 vcc_lo, 0, v2
	v_cndmask_b32_e32 v1, 0x38000000, v1, vcc_lo
	s_delay_alu instid0(VALU_DEP_4)
	v_cndmask_b32_e32 v0, 0, v0, vcc_lo
	s_branch .LBB142_1082
.LBB142_1081:
	s_mov_b32 s40, -1
                                        ; implicit-def: $vgpr0_vgpr1
.LBB142_1082:
	v_mov_b64_e32 v[2:3], 0
.LBB142_1083:
	s_mov_b32 s43, 0
.LBB142_1084:
	s_delay_alu instid0(SALU_CYCLE_1)
	s_and_b32 vcc_lo, exec_lo, s43
	s_cbranch_vccz .LBB142_1089
; %bb.1085:
	s_cmp_eq_u32 s41, 29
	s_cbranch_scc0 .LBB142_1087
; %bb.1086:
	global_load_b64 v[0:1], v[4:5], off
	s_mov_b32 s42, -1
	s_mov_b32 s40, 0
	s_wait_loadcnt 0x0
	v_cvt_f64_u32_e32 v[2:3], v1
	v_cvt_f64_u32_e32 v[0:1], v0
	s_delay_alu instid0(VALU_DEP_2) | instskip(NEXT) | instid1(VALU_DEP_1)
	v_ldexp_f64 v[2:3], v[2:3], 32
	v_add_f64_e32 v[0:1], v[2:3], v[0:1]
	s_branch .LBB142_1088
.LBB142_1087:
	s_mov_b32 s40, -1
                                        ; implicit-def: $vgpr0_vgpr1
.LBB142_1088:
	v_mov_b64_e32 v[2:3], 0
.LBB142_1089:
	s_mov_b32 s43, 0
.LBB142_1090:
	s_delay_alu instid0(SALU_CYCLE_1)
	s_and_b32 vcc_lo, exec_lo, s43
	s_cbranch_vccz .LBB142_1106
; %bb.1091:
	s_cmp_lt_i32 s41, 27
	s_cbranch_scc1 .LBB142_1094
; %bb.1092:
	s_cmp_gt_i32 s41, 27
	s_cbranch_scc0 .LBB142_1095
; %bb.1093:
	global_load_b32 v0, v[4:5], off
	s_mov_b32 s42, 0
	s_wait_loadcnt 0x0
	v_cvt_f64_u32_e32 v[0:1], v0
	s_branch .LBB142_1096
.LBB142_1094:
	s_mov_b32 s42, -1
                                        ; implicit-def: $vgpr0_vgpr1
	s_branch .LBB142_1099
.LBB142_1095:
	s_mov_b32 s42, -1
                                        ; implicit-def: $vgpr0_vgpr1
.LBB142_1096:
	s_delay_alu instid0(SALU_CYCLE_1)
	s_and_not1_b32 vcc_lo, exec_lo, s42
	s_cbranch_vccnz .LBB142_1098
; %bb.1097:
	global_load_u16 v0, v[4:5], off
	s_wait_loadcnt 0x0
	v_cvt_f64_u32_e32 v[0:1], v0
.LBB142_1098:
	s_mov_b32 s42, 0
.LBB142_1099:
	s_delay_alu instid0(SALU_CYCLE_1)
	s_and_not1_b32 vcc_lo, exec_lo, s42
	s_cbranch_vccnz .LBB142_1105
; %bb.1100:
	global_load_u8 v2, v[4:5], off
	s_mov_b32 s42, 0
	s_mov_b32 s43, exec_lo
	s_wait_loadcnt 0x0
	v_cmpx_lt_i16_e32 0x7f, v2
	s_xor_b32 s43, exec_lo, s43
	s_cbranch_execnz .LBB142_1118
; %bb.1101:
	s_or_saveexec_b32 s43, s43
	v_mov_b64_e32 v[0:1], 0x7ff8000020000000
	s_xor_b32 exec_lo, exec_lo, s43
	s_cbranch_execnz .LBB142_1121
.LBB142_1102:
	s_or_b32 exec_lo, exec_lo, s43
	s_and_saveexec_b32 s43, s42
	s_cbranch_execz .LBB142_1104
.LBB142_1103:
	v_and_b32_e32 v0, 0xffff, v2
	s_delay_alu instid0(VALU_DEP_1) | instskip(SKIP_1) | instid1(VALU_DEP_2)
	v_and_b32_e32 v1, 7, v0
	v_bfe_u32 v7, v0, 3, 4
	v_clz_i32_u32_e32 v3, v1
	s_delay_alu instid0(VALU_DEP_2) | instskip(NEXT) | instid1(VALU_DEP_2)
	v_cmp_eq_u32_e32 vcc_lo, 0, v7
	v_min_u32_e32 v3, 32, v3
	s_delay_alu instid0(VALU_DEP_1) | instskip(NEXT) | instid1(VALU_DEP_1)
	v_subrev_nc_u32_e32 v6, 28, v3
	v_dual_lshlrev_b32 v0, v6, v0 :: v_dual_sub_nc_u32 v3, 29, v3
	s_delay_alu instid0(VALU_DEP_1) | instskip(NEXT) | instid1(VALU_DEP_1)
	v_dual_lshlrev_b32 v2, 24, v2 :: v_dual_bitop2_b32 v0, 7, v0 bitop3:0x40
	v_dual_cndmask_b32 v3, v7, v3 :: v_dual_cndmask_b32 v0, v1, v0
	s_delay_alu instid0(VALU_DEP_2) | instskip(NEXT) | instid1(VALU_DEP_2)
	v_and_b32_e32 v1, 0x80000000, v2
	v_lshl_add_u32 v2, v3, 23, 0x3b800000
	s_delay_alu instid0(VALU_DEP_3) | instskip(NEXT) | instid1(VALU_DEP_1)
	v_lshlrev_b32_e32 v0, 20, v0
	v_or3_b32 v0, v1, v2, v0
	s_delay_alu instid0(VALU_DEP_1)
	v_cvt_f64_f32_e32 v[0:1], v0
.LBB142_1104:
	s_or_b32 exec_lo, exec_lo, s43
.LBB142_1105:
	v_mov_b64_e32 v[2:3], 0
	s_mov_b32 s42, -1
.LBB142_1106:
	s_mov_b32 s43, 0
.LBB142_1107:
	s_delay_alu instid0(SALU_CYCLE_1)
	s_and_b32 vcc_lo, exec_lo, s43
	s_cbranch_vccz .LBB142_1141
; %bb.1108:
	s_cmp_gt_i32 s41, 22
	s_cbranch_scc0 .LBB142_1116
; %bb.1109:
	s_cmp_lt_i32 s41, 24
	s_cbranch_scc1 .LBB142_1117
; %bb.1110:
	s_cmp_gt_i32 s41, 24
	s_cbranch_scc0 .LBB142_1122
; %bb.1111:
	global_load_u8 v2, v[4:5], off
	s_mov_b32 s42, 0
	s_mov_b32 s43, exec_lo
	s_wait_loadcnt 0x0
	v_cmpx_lt_i16_e32 0x7f, v2
	s_xor_b32 s43, exec_lo, s43
	s_cbranch_execnz .LBB142_1206
; %bb.1112:
	s_or_saveexec_b32 s43, s43
	v_mov_b64_e32 v[0:1], 0x7ff8000020000000
	s_xor_b32 exec_lo, exec_lo, s43
	s_cbranch_execnz .LBB142_1209
.LBB142_1113:
	s_or_b32 exec_lo, exec_lo, s43
	s_and_saveexec_b32 s43, s42
	s_cbranch_execz .LBB142_1115
.LBB142_1114:
	v_and_b32_e32 v0, 0xffff, v2
	s_delay_alu instid0(VALU_DEP_1) | instskip(SKIP_1) | instid1(VALU_DEP_2)
	v_and_b32_e32 v1, 3, v0
	v_bfe_u32 v7, v0, 2, 5
	v_clz_i32_u32_e32 v3, v1
	s_delay_alu instid0(VALU_DEP_2) | instskip(NEXT) | instid1(VALU_DEP_2)
	v_cmp_eq_u32_e32 vcc_lo, 0, v7
	v_min_u32_e32 v3, 32, v3
	s_delay_alu instid0(VALU_DEP_1) | instskip(NEXT) | instid1(VALU_DEP_1)
	v_subrev_nc_u32_e32 v6, 29, v3
	v_dual_lshlrev_b32 v0, v6, v0 :: v_dual_sub_nc_u32 v3, 30, v3
	s_delay_alu instid0(VALU_DEP_1) | instskip(NEXT) | instid1(VALU_DEP_1)
	v_dual_lshlrev_b32 v2, 24, v2 :: v_dual_bitop2_b32 v0, 3, v0 bitop3:0x40
	v_dual_cndmask_b32 v3, v7, v3 :: v_dual_cndmask_b32 v0, v1, v0
	s_delay_alu instid0(VALU_DEP_2) | instskip(NEXT) | instid1(VALU_DEP_2)
	v_and_b32_e32 v1, 0x80000000, v2
	v_lshl_add_u32 v2, v3, 23, 0x37800000
	s_delay_alu instid0(VALU_DEP_3) | instskip(NEXT) | instid1(VALU_DEP_1)
	v_lshlrev_b32_e32 v0, 21, v0
	v_or3_b32 v0, v1, v2, v0
	s_delay_alu instid0(VALU_DEP_1)
	v_cvt_f64_f32_e32 v[0:1], v0
.LBB142_1115:
	s_or_b32 exec_lo, exec_lo, s43
	s_mov_b32 s42, 0
	s_branch .LBB142_1123
.LBB142_1116:
	s_mov_b32 s43, -1
                                        ; implicit-def: $vgpr0_vgpr1
	s_branch .LBB142_1129
.LBB142_1117:
	s_mov_b32 s42, -1
                                        ; implicit-def: $vgpr0_vgpr1
	s_branch .LBB142_1126
.LBB142_1118:
	s_mov_b32 s42, -1
	s_mov_b32 s44, exec_lo
	v_cmpx_eq_u16_e32 0x80, v2
; %bb.1119:
	s_xor_b32 s42, exec_lo, -1
; %bb.1120:
	s_or_b32 exec_lo, exec_lo, s44
	s_delay_alu instid0(SALU_CYCLE_1)
	s_and_b32 s42, s42, exec_lo
	s_or_saveexec_b32 s43, s43
	v_mov_b64_e32 v[0:1], 0x7ff8000020000000
	s_xor_b32 exec_lo, exec_lo, s43
	s_cbranch_execz .LBB142_1102
.LBB142_1121:
	v_cmp_ne_u16_e32 vcc_lo, 0, v2
	v_mov_b64_e32 v[0:1], 0
	s_and_not1_b32 s42, s42, exec_lo
	s_and_b32 s44, vcc_lo, exec_lo
	s_delay_alu instid0(SALU_CYCLE_1)
	s_or_b32 s42, s42, s44
	s_or_b32 exec_lo, exec_lo, s43
	s_and_saveexec_b32 s43, s42
	s_cbranch_execnz .LBB142_1103
	s_branch .LBB142_1104
.LBB142_1122:
	s_mov_b32 s42, -1
                                        ; implicit-def: $vgpr0_vgpr1
.LBB142_1123:
	s_delay_alu instid0(SALU_CYCLE_1)
	s_and_b32 vcc_lo, exec_lo, s42
	s_cbranch_vccz .LBB142_1125
; %bb.1124:
	global_load_u8 v0, v[4:5], off
	s_wait_loadcnt 0x0
	v_lshlrev_b32_e32 v0, 24, v0
	s_delay_alu instid0(VALU_DEP_1) | instskip(NEXT) | instid1(VALU_DEP_1)
	v_and_b32_e32 v1, 0x7f000000, v0
	v_clz_i32_u32_e32 v2, v1
	v_cmp_ne_u32_e32 vcc_lo, 0, v1
	v_add_nc_u32_e32 v6, 0x1000000, v1
	s_delay_alu instid0(VALU_DEP_3) | instskip(NEXT) | instid1(VALU_DEP_1)
	v_min_u32_e32 v2, 32, v2
	v_sub_nc_u32_e64 v2, v2, 4 clamp
	s_delay_alu instid0(VALU_DEP_1) | instskip(NEXT) | instid1(VALU_DEP_1)
	v_dual_lshlrev_b32 v3, v2, v1 :: v_dual_lshlrev_b32 v2, 23, v2
	v_lshrrev_b32_e32 v3, 4, v3
	s_delay_alu instid0(VALU_DEP_1) | instskip(SKIP_1) | instid1(VALU_DEP_2)
	v_sub_nc_u32_e32 v2, v3, v2
	v_ashrrev_i32_e32 v3, 8, v6
	v_add_nc_u32_e32 v2, 0x3c000000, v2
	s_delay_alu instid0(VALU_DEP_1) | instskip(NEXT) | instid1(VALU_DEP_1)
	v_and_or_b32 v2, 0x7f800000, v3, v2
	v_cndmask_b32_e32 v1, 0, v2, vcc_lo
	s_delay_alu instid0(VALU_DEP_1) | instskip(NEXT) | instid1(VALU_DEP_1)
	v_and_or_b32 v0, 0x80000000, v0, v1
	v_cvt_f64_f32_e32 v[0:1], v0
.LBB142_1125:
	s_mov_b32 s42, 0
.LBB142_1126:
	s_delay_alu instid0(SALU_CYCLE_1)
	s_and_not1_b32 vcc_lo, exec_lo, s42
	s_cbranch_vccnz .LBB142_1128
; %bb.1127:
	global_load_u8 v0, v[4:5], off
	s_wait_loadcnt 0x0
	v_lshlrev_b32_e32 v1, 25, v0
	v_lshlrev_b16 v0, 8, v0
	s_delay_alu instid0(VALU_DEP_1) | instskip(SKIP_1) | instid1(VALU_DEP_2)
	v_and_or_b32 v3, 0x7f00, v0, 0.5
	v_bfe_i32 v0, v0, 0, 16
	v_dual_add_f32 v3, -0.5, v3 :: v_dual_lshrrev_b32 v2, 4, v1
	v_cmp_gt_u32_e32 vcc_lo, 0x8000000, v1
	s_delay_alu instid0(VALU_DEP_2) | instskip(NEXT) | instid1(VALU_DEP_1)
	v_or_b32_e32 v2, 0x70000000, v2
	v_mul_f32_e32 v2, 0x7800000, v2
	s_delay_alu instid0(VALU_DEP_1) | instskip(NEXT) | instid1(VALU_DEP_1)
	v_cndmask_b32_e32 v1, v2, v3, vcc_lo
	v_and_or_b32 v0, 0x80000000, v0, v1
	s_delay_alu instid0(VALU_DEP_1)
	v_cvt_f64_f32_e32 v[0:1], v0
.LBB142_1128:
	s_mov_b32 s43, 0
	s_mov_b32 s42, -1
.LBB142_1129:
	s_and_not1_b32 vcc_lo, exec_lo, s43
	s_cbranch_vccnz .LBB142_1140
; %bb.1130:
	s_cmp_gt_i32 s41, 14
	s_cbranch_scc0 .LBB142_1133
; %bb.1131:
	s_cmp_eq_u32 s41, 15
	s_cbranch_scc0 .LBB142_1134
; %bb.1132:
	global_load_u16 v0, v[4:5], off
	s_mov_b32 s42, -1
	s_mov_b32 s40, 0
	s_wait_loadcnt 0x0
	v_lshlrev_b32_e32 v0, 16, v0
	s_delay_alu instid0(VALU_DEP_1)
	v_cvt_f64_f32_e32 v[0:1], v0
	s_branch .LBB142_1135
.LBB142_1133:
	s_mov_b32 s43, -1
                                        ; implicit-def: $vgpr0_vgpr1
	s_branch .LBB142_1136
.LBB142_1134:
	s_mov_b32 s40, -1
                                        ; implicit-def: $vgpr0_vgpr1
.LBB142_1135:
	s_mov_b32 s43, 0
.LBB142_1136:
	s_delay_alu instid0(SALU_CYCLE_1)
	s_and_b32 vcc_lo, exec_lo, s43
	s_cbranch_vccz .LBB142_1140
; %bb.1137:
	s_cmp_eq_u32 s41, 11
	s_cbranch_scc0 .LBB142_1139
; %bb.1138:
	global_load_u8 v0, v[4:5], off
	s_mov_b32 s40, 0
	s_mov_b32 s42, -1
	v_mov_b64_e32 v[2:3], 0
	s_wait_loadcnt 0x0
	v_cmp_ne_u16_e32 vcc_lo, 0, v0
	v_mov_b32_e32 v0, 0
	v_cndmask_b32_e64 v1, 0, 0x3ff00000, vcc_lo
	s_branch .LBB142_1141
.LBB142_1139:
	s_mov_b32 s40, -1
                                        ; implicit-def: $vgpr0_vgpr1
.LBB142_1140:
	v_mov_b64_e32 v[2:3], 0
.LBB142_1141:
	s_mov_b32 s41, 0
.LBB142_1142:
	s_delay_alu instid0(SALU_CYCLE_1)
	s_and_b32 vcc_lo, exec_lo, s41
	s_cbranch_vccz .LBB142_1193
; %bb.1143:
	s_and_b32 s0, 0xffff, s0
	s_delay_alu instid0(SALU_CYCLE_1)
	s_cmp_lt_i32 s0, 5
	s_cbranch_scc1 .LBB142_1148
; %bb.1144:
	s_cmp_lt_i32 s0, 8
	s_cbranch_scc1 .LBB142_1149
; %bb.1145:
	;; [unrolled: 3-line block ×3, first 2 shown]
	s_cmp_gt_i32 s0, 9
	s_cbranch_scc0 .LBB142_1151
; %bb.1147:
	global_load_b128 v[0:3], v[4:5], off
	s_mov_b32 s41, 0
	s_branch .LBB142_1152
.LBB142_1148:
	s_mov_b32 s41, -1
                                        ; implicit-def: $vgpr2_vgpr3
	s_branch .LBB142_1171
.LBB142_1149:
	s_mov_b32 s41, -1
                                        ; implicit-def: $vgpr2_vgpr3
	s_branch .LBB142_1158
.LBB142_1150:
	s_mov_b32 s41, -1
                                        ; implicit-def: $vgpr2_vgpr3
	s_branch .LBB142_1155
.LBB142_1151:
	s_mov_b32 s41, -1
                                        ; implicit-def: $vgpr2_vgpr3
.LBB142_1152:
	s_delay_alu instid0(SALU_CYCLE_1)
	s_and_not1_b32 vcc_lo, exec_lo, s41
	s_cbranch_vccnz .LBB142_1154
; %bb.1153:
	s_wait_loadcnt 0x0
	global_load_b64 v[2:3], v[4:5], off
	s_wait_loadcnt 0x0
	v_cvt_f64_f32_e32 v[0:1], v2
	v_cvt_f64_f32_e32 v[2:3], v3
.LBB142_1154:
	s_mov_b32 s41, 0
.LBB142_1155:
	s_delay_alu instid0(SALU_CYCLE_1)
	s_and_not1_b32 vcc_lo, exec_lo, s41
	s_cbranch_vccnz .LBB142_1157
; %bb.1156:
	s_wait_loadcnt 0x0
	global_load_b32 v0, v[4:5], off
	s_wait_loadcnt 0x0
	v_lshrrev_b32_e32 v1, 16, v0
	v_cvt_f32_f16_e32 v0, v0
	s_delay_alu instid0(VALU_DEP_2) | instskip(NEXT) | instid1(VALU_DEP_2)
	v_cvt_f32_f16_e32 v2, v1
	v_cvt_f64_f32_e32 v[0:1], v0
	s_delay_alu instid0(VALU_DEP_2)
	v_cvt_f64_f32_e32 v[2:3], v2
.LBB142_1157:
	s_mov_b32 s41, 0
.LBB142_1158:
	s_delay_alu instid0(SALU_CYCLE_1)
	s_and_not1_b32 vcc_lo, exec_lo, s41
	s_cbranch_vccnz .LBB142_1170
; %bb.1159:
	s_cmp_lt_i32 s0, 6
	s_cbranch_scc1 .LBB142_1162
; %bb.1160:
	s_cmp_gt_i32 s0, 6
	s_cbranch_scc0 .LBB142_1163
; %bb.1161:
	s_wait_loadcnt 0x0
	global_load_b64 v[0:1], v[4:5], off
	s_mov_b32 s41, 0
	s_branch .LBB142_1164
.LBB142_1162:
	s_mov_b32 s41, -1
                                        ; implicit-def: $vgpr0_vgpr1
	s_branch .LBB142_1167
.LBB142_1163:
	s_mov_b32 s41, -1
                                        ; implicit-def: $vgpr0_vgpr1
.LBB142_1164:
	s_delay_alu instid0(SALU_CYCLE_1)
	s_and_not1_b32 vcc_lo, exec_lo, s41
	s_cbranch_vccnz .LBB142_1166
; %bb.1165:
	s_wait_loadcnt 0x0
	global_load_b32 v0, v[4:5], off
	s_wait_loadcnt 0x0
	v_cvt_f64_f32_e32 v[0:1], v0
.LBB142_1166:
	s_mov_b32 s41, 0
.LBB142_1167:
	s_delay_alu instid0(SALU_CYCLE_1)
	s_and_not1_b32 vcc_lo, exec_lo, s41
	s_cbranch_vccnz .LBB142_1169
; %bb.1168:
	s_wait_loadcnt 0x0
	global_load_u16 v0, v[4:5], off
	s_wait_loadcnt 0x0
	v_cvt_f32_f16_e32 v0, v0
	s_delay_alu instid0(VALU_DEP_1)
	v_cvt_f64_f32_e32 v[0:1], v0
.LBB142_1169:
	s_wait_loadcnt 0x0
	v_mov_b64_e32 v[2:3], 0
.LBB142_1170:
	s_mov_b32 s41, 0
.LBB142_1171:
	s_delay_alu instid0(SALU_CYCLE_1)
	s_and_not1_b32 vcc_lo, exec_lo, s41
	s_cbranch_vccnz .LBB142_1192
; %bb.1172:
	s_cmp_lt_i32 s0, 2
	s_cbranch_scc1 .LBB142_1176
; %bb.1173:
	s_cmp_lt_i32 s0, 3
	s_cbranch_scc1 .LBB142_1177
; %bb.1174:
	s_cmp_gt_i32 s0, 3
	s_cbranch_scc0 .LBB142_1178
; %bb.1175:
	s_wait_loadcnt 0x0
	global_load_b64 v[0:1], v[4:5], off
	s_mov_b32 s41, 0
	s_wait_loadcnt 0x0
	v_cvt_f64_i32_e32 v[2:3], v1
	v_cvt_f64_u32_e32 v[0:1], v0
	s_delay_alu instid0(VALU_DEP_2) | instskip(NEXT) | instid1(VALU_DEP_1)
	v_ldexp_f64 v[2:3], v[2:3], 32
	v_add_f64_e32 v[0:1], v[2:3], v[0:1]
	s_branch .LBB142_1179
.LBB142_1176:
	s_mov_b32 s41, -1
                                        ; implicit-def: $vgpr0_vgpr1
	s_branch .LBB142_1185
.LBB142_1177:
	s_mov_b32 s41, -1
                                        ; implicit-def: $vgpr0_vgpr1
	s_branch .LBB142_1182
.LBB142_1178:
	s_mov_b32 s41, -1
                                        ; implicit-def: $vgpr0_vgpr1
.LBB142_1179:
	s_delay_alu instid0(SALU_CYCLE_1)
	s_and_not1_b32 vcc_lo, exec_lo, s41
	s_cbranch_vccnz .LBB142_1181
; %bb.1180:
	s_wait_loadcnt 0x0
	global_load_b32 v0, v[4:5], off
	s_wait_loadcnt 0x0
	v_cvt_f64_i32_e32 v[0:1], v0
.LBB142_1181:
	s_mov_b32 s41, 0
.LBB142_1182:
	s_delay_alu instid0(SALU_CYCLE_1)
	s_and_not1_b32 vcc_lo, exec_lo, s41
	s_cbranch_vccnz .LBB142_1184
; %bb.1183:
	s_wait_loadcnt 0x0
	global_load_i16 v0, v[4:5], off
	s_wait_loadcnt 0x0
	v_cvt_f64_i32_e32 v[0:1], v0
.LBB142_1184:
	s_mov_b32 s41, 0
.LBB142_1185:
	s_delay_alu instid0(SALU_CYCLE_1)
	s_and_not1_b32 vcc_lo, exec_lo, s41
	s_cbranch_vccnz .LBB142_1191
; %bb.1186:
	s_cmp_gt_i32 s0, 0
	s_mov_b32 s0, 0
	s_cbranch_scc0 .LBB142_1188
; %bb.1187:
	s_wait_loadcnt 0x0
	global_load_i8 v0, v[4:5], off
	s_wait_loadcnt 0x0
	v_cvt_f64_i32_e32 v[0:1], v0
	s_branch .LBB142_1189
.LBB142_1188:
	s_mov_b32 s0, -1
                                        ; implicit-def: $vgpr0_vgpr1
.LBB142_1189:
	s_delay_alu instid0(SALU_CYCLE_1)
	s_and_not1_b32 vcc_lo, exec_lo, s0
	s_cbranch_vccnz .LBB142_1191
; %bb.1190:
	s_wait_loadcnt 0x0
	global_load_u8 v0, v[4:5], off
	s_wait_loadcnt 0x0
	v_cvt_f64_u32_e32 v[0:1], v0
.LBB142_1191:
	s_wait_loadcnt 0x0
	v_mov_b64_e32 v[2:3], 0
.LBB142_1192:
	s_mov_b32 s42, -1
.LBB142_1193:
	s_delay_alu instid0(SALU_CYCLE_1)
	s_and_not1_b32 vcc_lo, exec_lo, s42
	s_cbranch_vccnz .LBB142_1201
; %bb.1194:
	s_wait_xcnt 0x0
	v_mul_lo_u32 v4, v50, s22
	s_and_b32 s0, s3, 0xff
	s_delay_alu instid0(SALU_CYCLE_1) | instskip(NEXT) | instid1(VALU_DEP_1)
	s_cmp_lt_i32 s0, 11
	v_ashrrev_i32_e32 v5, 31, v4
	s_delay_alu instid0(VALU_DEP_1)
	v_add_nc_u64_e32 v[8:9], s[8:9], v[4:5]
	s_cbranch_scc1 .LBB142_1202
; %bb.1195:
	s_and_b32 s42, 0xffff, s0
	s_delay_alu instid0(SALU_CYCLE_1)
	s_cmp_gt_i32 s42, 25
	s_cbranch_scc0 .LBB142_1203
; %bb.1196:
	s_cmp_gt_i32 s42, 28
	s_cbranch_scc0 .LBB142_1204
; %bb.1197:
	;; [unrolled: 3-line block ×4, first 2 shown]
	s_cmp_eq_u32 s42, 46
	s_mov_b32 s44, 0
	s_cbranch_scc0 .LBB142_1211
; %bb.1200:
	global_load_b32 v4, v[8:9], off
	s_mov_b32 s43, -1
	s_mov_b32 s41, 0
	s_wait_loadcnt 0x0
	v_lshlrev_b32_e32 v5, 16, v4
	v_and_b32_e32 v6, 0xffff0000, v4
	s_delay_alu instid0(VALU_DEP_2) | instskip(NEXT) | instid1(VALU_DEP_2)
	v_cvt_f64_f32_e32 v[4:5], v5
	v_cvt_f64_f32_e32 v[6:7], v6
	s_branch .LBB142_1213
.LBB142_1201:
	s_mov_b32 s44, 0
	s_mov_b32 s0, s35
	;; [unrolled: 1-line block ×4, first 2 shown]
	s_branch .LBB142_1596
.LBB142_1202:
	s_mov_b32 s42, -1
	s_mov_b32 s43, 0
	s_mov_b32 s41, s37
                                        ; implicit-def: $vgpr6_vgpr7
	s_branch .LBB142_1277
.LBB142_1203:
	s_mov_b32 s44, -1
	s_mov_b32 s43, 0
	s_mov_b32 s41, s37
                                        ; implicit-def: $vgpr6_vgpr7
	s_branch .LBB142_1242
.LBB142_1204:
	s_mov_b32 s44, -1
	s_mov_b32 s43, 0
	s_mov_b32 s41, s37
                                        ; implicit-def: $vgpr6_vgpr7
	s_branch .LBB142_1225
.LBB142_1205:
	s_mov_b32 s44, -1
	s_mov_b32 s43, 0
	s_mov_b32 s41, s37
                                        ; implicit-def: $vgpr6_vgpr7
	s_branch .LBB142_1219
.LBB142_1206:
	s_mov_b32 s42, -1
	s_mov_b32 s44, exec_lo
	v_cmpx_eq_u16_e32 0x80, v2
; %bb.1207:
	s_xor_b32 s42, exec_lo, -1
; %bb.1208:
	s_or_b32 exec_lo, exec_lo, s44
	s_delay_alu instid0(SALU_CYCLE_1)
	s_and_b32 s42, s42, exec_lo
	s_or_saveexec_b32 s43, s43
	v_mov_b64_e32 v[0:1], 0x7ff8000020000000
	s_xor_b32 exec_lo, exec_lo, s43
	s_cbranch_execz .LBB142_1113
.LBB142_1209:
	v_cmp_ne_u16_e32 vcc_lo, 0, v2
	v_mov_b64_e32 v[0:1], 0
	s_and_not1_b32 s42, s42, exec_lo
	s_and_b32 s44, vcc_lo, exec_lo
	s_delay_alu instid0(SALU_CYCLE_1)
	s_or_b32 s42, s42, s44
	s_or_b32 exec_lo, exec_lo, s43
	s_and_saveexec_b32 s43, s42
	s_cbranch_execnz .LBB142_1114
	s_branch .LBB142_1115
.LBB142_1210:
	s_mov_b32 s44, -1
	s_mov_b32 s43, 0
	s_mov_b32 s41, s37
	s_branch .LBB142_1212
.LBB142_1211:
	s_mov_b32 s41, -1
	s_mov_b32 s43, 0
.LBB142_1212:
                                        ; implicit-def: $vgpr6_vgpr7
.LBB142_1213:
	s_and_b32 vcc_lo, exec_lo, s44
	s_cbranch_vccz .LBB142_1218
; %bb.1214:
	s_cmp_eq_u32 s42, 44
	s_cbranch_scc0 .LBB142_1216
; %bb.1215:
	global_load_u8 v6, v[8:9], off
	s_mov_b32 s41, 0
	s_mov_b32 s43, -1
	s_wait_loadcnt 0x0
	v_cmp_ne_u32_e32 vcc_lo, 0xff, v6
	v_lshlrev_b32_e32 v4, 23, v6
	s_delay_alu instid0(VALU_DEP_1) | instskip(NEXT) | instid1(VALU_DEP_1)
	v_cvt_f64_f32_e32 v[4:5], v4
	v_cndmask_b32_e32 v4, 0x20000000, v4, vcc_lo
	s_delay_alu instid0(VALU_DEP_2) | instskip(SKIP_1) | instid1(VALU_DEP_2)
	v_cndmask_b32_e32 v5, 0x7ff80000, v5, vcc_lo
	v_cmp_ne_u32_e32 vcc_lo, 0, v6
	v_cndmask_b32_e32 v5, 0x38000000, v5, vcc_lo
	s_delay_alu instid0(VALU_DEP_4)
	v_cndmask_b32_e32 v4, 0, v4, vcc_lo
	s_branch .LBB142_1217
.LBB142_1216:
	s_mov_b32 s41, -1
                                        ; implicit-def: $vgpr4_vgpr5
.LBB142_1217:
	v_mov_b64_e32 v[6:7], 0
.LBB142_1218:
	s_mov_b32 s44, 0
.LBB142_1219:
	s_delay_alu instid0(SALU_CYCLE_1)
	s_and_b32 vcc_lo, exec_lo, s44
	s_cbranch_vccz .LBB142_1224
; %bb.1220:
	s_cmp_eq_u32 s42, 29
	s_cbranch_scc0 .LBB142_1222
; %bb.1221:
	global_load_b64 v[4:5], v[8:9], off
	s_mov_b32 s43, -1
	s_mov_b32 s41, 0
	s_wait_loadcnt 0x0
	v_cvt_f64_u32_e32 v[6:7], v5
	v_cvt_f64_u32_e32 v[4:5], v4
	s_delay_alu instid0(VALU_DEP_2) | instskip(NEXT) | instid1(VALU_DEP_1)
	v_ldexp_f64 v[6:7], v[6:7], 32
	v_add_f64_e32 v[4:5], v[6:7], v[4:5]
	s_branch .LBB142_1223
.LBB142_1222:
	s_mov_b32 s41, -1
                                        ; implicit-def: $vgpr4_vgpr5
.LBB142_1223:
	v_mov_b64_e32 v[6:7], 0
.LBB142_1224:
	s_mov_b32 s44, 0
.LBB142_1225:
	s_delay_alu instid0(SALU_CYCLE_1)
	s_and_b32 vcc_lo, exec_lo, s44
	s_cbranch_vccz .LBB142_1241
; %bb.1226:
	s_cmp_lt_i32 s42, 27
	s_cbranch_scc1 .LBB142_1229
; %bb.1227:
	s_cmp_gt_i32 s42, 27
	s_cbranch_scc0 .LBB142_1230
; %bb.1228:
	global_load_b32 v4, v[8:9], off
	s_mov_b32 s43, 0
	s_wait_loadcnt 0x0
	v_cvt_f64_u32_e32 v[4:5], v4
	s_branch .LBB142_1231
.LBB142_1229:
	s_mov_b32 s43, -1
                                        ; implicit-def: $vgpr4_vgpr5
	s_branch .LBB142_1234
.LBB142_1230:
	s_mov_b32 s43, -1
                                        ; implicit-def: $vgpr4_vgpr5
.LBB142_1231:
	s_delay_alu instid0(SALU_CYCLE_1)
	s_and_not1_b32 vcc_lo, exec_lo, s43
	s_cbranch_vccnz .LBB142_1233
; %bb.1232:
	global_load_u16 v4, v[8:9], off
	s_wait_loadcnt 0x0
	v_cvt_f64_u32_e32 v[4:5], v4
.LBB142_1233:
	s_mov_b32 s43, 0
.LBB142_1234:
	s_delay_alu instid0(SALU_CYCLE_1)
	s_and_not1_b32 vcc_lo, exec_lo, s43
	s_cbranch_vccnz .LBB142_1240
; %bb.1235:
	global_load_u8 v6, v[8:9], off
	s_mov_b32 s43, 0
	s_mov_b32 s44, exec_lo
	s_wait_loadcnt 0x0
	v_cmpx_lt_i16_e32 0x7f, v6
	s_xor_b32 s44, exec_lo, s44
	s_cbranch_execnz .LBB142_1253
; %bb.1236:
	s_or_saveexec_b32 s44, s44
	v_mov_b64_e32 v[4:5], 0x7ff8000020000000
	s_xor_b32 exec_lo, exec_lo, s44
	s_cbranch_execnz .LBB142_1256
.LBB142_1237:
	s_or_b32 exec_lo, exec_lo, s44
	s_and_saveexec_b32 s44, s43
	s_cbranch_execz .LBB142_1239
.LBB142_1238:
	v_and_b32_e32 v4, 0xffff, v6
	s_delay_alu instid0(VALU_DEP_1) | instskip(SKIP_1) | instid1(VALU_DEP_2)
	v_and_b32_e32 v5, 7, v4
	v_bfe_u32 v11, v4, 3, 4
	v_clz_i32_u32_e32 v7, v5
	s_delay_alu instid0(VALU_DEP_2) | instskip(NEXT) | instid1(VALU_DEP_2)
	v_cmp_eq_u32_e32 vcc_lo, 0, v11
	v_min_u32_e32 v7, 32, v7
	s_delay_alu instid0(VALU_DEP_1) | instskip(NEXT) | instid1(VALU_DEP_1)
	v_subrev_nc_u32_e32 v10, 28, v7
	v_dual_lshlrev_b32 v4, v10, v4 :: v_dual_sub_nc_u32 v7, 29, v7
	s_delay_alu instid0(VALU_DEP_1) | instskip(NEXT) | instid1(VALU_DEP_1)
	v_dual_lshlrev_b32 v6, 24, v6 :: v_dual_bitop2_b32 v4, 7, v4 bitop3:0x40
	v_dual_cndmask_b32 v7, v11, v7 :: v_dual_cndmask_b32 v4, v5, v4
	s_delay_alu instid0(VALU_DEP_2) | instskip(NEXT) | instid1(VALU_DEP_2)
	v_and_b32_e32 v5, 0x80000000, v6
	v_lshl_add_u32 v6, v7, 23, 0x3b800000
	s_delay_alu instid0(VALU_DEP_3) | instskip(NEXT) | instid1(VALU_DEP_1)
	v_lshlrev_b32_e32 v4, 20, v4
	v_or3_b32 v4, v5, v6, v4
	s_delay_alu instid0(VALU_DEP_1)
	v_cvt_f64_f32_e32 v[4:5], v4
.LBB142_1239:
	s_or_b32 exec_lo, exec_lo, s44
.LBB142_1240:
	v_mov_b64_e32 v[6:7], 0
	s_mov_b32 s43, -1
.LBB142_1241:
	s_mov_b32 s44, 0
.LBB142_1242:
	s_delay_alu instid0(SALU_CYCLE_1)
	s_and_b32 vcc_lo, exec_lo, s44
	s_cbranch_vccz .LBB142_1276
; %bb.1243:
	s_cmp_gt_i32 s42, 22
	s_cbranch_scc0 .LBB142_1251
; %bb.1244:
	s_cmp_lt_i32 s42, 24
	s_cbranch_scc1 .LBB142_1252
; %bb.1245:
	s_cmp_gt_i32 s42, 24
	s_cbranch_scc0 .LBB142_1257
; %bb.1246:
	global_load_u8 v6, v[8:9], off
	s_mov_b32 s43, 0
	s_mov_b32 s44, exec_lo
	s_wait_loadcnt 0x0
	v_cmpx_lt_i16_e32 0x7f, v6
	s_xor_b32 s44, exec_lo, s44
	s_cbranch_execnz .LBB142_1341
; %bb.1247:
	s_or_saveexec_b32 s44, s44
	v_mov_b64_e32 v[4:5], 0x7ff8000020000000
	s_xor_b32 exec_lo, exec_lo, s44
	s_cbranch_execnz .LBB142_1344
.LBB142_1248:
	s_or_b32 exec_lo, exec_lo, s44
	s_and_saveexec_b32 s44, s43
	s_cbranch_execz .LBB142_1250
.LBB142_1249:
	v_and_b32_e32 v4, 0xffff, v6
	s_delay_alu instid0(VALU_DEP_1) | instskip(SKIP_1) | instid1(VALU_DEP_2)
	v_and_b32_e32 v5, 3, v4
	v_bfe_u32 v11, v4, 2, 5
	v_clz_i32_u32_e32 v7, v5
	s_delay_alu instid0(VALU_DEP_2) | instskip(NEXT) | instid1(VALU_DEP_2)
	v_cmp_eq_u32_e32 vcc_lo, 0, v11
	v_min_u32_e32 v7, 32, v7
	s_delay_alu instid0(VALU_DEP_1) | instskip(NEXT) | instid1(VALU_DEP_1)
	v_subrev_nc_u32_e32 v10, 29, v7
	v_dual_lshlrev_b32 v4, v10, v4 :: v_dual_sub_nc_u32 v7, 30, v7
	s_delay_alu instid0(VALU_DEP_1) | instskip(NEXT) | instid1(VALU_DEP_1)
	v_dual_lshlrev_b32 v6, 24, v6 :: v_dual_bitop2_b32 v4, 3, v4 bitop3:0x40
	v_dual_cndmask_b32 v7, v11, v7 :: v_dual_cndmask_b32 v4, v5, v4
	s_delay_alu instid0(VALU_DEP_2) | instskip(NEXT) | instid1(VALU_DEP_2)
	v_and_b32_e32 v5, 0x80000000, v6
	v_lshl_add_u32 v6, v7, 23, 0x37800000
	s_delay_alu instid0(VALU_DEP_3) | instskip(NEXT) | instid1(VALU_DEP_1)
	v_lshlrev_b32_e32 v4, 21, v4
	v_or3_b32 v4, v5, v6, v4
	s_delay_alu instid0(VALU_DEP_1)
	v_cvt_f64_f32_e32 v[4:5], v4
.LBB142_1250:
	s_or_b32 exec_lo, exec_lo, s44
	s_mov_b32 s43, 0
	s_branch .LBB142_1258
.LBB142_1251:
	s_mov_b32 s44, -1
                                        ; implicit-def: $vgpr4_vgpr5
	s_branch .LBB142_1264
.LBB142_1252:
	s_mov_b32 s43, -1
                                        ; implicit-def: $vgpr4_vgpr5
	s_branch .LBB142_1261
.LBB142_1253:
	s_mov_b32 s43, -1
	s_mov_b32 s45, exec_lo
	v_cmpx_eq_u16_e32 0x80, v6
; %bb.1254:
	s_xor_b32 s43, exec_lo, -1
; %bb.1255:
	s_or_b32 exec_lo, exec_lo, s45
	s_delay_alu instid0(SALU_CYCLE_1)
	s_and_b32 s43, s43, exec_lo
	s_or_saveexec_b32 s44, s44
	v_mov_b64_e32 v[4:5], 0x7ff8000020000000
	s_xor_b32 exec_lo, exec_lo, s44
	s_cbranch_execz .LBB142_1237
.LBB142_1256:
	v_cmp_ne_u16_e32 vcc_lo, 0, v6
	v_mov_b64_e32 v[4:5], 0
	s_and_not1_b32 s43, s43, exec_lo
	s_and_b32 s45, vcc_lo, exec_lo
	s_delay_alu instid0(SALU_CYCLE_1)
	s_or_b32 s43, s43, s45
	s_or_b32 exec_lo, exec_lo, s44
	s_and_saveexec_b32 s44, s43
	s_cbranch_execnz .LBB142_1238
	s_branch .LBB142_1239
.LBB142_1257:
	s_mov_b32 s43, -1
                                        ; implicit-def: $vgpr4_vgpr5
.LBB142_1258:
	s_delay_alu instid0(SALU_CYCLE_1)
	s_and_b32 vcc_lo, exec_lo, s43
	s_cbranch_vccz .LBB142_1260
; %bb.1259:
	global_load_u8 v4, v[8:9], off
	s_wait_loadcnt 0x0
	v_lshlrev_b32_e32 v4, 24, v4
	s_delay_alu instid0(VALU_DEP_1) | instskip(NEXT) | instid1(VALU_DEP_1)
	v_and_b32_e32 v5, 0x7f000000, v4
	v_clz_i32_u32_e32 v6, v5
	v_cmp_ne_u32_e32 vcc_lo, 0, v5
	v_add_nc_u32_e32 v10, 0x1000000, v5
	s_delay_alu instid0(VALU_DEP_3) | instskip(NEXT) | instid1(VALU_DEP_1)
	v_min_u32_e32 v6, 32, v6
	v_sub_nc_u32_e64 v6, v6, 4 clamp
	s_delay_alu instid0(VALU_DEP_1) | instskip(NEXT) | instid1(VALU_DEP_1)
	v_dual_lshlrev_b32 v7, v6, v5 :: v_dual_lshlrev_b32 v6, 23, v6
	v_lshrrev_b32_e32 v7, 4, v7
	s_delay_alu instid0(VALU_DEP_1) | instskip(SKIP_1) | instid1(VALU_DEP_2)
	v_sub_nc_u32_e32 v6, v7, v6
	v_ashrrev_i32_e32 v7, 8, v10
	v_add_nc_u32_e32 v6, 0x3c000000, v6
	s_delay_alu instid0(VALU_DEP_1) | instskip(NEXT) | instid1(VALU_DEP_1)
	v_and_or_b32 v6, 0x7f800000, v7, v6
	v_cndmask_b32_e32 v5, 0, v6, vcc_lo
	s_delay_alu instid0(VALU_DEP_1) | instskip(NEXT) | instid1(VALU_DEP_1)
	v_and_or_b32 v4, 0x80000000, v4, v5
	v_cvt_f64_f32_e32 v[4:5], v4
.LBB142_1260:
	s_mov_b32 s43, 0
.LBB142_1261:
	s_delay_alu instid0(SALU_CYCLE_1)
	s_and_not1_b32 vcc_lo, exec_lo, s43
	s_cbranch_vccnz .LBB142_1263
; %bb.1262:
	global_load_u8 v4, v[8:9], off
	s_wait_loadcnt 0x0
	v_lshlrev_b32_e32 v5, 25, v4
	v_lshlrev_b16 v4, 8, v4
	s_delay_alu instid0(VALU_DEP_1) | instskip(SKIP_1) | instid1(VALU_DEP_2)
	v_and_or_b32 v7, 0x7f00, v4, 0.5
	v_bfe_i32 v4, v4, 0, 16
	v_dual_add_f32 v7, -0.5, v7 :: v_dual_lshrrev_b32 v6, 4, v5
	v_cmp_gt_u32_e32 vcc_lo, 0x8000000, v5
	s_delay_alu instid0(VALU_DEP_2) | instskip(NEXT) | instid1(VALU_DEP_1)
	v_or_b32_e32 v6, 0x70000000, v6
	v_mul_f32_e32 v6, 0x7800000, v6
	s_delay_alu instid0(VALU_DEP_1) | instskip(NEXT) | instid1(VALU_DEP_1)
	v_cndmask_b32_e32 v5, v6, v7, vcc_lo
	v_and_or_b32 v4, 0x80000000, v4, v5
	s_delay_alu instid0(VALU_DEP_1)
	v_cvt_f64_f32_e32 v[4:5], v4
.LBB142_1263:
	s_mov_b32 s44, 0
	s_mov_b32 s43, -1
.LBB142_1264:
	s_and_not1_b32 vcc_lo, exec_lo, s44
	s_cbranch_vccnz .LBB142_1275
; %bb.1265:
	s_cmp_gt_i32 s42, 14
	s_cbranch_scc0 .LBB142_1268
; %bb.1266:
	s_cmp_eq_u32 s42, 15
	s_cbranch_scc0 .LBB142_1269
; %bb.1267:
	global_load_u16 v4, v[8:9], off
	s_mov_b32 s43, -1
	s_mov_b32 s41, 0
	s_wait_loadcnt 0x0
	v_lshlrev_b32_e32 v4, 16, v4
	s_delay_alu instid0(VALU_DEP_1)
	v_cvt_f64_f32_e32 v[4:5], v4
	s_branch .LBB142_1270
.LBB142_1268:
	s_mov_b32 s44, -1
                                        ; implicit-def: $vgpr4_vgpr5
	s_branch .LBB142_1271
.LBB142_1269:
	s_mov_b32 s41, -1
                                        ; implicit-def: $vgpr4_vgpr5
.LBB142_1270:
	s_mov_b32 s44, 0
.LBB142_1271:
	s_delay_alu instid0(SALU_CYCLE_1)
	s_and_b32 vcc_lo, exec_lo, s44
	s_cbranch_vccz .LBB142_1275
; %bb.1272:
	s_cmp_eq_u32 s42, 11
	s_cbranch_scc0 .LBB142_1274
; %bb.1273:
	global_load_u8 v4, v[8:9], off
	s_mov_b32 s41, 0
	s_mov_b32 s43, -1
	v_mov_b64_e32 v[6:7], 0
	s_wait_loadcnt 0x0
	v_cmp_ne_u16_e32 vcc_lo, 0, v4
	v_mov_b32_e32 v4, 0
	v_cndmask_b32_e64 v5, 0, 0x3ff00000, vcc_lo
	s_branch .LBB142_1276
.LBB142_1274:
	s_mov_b32 s41, -1
                                        ; implicit-def: $vgpr4_vgpr5
.LBB142_1275:
	v_mov_b64_e32 v[6:7], 0
.LBB142_1276:
	s_mov_b32 s42, 0
.LBB142_1277:
	s_delay_alu instid0(SALU_CYCLE_1)
	s_and_b32 vcc_lo, exec_lo, s42
	s_cbranch_vccz .LBB142_1328
; %bb.1278:
	s_and_b32 s0, 0xffff, s0
	s_delay_alu instid0(SALU_CYCLE_1)
	s_cmp_lt_i32 s0, 5
	s_cbranch_scc1 .LBB142_1283
; %bb.1279:
	s_cmp_lt_i32 s0, 8
	s_cbranch_scc1 .LBB142_1284
; %bb.1280:
	;; [unrolled: 3-line block ×3, first 2 shown]
	s_cmp_gt_i32 s0, 9
	s_cbranch_scc0 .LBB142_1286
; %bb.1282:
	global_load_b128 v[4:7], v[8:9], off
	s_mov_b32 s42, 0
	s_branch .LBB142_1287
.LBB142_1283:
	s_mov_b32 s42, -1
                                        ; implicit-def: $vgpr6_vgpr7
	s_branch .LBB142_1306
.LBB142_1284:
	s_mov_b32 s42, -1
                                        ; implicit-def: $vgpr6_vgpr7
	s_branch .LBB142_1293
.LBB142_1285:
	s_mov_b32 s42, -1
                                        ; implicit-def: $vgpr6_vgpr7
	s_branch .LBB142_1290
.LBB142_1286:
	s_mov_b32 s42, -1
                                        ; implicit-def: $vgpr6_vgpr7
.LBB142_1287:
	s_delay_alu instid0(SALU_CYCLE_1)
	s_and_not1_b32 vcc_lo, exec_lo, s42
	s_cbranch_vccnz .LBB142_1289
; %bb.1288:
	s_wait_loadcnt 0x0
	global_load_b64 v[6:7], v[8:9], off
	s_wait_loadcnt 0x0
	v_cvt_f64_f32_e32 v[4:5], v6
	v_cvt_f64_f32_e32 v[6:7], v7
.LBB142_1289:
	s_mov_b32 s42, 0
.LBB142_1290:
	s_delay_alu instid0(SALU_CYCLE_1)
	s_and_not1_b32 vcc_lo, exec_lo, s42
	s_cbranch_vccnz .LBB142_1292
; %bb.1291:
	s_wait_loadcnt 0x0
	global_load_b32 v4, v[8:9], off
	s_wait_loadcnt 0x0
	v_lshrrev_b32_e32 v5, 16, v4
	v_cvt_f32_f16_e32 v4, v4
	s_delay_alu instid0(VALU_DEP_2) | instskip(NEXT) | instid1(VALU_DEP_2)
	v_cvt_f32_f16_e32 v6, v5
	v_cvt_f64_f32_e32 v[4:5], v4
	s_delay_alu instid0(VALU_DEP_2)
	v_cvt_f64_f32_e32 v[6:7], v6
.LBB142_1292:
	s_mov_b32 s42, 0
.LBB142_1293:
	s_delay_alu instid0(SALU_CYCLE_1)
	s_and_not1_b32 vcc_lo, exec_lo, s42
	s_cbranch_vccnz .LBB142_1305
; %bb.1294:
	s_cmp_lt_i32 s0, 6
	s_cbranch_scc1 .LBB142_1297
; %bb.1295:
	s_cmp_gt_i32 s0, 6
	s_cbranch_scc0 .LBB142_1298
; %bb.1296:
	s_wait_loadcnt 0x0
	global_load_b64 v[4:5], v[8:9], off
	s_mov_b32 s42, 0
	s_branch .LBB142_1299
.LBB142_1297:
	s_mov_b32 s42, -1
                                        ; implicit-def: $vgpr4_vgpr5
	s_branch .LBB142_1302
.LBB142_1298:
	s_mov_b32 s42, -1
                                        ; implicit-def: $vgpr4_vgpr5
.LBB142_1299:
	s_delay_alu instid0(SALU_CYCLE_1)
	s_and_not1_b32 vcc_lo, exec_lo, s42
	s_cbranch_vccnz .LBB142_1301
; %bb.1300:
	s_wait_loadcnt 0x0
	global_load_b32 v4, v[8:9], off
	s_wait_loadcnt 0x0
	v_cvt_f64_f32_e32 v[4:5], v4
.LBB142_1301:
	s_mov_b32 s42, 0
.LBB142_1302:
	s_delay_alu instid0(SALU_CYCLE_1)
	s_and_not1_b32 vcc_lo, exec_lo, s42
	s_cbranch_vccnz .LBB142_1304
; %bb.1303:
	s_wait_loadcnt 0x0
	global_load_u16 v4, v[8:9], off
	s_wait_loadcnt 0x0
	v_cvt_f32_f16_e32 v4, v4
	s_delay_alu instid0(VALU_DEP_1)
	v_cvt_f64_f32_e32 v[4:5], v4
.LBB142_1304:
	s_wait_loadcnt 0x0
	v_mov_b64_e32 v[6:7], 0
.LBB142_1305:
	s_mov_b32 s42, 0
.LBB142_1306:
	s_delay_alu instid0(SALU_CYCLE_1)
	s_and_not1_b32 vcc_lo, exec_lo, s42
	s_cbranch_vccnz .LBB142_1327
; %bb.1307:
	s_cmp_lt_i32 s0, 2
	s_cbranch_scc1 .LBB142_1311
; %bb.1308:
	s_cmp_lt_i32 s0, 3
	s_cbranch_scc1 .LBB142_1312
; %bb.1309:
	s_cmp_gt_i32 s0, 3
	s_cbranch_scc0 .LBB142_1313
; %bb.1310:
	s_wait_loadcnt 0x0
	global_load_b64 v[4:5], v[8:9], off
	s_mov_b32 s42, 0
	s_wait_loadcnt 0x0
	v_cvt_f64_i32_e32 v[6:7], v5
	v_cvt_f64_u32_e32 v[4:5], v4
	s_delay_alu instid0(VALU_DEP_2) | instskip(NEXT) | instid1(VALU_DEP_1)
	v_ldexp_f64 v[6:7], v[6:7], 32
	v_add_f64_e32 v[4:5], v[6:7], v[4:5]
	s_branch .LBB142_1314
.LBB142_1311:
	s_mov_b32 s42, -1
                                        ; implicit-def: $vgpr4_vgpr5
	s_branch .LBB142_1320
.LBB142_1312:
	s_mov_b32 s42, -1
                                        ; implicit-def: $vgpr4_vgpr5
	s_branch .LBB142_1317
.LBB142_1313:
	s_mov_b32 s42, -1
                                        ; implicit-def: $vgpr4_vgpr5
.LBB142_1314:
	s_delay_alu instid0(SALU_CYCLE_1)
	s_and_not1_b32 vcc_lo, exec_lo, s42
	s_cbranch_vccnz .LBB142_1316
; %bb.1315:
	s_wait_loadcnt 0x0
	global_load_b32 v4, v[8:9], off
	s_wait_loadcnt 0x0
	v_cvt_f64_i32_e32 v[4:5], v4
.LBB142_1316:
	s_mov_b32 s42, 0
.LBB142_1317:
	s_delay_alu instid0(SALU_CYCLE_1)
	s_and_not1_b32 vcc_lo, exec_lo, s42
	s_cbranch_vccnz .LBB142_1319
; %bb.1318:
	s_wait_loadcnt 0x0
	global_load_i16 v4, v[8:9], off
	s_wait_loadcnt 0x0
	v_cvt_f64_i32_e32 v[4:5], v4
.LBB142_1319:
	s_mov_b32 s42, 0
.LBB142_1320:
	s_delay_alu instid0(SALU_CYCLE_1)
	s_and_not1_b32 vcc_lo, exec_lo, s42
	s_cbranch_vccnz .LBB142_1326
; %bb.1321:
	s_cmp_gt_i32 s0, 0
	s_mov_b32 s0, 0
	s_cbranch_scc0 .LBB142_1323
; %bb.1322:
	s_wait_loadcnt 0x0
	global_load_i8 v4, v[8:9], off
	s_wait_loadcnt 0x0
	v_cvt_f64_i32_e32 v[4:5], v4
	s_branch .LBB142_1324
.LBB142_1323:
	s_mov_b32 s0, -1
                                        ; implicit-def: $vgpr4_vgpr5
.LBB142_1324:
	s_delay_alu instid0(SALU_CYCLE_1)
	s_and_not1_b32 vcc_lo, exec_lo, s0
	s_cbranch_vccnz .LBB142_1326
; %bb.1325:
	s_wait_loadcnt 0x0
	global_load_u8 v4, v[8:9], off
	s_wait_loadcnt 0x0
	v_cvt_f64_u32_e32 v[4:5], v4
.LBB142_1326:
	s_wait_loadcnt 0x0
	v_mov_b64_e32 v[6:7], 0
.LBB142_1327:
	s_mov_b32 s43, -1
.LBB142_1328:
	s_delay_alu instid0(SALU_CYCLE_1)
	s_and_not1_b32 vcc_lo, exec_lo, s43
	s_cbranch_vccnz .LBB142_1336
; %bb.1329:
	s_wait_xcnt 0x0
	v_mul_lo_u32 v8, v50, s23
	s_and_b32 s0, 0xffff, s1
	s_delay_alu instid0(SALU_CYCLE_1) | instskip(NEXT) | instid1(VALU_DEP_1)
	s_cmp_lt_i32 s0, 11
	v_ashrrev_i32_e32 v9, 31, v8
	s_delay_alu instid0(VALU_DEP_1)
	v_add_nc_u64_e32 v[12:13], s[10:11], v[8:9]
	s_cbranch_scc1 .LBB142_1337
; %bb.1330:
	s_cmp_gt_i32 s0, 25
	s_cbranch_scc0 .LBB142_1338
; %bb.1331:
	s_cmp_gt_i32 s0, 28
	s_cbranch_scc0 .LBB142_1339
; %bb.1332:
	s_cmp_gt_i32 s0, 43
	s_cbranch_scc0 .LBB142_1340
; %bb.1333:
	s_cmp_gt_i32 s0, 45
	s_cbranch_scc0 .LBB142_1345
; %bb.1334:
	s_cmp_eq_u32 s0, 46
	s_mov_b32 s44, 0
	s_cbranch_scc0 .LBB142_1350
; %bb.1335:
	global_load_b32 v8, v[12:13], off
	s_mov_b32 s43, -1
	s_mov_b32 s42, 0
	s_wait_loadcnt 0x0
	v_lshlrev_b32_e32 v9, 16, v8
	v_and_b32_e32 v10, 0xffff0000, v8
	s_delay_alu instid0(VALU_DEP_2) | instskip(NEXT) | instid1(VALU_DEP_2)
	v_cvt_f64_f32_e32 v[8:9], v9
	v_cvt_f64_f32_e32 v[10:11], v10
	s_branch .LBB142_1352
.LBB142_1336:
	s_mov_b32 s44, 0
	s_mov_b32 s0, s35
	;; [unrolled: 1-line block ×3, first 2 shown]
	s_branch .LBB142_1596
.LBB142_1337:
	s_mov_b32 s44, -1
	s_mov_b32 s43, 0
	s_mov_b32 s42, s36
                                        ; implicit-def: $vgpr10_vgpr11
	s_branch .LBB142_1416
.LBB142_1338:
	s_mov_b32 s44, -1
	s_mov_b32 s43, 0
	s_mov_b32 s42, s36
                                        ; implicit-def: $vgpr10_vgpr11
	s_branch .LBB142_1381
.LBB142_1339:
	s_mov_b32 s44, -1
	s_mov_b32 s43, 0
	s_mov_b32 s42, s36
                                        ; implicit-def: $vgpr10_vgpr11
	s_branch .LBB142_1364
.LBB142_1340:
	s_mov_b32 s44, -1
	s_mov_b32 s43, 0
	s_mov_b32 s42, s36
                                        ; implicit-def: $vgpr10_vgpr11
	s_branch .LBB142_1358
.LBB142_1341:
	s_mov_b32 s43, -1
	s_mov_b32 s45, exec_lo
	v_cmpx_eq_u16_e32 0x80, v6
; %bb.1342:
	s_xor_b32 s43, exec_lo, -1
; %bb.1343:
	s_or_b32 exec_lo, exec_lo, s45
	s_delay_alu instid0(SALU_CYCLE_1)
	s_and_b32 s43, s43, exec_lo
	s_or_saveexec_b32 s44, s44
	v_mov_b64_e32 v[4:5], 0x7ff8000020000000
	s_xor_b32 exec_lo, exec_lo, s44
	s_cbranch_execz .LBB142_1248
.LBB142_1344:
	v_cmp_ne_u16_e32 vcc_lo, 0, v6
	v_mov_b64_e32 v[4:5], 0
	s_and_not1_b32 s43, s43, exec_lo
	s_and_b32 s45, vcc_lo, exec_lo
	s_delay_alu instid0(SALU_CYCLE_1)
	s_or_b32 s43, s43, s45
	s_or_b32 exec_lo, exec_lo, s44
	s_and_saveexec_b32 s44, s43
	s_cbranch_execnz .LBB142_1249
	s_branch .LBB142_1250
.LBB142_1345:
	s_mov_b32 s44, -1
	s_mov_b32 s43, 0
	s_mov_b32 s42, s36
	s_branch .LBB142_1351
.LBB142_1346:
	v_bfe_u32 v7, v6, 21, 1
	s_mov_b32 s37, exec_lo
	s_delay_alu instid0(VALU_DEP_1) | instskip(NEXT) | instid1(VALU_DEP_1)
	v_add3_u32 v7, v6, v7, 0x88fffff
	v_lshrrev_b32_e32 v7, 21, v7
	s_and_not1_saveexec_b32 s38, s38
	s_cbranch_execz .LBB142_448
.LBB142_1347:
	v_add_f32_e64 v7, 0x42800000, |v6|
	s_and_not1_b32 s37, s37, exec_lo
	s_delay_alu instid0(VALU_DEP_1) | instskip(NEXT) | instid1(VALU_DEP_1)
	v_and_b32_e32 v7, 0xff, v7
	v_cmp_ne_u32_e32 vcc_lo, 0, v7
	s_and_b32 s39, vcc_lo, exec_lo
	s_delay_alu instid0(SALU_CYCLE_1)
	s_or_b32 s37, s37, s39
	s_or_b32 exec_lo, exec_lo, s38
	v_mov_b32_e32 v8, 0
	s_and_saveexec_b32 s38, s37
	s_cbranch_execnz .LBB142_449
	s_branch .LBB142_450
.LBB142_1348:
	v_bfe_u32 v7, v6, 20, 1
	s_mov_b32 s41, exec_lo
	s_delay_alu instid0(VALU_DEP_1) | instskip(NEXT) | instid1(VALU_DEP_1)
	v_add3_u32 v7, v6, v7, 0x487ffff
	v_lshrrev_b32_e32 v7, 20, v7
	s_and_not1_saveexec_b32 s42, s42
	s_cbranch_execz .LBB142_970
.LBB142_1349:
	v_add_f32_e64 v7, 0x46000000, |v6|
	s_and_not1_b32 s41, s41, exec_lo
	s_delay_alu instid0(VALU_DEP_1) | instskip(NEXT) | instid1(VALU_DEP_1)
	v_and_b32_e32 v7, 0xff, v7
	v_cmp_ne_u32_e32 vcc_lo, 0, v7
	s_and_b32 s43, vcc_lo, exec_lo
	s_delay_alu instid0(SALU_CYCLE_1)
	s_or_b32 s41, s41, s43
	s_or_b32 exec_lo, exec_lo, s42
	v_mov_b32_e32 v8, 0
	s_and_saveexec_b32 s42, s41
	s_cbranch_execnz .LBB142_971
	s_branch .LBB142_972
.LBB142_1350:
	s_mov_b32 s42, -1
	s_mov_b32 s43, 0
.LBB142_1351:
                                        ; implicit-def: $vgpr10_vgpr11
.LBB142_1352:
	s_and_b32 vcc_lo, exec_lo, s44
	s_cbranch_vccz .LBB142_1357
; %bb.1353:
	s_cmp_eq_u32 s0, 44
	s_cbranch_scc0 .LBB142_1355
; %bb.1354:
	global_load_u8 v10, v[12:13], off
	s_mov_b32 s42, 0
	s_mov_b32 s43, -1
	s_wait_loadcnt 0x0
	v_cmp_ne_u32_e32 vcc_lo, 0xff, v10
	v_lshlrev_b32_e32 v8, 23, v10
	s_delay_alu instid0(VALU_DEP_1) | instskip(NEXT) | instid1(VALU_DEP_1)
	v_cvt_f64_f32_e32 v[8:9], v8
	v_cndmask_b32_e32 v8, 0x20000000, v8, vcc_lo
	s_delay_alu instid0(VALU_DEP_2) | instskip(SKIP_1) | instid1(VALU_DEP_2)
	v_cndmask_b32_e32 v9, 0x7ff80000, v9, vcc_lo
	v_cmp_ne_u32_e32 vcc_lo, 0, v10
	v_cndmask_b32_e32 v9, 0x38000000, v9, vcc_lo
	s_delay_alu instid0(VALU_DEP_4)
	v_cndmask_b32_e32 v8, 0, v8, vcc_lo
	s_branch .LBB142_1356
.LBB142_1355:
	s_mov_b32 s42, -1
                                        ; implicit-def: $vgpr8_vgpr9
.LBB142_1356:
	v_mov_b64_e32 v[10:11], 0
.LBB142_1357:
	s_mov_b32 s44, 0
.LBB142_1358:
	s_delay_alu instid0(SALU_CYCLE_1)
	s_and_b32 vcc_lo, exec_lo, s44
	s_cbranch_vccz .LBB142_1363
; %bb.1359:
	s_cmp_eq_u32 s0, 29
	s_cbranch_scc0 .LBB142_1361
; %bb.1360:
	global_load_b64 v[8:9], v[12:13], off
	s_mov_b32 s43, -1
	s_mov_b32 s42, 0
	s_wait_loadcnt 0x0
	v_cvt_f64_u32_e32 v[10:11], v9
	v_cvt_f64_u32_e32 v[8:9], v8
	s_delay_alu instid0(VALU_DEP_2) | instskip(NEXT) | instid1(VALU_DEP_1)
	v_ldexp_f64 v[10:11], v[10:11], 32
	v_add_f64_e32 v[8:9], v[10:11], v[8:9]
	s_branch .LBB142_1362
.LBB142_1361:
	s_mov_b32 s42, -1
                                        ; implicit-def: $vgpr8_vgpr9
.LBB142_1362:
	v_mov_b64_e32 v[10:11], 0
.LBB142_1363:
	s_mov_b32 s44, 0
.LBB142_1364:
	s_delay_alu instid0(SALU_CYCLE_1)
	s_and_b32 vcc_lo, exec_lo, s44
	s_cbranch_vccz .LBB142_1380
; %bb.1365:
	s_cmp_lt_i32 s0, 27
	s_cbranch_scc1 .LBB142_1368
; %bb.1366:
	s_cmp_gt_i32 s0, 27
	s_cbranch_scc0 .LBB142_1369
; %bb.1367:
	global_load_b32 v8, v[12:13], off
	s_mov_b32 s43, 0
	s_wait_loadcnt 0x0
	v_cvt_f64_u32_e32 v[8:9], v8
	s_branch .LBB142_1370
.LBB142_1368:
	s_mov_b32 s43, -1
                                        ; implicit-def: $vgpr8_vgpr9
	s_branch .LBB142_1373
.LBB142_1369:
	s_mov_b32 s43, -1
                                        ; implicit-def: $vgpr8_vgpr9
.LBB142_1370:
	s_delay_alu instid0(SALU_CYCLE_1)
	s_and_not1_b32 vcc_lo, exec_lo, s43
	s_cbranch_vccnz .LBB142_1372
; %bb.1371:
	global_load_u16 v8, v[12:13], off
	s_wait_loadcnt 0x0
	v_cvt_f64_u32_e32 v[8:9], v8
.LBB142_1372:
	s_mov_b32 s43, 0
.LBB142_1373:
	s_delay_alu instid0(SALU_CYCLE_1)
	s_and_not1_b32 vcc_lo, exec_lo, s43
	s_cbranch_vccnz .LBB142_1379
; %bb.1374:
	global_load_u8 v10, v[12:13], off
	s_mov_b32 s43, 0
	s_mov_b32 s44, exec_lo
	s_wait_loadcnt 0x0
	v_cmpx_lt_i16_e32 0x7f, v10
	s_xor_b32 s44, exec_lo, s44
	s_cbranch_execnz .LBB142_1392
; %bb.1375:
	s_or_saveexec_b32 s44, s44
	v_mov_b64_e32 v[8:9], 0x7ff8000020000000
	s_xor_b32 exec_lo, exec_lo, s44
	s_cbranch_execnz .LBB142_1395
.LBB142_1376:
	s_or_b32 exec_lo, exec_lo, s44
	s_and_saveexec_b32 s44, s43
	s_cbranch_execz .LBB142_1378
.LBB142_1377:
	v_and_b32_e32 v8, 0xffff, v10
	s_delay_alu instid0(VALU_DEP_1) | instskip(SKIP_1) | instid1(VALU_DEP_2)
	v_and_b32_e32 v9, 7, v8
	v_bfe_u32 v15, v8, 3, 4
	v_clz_i32_u32_e32 v11, v9
	s_delay_alu instid0(VALU_DEP_2) | instskip(NEXT) | instid1(VALU_DEP_2)
	v_cmp_eq_u32_e32 vcc_lo, 0, v15
	v_min_u32_e32 v11, 32, v11
	s_delay_alu instid0(VALU_DEP_1) | instskip(NEXT) | instid1(VALU_DEP_1)
	v_subrev_nc_u32_e32 v14, 28, v11
	v_dual_lshlrev_b32 v8, v14, v8 :: v_dual_sub_nc_u32 v11, 29, v11
	s_delay_alu instid0(VALU_DEP_1) | instskip(NEXT) | instid1(VALU_DEP_1)
	v_dual_lshlrev_b32 v10, 24, v10 :: v_dual_bitop2_b32 v8, 7, v8 bitop3:0x40
	v_dual_cndmask_b32 v11, v15, v11 :: v_dual_cndmask_b32 v8, v9, v8
	s_delay_alu instid0(VALU_DEP_2) | instskip(NEXT) | instid1(VALU_DEP_2)
	v_and_b32_e32 v9, 0x80000000, v10
	v_lshl_add_u32 v10, v11, 23, 0x3b800000
	s_delay_alu instid0(VALU_DEP_3) | instskip(NEXT) | instid1(VALU_DEP_1)
	v_lshlrev_b32_e32 v8, 20, v8
	v_or3_b32 v8, v9, v10, v8
	s_delay_alu instid0(VALU_DEP_1)
	v_cvt_f64_f32_e32 v[8:9], v8
.LBB142_1378:
	s_or_b32 exec_lo, exec_lo, s44
.LBB142_1379:
	v_mov_b64_e32 v[10:11], 0
	s_mov_b32 s43, -1
.LBB142_1380:
	s_mov_b32 s44, 0
.LBB142_1381:
	s_delay_alu instid0(SALU_CYCLE_1)
	s_and_b32 vcc_lo, exec_lo, s44
	s_cbranch_vccz .LBB142_1415
; %bb.1382:
	s_cmp_gt_i32 s0, 22
	s_cbranch_scc0 .LBB142_1390
; %bb.1383:
	s_cmp_lt_i32 s0, 24
	s_cbranch_scc1 .LBB142_1391
; %bb.1384:
	s_cmp_gt_i32 s0, 24
	s_cbranch_scc0 .LBB142_1396
; %bb.1385:
	global_load_u8 v10, v[12:13], off
	s_mov_b32 s43, 0
	s_mov_b32 s44, exec_lo
	s_wait_loadcnt 0x0
	v_cmpx_lt_i16_e32 0x7f, v10
	s_xor_b32 s44, exec_lo, s44
	s_cbranch_execnz .LBB142_1480
; %bb.1386:
	s_or_saveexec_b32 s44, s44
	v_mov_b64_e32 v[8:9], 0x7ff8000020000000
	s_xor_b32 exec_lo, exec_lo, s44
	s_cbranch_execnz .LBB142_1483
.LBB142_1387:
	s_or_b32 exec_lo, exec_lo, s44
	s_and_saveexec_b32 s44, s43
	s_cbranch_execz .LBB142_1389
.LBB142_1388:
	v_and_b32_e32 v8, 0xffff, v10
	s_delay_alu instid0(VALU_DEP_1) | instskip(SKIP_1) | instid1(VALU_DEP_2)
	v_and_b32_e32 v9, 3, v8
	v_bfe_u32 v15, v8, 2, 5
	v_clz_i32_u32_e32 v11, v9
	s_delay_alu instid0(VALU_DEP_2) | instskip(NEXT) | instid1(VALU_DEP_2)
	v_cmp_eq_u32_e32 vcc_lo, 0, v15
	v_min_u32_e32 v11, 32, v11
	s_delay_alu instid0(VALU_DEP_1) | instskip(NEXT) | instid1(VALU_DEP_1)
	v_subrev_nc_u32_e32 v14, 29, v11
	v_dual_lshlrev_b32 v8, v14, v8 :: v_dual_sub_nc_u32 v11, 30, v11
	s_delay_alu instid0(VALU_DEP_1) | instskip(NEXT) | instid1(VALU_DEP_1)
	v_dual_lshlrev_b32 v10, 24, v10 :: v_dual_bitop2_b32 v8, 3, v8 bitop3:0x40
	v_dual_cndmask_b32 v11, v15, v11 :: v_dual_cndmask_b32 v8, v9, v8
	s_delay_alu instid0(VALU_DEP_2) | instskip(NEXT) | instid1(VALU_DEP_2)
	v_and_b32_e32 v9, 0x80000000, v10
	v_lshl_add_u32 v10, v11, 23, 0x37800000
	s_delay_alu instid0(VALU_DEP_3) | instskip(NEXT) | instid1(VALU_DEP_1)
	v_lshlrev_b32_e32 v8, 21, v8
	v_or3_b32 v8, v9, v10, v8
	s_delay_alu instid0(VALU_DEP_1)
	v_cvt_f64_f32_e32 v[8:9], v8
.LBB142_1389:
	s_or_b32 exec_lo, exec_lo, s44
	s_mov_b32 s43, 0
	s_branch .LBB142_1397
.LBB142_1390:
	s_mov_b32 s44, -1
                                        ; implicit-def: $vgpr8_vgpr9
	s_branch .LBB142_1403
.LBB142_1391:
	s_mov_b32 s43, -1
                                        ; implicit-def: $vgpr8_vgpr9
	s_branch .LBB142_1400
.LBB142_1392:
	s_mov_b32 s43, -1
	s_mov_b32 s45, exec_lo
	v_cmpx_eq_u16_e32 0x80, v10
; %bb.1393:
	s_xor_b32 s43, exec_lo, -1
; %bb.1394:
	s_or_b32 exec_lo, exec_lo, s45
	s_delay_alu instid0(SALU_CYCLE_1)
	s_and_b32 s43, s43, exec_lo
	s_or_saveexec_b32 s44, s44
	v_mov_b64_e32 v[8:9], 0x7ff8000020000000
	s_xor_b32 exec_lo, exec_lo, s44
	s_cbranch_execz .LBB142_1376
.LBB142_1395:
	v_cmp_ne_u16_e32 vcc_lo, 0, v10
	v_mov_b64_e32 v[8:9], 0
	s_and_not1_b32 s43, s43, exec_lo
	s_and_b32 s45, vcc_lo, exec_lo
	s_delay_alu instid0(SALU_CYCLE_1)
	s_or_b32 s43, s43, s45
	s_or_b32 exec_lo, exec_lo, s44
	s_and_saveexec_b32 s44, s43
	s_cbranch_execnz .LBB142_1377
	s_branch .LBB142_1378
.LBB142_1396:
	s_mov_b32 s43, -1
                                        ; implicit-def: $vgpr8_vgpr9
.LBB142_1397:
	s_delay_alu instid0(SALU_CYCLE_1)
	s_and_b32 vcc_lo, exec_lo, s43
	s_cbranch_vccz .LBB142_1399
; %bb.1398:
	global_load_u8 v8, v[12:13], off
	s_wait_loadcnt 0x0
	v_lshlrev_b32_e32 v8, 24, v8
	s_delay_alu instid0(VALU_DEP_1) | instskip(NEXT) | instid1(VALU_DEP_1)
	v_and_b32_e32 v9, 0x7f000000, v8
	v_clz_i32_u32_e32 v10, v9
	v_cmp_ne_u32_e32 vcc_lo, 0, v9
	v_add_nc_u32_e32 v14, 0x1000000, v9
	s_delay_alu instid0(VALU_DEP_3) | instskip(NEXT) | instid1(VALU_DEP_1)
	v_min_u32_e32 v10, 32, v10
	v_sub_nc_u32_e64 v10, v10, 4 clamp
	s_delay_alu instid0(VALU_DEP_1) | instskip(NEXT) | instid1(VALU_DEP_1)
	v_dual_lshlrev_b32 v11, v10, v9 :: v_dual_lshlrev_b32 v10, 23, v10
	v_lshrrev_b32_e32 v11, 4, v11
	s_delay_alu instid0(VALU_DEP_1) | instskip(SKIP_1) | instid1(VALU_DEP_2)
	v_sub_nc_u32_e32 v10, v11, v10
	v_ashrrev_i32_e32 v11, 8, v14
	v_add_nc_u32_e32 v10, 0x3c000000, v10
	s_delay_alu instid0(VALU_DEP_1) | instskip(NEXT) | instid1(VALU_DEP_1)
	v_and_or_b32 v10, 0x7f800000, v11, v10
	v_cndmask_b32_e32 v9, 0, v10, vcc_lo
	s_delay_alu instid0(VALU_DEP_1) | instskip(NEXT) | instid1(VALU_DEP_1)
	v_and_or_b32 v8, 0x80000000, v8, v9
	v_cvt_f64_f32_e32 v[8:9], v8
.LBB142_1399:
	s_mov_b32 s43, 0
.LBB142_1400:
	s_delay_alu instid0(SALU_CYCLE_1)
	s_and_not1_b32 vcc_lo, exec_lo, s43
	s_cbranch_vccnz .LBB142_1402
; %bb.1401:
	global_load_u8 v8, v[12:13], off
	s_wait_loadcnt 0x0
	v_lshlrev_b32_e32 v9, 25, v8
	v_lshlrev_b16 v8, 8, v8
	s_delay_alu instid0(VALU_DEP_1) | instskip(SKIP_1) | instid1(VALU_DEP_2)
	v_and_or_b32 v11, 0x7f00, v8, 0.5
	v_bfe_i32 v8, v8, 0, 16
	v_dual_add_f32 v11, -0.5, v11 :: v_dual_lshrrev_b32 v10, 4, v9
	v_cmp_gt_u32_e32 vcc_lo, 0x8000000, v9
	s_delay_alu instid0(VALU_DEP_2) | instskip(NEXT) | instid1(VALU_DEP_1)
	v_or_b32_e32 v10, 0x70000000, v10
	v_mul_f32_e32 v10, 0x7800000, v10
	s_delay_alu instid0(VALU_DEP_1) | instskip(NEXT) | instid1(VALU_DEP_1)
	v_cndmask_b32_e32 v9, v10, v11, vcc_lo
	v_and_or_b32 v8, 0x80000000, v8, v9
	s_delay_alu instid0(VALU_DEP_1)
	v_cvt_f64_f32_e32 v[8:9], v8
.LBB142_1402:
	s_mov_b32 s44, 0
	s_mov_b32 s43, -1
.LBB142_1403:
	s_and_not1_b32 vcc_lo, exec_lo, s44
	s_cbranch_vccnz .LBB142_1414
; %bb.1404:
	s_cmp_gt_i32 s0, 14
	s_cbranch_scc0 .LBB142_1407
; %bb.1405:
	s_cmp_eq_u32 s0, 15
	s_cbranch_scc0 .LBB142_1408
; %bb.1406:
	global_load_u16 v8, v[12:13], off
	s_mov_b32 s43, -1
	s_mov_b32 s42, 0
	s_wait_loadcnt 0x0
	v_lshlrev_b32_e32 v8, 16, v8
	s_delay_alu instid0(VALU_DEP_1)
	v_cvt_f64_f32_e32 v[8:9], v8
	s_branch .LBB142_1409
.LBB142_1407:
	s_mov_b32 s44, -1
                                        ; implicit-def: $vgpr8_vgpr9
	s_branch .LBB142_1410
.LBB142_1408:
	s_mov_b32 s42, -1
                                        ; implicit-def: $vgpr8_vgpr9
.LBB142_1409:
	s_mov_b32 s44, 0
.LBB142_1410:
	s_delay_alu instid0(SALU_CYCLE_1)
	s_and_b32 vcc_lo, exec_lo, s44
	s_cbranch_vccz .LBB142_1414
; %bb.1411:
	s_cmp_eq_u32 s0, 11
	s_cbranch_scc0 .LBB142_1413
; %bb.1412:
	global_load_u8 v8, v[12:13], off
	s_mov_b32 s42, 0
	s_mov_b32 s43, -1
	v_mov_b64_e32 v[10:11], 0
	s_wait_loadcnt 0x0
	v_cmp_ne_u16_e32 vcc_lo, 0, v8
	v_mov_b32_e32 v8, 0
	v_cndmask_b32_e64 v9, 0, 0x3ff00000, vcc_lo
	s_branch .LBB142_1415
.LBB142_1413:
	s_mov_b32 s42, -1
                                        ; implicit-def: $vgpr8_vgpr9
.LBB142_1414:
	v_mov_b64_e32 v[10:11], 0
.LBB142_1415:
	s_mov_b32 s44, 0
.LBB142_1416:
	s_delay_alu instid0(SALU_CYCLE_1)
	s_and_b32 vcc_lo, exec_lo, s44
	s_cbranch_vccz .LBB142_1467
; %bb.1417:
	s_cmp_lt_i32 s0, 5
	s_cbranch_scc1 .LBB142_1422
; %bb.1418:
	s_cmp_lt_i32 s0, 8
	s_cbranch_scc1 .LBB142_1423
	;; [unrolled: 3-line block ×3, first 2 shown]
; %bb.1420:
	s_cmp_gt_i32 s0, 9
	s_cbranch_scc0 .LBB142_1425
; %bb.1421:
	global_load_b128 v[8:11], v[12:13], off
	s_mov_b32 s43, 0
	s_branch .LBB142_1426
.LBB142_1422:
	s_mov_b32 s43, -1
                                        ; implicit-def: $vgpr10_vgpr11
	s_branch .LBB142_1445
.LBB142_1423:
	s_mov_b32 s43, -1
                                        ; implicit-def: $vgpr10_vgpr11
	s_branch .LBB142_1432
.LBB142_1424:
	s_mov_b32 s43, -1
                                        ; implicit-def: $vgpr10_vgpr11
	s_branch .LBB142_1429
.LBB142_1425:
	s_mov_b32 s43, -1
                                        ; implicit-def: $vgpr10_vgpr11
.LBB142_1426:
	s_delay_alu instid0(SALU_CYCLE_1)
	s_and_not1_b32 vcc_lo, exec_lo, s43
	s_cbranch_vccnz .LBB142_1428
; %bb.1427:
	s_wait_loadcnt 0x0
	global_load_b64 v[10:11], v[12:13], off
	s_wait_loadcnt 0x0
	v_cvt_f64_f32_e32 v[8:9], v10
	v_cvt_f64_f32_e32 v[10:11], v11
.LBB142_1428:
	s_mov_b32 s43, 0
.LBB142_1429:
	s_delay_alu instid0(SALU_CYCLE_1)
	s_and_not1_b32 vcc_lo, exec_lo, s43
	s_cbranch_vccnz .LBB142_1431
; %bb.1430:
	s_wait_loadcnt 0x0
	global_load_b32 v8, v[12:13], off
	s_wait_loadcnt 0x0
	v_lshrrev_b32_e32 v9, 16, v8
	v_cvt_f32_f16_e32 v8, v8
	s_delay_alu instid0(VALU_DEP_2) | instskip(NEXT) | instid1(VALU_DEP_2)
	v_cvt_f32_f16_e32 v10, v9
	v_cvt_f64_f32_e32 v[8:9], v8
	s_delay_alu instid0(VALU_DEP_2)
	v_cvt_f64_f32_e32 v[10:11], v10
.LBB142_1431:
	s_mov_b32 s43, 0
.LBB142_1432:
	s_delay_alu instid0(SALU_CYCLE_1)
	s_and_not1_b32 vcc_lo, exec_lo, s43
	s_cbranch_vccnz .LBB142_1444
; %bb.1433:
	s_cmp_lt_i32 s0, 6
	s_cbranch_scc1 .LBB142_1436
; %bb.1434:
	s_cmp_gt_i32 s0, 6
	s_cbranch_scc0 .LBB142_1437
; %bb.1435:
	s_wait_loadcnt 0x0
	global_load_b64 v[8:9], v[12:13], off
	s_mov_b32 s43, 0
	s_branch .LBB142_1438
.LBB142_1436:
	s_mov_b32 s43, -1
                                        ; implicit-def: $vgpr8_vgpr9
	s_branch .LBB142_1441
.LBB142_1437:
	s_mov_b32 s43, -1
                                        ; implicit-def: $vgpr8_vgpr9
.LBB142_1438:
	s_delay_alu instid0(SALU_CYCLE_1)
	s_and_not1_b32 vcc_lo, exec_lo, s43
	s_cbranch_vccnz .LBB142_1440
; %bb.1439:
	s_wait_loadcnt 0x0
	global_load_b32 v8, v[12:13], off
	s_wait_loadcnt 0x0
	v_cvt_f64_f32_e32 v[8:9], v8
.LBB142_1440:
	s_mov_b32 s43, 0
.LBB142_1441:
	s_delay_alu instid0(SALU_CYCLE_1)
	s_and_not1_b32 vcc_lo, exec_lo, s43
	s_cbranch_vccnz .LBB142_1443
; %bb.1442:
	s_wait_loadcnt 0x0
	global_load_u16 v8, v[12:13], off
	s_wait_loadcnt 0x0
	v_cvt_f32_f16_e32 v8, v8
	s_delay_alu instid0(VALU_DEP_1)
	v_cvt_f64_f32_e32 v[8:9], v8
.LBB142_1443:
	s_wait_loadcnt 0x0
	v_mov_b64_e32 v[10:11], 0
.LBB142_1444:
	s_mov_b32 s43, 0
.LBB142_1445:
	s_delay_alu instid0(SALU_CYCLE_1)
	s_and_not1_b32 vcc_lo, exec_lo, s43
	s_cbranch_vccnz .LBB142_1466
; %bb.1446:
	s_cmp_lt_i32 s0, 2
	s_cbranch_scc1 .LBB142_1450
; %bb.1447:
	s_cmp_lt_i32 s0, 3
	s_cbranch_scc1 .LBB142_1451
; %bb.1448:
	s_cmp_gt_i32 s0, 3
	s_cbranch_scc0 .LBB142_1452
; %bb.1449:
	s_wait_loadcnt 0x0
	global_load_b64 v[8:9], v[12:13], off
	s_mov_b32 s43, 0
	s_wait_loadcnt 0x0
	v_cvt_f64_i32_e32 v[10:11], v9
	v_cvt_f64_u32_e32 v[8:9], v8
	s_delay_alu instid0(VALU_DEP_2) | instskip(NEXT) | instid1(VALU_DEP_1)
	v_ldexp_f64 v[10:11], v[10:11], 32
	v_add_f64_e32 v[8:9], v[10:11], v[8:9]
	s_branch .LBB142_1453
.LBB142_1450:
	s_mov_b32 s43, -1
                                        ; implicit-def: $vgpr8_vgpr9
	s_branch .LBB142_1459
.LBB142_1451:
	s_mov_b32 s43, -1
                                        ; implicit-def: $vgpr8_vgpr9
	s_branch .LBB142_1456
.LBB142_1452:
	s_mov_b32 s43, -1
                                        ; implicit-def: $vgpr8_vgpr9
.LBB142_1453:
	s_delay_alu instid0(SALU_CYCLE_1)
	s_and_not1_b32 vcc_lo, exec_lo, s43
	s_cbranch_vccnz .LBB142_1455
; %bb.1454:
	s_wait_loadcnt 0x0
	global_load_b32 v8, v[12:13], off
	s_wait_loadcnt 0x0
	v_cvt_f64_i32_e32 v[8:9], v8
.LBB142_1455:
	s_mov_b32 s43, 0
.LBB142_1456:
	s_delay_alu instid0(SALU_CYCLE_1)
	s_and_not1_b32 vcc_lo, exec_lo, s43
	s_cbranch_vccnz .LBB142_1458
; %bb.1457:
	s_wait_loadcnt 0x0
	global_load_i16 v8, v[12:13], off
	s_wait_loadcnt 0x0
	v_cvt_f64_i32_e32 v[8:9], v8
.LBB142_1458:
	s_mov_b32 s43, 0
.LBB142_1459:
	s_delay_alu instid0(SALU_CYCLE_1)
	s_and_not1_b32 vcc_lo, exec_lo, s43
	s_cbranch_vccnz .LBB142_1465
; %bb.1460:
	s_cmp_gt_i32 s0, 0
	s_mov_b32 s0, 0
	s_cbranch_scc0 .LBB142_1462
; %bb.1461:
	s_wait_loadcnt 0x0
	global_load_i8 v8, v[12:13], off
	s_wait_loadcnt 0x0
	v_cvt_f64_i32_e32 v[8:9], v8
	s_branch .LBB142_1463
.LBB142_1462:
	s_mov_b32 s0, -1
                                        ; implicit-def: $vgpr8_vgpr9
.LBB142_1463:
	s_delay_alu instid0(SALU_CYCLE_1)
	s_and_not1_b32 vcc_lo, exec_lo, s0
	s_cbranch_vccnz .LBB142_1465
; %bb.1464:
	s_wait_loadcnt 0x0
	global_load_u8 v8, v[12:13], off
	s_wait_loadcnt 0x0
	v_cvt_f64_u32_e32 v[8:9], v8
.LBB142_1465:
	s_wait_loadcnt 0x0
	v_mov_b64_e32 v[10:11], 0
.LBB142_1466:
	s_mov_b32 s43, -1
.LBB142_1467:
	s_delay_alu instid0(SALU_CYCLE_1)
	s_and_not1_b32 vcc_lo, exec_lo, s43
	s_cbranch_vccnz .LBB142_1475
; %bb.1468:
	s_wait_loadcnt 0x0
	s_delay_alu instid0(VALU_DEP_4) | instskip(SKIP_2) | instid1(SALU_CYCLE_1)
	v_mul_f64_e32 v[12:13], s[16:17], v[6:7]
	v_mul_f64_e32 v[6:7], s[18:19], v[6:7]
	s_and_b32 s43, s2, 0xff
	s_cmp_lt_i32 s43, 11
	s_delay_alu instid0(VALU_DEP_2) | instskip(NEXT) | instid1(VALU_DEP_2)
	v_fmac_f64_e32 v[12:13], s[18:19], v[4:5]
	v_fma_f64 v[4:5], s[16:17], v[4:5], -v[6:7]
	v_mul_f64_e32 v[6:7], s[14:15], v[2:3]
	v_mul_f64_e32 v[2:3], s[12:13], v[2:3]
	s_delay_alu instid0(VALU_DEP_4) | instskip(NEXT) | instid1(VALU_DEP_4)
	v_mul_f64_e32 v[14:15], v[12:13], v[10:11]
	v_mul_f64_e32 v[10:11], v[4:5], v[10:11]
	s_delay_alu instid0(VALU_DEP_4) | instskip(NEXT) | instid1(VALU_DEP_4)
	v_fma_f64 v[6:7], s[12:13], v[0:1], -v[6:7]
	v_fmac_f64_e32 v[2:3], s[14:15], v[0:1]
	s_delay_alu instid0(VALU_DEP_4) | instskip(NEXT) | instid1(VALU_DEP_4)
	v_fma_f64 v[0:1], v[4:5], v[8:9], -v[14:15]
	v_fmac_f64_e32 v[10:11], v[12:13], v[8:9]
	v_mul_lo_u32 v4, v50, s20
	s_delay_alu instid0(VALU_DEP_1) | instskip(NEXT) | instid1(VALU_DEP_1)
	v_ashrrev_i32_e32 v5, 31, v4
	v_add_nc_u64_e32 v[4:5], s[4:5], v[4:5]
	v_add_f64_e32 v[0:1], v[6:7], v[0:1]
	v_add_f64_e32 v[2:3], v[2:3], v[10:11]
	s_cbranch_scc1 .LBB142_1476
; %bb.1469:
	s_and_b32 s44, 0xffff, s43
	s_delay_alu instid0(SALU_CYCLE_1)
	s_cmp_gt_i32 s44, 25
	s_cbranch_scc0 .LBB142_1477
; %bb.1470:
	s_cmp_gt_i32 s44, 28
	s_cbranch_scc0 .LBB142_1478
; %bb.1471:
	;; [unrolled: 3-line block ×4, first 2 shown]
	s_mov_b32 s46, 0
	s_mov_b32 s0, -1
	s_cmp_eq_u32 s44, 46
	s_mov_b32 s45, 0
	s_cbranch_scc0 .LBB142_1485
; %bb.1474:
	s_delay_alu instid0(VALU_DEP_1) | instskip(NEXT) | instid1(VALU_DEP_3)
	v_cvt_f32_f64_e32 v6, v[2:3]
	v_cvt_f32_f64_e32 v7, v[0:1]
	s_mov_b32 s45, -1
	s_mov_b32 s0, 0
	s_delay_alu instid0(VALU_DEP_2) | instskip(NEXT) | instid1(VALU_DEP_2)
	v_bfe_u32 v8, v6, 16, 1
	v_bfe_u32 v9, v7, 16, 1
	v_cmp_o_f32_e32 vcc_lo, v6, v6
	s_delay_alu instid0(VALU_DEP_3) | instskip(NEXT) | instid1(VALU_DEP_3)
	v_add3_u32 v8, v6, v8, 0x7fff
	v_add3_u32 v9, v7, v9, 0x7fff
	s_delay_alu instid0(VALU_DEP_2) | instskip(NEXT) | instid1(VALU_DEP_1)
	v_and_b32_e32 v8, 0xffff0000, v8
	v_dual_cndmask_b32 v6, 0x7fc00000, v8 :: v_dual_lshrrev_b32 v9, 16, v9
	v_cmp_o_f32_e32 vcc_lo, v7, v7
	s_delay_alu instid0(VALU_DEP_2) | instskip(NEXT) | instid1(VALU_DEP_1)
	v_cndmask_b32_e32 v7, 0x7fc0, v9, vcc_lo
	v_or_b32_e32 v6, v6, v7
	global_store_b32 v[4:5], v6, off
	s_branch .LBB142_1485
.LBB142_1475:
	s_mov_b32 s44, 0
	s_mov_b32 s0, s35
	s_branch .LBB142_1596
.LBB142_1476:
	s_mov_b32 s44, -1
	s_mov_b32 s45, 0
	s_mov_b32 s0, s35
	s_branch .LBB142_1554
.LBB142_1477:
	s_mov_b32 s46, -1
	s_mov_b32 s45, 0
	s_mov_b32 s0, s35
	s_branch .LBB142_1512
.LBB142_1478:
	s_mov_b32 s46, -1
	s_mov_b32 s45, 0
	s_mov_b32 s0, s35
	s_branch .LBB142_1495
.LBB142_1479:
	s_mov_b32 s46, -1
	s_mov_b32 s45, 0
	s_mov_b32 s0, s35
	s_branch .LBB142_1491
.LBB142_1480:
	s_mov_b32 s43, -1
	s_mov_b32 s45, exec_lo
	v_cmpx_eq_u16_e32 0x80, v10
; %bb.1481:
	s_xor_b32 s43, exec_lo, -1
; %bb.1482:
	s_or_b32 exec_lo, exec_lo, s45
	s_delay_alu instid0(SALU_CYCLE_1)
	s_and_b32 s43, s43, exec_lo
	s_or_saveexec_b32 s44, s44
	v_mov_b64_e32 v[8:9], 0x7ff8000020000000
	s_xor_b32 exec_lo, exec_lo, s44
	s_cbranch_execz .LBB142_1387
.LBB142_1483:
	v_cmp_ne_u16_e32 vcc_lo, 0, v10
	v_mov_b64_e32 v[8:9], 0
	s_and_not1_b32 s43, s43, exec_lo
	s_and_b32 s45, vcc_lo, exec_lo
	s_delay_alu instid0(SALU_CYCLE_1)
	s_or_b32 s43, s43, s45
	s_or_b32 exec_lo, exec_lo, s44
	s_and_saveexec_b32 s44, s43
	s_cbranch_execnz .LBB142_1388
	s_branch .LBB142_1389
.LBB142_1484:
	s_mov_b32 s46, -1
	s_mov_b32 s45, 0
	s_mov_b32 s0, s35
.LBB142_1485:
	s_and_b32 vcc_lo, exec_lo, s46
	s_cbranch_vccz .LBB142_1490
; %bb.1486:
	s_cmp_eq_u32 s44, 44
	s_mov_b32 s0, -1
	s_cbranch_scc0 .LBB142_1490
; %bb.1487:
	s_wait_xcnt 0x0
	s_delay_alu instid0(VALU_DEP_2) | instskip(SKIP_2) | instid1(VALU_DEP_2)
	v_cvt_f32_f64_e32 v6, v[0:1]
	v_mov_b32_e32 v7, 0xff
	s_mov_b32 s45, exec_lo
	v_bfe_u32 v8, v6, 23, 8
	s_delay_alu instid0(VALU_DEP_1)
	v_cmpx_ne_u32_e32 0xff, v8
	s_cbranch_execz .LBB142_1489
; %bb.1488:
	v_and_b32_e32 v7, 0x400000, v6
	v_and_or_b32 v8, 0x3fffff, v6, v8
	v_lshrrev_b32_e32 v6, 23, v6
	s_delay_alu instid0(VALU_DEP_3) | instskip(NEXT) | instid1(VALU_DEP_3)
	v_cmp_ne_u32_e32 vcc_lo, 0, v7
	v_cmp_ne_u32_e64 s0, 0, v8
	s_and_b32 s0, vcc_lo, s0
	s_delay_alu instid0(SALU_CYCLE_1) | instskip(NEXT) | instid1(VALU_DEP_1)
	v_cndmask_b32_e64 v7, 0, 1, s0
	v_add_nc_u32_e32 v7, v6, v7
.LBB142_1489:
	s_or_b32 exec_lo, exec_lo, s45
	s_mov_b32 s45, -1
	s_mov_b32 s0, 0
	global_store_b8 v[4:5], v7, off
.LBB142_1490:
	s_mov_b32 s46, 0
.LBB142_1491:
	s_delay_alu instid0(SALU_CYCLE_1)
	s_and_b32 vcc_lo, exec_lo, s46
	s_cbranch_vccz .LBB142_1494
; %bb.1492:
	s_cmp_eq_u32 s44, 29
	s_mov_b32 s0, -1
	s_cbranch_scc0 .LBB142_1494
; %bb.1493:
	s_wait_xcnt 0x0
	s_delay_alu instid0(VALU_DEP_2) | instskip(SKIP_3) | instid1(VALU_DEP_1)
	v_trunc_f64_e32 v[6:7], v[0:1]
	s_mov_b32 s45, -1
	s_mov_b32 s0, 0
	s_mov_b32 s46, 0
	v_ldexp_f64 v[8:9], v[6:7], 0xffffffe0
	s_delay_alu instid0(VALU_DEP_1) | instskip(NEXT) | instid1(VALU_DEP_1)
	v_floor_f64_e32 v[8:9], v[8:9]
	v_fmamk_f64 v[6:7], v[8:9], 0xc1f00000, v[6:7]
	v_cvt_u32_f64_e32 v9, v[8:9]
	s_delay_alu instid0(VALU_DEP_2)
	v_cvt_u32_f64_e32 v8, v[6:7]
	global_store_b64 v[4:5], v[8:9], off
	s_branch .LBB142_1495
.LBB142_1494:
	s_mov_b32 s46, 0
.LBB142_1495:
	s_delay_alu instid0(SALU_CYCLE_1)
	s_and_b32 vcc_lo, exec_lo, s46
	s_cbranch_vccz .LBB142_1511
; %bb.1496:
	s_cmp_lt_i32 s44, 27
	s_mov_b32 s45, -1
	s_cbranch_scc1 .LBB142_1502
; %bb.1497:
	s_wait_xcnt 0x0
	s_delay_alu instid0(VALU_DEP_2)
	v_cvt_u32_f64_e32 v6, v[0:1]
	s_cmp_gt_i32 s44, 27
	s_cbranch_scc0 .LBB142_1499
; %bb.1498:
	s_mov_b32 s45, 0
	global_store_b32 v[4:5], v6, off
.LBB142_1499:
	s_and_not1_b32 vcc_lo, exec_lo, s45
	s_cbranch_vccnz .LBB142_1501
; %bb.1500:
	global_store_b16 v[4:5], v6, off
.LBB142_1501:
	s_mov_b32 s45, 0
.LBB142_1502:
	s_delay_alu instid0(SALU_CYCLE_1)
	s_and_not1_b32 vcc_lo, exec_lo, s45
	s_cbranch_vccnz .LBB142_1510
; %bb.1503:
	s_wait_xcnt 0x0
	s_delay_alu instid0(VALU_DEP_2) | instskip(SKIP_2) | instid1(VALU_DEP_2)
	v_cvt_f32_f64_e32 v6, v[0:1]
	v_mov_b32_e32 v8, 0x80
	s_mov_b32 s45, exec_lo
	v_and_b32_e32 v7, 0x7fffffff, v6
	s_delay_alu instid0(VALU_DEP_1)
	v_cmpx_gt_u32_e32 0x43800000, v7
	s_cbranch_execz .LBB142_1509
; %bb.1504:
	v_cmp_lt_u32_e32 vcc_lo, 0x3bffffff, v7
	s_mov_b32 s46, 0
                                        ; implicit-def: $vgpr7
	s_and_saveexec_b32 s47, vcc_lo
	s_delay_alu instid0(SALU_CYCLE_1)
	s_xor_b32 s47, exec_lo, s47
	s_cbranch_execnz .LBB142_2944
; %bb.1505:
	s_and_not1_saveexec_b32 s47, s47
	s_cbranch_execnz .LBB142_2945
.LBB142_1506:
	s_or_b32 exec_lo, exec_lo, s47
	v_mov_b32_e32 v8, 0
	s_and_saveexec_b32 s47, s46
.LBB142_1507:
	v_lshrrev_b32_e32 v6, 24, v6
	s_delay_alu instid0(VALU_DEP_1)
	v_and_or_b32 v8, 0x80, v6, v7
.LBB142_1508:
	s_or_b32 exec_lo, exec_lo, s47
.LBB142_1509:
	s_delay_alu instid0(SALU_CYCLE_1)
	s_or_b32 exec_lo, exec_lo, s45
	global_store_b8 v[4:5], v8, off
.LBB142_1510:
	s_mov_b32 s45, -1
.LBB142_1511:
	s_mov_b32 s46, 0
.LBB142_1512:
	s_delay_alu instid0(SALU_CYCLE_1)
	s_and_b32 vcc_lo, exec_lo, s46
	s_cbranch_vccz .LBB142_1553
; %bb.1513:
	s_cmp_gt_i32 s44, 22
	s_mov_b32 s46, -1
	s_cbranch_scc0 .LBB142_1545
; %bb.1514:
	s_cmp_lt_i32 s44, 24
	s_mov_b32 s45, -1
	s_cbranch_scc1 .LBB142_1534
; %bb.1515:
	s_cmp_gt_i32 s44, 24
	s_cbranch_scc0 .LBB142_1523
; %bb.1516:
	s_wait_xcnt 0x0
	s_delay_alu instid0(VALU_DEP_2) | instskip(SKIP_2) | instid1(VALU_DEP_2)
	v_cvt_f32_f64_e32 v6, v[0:1]
	v_mov_b32_e32 v8, 0x80
	s_mov_b32 s45, exec_lo
	v_and_b32_e32 v7, 0x7fffffff, v6
	s_delay_alu instid0(VALU_DEP_1)
	v_cmpx_gt_u32_e32 0x47800000, v7
	s_cbranch_execz .LBB142_1522
; %bb.1517:
	v_cmp_lt_u32_e32 vcc_lo, 0x37ffffff, v7
	s_mov_b32 s46, 0
                                        ; implicit-def: $vgpr7
	s_and_saveexec_b32 s47, vcc_lo
	s_delay_alu instid0(SALU_CYCLE_1)
	s_xor_b32 s47, exec_lo, s47
	s_cbranch_execnz .LBB142_3082
; %bb.1518:
	s_and_not1_saveexec_b32 s47, s47
	s_cbranch_execnz .LBB142_3083
.LBB142_1519:
	s_or_b32 exec_lo, exec_lo, s47
	v_mov_b32_e32 v8, 0
	s_and_saveexec_b32 s47, s46
.LBB142_1520:
	v_lshrrev_b32_e32 v6, 24, v6
	s_delay_alu instid0(VALU_DEP_1)
	v_and_or_b32 v8, 0x80, v6, v7
.LBB142_1521:
	s_or_b32 exec_lo, exec_lo, s47
.LBB142_1522:
	s_delay_alu instid0(SALU_CYCLE_1)
	s_or_b32 exec_lo, exec_lo, s45
	s_mov_b32 s45, 0
	global_store_b8 v[4:5], v8, off
.LBB142_1523:
	s_and_b32 vcc_lo, exec_lo, s45
	s_cbranch_vccz .LBB142_1533
; %bb.1524:
	s_wait_xcnt 0x0
	s_delay_alu instid0(VALU_DEP_2) | instskip(SKIP_1) | instid1(VALU_DEP_1)
	v_cvt_f32_f64_e32 v6, v[0:1]
	s_mov_b32 s45, exec_lo
                                        ; implicit-def: $vgpr7
	v_and_b32_e32 v8, 0x7fffffff, v6
	s_delay_alu instid0(VALU_DEP_1)
	v_cmpx_gt_u32_e32 0x43f00000, v8
	s_xor_b32 s45, exec_lo, s45
	s_cbranch_execz .LBB142_1530
; %bb.1525:
	s_mov_b32 s46, exec_lo
                                        ; implicit-def: $vgpr7
	v_cmpx_lt_u32_e32 0x3c7fffff, v8
	s_xor_b32 s46, exec_lo, s46
; %bb.1526:
	v_bfe_u32 v7, v6, 20, 1
	s_delay_alu instid0(VALU_DEP_1) | instskip(NEXT) | instid1(VALU_DEP_1)
	v_add3_u32 v7, v6, v7, 0x407ffff
	v_and_b32_e32 v8, 0xff00000, v7
	v_lshrrev_b32_e32 v7, 20, v7
	s_delay_alu instid0(VALU_DEP_2) | instskip(NEXT) | instid1(VALU_DEP_2)
	v_cmp_ne_u32_e32 vcc_lo, 0x7f00000, v8
	v_cndmask_b32_e32 v7, 0x7e, v7, vcc_lo
; %bb.1527:
	s_and_not1_saveexec_b32 s46, s46
; %bb.1528:
	v_add_f32_e64 v7, 0x46800000, |v6|
; %bb.1529:
	s_or_b32 exec_lo, exec_lo, s46
                                        ; implicit-def: $vgpr8
.LBB142_1530:
	s_and_not1_saveexec_b32 s45, s45
; %bb.1531:
	v_mov_b32_e32 v7, 0x7f
	v_cmp_lt_u32_e32 vcc_lo, 0x7f800000, v8
	s_delay_alu instid0(VALU_DEP_2)
	v_cndmask_b32_e32 v7, 0x7e, v7, vcc_lo
; %bb.1532:
	s_or_b32 exec_lo, exec_lo, s45
	v_lshrrev_b32_e32 v6, 24, v6
	s_delay_alu instid0(VALU_DEP_1)
	v_and_or_b32 v6, 0x80, v6, v7
	global_store_b8 v[4:5], v6, off
.LBB142_1533:
	s_mov_b32 s45, 0
.LBB142_1534:
	s_delay_alu instid0(SALU_CYCLE_1)
	s_and_not1_b32 vcc_lo, exec_lo, s45
	s_cbranch_vccnz .LBB142_1544
; %bb.1535:
	s_wait_xcnt 0x0
	s_delay_alu instid0(VALU_DEP_2) | instskip(SKIP_1) | instid1(VALU_DEP_1)
	v_cvt_f32_f64_e32 v6, v[0:1]
	s_mov_b32 s45, exec_lo
                                        ; implicit-def: $vgpr7
	v_and_b32_e32 v8, 0x7fffffff, v6
	s_delay_alu instid0(VALU_DEP_1)
	v_cmpx_gt_u32_e32 0x47800000, v8
	s_xor_b32 s45, exec_lo, s45
	s_cbranch_execz .LBB142_1541
; %bb.1536:
	s_mov_b32 s46, exec_lo
                                        ; implicit-def: $vgpr7
	v_cmpx_lt_u32_e32 0x387fffff, v8
	s_xor_b32 s46, exec_lo, s46
; %bb.1537:
	v_bfe_u32 v7, v6, 21, 1
	s_delay_alu instid0(VALU_DEP_1) | instskip(NEXT) | instid1(VALU_DEP_1)
	v_add3_u32 v7, v6, v7, 0x80fffff
	v_lshrrev_b32_e32 v7, 21, v7
; %bb.1538:
	s_and_not1_saveexec_b32 s46, s46
; %bb.1539:
	v_add_f32_e64 v7, 0x43000000, |v6|
; %bb.1540:
	s_or_b32 exec_lo, exec_lo, s46
                                        ; implicit-def: $vgpr8
.LBB142_1541:
	s_and_not1_saveexec_b32 s45, s45
; %bb.1542:
	v_mov_b32_e32 v7, 0x7f
	v_cmp_lt_u32_e32 vcc_lo, 0x7f800000, v8
	s_delay_alu instid0(VALU_DEP_2)
	v_cndmask_b32_e32 v7, 0x7c, v7, vcc_lo
; %bb.1543:
	s_or_b32 exec_lo, exec_lo, s45
	v_lshrrev_b32_e32 v6, 24, v6
	s_delay_alu instid0(VALU_DEP_1)
	v_and_or_b32 v6, 0x80, v6, v7
	global_store_b8 v[4:5], v6, off
.LBB142_1544:
	s_mov_b32 s46, 0
	s_mov_b32 s45, -1
.LBB142_1545:
	s_and_not1_b32 vcc_lo, exec_lo, s46
	s_cbranch_vccnz .LBB142_1553
; %bb.1546:
	s_cmp_gt_i32 s44, 14
	s_mov_b32 s46, -1
	s_cbranch_scc0 .LBB142_1550
; %bb.1547:
	s_cmp_eq_u32 s44, 15
	s_mov_b32 s0, -1
	s_cbranch_scc0 .LBB142_1549
; %bb.1548:
	s_wait_xcnt 0x0
	s_delay_alu instid0(VALU_DEP_2) | instskip(SKIP_2) | instid1(VALU_DEP_1)
	v_cvt_f32_f64_e32 v6, v[0:1]
	s_mov_b32 s45, -1
	s_mov_b32 s0, 0
	v_bfe_u32 v7, v6, 16, 1
	v_cmp_o_f32_e32 vcc_lo, v6, v6
	s_delay_alu instid0(VALU_DEP_2) | instskip(NEXT) | instid1(VALU_DEP_1)
	v_add3_u32 v7, v6, v7, 0x7fff
	v_lshrrev_b32_e32 v7, 16, v7
	s_delay_alu instid0(VALU_DEP_1)
	v_cndmask_b32_e32 v6, 0x7fc0, v7, vcc_lo
	global_store_b16 v[4:5], v6, off
.LBB142_1549:
	s_mov_b32 s46, 0
.LBB142_1550:
	s_delay_alu instid0(SALU_CYCLE_1)
	s_and_b32 vcc_lo, exec_lo, s46
	s_cbranch_vccz .LBB142_1553
; %bb.1551:
	s_cmp_eq_u32 s44, 11
	s_mov_b32 s0, -1
	s_cbranch_scc0 .LBB142_1553
; %bb.1552:
	s_delay_alu instid0(VALU_DEP_2) | instskip(NEXT) | instid1(VALU_DEP_2)
	v_cmp_neq_f64_e32 vcc_lo, 0, v[0:1]
	v_cmp_neq_f64_e64 s0, 0, v[2:3]
	s_mov_b32 s45, -1
	s_or_b32 s0, vcc_lo, s0
	s_wait_xcnt 0x0
	v_cndmask_b32_e64 v6, 0, 1, s0
	s_mov_b32 s0, 0
	global_store_b8 v[4:5], v6, off
.LBB142_1553:
	s_mov_b32 s44, 0
.LBB142_1554:
	s_delay_alu instid0(SALU_CYCLE_1)
	s_and_b32 vcc_lo, exec_lo, s44
	s_cbranch_vccz .LBB142_1593
; %bb.1555:
	s_and_b32 s43, 0xffff, s43
	s_mov_b32 s44, -1
	s_cmp_lt_i32 s43, 5
	s_cbranch_scc1 .LBB142_1576
; %bb.1556:
	s_cmp_lt_i32 s43, 8
	s_cbranch_scc1 .LBB142_1566
; %bb.1557:
	;; [unrolled: 3-line block ×3, first 2 shown]
	s_cmp_gt_i32 s43, 9
	s_cbranch_scc0 .LBB142_1560
; %bb.1559:
	s_mov_b32 s44, 0
	global_store_b128 v[4:5], v[0:3], off
.LBB142_1560:
	s_and_not1_b32 vcc_lo, exec_lo, s44
	s_cbranch_vccnz .LBB142_1562
; %bb.1561:
	s_wait_xcnt 0x0
	s_delay_alu instid0(VALU_DEP_2) | instskip(NEXT) | instid1(VALU_DEP_2)
	v_cvt_f32_f64_e32 v6, v[0:1]
	v_cvt_f32_f64_e32 v7, v[2:3]
	global_store_b64 v[4:5], v[6:7], off
.LBB142_1562:
	s_mov_b32 s44, 0
.LBB142_1563:
	s_delay_alu instid0(SALU_CYCLE_1)
	s_and_not1_b32 vcc_lo, exec_lo, s44
	s_cbranch_vccnz .LBB142_1565
; %bb.1564:
	s_wait_xcnt 0x0
	s_delay_alu instid0(VALU_DEP_2) | instskip(NEXT) | instid1(VALU_DEP_2)
	v_and_or_b32 v6, 0x1ff, v1, v0
	v_and_or_b32 v2, 0x1ff, v3, v2
	v_dual_lshrrev_b32 v7, 8, v1 :: v_dual_lshrrev_b32 v10, 8, v3
	v_bfe_u32 v8, v1, 20, 11
	s_delay_alu instid0(VALU_DEP_4) | instskip(SKIP_2) | instid1(VALU_DEP_4)
	v_cmp_ne_u32_e32 vcc_lo, 0, v6
	v_bfe_u32 v9, v3, 20, 11
	v_dual_lshrrev_b32 v16, 16, v1 :: v_dual_lshrrev_b32 v3, 16, v3
	v_sub_nc_u32_e32 v11, 0x3f1, v8
	v_cndmask_b32_e64 v6, 0, 1, vcc_lo
	v_cmp_ne_u32_e32 vcc_lo, 0, v2
	v_add_nc_u32_e32 v8, 0xfffffc10, v8
	s_delay_alu instid0(VALU_DEP_3) | instskip(SKIP_1) | instid1(VALU_DEP_1)
	v_and_or_b32 v6, 0xffe, v7, v6
	v_cndmask_b32_e64 v2, 0, 1, vcc_lo
	v_and_or_b32 v2, 0xffe, v10, v2
	v_med3_i32 v10, v11, 0, 13
	s_delay_alu instid0(VALU_DEP_4) | instskip(NEXT) | instid1(VALU_DEP_3)
	v_or_b32_e32 v11, 0x1000, v6
	v_or_b32_e32 v12, 0x1000, v2
	s_delay_alu instid0(VALU_DEP_2) | instskip(NEXT) | instid1(VALU_DEP_1)
	v_lshrrev_b32_e32 v13, v10, v11
	v_lshlrev_b32_e32 v10, v10, v13
	s_delay_alu instid0(VALU_DEP_1) | instskip(SKIP_2) | instid1(VALU_DEP_1)
	v_cmp_ne_u32_e32 vcc_lo, v10, v11
	v_lshl_or_b32 v11, v8, 12, v6
	v_cndmask_b32_e64 v10, 0, 1, vcc_lo
	v_or_b32_e32 v10, v13, v10
	v_sub_nc_u32_e32 v7, 0x3f1, v9
	v_add_nc_u32_e32 v9, 0xfffffc10, v9
	s_delay_alu instid0(VALU_DEP_2) | instskip(NEXT) | instid1(VALU_DEP_1)
	v_med3_i32 v7, v7, 0, 13
	v_lshrrev_b32_e32 v14, v7, v12
	s_delay_alu instid0(VALU_DEP_1) | instskip(NEXT) | instid1(VALU_DEP_1)
	v_lshlrev_b32_e32 v7, v7, v14
	v_cmp_ne_u32_e32 vcc_lo, v7, v12
	v_lshl_or_b32 v12, v9, 12, v2
	v_cndmask_b32_e64 v7, 0, 1, vcc_lo
	v_cmp_gt_i32_e32 vcc_lo, 1, v8
	s_delay_alu instid0(VALU_DEP_2) | instskip(SKIP_1) | instid1(VALU_DEP_2)
	v_dual_cndmask_b32 v10, v11, v10, vcc_lo :: v_dual_bitop2_b32 v7, v14, v7 bitop3:0x54
	v_cmp_gt_i32_e32 vcc_lo, 1, v9
	v_dual_lshrrev_b32 v10, 2, v10 :: v_dual_bitop2_b32 v11, 7, v10 bitop3:0x40
	s_delay_alu instid0(VALU_DEP_3) | instskip(NEXT) | instid1(VALU_DEP_1)
	v_cndmask_b32_e32 v7, v12, v7, vcc_lo
	v_dual_lshrrev_b32 v7, 2, v7 :: v_dual_bitop2_b32 v12, 7, v7 bitop3:0x40
	s_delay_alu instid0(VALU_DEP_3) | instskip(SKIP_1) | instid1(VALU_DEP_3)
	v_cmp_lt_i32_e32 vcc_lo, 5, v11
	v_cndmask_b32_e64 v14, 0, 1, vcc_lo
	v_cmp_lt_i32_e32 vcc_lo, 5, v12
	v_cndmask_b32_e64 v15, 0, 1, vcc_lo
	v_cmp_eq_u32_e32 vcc_lo, 3, v12
	v_cndmask_b32_e64 v12, 0, 1, vcc_lo
	v_cmp_eq_u32_e32 vcc_lo, 3, v11
	s_delay_alu instid0(VALU_DEP_2) | instskip(SKIP_2) | instid1(VALU_DEP_3)
	v_or_b32_e32 v12, v12, v15
	v_cndmask_b32_e64 v11, 0, 1, vcc_lo
	v_cmp_ne_u32_e32 vcc_lo, 0, v6
	v_add_nc_u32_e32 v7, v7, v12
	s_delay_alu instid0(VALU_DEP_3) | instskip(NEXT) | instid1(VALU_DEP_1)
	v_or_b32_e32 v11, v11, v14
	v_dual_mov_b32 v13, 0x7e00 :: v_dual_add_nc_u32 v10, v10, v11
	s_delay_alu instid0(VALU_DEP_1)
	v_cndmask_b32_e32 v6, 0x7c00, v13, vcc_lo
	v_cmp_ne_u32_e32 vcc_lo, 0, v2
	v_and_b32_e32 v11, 0x8000, v16
	v_cndmask_b32_e32 v2, 0x7c00, v13, vcc_lo
	v_cmp_gt_i32_e32 vcc_lo, 31, v9
	v_cndmask_b32_e32 v7, 0x7c00, v7, vcc_lo
	v_cmp_gt_i32_e32 vcc_lo, 31, v8
	v_cndmask_b32_e32 v10, 0x7c00, v10, vcc_lo
	v_cmp_eq_u32_e32 vcc_lo, 0x40f, v9
	s_delay_alu instid0(VALU_DEP_4) | instskip(SKIP_1) | instid1(VALU_DEP_2)
	v_cndmask_b32_e32 v2, v7, v2, vcc_lo
	v_cmp_eq_u32_e32 vcc_lo, 0x40f, v8
	v_and_or_b32 v2, 0x8000, v3, v2
	v_cndmask_b32_e32 v6, v10, v6, vcc_lo
	s_delay_alu instid0(VALU_DEP_1) | instskip(NEXT) | instid1(VALU_DEP_1)
	v_bitop3_b32 v3, v11, 0xffff, v6 bitop3:0xc8
	v_lshl_or_b32 v2, v2, 16, v3
	global_store_b32 v[4:5], v2, off
.LBB142_1565:
	s_mov_b32 s44, 0
.LBB142_1566:
	s_delay_alu instid0(SALU_CYCLE_1)
	s_and_not1_b32 vcc_lo, exec_lo, s44
	s_cbranch_vccnz .LBB142_1575
; %bb.1567:
	s_cmp_lt_i32 s43, 6
	s_mov_b32 s44, -1
	s_cbranch_scc1 .LBB142_1573
; %bb.1568:
	s_cmp_gt_i32 s43, 6
	s_cbranch_scc0 .LBB142_1570
; %bb.1569:
	s_mov_b32 s44, 0
	global_store_b64 v[4:5], v[0:1], off
.LBB142_1570:
	s_and_not1_b32 vcc_lo, exec_lo, s44
	s_cbranch_vccnz .LBB142_1572
; %bb.1571:
	s_wait_xcnt 0x0
	s_delay_alu instid0(VALU_DEP_2)
	v_cvt_f32_f64_e32 v2, v[0:1]
	global_store_b32 v[4:5], v2, off
.LBB142_1572:
	s_mov_b32 s44, 0
.LBB142_1573:
	s_delay_alu instid0(SALU_CYCLE_1)
	s_and_not1_b32 vcc_lo, exec_lo, s44
	s_cbranch_vccnz .LBB142_1575
; %bb.1574:
	s_wait_xcnt 0x0
	s_delay_alu instid0(VALU_DEP_2) | instskip(SKIP_2) | instid1(VALU_DEP_3)
	v_and_or_b32 v2, 0x1ff, v1, v0
	v_lshrrev_b32_e32 v3, 8, v1
	v_bfe_u32 v6, v1, 20, 11
	v_cmp_ne_u32_e32 vcc_lo, 0, v2
	s_delay_alu instid0(VALU_DEP_2) | instskip(SKIP_1) | instid1(VALU_DEP_1)
	v_sub_nc_u32_e32 v7, 0x3f1, v6
	v_cndmask_b32_e64 v2, 0, 1, vcc_lo
	v_and_or_b32 v2, 0xffe, v3, v2
	s_delay_alu instid0(VALU_DEP_3) | instskip(NEXT) | instid1(VALU_DEP_2)
	v_med3_i32 v3, v7, 0, 13
	v_or_b32_e32 v7, 0x1000, v2
	s_delay_alu instid0(VALU_DEP_1) | instskip(NEXT) | instid1(VALU_DEP_1)
	v_lshrrev_b32_e32 v8, v3, v7
	v_lshlrev_b32_e32 v3, v3, v8
	s_delay_alu instid0(VALU_DEP_1) | instskip(SKIP_1) | instid1(VALU_DEP_1)
	v_cmp_ne_u32_e32 vcc_lo, v3, v7
	v_cndmask_b32_e64 v3, 0, 1, vcc_lo
	v_or_b32_e32 v3, v8, v3
	v_add_nc_u32_e32 v6, 0xfffffc10, v6
	s_delay_alu instid0(VALU_DEP_1) | instskip(SKIP_1) | instid1(VALU_DEP_2)
	v_lshl_or_b32 v7, v6, 12, v2
	v_cmp_gt_i32_e32 vcc_lo, 1, v6
	v_cndmask_b32_e32 v3, v7, v3, vcc_lo
	s_delay_alu instid0(VALU_DEP_1) | instskip(NEXT) | instid1(VALU_DEP_1)
	v_dual_lshrrev_b32 v3, 2, v3 :: v_dual_bitop2_b32 v7, 7, v3 bitop3:0x40
	v_cmp_lt_i32_e32 vcc_lo, 5, v7
	v_cndmask_b32_e64 v8, 0, 1, vcc_lo
	v_cmp_eq_u32_e32 vcc_lo, 3, v7
	v_cndmask_b32_e64 v7, 0, 1, vcc_lo
	v_cmp_ne_u32_e32 vcc_lo, 0, v2
	s_delay_alu instid0(VALU_DEP_2) | instskip(NEXT) | instid1(VALU_DEP_1)
	v_or_b32_e32 v7, v7, v8
	v_dual_mov_b32 v8, 0x7e00 :: v_dual_add_nc_u32 v3, v3, v7
	s_delay_alu instid0(VALU_DEP_1) | instskip(SKIP_1) | instid1(VALU_DEP_3)
	v_cndmask_b32_e32 v2, 0x7c00, v8, vcc_lo
	v_cmp_gt_i32_e32 vcc_lo, 31, v6
	v_cndmask_b32_e32 v3, 0x7c00, v3, vcc_lo
	v_cmp_eq_u32_e32 vcc_lo, 0x40f, v6
	s_delay_alu instid0(VALU_DEP_2) | instskip(NEXT) | instid1(VALU_DEP_1)
	v_dual_cndmask_b32 v2, v3, v2 :: v_dual_lshrrev_b32 v3, 16, v1
	v_and_or_b32 v2, 0x8000, v3, v2
	global_store_b16 v[4:5], v2, off
.LBB142_1575:
	s_mov_b32 s44, 0
.LBB142_1576:
	s_delay_alu instid0(SALU_CYCLE_1)
	s_and_not1_b32 vcc_lo, exec_lo, s44
	s_cbranch_vccnz .LBB142_1592
; %bb.1577:
	s_cmp_lt_i32 s43, 2
	s_mov_b32 s44, -1
	s_cbranch_scc1 .LBB142_1587
; %bb.1578:
	s_cmp_lt_i32 s43, 3
	s_cbranch_scc1 .LBB142_1584
; %bb.1579:
	s_cmp_gt_i32 s43, 3
	s_cbranch_scc0 .LBB142_1581
; %bb.1580:
	s_wait_xcnt 0x0
	s_delay_alu instid0(VALU_DEP_2) | instskip(SKIP_1) | instid1(VALU_DEP_1)
	v_trunc_f64_e32 v[2:3], v[0:1]
	s_mov_b32 s44, 0
	v_ldexp_f64 v[6:7], v[2:3], 0xffffffe0
	s_delay_alu instid0(VALU_DEP_1) | instskip(NEXT) | instid1(VALU_DEP_1)
	v_floor_f64_e32 v[6:7], v[6:7]
	v_fmamk_f64 v[2:3], v[6:7], 0xc1f00000, v[2:3]
	v_cvt_i32_f64_e32 v7, v[6:7]
	s_delay_alu instid0(VALU_DEP_2)
	v_cvt_u32_f64_e32 v6, v[2:3]
	global_store_b64 v[4:5], v[6:7], off
.LBB142_1581:
	s_and_not1_b32 vcc_lo, exec_lo, s44
	s_cbranch_vccnz .LBB142_1583
; %bb.1582:
	s_wait_xcnt 0x0
	s_delay_alu instid0(VALU_DEP_2)
	v_cvt_i32_f64_e32 v2, v[0:1]
	global_store_b32 v[4:5], v2, off
.LBB142_1583:
	s_mov_b32 s44, 0
.LBB142_1584:
	s_delay_alu instid0(SALU_CYCLE_1)
	s_and_not1_b32 vcc_lo, exec_lo, s44
	s_cbranch_vccnz .LBB142_1586
; %bb.1585:
	s_wait_xcnt 0x0
	s_delay_alu instid0(VALU_DEP_2)
	v_cvt_i32_f64_e32 v2, v[0:1]
	global_store_b16 v[4:5], v2, off
.LBB142_1586:
	s_mov_b32 s44, 0
.LBB142_1587:
	s_delay_alu instid0(SALU_CYCLE_1)
	s_and_not1_b32 vcc_lo, exec_lo, s44
	s_cbranch_vccnz .LBB142_1592
; %bb.1588:
	s_cmp_gt_i32 s43, 0
	s_mov_b32 s43, -1
	s_cbranch_scc0 .LBB142_1590
; %bb.1589:
	s_wait_xcnt 0x0
	s_delay_alu instid0(VALU_DEP_2)
	v_cvt_i32_f64_e32 v2, v[0:1]
	s_mov_b32 s43, 0
	global_store_b8 v[4:5], v2, off
.LBB142_1590:
	s_and_not1_b32 vcc_lo, exec_lo, s43
	s_cbranch_vccnz .LBB142_1592
; %bb.1591:
	s_wait_xcnt 0x0
	s_delay_alu instid0(VALU_DEP_2) | instskip(NEXT) | instid1(VALU_DEP_1)
	v_trunc_f64_e32 v[0:1], v[0:1]
	v_ldexp_f64 v[2:3], v[0:1], 0xffffffe0
	s_delay_alu instid0(VALU_DEP_1) | instskip(NEXT) | instid1(VALU_DEP_1)
	v_floor_f64_e32 v[2:3], v[2:3]
	v_fmamk_f64 v[0:1], v[2:3], 0xc1f00000, v[0:1]
	s_delay_alu instid0(VALU_DEP_1)
	v_cvt_u32_f64_e32 v0, v[0:1]
	global_store_b8 v[4:5], v0, off
.LBB142_1592:
	s_mov_b32 s45, -1
.LBB142_1593:
	s_delay_alu instid0(SALU_CYCLE_1)
	s_and_not1_b32 vcc_lo, exec_lo, s45
	s_cbranch_vccnz .LBB142_1595
; %bb.1594:
	v_add_nc_u32_e32 v50, 0x80, v50
	s_mov_b32 s44, -1
	s_branch .LBB142_1597
.LBB142_1595:
	s_mov_b32 s44, 0
.LBB142_1596:
                                        ; implicit-def: $vgpr50
.LBB142_1597:
	s_and_not1_b32 s43, s35, exec_lo
	s_and_b32 s0, s0, exec_lo
	s_and_not1_b32 s45, s36, exec_lo
	s_and_b32 s42, s42, exec_lo
	s_or_b32 s43, s43, s0
	s_or_b32 s42, s45, s42
	s_and_not1_b32 s0, s37, exec_lo
	s_and_b32 s41, s41, exec_lo
	s_and_not1_b32 s45, s34, exec_lo
	s_and_b32 s40, s40, exec_lo
	s_or_b32 s41, s0, s41
	s_or_b32 s40, s45, s40
	s_or_not1_b32 s47, s44, exec_lo
.LBB142_1598:
	s_wait_xcnt 0x0
	s_or_b32 exec_lo, exec_lo, s39
	s_mov_b32 s44, 0
	s_mov_b32 s45, 0
	;; [unrolled: 1-line block ×3, first 2 shown]
                                        ; implicit-def: $sgpr0
                                        ; implicit-def: $vgpr4_vgpr5
                                        ; implicit-def: $vgpr2_vgpr3
	s_and_saveexec_b32 s39, s47
	s_cbranch_execz .LBB142_1678
; %bb.1599:
	v_cmp_gt_i32_e32 vcc_lo, s28, v50
	s_mov_b32 s48, s40
	s_mov_b32 s47, 0
	;; [unrolled: 1-line block ×3, first 2 shown]
                                        ; implicit-def: $sgpr0
                                        ; implicit-def: $vgpr4_vgpr5
                                        ; implicit-def: $vgpr2_vgpr3
	s_and_saveexec_b32 s28, vcc_lo
	s_cbranch_execz .LBB142_1677
; %bb.1600:
	s_wait_loadcnt 0x0
	v_mul_lo_u32 v0, v50, s21
	s_and_b32 s0, s25, 0xff
	s_delay_alu instid0(SALU_CYCLE_1) | instskip(NEXT) | instid1(VALU_DEP_1)
	s_cmp_lt_i32 s0, 11
	v_ashrrev_i32_e32 v1, 31, v0
	s_delay_alu instid0(VALU_DEP_1)
	v_add_nc_u64_e32 v[4:5], s[6:7], v[0:1]
	s_cbranch_scc1 .LBB142_1607
; %bb.1601:
	s_and_b32 s44, 0xffff, s0
	s_delay_alu instid0(SALU_CYCLE_1)
	s_cmp_gt_i32 s44, 25
	s_cbranch_scc0 .LBB142_1608
; %bb.1602:
	s_cmp_gt_i32 s44, 28
	s_cbranch_scc0 .LBB142_1609
; %bb.1603:
	;; [unrolled: 3-line block ×4, first 2 shown]
	s_cmp_eq_u32 s44, 46
	s_mov_b32 s48, 0
	s_cbranch_scc0 .LBB142_1612
; %bb.1606:
	global_load_b32 v0, v[4:5], off
	s_mov_b32 s47, -1
	s_wait_loadcnt 0x0
	v_lshlrev_b32_e32 v1, 16, v0
	v_and_b32_e32 v2, 0xffff0000, v0
	s_delay_alu instid0(VALU_DEP_2) | instskip(NEXT) | instid1(VALU_DEP_2)
	v_cvt_f64_f32_e32 v[0:1], v1
	v_cvt_f64_f32_e32 v[2:3], v2
	s_branch .LBB142_1614
.LBB142_1607:
	s_mov_b32 s44, -1
	s_mov_b32 s45, s40
                                        ; implicit-def: $vgpr2_vgpr3
	s_branch .LBB142_1676
.LBB142_1608:
	s_mov_b32 s48, -1
	s_mov_b32 s45, s40
                                        ; implicit-def: $vgpr2_vgpr3
	s_branch .LBB142_1643
.LBB142_1609:
	s_mov_b32 s48, -1
	s_mov_b32 s45, s40
                                        ; implicit-def: $vgpr2_vgpr3
	s_branch .LBB142_1626
.LBB142_1610:
	s_mov_b32 s48, -1
	s_mov_b32 s45, s40
                                        ; implicit-def: $vgpr2_vgpr3
	s_branch .LBB142_1620
.LBB142_1611:
	s_mov_b32 s48, -1
	s_mov_b32 s45, s40
	s_branch .LBB142_1613
.LBB142_1612:
	s_mov_b32 s45, -1
.LBB142_1613:
                                        ; implicit-def: $vgpr2_vgpr3
.LBB142_1614:
	s_and_b32 vcc_lo, exec_lo, s48
	s_cbranch_vccz .LBB142_1619
; %bb.1615:
	s_cmp_eq_u32 s44, 44
	s_cbranch_scc0 .LBB142_1617
; %bb.1616:
	global_load_u8 v2, v[4:5], off
	s_mov_b32 s45, 0
	s_mov_b32 s47, -1
	s_wait_loadcnt 0x0
	v_cmp_ne_u32_e32 vcc_lo, 0xff, v2
	v_lshlrev_b32_e32 v0, 23, v2
	s_delay_alu instid0(VALU_DEP_1) | instskip(NEXT) | instid1(VALU_DEP_1)
	v_cvt_f64_f32_e32 v[0:1], v0
	v_cndmask_b32_e32 v0, 0x20000000, v0, vcc_lo
	s_delay_alu instid0(VALU_DEP_2) | instskip(SKIP_1) | instid1(VALU_DEP_2)
	v_cndmask_b32_e32 v1, 0x7ff80000, v1, vcc_lo
	v_cmp_ne_u32_e32 vcc_lo, 0, v2
	v_cndmask_b32_e32 v1, 0x38000000, v1, vcc_lo
	s_delay_alu instid0(VALU_DEP_4)
	v_cndmask_b32_e32 v0, 0, v0, vcc_lo
	s_branch .LBB142_1618
.LBB142_1617:
	s_mov_b32 s45, -1
                                        ; implicit-def: $vgpr0_vgpr1
.LBB142_1618:
	v_mov_b64_e32 v[2:3], 0
.LBB142_1619:
	s_mov_b32 s48, 0
.LBB142_1620:
	s_delay_alu instid0(SALU_CYCLE_1)
	s_and_b32 vcc_lo, exec_lo, s48
	s_cbranch_vccz .LBB142_1625
; %bb.1621:
	s_cmp_eq_u32 s44, 29
	s_cbranch_scc0 .LBB142_1623
; %bb.1622:
	global_load_b64 v[0:1], v[4:5], off
	s_mov_b32 s45, 0
	s_mov_b32 s47, -1
	s_wait_loadcnt 0x0
	v_cvt_f64_u32_e32 v[2:3], v1
	v_cvt_f64_u32_e32 v[0:1], v0
	s_delay_alu instid0(VALU_DEP_2) | instskip(NEXT) | instid1(VALU_DEP_1)
	v_ldexp_f64 v[2:3], v[2:3], 32
	v_add_f64_e32 v[0:1], v[2:3], v[0:1]
	s_branch .LBB142_1624
.LBB142_1623:
	s_mov_b32 s45, -1
                                        ; implicit-def: $vgpr0_vgpr1
.LBB142_1624:
	v_mov_b64_e32 v[2:3], 0
.LBB142_1625:
	s_mov_b32 s48, 0
.LBB142_1626:
	s_delay_alu instid0(SALU_CYCLE_1)
	s_and_b32 vcc_lo, exec_lo, s48
	s_cbranch_vccz .LBB142_1642
; %bb.1627:
	s_cmp_lt_i32 s44, 27
	s_cbranch_scc1 .LBB142_1630
; %bb.1628:
	s_cmp_gt_i32 s44, 27
	s_cbranch_scc0 .LBB142_1631
; %bb.1629:
	global_load_b32 v0, v[4:5], off
	s_mov_b32 s47, 0
	s_wait_loadcnt 0x0
	v_cvt_f64_u32_e32 v[0:1], v0
	s_branch .LBB142_1632
.LBB142_1630:
	s_mov_b32 s47, -1
                                        ; implicit-def: $vgpr0_vgpr1
	s_branch .LBB142_1635
.LBB142_1631:
	s_mov_b32 s47, -1
                                        ; implicit-def: $vgpr0_vgpr1
.LBB142_1632:
	s_delay_alu instid0(SALU_CYCLE_1)
	s_and_not1_b32 vcc_lo, exec_lo, s47
	s_cbranch_vccnz .LBB142_1634
; %bb.1633:
	global_load_u16 v0, v[4:5], off
	s_wait_loadcnt 0x0
	v_cvt_f64_u32_e32 v[0:1], v0
.LBB142_1634:
	s_mov_b32 s47, 0
.LBB142_1635:
	s_delay_alu instid0(SALU_CYCLE_1)
	s_and_not1_b32 vcc_lo, exec_lo, s47
	s_cbranch_vccnz .LBB142_1641
; %bb.1636:
	global_load_u8 v2, v[4:5], off
	s_mov_b32 s47, 0
	s_mov_b32 s48, exec_lo
	s_wait_loadcnt 0x0
	v_cmpx_lt_i16_e32 0x7f, v2
	s_xor_b32 s48, exec_lo, s48
	s_cbranch_execnz .LBB142_1654
; %bb.1637:
	s_or_saveexec_b32 s48, s48
	v_mov_b64_e32 v[0:1], 0x7ff8000020000000
	s_xor_b32 exec_lo, exec_lo, s48
	s_cbranch_execnz .LBB142_1657
.LBB142_1638:
	s_or_b32 exec_lo, exec_lo, s48
	s_and_saveexec_b32 s48, s47
	s_cbranch_execz .LBB142_1640
.LBB142_1639:
	v_and_b32_e32 v0, 0xffff, v2
	s_delay_alu instid0(VALU_DEP_1) | instskip(SKIP_1) | instid1(VALU_DEP_2)
	v_and_b32_e32 v1, 7, v0
	v_bfe_u32 v7, v0, 3, 4
	v_clz_i32_u32_e32 v3, v1
	s_delay_alu instid0(VALU_DEP_2) | instskip(NEXT) | instid1(VALU_DEP_2)
	v_cmp_eq_u32_e32 vcc_lo, 0, v7
	v_min_u32_e32 v3, 32, v3
	s_delay_alu instid0(VALU_DEP_1) | instskip(NEXT) | instid1(VALU_DEP_1)
	v_subrev_nc_u32_e32 v6, 28, v3
	v_dual_lshlrev_b32 v0, v6, v0 :: v_dual_sub_nc_u32 v3, 29, v3
	s_delay_alu instid0(VALU_DEP_1) | instskip(NEXT) | instid1(VALU_DEP_1)
	v_dual_lshlrev_b32 v2, 24, v2 :: v_dual_bitop2_b32 v0, 7, v0 bitop3:0x40
	v_dual_cndmask_b32 v3, v7, v3 :: v_dual_cndmask_b32 v0, v1, v0
	s_delay_alu instid0(VALU_DEP_2) | instskip(NEXT) | instid1(VALU_DEP_2)
	v_and_b32_e32 v1, 0x80000000, v2
	v_lshl_add_u32 v2, v3, 23, 0x3b800000
	s_delay_alu instid0(VALU_DEP_3) | instskip(NEXT) | instid1(VALU_DEP_1)
	v_lshlrev_b32_e32 v0, 20, v0
	v_or3_b32 v0, v1, v2, v0
	s_delay_alu instid0(VALU_DEP_1)
	v_cvt_f64_f32_e32 v[0:1], v0
.LBB142_1640:
	s_or_b32 exec_lo, exec_lo, s48
.LBB142_1641:
	v_mov_b64_e32 v[2:3], 0
	s_mov_b32 s47, -1
.LBB142_1642:
	s_mov_b32 s48, 0
.LBB142_1643:
	s_delay_alu instid0(SALU_CYCLE_1)
	s_and_b32 vcc_lo, exec_lo, s48
	s_cbranch_vccz .LBB142_1675
; %bb.1644:
	s_cmp_gt_i32 s44, 22
	s_cbranch_scc0 .LBB142_1652
; %bb.1645:
	s_cmp_lt_i32 s44, 24
	s_cbranch_scc1 .LBB142_1653
; %bb.1646:
	s_cmp_gt_i32 s44, 24
	s_cbranch_scc0 .LBB142_1658
; %bb.1647:
	global_load_u8 v2, v[4:5], off
	s_mov_b32 s47, exec_lo
	s_wait_loadcnt 0x0
	v_cmpx_lt_i16_e32 0x7f, v2
	s_xor_b32 s47, exec_lo, s47
	s_cbranch_execnz .LBB142_2666
; %bb.1648:
	s_or_saveexec_b32 s47, s47
	v_mov_b64_e32 v[0:1], 0x7ff8000020000000
	s_xor_b32 exec_lo, exec_lo, s47
	s_cbranch_execnz .LBB142_2669
.LBB142_1649:
	s_or_b32 exec_lo, exec_lo, s47
	s_and_saveexec_b32 s47, s46
	s_cbranch_execz .LBB142_1651
.LBB142_1650:
	v_and_b32_e32 v0, 0xffff, v2
	s_delay_alu instid0(VALU_DEP_1) | instskip(SKIP_1) | instid1(VALU_DEP_2)
	v_and_b32_e32 v1, 3, v0
	v_bfe_u32 v7, v0, 2, 5
	v_clz_i32_u32_e32 v3, v1
	s_delay_alu instid0(VALU_DEP_2) | instskip(NEXT) | instid1(VALU_DEP_2)
	v_cmp_eq_u32_e32 vcc_lo, 0, v7
	v_min_u32_e32 v3, 32, v3
	s_delay_alu instid0(VALU_DEP_1) | instskip(NEXT) | instid1(VALU_DEP_1)
	v_subrev_nc_u32_e32 v6, 29, v3
	v_dual_lshlrev_b32 v0, v6, v0 :: v_dual_sub_nc_u32 v3, 30, v3
	s_delay_alu instid0(VALU_DEP_1) | instskip(NEXT) | instid1(VALU_DEP_1)
	v_dual_lshlrev_b32 v2, 24, v2 :: v_dual_bitop2_b32 v0, 3, v0 bitop3:0x40
	v_dual_cndmask_b32 v3, v7, v3 :: v_dual_cndmask_b32 v0, v1, v0
	s_delay_alu instid0(VALU_DEP_2) | instskip(NEXT) | instid1(VALU_DEP_2)
	v_and_b32_e32 v1, 0x80000000, v2
	v_lshl_add_u32 v2, v3, 23, 0x37800000
	s_delay_alu instid0(VALU_DEP_3) | instskip(NEXT) | instid1(VALU_DEP_1)
	v_lshlrev_b32_e32 v0, 21, v0
	v_or3_b32 v0, v1, v2, v0
	s_delay_alu instid0(VALU_DEP_1)
	v_cvt_f64_f32_e32 v[0:1], v0
.LBB142_1651:
	s_or_b32 exec_lo, exec_lo, s47
	s_mov_b32 s46, 0
	s_branch .LBB142_1659
.LBB142_1652:
	s_mov_b32 s46, -1
                                        ; implicit-def: $vgpr0_vgpr1
	s_branch .LBB142_1665
.LBB142_1653:
	s_mov_b32 s46, -1
                                        ; implicit-def: $vgpr0_vgpr1
	s_branch .LBB142_1662
.LBB142_1654:
	s_mov_b32 s47, -1
	s_mov_b32 s49, exec_lo
	v_cmpx_eq_u16_e32 0x80, v2
; %bb.1655:
	s_xor_b32 s47, exec_lo, -1
; %bb.1656:
	s_or_b32 exec_lo, exec_lo, s49
	s_delay_alu instid0(SALU_CYCLE_1)
	s_and_b32 s47, s47, exec_lo
	s_or_saveexec_b32 s48, s48
	v_mov_b64_e32 v[0:1], 0x7ff8000020000000
	s_xor_b32 exec_lo, exec_lo, s48
	s_cbranch_execz .LBB142_1638
.LBB142_1657:
	v_cmp_ne_u16_e32 vcc_lo, 0, v2
	v_mov_b64_e32 v[0:1], 0
	s_and_not1_b32 s47, s47, exec_lo
	s_and_b32 s49, vcc_lo, exec_lo
	s_delay_alu instid0(SALU_CYCLE_1)
	s_or_b32 s47, s47, s49
	s_or_b32 exec_lo, exec_lo, s48
	s_and_saveexec_b32 s48, s47
	s_cbranch_execnz .LBB142_1639
	s_branch .LBB142_1640
.LBB142_1658:
	s_mov_b32 s46, -1
                                        ; implicit-def: $vgpr0_vgpr1
.LBB142_1659:
	s_delay_alu instid0(SALU_CYCLE_1)
	s_and_b32 vcc_lo, exec_lo, s46
	s_cbranch_vccz .LBB142_1661
; %bb.1660:
	global_load_u8 v0, v[4:5], off
	s_wait_loadcnt 0x0
	v_lshlrev_b32_e32 v0, 24, v0
	s_delay_alu instid0(VALU_DEP_1) | instskip(NEXT) | instid1(VALU_DEP_1)
	v_and_b32_e32 v1, 0x7f000000, v0
	v_clz_i32_u32_e32 v2, v1
	v_cmp_ne_u32_e32 vcc_lo, 0, v1
	v_add_nc_u32_e32 v6, 0x1000000, v1
	s_delay_alu instid0(VALU_DEP_3) | instskip(NEXT) | instid1(VALU_DEP_1)
	v_min_u32_e32 v2, 32, v2
	v_sub_nc_u32_e64 v2, v2, 4 clamp
	s_delay_alu instid0(VALU_DEP_1) | instskip(NEXT) | instid1(VALU_DEP_1)
	v_dual_lshlrev_b32 v3, v2, v1 :: v_dual_lshlrev_b32 v2, 23, v2
	v_lshrrev_b32_e32 v3, 4, v3
	s_delay_alu instid0(VALU_DEP_1) | instskip(SKIP_1) | instid1(VALU_DEP_2)
	v_sub_nc_u32_e32 v2, v3, v2
	v_ashrrev_i32_e32 v3, 8, v6
	v_add_nc_u32_e32 v2, 0x3c000000, v2
	s_delay_alu instid0(VALU_DEP_1) | instskip(NEXT) | instid1(VALU_DEP_1)
	v_and_or_b32 v2, 0x7f800000, v3, v2
	v_cndmask_b32_e32 v1, 0, v2, vcc_lo
	s_delay_alu instid0(VALU_DEP_1) | instskip(NEXT) | instid1(VALU_DEP_1)
	v_and_or_b32 v0, 0x80000000, v0, v1
	v_cvt_f64_f32_e32 v[0:1], v0
.LBB142_1661:
	s_mov_b32 s46, 0
.LBB142_1662:
	s_delay_alu instid0(SALU_CYCLE_1)
	s_and_not1_b32 vcc_lo, exec_lo, s46
	s_cbranch_vccnz .LBB142_1664
; %bb.1663:
	global_load_u8 v0, v[4:5], off
	s_wait_loadcnt 0x0
	v_lshlrev_b32_e32 v1, 25, v0
	v_lshlrev_b16 v0, 8, v0
	s_delay_alu instid0(VALU_DEP_1) | instskip(SKIP_1) | instid1(VALU_DEP_2)
	v_and_or_b32 v3, 0x7f00, v0, 0.5
	v_bfe_i32 v0, v0, 0, 16
	v_dual_add_f32 v3, -0.5, v3 :: v_dual_lshrrev_b32 v2, 4, v1
	v_cmp_gt_u32_e32 vcc_lo, 0x8000000, v1
	s_delay_alu instid0(VALU_DEP_2) | instskip(NEXT) | instid1(VALU_DEP_1)
	v_or_b32_e32 v2, 0x70000000, v2
	v_mul_f32_e32 v2, 0x7800000, v2
	s_delay_alu instid0(VALU_DEP_1) | instskip(NEXT) | instid1(VALU_DEP_1)
	v_cndmask_b32_e32 v1, v2, v3, vcc_lo
	v_and_or_b32 v0, 0x80000000, v0, v1
	s_delay_alu instid0(VALU_DEP_1)
	v_cvt_f64_f32_e32 v[0:1], v0
.LBB142_1664:
	s_mov_b32 s46, 0
	s_mov_b32 s47, -1
.LBB142_1665:
	s_and_not1_b32 vcc_lo, exec_lo, s46
	s_mov_b32 s46, 0
	s_cbranch_vccnz .LBB142_1674
; %bb.1666:
	s_cmp_gt_i32 s44, 14
	s_cbranch_scc0 .LBB142_1669
; %bb.1667:
	s_cmp_eq_u32 s44, 15
	s_cbranch_scc0 .LBB142_1670
; %bb.1668:
	global_load_u16 v0, v[4:5], off
	s_mov_b32 s45, 0
	s_mov_b32 s47, -1
	s_wait_loadcnt 0x0
	v_lshlrev_b32_e32 v0, 16, v0
	s_delay_alu instid0(VALU_DEP_1)
	v_cvt_f64_f32_e32 v[0:1], v0
	s_branch .LBB142_1672
.LBB142_1669:
	s_mov_b32 s46, -1
	s_branch .LBB142_1671
.LBB142_1670:
	s_mov_b32 s45, -1
.LBB142_1671:
                                        ; implicit-def: $vgpr0_vgpr1
.LBB142_1672:
	s_and_b32 vcc_lo, exec_lo, s46
	s_mov_b32 s46, 0
	s_cbranch_vccz .LBB142_1674
; %bb.1673:
	s_cmp_lg_u32 s44, 11
	s_mov_b32 s46, -1
	s_cselect_b32 s44, -1, 0
	s_and_not1_b32 s45, s45, exec_lo
	s_and_b32 s44, s44, exec_lo
	s_delay_alu instid0(SALU_CYCLE_1)
	s_or_b32 s45, s45, s44
.LBB142_1674:
	v_mov_b64_e32 v[2:3], 0
.LBB142_1675:
	s_mov_b32 s44, 0
.LBB142_1676:
	s_and_not1_b32 s48, s40, exec_lo
	s_and_b32 s45, s45, exec_lo
	s_and_b32 s49, s47, exec_lo
	;; [unrolled: 1-line block ×4, first 2 shown]
	s_or_b32 s48, s48, s45
.LBB142_1677:
	s_wait_xcnt 0x0
	s_or_b32 exec_lo, exec_lo, s28
	s_delay_alu instid0(SALU_CYCLE_1)
	s_and_not1_b32 s28, s40, exec_lo
	s_and_b32 s40, s48, exec_lo
	s_and_b32 s46, s49, exec_lo
	;; [unrolled: 1-line block ×4, first 2 shown]
	s_or_b32 s40, s28, s40
.LBB142_1678:
	s_or_b32 exec_lo, exec_lo, s39
	s_delay_alu instid0(SALU_CYCLE_1)
	s_and_not1_b32 s28, s35, exec_lo
	s_and_b32 s35, s43, exec_lo
	s_and_not1_b32 s37, s37, exec_lo
	s_or_b32 s35, s28, s35
	s_and_not1_b32 s28, s36, exec_lo
	s_and_b32 s36, s42, exec_lo
	s_and_b32 s39, s41, exec_lo
	s_or_b32 s36, s28, s36
	s_and_not1_b32 s28, s34, exec_lo
	s_and_b32 s34, s40, exec_lo
	s_or_b32 s37, s37, s39
	s_and_b32 s42, s46, exec_lo
	s_and_b32 s41, s45, exec_lo
	s_and_b32 s39, s44, exec_lo
	s_or_b32 s34, s28, s34
.LBB142_1679:
	s_or_b32 exec_lo, exec_lo, s38
	s_delay_alu instid0(SALU_CYCLE_1)
	s_and_not1_b32 s27, s27, exec_lo
	s_and_b32 s28, s35, exec_lo
	s_and_not1_b32 s30, s30, exec_lo
	s_or_b32 s27, s27, s28
	s_and_not1_b32 s28, s29, exec_lo
	s_and_b32 s29, s36, exec_lo
	s_and_b32 s35, s37, exec_lo
	s_or_b32 s29, s28, s29
	s_and_not1_b32 s28, s31, exec_lo
	s_and_b32 s31, s34, exec_lo
	s_or_b32 s30, s30, s35
	s_and_b32 s35, s42, exec_lo
	s_and_b32 s36, s41, exec_lo
	;; [unrolled: 1-line block ×3, first 2 shown]
	s_or_b32 s31, s28, s31
	s_or_b32 exec_lo, exec_lo, s33
	s_mov_b32 s28, 0
	s_and_saveexec_b32 s33, s31
	s_cbranch_execz .LBB142_528
.LBB142_1680:
	s_mov_b32 s28, exec_lo
	s_and_not1_b32 s34, s34, exec_lo
	s_trap 2
	s_or_b32 exec_lo, exec_lo, s33
	s_and_saveexec_b32 s31, s34
	s_delay_alu instid0(SALU_CYCLE_1)
	s_xor_b32 s31, exec_lo, s31
	s_cbranch_execz .LBB142_529
.LBB142_1681:
	s_wait_loadcnt 0x0
	global_load_u8 v0, v[4:5], off
	v_mov_b64_e32 v[2:3], 0
	s_or_b32 s35, s35, exec_lo
	s_wait_loadcnt 0x0
	v_cmp_ne_u16_e32 vcc_lo, 0, v0
	v_mov_b32_e32 v0, 0
	v_cndmask_b32_e64 v1, 0, 0x3ff00000, vcc_lo
	s_wait_xcnt 0x0
	s_or_b32 exec_lo, exec_lo, s31
	s_and_saveexec_b32 s31, s36
	s_cbranch_execz .LBB142_1729
.LBB142_1682:
	s_sext_i32_i16 s33, s0
	s_delay_alu instid0(SALU_CYCLE_1)
	s_cmp_lt_i32 s33, 5
	s_cbranch_scc1 .LBB142_1687
; %bb.1683:
	s_cmp_lt_i32 s33, 8
	s_cbranch_scc1 .LBB142_1688
; %bb.1684:
	;; [unrolled: 3-line block ×3, first 2 shown]
	s_cmp_gt_i32 s33, 9
	s_cbranch_scc0 .LBB142_1690
; %bb.1686:
	s_wait_loadcnt 0x0
	global_load_b128 v[0:3], v[4:5], off
	s_mov_b32 s33, 0
	s_branch .LBB142_1691
.LBB142_1687:
                                        ; implicit-def: $vgpr2_vgpr3
	s_branch .LBB142_1709
.LBB142_1688:
                                        ; implicit-def: $vgpr2_vgpr3
	s_branch .LBB142_1697
.LBB142_1689:
	s_mov_b32 s33, -1
                                        ; implicit-def: $vgpr2_vgpr3
	s_branch .LBB142_1694
.LBB142_1690:
	s_mov_b32 s33, -1
                                        ; implicit-def: $vgpr2_vgpr3
.LBB142_1691:
	s_delay_alu instid0(SALU_CYCLE_1)
	s_and_not1_b32 vcc_lo, exec_lo, s33
	s_cbranch_vccnz .LBB142_1693
; %bb.1692:
	s_wait_loadcnt 0x0
	global_load_b64 v[2:3], v[4:5], off
	s_wait_loadcnt 0x0
	v_cvt_f64_f32_e32 v[0:1], v2
	v_cvt_f64_f32_e32 v[2:3], v3
.LBB142_1693:
	s_mov_b32 s33, 0
.LBB142_1694:
	s_delay_alu instid0(SALU_CYCLE_1)
	s_and_not1_b32 vcc_lo, exec_lo, s33
	s_cbranch_vccnz .LBB142_1696
; %bb.1695:
	s_wait_loadcnt 0x0
	global_load_b32 v0, v[4:5], off
	s_wait_loadcnt 0x0
	v_lshrrev_b32_e32 v1, 16, v0
	v_cvt_f32_f16_e32 v0, v0
	s_delay_alu instid0(VALU_DEP_2) | instskip(NEXT) | instid1(VALU_DEP_2)
	v_cvt_f32_f16_e32 v2, v1
	v_cvt_f64_f32_e32 v[0:1], v0
	s_delay_alu instid0(VALU_DEP_2)
	v_cvt_f64_f32_e32 v[2:3], v2
.LBB142_1696:
	s_cbranch_execnz .LBB142_1708
.LBB142_1697:
	s_sext_i32_i16 s33, s0
	s_delay_alu instid0(SALU_CYCLE_1)
	s_cmp_lt_i32 s33, 6
	s_cbranch_scc1 .LBB142_1700
; %bb.1698:
	s_cmp_gt_i32 s33, 6
	s_cbranch_scc0 .LBB142_1701
; %bb.1699:
	s_wait_loadcnt 0x0
	global_load_b64 v[0:1], v[4:5], off
	s_mov_b32 s33, 0
	s_branch .LBB142_1702
.LBB142_1700:
	s_mov_b32 s33, -1
                                        ; implicit-def: $vgpr0_vgpr1
	s_branch .LBB142_1705
.LBB142_1701:
	s_mov_b32 s33, -1
                                        ; implicit-def: $vgpr0_vgpr1
.LBB142_1702:
	s_delay_alu instid0(SALU_CYCLE_1)
	s_and_not1_b32 vcc_lo, exec_lo, s33
	s_cbranch_vccnz .LBB142_1704
; %bb.1703:
	s_wait_loadcnt 0x0
	global_load_b32 v0, v[4:5], off
	s_wait_loadcnt 0x0
	v_cvt_f64_f32_e32 v[0:1], v0
.LBB142_1704:
	s_mov_b32 s33, 0
.LBB142_1705:
	s_delay_alu instid0(SALU_CYCLE_1)
	s_and_not1_b32 vcc_lo, exec_lo, s33
	s_cbranch_vccnz .LBB142_1707
; %bb.1706:
	s_wait_loadcnt 0x0
	global_load_u16 v0, v[4:5], off
	s_wait_loadcnt 0x0
	v_cvt_f32_f16_e32 v0, v0
	s_delay_alu instid0(VALU_DEP_1)
	v_cvt_f64_f32_e32 v[0:1], v0
.LBB142_1707:
	s_wait_loadcnt 0x0
	v_mov_b64_e32 v[2:3], 0
.LBB142_1708:
	s_cbranch_execnz .LBB142_1728
.LBB142_1709:
	s_sext_i32_i16 s33, s0
	s_delay_alu instid0(SALU_CYCLE_1)
	s_cmp_lt_i32 s33, 2
	s_cbranch_scc1 .LBB142_1713
; %bb.1710:
	s_cmp_lt_i32 s33, 3
	s_cbranch_scc1 .LBB142_1714
; %bb.1711:
	s_cmp_gt_i32 s33, 3
	s_cbranch_scc0 .LBB142_1715
; %bb.1712:
	s_wait_loadcnt 0x0
	global_load_b64 v[0:1], v[4:5], off
	s_mov_b32 s33, 0
	s_wait_loadcnt 0x0
	v_cvt_f64_i32_e32 v[2:3], v1
	v_cvt_f64_u32_e32 v[0:1], v0
	s_delay_alu instid0(VALU_DEP_2) | instskip(NEXT) | instid1(VALU_DEP_1)
	v_ldexp_f64 v[2:3], v[2:3], 32
	v_add_f64_e32 v[0:1], v[2:3], v[0:1]
	s_branch .LBB142_1716
.LBB142_1713:
                                        ; implicit-def: $vgpr0_vgpr1
	s_branch .LBB142_1722
.LBB142_1714:
	s_mov_b32 s33, -1
                                        ; implicit-def: $vgpr0_vgpr1
	s_branch .LBB142_1719
.LBB142_1715:
	s_mov_b32 s33, -1
                                        ; implicit-def: $vgpr0_vgpr1
.LBB142_1716:
	s_delay_alu instid0(SALU_CYCLE_1)
	s_and_not1_b32 vcc_lo, exec_lo, s33
	s_cbranch_vccnz .LBB142_1718
; %bb.1717:
	s_wait_loadcnt 0x0
	global_load_b32 v0, v[4:5], off
	s_wait_loadcnt 0x0
	v_cvt_f64_i32_e32 v[0:1], v0
.LBB142_1718:
	s_mov_b32 s33, 0
.LBB142_1719:
	s_delay_alu instid0(SALU_CYCLE_1)
	s_and_not1_b32 vcc_lo, exec_lo, s33
	s_cbranch_vccnz .LBB142_1721
; %bb.1720:
	s_wait_loadcnt 0x0
	global_load_i16 v0, v[4:5], off
	s_wait_loadcnt 0x0
	v_cvt_f64_i32_e32 v[0:1], v0
.LBB142_1721:
	s_cbranch_execnz .LBB142_1727
.LBB142_1722:
	s_sext_i32_i16 s0, s0
	s_delay_alu instid0(SALU_CYCLE_1)
	s_cmp_gt_i32 s0, 0
	s_mov_b32 s0, 0
	s_cbranch_scc0 .LBB142_1724
; %bb.1723:
	s_wait_loadcnt 0x0
	global_load_i8 v0, v[4:5], off
	s_wait_loadcnt 0x0
	v_cvt_f64_i32_e32 v[0:1], v0
	s_branch .LBB142_1725
.LBB142_1724:
	s_mov_b32 s0, -1
                                        ; implicit-def: $vgpr0_vgpr1
.LBB142_1725:
	s_delay_alu instid0(SALU_CYCLE_1)
	s_and_not1_b32 vcc_lo, exec_lo, s0
	s_cbranch_vccnz .LBB142_1727
; %bb.1726:
	s_wait_loadcnt 0x0
	global_load_u8 v0, v[4:5], off
	s_wait_loadcnt 0x0
	v_cvt_f64_u32_e32 v[0:1], v0
.LBB142_1727:
	s_wait_loadcnt 0x0
	v_mov_b64_e32 v[2:3], 0
.LBB142_1728:
	s_or_b32 s35, s35, exec_lo
.LBB142_1729:
	s_wait_xcnt 0x0
	s_or_b32 exec_lo, exec_lo, s31
	s_mov_b32 s34, 0
	s_mov_b32 s36, 0
	;; [unrolled: 1-line block ×3, first 2 shown]
                                        ; implicit-def: $sgpr0
                                        ; implicit-def: $vgpr8_vgpr9
                                        ; implicit-def: $vgpr6_vgpr7
	s_and_saveexec_b32 s31, s35
	s_cbranch_execnz .LBB142_1733
; %bb.1730:
	s_or_b32 exec_lo, exec_lo, s31
	s_and_saveexec_b32 s31, s30
	s_cbranch_execnz .LBB142_1809
.LBB142_1731:
	s_or_b32 exec_lo, exec_lo, s31
	s_and_saveexec_b32 s30, s34
	s_delay_alu instid0(SALU_CYCLE_1)
	s_xor_b32 s30, exec_lo, s30
	s_cbranch_execnz .LBB142_1810
.LBB142_1732:
	s_or_b32 exec_lo, exec_lo, s30
	s_and_saveexec_b32 s30, s36
	s_cbranch_execnz .LBB142_1811
	s_branch .LBB142_1858
.LBB142_1733:
	s_wait_loadcnt 0x0
	v_mul_lo_u32 v4, v50, s22
	s_and_b32 s0, s3, 0xff
	s_delay_alu instid0(SALU_CYCLE_1) | instskip(NEXT) | instid1(VALU_DEP_1)
	s_cmp_lt_i32 s0, 11
	v_ashrrev_i32_e32 v5, 31, v4
	s_delay_alu instid0(VALU_DEP_1)
	v_add_nc_u64_e32 v[8:9], s[8:9], v[4:5]
	s_cbranch_scc1 .LBB142_1740
; %bb.1734:
	s_and_b32 s33, 0xffff, s0
	s_mov_b32 s35, 0
	s_cmp_gt_i32 s33, 25
	s_cbranch_scc0 .LBB142_1741
; %bb.1735:
	s_cmp_gt_i32 s33, 28
	s_cbranch_scc0 .LBB142_1742
; %bb.1736:
	;; [unrolled: 3-line block ×4, first 2 shown]
	s_cmp_eq_u32 s33, 46
	s_mov_b32 s37, 0
	s_cbranch_scc0 .LBB142_1745
; %bb.1739:
	global_load_b32 v4, v[8:9], off
	s_mov_b32 s36, -1
	s_wait_loadcnt 0x0
	v_lshlrev_b32_e32 v5, 16, v4
	v_and_b32_e32 v6, 0xffff0000, v4
	s_delay_alu instid0(VALU_DEP_2) | instskip(NEXT) | instid1(VALU_DEP_2)
	v_cvt_f64_f32_e32 v[4:5], v5
	v_cvt_f64_f32_e32 v[6:7], v6
	s_branch .LBB142_1747
.LBB142_1740:
	s_mov_b32 s37, -1
	s_mov_b32 s35, 0
	s_mov_b32 s34, s30
                                        ; implicit-def: $vgpr6_vgpr7
	s_branch .LBB142_1808
.LBB142_1741:
	s_mov_b32 s34, s30
                                        ; implicit-def: $vgpr6_vgpr7
	s_cbranch_execnz .LBB142_1776
	s_branch .LBB142_1807
.LBB142_1742:
	s_mov_b32 s37, -1
	s_mov_b32 s34, s30
                                        ; implicit-def: $vgpr6_vgpr7
	s_branch .LBB142_1759
.LBB142_1743:
	s_mov_b32 s37, -1
	s_mov_b32 s34, s30
                                        ; implicit-def: $vgpr6_vgpr7
	s_branch .LBB142_1753
.LBB142_1744:
	s_mov_b32 s37, -1
	s_mov_b32 s34, s30
	s_branch .LBB142_1746
.LBB142_1745:
	s_mov_b32 s34, -1
.LBB142_1746:
                                        ; implicit-def: $vgpr6_vgpr7
.LBB142_1747:
	s_and_b32 vcc_lo, exec_lo, s37
	s_cbranch_vccz .LBB142_1752
; %bb.1748:
	s_cmp_eq_u32 s33, 44
	s_cbranch_scc0 .LBB142_1750
; %bb.1749:
	global_load_u8 v6, v[8:9], off
	s_mov_b32 s34, 0
	s_mov_b32 s36, -1
	s_wait_loadcnt 0x0
	v_cmp_ne_u32_e32 vcc_lo, 0xff, v6
	v_lshlrev_b32_e32 v4, 23, v6
	s_delay_alu instid0(VALU_DEP_1) | instskip(NEXT) | instid1(VALU_DEP_1)
	v_cvt_f64_f32_e32 v[4:5], v4
	v_cndmask_b32_e32 v4, 0x20000000, v4, vcc_lo
	s_delay_alu instid0(VALU_DEP_2) | instskip(SKIP_1) | instid1(VALU_DEP_2)
	v_cndmask_b32_e32 v5, 0x7ff80000, v5, vcc_lo
	v_cmp_ne_u32_e32 vcc_lo, 0, v6
	v_cndmask_b32_e32 v5, 0x38000000, v5, vcc_lo
	s_delay_alu instid0(VALU_DEP_4)
	v_cndmask_b32_e32 v4, 0, v4, vcc_lo
	s_branch .LBB142_1751
.LBB142_1750:
	s_mov_b32 s34, -1
                                        ; implicit-def: $vgpr4_vgpr5
.LBB142_1751:
	v_mov_b64_e32 v[6:7], 0
.LBB142_1752:
	s_mov_b32 s37, 0
.LBB142_1753:
	s_delay_alu instid0(SALU_CYCLE_1)
	s_and_b32 vcc_lo, exec_lo, s37
	s_cbranch_vccz .LBB142_1758
; %bb.1754:
	s_cmp_eq_u32 s33, 29
	s_cbranch_scc0 .LBB142_1756
; %bb.1755:
	global_load_b64 v[4:5], v[8:9], off
	s_mov_b32 s34, 0
	s_mov_b32 s36, -1
	s_wait_loadcnt 0x0
	v_cvt_f64_u32_e32 v[6:7], v5
	v_cvt_f64_u32_e32 v[4:5], v4
	s_delay_alu instid0(VALU_DEP_2) | instskip(NEXT) | instid1(VALU_DEP_1)
	v_ldexp_f64 v[6:7], v[6:7], 32
	v_add_f64_e32 v[4:5], v[6:7], v[4:5]
	s_branch .LBB142_1757
.LBB142_1756:
	s_mov_b32 s34, -1
                                        ; implicit-def: $vgpr4_vgpr5
.LBB142_1757:
	v_mov_b64_e32 v[6:7], 0
.LBB142_1758:
	s_mov_b32 s37, 0
.LBB142_1759:
	s_delay_alu instid0(SALU_CYCLE_1)
	s_and_b32 vcc_lo, exec_lo, s37
	s_cbranch_vccz .LBB142_1775
; %bb.1760:
	s_cmp_lt_i32 s33, 27
	s_cbranch_scc1 .LBB142_1763
; %bb.1761:
	s_cmp_gt_i32 s33, 27
	s_cbranch_scc0 .LBB142_1764
; %bb.1762:
	global_load_b32 v4, v[8:9], off
	s_mov_b32 s36, 0
	s_wait_loadcnt 0x0
	v_cvt_f64_u32_e32 v[4:5], v4
	s_branch .LBB142_1765
.LBB142_1763:
	s_mov_b32 s36, -1
                                        ; implicit-def: $vgpr4_vgpr5
	s_branch .LBB142_1768
.LBB142_1764:
	s_mov_b32 s36, -1
                                        ; implicit-def: $vgpr4_vgpr5
.LBB142_1765:
	s_delay_alu instid0(SALU_CYCLE_1)
	s_and_not1_b32 vcc_lo, exec_lo, s36
	s_cbranch_vccnz .LBB142_1767
; %bb.1766:
	global_load_u16 v4, v[8:9], off
	s_wait_loadcnt 0x0
	v_cvt_f64_u32_e32 v[4:5], v4
.LBB142_1767:
	s_mov_b32 s36, 0
.LBB142_1768:
	s_delay_alu instid0(SALU_CYCLE_1)
	s_and_not1_b32 vcc_lo, exec_lo, s36
	s_cbranch_vccnz .LBB142_1774
; %bb.1769:
	global_load_u8 v6, v[8:9], off
	s_mov_b32 s36, 0
	s_mov_b32 s37, exec_lo
	s_wait_loadcnt 0x0
	v_cmpx_lt_i16_e32 0x7f, v6
	s_xor_b32 s37, exec_lo, s37
	s_cbranch_execnz .LBB142_1786
; %bb.1770:
	s_or_saveexec_b32 s37, s37
	v_mov_b64_e32 v[4:5], 0x7ff8000020000000
	s_xor_b32 exec_lo, exec_lo, s37
	s_cbranch_execnz .LBB142_1789
.LBB142_1771:
	s_or_b32 exec_lo, exec_lo, s37
	s_and_saveexec_b32 s37, s36
	s_cbranch_execz .LBB142_1773
.LBB142_1772:
	v_and_b32_e32 v4, 0xffff, v6
	s_delay_alu instid0(VALU_DEP_1) | instskip(SKIP_1) | instid1(VALU_DEP_2)
	v_and_b32_e32 v5, 7, v4
	v_bfe_u32 v11, v4, 3, 4
	v_clz_i32_u32_e32 v7, v5
	s_delay_alu instid0(VALU_DEP_2) | instskip(NEXT) | instid1(VALU_DEP_2)
	v_cmp_eq_u32_e32 vcc_lo, 0, v11
	v_min_u32_e32 v7, 32, v7
	s_delay_alu instid0(VALU_DEP_1) | instskip(NEXT) | instid1(VALU_DEP_1)
	v_subrev_nc_u32_e32 v10, 28, v7
	v_dual_lshlrev_b32 v4, v10, v4 :: v_dual_sub_nc_u32 v7, 29, v7
	s_delay_alu instid0(VALU_DEP_1) | instskip(NEXT) | instid1(VALU_DEP_1)
	v_dual_lshlrev_b32 v6, 24, v6 :: v_dual_bitop2_b32 v4, 7, v4 bitop3:0x40
	v_dual_cndmask_b32 v7, v11, v7 :: v_dual_cndmask_b32 v4, v5, v4
	s_delay_alu instid0(VALU_DEP_2) | instskip(NEXT) | instid1(VALU_DEP_2)
	v_and_b32_e32 v5, 0x80000000, v6
	v_lshl_add_u32 v6, v7, 23, 0x3b800000
	s_delay_alu instid0(VALU_DEP_3) | instskip(NEXT) | instid1(VALU_DEP_1)
	v_lshlrev_b32_e32 v4, 20, v4
	v_or3_b32 v4, v5, v6, v4
	s_delay_alu instid0(VALU_DEP_1)
	v_cvt_f64_f32_e32 v[4:5], v4
.LBB142_1773:
	s_or_b32 exec_lo, exec_lo, s37
.LBB142_1774:
	v_mov_b64_e32 v[6:7], 0
	s_mov_b32 s36, -1
.LBB142_1775:
	s_branch .LBB142_1807
.LBB142_1776:
	s_cmp_gt_i32 s33, 22
	s_cbranch_scc0 .LBB142_1784
; %bb.1777:
	s_cmp_lt_i32 s33, 24
	s_cbranch_scc1 .LBB142_1785
; %bb.1778:
	s_cmp_gt_i32 s33, 24
	s_cbranch_scc0 .LBB142_1790
; %bb.1779:
	global_load_u8 v6, v[8:9], off
	s_mov_b32 s36, exec_lo
	s_wait_loadcnt 0x0
	v_cmpx_lt_i16_e32 0x7f, v6
	s_xor_b32 s36, exec_lo, s36
	s_cbranch_execnz .LBB142_1874
; %bb.1780:
	s_or_saveexec_b32 s36, s36
	v_mov_b64_e32 v[4:5], 0x7ff8000020000000
	s_xor_b32 exec_lo, exec_lo, s36
	s_cbranch_execnz .LBB142_1877
.LBB142_1781:
	s_or_b32 exec_lo, exec_lo, s36
	s_and_saveexec_b32 s36, s35
	s_cbranch_execz .LBB142_1783
.LBB142_1782:
	v_and_b32_e32 v4, 0xffff, v6
	s_delay_alu instid0(VALU_DEP_1) | instskip(SKIP_1) | instid1(VALU_DEP_2)
	v_and_b32_e32 v5, 3, v4
	v_bfe_u32 v11, v4, 2, 5
	v_clz_i32_u32_e32 v7, v5
	s_delay_alu instid0(VALU_DEP_2) | instskip(NEXT) | instid1(VALU_DEP_2)
	v_cmp_eq_u32_e32 vcc_lo, 0, v11
	v_min_u32_e32 v7, 32, v7
	s_delay_alu instid0(VALU_DEP_1) | instskip(NEXT) | instid1(VALU_DEP_1)
	v_subrev_nc_u32_e32 v10, 29, v7
	v_dual_lshlrev_b32 v4, v10, v4 :: v_dual_sub_nc_u32 v7, 30, v7
	s_delay_alu instid0(VALU_DEP_1) | instskip(NEXT) | instid1(VALU_DEP_1)
	v_dual_lshlrev_b32 v6, 24, v6 :: v_dual_bitop2_b32 v4, 3, v4 bitop3:0x40
	v_dual_cndmask_b32 v7, v11, v7 :: v_dual_cndmask_b32 v4, v5, v4
	s_delay_alu instid0(VALU_DEP_2) | instskip(NEXT) | instid1(VALU_DEP_2)
	v_and_b32_e32 v5, 0x80000000, v6
	v_lshl_add_u32 v6, v7, 23, 0x37800000
	s_delay_alu instid0(VALU_DEP_3) | instskip(NEXT) | instid1(VALU_DEP_1)
	v_lshlrev_b32_e32 v4, 21, v4
	v_or3_b32 v4, v5, v6, v4
	s_delay_alu instid0(VALU_DEP_1)
	v_cvt_f64_f32_e32 v[4:5], v4
.LBB142_1783:
	s_or_b32 exec_lo, exec_lo, s36
	s_mov_b32 s35, 0
	s_branch .LBB142_1791
.LBB142_1784:
	s_mov_b32 s35, -1
                                        ; implicit-def: $vgpr4_vgpr5
	s_branch .LBB142_1797
.LBB142_1785:
	s_mov_b32 s35, -1
                                        ; implicit-def: $vgpr4_vgpr5
	s_branch .LBB142_1794
.LBB142_1786:
	s_mov_b32 s36, -1
	s_mov_b32 s38, exec_lo
	v_cmpx_eq_u16_e32 0x80, v6
; %bb.1787:
	s_xor_b32 s36, exec_lo, -1
; %bb.1788:
	s_or_b32 exec_lo, exec_lo, s38
	s_delay_alu instid0(SALU_CYCLE_1)
	s_and_b32 s36, s36, exec_lo
	s_or_saveexec_b32 s37, s37
	v_mov_b64_e32 v[4:5], 0x7ff8000020000000
	s_xor_b32 exec_lo, exec_lo, s37
	s_cbranch_execz .LBB142_1771
.LBB142_1789:
	v_cmp_ne_u16_e32 vcc_lo, 0, v6
	v_mov_b64_e32 v[4:5], 0
	s_and_not1_b32 s36, s36, exec_lo
	s_and_b32 s38, vcc_lo, exec_lo
	s_delay_alu instid0(SALU_CYCLE_1)
	s_or_b32 s36, s36, s38
	s_or_b32 exec_lo, exec_lo, s37
	s_and_saveexec_b32 s37, s36
	s_cbranch_execnz .LBB142_1772
	s_branch .LBB142_1773
.LBB142_1790:
	s_mov_b32 s35, -1
                                        ; implicit-def: $vgpr4_vgpr5
.LBB142_1791:
	s_delay_alu instid0(SALU_CYCLE_1)
	s_and_b32 vcc_lo, exec_lo, s35
	s_cbranch_vccz .LBB142_1793
; %bb.1792:
	global_load_u8 v4, v[8:9], off
	s_wait_loadcnt 0x0
	v_lshlrev_b32_e32 v4, 24, v4
	s_delay_alu instid0(VALU_DEP_1) | instskip(NEXT) | instid1(VALU_DEP_1)
	v_and_b32_e32 v5, 0x7f000000, v4
	v_clz_i32_u32_e32 v6, v5
	v_cmp_ne_u32_e32 vcc_lo, 0, v5
	v_add_nc_u32_e32 v10, 0x1000000, v5
	s_delay_alu instid0(VALU_DEP_3) | instskip(NEXT) | instid1(VALU_DEP_1)
	v_min_u32_e32 v6, 32, v6
	v_sub_nc_u32_e64 v6, v6, 4 clamp
	s_delay_alu instid0(VALU_DEP_1) | instskip(NEXT) | instid1(VALU_DEP_1)
	v_dual_lshlrev_b32 v7, v6, v5 :: v_dual_lshlrev_b32 v6, 23, v6
	v_lshrrev_b32_e32 v7, 4, v7
	s_delay_alu instid0(VALU_DEP_1) | instskip(SKIP_1) | instid1(VALU_DEP_2)
	v_sub_nc_u32_e32 v6, v7, v6
	v_ashrrev_i32_e32 v7, 8, v10
	v_add_nc_u32_e32 v6, 0x3c000000, v6
	s_delay_alu instid0(VALU_DEP_1) | instskip(NEXT) | instid1(VALU_DEP_1)
	v_and_or_b32 v6, 0x7f800000, v7, v6
	v_cndmask_b32_e32 v5, 0, v6, vcc_lo
	s_delay_alu instid0(VALU_DEP_1) | instskip(NEXT) | instid1(VALU_DEP_1)
	v_and_or_b32 v4, 0x80000000, v4, v5
	v_cvt_f64_f32_e32 v[4:5], v4
.LBB142_1793:
	s_mov_b32 s35, 0
.LBB142_1794:
	s_delay_alu instid0(SALU_CYCLE_1)
	s_and_not1_b32 vcc_lo, exec_lo, s35
	s_cbranch_vccnz .LBB142_1796
; %bb.1795:
	global_load_u8 v4, v[8:9], off
	s_wait_loadcnt 0x0
	v_lshlrev_b32_e32 v5, 25, v4
	v_lshlrev_b16 v4, 8, v4
	s_delay_alu instid0(VALU_DEP_1) | instskip(SKIP_1) | instid1(VALU_DEP_2)
	v_and_or_b32 v7, 0x7f00, v4, 0.5
	v_bfe_i32 v4, v4, 0, 16
	v_dual_add_f32 v7, -0.5, v7 :: v_dual_lshrrev_b32 v6, 4, v5
	v_cmp_gt_u32_e32 vcc_lo, 0x8000000, v5
	s_delay_alu instid0(VALU_DEP_2) | instskip(NEXT) | instid1(VALU_DEP_1)
	v_or_b32_e32 v6, 0x70000000, v6
	v_mul_f32_e32 v6, 0x7800000, v6
	s_delay_alu instid0(VALU_DEP_1) | instskip(NEXT) | instid1(VALU_DEP_1)
	v_cndmask_b32_e32 v5, v6, v7, vcc_lo
	v_and_or_b32 v4, 0x80000000, v4, v5
	s_delay_alu instid0(VALU_DEP_1)
	v_cvt_f64_f32_e32 v[4:5], v4
.LBB142_1796:
	s_mov_b32 s35, 0
	s_mov_b32 s36, -1
.LBB142_1797:
	s_and_not1_b32 vcc_lo, exec_lo, s35
	s_mov_b32 s35, 0
	s_cbranch_vccnz .LBB142_1806
; %bb.1798:
	s_cmp_gt_i32 s33, 14
	s_cbranch_scc0 .LBB142_1801
; %bb.1799:
	s_cmp_eq_u32 s33, 15
	s_cbranch_scc0 .LBB142_1802
; %bb.1800:
	global_load_u16 v4, v[8:9], off
	s_mov_b32 s34, 0
	s_mov_b32 s36, -1
	s_wait_loadcnt 0x0
	v_lshlrev_b32_e32 v4, 16, v4
	s_delay_alu instid0(VALU_DEP_1)
	v_cvt_f64_f32_e32 v[4:5], v4
	s_branch .LBB142_1804
.LBB142_1801:
	s_mov_b32 s35, -1
	s_branch .LBB142_1803
.LBB142_1802:
	s_mov_b32 s34, -1
.LBB142_1803:
                                        ; implicit-def: $vgpr4_vgpr5
.LBB142_1804:
	s_and_b32 vcc_lo, exec_lo, s35
	s_mov_b32 s35, 0
	s_cbranch_vccz .LBB142_1806
; %bb.1805:
	s_cmp_lg_u32 s33, 11
	s_mov_b32 s35, -1
	s_cselect_b32 s33, -1, 0
	s_and_not1_b32 s34, s34, exec_lo
	s_and_b32 s33, s33, exec_lo
	s_delay_alu instid0(SALU_CYCLE_1)
	s_or_b32 s34, s34, s33
.LBB142_1806:
	v_mov_b64_e32 v[6:7], 0
.LBB142_1807:
	s_mov_b32 s37, 0
.LBB142_1808:
	s_and_b32 s33, s36, exec_lo
	s_and_b32 s36, s37, exec_lo
	s_and_not1_b32 s30, s30, exec_lo
	s_and_b32 s37, s34, exec_lo
	s_and_b32 s34, s35, exec_lo
	s_or_b32 s30, s30, s37
	s_wait_xcnt 0x0
	s_or_b32 exec_lo, exec_lo, s31
	s_and_saveexec_b32 s31, s30
	s_cbranch_execz .LBB142_1731
.LBB142_1809:
	s_or_b32 s28, s28, exec_lo
	s_and_not1_b32 s34, s34, exec_lo
	s_trap 2
	s_or_b32 exec_lo, exec_lo, s31
	s_and_saveexec_b32 s30, s34
	s_delay_alu instid0(SALU_CYCLE_1)
	s_xor_b32 s30, exec_lo, s30
	s_cbranch_execz .LBB142_1732
.LBB142_1810:
	s_wait_loadcnt 0x0
	global_load_u8 v4, v[8:9], off
	v_mov_b64_e32 v[6:7], 0
	s_or_b32 s33, s33, exec_lo
	s_wait_loadcnt 0x0
	v_cmp_ne_u16_e32 vcc_lo, 0, v4
	v_mov_b32_e32 v4, 0
	v_cndmask_b32_e64 v5, 0, 0x3ff00000, vcc_lo
	s_wait_xcnt 0x0
	s_or_b32 exec_lo, exec_lo, s30
	s_and_saveexec_b32 s30, s36
	s_cbranch_execz .LBB142_1858
.LBB142_1811:
	s_sext_i32_i16 s31, s0
	s_delay_alu instid0(SALU_CYCLE_1)
	s_cmp_lt_i32 s31, 5
	s_cbranch_scc1 .LBB142_1816
; %bb.1812:
	s_cmp_lt_i32 s31, 8
	s_cbranch_scc1 .LBB142_1817
; %bb.1813:
	;; [unrolled: 3-line block ×3, first 2 shown]
	s_cmp_gt_i32 s31, 9
	s_cbranch_scc0 .LBB142_1819
; %bb.1815:
	s_wait_loadcnt 0x0
	global_load_b128 v[4:7], v[8:9], off
	s_mov_b32 s31, 0
	s_branch .LBB142_1820
.LBB142_1816:
                                        ; implicit-def: $vgpr6_vgpr7
	s_branch .LBB142_1838
.LBB142_1817:
                                        ; implicit-def: $vgpr6_vgpr7
	s_branch .LBB142_1826
.LBB142_1818:
	s_mov_b32 s31, -1
                                        ; implicit-def: $vgpr6_vgpr7
	s_branch .LBB142_1823
.LBB142_1819:
	s_mov_b32 s31, -1
                                        ; implicit-def: $vgpr6_vgpr7
.LBB142_1820:
	s_delay_alu instid0(SALU_CYCLE_1)
	s_and_not1_b32 vcc_lo, exec_lo, s31
	s_cbranch_vccnz .LBB142_1822
; %bb.1821:
	s_wait_loadcnt 0x0
	global_load_b64 v[6:7], v[8:9], off
	s_wait_loadcnt 0x0
	v_cvt_f64_f32_e32 v[4:5], v6
	v_cvt_f64_f32_e32 v[6:7], v7
.LBB142_1822:
	s_mov_b32 s31, 0
.LBB142_1823:
	s_delay_alu instid0(SALU_CYCLE_1)
	s_and_not1_b32 vcc_lo, exec_lo, s31
	s_cbranch_vccnz .LBB142_1825
; %bb.1824:
	s_wait_loadcnt 0x0
	global_load_b32 v4, v[8:9], off
	s_wait_loadcnt 0x0
	v_lshrrev_b32_e32 v5, 16, v4
	v_cvt_f32_f16_e32 v4, v4
	s_delay_alu instid0(VALU_DEP_2) | instskip(NEXT) | instid1(VALU_DEP_2)
	v_cvt_f32_f16_e32 v6, v5
	v_cvt_f64_f32_e32 v[4:5], v4
	s_delay_alu instid0(VALU_DEP_2)
	v_cvt_f64_f32_e32 v[6:7], v6
.LBB142_1825:
	s_cbranch_execnz .LBB142_1837
.LBB142_1826:
	s_sext_i32_i16 s31, s0
	s_delay_alu instid0(SALU_CYCLE_1)
	s_cmp_lt_i32 s31, 6
	s_cbranch_scc1 .LBB142_1829
; %bb.1827:
	s_cmp_gt_i32 s31, 6
	s_cbranch_scc0 .LBB142_1830
; %bb.1828:
	s_wait_loadcnt 0x0
	global_load_b64 v[4:5], v[8:9], off
	s_mov_b32 s31, 0
	s_branch .LBB142_1831
.LBB142_1829:
	s_mov_b32 s31, -1
                                        ; implicit-def: $vgpr4_vgpr5
	s_branch .LBB142_1834
.LBB142_1830:
	s_mov_b32 s31, -1
                                        ; implicit-def: $vgpr4_vgpr5
.LBB142_1831:
	s_delay_alu instid0(SALU_CYCLE_1)
	s_and_not1_b32 vcc_lo, exec_lo, s31
	s_cbranch_vccnz .LBB142_1833
; %bb.1832:
	s_wait_loadcnt 0x0
	global_load_b32 v4, v[8:9], off
	s_wait_loadcnt 0x0
	v_cvt_f64_f32_e32 v[4:5], v4
.LBB142_1833:
	s_mov_b32 s31, 0
.LBB142_1834:
	s_delay_alu instid0(SALU_CYCLE_1)
	s_and_not1_b32 vcc_lo, exec_lo, s31
	s_cbranch_vccnz .LBB142_1836
; %bb.1835:
	s_wait_loadcnt 0x0
	global_load_u16 v4, v[8:9], off
	s_wait_loadcnt 0x0
	v_cvt_f32_f16_e32 v4, v4
	s_delay_alu instid0(VALU_DEP_1)
	v_cvt_f64_f32_e32 v[4:5], v4
.LBB142_1836:
	s_wait_loadcnt 0x0
	v_mov_b64_e32 v[6:7], 0
.LBB142_1837:
	s_cbranch_execnz .LBB142_1857
.LBB142_1838:
	s_sext_i32_i16 s31, s0
	s_delay_alu instid0(SALU_CYCLE_1)
	s_cmp_lt_i32 s31, 2
	s_cbranch_scc1 .LBB142_1842
; %bb.1839:
	s_cmp_lt_i32 s31, 3
	s_cbranch_scc1 .LBB142_1843
; %bb.1840:
	s_cmp_gt_i32 s31, 3
	s_cbranch_scc0 .LBB142_1844
; %bb.1841:
	s_wait_loadcnt 0x0
	global_load_b64 v[4:5], v[8:9], off
	s_mov_b32 s31, 0
	s_wait_loadcnt 0x0
	v_cvt_f64_i32_e32 v[6:7], v5
	v_cvt_f64_u32_e32 v[4:5], v4
	s_delay_alu instid0(VALU_DEP_2) | instskip(NEXT) | instid1(VALU_DEP_1)
	v_ldexp_f64 v[6:7], v[6:7], 32
	v_add_f64_e32 v[4:5], v[6:7], v[4:5]
	s_branch .LBB142_1845
.LBB142_1842:
                                        ; implicit-def: $vgpr4_vgpr5
	s_branch .LBB142_1851
.LBB142_1843:
	s_mov_b32 s31, -1
                                        ; implicit-def: $vgpr4_vgpr5
	s_branch .LBB142_1848
.LBB142_1844:
	s_mov_b32 s31, -1
                                        ; implicit-def: $vgpr4_vgpr5
.LBB142_1845:
	s_delay_alu instid0(SALU_CYCLE_1)
	s_and_not1_b32 vcc_lo, exec_lo, s31
	s_cbranch_vccnz .LBB142_1847
; %bb.1846:
	s_wait_loadcnt 0x0
	global_load_b32 v4, v[8:9], off
	s_wait_loadcnt 0x0
	v_cvt_f64_i32_e32 v[4:5], v4
.LBB142_1847:
	s_mov_b32 s31, 0
.LBB142_1848:
	s_delay_alu instid0(SALU_CYCLE_1)
	s_and_not1_b32 vcc_lo, exec_lo, s31
	s_cbranch_vccnz .LBB142_1850
; %bb.1849:
	s_wait_loadcnt 0x0
	global_load_i16 v4, v[8:9], off
	s_wait_loadcnt 0x0
	v_cvt_f64_i32_e32 v[4:5], v4
.LBB142_1850:
	s_cbranch_execnz .LBB142_1856
.LBB142_1851:
	s_sext_i32_i16 s0, s0
	s_delay_alu instid0(SALU_CYCLE_1)
	s_cmp_gt_i32 s0, 0
	s_mov_b32 s0, 0
	s_cbranch_scc0 .LBB142_1853
; %bb.1852:
	s_wait_loadcnt 0x0
	global_load_i8 v4, v[8:9], off
	s_wait_loadcnt 0x0
	v_cvt_f64_i32_e32 v[4:5], v4
	s_branch .LBB142_1854
.LBB142_1853:
	s_mov_b32 s0, -1
                                        ; implicit-def: $vgpr4_vgpr5
.LBB142_1854:
	s_delay_alu instid0(SALU_CYCLE_1)
	s_and_not1_b32 vcc_lo, exec_lo, s0
	s_cbranch_vccnz .LBB142_1856
; %bb.1855:
	s_wait_loadcnt 0x0
	global_load_u8 v4, v[8:9], off
	s_wait_loadcnt 0x0
	v_cvt_f64_u32_e32 v[4:5], v4
.LBB142_1856:
	s_wait_loadcnt 0x0
	v_mov_b64_e32 v[6:7], 0
.LBB142_1857:
	s_or_b32 s33, s33, exec_lo
.LBB142_1858:
	s_wait_xcnt 0x0
	s_or_b32 exec_lo, exec_lo, s30
	s_mov_b32 s31, 0
	s_mov_b32 s30, 0
	;; [unrolled: 1-line block ×3, first 2 shown]
                                        ; implicit-def: $vgpr8_vgpr9
                                        ; implicit-def: $vgpr12_vgpr13
	s_and_saveexec_b32 s0, s33
	s_cbranch_execnz .LBB142_1862
; %bb.1859:
	s_or_b32 exec_lo, exec_lo, s0
	s_and_saveexec_b32 s0, s29
	s_cbranch_execnz .LBB142_1942
.LBB142_1860:
	s_or_b32 exec_lo, exec_lo, s0
	s_and_saveexec_b32 s0, s31
	s_delay_alu instid0(SALU_CYCLE_1)
	s_xor_b32 s0, exec_lo, s0
	s_cbranch_execnz .LBB142_1943
.LBB142_1861:
	s_or_b32 exec_lo, exec_lo, s0
	s_and_saveexec_b32 s0, s30
	s_cbranch_execnz .LBB142_1944
	s_branch .LBB142_1991
.LBB142_1862:
	s_wait_loadcnt 0x0
	v_mul_lo_u32 v8, v50, s23
	s_and_b32 s30, 0xffff, s1
	s_delay_alu instid0(SALU_CYCLE_1) | instskip(NEXT) | instid1(VALU_DEP_1)
	s_cmp_lt_i32 s30, 11
	v_ashrrev_i32_e32 v9, 31, v8
	s_delay_alu instid0(VALU_DEP_1)
	v_add_nc_u64_e32 v[8:9], s[10:11], v[8:9]
	s_cbranch_scc1 .LBB142_1869
; %bb.1863:
	s_cmp_gt_i32 s30, 25
	s_mov_b32 s33, 0
	s_cbranch_scc0 .LBB142_1870
; %bb.1864:
	s_cmp_gt_i32 s30, 28
	s_cbranch_scc0 .LBB142_1871
; %bb.1865:
	s_cmp_gt_i32 s30, 43
	;; [unrolled: 3-line block ×3, first 2 shown]
	s_cbranch_scc0 .LBB142_1873
; %bb.1867:
	s_cmp_eq_u32 s30, 46
	s_mov_b32 s35, 0
	s_cbranch_scc0 .LBB142_1878
; %bb.1868:
	global_load_b32 v10, v[8:9], off
	s_mov_b32 s34, -1
	s_wait_loadcnt 0x0
	v_lshlrev_b32_e32 v11, 16, v10
	v_and_b32_e32 v12, 0xffff0000, v10
	s_delay_alu instid0(VALU_DEP_2) | instskip(NEXT) | instid1(VALU_DEP_2)
	v_cvt_f64_f32_e32 v[10:11], v11
	v_cvt_f64_f32_e32 v[12:13], v12
	s_branch .LBB142_1880
.LBB142_1869:
	s_mov_b32 s30, -1
	s_mov_b32 s33, 0
	s_mov_b32 s31, s29
                                        ; implicit-def: $vgpr12_vgpr13
	s_branch .LBB142_1941
.LBB142_1870:
	s_mov_b32 s31, s29
                                        ; implicit-def: $vgpr12_vgpr13
	s_cbranch_execnz .LBB142_1909
	s_branch .LBB142_1940
.LBB142_1871:
	s_mov_b32 s35, -1
	s_mov_b32 s31, s29
                                        ; implicit-def: $vgpr12_vgpr13
	s_branch .LBB142_1892
.LBB142_1872:
	s_mov_b32 s35, -1
	s_mov_b32 s31, s29
                                        ; implicit-def: $vgpr12_vgpr13
	s_branch .LBB142_1886
.LBB142_1873:
	s_mov_b32 s35, -1
	s_mov_b32 s31, s29
	s_branch .LBB142_1879
.LBB142_1874:
	s_mov_b32 s35, -1
	s_mov_b32 s37, exec_lo
	v_cmpx_eq_u16_e32 0x80, v6
; %bb.1875:
	s_xor_b32 s35, exec_lo, -1
; %bb.1876:
	s_or_b32 exec_lo, exec_lo, s37
	s_delay_alu instid0(SALU_CYCLE_1)
	s_and_b32 s35, s35, exec_lo
	s_or_saveexec_b32 s36, s36
	v_mov_b64_e32 v[4:5], 0x7ff8000020000000
	s_xor_b32 exec_lo, exec_lo, s36
	s_cbranch_execz .LBB142_1781
.LBB142_1877:
	v_cmp_ne_u16_e32 vcc_lo, 0, v6
	v_mov_b64_e32 v[4:5], 0
	s_and_not1_b32 s35, s35, exec_lo
	s_and_b32 s37, vcc_lo, exec_lo
	s_delay_alu instid0(SALU_CYCLE_1)
	s_or_b32 s35, s35, s37
	s_or_b32 exec_lo, exec_lo, s36
	s_and_saveexec_b32 s36, s35
	s_cbranch_execnz .LBB142_1782
	s_branch .LBB142_1783
.LBB142_1878:
	s_mov_b32 s31, -1
.LBB142_1879:
                                        ; implicit-def: $vgpr12_vgpr13
.LBB142_1880:
	s_and_b32 vcc_lo, exec_lo, s35
	s_cbranch_vccz .LBB142_1885
; %bb.1881:
	s_cmp_eq_u32 s30, 44
	s_cbranch_scc0 .LBB142_1883
; %bb.1882:
	global_load_u8 v12, v[8:9], off
	s_mov_b32 s31, 0
	s_mov_b32 s34, -1
	s_wait_loadcnt 0x0
	v_cmp_ne_u32_e32 vcc_lo, 0xff, v12
	v_lshlrev_b32_e32 v10, 23, v12
	s_delay_alu instid0(VALU_DEP_1) | instskip(NEXT) | instid1(VALU_DEP_1)
	v_cvt_f64_f32_e32 v[10:11], v10
	v_cndmask_b32_e32 v10, 0x20000000, v10, vcc_lo
	s_delay_alu instid0(VALU_DEP_2) | instskip(SKIP_1) | instid1(VALU_DEP_2)
	v_cndmask_b32_e32 v11, 0x7ff80000, v11, vcc_lo
	v_cmp_ne_u32_e32 vcc_lo, 0, v12
	v_cndmask_b32_e32 v11, 0x38000000, v11, vcc_lo
	s_delay_alu instid0(VALU_DEP_4)
	v_cndmask_b32_e32 v10, 0, v10, vcc_lo
	s_branch .LBB142_1884
.LBB142_1883:
	s_mov_b32 s31, -1
                                        ; implicit-def: $vgpr10_vgpr11
.LBB142_1884:
	v_mov_b64_e32 v[12:13], 0
.LBB142_1885:
	s_mov_b32 s35, 0
.LBB142_1886:
	s_delay_alu instid0(SALU_CYCLE_1)
	s_and_b32 vcc_lo, exec_lo, s35
	s_cbranch_vccz .LBB142_1891
; %bb.1887:
	s_cmp_eq_u32 s30, 29
	s_cbranch_scc0 .LBB142_1889
; %bb.1888:
	global_load_b64 v[10:11], v[8:9], off
	s_mov_b32 s31, 0
	s_mov_b32 s34, -1
	s_wait_loadcnt 0x0
	v_cvt_f64_u32_e32 v[12:13], v11
	v_cvt_f64_u32_e32 v[10:11], v10
	s_delay_alu instid0(VALU_DEP_2) | instskip(NEXT) | instid1(VALU_DEP_1)
	v_ldexp_f64 v[12:13], v[12:13], 32
	v_add_f64_e32 v[10:11], v[12:13], v[10:11]
	s_branch .LBB142_1890
.LBB142_1889:
	s_mov_b32 s31, -1
                                        ; implicit-def: $vgpr10_vgpr11
.LBB142_1890:
	v_mov_b64_e32 v[12:13], 0
.LBB142_1891:
	s_mov_b32 s35, 0
.LBB142_1892:
	s_delay_alu instid0(SALU_CYCLE_1)
	s_and_b32 vcc_lo, exec_lo, s35
	s_cbranch_vccz .LBB142_1908
; %bb.1893:
	s_cmp_lt_i32 s30, 27
	s_cbranch_scc1 .LBB142_1896
; %bb.1894:
	s_cmp_gt_i32 s30, 27
	s_cbranch_scc0 .LBB142_1897
; %bb.1895:
	global_load_b32 v10, v[8:9], off
	s_mov_b32 s34, 0
	s_wait_loadcnt 0x0
	v_cvt_f64_u32_e32 v[10:11], v10
	s_branch .LBB142_1898
.LBB142_1896:
	s_mov_b32 s34, -1
                                        ; implicit-def: $vgpr10_vgpr11
	s_branch .LBB142_1901
.LBB142_1897:
	s_mov_b32 s34, -1
                                        ; implicit-def: $vgpr10_vgpr11
.LBB142_1898:
	s_delay_alu instid0(SALU_CYCLE_1)
	s_and_not1_b32 vcc_lo, exec_lo, s34
	s_cbranch_vccnz .LBB142_1900
; %bb.1899:
	global_load_u16 v10, v[8:9], off
	s_wait_loadcnt 0x0
	v_cvt_f64_u32_e32 v[10:11], v10
.LBB142_1900:
	s_mov_b32 s34, 0
.LBB142_1901:
	s_delay_alu instid0(SALU_CYCLE_1)
	s_and_not1_b32 vcc_lo, exec_lo, s34
	s_cbranch_vccnz .LBB142_1907
; %bb.1902:
	global_load_u8 v12, v[8:9], off
	s_mov_b32 s34, 0
	s_mov_b32 s35, exec_lo
	s_wait_loadcnt 0x0
	v_cmpx_lt_i16_e32 0x7f, v12
	s_xor_b32 s35, exec_lo, s35
	s_cbranch_execnz .LBB142_1919
; %bb.1903:
	s_or_saveexec_b32 s35, s35
	v_mov_b64_e32 v[10:11], 0x7ff8000020000000
	s_xor_b32 exec_lo, exec_lo, s35
	s_cbranch_execnz .LBB142_1922
.LBB142_1904:
	s_or_b32 exec_lo, exec_lo, s35
	s_and_saveexec_b32 s35, s34
	s_cbranch_execz .LBB142_1906
.LBB142_1905:
	v_and_b32_e32 v10, 0xffff, v12
	s_delay_alu instid0(VALU_DEP_1) | instskip(SKIP_1) | instid1(VALU_DEP_2)
	v_and_b32_e32 v11, 7, v10
	v_bfe_u32 v15, v10, 3, 4
	v_clz_i32_u32_e32 v13, v11
	s_delay_alu instid0(VALU_DEP_2) | instskip(NEXT) | instid1(VALU_DEP_2)
	v_cmp_eq_u32_e32 vcc_lo, 0, v15
	v_min_u32_e32 v13, 32, v13
	s_delay_alu instid0(VALU_DEP_1) | instskip(NEXT) | instid1(VALU_DEP_1)
	v_subrev_nc_u32_e32 v14, 28, v13
	v_dual_lshlrev_b32 v10, v14, v10 :: v_dual_sub_nc_u32 v13, 29, v13
	s_delay_alu instid0(VALU_DEP_1) | instskip(NEXT) | instid1(VALU_DEP_2)
	v_dual_lshlrev_b32 v12, 24, v12 :: v_dual_bitop2_b32 v10, 7, v10 bitop3:0x40
	v_cndmask_b32_e32 v13, v15, v13, vcc_lo
	s_delay_alu instid0(VALU_DEP_2) | instskip(NEXT) | instid1(VALU_DEP_3)
	v_cndmask_b32_e32 v10, v11, v10, vcc_lo
	v_and_b32_e32 v11, 0x80000000, v12
	s_delay_alu instid0(VALU_DEP_3) | instskip(NEXT) | instid1(VALU_DEP_3)
	v_lshl_add_u32 v12, v13, 23, 0x3b800000
	v_lshlrev_b32_e32 v10, 20, v10
	s_delay_alu instid0(VALU_DEP_1) | instskip(NEXT) | instid1(VALU_DEP_1)
	v_or3_b32 v10, v11, v12, v10
	v_cvt_f64_f32_e32 v[10:11], v10
.LBB142_1906:
	s_or_b32 exec_lo, exec_lo, s35
.LBB142_1907:
	v_mov_b64_e32 v[12:13], 0
	s_mov_b32 s34, -1
.LBB142_1908:
	s_branch .LBB142_1940
.LBB142_1909:
	s_cmp_gt_i32 s30, 22
	s_cbranch_scc0 .LBB142_1917
; %bb.1910:
	s_cmp_lt_i32 s30, 24
	s_cbranch_scc1 .LBB142_1918
; %bb.1911:
	s_cmp_gt_i32 s30, 24
	s_cbranch_scc0 .LBB142_1923
; %bb.1912:
	global_load_u8 v12, v[8:9], off
	s_mov_b32 s34, exec_lo
	s_wait_loadcnt 0x0
	v_cmpx_lt_i16_e32 0x7f, v12
	s_xor_b32 s34, exec_lo, s34
	s_cbranch_execnz .LBB142_2003
; %bb.1913:
	s_or_saveexec_b32 s34, s34
	v_mov_b64_e32 v[10:11], 0x7ff8000020000000
	s_xor_b32 exec_lo, exec_lo, s34
	s_cbranch_execnz .LBB142_2006
.LBB142_1914:
	s_or_b32 exec_lo, exec_lo, s34
	s_and_saveexec_b32 s34, s33
	s_cbranch_execz .LBB142_1916
.LBB142_1915:
	v_and_b32_e32 v10, 0xffff, v12
	s_delay_alu instid0(VALU_DEP_1) | instskip(SKIP_1) | instid1(VALU_DEP_2)
	v_and_b32_e32 v11, 3, v10
	v_bfe_u32 v15, v10, 2, 5
	v_clz_i32_u32_e32 v13, v11
	s_delay_alu instid0(VALU_DEP_2) | instskip(NEXT) | instid1(VALU_DEP_2)
	v_cmp_eq_u32_e32 vcc_lo, 0, v15
	v_min_u32_e32 v13, 32, v13
	s_delay_alu instid0(VALU_DEP_1) | instskip(NEXT) | instid1(VALU_DEP_1)
	v_subrev_nc_u32_e32 v14, 29, v13
	v_dual_lshlrev_b32 v10, v14, v10 :: v_dual_sub_nc_u32 v13, 30, v13
	s_delay_alu instid0(VALU_DEP_1) | instskip(NEXT) | instid1(VALU_DEP_2)
	v_dual_lshlrev_b32 v12, 24, v12 :: v_dual_bitop2_b32 v10, 3, v10 bitop3:0x40
	v_cndmask_b32_e32 v13, v15, v13, vcc_lo
	s_delay_alu instid0(VALU_DEP_2) | instskip(NEXT) | instid1(VALU_DEP_3)
	v_cndmask_b32_e32 v10, v11, v10, vcc_lo
	v_and_b32_e32 v11, 0x80000000, v12
	s_delay_alu instid0(VALU_DEP_3) | instskip(NEXT) | instid1(VALU_DEP_3)
	v_lshl_add_u32 v12, v13, 23, 0x37800000
	v_lshlrev_b32_e32 v10, 21, v10
	s_delay_alu instid0(VALU_DEP_1) | instskip(NEXT) | instid1(VALU_DEP_1)
	v_or3_b32 v10, v11, v12, v10
	v_cvt_f64_f32_e32 v[10:11], v10
.LBB142_1916:
	s_or_b32 exec_lo, exec_lo, s34
	s_mov_b32 s33, 0
	s_branch .LBB142_1924
.LBB142_1917:
	s_mov_b32 s33, -1
                                        ; implicit-def: $vgpr10_vgpr11
	s_branch .LBB142_1930
.LBB142_1918:
	s_mov_b32 s33, -1
                                        ; implicit-def: $vgpr10_vgpr11
	s_branch .LBB142_1927
.LBB142_1919:
	s_mov_b32 s34, -1
	s_mov_b32 s36, exec_lo
	v_cmpx_eq_u16_e32 0x80, v12
; %bb.1920:
	s_xor_b32 s34, exec_lo, -1
; %bb.1921:
	s_or_b32 exec_lo, exec_lo, s36
	s_delay_alu instid0(SALU_CYCLE_1)
	s_and_b32 s34, s34, exec_lo
	s_or_saveexec_b32 s35, s35
	v_mov_b64_e32 v[10:11], 0x7ff8000020000000
	s_xor_b32 exec_lo, exec_lo, s35
	s_cbranch_execz .LBB142_1904
.LBB142_1922:
	v_cmp_ne_u16_e32 vcc_lo, 0, v12
	v_mov_b64_e32 v[10:11], 0
	s_and_not1_b32 s34, s34, exec_lo
	s_and_b32 s36, vcc_lo, exec_lo
	s_delay_alu instid0(SALU_CYCLE_1)
	s_or_b32 s34, s34, s36
	s_or_b32 exec_lo, exec_lo, s35
	s_and_saveexec_b32 s35, s34
	s_cbranch_execnz .LBB142_1905
	s_branch .LBB142_1906
.LBB142_1923:
	s_mov_b32 s33, -1
                                        ; implicit-def: $vgpr10_vgpr11
.LBB142_1924:
	s_delay_alu instid0(SALU_CYCLE_1)
	s_and_b32 vcc_lo, exec_lo, s33
	s_cbranch_vccz .LBB142_1926
; %bb.1925:
	global_load_u8 v10, v[8:9], off
	s_wait_loadcnt 0x0
	v_lshlrev_b32_e32 v10, 24, v10
	s_delay_alu instid0(VALU_DEP_1) | instskip(NEXT) | instid1(VALU_DEP_1)
	v_and_b32_e32 v11, 0x7f000000, v10
	v_clz_i32_u32_e32 v12, v11
	v_cmp_ne_u32_e32 vcc_lo, 0, v11
	v_add_nc_u32_e32 v14, 0x1000000, v11
	s_delay_alu instid0(VALU_DEP_3) | instskip(NEXT) | instid1(VALU_DEP_1)
	v_min_u32_e32 v12, 32, v12
	v_sub_nc_u32_e64 v12, v12, 4 clamp
	s_delay_alu instid0(VALU_DEP_1) | instskip(NEXT) | instid1(VALU_DEP_1)
	v_dual_lshlrev_b32 v13, v12, v11 :: v_dual_lshlrev_b32 v12, 23, v12
	v_lshrrev_b32_e32 v13, 4, v13
	s_delay_alu instid0(VALU_DEP_1) | instskip(NEXT) | instid1(VALU_DEP_1)
	v_dual_sub_nc_u32 v12, v13, v12 :: v_dual_ashrrev_i32 v13, 8, v14
	v_add_nc_u32_e32 v12, 0x3c000000, v12
	s_delay_alu instid0(VALU_DEP_1) | instskip(NEXT) | instid1(VALU_DEP_1)
	v_and_or_b32 v12, 0x7f800000, v13, v12
	v_cndmask_b32_e32 v11, 0, v12, vcc_lo
	s_delay_alu instid0(VALU_DEP_1) | instskip(NEXT) | instid1(VALU_DEP_1)
	v_and_or_b32 v10, 0x80000000, v10, v11
	v_cvt_f64_f32_e32 v[10:11], v10
.LBB142_1926:
	s_mov_b32 s33, 0
.LBB142_1927:
	s_delay_alu instid0(SALU_CYCLE_1)
	s_and_not1_b32 vcc_lo, exec_lo, s33
	s_cbranch_vccnz .LBB142_1929
; %bb.1928:
	global_load_u8 v10, v[8:9], off
	s_wait_loadcnt 0x0
	v_lshlrev_b32_e32 v11, 25, v10
	v_lshlrev_b16 v10, 8, v10
	s_delay_alu instid0(VALU_DEP_1) | instskip(SKIP_1) | instid1(VALU_DEP_2)
	v_and_or_b32 v13, 0x7f00, v10, 0.5
	v_bfe_i32 v10, v10, 0, 16
	v_dual_add_f32 v13, -0.5, v13 :: v_dual_lshrrev_b32 v12, 4, v11
	v_cmp_gt_u32_e32 vcc_lo, 0x8000000, v11
	s_delay_alu instid0(VALU_DEP_2) | instskip(NEXT) | instid1(VALU_DEP_1)
	v_or_b32_e32 v12, 0x70000000, v12
	v_mul_f32_e32 v12, 0x7800000, v12
	s_delay_alu instid0(VALU_DEP_1) | instskip(NEXT) | instid1(VALU_DEP_1)
	v_cndmask_b32_e32 v11, v12, v13, vcc_lo
	v_and_or_b32 v10, 0x80000000, v10, v11
	s_delay_alu instid0(VALU_DEP_1)
	v_cvt_f64_f32_e32 v[10:11], v10
.LBB142_1929:
	s_mov_b32 s33, 0
	s_mov_b32 s34, -1
.LBB142_1930:
	s_and_not1_b32 vcc_lo, exec_lo, s33
	s_mov_b32 s33, 0
	s_cbranch_vccnz .LBB142_1939
; %bb.1931:
	s_cmp_gt_i32 s30, 14
	s_cbranch_scc0 .LBB142_1934
; %bb.1932:
	s_cmp_eq_u32 s30, 15
	s_cbranch_scc0 .LBB142_1935
; %bb.1933:
	global_load_u16 v10, v[8:9], off
	s_mov_b32 s31, 0
	s_mov_b32 s34, -1
	s_wait_loadcnt 0x0
	v_lshlrev_b32_e32 v10, 16, v10
	s_delay_alu instid0(VALU_DEP_1)
	v_cvt_f64_f32_e32 v[10:11], v10
	s_branch .LBB142_1937
.LBB142_1934:
	s_mov_b32 s33, -1
	s_branch .LBB142_1936
.LBB142_1935:
	s_mov_b32 s31, -1
.LBB142_1936:
                                        ; implicit-def: $vgpr10_vgpr11
.LBB142_1937:
	s_and_b32 vcc_lo, exec_lo, s33
	s_mov_b32 s33, 0
	s_cbranch_vccz .LBB142_1939
; %bb.1938:
	s_cmp_lg_u32 s30, 11
	s_mov_b32 s33, -1
	s_cselect_b32 s30, -1, 0
	s_and_not1_b32 s31, s31, exec_lo
	s_and_b32 s30, s30, exec_lo
	s_delay_alu instid0(SALU_CYCLE_1)
	s_or_b32 s31, s31, s30
.LBB142_1939:
	v_mov_b64_e32 v[12:13], 0
.LBB142_1940:
	s_mov_b32 s30, 0
.LBB142_1941:
	s_and_not1_b32 s29, s29, exec_lo
	s_and_b32 s35, s31, exec_lo
	s_and_b32 s34, s34, exec_lo
	;; [unrolled: 1-line block ×4, first 2 shown]
	s_or_b32 s29, s29, s35
	s_wait_xcnt 0x0
	s_or_b32 exec_lo, exec_lo, s0
	s_and_saveexec_b32 s0, s29
	s_cbranch_execz .LBB142_1860
.LBB142_1942:
	s_or_b32 s28, s28, exec_lo
	s_and_not1_b32 s31, s31, exec_lo
	s_trap 2
	s_or_b32 exec_lo, exec_lo, s0
	s_and_saveexec_b32 s0, s31
	s_delay_alu instid0(SALU_CYCLE_1)
	s_xor_b32 s0, exec_lo, s0
	s_cbranch_execz .LBB142_1861
.LBB142_1943:
	s_wait_loadcnt 0x0
	global_load_u8 v10, v[8:9], off
	v_mov_b64_e32 v[12:13], 0
	s_or_b32 s34, s34, exec_lo
	s_wait_loadcnt 0x0
	v_cmp_ne_u16_e32 vcc_lo, 0, v10
	v_mov_b32_e32 v10, 0
	v_cndmask_b32_e64 v11, 0, 0x3ff00000, vcc_lo
	s_wait_xcnt 0x0
	s_or_b32 exec_lo, exec_lo, s0
	s_and_saveexec_b32 s0, s30
	s_cbranch_execz .LBB142_1991
.LBB142_1944:
	s_sext_i32_i16 s29, s1
	s_delay_alu instid0(SALU_CYCLE_1)
	s_cmp_lt_i32 s29, 5
	s_cbranch_scc1 .LBB142_1949
; %bb.1945:
	s_cmp_lt_i32 s29, 8
	s_cbranch_scc1 .LBB142_1950
; %bb.1946:
	;; [unrolled: 3-line block ×3, first 2 shown]
	s_cmp_gt_i32 s29, 9
	s_cbranch_scc0 .LBB142_1952
; %bb.1948:
	s_wait_loadcnt 0x0
	global_load_b128 v[10:13], v[8:9], off
	s_mov_b32 s29, 0
	s_branch .LBB142_1953
.LBB142_1949:
                                        ; implicit-def: $vgpr12_vgpr13
	s_branch .LBB142_1971
.LBB142_1950:
                                        ; implicit-def: $vgpr12_vgpr13
	s_branch .LBB142_1959
.LBB142_1951:
	s_mov_b32 s29, -1
                                        ; implicit-def: $vgpr12_vgpr13
	s_branch .LBB142_1956
.LBB142_1952:
	s_mov_b32 s29, -1
                                        ; implicit-def: $vgpr12_vgpr13
.LBB142_1953:
	s_delay_alu instid0(SALU_CYCLE_1)
	s_and_not1_b32 vcc_lo, exec_lo, s29
	s_cbranch_vccnz .LBB142_1955
; %bb.1954:
	s_wait_loadcnt 0x0
	global_load_b64 v[12:13], v[8:9], off
	s_wait_loadcnt 0x0
	v_cvt_f64_f32_e32 v[10:11], v12
	v_cvt_f64_f32_e32 v[12:13], v13
.LBB142_1955:
	s_mov_b32 s29, 0
.LBB142_1956:
	s_delay_alu instid0(SALU_CYCLE_1)
	s_and_not1_b32 vcc_lo, exec_lo, s29
	s_cbranch_vccnz .LBB142_1958
; %bb.1957:
	s_wait_loadcnt 0x0
	global_load_b32 v10, v[8:9], off
	s_wait_loadcnt 0x0
	v_lshrrev_b32_e32 v11, 16, v10
	v_cvt_f32_f16_e32 v10, v10
	s_delay_alu instid0(VALU_DEP_2) | instskip(NEXT) | instid1(VALU_DEP_2)
	v_cvt_f32_f16_e32 v12, v11
	v_cvt_f64_f32_e32 v[10:11], v10
	s_delay_alu instid0(VALU_DEP_2)
	v_cvt_f64_f32_e32 v[12:13], v12
.LBB142_1958:
	s_cbranch_execnz .LBB142_1970
.LBB142_1959:
	s_sext_i32_i16 s29, s1
	s_delay_alu instid0(SALU_CYCLE_1)
	s_cmp_lt_i32 s29, 6
	s_cbranch_scc1 .LBB142_1962
; %bb.1960:
	s_cmp_gt_i32 s29, 6
	s_cbranch_scc0 .LBB142_1963
; %bb.1961:
	s_wait_loadcnt 0x0
	global_load_b64 v[10:11], v[8:9], off
	s_mov_b32 s29, 0
	s_branch .LBB142_1964
.LBB142_1962:
	s_mov_b32 s29, -1
                                        ; implicit-def: $vgpr10_vgpr11
	s_branch .LBB142_1967
.LBB142_1963:
	s_mov_b32 s29, -1
                                        ; implicit-def: $vgpr10_vgpr11
.LBB142_1964:
	s_delay_alu instid0(SALU_CYCLE_1)
	s_and_not1_b32 vcc_lo, exec_lo, s29
	s_cbranch_vccnz .LBB142_1966
; %bb.1965:
	s_wait_loadcnt 0x0
	global_load_b32 v10, v[8:9], off
	s_wait_loadcnt 0x0
	v_cvt_f64_f32_e32 v[10:11], v10
.LBB142_1966:
	s_mov_b32 s29, 0
.LBB142_1967:
	s_delay_alu instid0(SALU_CYCLE_1)
	s_and_not1_b32 vcc_lo, exec_lo, s29
	s_cbranch_vccnz .LBB142_1969
; %bb.1968:
	s_wait_loadcnt 0x0
	global_load_u16 v10, v[8:9], off
	s_wait_loadcnt 0x0
	v_cvt_f32_f16_e32 v10, v10
	s_delay_alu instid0(VALU_DEP_1)
	v_cvt_f64_f32_e32 v[10:11], v10
.LBB142_1969:
	s_wait_loadcnt 0x0
	v_mov_b64_e32 v[12:13], 0
.LBB142_1970:
	s_cbranch_execnz .LBB142_1990
.LBB142_1971:
	s_sext_i32_i16 s29, s1
	s_delay_alu instid0(SALU_CYCLE_1)
	s_cmp_lt_i32 s29, 2
	s_cbranch_scc1 .LBB142_1975
; %bb.1972:
	s_cmp_lt_i32 s29, 3
	s_cbranch_scc1 .LBB142_1976
; %bb.1973:
	s_cmp_gt_i32 s29, 3
	s_cbranch_scc0 .LBB142_1977
; %bb.1974:
	s_wait_loadcnt 0x0
	global_load_b64 v[10:11], v[8:9], off
	s_mov_b32 s29, 0
	s_wait_loadcnt 0x0
	v_cvt_f64_i32_e32 v[12:13], v11
	v_cvt_f64_u32_e32 v[10:11], v10
	s_delay_alu instid0(VALU_DEP_2) | instskip(NEXT) | instid1(VALU_DEP_1)
	v_ldexp_f64 v[12:13], v[12:13], 32
	v_add_f64_e32 v[10:11], v[12:13], v[10:11]
	s_branch .LBB142_1978
.LBB142_1975:
                                        ; implicit-def: $vgpr10_vgpr11
	s_branch .LBB142_1984
.LBB142_1976:
	s_mov_b32 s29, -1
                                        ; implicit-def: $vgpr10_vgpr11
	s_branch .LBB142_1981
.LBB142_1977:
	s_mov_b32 s29, -1
                                        ; implicit-def: $vgpr10_vgpr11
.LBB142_1978:
	s_delay_alu instid0(SALU_CYCLE_1)
	s_and_not1_b32 vcc_lo, exec_lo, s29
	s_cbranch_vccnz .LBB142_1980
; %bb.1979:
	s_wait_loadcnt 0x0
	global_load_b32 v10, v[8:9], off
	s_wait_loadcnt 0x0
	v_cvt_f64_i32_e32 v[10:11], v10
.LBB142_1980:
	s_mov_b32 s29, 0
.LBB142_1981:
	s_delay_alu instid0(SALU_CYCLE_1)
	s_and_not1_b32 vcc_lo, exec_lo, s29
	s_cbranch_vccnz .LBB142_1983
; %bb.1982:
	s_wait_loadcnt 0x0
	global_load_i16 v10, v[8:9], off
	s_wait_loadcnt 0x0
	v_cvt_f64_i32_e32 v[10:11], v10
.LBB142_1983:
	s_cbranch_execnz .LBB142_1989
.LBB142_1984:
	s_sext_i32_i16 s29, s1
	s_delay_alu instid0(SALU_CYCLE_1)
	s_cmp_gt_i32 s29, 0
	s_mov_b32 s29, 0
	s_cbranch_scc0 .LBB142_1986
; %bb.1985:
	s_wait_loadcnt 0x0
	global_load_i8 v10, v[8:9], off
	s_wait_loadcnt 0x0
	v_cvt_f64_i32_e32 v[10:11], v10
	s_branch .LBB142_1987
.LBB142_1986:
	s_mov_b32 s29, -1
                                        ; implicit-def: $vgpr10_vgpr11
.LBB142_1987:
	s_delay_alu instid0(SALU_CYCLE_1)
	s_and_not1_b32 vcc_lo, exec_lo, s29
	s_cbranch_vccnz .LBB142_1989
; %bb.1988:
	s_wait_loadcnt 0x0
	global_load_u8 v8, v[8:9], off
	s_wait_loadcnt 0x0
	v_cvt_f64_u32_e32 v[10:11], v8
.LBB142_1989:
	s_wait_loadcnt 0x0
	v_mov_b64_e32 v[12:13], 0
.LBB142_1990:
	s_or_b32 s34, s34, exec_lo
.LBB142_1991:
	s_wait_xcnt 0x0
	s_or_b32 exec_lo, exec_lo, s0
	s_mov_b32 s0, 0
	s_mov_b32 s31, 0
                                        ; implicit-def: $sgpr29
                                        ; implicit-def: $vgpr14_vgpr15
                                        ; implicit-def: $vgpr8_vgpr9
	s_and_saveexec_b32 s30, s34
	s_cbranch_execnz .LBB142_1995
; %bb.1992:
	s_or_b32 exec_lo, exec_lo, s30
	s_and_saveexec_b32 s30, s27
	s_cbranch_execnz .LBB142_2076
.LBB142_1993:
	s_or_b32 exec_lo, exec_lo, s30
	s_and_saveexec_b32 s27, s0
	s_delay_alu instid0(SALU_CYCLE_1)
	s_xor_b32 s27, exec_lo, s27
	s_cbranch_execnz .LBB142_2077
.LBB142_1994:
	s_or_b32 exec_lo, exec_lo, s27
	s_and_saveexec_b32 s0, s31
	s_delay_alu instid0(SALU_CYCLE_1)
	s_xor_b32 s0, exec_lo, s0
	s_cbranch_execnz .LBB142_2078
	s_branch .LBB142_2115
.LBB142_1995:
	s_wait_loadcnt 0x0
	s_delay_alu instid0(VALU_DEP_1) | instskip(SKIP_2) | instid1(SALU_CYCLE_1)
	v_mul_f64_e32 v[8:9], s[16:17], v[6:7]
	v_mul_f64_e32 v[6:7], s[18:19], v[6:7]
	s_and_b32 s29, s2, 0xff
	s_cmp_lt_i32 s29, 11
	s_delay_alu instid0(VALU_DEP_2) | instskip(NEXT) | instid1(VALU_DEP_2)
	v_fmac_f64_e32 v[8:9], s[18:19], v[4:5]
	v_fma_f64 v[4:5], s[16:17], v[4:5], -v[6:7]
	v_mul_f64_e32 v[6:7], s[14:15], v[2:3]
	v_mul_f64_e32 v[2:3], s[12:13], v[2:3]
	s_delay_alu instid0(VALU_DEP_4) | instskip(NEXT) | instid1(VALU_DEP_4)
	v_mul_f64_e32 v[14:15], v[8:9], v[12:13]
	v_mul_f64_e32 v[12:13], v[4:5], v[12:13]
	s_delay_alu instid0(VALU_DEP_4) | instskip(NEXT) | instid1(VALU_DEP_4)
	v_fma_f64 v[6:7], s[12:13], v[0:1], -v[6:7]
	v_fmac_f64_e32 v[2:3], s[14:15], v[0:1]
	s_delay_alu instid0(VALU_DEP_4) | instskip(NEXT) | instid1(VALU_DEP_4)
	v_fma_f64 v[0:1], v[4:5], v[10:11], -v[14:15]
	v_fmac_f64_e32 v[12:13], v[8:9], v[10:11]
	s_delay_alu instid0(VALU_DEP_2) | instskip(NEXT) | instid1(VALU_DEP_2)
	v_add_f64_e32 v[6:7], v[6:7], v[0:1]
	v_add_f64_e32 v[8:9], v[2:3], v[12:13]
	v_mul_lo_u32 v0, v50, s20
	s_delay_alu instid0(VALU_DEP_1) | instskip(NEXT) | instid1(VALU_DEP_1)
	v_ashrrev_i32_e32 v1, 31, v0
	v_add_nc_u64_e32 v[14:15], s[4:5], v[0:1]
	s_cbranch_scc1 .LBB142_2002
; %bb.1996:
	s_and_b32 s31, 0xffff, s29
	s_mov_b32 s33, -1
	s_cmp_gt_i32 s31, 25
	s_mov_b32 s0, s27
	s_cbranch_scc0 .LBB142_2034
; %bb.1997:
	s_cmp_gt_i32 s31, 28
	s_mov_b32 s0, s27
	s_cbranch_scc0 .LBB142_2018
; %bb.1998:
	;; [unrolled: 4-line block ×4, first 2 shown]
	s_cmp_eq_u32 s31, 46
	s_mov_b32 s0, -1
	s_cbranch_scc0 .LBB142_2007
; %bb.2001:
	s_delay_alu instid0(VALU_DEP_4) | instskip(SKIP_3) | instid1(VALU_DEP_2)
	v_cvt_f32_f64_e32 v0, v[8:9]
	v_cvt_f32_f64_e32 v1, v[6:7]
	s_mov_b32 s0, 0
	s_mov_b32 s33, 0
	v_bfe_u32 v2, v0, 16, 1
	s_delay_alu instid0(VALU_DEP_2) | instskip(SKIP_1) | instid1(VALU_DEP_3)
	v_bfe_u32 v3, v1, 16, 1
	v_cmp_o_f32_e32 vcc_lo, v0, v0
	v_add3_u32 v2, v0, v2, 0x7fff
	s_delay_alu instid0(VALU_DEP_3) | instskip(NEXT) | instid1(VALU_DEP_2)
	v_add3_u32 v3, v1, v3, 0x7fff
	v_and_b32_e32 v2, 0xffff0000, v2
	s_delay_alu instid0(VALU_DEP_1) | instskip(SKIP_1) | instid1(VALU_DEP_2)
	v_dual_cndmask_b32 v0, 0x7fc00000, v2 :: v_dual_lshrrev_b32 v3, 16, v3
	v_cmp_o_f32_e32 vcc_lo, v1, v1
	v_cndmask_b32_e32 v1, 0x7fc0, v3, vcc_lo
	s_delay_alu instid0(VALU_DEP_1)
	v_or_b32_e32 v0, v0, v1
	global_store_b32 v[14:15], v0, off
	s_branch .LBB142_2008
.LBB142_2002:
	s_mov_b32 s34, 0
	s_mov_b32 s33, -1
	s_mov_b32 s0, s27
	s_branch .LBB142_2075
.LBB142_2003:
	s_mov_b32 s33, -1
	s_mov_b32 s35, exec_lo
	v_cmpx_eq_u16_e32 0x80, v12
; %bb.2004:
	s_xor_b32 s33, exec_lo, -1
; %bb.2005:
	s_or_b32 exec_lo, exec_lo, s35
	s_delay_alu instid0(SALU_CYCLE_1)
	s_and_b32 s33, s33, exec_lo
	s_or_saveexec_b32 s34, s34
	v_mov_b64_e32 v[10:11], 0x7ff8000020000000
	s_xor_b32 exec_lo, exec_lo, s34
	s_cbranch_execz .LBB142_1914
.LBB142_2006:
	v_cmp_ne_u16_e32 vcc_lo, 0, v12
	v_mov_b64_e32 v[10:11], 0
	s_and_not1_b32 s33, s33, exec_lo
	s_and_b32 s35, vcc_lo, exec_lo
	s_delay_alu instid0(SALU_CYCLE_1)
	s_or_b32 s33, s33, s35
	s_or_b32 exec_lo, exec_lo, s34
	s_and_saveexec_b32 s34, s33
	s_cbranch_execnz .LBB142_1915
	s_branch .LBB142_1916
.LBB142_2007:
	s_mov_b32 s33, 0
.LBB142_2008:
	s_delay_alu instid0(SALU_CYCLE_1)
	s_and_b32 vcc_lo, exec_lo, s33
	s_cbranch_vccz .LBB142_2013
; %bb.2009:
	s_cmp_eq_u32 s31, 44
	s_mov_b32 s0, -1
	s_cbranch_scc0 .LBB142_2013
; %bb.2010:
	s_wait_xcnt 0x0
	v_cvt_f32_f64_e32 v0, v[6:7]
	v_mov_b32_e32 v1, 0xff
	s_mov_b32 s33, exec_lo
	s_delay_alu instid0(VALU_DEP_2) | instskip(NEXT) | instid1(VALU_DEP_1)
	v_bfe_u32 v2, v0, 23, 8
	v_cmpx_ne_u32_e32 0xff, v2
	s_cbranch_execz .LBB142_2012
; %bb.2011:
	v_and_b32_e32 v1, 0x400000, v0
	v_and_or_b32 v2, 0x3fffff, v0, v2
	v_lshrrev_b32_e32 v0, 23, v0
	s_delay_alu instid0(VALU_DEP_3) | instskip(NEXT) | instid1(VALU_DEP_3)
	v_cmp_ne_u32_e32 vcc_lo, 0, v1
	v_cmp_ne_u32_e64 s0, 0, v2
	s_and_b32 s0, vcc_lo, s0
	s_delay_alu instid0(SALU_CYCLE_1) | instskip(NEXT) | instid1(VALU_DEP_1)
	v_cndmask_b32_e64 v1, 0, 1, s0
	v_add_nc_u32_e32 v1, v0, v1
.LBB142_2012:
	s_or_b32 exec_lo, exec_lo, s33
	s_mov_b32 s0, 0
	global_store_b8 v[14:15], v1, off
.LBB142_2013:
	s_mov_b32 s33, 0
.LBB142_2014:
	s_delay_alu instid0(SALU_CYCLE_1)
	s_and_b32 vcc_lo, exec_lo, s33
	s_cbranch_vccz .LBB142_2017
; %bb.2015:
	s_cmp_eq_u32 s31, 29
	s_mov_b32 s0, -1
	s_cbranch_scc0 .LBB142_2017
; %bb.2016:
	s_wait_xcnt 0x0
	v_trunc_f64_e32 v[0:1], v[6:7]
	s_mov_b32 s0, 0
	s_mov_b32 s33, 0
	s_delay_alu instid0(VALU_DEP_1) | instskip(NEXT) | instid1(VALU_DEP_1)
	v_ldexp_f64 v[2:3], v[0:1], 0xffffffe0
	v_floor_f64_e32 v[2:3], v[2:3]
	s_delay_alu instid0(VALU_DEP_1) | instskip(SKIP_1) | instid1(VALU_DEP_2)
	v_fmamk_f64 v[0:1], v[2:3], 0xc1f00000, v[0:1]
	v_cvt_u32_f64_e32 v3, v[2:3]
	v_cvt_u32_f64_e32 v2, v[0:1]
	global_store_b64 v[14:15], v[2:3], off
	s_branch .LBB142_2018
.LBB142_2017:
	s_mov_b32 s33, 0
.LBB142_2018:
	s_delay_alu instid0(SALU_CYCLE_1)
	s_and_b32 vcc_lo, exec_lo, s33
	s_cbranch_vccz .LBB142_2033
; %bb.2019:
	s_cmp_lt_i32 s31, 27
	s_mov_b32 s33, -1
	s_cbranch_scc1 .LBB142_2025
; %bb.2020:
	s_wait_xcnt 0x0
	v_cvt_u32_f64_e32 v0, v[6:7]
	s_cmp_gt_i32 s31, 27
	s_cbranch_scc0 .LBB142_2022
; %bb.2021:
	s_mov_b32 s33, 0
	global_store_b32 v[14:15], v0, off
.LBB142_2022:
	s_and_not1_b32 vcc_lo, exec_lo, s33
	s_cbranch_vccnz .LBB142_2024
; %bb.2023:
	global_store_b16 v[14:15], v0, off
.LBB142_2024:
	s_mov_b32 s33, 0
.LBB142_2025:
	s_delay_alu instid0(SALU_CYCLE_1)
	s_and_not1_b32 vcc_lo, exec_lo, s33
	s_cbranch_vccnz .LBB142_2033
; %bb.2026:
	s_wait_xcnt 0x0
	v_cvt_f32_f64_e32 v0, v[6:7]
	v_mov_b32_e32 v2, 0x80
	s_mov_b32 s33, exec_lo
	s_delay_alu instid0(VALU_DEP_2) | instskip(NEXT) | instid1(VALU_DEP_1)
	v_and_b32_e32 v1, 0x7fffffff, v0
	v_cmpx_gt_u32_e32 0x43800000, v1
	s_cbranch_execz .LBB142_2032
; %bb.2027:
	v_cmp_lt_u32_e32 vcc_lo, 0x3bffffff, v1
	s_mov_b32 s34, 0
                                        ; implicit-def: $vgpr1
	s_and_saveexec_b32 s35, vcc_lo
	s_delay_alu instid0(SALU_CYCLE_1)
	s_xor_b32 s35, exec_lo, s35
	s_cbranch_execnz .LBB142_2259
; %bb.2028:
	s_and_not1_saveexec_b32 s35, s35
	s_cbranch_execnz .LBB142_2260
.LBB142_2029:
	s_or_b32 exec_lo, exec_lo, s35
	v_mov_b32_e32 v2, 0
	s_and_saveexec_b32 s35, s34
.LBB142_2030:
	v_lshrrev_b32_e32 v0, 24, v0
	s_delay_alu instid0(VALU_DEP_1)
	v_and_or_b32 v2, 0x80, v0, v1
.LBB142_2031:
	s_or_b32 exec_lo, exec_lo, s35
.LBB142_2032:
	s_delay_alu instid0(SALU_CYCLE_1)
	s_or_b32 exec_lo, exec_lo, s33
	global_store_b8 v[14:15], v2, off
.LBB142_2033:
	s_mov_b32 s33, 0
.LBB142_2034:
	s_delay_alu instid0(SALU_CYCLE_1)
	s_and_b32 vcc_lo, exec_lo, s33
	s_mov_b32 s33, 0
	s_cbranch_vccz .LBB142_2074
; %bb.2035:
	s_cmp_gt_i32 s31, 22
	s_mov_b32 s34, -1
	s_cbranch_scc0 .LBB142_2067
; %bb.2036:
	s_cmp_lt_i32 s31, 24
	s_cbranch_scc1 .LBB142_2056
; %bb.2037:
	s_cmp_gt_i32 s31, 24
	s_cbranch_scc0 .LBB142_2045
; %bb.2038:
	s_wait_xcnt 0x0
	v_cvt_f32_f64_e32 v0, v[6:7]
	v_mov_b32_e32 v2, 0x80
	s_mov_b32 s34, exec_lo
	s_delay_alu instid0(VALU_DEP_2) | instskip(NEXT) | instid1(VALU_DEP_1)
	v_and_b32_e32 v1, 0x7fffffff, v0
	v_cmpx_gt_u32_e32 0x47800000, v1
	s_cbranch_execz .LBB142_2044
; %bb.2039:
	v_cmp_lt_u32_e32 vcc_lo, 0x37ffffff, v1
	s_mov_b32 s35, 0
                                        ; implicit-def: $vgpr1
	s_and_saveexec_b32 s36, vcc_lo
	s_delay_alu instid0(SALU_CYCLE_1)
	s_xor_b32 s36, exec_lo, s36
	s_cbranch_execnz .LBB142_2394
; %bb.2040:
	s_and_not1_saveexec_b32 s36, s36
	s_cbranch_execnz .LBB142_2395
.LBB142_2041:
	s_or_b32 exec_lo, exec_lo, s36
	v_mov_b32_e32 v2, 0
	s_and_saveexec_b32 s36, s35
.LBB142_2042:
	v_lshrrev_b32_e32 v0, 24, v0
	s_delay_alu instid0(VALU_DEP_1)
	v_and_or_b32 v2, 0x80, v0, v1
.LBB142_2043:
	s_or_b32 exec_lo, exec_lo, s36
.LBB142_2044:
	s_delay_alu instid0(SALU_CYCLE_1)
	s_or_b32 exec_lo, exec_lo, s34
	s_mov_b32 s34, 0
	global_store_b8 v[14:15], v2, off
.LBB142_2045:
	s_and_b32 vcc_lo, exec_lo, s34
	s_cbranch_vccz .LBB142_2055
; %bb.2046:
	s_wait_xcnt 0x0
	v_cvt_f32_f64_e32 v0, v[6:7]
	s_mov_b32 s34, exec_lo
                                        ; implicit-def: $vgpr1
	s_delay_alu instid0(VALU_DEP_1) | instskip(NEXT) | instid1(VALU_DEP_1)
	v_and_b32_e32 v2, 0x7fffffff, v0
	v_cmpx_gt_u32_e32 0x43f00000, v2
	s_xor_b32 s34, exec_lo, s34
	s_cbranch_execz .LBB142_2052
; %bb.2047:
	s_mov_b32 s35, exec_lo
                                        ; implicit-def: $vgpr1
	v_cmpx_lt_u32_e32 0x3c7fffff, v2
	s_xor_b32 s35, exec_lo, s35
; %bb.2048:
	v_bfe_u32 v1, v0, 20, 1
	s_delay_alu instid0(VALU_DEP_1) | instskip(NEXT) | instid1(VALU_DEP_1)
	v_add3_u32 v1, v0, v1, 0x407ffff
	v_and_b32_e32 v2, 0xff00000, v1
	v_lshrrev_b32_e32 v1, 20, v1
	s_delay_alu instid0(VALU_DEP_2) | instskip(NEXT) | instid1(VALU_DEP_2)
	v_cmp_ne_u32_e32 vcc_lo, 0x7f00000, v2
	v_cndmask_b32_e32 v1, 0x7e, v1, vcc_lo
; %bb.2049:
	s_and_not1_saveexec_b32 s35, s35
; %bb.2050:
	v_add_f32_e64 v1, 0x46800000, |v0|
; %bb.2051:
	s_or_b32 exec_lo, exec_lo, s35
                                        ; implicit-def: $vgpr2
.LBB142_2052:
	s_and_not1_saveexec_b32 s34, s34
; %bb.2053:
	v_mov_b32_e32 v1, 0x7f
	v_cmp_lt_u32_e32 vcc_lo, 0x7f800000, v2
	s_delay_alu instid0(VALU_DEP_2)
	v_cndmask_b32_e32 v1, 0x7e, v1, vcc_lo
; %bb.2054:
	s_or_b32 exec_lo, exec_lo, s34
	v_lshrrev_b32_e32 v0, 24, v0
	s_delay_alu instid0(VALU_DEP_1)
	v_and_or_b32 v0, 0x80, v0, v1
	global_store_b8 v[14:15], v0, off
.LBB142_2055:
	s_mov_b32 s34, 0
.LBB142_2056:
	s_delay_alu instid0(SALU_CYCLE_1)
	s_and_not1_b32 vcc_lo, exec_lo, s34
	s_cbranch_vccnz .LBB142_2066
; %bb.2057:
	s_wait_xcnt 0x0
	v_cvt_f32_f64_e32 v0, v[6:7]
	s_mov_b32 s34, exec_lo
                                        ; implicit-def: $vgpr1
	s_delay_alu instid0(VALU_DEP_1) | instskip(NEXT) | instid1(VALU_DEP_1)
	v_and_b32_e32 v2, 0x7fffffff, v0
	v_cmpx_gt_u32_e32 0x47800000, v2
	s_xor_b32 s34, exec_lo, s34
	s_cbranch_execz .LBB142_2063
; %bb.2058:
	s_mov_b32 s35, exec_lo
                                        ; implicit-def: $vgpr1
	v_cmpx_lt_u32_e32 0x387fffff, v2
	s_xor_b32 s35, exec_lo, s35
; %bb.2059:
	v_bfe_u32 v1, v0, 21, 1
	s_delay_alu instid0(VALU_DEP_1) | instskip(NEXT) | instid1(VALU_DEP_1)
	v_add3_u32 v1, v0, v1, 0x80fffff
	v_lshrrev_b32_e32 v1, 21, v1
; %bb.2060:
	s_and_not1_saveexec_b32 s35, s35
; %bb.2061:
	v_add_f32_e64 v1, 0x43000000, |v0|
; %bb.2062:
	s_or_b32 exec_lo, exec_lo, s35
                                        ; implicit-def: $vgpr2
.LBB142_2063:
	s_and_not1_saveexec_b32 s34, s34
; %bb.2064:
	v_mov_b32_e32 v1, 0x7f
	v_cmp_lt_u32_e32 vcc_lo, 0x7f800000, v2
	s_delay_alu instid0(VALU_DEP_2)
	v_cndmask_b32_e32 v1, 0x7c, v1, vcc_lo
; %bb.2065:
	s_or_b32 exec_lo, exec_lo, s34
	v_lshrrev_b32_e32 v0, 24, v0
	s_delay_alu instid0(VALU_DEP_1)
	v_and_or_b32 v0, 0x80, v0, v1
	global_store_b8 v[14:15], v0, off
.LBB142_2066:
	s_mov_b32 s34, 0
.LBB142_2067:
	s_delay_alu instid0(SALU_CYCLE_1)
	s_and_not1_b32 vcc_lo, exec_lo, s34
	s_mov_b32 s34, 0
	s_cbranch_vccnz .LBB142_2075
; %bb.2068:
	s_cmp_gt_i32 s31, 14
	s_mov_b32 s34, -1
	s_cbranch_scc0 .LBB142_2072
; %bb.2069:
	s_cmp_eq_u32 s31, 15
	s_mov_b32 s0, -1
	s_cbranch_scc0 .LBB142_2071
; %bb.2070:
	s_wait_xcnt 0x0
	v_cvt_f32_f64_e32 v0, v[6:7]
	s_mov_b32 s0, 0
	s_delay_alu instid0(VALU_DEP_1) | instskip(SKIP_1) | instid1(VALU_DEP_2)
	v_bfe_u32 v1, v0, 16, 1
	v_cmp_o_f32_e32 vcc_lo, v0, v0
	v_add3_u32 v1, v0, v1, 0x7fff
	s_delay_alu instid0(VALU_DEP_1) | instskip(NEXT) | instid1(VALU_DEP_1)
	v_lshrrev_b32_e32 v1, 16, v1
	v_cndmask_b32_e32 v0, 0x7fc0, v1, vcc_lo
	global_store_b16 v[14:15], v0, off
.LBB142_2071:
	s_mov_b32 s34, 0
.LBB142_2072:
	s_delay_alu instid0(SALU_CYCLE_1)
	s_and_b32 vcc_lo, exec_lo, s34
	s_mov_b32 s34, 0
	s_cbranch_vccz .LBB142_2075
; %bb.2073:
	s_cmp_lg_u32 s31, 11
	s_mov_b32 s34, -1
	s_cselect_b32 s31, -1, 0
	s_and_not1_b32 s0, s0, exec_lo
	s_and_b32 s31, s31, exec_lo
	s_delay_alu instid0(SALU_CYCLE_1)
	s_or_b32 s0, s0, s31
	s_branch .LBB142_2075
.LBB142_2074:
	s_mov_b32 s34, 0
.LBB142_2075:
	s_and_b32 s31, s33, exec_lo
	s_and_not1_b32 s27, s27, exec_lo
	s_and_b32 s33, s0, exec_lo
	s_and_b32 s0, s34, exec_lo
	s_or_b32 s27, s27, s33
	s_wait_xcnt 0x0
	s_or_b32 exec_lo, exec_lo, s30
	s_and_saveexec_b32 s30, s27
	s_cbranch_execz .LBB142_1993
.LBB142_2076:
	s_or_b32 s28, s28, exec_lo
	s_and_not1_b32 s0, s0, exec_lo
	s_trap 2
	s_or_b32 exec_lo, exec_lo, s30
	s_and_saveexec_b32 s27, s0
	s_delay_alu instid0(SALU_CYCLE_1)
	s_xor_b32 s27, exec_lo, s27
	s_cbranch_execz .LBB142_1994
.LBB142_2077:
	s_wait_loadcnt 0x0
	v_cmp_neq_f64_e32 vcc_lo, 0, v[6:7]
	v_cmp_neq_f64_e64 s0, 0, v[8:9]
	s_or_b32 s0, vcc_lo, s0
	s_delay_alu instid0(SALU_CYCLE_1) | instskip(SKIP_4) | instid1(SALU_CYCLE_1)
	v_cndmask_b32_e64 v0, 0, 1, s0
	global_store_b8 v[14:15], v0, off
	s_wait_xcnt 0x0
	s_or_b32 exec_lo, exec_lo, s27
	s_and_saveexec_b32 s0, s31
	s_xor_b32 s0, exec_lo, s0
	s_cbranch_execz .LBB142_2115
.LBB142_2078:
	s_sext_i32_i16 s30, s29
	s_mov_b32 s27, -1
	s_cmp_lt_i32 s30, 5
	s_cbranch_scc1 .LBB142_2099
; %bb.2079:
	s_cmp_lt_i32 s30, 8
	s_cbranch_scc1 .LBB142_2089
; %bb.2080:
	;; [unrolled: 3-line block ×3, first 2 shown]
	s_cmp_gt_i32 s30, 9
	s_cbranch_scc0 .LBB142_2083
; %bb.2082:
	s_mov_b32 s27, 0
	s_wait_loadcnt 0x0
	global_store_b128 v[14:15], v[6:9], off
.LBB142_2083:
	s_and_not1_b32 vcc_lo, exec_lo, s27
	s_cbranch_vccnz .LBB142_2085
; %bb.2084:
	s_wait_loadcnt 0x0
	v_cvt_f32_f64_e32 v0, v[6:7]
	v_cvt_f32_f64_e32 v1, v[8:9]
	global_store_b64 v[14:15], v[0:1], off
.LBB142_2085:
	s_mov_b32 s27, 0
.LBB142_2086:
	s_delay_alu instid0(SALU_CYCLE_1)
	s_and_not1_b32 vcc_lo, exec_lo, s27
	s_cbranch_vccnz .LBB142_2088
; %bb.2087:
	s_wait_loadcnt 0x0
	v_and_or_b32 v0, 0x1ff, v7, v6
	v_and_or_b32 v1, 0x1ff, v9, v8
	v_dual_lshrrev_b32 v2, 8, v7 :: v_dual_lshrrev_b32 v5, 8, v9
	v_bfe_u32 v3, v7, 20, 11
	s_delay_alu instid0(VALU_DEP_4) | instskip(SKIP_2) | instid1(VALU_DEP_4)
	v_cmp_ne_u32_e32 vcc_lo, 0, v0
	v_bfe_u32 v4, v9, 20, 11
	v_dual_lshrrev_b32 v16, 16, v7 :: v_dual_lshrrev_b32 v9, 16, v9
	v_sub_nc_u32_e32 v8, 0x3f1, v3
	v_cndmask_b32_e64 v0, 0, 1, vcc_lo
	v_cmp_ne_u32_e32 vcc_lo, 0, v1
	v_add_nc_u32_e32 v3, 0xfffffc10, v3
	s_delay_alu instid0(VALU_DEP_3) | instskip(SKIP_1) | instid1(VALU_DEP_1)
	v_and_or_b32 v0, 0xffe, v2, v0
	v_cndmask_b32_e64 v1, 0, 1, vcc_lo
	v_and_or_b32 v1, 0xffe, v5, v1
	v_med3_i32 v5, v8, 0, 13
	s_delay_alu instid0(VALU_DEP_4) | instskip(NEXT) | instid1(VALU_DEP_3)
	v_or_b32_e32 v8, 0x1000, v0
	v_or_b32_e32 v10, 0x1000, v1
	s_delay_alu instid0(VALU_DEP_2) | instskip(NEXT) | instid1(VALU_DEP_1)
	v_lshrrev_b32_e32 v11, v5, v8
	v_lshlrev_b32_e32 v5, v5, v11
	s_delay_alu instid0(VALU_DEP_1) | instskip(SKIP_2) | instid1(VALU_DEP_1)
	v_cmp_ne_u32_e32 vcc_lo, v5, v8
	v_lshl_or_b32 v8, v3, 12, v0
	v_cndmask_b32_e64 v5, 0, 1, vcc_lo
	v_or_b32_e32 v5, v11, v5
	v_sub_nc_u32_e32 v2, 0x3f1, v4
	v_add_nc_u32_e32 v4, 0xfffffc10, v4
	s_delay_alu instid0(VALU_DEP_2) | instskip(NEXT) | instid1(VALU_DEP_1)
	v_med3_i32 v2, v2, 0, 13
	v_lshrrev_b32_e32 v12, v2, v10
	s_delay_alu instid0(VALU_DEP_1) | instskip(NEXT) | instid1(VALU_DEP_1)
	v_lshlrev_b32_e32 v2, v2, v12
	v_cmp_ne_u32_e32 vcc_lo, v2, v10
	v_lshl_or_b32 v10, v4, 12, v1
	v_cndmask_b32_e64 v2, 0, 1, vcc_lo
	v_cmp_gt_i32_e32 vcc_lo, 1, v3
	v_cndmask_b32_e32 v5, v8, v5, vcc_lo
	s_delay_alu instid0(VALU_DEP_3) | instskip(SKIP_1) | instid1(VALU_DEP_3)
	v_or_b32_e32 v2, v12, v2
	v_cmp_gt_i32_e32 vcc_lo, 1, v4
	v_dual_lshrrev_b32 v5, 2, v5 :: v_dual_bitop2_b32 v8, 7, v5 bitop3:0x40
	s_delay_alu instid0(VALU_DEP_3) | instskip(NEXT) | instid1(VALU_DEP_1)
	v_cndmask_b32_e32 v2, v10, v2, vcc_lo
	v_dual_lshrrev_b32 v2, 2, v2 :: v_dual_bitop2_b32 v10, 7, v2 bitop3:0x40
	s_delay_alu instid0(VALU_DEP_3) | instskip(SKIP_1) | instid1(VALU_DEP_3)
	v_cmp_lt_i32_e32 vcc_lo, 5, v8
	v_cndmask_b32_e64 v12, 0, 1, vcc_lo
	v_cmp_lt_i32_e32 vcc_lo, 5, v10
	v_cndmask_b32_e64 v13, 0, 1, vcc_lo
	v_cmp_eq_u32_e32 vcc_lo, 3, v10
	v_cndmask_b32_e64 v10, 0, 1, vcc_lo
	v_cmp_eq_u32_e32 vcc_lo, 3, v8
	v_cndmask_b32_e64 v8, 0, 1, vcc_lo
	v_cmp_ne_u32_e32 vcc_lo, 0, v0
	s_delay_alu instid0(VALU_DEP_2) | instskip(NEXT) | instid1(VALU_DEP_1)
	v_or_b32_e32 v8, v8, v12
	v_dual_add_nc_u32 v5, v5, v8 :: v_dual_bitop2_b32 v10, v10, v13 bitop3:0x54
	s_delay_alu instid0(VALU_DEP_1) | instskip(SKIP_1) | instid1(VALU_DEP_2)
	v_dual_mov_b32 v11, 0x7e00 :: v_dual_add_nc_u32 v2, v2, v10
	v_and_b32_e32 v8, 0x8000, v16
	v_cndmask_b32_e32 v0, 0x7c00, v11, vcc_lo
	v_cmp_ne_u32_e32 vcc_lo, 0, v1
	v_cndmask_b32_e32 v1, 0x7c00, v11, vcc_lo
	v_cmp_gt_i32_e32 vcc_lo, 31, v4
	v_cndmask_b32_e32 v2, 0x7c00, v2, vcc_lo
	v_cmp_gt_i32_e32 vcc_lo, 31, v3
	v_cndmask_b32_e32 v5, 0x7c00, v5, vcc_lo
	v_cmp_eq_u32_e32 vcc_lo, 0x40f, v4
	s_delay_alu instid0(VALU_DEP_4) | instskip(SKIP_1) | instid1(VALU_DEP_2)
	v_cndmask_b32_e32 v1, v2, v1, vcc_lo
	v_cmp_eq_u32_e32 vcc_lo, 0x40f, v3
	v_and_or_b32 v1, 0x8000, v9, v1
	v_cndmask_b32_e32 v0, v5, v0, vcc_lo
	s_delay_alu instid0(VALU_DEP_1) | instskip(NEXT) | instid1(VALU_DEP_1)
	v_bitop3_b32 v0, v8, 0xffff, v0 bitop3:0xc8
	v_lshl_or_b32 v0, v1, 16, v0
	global_store_b32 v[14:15], v0, off
.LBB142_2088:
	s_mov_b32 s27, 0
.LBB142_2089:
	s_delay_alu instid0(SALU_CYCLE_1)
	s_and_not1_b32 vcc_lo, exec_lo, s27
	s_cbranch_vccnz .LBB142_2098
; %bb.2090:
	s_sext_i32_i16 s30, s29
	s_mov_b32 s27, -1
	s_cmp_lt_i32 s30, 6
	s_cbranch_scc1 .LBB142_2096
; %bb.2091:
	s_cmp_gt_i32 s30, 6
	s_cbranch_scc0 .LBB142_2093
; %bb.2092:
	s_mov_b32 s27, 0
	s_wait_loadcnt 0x0
	global_store_b64 v[14:15], v[6:7], off
.LBB142_2093:
	s_and_not1_b32 vcc_lo, exec_lo, s27
	s_cbranch_vccnz .LBB142_2095
; %bb.2094:
	s_wait_loadcnt 0x0
	v_cvt_f32_f64_e32 v0, v[6:7]
	global_store_b32 v[14:15], v0, off
.LBB142_2095:
	s_mov_b32 s27, 0
.LBB142_2096:
	s_delay_alu instid0(SALU_CYCLE_1)
	s_and_not1_b32 vcc_lo, exec_lo, s27
	s_cbranch_vccnz .LBB142_2098
; %bb.2097:
	s_wait_loadcnt 0x0
	v_and_or_b32 v0, 0x1ff, v7, v6
	v_lshrrev_b32_e32 v1, 8, v7
	v_bfe_u32 v2, v7, 20, 11
	s_delay_alu instid0(VALU_DEP_3) | instskip(NEXT) | instid1(VALU_DEP_2)
	v_cmp_ne_u32_e32 vcc_lo, 0, v0
	v_sub_nc_u32_e32 v3, 0x3f1, v2
	v_add_nc_u32_e32 v2, 0xfffffc10, v2
	v_cndmask_b32_e64 v0, 0, 1, vcc_lo
	s_delay_alu instid0(VALU_DEP_1) | instskip(NEXT) | instid1(VALU_DEP_4)
	v_and_or_b32 v0, 0xffe, v1, v0
	v_med3_i32 v1, v3, 0, 13
	s_delay_alu instid0(VALU_DEP_2) | instskip(NEXT) | instid1(VALU_DEP_1)
	v_or_b32_e32 v3, 0x1000, v0
	v_lshrrev_b32_e32 v4, v1, v3
	s_delay_alu instid0(VALU_DEP_1) | instskip(NEXT) | instid1(VALU_DEP_1)
	v_lshlrev_b32_e32 v1, v1, v4
	v_cmp_ne_u32_e32 vcc_lo, v1, v3
	v_lshl_or_b32 v3, v2, 12, v0
	v_cndmask_b32_e64 v1, 0, 1, vcc_lo
	v_cmp_gt_i32_e32 vcc_lo, 1, v2
	s_delay_alu instid0(VALU_DEP_2) | instskip(NEXT) | instid1(VALU_DEP_1)
	v_or_b32_e32 v1, v4, v1
	v_cndmask_b32_e32 v1, v3, v1, vcc_lo
	s_delay_alu instid0(VALU_DEP_1) | instskip(NEXT) | instid1(VALU_DEP_1)
	v_dual_lshrrev_b32 v1, 2, v1 :: v_dual_bitop2_b32 v3, 7, v1 bitop3:0x40
	v_cmp_lt_i32_e32 vcc_lo, 5, v3
	v_cndmask_b32_e64 v4, 0, 1, vcc_lo
	v_cmp_eq_u32_e32 vcc_lo, 3, v3
	v_cndmask_b32_e64 v3, 0, 1, vcc_lo
	v_cmp_ne_u32_e32 vcc_lo, 0, v0
	s_delay_alu instid0(VALU_DEP_2) | instskip(NEXT) | instid1(VALU_DEP_1)
	v_or_b32_e32 v3, v3, v4
	v_dual_mov_b32 v4, 0x7e00 :: v_dual_add_nc_u32 v1, v1, v3
	s_delay_alu instid0(VALU_DEP_1) | instskip(SKIP_1) | instid1(VALU_DEP_3)
	v_cndmask_b32_e32 v0, 0x7c00, v4, vcc_lo
	v_cmp_gt_i32_e32 vcc_lo, 31, v2
	v_cndmask_b32_e32 v1, 0x7c00, v1, vcc_lo
	v_cmp_eq_u32_e32 vcc_lo, 0x40f, v2
	s_delay_alu instid0(VALU_DEP_2) | instskip(NEXT) | instid1(VALU_DEP_1)
	v_dual_cndmask_b32 v0, v1, v0 :: v_dual_lshrrev_b32 v1, 16, v7
	v_and_or_b32 v0, 0x8000, v1, v0
	global_store_b16 v[14:15], v0, off
.LBB142_2098:
	s_mov_b32 s27, 0
.LBB142_2099:
	s_delay_alu instid0(SALU_CYCLE_1)
	s_and_not1_b32 vcc_lo, exec_lo, s27
	s_cbranch_vccnz .LBB142_2115
; %bb.2100:
	s_sext_i32_i16 s30, s29
	s_mov_b32 s27, -1
	s_cmp_lt_i32 s30, 2
	s_cbranch_scc1 .LBB142_2110
; %bb.2101:
	s_cmp_lt_i32 s30, 3
	s_cbranch_scc1 .LBB142_2107
; %bb.2102:
	s_cmp_gt_i32 s30, 3
	s_cbranch_scc0 .LBB142_2104
; %bb.2103:
	s_wait_loadcnt 0x0
	v_trunc_f64_e32 v[0:1], v[6:7]
	s_mov_b32 s27, 0
	s_delay_alu instid0(VALU_DEP_1) | instskip(NEXT) | instid1(VALU_DEP_1)
	v_ldexp_f64 v[2:3], v[0:1], 0xffffffe0
	v_floor_f64_e32 v[2:3], v[2:3]
	s_delay_alu instid0(VALU_DEP_1) | instskip(SKIP_1) | instid1(VALU_DEP_2)
	v_fmamk_f64 v[0:1], v[2:3], 0xc1f00000, v[0:1]
	v_cvt_i32_f64_e32 v3, v[2:3]
	v_cvt_u32_f64_e32 v2, v[0:1]
	global_store_b64 v[14:15], v[2:3], off
.LBB142_2104:
	s_and_not1_b32 vcc_lo, exec_lo, s27
	s_cbranch_vccnz .LBB142_2106
; %bb.2105:
	s_wait_loadcnt 0x0
	v_cvt_i32_f64_e32 v0, v[6:7]
	global_store_b32 v[14:15], v0, off
.LBB142_2106:
	s_mov_b32 s27, 0
.LBB142_2107:
	s_delay_alu instid0(SALU_CYCLE_1)
	s_and_not1_b32 vcc_lo, exec_lo, s27
	s_cbranch_vccnz .LBB142_2109
; %bb.2108:
	s_wait_loadcnt 0x0
	v_cvt_i32_f64_e32 v0, v[6:7]
	global_store_b16 v[14:15], v0, off
.LBB142_2109:
	s_mov_b32 s27, 0
.LBB142_2110:
	s_delay_alu instid0(SALU_CYCLE_1)
	s_and_not1_b32 vcc_lo, exec_lo, s27
	s_cbranch_vccnz .LBB142_2115
; %bb.2111:
	s_sext_i32_i16 s27, s29
	s_delay_alu instid0(SALU_CYCLE_1)
	s_cmp_gt_i32 s27, 0
	s_mov_b32 s27, -1
	s_cbranch_scc0 .LBB142_2113
; %bb.2112:
	s_wait_loadcnt 0x0
	v_cvt_i32_f64_e32 v0, v[6:7]
	s_mov_b32 s27, 0
	global_store_b8 v[14:15], v0, off
.LBB142_2113:
	s_and_not1_b32 vcc_lo, exec_lo, s27
	s_cbranch_vccnz .LBB142_2115
; %bb.2114:
	s_wait_loadcnt 0x0
	v_trunc_f64_e32 v[0:1], v[6:7]
	s_delay_alu instid0(VALU_DEP_1) | instskip(NEXT) | instid1(VALU_DEP_1)
	v_ldexp_f64 v[2:3], v[0:1], 0xffffffe0
	v_floor_f64_e32 v[2:3], v[2:3]
	s_delay_alu instid0(VALU_DEP_1) | instskip(NEXT) | instid1(VALU_DEP_1)
	v_fmamk_f64 v[0:1], v[2:3], 0xc1f00000, v[0:1]
	v_cvt_u32_f64_e32 v0, v[0:1]
	global_store_b8 v[14:15], v0, off
.LBB142_2115:
	s_wait_xcnt 0x0
	s_or_b32 exec_lo, exec_lo, s0
	s_delay_alu instid0(SALU_CYCLE_1)
	s_and_b32 s27, s28, exec_lo
                                        ; implicit-def: $vgpr50
.LBB142_2116:
	s_or_saveexec_b32 s26, s26
	s_mov_b32 s29, 0
                                        ; implicit-def: $sgpr28
                                        ; implicit-def: $vgpr4_vgpr5
                                        ; implicit-def: $vgpr2_vgpr3
	s_xor_b32 exec_lo, exec_lo, s26
	s_cbranch_execz .LBB142_4183
; %bb.2117:
	s_wait_loadcnt 0x0
	v_mul_lo_u32 v8, s21, v50
	s_and_b32 s25, s25, 0xff
	s_delay_alu instid0(SALU_CYCLE_1) | instskip(NEXT) | instid1(VALU_DEP_1)
	s_cmp_lt_i32 s25, 11
	v_ashrrev_i32_e32 v9, 31, v8
	s_delay_alu instid0(VALU_DEP_1)
	v_add_nc_u64_e32 v[4:5], s[6:7], v[8:9]
	s_cbranch_scc1 .LBB142_2124
; %bb.2118:
	s_and_b32 s0, 0xffff, s25
	s_mov_b32 s28, 0
	s_cmp_gt_i32 s0, 25
	s_cbranch_scc0 .LBB142_2126
; %bb.2119:
	s_cmp_gt_i32 s0, 28
	s_cbranch_scc0 .LBB142_2127
; %bb.2120:
	s_cmp_gt_i32 s0, 43
	s_cbranch_scc0 .LBB142_2128
; %bb.2121:
	s_cmp_gt_i32 s0, 45
	s_cbranch_scc0 .LBB142_2129
; %bb.2122:
	s_cmp_eq_u32 s0, 46
	s_mov_b32 s30, 0
	s_cbranch_scc0 .LBB142_2130
; %bb.2123:
	global_load_b32 v0, v[4:5], off
	s_mov_b32 s29, -1
	s_wait_loadcnt 0x0
	v_lshlrev_b32_e32 v1, 16, v0
	v_and_b32_e32 v2, 0xffff0000, v0
	s_delay_alu instid0(VALU_DEP_2) | instskip(NEXT) | instid1(VALU_DEP_2)
	v_cvt_f64_f32_e32 v[0:1], v1
	v_cvt_f64_f32_e32 v[2:3], v2
	s_branch .LBB142_2132
.LBB142_2124:
	s_mov_b32 s24, s27
                                        ; implicit-def: $vgpr2_vgpr3
	s_cbranch_execnz .LBB142_2194
.LBB142_2125:
	s_and_not1_b32 vcc_lo, exec_lo, s29
	s_cbranch_vccz .LBB142_2241
	s_branch .LBB142_4181
.LBB142_2126:
                                        ; implicit-def: $vgpr2_vgpr3
	s_cbranch_execnz .LBB142_2160
	s_branch .LBB142_2190
.LBB142_2127:
                                        ; implicit-def: $vgpr2_vgpr3
	s_cbranch_execnz .LBB142_2144
	s_branch .LBB142_2159
.LBB142_2128:
	s_mov_b32 s30, -1
                                        ; implicit-def: $vgpr2_vgpr3
	s_branch .LBB142_2138
.LBB142_2129:
	s_mov_b32 s30, -1
	s_branch .LBB142_2131
.LBB142_2130:
	s_mov_b32 s24, -1
.LBB142_2131:
                                        ; implicit-def: $vgpr2_vgpr3
.LBB142_2132:
	s_and_b32 vcc_lo, exec_lo, s30
	s_cbranch_vccz .LBB142_2137
; %bb.2133:
	s_cmp_eq_u32 s0, 44
	s_cbranch_scc0 .LBB142_2135
; %bb.2134:
	global_load_u8 v2, v[4:5], off
	s_mov_b32 s24, 0
	s_mov_b32 s29, -1
	s_wait_loadcnt 0x0
	v_cmp_ne_u32_e32 vcc_lo, 0xff, v2
	v_lshlrev_b32_e32 v0, 23, v2
	s_delay_alu instid0(VALU_DEP_1) | instskip(NEXT) | instid1(VALU_DEP_1)
	v_cvt_f64_f32_e32 v[0:1], v0
	v_cndmask_b32_e32 v0, 0x20000000, v0, vcc_lo
	s_delay_alu instid0(VALU_DEP_2) | instskip(SKIP_1) | instid1(VALU_DEP_2)
	v_cndmask_b32_e32 v1, 0x7ff80000, v1, vcc_lo
	v_cmp_ne_u32_e32 vcc_lo, 0, v2
	v_cndmask_b32_e32 v1, 0x38000000, v1, vcc_lo
	s_delay_alu instid0(VALU_DEP_4)
	v_cndmask_b32_e32 v0, 0, v0, vcc_lo
	s_branch .LBB142_2136
.LBB142_2135:
	s_mov_b32 s24, -1
                                        ; implicit-def: $vgpr0_vgpr1
.LBB142_2136:
	v_mov_b64_e32 v[2:3], 0
.LBB142_2137:
	s_mov_b32 s30, 0
.LBB142_2138:
	s_delay_alu instid0(SALU_CYCLE_1)
	s_and_b32 vcc_lo, exec_lo, s30
	s_cbranch_vccz .LBB142_2143
; %bb.2139:
	s_cmp_eq_u32 s0, 29
	s_cbranch_scc0 .LBB142_2141
; %bb.2140:
	global_load_b64 v[0:1], v[4:5], off
	s_mov_b32 s24, 0
	s_mov_b32 s29, -1
	s_wait_loadcnt 0x0
	v_cvt_f64_u32_e32 v[2:3], v1
	v_cvt_f64_u32_e32 v[0:1], v0
	s_delay_alu instid0(VALU_DEP_2) | instskip(NEXT) | instid1(VALU_DEP_1)
	v_ldexp_f64 v[2:3], v[2:3], 32
	v_add_f64_e32 v[0:1], v[2:3], v[0:1]
	s_branch .LBB142_2142
.LBB142_2141:
	s_mov_b32 s24, -1
                                        ; implicit-def: $vgpr0_vgpr1
.LBB142_2142:
	v_mov_b64_e32 v[2:3], 0
.LBB142_2143:
	s_branch .LBB142_2159
.LBB142_2144:
	s_cmp_lt_i32 s0, 27
	s_cbranch_scc1 .LBB142_2147
; %bb.2145:
	s_cmp_gt_i32 s0, 27
	s_cbranch_scc0 .LBB142_2148
; %bb.2146:
	global_load_b32 v0, v[4:5], off
	s_mov_b32 s29, 0
	s_wait_loadcnt 0x0
	v_cvt_f64_u32_e32 v[0:1], v0
	s_branch .LBB142_2149
.LBB142_2147:
	s_mov_b32 s29, -1
                                        ; implicit-def: $vgpr0_vgpr1
	s_branch .LBB142_2152
.LBB142_2148:
	s_mov_b32 s29, -1
                                        ; implicit-def: $vgpr0_vgpr1
.LBB142_2149:
	s_delay_alu instid0(SALU_CYCLE_1)
	s_and_not1_b32 vcc_lo, exec_lo, s29
	s_cbranch_vccnz .LBB142_2151
; %bb.2150:
	global_load_u16 v0, v[4:5], off
	s_wait_loadcnt 0x0
	v_cvt_f64_u32_e32 v[0:1], v0
.LBB142_2151:
	s_mov_b32 s29, 0
.LBB142_2152:
	s_delay_alu instid0(SALU_CYCLE_1)
	s_and_not1_b32 vcc_lo, exec_lo, s29
	s_cbranch_vccnz .LBB142_2158
; %bb.2153:
	global_load_u8 v2, v[4:5], off
	s_mov_b32 s29, 0
	s_mov_b32 s30, exec_lo
	s_wait_loadcnt 0x0
	v_cmpx_lt_i16_e32 0x7f, v2
	s_xor_b32 s30, exec_lo, s30
	s_cbranch_execnz .LBB142_2170
; %bb.2154:
	s_or_saveexec_b32 s30, s30
	v_mov_b64_e32 v[0:1], 0x7ff8000020000000
	s_xor_b32 exec_lo, exec_lo, s30
	s_cbranch_execnz .LBB142_2173
.LBB142_2155:
	s_or_b32 exec_lo, exec_lo, s30
	s_and_saveexec_b32 s30, s29
	s_cbranch_execz .LBB142_2157
.LBB142_2156:
	v_and_b32_e32 v0, 0xffff, v2
	s_delay_alu instid0(VALU_DEP_1) | instskip(SKIP_1) | instid1(VALU_DEP_2)
	v_and_b32_e32 v1, 7, v0
	v_bfe_u32 v7, v0, 3, 4
	v_clz_i32_u32_e32 v3, v1
	s_delay_alu instid0(VALU_DEP_2) | instskip(NEXT) | instid1(VALU_DEP_2)
	v_cmp_eq_u32_e32 vcc_lo, 0, v7
	v_min_u32_e32 v3, 32, v3
	s_delay_alu instid0(VALU_DEP_1) | instskip(NEXT) | instid1(VALU_DEP_1)
	v_subrev_nc_u32_e32 v6, 28, v3
	v_dual_lshlrev_b32 v0, v6, v0 :: v_dual_sub_nc_u32 v3, 29, v3
	s_delay_alu instid0(VALU_DEP_1) | instskip(NEXT) | instid1(VALU_DEP_1)
	v_dual_lshlrev_b32 v2, 24, v2 :: v_dual_bitop2_b32 v0, 7, v0 bitop3:0x40
	v_dual_cndmask_b32 v3, v7, v3 :: v_dual_cndmask_b32 v0, v1, v0
	s_delay_alu instid0(VALU_DEP_2) | instskip(NEXT) | instid1(VALU_DEP_2)
	v_and_b32_e32 v1, 0x80000000, v2
	v_lshl_add_u32 v2, v3, 23, 0x3b800000
	s_delay_alu instid0(VALU_DEP_3) | instskip(NEXT) | instid1(VALU_DEP_1)
	v_lshlrev_b32_e32 v0, 20, v0
	v_or3_b32 v0, v1, v2, v0
	s_delay_alu instid0(VALU_DEP_1)
	v_cvt_f64_f32_e32 v[0:1], v0
.LBB142_2157:
	s_or_b32 exec_lo, exec_lo, s30
.LBB142_2158:
	v_mov_b64_e32 v[2:3], 0
	s_mov_b32 s29, -1
.LBB142_2159:
	s_branch .LBB142_2190
.LBB142_2160:
	s_cmp_gt_i32 s0, 22
	s_cbranch_scc0 .LBB142_2168
; %bb.2161:
	s_cmp_lt_i32 s0, 24
	s_cbranch_scc1 .LBB142_2169
; %bb.2162:
	s_cmp_gt_i32 s0, 24
	s_cbranch_scc0 .LBB142_2174
; %bb.2163:
	global_load_u8 v2, v[4:5], off
	s_mov_b32 s29, exec_lo
	s_wait_loadcnt 0x0
	v_cmpx_lt_i16_e32 0x7f, v2
	s_xor_b32 s29, exec_lo, s29
	s_cbranch_execnz .LBB142_2254
; %bb.2164:
	s_or_saveexec_b32 s29, s29
	v_mov_b64_e32 v[0:1], 0x7ff8000020000000
	s_xor_b32 exec_lo, exec_lo, s29
	s_cbranch_execnz .LBB142_2257
.LBB142_2165:
	s_or_b32 exec_lo, exec_lo, s29
	s_and_saveexec_b32 s29, s28
	s_cbranch_execz .LBB142_2167
.LBB142_2166:
	v_and_b32_e32 v0, 0xffff, v2
	s_delay_alu instid0(VALU_DEP_1) | instskip(SKIP_1) | instid1(VALU_DEP_2)
	v_and_b32_e32 v1, 3, v0
	v_bfe_u32 v7, v0, 2, 5
	v_clz_i32_u32_e32 v3, v1
	s_delay_alu instid0(VALU_DEP_2) | instskip(NEXT) | instid1(VALU_DEP_2)
	v_cmp_eq_u32_e32 vcc_lo, 0, v7
	v_min_u32_e32 v3, 32, v3
	s_delay_alu instid0(VALU_DEP_1) | instskip(NEXT) | instid1(VALU_DEP_1)
	v_subrev_nc_u32_e32 v6, 29, v3
	v_dual_lshlrev_b32 v0, v6, v0 :: v_dual_sub_nc_u32 v3, 30, v3
	s_delay_alu instid0(VALU_DEP_1) | instskip(NEXT) | instid1(VALU_DEP_1)
	v_dual_lshlrev_b32 v2, 24, v2 :: v_dual_bitop2_b32 v0, 3, v0 bitop3:0x40
	v_dual_cndmask_b32 v3, v7, v3 :: v_dual_cndmask_b32 v0, v1, v0
	s_delay_alu instid0(VALU_DEP_2) | instskip(NEXT) | instid1(VALU_DEP_2)
	v_and_b32_e32 v1, 0x80000000, v2
	v_lshl_add_u32 v2, v3, 23, 0x37800000
	s_delay_alu instid0(VALU_DEP_3) | instskip(NEXT) | instid1(VALU_DEP_1)
	v_lshlrev_b32_e32 v0, 21, v0
	v_or3_b32 v0, v1, v2, v0
	s_delay_alu instid0(VALU_DEP_1)
	v_cvt_f64_f32_e32 v[0:1], v0
.LBB142_2167:
	s_or_b32 exec_lo, exec_lo, s29
	s_mov_b32 s28, 0
	s_branch .LBB142_2175
.LBB142_2168:
                                        ; implicit-def: $vgpr0_vgpr1
	s_mov_b32 s28, 0
	s_branch .LBB142_2181
.LBB142_2169:
	s_mov_b32 s28, -1
                                        ; implicit-def: $vgpr0_vgpr1
	s_branch .LBB142_2178
.LBB142_2170:
	s_mov_b32 s29, -1
	s_mov_b32 s31, exec_lo
	v_cmpx_eq_u16_e32 0x80, v2
; %bb.2171:
	s_xor_b32 s29, exec_lo, -1
; %bb.2172:
	s_or_b32 exec_lo, exec_lo, s31
	s_delay_alu instid0(SALU_CYCLE_1)
	s_and_b32 s29, s29, exec_lo
	s_or_saveexec_b32 s30, s30
	v_mov_b64_e32 v[0:1], 0x7ff8000020000000
	s_xor_b32 exec_lo, exec_lo, s30
	s_cbranch_execz .LBB142_2155
.LBB142_2173:
	v_cmp_ne_u16_e32 vcc_lo, 0, v2
	v_mov_b64_e32 v[0:1], 0
	s_and_not1_b32 s29, s29, exec_lo
	s_and_b32 s31, vcc_lo, exec_lo
	s_delay_alu instid0(SALU_CYCLE_1)
	s_or_b32 s29, s29, s31
	s_or_b32 exec_lo, exec_lo, s30
	s_and_saveexec_b32 s30, s29
	s_cbranch_execnz .LBB142_2156
	s_branch .LBB142_2157
.LBB142_2174:
	s_mov_b32 s28, -1
                                        ; implicit-def: $vgpr0_vgpr1
.LBB142_2175:
	s_delay_alu instid0(SALU_CYCLE_1)
	s_and_b32 vcc_lo, exec_lo, s28
	s_cbranch_vccz .LBB142_2177
; %bb.2176:
	global_load_u8 v0, v[4:5], off
	s_wait_loadcnt 0x0
	v_lshlrev_b32_e32 v0, 24, v0
	s_delay_alu instid0(VALU_DEP_1) | instskip(NEXT) | instid1(VALU_DEP_1)
	v_and_b32_e32 v1, 0x7f000000, v0
	v_clz_i32_u32_e32 v2, v1
	v_cmp_ne_u32_e32 vcc_lo, 0, v1
	v_add_nc_u32_e32 v6, 0x1000000, v1
	s_delay_alu instid0(VALU_DEP_3) | instskip(NEXT) | instid1(VALU_DEP_1)
	v_min_u32_e32 v2, 32, v2
	v_sub_nc_u32_e64 v2, v2, 4 clamp
	s_delay_alu instid0(VALU_DEP_1) | instskip(NEXT) | instid1(VALU_DEP_1)
	v_dual_lshlrev_b32 v3, v2, v1 :: v_dual_lshlrev_b32 v2, 23, v2
	v_lshrrev_b32_e32 v3, 4, v3
	s_delay_alu instid0(VALU_DEP_1) | instskip(SKIP_1) | instid1(VALU_DEP_2)
	v_sub_nc_u32_e32 v2, v3, v2
	v_ashrrev_i32_e32 v3, 8, v6
	v_add_nc_u32_e32 v2, 0x3c000000, v2
	s_delay_alu instid0(VALU_DEP_1) | instskip(NEXT) | instid1(VALU_DEP_1)
	v_and_or_b32 v2, 0x7f800000, v3, v2
	v_cndmask_b32_e32 v1, 0, v2, vcc_lo
	s_delay_alu instid0(VALU_DEP_1) | instskip(NEXT) | instid1(VALU_DEP_1)
	v_and_or_b32 v0, 0x80000000, v0, v1
	v_cvt_f64_f32_e32 v[0:1], v0
.LBB142_2177:
	s_mov_b32 s28, 0
.LBB142_2178:
	s_delay_alu instid0(SALU_CYCLE_1)
	s_and_not1_b32 vcc_lo, exec_lo, s28
	s_cbranch_vccnz .LBB142_2180
; %bb.2179:
	global_load_u8 v0, v[4:5], off
	s_wait_loadcnt 0x0
	v_lshlrev_b32_e32 v1, 25, v0
	v_lshlrev_b16 v0, 8, v0
	s_delay_alu instid0(VALU_DEP_1) | instskip(SKIP_1) | instid1(VALU_DEP_2)
	v_and_or_b32 v3, 0x7f00, v0, 0.5
	v_bfe_i32 v0, v0, 0, 16
	v_dual_add_f32 v3, -0.5, v3 :: v_dual_lshrrev_b32 v2, 4, v1
	v_cmp_gt_u32_e32 vcc_lo, 0x8000000, v1
	s_delay_alu instid0(VALU_DEP_2) | instskip(NEXT) | instid1(VALU_DEP_1)
	v_or_b32_e32 v2, 0x70000000, v2
	v_mul_f32_e32 v2, 0x7800000, v2
	s_delay_alu instid0(VALU_DEP_1) | instskip(NEXT) | instid1(VALU_DEP_1)
	v_cndmask_b32_e32 v1, v2, v3, vcc_lo
	v_and_or_b32 v0, 0x80000000, v0, v1
	s_delay_alu instid0(VALU_DEP_1)
	v_cvt_f64_f32_e32 v[0:1], v0
.LBB142_2180:
	s_mov_b32 s29, -1
	s_mov_b32 s28, 0
	s_cbranch_execnz .LBB142_2189
.LBB142_2181:
	s_cmp_gt_i32 s0, 14
	s_cbranch_scc0 .LBB142_2184
; %bb.2182:
	s_cmp_eq_u32 s0, 15
	s_cbranch_scc0 .LBB142_2185
; %bb.2183:
	global_load_u16 v0, v[4:5], off
	s_mov_b32 s24, 0
	s_mov_b32 s29, -1
	s_wait_loadcnt 0x0
	v_lshlrev_b32_e32 v0, 16, v0
	s_delay_alu instid0(VALU_DEP_1)
	v_cvt_f64_f32_e32 v[0:1], v0
	s_branch .LBB142_2187
.LBB142_2184:
	s_mov_b32 s28, -1
	s_branch .LBB142_2186
.LBB142_2185:
	s_mov_b32 s24, -1
.LBB142_2186:
                                        ; implicit-def: $vgpr0_vgpr1
.LBB142_2187:
	s_and_b32 vcc_lo, exec_lo, s28
	s_mov_b32 s28, 0
	s_cbranch_vccz .LBB142_2189
; %bb.2188:
	s_cmp_lg_u32 s0, 11
	s_mov_b32 s28, -1
	s_cselect_b32 s24, -1, 0
.LBB142_2189:
	v_mov_b64_e32 v[2:3], 0
.LBB142_2190:
	s_and_b32 vcc_lo, exec_lo, s24
	s_mov_b32 s24, s27
	s_cbranch_vccnz .LBB142_2253
; %bb.2191:
	s_and_not1_b32 vcc_lo, exec_lo, s28
	s_cbranch_vccnz .LBB142_2193
.LBB142_2192:
	global_load_u8 v0, v[4:5], off
	v_mov_b64_e32 v[2:3], 0
	s_mov_b32 s29, -1
	s_wait_loadcnt 0x0
	v_cmp_ne_u16_e32 vcc_lo, 0, v0
	v_mov_b32_e32 v0, 0
	v_cndmask_b32_e64 v1, 0, 0x3ff00000, vcc_lo
.LBB142_2193:
	s_branch .LBB142_2125
.LBB142_2194:
	s_and_b32 s0, 0xffff, s25
	s_delay_alu instid0(SALU_CYCLE_1)
	s_cmp_lt_i32 s0, 5
	s_cbranch_scc1 .LBB142_2199
; %bb.2195:
	s_cmp_lt_i32 s0, 8
	s_cbranch_scc1 .LBB142_2201
; %bb.2196:
	;; [unrolled: 3-line block ×3, first 2 shown]
	s_cmp_gt_i32 s0, 9
	s_cbranch_scc0 .LBB142_2203
; %bb.2198:
	global_load_b128 v[0:3], v[4:5], off
	s_mov_b32 s28, 0
	s_branch .LBB142_2204
.LBB142_2199:
                                        ; implicit-def: $vgpr2_vgpr3
	s_branch .LBB142_2222
.LBB142_2200:
	s_branch .LBB142_2241
.LBB142_2201:
                                        ; implicit-def: $vgpr2_vgpr3
	s_branch .LBB142_2210
.LBB142_2202:
	s_mov_b32 s28, -1
                                        ; implicit-def: $vgpr2_vgpr3
	s_branch .LBB142_2207
.LBB142_2203:
	s_mov_b32 s28, -1
                                        ; implicit-def: $vgpr2_vgpr3
.LBB142_2204:
	s_delay_alu instid0(SALU_CYCLE_1)
	s_and_not1_b32 vcc_lo, exec_lo, s28
	s_cbranch_vccnz .LBB142_2206
; %bb.2205:
	s_wait_loadcnt 0x0
	global_load_b64 v[2:3], v[4:5], off
	s_wait_loadcnt 0x0
	v_cvt_f64_f32_e32 v[0:1], v2
	v_cvt_f64_f32_e32 v[2:3], v3
.LBB142_2206:
	s_mov_b32 s28, 0
.LBB142_2207:
	s_delay_alu instid0(SALU_CYCLE_1)
	s_and_not1_b32 vcc_lo, exec_lo, s28
	s_cbranch_vccnz .LBB142_2209
; %bb.2208:
	s_wait_loadcnt 0x0
	global_load_b32 v0, v[4:5], off
	s_wait_loadcnt 0x0
	v_lshrrev_b32_e32 v1, 16, v0
	v_cvt_f32_f16_e32 v0, v0
	s_delay_alu instid0(VALU_DEP_2) | instskip(NEXT) | instid1(VALU_DEP_2)
	v_cvt_f32_f16_e32 v2, v1
	v_cvt_f64_f32_e32 v[0:1], v0
	s_delay_alu instid0(VALU_DEP_2)
	v_cvt_f64_f32_e32 v[2:3], v2
.LBB142_2209:
	s_cbranch_execnz .LBB142_2221
.LBB142_2210:
	s_cmp_lt_i32 s0, 6
	s_cbranch_scc1 .LBB142_2213
; %bb.2211:
	s_cmp_gt_i32 s0, 6
	s_cbranch_scc0 .LBB142_2214
; %bb.2212:
	s_wait_loadcnt 0x0
	global_load_b64 v[0:1], v[4:5], off
	s_mov_b32 s28, 0
	s_branch .LBB142_2215
.LBB142_2213:
	s_mov_b32 s28, -1
                                        ; implicit-def: $vgpr0_vgpr1
	s_branch .LBB142_2218
.LBB142_2214:
	s_mov_b32 s28, -1
                                        ; implicit-def: $vgpr0_vgpr1
.LBB142_2215:
	s_delay_alu instid0(SALU_CYCLE_1)
	s_and_not1_b32 vcc_lo, exec_lo, s28
	s_cbranch_vccnz .LBB142_2217
; %bb.2216:
	s_wait_loadcnt 0x0
	global_load_b32 v0, v[4:5], off
	s_wait_loadcnt 0x0
	v_cvt_f64_f32_e32 v[0:1], v0
.LBB142_2217:
	s_mov_b32 s28, 0
.LBB142_2218:
	s_delay_alu instid0(SALU_CYCLE_1)
	s_and_not1_b32 vcc_lo, exec_lo, s28
	s_cbranch_vccnz .LBB142_2220
; %bb.2219:
	s_wait_loadcnt 0x0
	global_load_u16 v0, v[4:5], off
	s_wait_loadcnt 0x0
	v_cvt_f32_f16_e32 v0, v0
	s_delay_alu instid0(VALU_DEP_1)
	v_cvt_f64_f32_e32 v[0:1], v0
.LBB142_2220:
	s_wait_loadcnt 0x0
	v_mov_b64_e32 v[2:3], 0
.LBB142_2221:
	s_cbranch_execnz .LBB142_2200
.LBB142_2222:
	s_cmp_lt_i32 s0, 2
	s_cbranch_scc1 .LBB142_2226
; %bb.2223:
	s_cmp_lt_i32 s0, 3
	s_cbranch_scc1 .LBB142_2227
; %bb.2224:
	s_cmp_gt_i32 s0, 3
	s_cbranch_scc0 .LBB142_2228
; %bb.2225:
	s_wait_loadcnt 0x0
	global_load_b64 v[0:1], v[4:5], off
	s_mov_b32 s28, 0
	s_wait_loadcnt 0x0
	v_cvt_f64_i32_e32 v[2:3], v1
	v_cvt_f64_u32_e32 v[0:1], v0
	s_delay_alu instid0(VALU_DEP_2) | instskip(NEXT) | instid1(VALU_DEP_1)
	v_ldexp_f64 v[2:3], v[2:3], 32
	v_add_f64_e32 v[0:1], v[2:3], v[0:1]
	s_branch .LBB142_2229
.LBB142_2226:
                                        ; implicit-def: $vgpr0_vgpr1
	s_branch .LBB142_2235
.LBB142_2227:
	s_mov_b32 s28, -1
                                        ; implicit-def: $vgpr0_vgpr1
	s_branch .LBB142_2232
.LBB142_2228:
	s_mov_b32 s28, -1
                                        ; implicit-def: $vgpr0_vgpr1
.LBB142_2229:
	s_delay_alu instid0(SALU_CYCLE_1)
	s_and_not1_b32 vcc_lo, exec_lo, s28
	s_cbranch_vccnz .LBB142_2231
; %bb.2230:
	s_wait_loadcnt 0x0
	global_load_b32 v0, v[4:5], off
	s_wait_loadcnt 0x0
	v_cvt_f64_i32_e32 v[0:1], v0
.LBB142_2231:
	s_mov_b32 s28, 0
.LBB142_2232:
	s_delay_alu instid0(SALU_CYCLE_1)
	s_and_not1_b32 vcc_lo, exec_lo, s28
	s_cbranch_vccnz .LBB142_2234
; %bb.2233:
	s_wait_loadcnt 0x0
	global_load_i16 v0, v[4:5], off
	s_wait_loadcnt 0x0
	v_cvt_f64_i32_e32 v[0:1], v0
.LBB142_2234:
	s_cbranch_execnz .LBB142_2240
.LBB142_2235:
	s_cmp_gt_i32 s0, 0
	s_mov_b32 s0, 0
	s_cbranch_scc0 .LBB142_2237
; %bb.2236:
	s_wait_loadcnt 0x0
	global_load_i8 v0, v[4:5], off
	s_wait_loadcnt 0x0
	v_cvt_f64_i32_e32 v[0:1], v0
	s_branch .LBB142_2238
.LBB142_2237:
	s_mov_b32 s0, -1
                                        ; implicit-def: $vgpr0_vgpr1
.LBB142_2238:
	s_delay_alu instid0(SALU_CYCLE_1)
	s_and_not1_b32 vcc_lo, exec_lo, s0
	s_cbranch_vccnz .LBB142_2240
; %bb.2239:
	s_wait_loadcnt 0x0
	global_load_u8 v0, v[4:5], off
	s_wait_loadcnt 0x0
	v_cvt_f64_u32_e32 v[0:1], v0
.LBB142_2240:
	s_wait_loadcnt 0x0
	v_mov_b64_e32 v[2:3], 0
.LBB142_2241:
	v_mul_lo_u32 v16, s22, v50
	s_and_b32 s3, s3, 0xff
	s_delay_alu instid0(SALU_CYCLE_1) | instskip(NEXT) | instid1(VALU_DEP_1)
	s_cmp_lt_i32 s3, 11
	v_ashrrev_i32_e32 v17, 31, v16
	s_delay_alu instid0(VALU_DEP_1)
	v_add_nc_u64_e32 v[10:11], s[8:9], v[16:17]
	s_cbranch_scc1 .LBB142_2248
; %bb.2242:
	s_and_b32 s0, 0xffff, s3
	s_mov_b32 s29, 0
	s_cmp_gt_i32 s0, 25
	s_cbranch_scc0 .LBB142_2250
; %bb.2243:
	s_cmp_gt_i32 s0, 28
	s_cbranch_scc0 .LBB142_2251
; %bb.2244:
	;; [unrolled: 3-line block ×4, first 2 shown]
	s_cmp_eq_u32 s0, 46
	s_mov_b32 s31, 0
	s_cbranch_scc0 .LBB142_2261
; %bb.2247:
	global_load_b32 v4, v[10:11], off
	s_mov_b32 s28, 0
	s_mov_b32 s30, -1
	s_wait_loadcnt 0x0
	v_lshlrev_b32_e32 v5, 16, v4
	v_and_b32_e32 v6, 0xffff0000, v4
	s_delay_alu instid0(VALU_DEP_2) | instskip(NEXT) | instid1(VALU_DEP_2)
	v_cvt_f64_f32_e32 v[4:5], v5
	v_cvt_f64_f32_e32 v[6:7], v6
	s_branch .LBB142_2263
.LBB142_2248:
	s_mov_b32 s30, 0
                                        ; implicit-def: $vgpr6_vgpr7
	s_cbranch_execnz .LBB142_2327
.LBB142_2249:
	s_and_not1_b32 vcc_lo, exec_lo, s30
	s_cbranch_vccz .LBB142_2376
	s_branch .LBB142_4181
.LBB142_2250:
	s_mov_b32 s30, 0
	s_mov_b32 s28, 0
                                        ; implicit-def: $vgpr6_vgpr7
	s_cbranch_execnz .LBB142_2292
	s_branch .LBB142_2323
.LBB142_2251:
	s_mov_b32 s31, -1
	s_mov_b32 s30, 0
	s_mov_b32 s28, 0
                                        ; implicit-def: $vgpr6_vgpr7
	s_branch .LBB142_2275
.LBB142_2252:
	s_mov_b32 s31, -1
	s_mov_b32 s30, 0
	s_mov_b32 s28, 0
                                        ; implicit-def: $vgpr6_vgpr7
	s_branch .LBB142_2269
.LBB142_2253:
	s_or_b32 s24, s27, exec_lo
	s_trap 2
	s_cbranch_execz .LBB142_2192
	s_branch .LBB142_2193
.LBB142_2254:
	s_mov_b32 s28, -1
	s_mov_b32 s30, exec_lo
	v_cmpx_eq_u16_e32 0x80, v2
; %bb.2255:
	s_xor_b32 s28, exec_lo, -1
; %bb.2256:
	s_or_b32 exec_lo, exec_lo, s30
	s_delay_alu instid0(SALU_CYCLE_1)
	s_and_b32 s28, s28, exec_lo
	s_or_saveexec_b32 s29, s29
	v_mov_b64_e32 v[0:1], 0x7ff8000020000000
	s_xor_b32 exec_lo, exec_lo, s29
	s_cbranch_execz .LBB142_2165
.LBB142_2257:
	v_cmp_ne_u16_e32 vcc_lo, 0, v2
	v_mov_b64_e32 v[0:1], 0
	s_and_not1_b32 s28, s28, exec_lo
	s_and_b32 s30, vcc_lo, exec_lo
	s_delay_alu instid0(SALU_CYCLE_1)
	s_or_b32 s28, s28, s30
	s_or_b32 exec_lo, exec_lo, s29
	s_and_saveexec_b32 s29, s28
	s_cbranch_execnz .LBB142_2166
	s_branch .LBB142_2167
.LBB142_2258:
	s_mov_b32 s31, -1
	s_mov_b32 s30, 0
	s_mov_b32 s28, 0
	s_branch .LBB142_2262
.LBB142_2259:
	v_bfe_u32 v1, v0, 20, 1
	s_mov_b32 s34, exec_lo
	s_delay_alu instid0(VALU_DEP_1) | instskip(NEXT) | instid1(VALU_DEP_1)
	v_add3_u32 v1, v0, v1, 0x487ffff
	v_lshrrev_b32_e32 v1, 20, v1
	s_and_not1_saveexec_b32 s35, s35
	s_cbranch_execz .LBB142_2029
.LBB142_2260:
	v_add_f32_e64 v1, 0x46000000, |v0|
	s_and_not1_b32 s34, s34, exec_lo
	s_delay_alu instid0(VALU_DEP_1) | instskip(NEXT) | instid1(VALU_DEP_1)
	v_and_b32_e32 v1, 0xff, v1
	v_cmp_ne_u32_e32 vcc_lo, 0, v1
	s_and_b32 s36, vcc_lo, exec_lo
	s_delay_alu instid0(SALU_CYCLE_1)
	s_or_b32 s34, s34, s36
	s_or_b32 exec_lo, exec_lo, s35
	v_mov_b32_e32 v2, 0
	s_and_saveexec_b32 s35, s34
	s_cbranch_execnz .LBB142_2030
	s_branch .LBB142_2031
.LBB142_2261:
	s_mov_b32 s28, -1
	s_mov_b32 s30, 0
.LBB142_2262:
                                        ; implicit-def: $vgpr6_vgpr7
.LBB142_2263:
	s_and_b32 vcc_lo, exec_lo, s31
	s_cbranch_vccz .LBB142_2268
; %bb.2264:
	s_cmp_eq_u32 s0, 44
	s_cbranch_scc0 .LBB142_2266
; %bb.2265:
	global_load_u8 v6, v[10:11], off
	s_mov_b32 s28, 0
	s_mov_b32 s30, -1
	s_wait_loadcnt 0x0
	v_cmp_ne_u32_e32 vcc_lo, 0xff, v6
	s_wait_xcnt 0x1
	v_lshlrev_b32_e32 v4, 23, v6
	s_delay_alu instid0(VALU_DEP_1) | instskip(NEXT) | instid1(VALU_DEP_1)
	v_cvt_f64_f32_e32 v[4:5], v4
	v_cndmask_b32_e32 v4, 0x20000000, v4, vcc_lo
	s_delay_alu instid0(VALU_DEP_2) | instskip(SKIP_1) | instid1(VALU_DEP_2)
	v_cndmask_b32_e32 v5, 0x7ff80000, v5, vcc_lo
	v_cmp_ne_u32_e32 vcc_lo, 0, v6
	v_cndmask_b32_e32 v5, 0x38000000, v5, vcc_lo
	s_delay_alu instid0(VALU_DEP_4)
	v_cndmask_b32_e32 v4, 0, v4, vcc_lo
	s_branch .LBB142_2267
.LBB142_2266:
	s_mov_b32 s28, -1
                                        ; implicit-def: $vgpr4_vgpr5
.LBB142_2267:
	v_mov_b64_e32 v[6:7], 0
.LBB142_2268:
	s_mov_b32 s31, 0
.LBB142_2269:
	s_delay_alu instid0(SALU_CYCLE_1)
	s_and_b32 vcc_lo, exec_lo, s31
	s_cbranch_vccz .LBB142_2274
; %bb.2270:
	s_cmp_eq_u32 s0, 29
	s_cbranch_scc0 .LBB142_2272
; %bb.2271:
	global_load_b64 v[4:5], v[10:11], off
	s_mov_b32 s28, 0
	s_mov_b32 s30, -1
	s_wait_loadcnt 0x0
	v_cvt_f64_u32_e32 v[6:7], v5
	v_cvt_f64_u32_e32 v[4:5], v4
	s_delay_alu instid0(VALU_DEP_2) | instskip(NEXT) | instid1(VALU_DEP_1)
	v_ldexp_f64 v[6:7], v[6:7], 32
	v_add_f64_e32 v[4:5], v[6:7], v[4:5]
	s_branch .LBB142_2273
.LBB142_2272:
	s_mov_b32 s28, -1
                                        ; implicit-def: $vgpr4_vgpr5
.LBB142_2273:
	v_mov_b64_e32 v[6:7], 0
.LBB142_2274:
	s_mov_b32 s31, 0
.LBB142_2275:
	s_delay_alu instid0(SALU_CYCLE_1)
	s_and_b32 vcc_lo, exec_lo, s31
	s_cbranch_vccz .LBB142_2291
; %bb.2276:
	s_cmp_lt_i32 s0, 27
	s_cbranch_scc1 .LBB142_2279
; %bb.2277:
	s_cmp_gt_i32 s0, 27
	s_cbranch_scc0 .LBB142_2280
; %bb.2278:
	global_load_b32 v4, v[10:11], off
	s_mov_b32 s30, 0
	s_wait_loadcnt 0x0
	v_cvt_f64_u32_e32 v[4:5], v4
	s_branch .LBB142_2281
.LBB142_2279:
	s_mov_b32 s30, -1
                                        ; implicit-def: $vgpr4_vgpr5
	s_branch .LBB142_2284
.LBB142_2280:
	s_mov_b32 s30, -1
                                        ; implicit-def: $vgpr4_vgpr5
.LBB142_2281:
	s_delay_alu instid0(SALU_CYCLE_1)
	s_and_not1_b32 vcc_lo, exec_lo, s30
	s_cbranch_vccnz .LBB142_2283
; %bb.2282:
	global_load_u16 v4, v[10:11], off
	s_wait_loadcnt 0x0
	v_cvt_f64_u32_e32 v[4:5], v4
.LBB142_2283:
	s_mov_b32 s30, 0
.LBB142_2284:
	s_delay_alu instid0(SALU_CYCLE_1)
	s_and_not1_b32 vcc_lo, exec_lo, s30
	s_cbranch_vccnz .LBB142_2290
; %bb.2285:
	global_load_u8 v6, v[10:11], off
	s_mov_b32 s30, 0
	s_mov_b32 s31, exec_lo
	s_wait_loadcnt 0x0
	v_cmpx_lt_i16_e32 0x7f, v6
	s_xor_b32 s31, exec_lo, s31
	s_cbranch_execnz .LBB142_2302
; %bb.2286:
	s_or_saveexec_b32 s31, s31
	v_mov_b64_e32 v[4:5], 0x7ff8000020000000
	s_xor_b32 exec_lo, exec_lo, s31
	s_cbranch_execnz .LBB142_2305
.LBB142_2287:
	s_or_b32 exec_lo, exec_lo, s31
	s_and_saveexec_b32 s31, s30
	s_cbranch_execz .LBB142_2289
.LBB142_2288:
	v_and_b32_e32 v4, 0xffff, v6
	s_delay_alu instid0(VALU_DEP_1) | instskip(SKIP_1) | instid1(VALU_DEP_2)
	v_and_b32_e32 v5, 7, v4
	v_bfe_u32 v12, v4, 3, 4
	v_clz_i32_u32_e32 v7, v5
	s_delay_alu instid0(VALU_DEP_2) | instskip(NEXT) | instid1(VALU_DEP_2)
	v_cmp_eq_u32_e32 vcc_lo, 0, v12
	v_min_u32_e32 v7, 32, v7
	s_delay_alu instid0(VALU_DEP_1) | instskip(NEXT) | instid1(VALU_DEP_1)
	v_subrev_nc_u32_e32 v9, 28, v7
	v_dual_lshlrev_b32 v4, v9, v4 :: v_dual_sub_nc_u32 v7, 29, v7
	s_delay_alu instid0(VALU_DEP_1) | instskip(NEXT) | instid1(VALU_DEP_1)
	v_dual_lshlrev_b32 v6, 24, v6 :: v_dual_bitop2_b32 v4, 7, v4 bitop3:0x40
	v_dual_cndmask_b32 v7, v12, v7 :: v_dual_cndmask_b32 v4, v5, v4
	s_delay_alu instid0(VALU_DEP_2) | instskip(NEXT) | instid1(VALU_DEP_2)
	v_and_b32_e32 v5, 0x80000000, v6
	v_lshl_add_u32 v6, v7, 23, 0x3b800000
	s_delay_alu instid0(VALU_DEP_3) | instskip(NEXT) | instid1(VALU_DEP_1)
	v_lshlrev_b32_e32 v4, 20, v4
	v_or3_b32 v4, v5, v6, v4
	s_delay_alu instid0(VALU_DEP_1)
	v_cvt_f64_f32_e32 v[4:5], v4
.LBB142_2289:
	s_or_b32 exec_lo, exec_lo, s31
.LBB142_2290:
	v_mov_b64_e32 v[6:7], 0
	s_mov_b32 s30, -1
.LBB142_2291:
	s_branch .LBB142_2323
.LBB142_2292:
	s_cmp_gt_i32 s0, 22
	s_cbranch_scc0 .LBB142_2300
; %bb.2293:
	s_cmp_lt_i32 s0, 24
	s_cbranch_scc1 .LBB142_2301
; %bb.2294:
	s_cmp_gt_i32 s0, 24
	s_cbranch_scc0 .LBB142_2306
; %bb.2295:
	global_load_u8 v6, v[10:11], off
	s_mov_b32 s30, exec_lo
	s_wait_loadcnt 0x0
	v_cmpx_lt_i16_e32 0x7f, v6
	s_xor_b32 s30, exec_lo, s30
	s_cbranch_execnz .LBB142_2389
; %bb.2296:
	s_or_saveexec_b32 s30, s30
	v_mov_b64_e32 v[4:5], 0x7ff8000020000000
	s_xor_b32 exec_lo, exec_lo, s30
	s_cbranch_execnz .LBB142_2392
.LBB142_2297:
	s_or_b32 exec_lo, exec_lo, s30
	s_and_saveexec_b32 s30, s29
	s_cbranch_execz .LBB142_2299
.LBB142_2298:
	v_and_b32_e32 v4, 0xffff, v6
	s_delay_alu instid0(VALU_DEP_1) | instskip(SKIP_1) | instid1(VALU_DEP_2)
	v_and_b32_e32 v5, 3, v4
	v_bfe_u32 v12, v4, 2, 5
	v_clz_i32_u32_e32 v7, v5
	s_delay_alu instid0(VALU_DEP_2) | instskip(NEXT) | instid1(VALU_DEP_2)
	v_cmp_eq_u32_e32 vcc_lo, 0, v12
	v_min_u32_e32 v7, 32, v7
	s_delay_alu instid0(VALU_DEP_1) | instskip(NEXT) | instid1(VALU_DEP_1)
	v_subrev_nc_u32_e32 v9, 29, v7
	v_dual_lshlrev_b32 v4, v9, v4 :: v_dual_sub_nc_u32 v7, 30, v7
	s_delay_alu instid0(VALU_DEP_1) | instskip(NEXT) | instid1(VALU_DEP_1)
	v_dual_lshlrev_b32 v6, 24, v6 :: v_dual_bitop2_b32 v4, 3, v4 bitop3:0x40
	v_dual_cndmask_b32 v7, v12, v7 :: v_dual_cndmask_b32 v4, v5, v4
	s_delay_alu instid0(VALU_DEP_2) | instskip(NEXT) | instid1(VALU_DEP_2)
	v_and_b32_e32 v5, 0x80000000, v6
	v_lshl_add_u32 v6, v7, 23, 0x37800000
	s_delay_alu instid0(VALU_DEP_3) | instskip(NEXT) | instid1(VALU_DEP_1)
	v_lshlrev_b32_e32 v4, 21, v4
	v_or3_b32 v4, v5, v6, v4
	s_delay_alu instid0(VALU_DEP_1)
	v_cvt_f64_f32_e32 v[4:5], v4
.LBB142_2299:
	s_or_b32 exec_lo, exec_lo, s30
	s_mov_b32 s29, 0
	s_branch .LBB142_2307
.LBB142_2300:
	s_mov_b32 s29, -1
                                        ; implicit-def: $vgpr4_vgpr5
	s_branch .LBB142_2313
.LBB142_2301:
	s_mov_b32 s29, -1
                                        ; implicit-def: $vgpr4_vgpr5
	s_branch .LBB142_2310
.LBB142_2302:
	s_mov_b32 s30, -1
	s_mov_b32 s33, exec_lo
	v_cmpx_eq_u16_e32 0x80, v6
; %bb.2303:
	s_xor_b32 s30, exec_lo, -1
; %bb.2304:
	s_or_b32 exec_lo, exec_lo, s33
	s_delay_alu instid0(SALU_CYCLE_1)
	s_and_b32 s30, s30, exec_lo
	s_or_saveexec_b32 s31, s31
	v_mov_b64_e32 v[4:5], 0x7ff8000020000000
	s_xor_b32 exec_lo, exec_lo, s31
	s_cbranch_execz .LBB142_2287
.LBB142_2305:
	v_cmp_ne_u16_e32 vcc_lo, 0, v6
	v_mov_b64_e32 v[4:5], 0
	s_and_not1_b32 s30, s30, exec_lo
	s_and_b32 s33, vcc_lo, exec_lo
	s_delay_alu instid0(SALU_CYCLE_1)
	s_or_b32 s30, s30, s33
	s_or_b32 exec_lo, exec_lo, s31
	s_and_saveexec_b32 s31, s30
	s_cbranch_execnz .LBB142_2288
	s_branch .LBB142_2289
.LBB142_2306:
	s_mov_b32 s29, -1
                                        ; implicit-def: $vgpr4_vgpr5
.LBB142_2307:
	s_delay_alu instid0(SALU_CYCLE_1)
	s_and_b32 vcc_lo, exec_lo, s29
	s_cbranch_vccz .LBB142_2309
; %bb.2308:
	global_load_u8 v4, v[10:11], off
	s_wait_loadcnt 0x0
	v_lshlrev_b32_e32 v4, 24, v4
	s_delay_alu instid0(VALU_DEP_1) | instskip(NEXT) | instid1(VALU_DEP_1)
	v_and_b32_e32 v5, 0x7f000000, v4
	v_clz_i32_u32_e32 v6, v5
	v_add_nc_u32_e32 v9, 0x1000000, v5
	v_cmp_ne_u32_e32 vcc_lo, 0, v5
	s_delay_alu instid0(VALU_DEP_3) | instskip(NEXT) | instid1(VALU_DEP_1)
	v_min_u32_e32 v6, 32, v6
	v_sub_nc_u32_e64 v6, v6, 4 clamp
	s_delay_alu instid0(VALU_DEP_1) | instskip(NEXT) | instid1(VALU_DEP_1)
	v_dual_lshlrev_b32 v7, v6, v5 :: v_dual_lshlrev_b32 v6, 23, v6
	v_lshrrev_b32_e32 v7, 4, v7
	s_delay_alu instid0(VALU_DEP_1) | instskip(NEXT) | instid1(VALU_DEP_1)
	v_dual_sub_nc_u32 v6, v7, v6 :: v_dual_ashrrev_i32 v7, 8, v9
	v_add_nc_u32_e32 v6, 0x3c000000, v6
	s_delay_alu instid0(VALU_DEP_1) | instskip(NEXT) | instid1(VALU_DEP_1)
	v_and_or_b32 v6, 0x7f800000, v7, v6
	v_cndmask_b32_e32 v5, 0, v6, vcc_lo
	s_delay_alu instid0(VALU_DEP_1) | instskip(NEXT) | instid1(VALU_DEP_1)
	v_and_or_b32 v4, 0x80000000, v4, v5
	v_cvt_f64_f32_e32 v[4:5], v4
.LBB142_2309:
	s_mov_b32 s29, 0
.LBB142_2310:
	s_delay_alu instid0(SALU_CYCLE_1)
	s_and_not1_b32 vcc_lo, exec_lo, s29
	s_cbranch_vccnz .LBB142_2312
; %bb.2311:
	global_load_u8 v4, v[10:11], off
	s_wait_loadcnt 0x0
	v_lshlrev_b32_e32 v5, 25, v4
	v_lshlrev_b16 v4, 8, v4
	s_delay_alu instid0(VALU_DEP_1) | instskip(SKIP_1) | instid1(VALU_DEP_2)
	v_and_or_b32 v7, 0x7f00, v4, 0.5
	v_bfe_i32 v4, v4, 0, 16
	v_dual_add_f32 v7, -0.5, v7 :: v_dual_lshrrev_b32 v6, 4, v5
	v_cmp_gt_u32_e32 vcc_lo, 0x8000000, v5
	s_delay_alu instid0(VALU_DEP_2) | instskip(NEXT) | instid1(VALU_DEP_1)
	v_or_b32_e32 v6, 0x70000000, v6
	v_mul_f32_e32 v6, 0x7800000, v6
	s_delay_alu instid0(VALU_DEP_1) | instskip(NEXT) | instid1(VALU_DEP_1)
	v_cndmask_b32_e32 v5, v6, v7, vcc_lo
	v_and_or_b32 v4, 0x80000000, v4, v5
	s_delay_alu instid0(VALU_DEP_1)
	v_cvt_f64_f32_e32 v[4:5], v4
.LBB142_2312:
	s_mov_b32 s29, 0
	s_mov_b32 s30, -1
.LBB142_2313:
	s_and_not1_b32 vcc_lo, exec_lo, s29
	s_mov_b32 s29, 0
	s_cbranch_vccnz .LBB142_2322
; %bb.2314:
	s_cmp_gt_i32 s0, 14
	s_cbranch_scc0 .LBB142_2317
; %bb.2315:
	s_cmp_eq_u32 s0, 15
	s_cbranch_scc0 .LBB142_2318
; %bb.2316:
	global_load_u16 v4, v[10:11], off
	s_mov_b32 s28, 0
	s_mov_b32 s30, -1
	s_wait_loadcnt 0x0
	v_lshlrev_b32_e32 v4, 16, v4
	s_delay_alu instid0(VALU_DEP_1)
	v_cvt_f64_f32_e32 v[4:5], v4
	s_branch .LBB142_2320
.LBB142_2317:
	s_mov_b32 s29, -1
	s_branch .LBB142_2319
.LBB142_2318:
	s_mov_b32 s28, -1
.LBB142_2319:
                                        ; implicit-def: $vgpr4_vgpr5
.LBB142_2320:
	s_and_b32 vcc_lo, exec_lo, s29
	s_mov_b32 s29, 0
	s_cbranch_vccz .LBB142_2322
; %bb.2321:
	s_cmp_lg_u32 s0, 11
	s_mov_b32 s29, -1
	s_cselect_b32 s28, -1, 0
.LBB142_2322:
	v_mov_b64_e32 v[6:7], 0
.LBB142_2323:
	s_and_b32 vcc_lo, exec_lo, s28
	s_cbranch_vccnz .LBB142_2388
; %bb.2324:
	s_and_not1_b32 vcc_lo, exec_lo, s29
	s_cbranch_vccnz .LBB142_2326
.LBB142_2325:
	global_load_u8 v4, v[10:11], off
	v_mov_b64_e32 v[6:7], 0
	s_mov_b32 s30, -1
	s_wait_loadcnt 0x0
	v_cmp_ne_u16_e32 vcc_lo, 0, v4
	v_mov_b32_e32 v4, 0
	v_cndmask_b32_e64 v5, 0, 0x3ff00000, vcc_lo
.LBB142_2326:
	s_branch .LBB142_2249
.LBB142_2327:
	s_and_b32 s0, 0xffff, s3
	s_delay_alu instid0(SALU_CYCLE_1)
	s_cmp_lt_i32 s0, 5
	s_cbranch_scc1 .LBB142_2332
; %bb.2328:
	s_cmp_lt_i32 s0, 8
	s_cbranch_scc1 .LBB142_2334
; %bb.2329:
	;; [unrolled: 3-line block ×3, first 2 shown]
	s_cmp_gt_i32 s0, 9
	s_cbranch_scc0 .LBB142_2336
; %bb.2331:
	global_load_b128 v[4:7], v[10:11], off
	s_mov_b32 s28, 0
	s_branch .LBB142_2337
.LBB142_2332:
                                        ; implicit-def: $vgpr6_vgpr7
	s_branch .LBB142_2356
.LBB142_2333:
	s_branch .LBB142_2376
.LBB142_2334:
	s_mov_b32 s28, -1
                                        ; implicit-def: $vgpr6_vgpr7
	s_branch .LBB142_2343
.LBB142_2335:
	s_mov_b32 s28, -1
                                        ; implicit-def: $vgpr6_vgpr7
	s_branch .LBB142_2340
.LBB142_2336:
	s_mov_b32 s28, -1
                                        ; implicit-def: $vgpr6_vgpr7
.LBB142_2337:
	s_delay_alu instid0(SALU_CYCLE_1)
	s_and_not1_b32 vcc_lo, exec_lo, s28
	s_cbranch_vccnz .LBB142_2339
; %bb.2338:
	s_wait_loadcnt 0x0
	global_load_b64 v[6:7], v[10:11], off
	s_wait_loadcnt 0x0
	s_wait_xcnt 0x1
	v_cvt_f64_f32_e32 v[4:5], v6
	v_cvt_f64_f32_e32 v[6:7], v7
.LBB142_2339:
	s_mov_b32 s28, 0
.LBB142_2340:
	s_delay_alu instid0(SALU_CYCLE_1)
	s_and_not1_b32 vcc_lo, exec_lo, s28
	s_cbranch_vccnz .LBB142_2342
; %bb.2341:
	s_wait_loadcnt 0x0
	global_load_b32 v4, v[10:11], off
	s_wait_loadcnt 0x0
	v_lshrrev_b32_e32 v5, 16, v4
	v_cvt_f32_f16_e32 v4, v4
	s_delay_alu instid0(VALU_DEP_2) | instskip(NEXT) | instid1(VALU_DEP_2)
	v_cvt_f32_f16_e32 v6, v5
	v_cvt_f64_f32_e32 v[4:5], v4
	s_delay_alu instid0(VALU_DEP_2)
	v_cvt_f64_f32_e32 v[6:7], v6
.LBB142_2342:
	s_mov_b32 s28, 0
.LBB142_2343:
	s_delay_alu instid0(SALU_CYCLE_1)
	s_and_not1_b32 vcc_lo, exec_lo, s28
	s_cbranch_vccnz .LBB142_2355
; %bb.2344:
	s_cmp_lt_i32 s0, 6
	s_cbranch_scc1 .LBB142_2347
; %bb.2345:
	s_cmp_gt_i32 s0, 6
	s_cbranch_scc0 .LBB142_2348
; %bb.2346:
	s_wait_loadcnt 0x0
	global_load_b64 v[4:5], v[10:11], off
	s_mov_b32 s28, 0
	s_branch .LBB142_2349
.LBB142_2347:
	s_mov_b32 s28, -1
                                        ; implicit-def: $vgpr4_vgpr5
	s_branch .LBB142_2352
.LBB142_2348:
	s_mov_b32 s28, -1
                                        ; implicit-def: $vgpr4_vgpr5
.LBB142_2349:
	s_delay_alu instid0(SALU_CYCLE_1)
	s_and_not1_b32 vcc_lo, exec_lo, s28
	s_cbranch_vccnz .LBB142_2351
; %bb.2350:
	s_wait_loadcnt 0x0
	global_load_b32 v4, v[10:11], off
	s_wait_loadcnt 0x0
	v_cvt_f64_f32_e32 v[4:5], v4
.LBB142_2351:
	s_mov_b32 s28, 0
.LBB142_2352:
	s_delay_alu instid0(SALU_CYCLE_1)
	s_and_not1_b32 vcc_lo, exec_lo, s28
	s_cbranch_vccnz .LBB142_2354
; %bb.2353:
	s_wait_loadcnt 0x0
	global_load_u16 v4, v[10:11], off
	s_wait_loadcnt 0x0
	v_cvt_f32_f16_e32 v4, v4
	s_delay_alu instid0(VALU_DEP_1)
	v_cvt_f64_f32_e32 v[4:5], v4
.LBB142_2354:
	s_wait_loadcnt 0x0
	v_mov_b64_e32 v[6:7], 0
.LBB142_2355:
	s_cbranch_execnz .LBB142_2333
.LBB142_2356:
	s_cmp_lt_i32 s0, 2
	s_cbranch_scc1 .LBB142_2360
; %bb.2357:
	s_cmp_lt_i32 s0, 3
	s_cbranch_scc1 .LBB142_2361
; %bb.2358:
	s_cmp_gt_i32 s0, 3
	s_cbranch_scc0 .LBB142_2362
; %bb.2359:
	s_wait_loadcnt 0x0
	global_load_b64 v[4:5], v[10:11], off
	s_mov_b32 s28, 0
	s_wait_loadcnt 0x0
	v_cvt_f64_i32_e32 v[6:7], v5
	v_cvt_f64_u32_e32 v[4:5], v4
	s_delay_alu instid0(VALU_DEP_2) | instskip(NEXT) | instid1(VALU_DEP_1)
	v_ldexp_f64 v[6:7], v[6:7], 32
	v_add_f64_e32 v[4:5], v[6:7], v[4:5]
	s_branch .LBB142_2363
.LBB142_2360:
	s_mov_b32 s28, -1
                                        ; implicit-def: $vgpr4_vgpr5
	s_branch .LBB142_2369
.LBB142_2361:
	s_mov_b32 s28, -1
                                        ; implicit-def: $vgpr4_vgpr5
	s_branch .LBB142_2366
.LBB142_2362:
	s_mov_b32 s28, -1
                                        ; implicit-def: $vgpr4_vgpr5
.LBB142_2363:
	s_delay_alu instid0(SALU_CYCLE_1)
	s_and_not1_b32 vcc_lo, exec_lo, s28
	s_cbranch_vccnz .LBB142_2365
; %bb.2364:
	s_wait_loadcnt 0x0
	global_load_b32 v4, v[10:11], off
	s_wait_loadcnt 0x0
	v_cvt_f64_i32_e32 v[4:5], v4
.LBB142_2365:
	s_mov_b32 s28, 0
.LBB142_2366:
	s_delay_alu instid0(SALU_CYCLE_1)
	s_and_not1_b32 vcc_lo, exec_lo, s28
	s_cbranch_vccnz .LBB142_2368
; %bb.2367:
	s_wait_loadcnt 0x0
	global_load_i16 v4, v[10:11], off
	s_wait_loadcnt 0x0
	v_cvt_f64_i32_e32 v[4:5], v4
.LBB142_2368:
	s_mov_b32 s28, 0
.LBB142_2369:
	s_delay_alu instid0(SALU_CYCLE_1)
	s_and_not1_b32 vcc_lo, exec_lo, s28
	s_cbranch_vccnz .LBB142_2375
; %bb.2370:
	s_cmp_gt_i32 s0, 0
	s_mov_b32 s0, 0
	s_cbranch_scc0 .LBB142_2372
; %bb.2371:
	s_wait_loadcnt 0x0
	global_load_i8 v4, v[10:11], off
	s_wait_loadcnt 0x0
	v_cvt_f64_i32_e32 v[4:5], v4
	s_branch .LBB142_2373
.LBB142_2372:
	s_mov_b32 s0, -1
                                        ; implicit-def: $vgpr4_vgpr5
.LBB142_2373:
	s_delay_alu instid0(SALU_CYCLE_1)
	s_and_not1_b32 vcc_lo, exec_lo, s0
	s_cbranch_vccnz .LBB142_2375
; %bb.2374:
	s_wait_loadcnt 0x0
	global_load_u8 v4, v[10:11], off
	s_wait_loadcnt 0x0
	v_cvt_f64_u32_e32 v[4:5], v4
.LBB142_2375:
	s_wait_loadcnt 0x0
	v_mov_b64_e32 v[6:7], 0
.LBB142_2376:
	v_mul_lo_u32 v20, s23, v50
	s_and_b32 s0, 0xffff, s1
	s_delay_alu instid0(SALU_CYCLE_1) | instskip(NEXT) | instid1(VALU_DEP_1)
	s_cmp_lt_i32 s0, 11
	v_ashrrev_i32_e32 v21, 31, v20
	s_wait_xcnt 0x0
	s_delay_alu instid0(VALU_DEP_1)
	v_add_nc_u64_e32 v[10:11], s[10:11], v[20:21]
	s_cbranch_scc1 .LBB142_2383
; %bb.2377:
	s_cmp_gt_i32 s0, 25
	s_mov_b32 s28, 0
	s_cbranch_scc0 .LBB142_2385
; %bb.2378:
	s_cmp_gt_i32 s0, 28
	s_cbranch_scc0 .LBB142_2386
; %bb.2379:
	s_cmp_gt_i32 s0, 43
	;; [unrolled: 3-line block ×3, first 2 shown]
	s_cbranch_scc0 .LBB142_2393
; %bb.2381:
	s_cmp_eq_u32 s0, 46
	s_mov_b32 s30, 0
	s_cbranch_scc0 .LBB142_2396
; %bb.2382:
	global_load_b32 v9, v[10:11], off
	s_mov_b32 s1, 0
	s_mov_b32 s29, -1
	s_wait_loadcnt 0x0
	v_lshlrev_b32_e32 v12, 16, v9
	v_and_b32_e32 v9, 0xffff0000, v9
	s_delay_alu instid0(VALU_DEP_2) | instskip(NEXT) | instid1(VALU_DEP_2)
	v_cvt_f64_f32_e32 v[12:13], v12
	v_cvt_f64_f32_e32 v[14:15], v9
	s_branch .LBB142_2398
.LBB142_2383:
	s_mov_b32 s29, 0
                                        ; implicit-def: $vgpr14_vgpr15
	s_cbranch_execnz .LBB142_2432
.LBB142_2384:
	s_and_not1_b32 vcc_lo, exec_lo, s29
	s_cbranch_vccz .LBB142_2514
	s_branch .LBB142_4181
.LBB142_2385:
	s_mov_b32 s30, -1
	s_mov_b32 s29, 0
	s_mov_b32 s1, 0
                                        ; implicit-def: $vgpr14_vgpr15
	s_branch .LBB142_2427
.LBB142_2386:
	s_mov_b32 s30, -1
	s_mov_b32 s29, 0
	s_mov_b32 s1, 0
                                        ; implicit-def: $vgpr14_vgpr15
	s_branch .LBB142_2410
.LBB142_2387:
	s_mov_b32 s30, -1
	s_mov_b32 s29, 0
	s_mov_b32 s1, 0
                                        ; implicit-def: $vgpr14_vgpr15
	s_branch .LBB142_2404
.LBB142_2388:
	s_or_b32 s24, s24, exec_lo
	s_trap 2
	s_cbranch_execz .LBB142_2325
	s_branch .LBB142_2326
.LBB142_2389:
	s_mov_b32 s29, -1
	s_mov_b32 s31, exec_lo
	v_cmpx_eq_u16_e32 0x80, v6
; %bb.2390:
	s_xor_b32 s29, exec_lo, -1
; %bb.2391:
	s_or_b32 exec_lo, exec_lo, s31
	s_delay_alu instid0(SALU_CYCLE_1)
	s_and_b32 s29, s29, exec_lo
	s_or_saveexec_b32 s30, s30
	v_mov_b64_e32 v[4:5], 0x7ff8000020000000
	s_xor_b32 exec_lo, exec_lo, s30
	s_cbranch_execz .LBB142_2297
.LBB142_2392:
	v_cmp_ne_u16_e32 vcc_lo, 0, v6
	v_mov_b64_e32 v[4:5], 0
	s_and_not1_b32 s29, s29, exec_lo
	s_and_b32 s31, vcc_lo, exec_lo
	s_delay_alu instid0(SALU_CYCLE_1)
	s_or_b32 s29, s29, s31
	s_or_b32 exec_lo, exec_lo, s30
	s_and_saveexec_b32 s30, s29
	s_cbranch_execnz .LBB142_2298
	s_branch .LBB142_2299
.LBB142_2393:
	s_mov_b32 s30, -1
	s_mov_b32 s29, 0
	s_mov_b32 s1, 0
	s_branch .LBB142_2397
.LBB142_2394:
	v_bfe_u32 v1, v0, 21, 1
	s_mov_b32 s35, exec_lo
	s_delay_alu instid0(VALU_DEP_1) | instskip(NEXT) | instid1(VALU_DEP_1)
	v_add3_u32 v1, v0, v1, 0x88fffff
	v_lshrrev_b32_e32 v1, 21, v1
	s_and_not1_saveexec_b32 s36, s36
	s_cbranch_execz .LBB142_2041
.LBB142_2395:
	v_add_f32_e64 v1, 0x42800000, |v0|
	s_and_not1_b32 s35, s35, exec_lo
	s_delay_alu instid0(VALU_DEP_1) | instskip(NEXT) | instid1(VALU_DEP_1)
	v_and_b32_e32 v1, 0xff, v1
	v_cmp_ne_u32_e32 vcc_lo, 0, v1
	s_and_b32 s37, vcc_lo, exec_lo
	s_delay_alu instid0(SALU_CYCLE_1)
	s_or_b32 s35, s35, s37
	s_or_b32 exec_lo, exec_lo, s36
	v_mov_b32_e32 v2, 0
	s_and_saveexec_b32 s36, s35
	s_cbranch_execnz .LBB142_2042
	s_branch .LBB142_2043
.LBB142_2396:
	s_mov_b32 s1, -1
	s_mov_b32 s29, 0
.LBB142_2397:
                                        ; implicit-def: $vgpr14_vgpr15
.LBB142_2398:
	s_and_b32 vcc_lo, exec_lo, s30
	s_cbranch_vccz .LBB142_2403
; %bb.2399:
	s_cmp_eq_u32 s0, 44
	s_cbranch_scc0 .LBB142_2401
; %bb.2400:
	global_load_u8 v9, v[10:11], off
	s_mov_b32 s1, 0
	s_mov_b32 s29, -1
	s_wait_loadcnt 0x0
	v_lshlrev_b32_e32 v12, 23, v9
	v_cmp_ne_u32_e32 vcc_lo, 0xff, v9
	s_delay_alu instid0(VALU_DEP_2) | instskip(NEXT) | instid1(VALU_DEP_1)
	v_cvt_f64_f32_e32 v[12:13], v12
	v_cndmask_b32_e32 v12, 0x20000000, v12, vcc_lo
	s_delay_alu instid0(VALU_DEP_2) | instskip(SKIP_1) | instid1(VALU_DEP_2)
	v_cndmask_b32_e32 v13, 0x7ff80000, v13, vcc_lo
	v_cmp_ne_u32_e32 vcc_lo, 0, v9
	v_cndmask_b32_e32 v13, 0x38000000, v13, vcc_lo
	s_delay_alu instid0(VALU_DEP_4)
	v_cndmask_b32_e32 v12, 0, v12, vcc_lo
	s_branch .LBB142_2402
.LBB142_2401:
	s_mov_b32 s1, -1
                                        ; implicit-def: $vgpr12_vgpr13
.LBB142_2402:
	v_mov_b64_e32 v[14:15], 0
.LBB142_2403:
	s_mov_b32 s30, 0
.LBB142_2404:
	s_delay_alu instid0(SALU_CYCLE_1)
	s_and_b32 vcc_lo, exec_lo, s30
	s_cbranch_vccz .LBB142_2409
; %bb.2405:
	s_cmp_eq_u32 s0, 29
	s_cbranch_scc0 .LBB142_2407
; %bb.2406:
	global_load_b64 v[12:13], v[10:11], off
	s_mov_b32 s1, 0
	s_mov_b32 s29, -1
	s_wait_loadcnt 0x0
	v_cvt_f64_u32_e32 v[14:15], v13
	v_cvt_f64_u32_e32 v[12:13], v12
	s_delay_alu instid0(VALU_DEP_2) | instskip(NEXT) | instid1(VALU_DEP_1)
	v_ldexp_f64 v[14:15], v[14:15], 32
	v_add_f64_e32 v[12:13], v[14:15], v[12:13]
	s_branch .LBB142_2408
.LBB142_2407:
	s_mov_b32 s1, -1
                                        ; implicit-def: $vgpr12_vgpr13
.LBB142_2408:
	v_mov_b64_e32 v[14:15], 0
.LBB142_2409:
	s_mov_b32 s30, 0
.LBB142_2410:
	s_delay_alu instid0(SALU_CYCLE_1)
	s_and_b32 vcc_lo, exec_lo, s30
	s_cbranch_vccz .LBB142_2426
; %bb.2411:
	s_cmp_lt_i32 s0, 27
	s_cbranch_scc1 .LBB142_2414
; %bb.2412:
	s_cmp_gt_i32 s0, 27
	s_cbranch_scc0 .LBB142_2415
; %bb.2413:
	global_load_b32 v9, v[10:11], off
	s_mov_b32 s29, 0
	s_wait_loadcnt 0x0
	v_cvt_f64_u32_e32 v[12:13], v9
	s_branch .LBB142_2416
.LBB142_2414:
	s_mov_b32 s29, -1
                                        ; implicit-def: $vgpr12_vgpr13
	s_branch .LBB142_2419
.LBB142_2415:
	s_mov_b32 s29, -1
                                        ; implicit-def: $vgpr12_vgpr13
.LBB142_2416:
	s_delay_alu instid0(SALU_CYCLE_1)
	s_and_not1_b32 vcc_lo, exec_lo, s29
	s_cbranch_vccnz .LBB142_2418
; %bb.2417:
	global_load_u16 v9, v[10:11], off
	s_wait_loadcnt 0x0
	v_cvt_f64_u32_e32 v[12:13], v9
.LBB142_2418:
	s_mov_b32 s29, 0
.LBB142_2419:
	s_delay_alu instid0(SALU_CYCLE_1)
	s_and_not1_b32 vcc_lo, exec_lo, s29
	s_cbranch_vccnz .LBB142_2425
; %bb.2420:
	global_load_u8 v9, v[10:11], off
	s_mov_b32 s29, 0
	s_mov_b32 s30, exec_lo
	s_wait_loadcnt 0x0
	v_cmpx_lt_i16_e32 0x7f, v9
	s_xor_b32 s30, exec_lo, s30
	s_cbranch_execnz .LBB142_2450
; %bb.2421:
	s_or_saveexec_b32 s30, s30
	v_mov_b64_e32 v[12:13], 0x7ff8000020000000
	s_xor_b32 exec_lo, exec_lo, s30
	s_cbranch_execnz .LBB142_2453
.LBB142_2422:
	s_or_b32 exec_lo, exec_lo, s30
	s_and_saveexec_b32 s30, s29
	s_cbranch_execz .LBB142_2424
.LBB142_2423:
	v_and_b32_e32 v12, 0xffff, v9
	s_delay_alu instid0(VALU_DEP_1) | instskip(SKIP_1) | instid1(VALU_DEP_2)
	v_and_b32_e32 v13, 7, v12
	v_bfe_u32 v17, v12, 3, 4
	v_clz_i32_u32_e32 v14, v13
	s_delay_alu instid0(VALU_DEP_2) | instskip(NEXT) | instid1(VALU_DEP_2)
	v_cmp_eq_u32_e32 vcc_lo, 0, v17
	v_min_u32_e32 v14, 32, v14
	s_delay_alu instid0(VALU_DEP_1) | instskip(NEXT) | instid1(VALU_DEP_1)
	v_subrev_nc_u32_e32 v15, 28, v14
	v_dual_lshlrev_b32 v12, v15, v12 :: v_dual_sub_nc_u32 v14, 29, v14
	s_delay_alu instid0(VALU_DEP_1) | instskip(NEXT) | instid1(VALU_DEP_2)
	v_dual_lshlrev_b32 v9, 24, v9 :: v_dual_bitop2_b32 v12, 7, v12 bitop3:0x40
	v_cndmask_b32_e32 v14, v17, v14, vcc_lo
	s_delay_alu instid0(VALU_DEP_2) | instskip(NEXT) | instid1(VALU_DEP_3)
	v_cndmask_b32_e32 v12, v13, v12, vcc_lo
	v_and_b32_e32 v9, 0x80000000, v9
	s_delay_alu instid0(VALU_DEP_3) | instskip(NEXT) | instid1(VALU_DEP_3)
	v_lshl_add_u32 v13, v14, 23, 0x3b800000
	v_lshlrev_b32_e32 v12, 20, v12
	s_delay_alu instid0(VALU_DEP_1) | instskip(NEXT) | instid1(VALU_DEP_1)
	v_or3_b32 v9, v9, v13, v12
	v_cvt_f64_f32_e32 v[12:13], v9
.LBB142_2424:
	s_or_b32 exec_lo, exec_lo, s30
.LBB142_2425:
	v_mov_b64_e32 v[14:15], 0
	s_mov_b32 s29, -1
.LBB142_2426:
	s_mov_b32 s30, 0
.LBB142_2427:
	s_delay_alu instid0(SALU_CYCLE_1)
	s_and_b32 vcc_lo, exec_lo, s30
	s_cbranch_vccnz .LBB142_2437
; %bb.2428:
	s_and_b32 vcc_lo, exec_lo, s1
	s_cbranch_vccnz .LBB142_2498
.LBB142_2429:
	s_and_not1_b32 vcc_lo, exec_lo, s28
	s_cbranch_vccnz .LBB142_2431
.LBB142_2430:
	global_load_u8 v9, v[10:11], off
	v_mov_b64_e32 v[14:15], 0
	v_mov_b32_e32 v12, 0
	s_mov_b32 s29, -1
	s_wait_loadcnt 0x0
	v_cmp_ne_u16_e32 vcc_lo, 0, v9
	v_cndmask_b32_e64 v13, 0, 0x3ff00000, vcc_lo
.LBB142_2431:
	s_branch .LBB142_2384
.LBB142_2432:
	s_cmp_lt_i32 s0, 5
	s_cbranch_scc1 .LBB142_2445
; %bb.2433:
	s_cmp_lt_i32 s0, 8
	s_cbranch_scc1 .LBB142_2446
; %bb.2434:
	;; [unrolled: 3-line block ×3, first 2 shown]
	s_cmp_gt_i32 s0, 9
	s_cbranch_scc0 .LBB142_2454
; %bb.2436:
	global_load_b128 v[12:15], v[10:11], off
	s_mov_b32 s1, 0
	s_branch .LBB142_2455
.LBB142_2437:
	s_cmp_gt_i32 s0, 22
	s_cbranch_scc0 .LBB142_2447
; %bb.2438:
	s_cmp_lt_i32 s0, 24
	s_cbranch_scc1 .LBB142_2449
; %bb.2439:
	s_cmp_gt_i32 s0, 24
	s_cbranch_scc0 .LBB142_2466
; %bb.2440:
	global_load_u8 v9, v[10:11], off
	s_mov_b32 s29, exec_lo
	s_wait_loadcnt 0x0
	v_cmpx_lt_i16_e32 0x7f, v9
	s_xor_b32 s29, exec_lo, s29
	s_cbranch_execnz .LBB142_2525
; %bb.2441:
	s_or_saveexec_b32 s29, s29
	v_mov_b64_e32 v[12:13], 0x7ff8000020000000
	s_xor_b32 exec_lo, exec_lo, s29
	s_cbranch_execnz .LBB142_2528
.LBB142_2442:
	s_or_b32 exec_lo, exec_lo, s29
	s_and_saveexec_b32 s29, s28
	s_cbranch_execz .LBB142_2444
.LBB142_2443:
	v_and_b32_e32 v12, 0xffff, v9
	s_delay_alu instid0(VALU_DEP_1) | instskip(SKIP_1) | instid1(VALU_DEP_2)
	v_and_b32_e32 v13, 3, v12
	v_bfe_u32 v17, v12, 2, 5
	v_clz_i32_u32_e32 v14, v13
	s_delay_alu instid0(VALU_DEP_2) | instskip(NEXT) | instid1(VALU_DEP_2)
	v_cmp_eq_u32_e32 vcc_lo, 0, v17
	v_min_u32_e32 v14, 32, v14
	s_delay_alu instid0(VALU_DEP_1) | instskip(NEXT) | instid1(VALU_DEP_1)
	v_subrev_nc_u32_e32 v15, 29, v14
	v_dual_lshlrev_b32 v12, v15, v12 :: v_dual_sub_nc_u32 v14, 30, v14
	s_delay_alu instid0(VALU_DEP_1) | instskip(NEXT) | instid1(VALU_DEP_2)
	v_dual_lshlrev_b32 v9, 24, v9 :: v_dual_bitop2_b32 v12, 3, v12 bitop3:0x40
	v_cndmask_b32_e32 v14, v17, v14, vcc_lo
	s_delay_alu instid0(VALU_DEP_2) | instskip(NEXT) | instid1(VALU_DEP_3)
	v_cndmask_b32_e32 v12, v13, v12, vcc_lo
	v_and_b32_e32 v9, 0x80000000, v9
	s_delay_alu instid0(VALU_DEP_3) | instskip(NEXT) | instid1(VALU_DEP_3)
	v_lshl_add_u32 v13, v14, 23, 0x37800000
	v_lshlrev_b32_e32 v12, 21, v12
	s_delay_alu instid0(VALU_DEP_1) | instskip(NEXT) | instid1(VALU_DEP_1)
	v_or3_b32 v9, v9, v13, v12
	v_cvt_f64_f32_e32 v[12:13], v9
.LBB142_2444:
	s_or_b32 exec_lo, exec_lo, s29
	s_mov_b32 s28, 0
	s_branch .LBB142_2467
.LBB142_2445:
	s_mov_b32 s1, -1
                                        ; implicit-def: $vgpr14_vgpr15
	s_branch .LBB142_2486
.LBB142_2446:
	s_mov_b32 s1, -1
                                        ; implicit-def: $vgpr14_vgpr15
	s_branch .LBB142_2461
.LBB142_2447:
	s_mov_b32 s28, -1
                                        ; implicit-def: $vgpr12_vgpr13
	s_branch .LBB142_2473
.LBB142_2448:
	s_mov_b32 s1, -1
                                        ; implicit-def: $vgpr14_vgpr15
	s_branch .LBB142_2458
.LBB142_2449:
	s_mov_b32 s28, -1
                                        ; implicit-def: $vgpr12_vgpr13
	s_branch .LBB142_2470
.LBB142_2450:
	s_mov_b32 s29, -1
	s_mov_b32 s31, exec_lo
	v_cmpx_eq_u16_e32 0x80, v9
; %bb.2451:
	s_xor_b32 s29, exec_lo, -1
; %bb.2452:
	s_or_b32 exec_lo, exec_lo, s31
	s_delay_alu instid0(SALU_CYCLE_1)
	s_and_b32 s29, s29, exec_lo
	s_or_saveexec_b32 s30, s30
	v_mov_b64_e32 v[12:13], 0x7ff8000020000000
	s_xor_b32 exec_lo, exec_lo, s30
	s_cbranch_execz .LBB142_2422
.LBB142_2453:
	v_cmp_ne_u16_e32 vcc_lo, 0, v9
	v_mov_b64_e32 v[12:13], 0
	s_and_not1_b32 s29, s29, exec_lo
	s_and_b32 s31, vcc_lo, exec_lo
	s_delay_alu instid0(SALU_CYCLE_1)
	s_or_b32 s29, s29, s31
	s_or_b32 exec_lo, exec_lo, s30
	s_and_saveexec_b32 s30, s29
	s_cbranch_execnz .LBB142_2423
	s_branch .LBB142_2424
.LBB142_2454:
	s_mov_b32 s1, -1
                                        ; implicit-def: $vgpr14_vgpr15
.LBB142_2455:
	s_delay_alu instid0(SALU_CYCLE_1)
	s_and_not1_b32 vcc_lo, exec_lo, s1
	s_cbranch_vccnz .LBB142_2457
; %bb.2456:
	s_wait_loadcnt 0x0
	global_load_b64 v[14:15], v[10:11], off
	s_wait_loadcnt 0x0
	v_cvt_f64_f32_e32 v[12:13], v14
	v_cvt_f64_f32_e32 v[14:15], v15
.LBB142_2457:
	s_mov_b32 s1, 0
.LBB142_2458:
	s_delay_alu instid0(SALU_CYCLE_1)
	s_and_not1_b32 vcc_lo, exec_lo, s1
	s_cbranch_vccnz .LBB142_2460
; %bb.2459:
	global_load_b32 v9, v[10:11], off
	s_wait_loadcnt 0x0
	v_lshrrev_b32_e32 v12, 16, v9
	v_cvt_f32_f16_e32 v9, v9
	s_delay_alu instid0(VALU_DEP_2) | instskip(NEXT) | instid1(VALU_DEP_2)
	v_cvt_f32_f16_e32 v14, v12
	v_cvt_f64_f32_e32 v[12:13], v9
	s_delay_alu instid0(VALU_DEP_2)
	v_cvt_f64_f32_e32 v[14:15], v14
.LBB142_2460:
	s_mov_b32 s1, 0
.LBB142_2461:
	s_delay_alu instid0(SALU_CYCLE_1)
	s_and_not1_b32 vcc_lo, exec_lo, s1
	s_cbranch_vccnz .LBB142_2485
; %bb.2462:
	s_cmp_lt_i32 s0, 6
	s_cbranch_scc1 .LBB142_2465
; %bb.2463:
	s_cmp_gt_i32 s0, 6
	s_cbranch_scc0 .LBB142_2478
; %bb.2464:
	s_wait_loadcnt 0x0
	global_load_b64 v[12:13], v[10:11], off
	s_mov_b32 s1, 0
	s_branch .LBB142_2479
.LBB142_2465:
	s_mov_b32 s1, -1
                                        ; implicit-def: $vgpr12_vgpr13
	s_branch .LBB142_2482
.LBB142_2466:
	s_mov_b32 s28, -1
                                        ; implicit-def: $vgpr12_vgpr13
.LBB142_2467:
	s_delay_alu instid0(SALU_CYCLE_1)
	s_and_b32 vcc_lo, exec_lo, s28
	s_cbranch_vccz .LBB142_2469
; %bb.2468:
	global_load_u8 v9, v[10:11], off
	s_wait_loadcnt 0x0
	v_lshlrev_b32_e32 v9, 24, v9
	s_delay_alu instid0(VALU_DEP_1) | instskip(NEXT) | instid1(VALU_DEP_1)
	v_and_b32_e32 v12, 0x7f000000, v9
	v_clz_i32_u32_e32 v13, v12
	v_cmp_ne_u32_e32 vcc_lo, 0, v12
	v_add_nc_u32_e32 v15, 0x1000000, v12
	s_delay_alu instid0(VALU_DEP_3) | instskip(NEXT) | instid1(VALU_DEP_1)
	v_min_u32_e32 v13, 32, v13
	v_sub_nc_u32_e64 v13, v13, 4 clamp
	s_delay_alu instid0(VALU_DEP_1) | instskip(NEXT) | instid1(VALU_DEP_1)
	v_dual_lshlrev_b32 v14, v13, v12 :: v_dual_lshlrev_b32 v13, 23, v13
	v_lshrrev_b32_e32 v14, 4, v14
	s_delay_alu instid0(VALU_DEP_1) | instskip(NEXT) | instid1(VALU_DEP_1)
	v_dual_sub_nc_u32 v13, v14, v13 :: v_dual_ashrrev_i32 v14, 8, v15
	v_add_nc_u32_e32 v13, 0x3c000000, v13
	s_delay_alu instid0(VALU_DEP_1) | instskip(NEXT) | instid1(VALU_DEP_1)
	v_and_or_b32 v13, 0x7f800000, v14, v13
	v_cndmask_b32_e32 v12, 0, v13, vcc_lo
	s_delay_alu instid0(VALU_DEP_1) | instskip(NEXT) | instid1(VALU_DEP_1)
	v_and_or_b32 v9, 0x80000000, v9, v12
	v_cvt_f64_f32_e32 v[12:13], v9
.LBB142_2469:
	s_mov_b32 s28, 0
.LBB142_2470:
	s_delay_alu instid0(SALU_CYCLE_1)
	s_and_not1_b32 vcc_lo, exec_lo, s28
	s_cbranch_vccnz .LBB142_2472
; %bb.2471:
	global_load_u8 v9, v[10:11], off
	s_wait_loadcnt 0x0
	v_lshlrev_b32_e32 v12, 25, v9
	v_lshlrev_b16 v9, 8, v9
	s_delay_alu instid0(VALU_DEP_1) | instskip(SKIP_1) | instid1(VALU_DEP_2)
	v_and_or_b32 v14, 0x7f00, v9, 0.5
	v_bfe_i32 v9, v9, 0, 16
	v_dual_add_f32 v14, -0.5, v14 :: v_dual_lshrrev_b32 v13, 4, v12
	v_cmp_gt_u32_e32 vcc_lo, 0x8000000, v12
	s_delay_alu instid0(VALU_DEP_2) | instskip(NEXT) | instid1(VALU_DEP_1)
	v_or_b32_e32 v13, 0x70000000, v13
	v_mul_f32_e32 v13, 0x7800000, v13
	s_delay_alu instid0(VALU_DEP_1) | instskip(NEXT) | instid1(VALU_DEP_1)
	v_cndmask_b32_e32 v12, v13, v14, vcc_lo
	v_and_or_b32 v9, 0x80000000, v9, v12
	s_delay_alu instid0(VALU_DEP_1)
	v_cvt_f64_f32_e32 v[12:13], v9
.LBB142_2472:
	s_mov_b32 s28, 0
	s_mov_b32 s29, -1
.LBB142_2473:
	s_and_not1_b32 vcc_lo, exec_lo, s28
	s_mov_b32 s28, 0
	s_cbranch_vccnz .LBB142_2497
; %bb.2474:
	s_cmp_gt_i32 s0, 14
	s_cbranch_scc0 .LBB142_2477
; %bb.2475:
	s_cmp_eq_u32 s0, 15
	s_cbranch_scc0 .LBB142_2493
; %bb.2476:
	global_load_u16 v9, v[10:11], off
	s_mov_b32 s1, 0
	s_mov_b32 s29, -1
	s_wait_loadcnt 0x0
	v_lshlrev_b32_e32 v9, 16, v9
	s_delay_alu instid0(VALU_DEP_1)
	v_cvt_f64_f32_e32 v[12:13], v9
	s_branch .LBB142_2495
.LBB142_2477:
	s_mov_b32 s28, -1
	s_branch .LBB142_2494
.LBB142_2478:
	s_mov_b32 s1, -1
                                        ; implicit-def: $vgpr12_vgpr13
.LBB142_2479:
	s_delay_alu instid0(SALU_CYCLE_1)
	s_and_not1_b32 vcc_lo, exec_lo, s1
	s_cbranch_vccnz .LBB142_2481
; %bb.2480:
	global_load_b32 v9, v[10:11], off
	s_wait_loadcnt 0x0
	v_cvt_f64_f32_e32 v[12:13], v9
.LBB142_2481:
	s_mov_b32 s1, 0
.LBB142_2482:
	s_delay_alu instid0(SALU_CYCLE_1)
	s_and_not1_b32 vcc_lo, exec_lo, s1
	s_cbranch_vccnz .LBB142_2484
; %bb.2483:
	global_load_u16 v9, v[10:11], off
	s_wait_loadcnt 0x0
	v_cvt_f32_f16_e32 v9, v9
	s_delay_alu instid0(VALU_DEP_1)
	v_cvt_f64_f32_e32 v[12:13], v9
.LBB142_2484:
	s_wait_loadcnt 0x0
	v_mov_b64_e32 v[14:15], 0
.LBB142_2485:
	s_mov_b32 s1, 0
.LBB142_2486:
	s_delay_alu instid0(SALU_CYCLE_1)
	s_and_not1_b32 vcc_lo, exec_lo, s1
	s_cbranch_vccnz .LBB142_2513
; %bb.2487:
	s_cmp_lt_i32 s0, 2
	s_cbranch_scc1 .LBB142_2491
; %bb.2488:
	s_cmp_lt_i32 s0, 3
	s_cbranch_scc1 .LBB142_2492
; %bb.2489:
	s_cmp_gt_i32 s0, 3
	s_cbranch_scc0 .LBB142_2499
; %bb.2490:
	s_wait_loadcnt 0x0
	global_load_b64 v[12:13], v[10:11], off
	s_mov_b32 s1, 0
	s_wait_loadcnt 0x0
	v_cvt_f64_i32_e32 v[14:15], v13
	v_cvt_f64_u32_e32 v[12:13], v12
	s_delay_alu instid0(VALU_DEP_2) | instskip(NEXT) | instid1(VALU_DEP_1)
	v_ldexp_f64 v[14:15], v[14:15], 32
	v_add_f64_e32 v[12:13], v[14:15], v[12:13]
	s_branch .LBB142_2500
.LBB142_2491:
	s_mov_b32 s1, -1
                                        ; implicit-def: $vgpr12_vgpr13
	s_branch .LBB142_2506
.LBB142_2492:
	s_mov_b32 s1, -1
                                        ; implicit-def: $vgpr12_vgpr13
	s_branch .LBB142_2503
.LBB142_2493:
	s_mov_b32 s1, -1
.LBB142_2494:
                                        ; implicit-def: $vgpr12_vgpr13
.LBB142_2495:
	s_and_b32 vcc_lo, exec_lo, s28
	s_mov_b32 s28, 0
	s_cbranch_vccz .LBB142_2497
; %bb.2496:
	s_cmp_lg_u32 s0, 11
	s_mov_b32 s28, -1
	s_cselect_b32 s1, -1, 0
.LBB142_2497:
	v_mov_b64_e32 v[14:15], 0
	s_and_b32 vcc_lo, exec_lo, s1
	s_cbranch_vccz .LBB142_2429
.LBB142_2498:
	s_or_b32 s24, s24, exec_lo
	s_trap 2
	s_cbranch_execz .LBB142_2430
	s_branch .LBB142_2431
.LBB142_2499:
	s_mov_b32 s1, -1
                                        ; implicit-def: $vgpr12_vgpr13
.LBB142_2500:
	s_delay_alu instid0(SALU_CYCLE_1)
	s_and_not1_b32 vcc_lo, exec_lo, s1
	s_cbranch_vccnz .LBB142_2502
; %bb.2501:
	global_load_b32 v9, v[10:11], off
	s_wait_loadcnt 0x0
	v_cvt_f64_i32_e32 v[12:13], v9
.LBB142_2502:
	s_mov_b32 s1, 0
.LBB142_2503:
	s_delay_alu instid0(SALU_CYCLE_1)
	s_and_not1_b32 vcc_lo, exec_lo, s1
	s_cbranch_vccnz .LBB142_2505
; %bb.2504:
	global_load_i16 v9, v[10:11], off
	s_wait_loadcnt 0x0
	v_cvt_f64_i32_e32 v[12:13], v9
.LBB142_2505:
	s_mov_b32 s1, 0
.LBB142_2506:
	s_delay_alu instid0(SALU_CYCLE_1)
	s_and_not1_b32 vcc_lo, exec_lo, s1
	s_cbranch_vccnz .LBB142_2512
; %bb.2507:
	s_cmp_gt_i32 s0, 0
	s_mov_b32 s1, 0
	s_cbranch_scc0 .LBB142_2509
; %bb.2508:
	global_load_i8 v9, v[10:11], off
	s_wait_loadcnt 0x0
	v_cvt_f64_i32_e32 v[12:13], v9
	s_branch .LBB142_2510
.LBB142_2509:
	s_mov_b32 s1, -1
                                        ; implicit-def: $vgpr12_vgpr13
.LBB142_2510:
	s_delay_alu instid0(SALU_CYCLE_1)
	s_and_not1_b32 vcc_lo, exec_lo, s1
	s_cbranch_vccnz .LBB142_2512
; %bb.2511:
	global_load_u8 v9, v[10:11], off
	s_wait_loadcnt 0x0
	v_cvt_f64_u32_e32 v[12:13], v9
.LBB142_2512:
	s_wait_loadcnt 0x0
	v_mov_b64_e32 v[14:15], 0
.LBB142_2513:
.LBB142_2514:
	s_lshl_b32 s1, s21, 7
	s_cmp_lt_i32 s25, 11
	v_add_nc_u32_e32 v22, s1, v8
	s_delay_alu instid0(VALU_DEP_1) | instskip(NEXT) | instid1(VALU_DEP_1)
	v_ashrrev_i32_e32 v23, 31, v22
	v_add_nc_u64_e32 v[18:19], s[6:7], v[22:23]
	s_cbranch_scc1 .LBB142_2521
; %bb.2515:
	s_and_b32 s21, 0xffff, s25
	s_mov_b32 s29, 0
	s_cmp_gt_i32 s21, 25
	s_cbranch_scc0 .LBB142_2522
; %bb.2516:
	s_cmp_gt_i32 s21, 28
	s_cbranch_scc0 .LBB142_2523
; %bb.2517:
	;; [unrolled: 3-line block ×4, first 2 shown]
	s_cmp_eq_u32 s21, 46
	s_mov_b32 s31, 0
	s_cbranch_scc0 .LBB142_2530
; %bb.2520:
	global_load_b32 v8, v[18:19], off
	s_mov_b32 s28, 0
	s_mov_b32 s30, -1
	s_wait_loadcnt 0x0
	v_lshlrev_b32_e32 v9, 16, v8
	s_wait_xcnt 0x1
	v_and_b32_e32 v10, 0xffff0000, v8
	s_delay_alu instid0(VALU_DEP_2) | instskip(NEXT) | instid1(VALU_DEP_2)
	v_cvt_f64_f32_e32 v[8:9], v9
	v_cvt_f64_f32_e32 v[10:11], v10
	s_branch .LBB142_2532
.LBB142_2521:
	s_mov_b32 s21, -1
	s_mov_b32 s30, 0
                                        ; implicit-def: $vgpr10_vgpr11
	s_branch .LBB142_2566
.LBB142_2522:
	s_mov_b32 s31, -1
	s_mov_b32 s30, 0
	s_mov_b32 s28, 0
                                        ; implicit-def: $vgpr10_vgpr11
	s_branch .LBB142_2561
.LBB142_2523:
	s_mov_b32 s31, -1
	s_mov_b32 s30, 0
	s_mov_b32 s28, 0
                                        ; implicit-def: $vgpr10_vgpr11
	s_branch .LBB142_2544
.LBB142_2524:
	s_mov_b32 s31, -1
	s_mov_b32 s30, 0
	s_mov_b32 s28, 0
                                        ; implicit-def: $vgpr10_vgpr11
	s_branch .LBB142_2538
.LBB142_2525:
	s_mov_b32 s28, -1
	s_mov_b32 s30, exec_lo
	v_cmpx_eq_u16_e32 0x80, v9
; %bb.2526:
	s_xor_b32 s28, exec_lo, -1
; %bb.2527:
	s_or_b32 exec_lo, exec_lo, s30
	s_delay_alu instid0(SALU_CYCLE_1)
	s_and_b32 s28, s28, exec_lo
	s_or_saveexec_b32 s29, s29
	v_mov_b64_e32 v[12:13], 0x7ff8000020000000
	s_xor_b32 exec_lo, exec_lo, s29
	s_cbranch_execz .LBB142_2442
.LBB142_2528:
	v_cmp_ne_u16_e32 vcc_lo, 0, v9
	v_mov_b64_e32 v[12:13], 0
	s_and_not1_b32 s28, s28, exec_lo
	s_and_b32 s30, vcc_lo, exec_lo
	s_delay_alu instid0(SALU_CYCLE_1)
	s_or_b32 s28, s28, s30
	s_or_b32 exec_lo, exec_lo, s29
	s_and_saveexec_b32 s29, s28
	s_cbranch_execnz .LBB142_2443
	s_branch .LBB142_2444
.LBB142_2529:
	s_mov_b32 s31, -1
	s_mov_b32 s30, 0
	s_mov_b32 s28, 0
	s_branch .LBB142_2531
.LBB142_2530:
	s_mov_b32 s28, -1
	s_mov_b32 s30, 0
.LBB142_2531:
                                        ; implicit-def: $vgpr10_vgpr11
.LBB142_2532:
	s_and_b32 vcc_lo, exec_lo, s31
	s_cbranch_vccz .LBB142_2537
; %bb.2533:
	s_cmp_eq_u32 s21, 44
	s_cbranch_scc0 .LBB142_2535
; %bb.2534:
	global_load_u8 v10, v[18:19], off
	s_mov_b32 s28, 0
	s_mov_b32 s30, -1
	s_wait_loadcnt 0x0
	v_cmp_ne_u32_e32 vcc_lo, 0xff, v10
	v_lshlrev_b32_e32 v8, 23, v10
	s_delay_alu instid0(VALU_DEP_1) | instskip(NEXT) | instid1(VALU_DEP_1)
	v_cvt_f64_f32_e32 v[8:9], v8
	v_cndmask_b32_e32 v8, 0x20000000, v8, vcc_lo
	s_delay_alu instid0(VALU_DEP_2) | instskip(SKIP_1) | instid1(VALU_DEP_2)
	v_cndmask_b32_e32 v9, 0x7ff80000, v9, vcc_lo
	v_cmp_ne_u32_e32 vcc_lo, 0, v10
	v_cndmask_b32_e32 v9, 0x38000000, v9, vcc_lo
	s_delay_alu instid0(VALU_DEP_4)
	v_cndmask_b32_e32 v8, 0, v8, vcc_lo
	s_branch .LBB142_2536
.LBB142_2535:
	s_mov_b32 s28, -1
                                        ; implicit-def: $vgpr8_vgpr9
.LBB142_2536:
	s_wait_xcnt 0x0
	v_mov_b64_e32 v[10:11], 0
.LBB142_2537:
	s_mov_b32 s31, 0
.LBB142_2538:
	s_delay_alu instid0(SALU_CYCLE_1)
	s_and_b32 vcc_lo, exec_lo, s31
	s_cbranch_vccz .LBB142_2543
; %bb.2539:
	s_cmp_eq_u32 s21, 29
	s_cbranch_scc0 .LBB142_2541
; %bb.2540:
	global_load_b64 v[8:9], v[18:19], off
	s_mov_b32 s28, 0
	s_mov_b32 s30, -1
	s_wait_loadcnt 0x0
	s_wait_xcnt 0x1
	v_cvt_f64_u32_e32 v[10:11], v9
	v_cvt_f64_u32_e32 v[8:9], v8
	s_delay_alu instid0(VALU_DEP_2) | instskip(NEXT) | instid1(VALU_DEP_1)
	v_ldexp_f64 v[10:11], v[10:11], 32
	v_add_f64_e32 v[8:9], v[10:11], v[8:9]
	s_branch .LBB142_2542
.LBB142_2541:
	s_mov_b32 s28, -1
                                        ; implicit-def: $vgpr8_vgpr9
.LBB142_2542:
	s_wait_xcnt 0x0
	v_mov_b64_e32 v[10:11], 0
.LBB142_2543:
	s_mov_b32 s31, 0
.LBB142_2544:
	s_delay_alu instid0(SALU_CYCLE_1)
	s_and_b32 vcc_lo, exec_lo, s31
	s_cbranch_vccz .LBB142_2560
; %bb.2545:
	s_cmp_lt_i32 s21, 27
	s_cbranch_scc1 .LBB142_2548
; %bb.2546:
	s_cmp_gt_i32 s21, 27
	s_cbranch_scc0 .LBB142_2549
; %bb.2547:
	global_load_b32 v8, v[18:19], off
	s_mov_b32 s30, 0
	s_wait_loadcnt 0x0
	v_cvt_f64_u32_e32 v[8:9], v8
	s_branch .LBB142_2550
.LBB142_2548:
	s_mov_b32 s30, -1
                                        ; implicit-def: $vgpr8_vgpr9
	s_branch .LBB142_2553
.LBB142_2549:
	s_mov_b32 s30, -1
                                        ; implicit-def: $vgpr8_vgpr9
.LBB142_2550:
	s_delay_alu instid0(SALU_CYCLE_1)
	s_and_not1_b32 vcc_lo, exec_lo, s30
	s_cbranch_vccnz .LBB142_2552
; %bb.2551:
	global_load_u16 v8, v[18:19], off
	s_wait_loadcnt 0x0
	v_cvt_f64_u32_e32 v[8:9], v8
.LBB142_2552:
	s_mov_b32 s30, 0
.LBB142_2553:
	s_delay_alu instid0(SALU_CYCLE_1)
	s_and_not1_b32 vcc_lo, exec_lo, s30
	s_cbranch_vccnz .LBB142_2559
; %bb.2554:
	global_load_u8 v10, v[18:19], off
	s_mov_b32 s30, 0
	s_mov_b32 s31, exec_lo
	s_wait_loadcnt 0x0
	v_cmpx_lt_i16_e32 0x7f, v10
	s_xor_b32 s31, exec_lo, s31
	s_cbranch_execnz .LBB142_2585
; %bb.2555:
	s_or_saveexec_b32 s31, s31
	v_mov_b64_e32 v[8:9], 0x7ff8000020000000
	s_xor_b32 exec_lo, exec_lo, s31
	s_cbranch_execnz .LBB142_2588
.LBB142_2556:
	s_or_b32 exec_lo, exec_lo, s31
	s_and_saveexec_b32 s31, s30
	s_cbranch_execz .LBB142_2558
.LBB142_2557:
	v_and_b32_e32 v8, 0xffff, v10
	s_delay_alu instid0(VALU_DEP_1) | instskip(SKIP_1) | instid1(VALU_DEP_2)
	v_and_b32_e32 v9, 7, v8
	v_bfe_u32 v21, v8, 3, 4
	v_clz_i32_u32_e32 v11, v9
	s_delay_alu instid0(VALU_DEP_2) | instskip(NEXT) | instid1(VALU_DEP_2)
	v_cmp_eq_u32_e32 vcc_lo, 0, v21
	v_min_u32_e32 v11, 32, v11
	s_delay_alu instid0(VALU_DEP_1) | instskip(NEXT) | instid1(VALU_DEP_1)
	v_subrev_nc_u32_e32 v17, 28, v11
	v_dual_lshlrev_b32 v8, v17, v8 :: v_dual_sub_nc_u32 v11, 29, v11
	s_delay_alu instid0(VALU_DEP_1) | instskip(NEXT) | instid1(VALU_DEP_2)
	v_dual_lshlrev_b32 v10, 24, v10 :: v_dual_bitop2_b32 v8, 7, v8 bitop3:0x40
	v_cndmask_b32_e32 v11, v21, v11, vcc_lo
	s_delay_alu instid0(VALU_DEP_2) | instskip(NEXT) | instid1(VALU_DEP_3)
	v_cndmask_b32_e32 v8, v9, v8, vcc_lo
	v_and_b32_e32 v9, 0x80000000, v10
	s_delay_alu instid0(VALU_DEP_3) | instskip(NEXT) | instid1(VALU_DEP_3)
	v_lshl_add_u32 v10, v11, 23, 0x3b800000
	v_lshlrev_b32_e32 v8, 20, v8
	s_delay_alu instid0(VALU_DEP_1) | instskip(NEXT) | instid1(VALU_DEP_1)
	v_or3_b32 v8, v9, v10, v8
	v_cvt_f64_f32_e32 v[8:9], v8
.LBB142_2558:
	s_or_b32 exec_lo, exec_lo, s31
.LBB142_2559:
	s_wait_xcnt 0x0
	v_mov_b64_e32 v[10:11], 0
	s_mov_b32 s30, -1
.LBB142_2560:
	s_mov_b32 s31, 0
.LBB142_2561:
	s_delay_alu instid0(SALU_CYCLE_1)
	s_and_b32 vcc_lo, exec_lo, s31
	s_cbranch_vccnz .LBB142_2572
; %bb.2562:
	s_and_b32 vcc_lo, exec_lo, s28
	s_cbranch_vccnz .LBB142_2633
.LBB142_2563:
	s_and_not1_b32 vcc_lo, exec_lo, s29
	s_cbranch_vccnz .LBB142_2565
.LBB142_2564:
	global_load_u8 v8, v[18:19], off
	s_wait_xcnt 0x1
	v_mov_b64_e32 v[10:11], 0
	s_mov_b32 s30, -1
	s_wait_loadcnt 0x0
	v_cmp_ne_u16_e32 vcc_lo, 0, v8
	v_mov_b32_e32 v8, 0
	v_cndmask_b32_e64 v9, 0, 0x3ff00000, vcc_lo
.LBB142_2565:
	s_mov_b32 s21, 0
.LBB142_2566:
	s_delay_alu instid0(SALU_CYCLE_1)
	s_and_b32 vcc_lo, exec_lo, s21
	s_cbranch_vccz .LBB142_2649
; %bb.2567:
	s_and_b32 s21, 0xffff, s25
	s_delay_alu instid0(SALU_CYCLE_1)
	s_cmp_lt_i32 s21, 5
	s_cbranch_scc1 .LBB142_2580
; %bb.2568:
	s_cmp_lt_i32 s21, 8
	s_cbranch_scc1 .LBB142_2581
; %bb.2569:
	;; [unrolled: 3-line block ×3, first 2 shown]
	s_cmp_gt_i32 s21, 9
	s_cbranch_scc0 .LBB142_2589
; %bb.2571:
	global_load_b128 v[8:11], v[18:19], off
	s_mov_b32 s28, 0
	s_branch .LBB142_2590
.LBB142_2572:
	s_cmp_gt_i32 s21, 22
	s_cbranch_scc0 .LBB142_2582
; %bb.2573:
	s_cmp_lt_i32 s21, 24
	s_cbranch_scc1 .LBB142_2584
; %bb.2574:
	s_cmp_gt_i32 s21, 24
	s_cbranch_scc0 .LBB142_2601
; %bb.2575:
	global_load_u8 v10, v[18:19], off
	s_mov_b32 s30, exec_lo
	s_wait_loadcnt 0x0
	v_cmpx_lt_i16_e32 0x7f, v10
	s_xor_b32 s30, exec_lo, s30
	s_cbranch_execnz .LBB142_2661
; %bb.2576:
	s_or_saveexec_b32 s30, s30
	v_mov_b64_e32 v[8:9], 0x7ff8000020000000
	s_xor_b32 exec_lo, exec_lo, s30
	s_cbranch_execnz .LBB142_2664
.LBB142_2577:
	s_or_b32 exec_lo, exec_lo, s30
	s_and_saveexec_b32 s30, s29
	s_cbranch_execz .LBB142_2579
.LBB142_2578:
	v_and_b32_e32 v8, 0xffff, v10
	s_delay_alu instid0(VALU_DEP_1) | instskip(SKIP_1) | instid1(VALU_DEP_2)
	v_and_b32_e32 v9, 3, v8
	v_bfe_u32 v21, v8, 2, 5
	v_clz_i32_u32_e32 v11, v9
	s_delay_alu instid0(VALU_DEP_2) | instskip(NEXT) | instid1(VALU_DEP_2)
	v_cmp_eq_u32_e32 vcc_lo, 0, v21
	v_min_u32_e32 v11, 32, v11
	s_delay_alu instid0(VALU_DEP_1) | instskip(NEXT) | instid1(VALU_DEP_1)
	v_subrev_nc_u32_e32 v17, 29, v11
	v_dual_lshlrev_b32 v8, v17, v8 :: v_dual_sub_nc_u32 v11, 30, v11
	s_delay_alu instid0(VALU_DEP_1) | instskip(NEXT) | instid1(VALU_DEP_2)
	v_dual_lshlrev_b32 v10, 24, v10 :: v_dual_bitop2_b32 v8, 3, v8 bitop3:0x40
	v_cndmask_b32_e32 v11, v21, v11, vcc_lo
	s_delay_alu instid0(VALU_DEP_2) | instskip(NEXT) | instid1(VALU_DEP_3)
	v_cndmask_b32_e32 v8, v9, v8, vcc_lo
	v_and_b32_e32 v9, 0x80000000, v10
	s_delay_alu instid0(VALU_DEP_3) | instskip(NEXT) | instid1(VALU_DEP_3)
	v_lshl_add_u32 v10, v11, 23, 0x37800000
	v_lshlrev_b32_e32 v8, 21, v8
	s_delay_alu instid0(VALU_DEP_1) | instskip(NEXT) | instid1(VALU_DEP_1)
	v_or3_b32 v8, v9, v10, v8
	v_cvt_f64_f32_e32 v[8:9], v8
.LBB142_2579:
	s_or_b32 exec_lo, exec_lo, s30
	s_mov_b32 s29, 0
	s_branch .LBB142_2602
.LBB142_2580:
	s_mov_b32 s28, -1
                                        ; implicit-def: $vgpr10_vgpr11
	s_branch .LBB142_2621
.LBB142_2581:
	s_mov_b32 s28, -1
                                        ; implicit-def: $vgpr10_vgpr11
	s_branch .LBB142_2596
.LBB142_2582:
	s_mov_b32 s29, -1
                                        ; implicit-def: $vgpr8_vgpr9
	s_branch .LBB142_2608
.LBB142_2583:
	s_mov_b32 s28, -1
                                        ; implicit-def: $vgpr10_vgpr11
	s_branch .LBB142_2593
.LBB142_2584:
	s_mov_b32 s29, -1
                                        ; implicit-def: $vgpr8_vgpr9
	s_branch .LBB142_2605
.LBB142_2585:
	s_mov_b32 s30, -1
	s_mov_b32 s33, exec_lo
	v_cmpx_eq_u16_e32 0x80, v10
; %bb.2586:
	s_xor_b32 s30, exec_lo, -1
; %bb.2587:
	s_or_b32 exec_lo, exec_lo, s33
	s_delay_alu instid0(SALU_CYCLE_1)
	s_and_b32 s30, s30, exec_lo
	s_or_saveexec_b32 s31, s31
	v_mov_b64_e32 v[8:9], 0x7ff8000020000000
	s_xor_b32 exec_lo, exec_lo, s31
	s_cbranch_execz .LBB142_2556
.LBB142_2588:
	v_cmp_ne_u16_e32 vcc_lo, 0, v10
	v_mov_b64_e32 v[8:9], 0
	s_and_not1_b32 s30, s30, exec_lo
	s_and_b32 s33, vcc_lo, exec_lo
	s_delay_alu instid0(SALU_CYCLE_1)
	s_or_b32 s30, s30, s33
	s_or_b32 exec_lo, exec_lo, s31
	s_and_saveexec_b32 s31, s30
	s_cbranch_execnz .LBB142_2557
	s_branch .LBB142_2558
.LBB142_2589:
	s_mov_b32 s28, -1
                                        ; implicit-def: $vgpr10_vgpr11
.LBB142_2590:
	s_delay_alu instid0(SALU_CYCLE_1)
	s_and_not1_b32 vcc_lo, exec_lo, s28
	s_cbranch_vccnz .LBB142_2592
; %bb.2591:
	s_wait_loadcnt 0x0
	global_load_b64 v[10:11], v[18:19], off
	s_wait_loadcnt 0x0
	v_cvt_f64_f32_e32 v[8:9], v10
	v_cvt_f64_f32_e32 v[10:11], v11
.LBB142_2592:
	s_mov_b32 s28, 0
.LBB142_2593:
	s_delay_alu instid0(SALU_CYCLE_1)
	s_and_not1_b32 vcc_lo, exec_lo, s28
	s_cbranch_vccnz .LBB142_2595
; %bb.2594:
	s_wait_loadcnt 0x0
	global_load_b32 v8, v[18:19], off
	s_wait_loadcnt 0x0
	v_lshrrev_b32_e32 v9, 16, v8
	v_cvt_f32_f16_e32 v8, v8
	s_wait_xcnt 0x1
	s_delay_alu instid0(VALU_DEP_2) | instskip(NEXT) | instid1(VALU_DEP_2)
	v_cvt_f32_f16_e32 v10, v9
	v_cvt_f64_f32_e32 v[8:9], v8
	s_delay_alu instid0(VALU_DEP_2)
	v_cvt_f64_f32_e32 v[10:11], v10
.LBB142_2595:
	s_mov_b32 s28, 0
.LBB142_2596:
	s_delay_alu instid0(SALU_CYCLE_1)
	s_and_not1_b32 vcc_lo, exec_lo, s28
	s_cbranch_vccnz .LBB142_2620
; %bb.2597:
	s_cmp_lt_i32 s21, 6
	s_cbranch_scc1 .LBB142_2600
; %bb.2598:
	s_cmp_gt_i32 s21, 6
	s_cbranch_scc0 .LBB142_2613
; %bb.2599:
	s_wait_loadcnt 0x0
	global_load_b64 v[8:9], v[18:19], off
	s_mov_b32 s28, 0
	s_branch .LBB142_2614
.LBB142_2600:
	s_mov_b32 s28, -1
                                        ; implicit-def: $vgpr8_vgpr9
	s_branch .LBB142_2617
.LBB142_2601:
	s_mov_b32 s29, -1
                                        ; implicit-def: $vgpr8_vgpr9
.LBB142_2602:
	s_delay_alu instid0(SALU_CYCLE_1)
	s_and_b32 vcc_lo, exec_lo, s29
	s_cbranch_vccz .LBB142_2604
; %bb.2603:
	global_load_u8 v8, v[18:19], off
	s_wait_loadcnt 0x0
	v_lshlrev_b32_e32 v8, 24, v8
	s_delay_alu instid0(VALU_DEP_1) | instskip(SKIP_1) | instid1(VALU_DEP_1)
	v_and_b32_e32 v9, 0x7f000000, v8
	s_wait_xcnt 0x1
	v_clz_i32_u32_e32 v10, v9
	v_add_nc_u32_e32 v17, 0x1000000, v9
	v_cmp_ne_u32_e32 vcc_lo, 0, v9
	s_delay_alu instid0(VALU_DEP_3) | instskip(NEXT) | instid1(VALU_DEP_1)
	v_min_u32_e32 v10, 32, v10
	v_sub_nc_u32_e64 v10, v10, 4 clamp
	s_delay_alu instid0(VALU_DEP_1) | instskip(NEXT) | instid1(VALU_DEP_1)
	v_dual_lshlrev_b32 v11, v10, v9 :: v_dual_lshlrev_b32 v10, 23, v10
	v_lshrrev_b32_e32 v11, 4, v11
	s_delay_alu instid0(VALU_DEP_1) | instskip(NEXT) | instid1(VALU_DEP_1)
	v_dual_sub_nc_u32 v10, v11, v10 :: v_dual_ashrrev_i32 v11, 8, v17
	v_add_nc_u32_e32 v10, 0x3c000000, v10
	s_delay_alu instid0(VALU_DEP_1) | instskip(NEXT) | instid1(VALU_DEP_1)
	v_and_or_b32 v10, 0x7f800000, v11, v10
	v_cndmask_b32_e32 v9, 0, v10, vcc_lo
	s_delay_alu instid0(VALU_DEP_1) | instskip(NEXT) | instid1(VALU_DEP_1)
	v_and_or_b32 v8, 0x80000000, v8, v9
	v_cvt_f64_f32_e32 v[8:9], v8
.LBB142_2604:
	s_mov_b32 s29, 0
.LBB142_2605:
	s_delay_alu instid0(SALU_CYCLE_1)
	s_and_not1_b32 vcc_lo, exec_lo, s29
	s_cbranch_vccnz .LBB142_2607
; %bb.2606:
	global_load_u8 v8, v[18:19], off
	s_wait_loadcnt 0x0
	v_lshlrev_b32_e32 v9, 25, v8
	v_lshlrev_b16 v8, 8, v8
	s_wait_xcnt 0x1
	s_delay_alu instid0(VALU_DEP_1) | instskip(SKIP_1) | instid1(VALU_DEP_2)
	v_and_or_b32 v11, 0x7f00, v8, 0.5
	v_bfe_i32 v8, v8, 0, 16
	v_dual_add_f32 v11, -0.5, v11 :: v_dual_lshrrev_b32 v10, 4, v9
	v_cmp_gt_u32_e32 vcc_lo, 0x8000000, v9
	s_delay_alu instid0(VALU_DEP_2) | instskip(NEXT) | instid1(VALU_DEP_1)
	v_or_b32_e32 v10, 0x70000000, v10
	v_mul_f32_e32 v10, 0x7800000, v10
	s_delay_alu instid0(VALU_DEP_1) | instskip(NEXT) | instid1(VALU_DEP_1)
	v_cndmask_b32_e32 v9, v10, v11, vcc_lo
	v_and_or_b32 v8, 0x80000000, v8, v9
	s_delay_alu instid0(VALU_DEP_1)
	v_cvt_f64_f32_e32 v[8:9], v8
.LBB142_2607:
	s_mov_b32 s29, 0
	s_mov_b32 s30, -1
.LBB142_2608:
	s_and_not1_b32 vcc_lo, exec_lo, s29
	s_mov_b32 s29, 0
	s_cbranch_vccnz .LBB142_2632
; %bb.2609:
	s_cmp_gt_i32 s21, 14
	s_cbranch_scc0 .LBB142_2612
; %bb.2610:
	s_cmp_eq_u32 s21, 15
	s_cbranch_scc0 .LBB142_2628
; %bb.2611:
	global_load_u16 v8, v[18:19], off
	s_mov_b32 s28, 0
	s_mov_b32 s30, -1
	s_wait_loadcnt 0x0
	v_lshlrev_b32_e32 v8, 16, v8
	s_delay_alu instid0(VALU_DEP_1)
	v_cvt_f64_f32_e32 v[8:9], v8
	s_branch .LBB142_2630
.LBB142_2612:
	s_mov_b32 s29, -1
	s_branch .LBB142_2629
.LBB142_2613:
	s_mov_b32 s28, -1
                                        ; implicit-def: $vgpr8_vgpr9
.LBB142_2614:
	s_delay_alu instid0(SALU_CYCLE_1)
	s_and_not1_b32 vcc_lo, exec_lo, s28
	s_cbranch_vccnz .LBB142_2616
; %bb.2615:
	s_wait_loadcnt 0x0
	global_load_b32 v8, v[18:19], off
	s_wait_loadcnt 0x0
	v_cvt_f64_f32_e32 v[8:9], v8
.LBB142_2616:
	s_mov_b32 s28, 0
.LBB142_2617:
	s_delay_alu instid0(SALU_CYCLE_1)
	s_and_not1_b32 vcc_lo, exec_lo, s28
	s_cbranch_vccnz .LBB142_2619
; %bb.2618:
	s_wait_loadcnt 0x0
	global_load_u16 v8, v[18:19], off
	s_wait_loadcnt 0x0
	v_cvt_f32_f16_e32 v8, v8
	s_delay_alu instid0(VALU_DEP_1)
	v_cvt_f64_f32_e32 v[8:9], v8
.LBB142_2619:
	s_wait_loadcnt 0x0
	v_mov_b64_e32 v[10:11], 0
.LBB142_2620:
	s_mov_b32 s28, 0
.LBB142_2621:
	s_delay_alu instid0(SALU_CYCLE_1)
	s_and_not1_b32 vcc_lo, exec_lo, s28
	s_cbranch_vccnz .LBB142_2648
; %bb.2622:
	s_cmp_lt_i32 s21, 2
	s_cbranch_scc1 .LBB142_2626
; %bb.2623:
	s_cmp_lt_i32 s21, 3
	s_cbranch_scc1 .LBB142_2627
; %bb.2624:
	s_cmp_gt_i32 s21, 3
	s_cbranch_scc0 .LBB142_2634
; %bb.2625:
	s_wait_loadcnt 0x0
	global_load_b64 v[8:9], v[18:19], off
	s_mov_b32 s28, 0
	s_wait_loadcnt 0x0
	s_wait_xcnt 0x1
	v_cvt_f64_i32_e32 v[10:11], v9
	v_cvt_f64_u32_e32 v[8:9], v8
	s_delay_alu instid0(VALU_DEP_2) | instskip(NEXT) | instid1(VALU_DEP_1)
	v_ldexp_f64 v[10:11], v[10:11], 32
	v_add_f64_e32 v[8:9], v[10:11], v[8:9]
	s_branch .LBB142_2635
.LBB142_2626:
	s_mov_b32 s28, -1
                                        ; implicit-def: $vgpr8_vgpr9
	s_branch .LBB142_2641
.LBB142_2627:
	s_mov_b32 s28, -1
                                        ; implicit-def: $vgpr8_vgpr9
	s_branch .LBB142_2638
.LBB142_2628:
	s_mov_b32 s28, -1
.LBB142_2629:
                                        ; implicit-def: $vgpr8_vgpr9
.LBB142_2630:
	s_and_b32 vcc_lo, exec_lo, s29
	s_mov_b32 s29, 0
	s_cbranch_vccz .LBB142_2632
; %bb.2631:
	s_cmp_lg_u32 s21, 11
	s_mov_b32 s29, -1
	s_cselect_b32 s28, -1, 0
.LBB142_2632:
	s_wait_xcnt 0x0
	v_mov_b64_e32 v[10:11], 0
	s_and_b32 vcc_lo, exec_lo, s28
	s_cbranch_vccz .LBB142_2563
.LBB142_2633:
	s_or_b32 s24, s24, exec_lo
	s_trap 2
	s_cbranch_execz .LBB142_2564
	s_branch .LBB142_2565
.LBB142_2634:
	s_mov_b32 s28, -1
                                        ; implicit-def: $vgpr8_vgpr9
.LBB142_2635:
	s_delay_alu instid0(SALU_CYCLE_1)
	s_and_not1_b32 vcc_lo, exec_lo, s28
	s_cbranch_vccnz .LBB142_2637
; %bb.2636:
	s_wait_loadcnt 0x0
	global_load_b32 v8, v[18:19], off
	s_wait_loadcnt 0x0
	v_cvt_f64_i32_e32 v[8:9], v8
.LBB142_2637:
	s_mov_b32 s28, 0
.LBB142_2638:
	s_delay_alu instid0(SALU_CYCLE_1)
	s_and_not1_b32 vcc_lo, exec_lo, s28
	s_cbranch_vccnz .LBB142_2640
; %bb.2639:
	s_wait_loadcnt 0x0
	global_load_i16 v8, v[18:19], off
	s_wait_loadcnt 0x0
	v_cvt_f64_i32_e32 v[8:9], v8
.LBB142_2640:
	s_mov_b32 s28, 0
.LBB142_2641:
	s_delay_alu instid0(SALU_CYCLE_1)
	s_and_not1_b32 vcc_lo, exec_lo, s28
	s_cbranch_vccnz .LBB142_2647
; %bb.2642:
	s_cmp_gt_i32 s21, 0
	s_mov_b32 s21, 0
	s_cbranch_scc0 .LBB142_2644
; %bb.2643:
	s_wait_loadcnt 0x0
	global_load_i8 v8, v[18:19], off
	s_wait_loadcnt 0x0
	v_cvt_f64_i32_e32 v[8:9], v8
	s_branch .LBB142_2645
.LBB142_2644:
	s_mov_b32 s21, -1
                                        ; implicit-def: $vgpr8_vgpr9
.LBB142_2645:
	s_delay_alu instid0(SALU_CYCLE_1)
	s_and_not1_b32 vcc_lo, exec_lo, s21
	s_cbranch_vccnz .LBB142_2647
; %bb.2646:
	s_wait_loadcnt 0x0
	global_load_u8 v8, v[18:19], off
	s_wait_loadcnt 0x0
	v_cvt_f64_u32_e32 v[8:9], v8
.LBB142_2647:
	s_wait_loadcnt 0x0
	v_mov_b64_e32 v[10:11], 0
.LBB142_2648:
	s_mov_b32 s30, -1
.LBB142_2649:
	s_delay_alu instid0(SALU_CYCLE_1)
	s_and_not1_b32 vcc_lo, exec_lo, s30
	s_cbranch_vccnz .LBB142_4181
; %bb.2650:
	s_lshl_b32 s21, s22, 7
	s_cmp_lt_i32 s3, 11
	v_add_nc_u32_e32 v28, s21, v16
	s_delay_alu instid0(VALU_DEP_1) | instskip(NEXT) | instid1(VALU_DEP_1)
	v_ashrrev_i32_e32 v29, 31, v28
	v_add_nc_u64_e32 v[24:25], s[8:9], v[28:29]
	s_cbranch_scc1 .LBB142_2657
; %bb.2651:
	s_and_b32 s22, 0xffff, s3
	s_mov_b32 s29, 0
	s_cmp_gt_i32 s22, 25
	s_cbranch_scc0 .LBB142_2658
; %bb.2652:
	s_cmp_gt_i32 s22, 28
	s_cbranch_scc0 .LBB142_2659
; %bb.2653:
	;; [unrolled: 3-line block ×4, first 2 shown]
	s_cmp_eq_u32 s22, 46
	s_mov_b32 s31, 0
	s_cbranch_scc0 .LBB142_2670
; %bb.2656:
	global_load_b32 v16, v[24:25], off
	s_mov_b32 s28, 0
	s_mov_b32 s30, -1
	s_wait_loadcnt 0x0
	v_lshlrev_b32_e32 v17, 16, v16
	s_wait_xcnt 0x1
	v_and_b32_e32 v18, 0xffff0000, v16
	s_delay_alu instid0(VALU_DEP_2) | instskip(NEXT) | instid1(VALU_DEP_2)
	v_cvt_f64_f32_e32 v[16:17], v17
	v_cvt_f64_f32_e32 v[18:19], v18
	s_branch .LBB142_2672
.LBB142_2657:
	s_mov_b32 s22, -1
	s_mov_b32 s30, 0
                                        ; implicit-def: $vgpr18_vgpr19
	s_branch .LBB142_2706
.LBB142_2658:
	s_mov_b32 s31, -1
	s_mov_b32 s30, 0
	s_mov_b32 s28, 0
                                        ; implicit-def: $vgpr18_vgpr19
	s_branch .LBB142_2701
.LBB142_2659:
	s_mov_b32 s31, -1
	s_mov_b32 s30, 0
	s_mov_b32 s28, 0
                                        ; implicit-def: $vgpr18_vgpr19
	s_branch .LBB142_2684
.LBB142_2660:
	s_mov_b32 s31, -1
	s_mov_b32 s30, 0
	s_mov_b32 s28, 0
                                        ; implicit-def: $vgpr18_vgpr19
	s_branch .LBB142_2678
.LBB142_2661:
	s_mov_b32 s29, -1
	s_mov_b32 s31, exec_lo
	v_cmpx_eq_u16_e32 0x80, v10
; %bb.2662:
	s_xor_b32 s29, exec_lo, -1
; %bb.2663:
	s_or_b32 exec_lo, exec_lo, s31
	s_delay_alu instid0(SALU_CYCLE_1)
	s_and_b32 s29, s29, exec_lo
	s_or_saveexec_b32 s30, s30
	v_mov_b64_e32 v[8:9], 0x7ff8000020000000
	s_xor_b32 exec_lo, exec_lo, s30
	s_cbranch_execz .LBB142_2577
.LBB142_2664:
	v_cmp_ne_u16_e32 vcc_lo, 0, v10
	v_mov_b64_e32 v[8:9], 0
	s_and_not1_b32 s29, s29, exec_lo
	s_and_b32 s31, vcc_lo, exec_lo
	s_delay_alu instid0(SALU_CYCLE_1)
	s_or_b32 s29, s29, s31
	s_or_b32 exec_lo, exec_lo, s30
	s_and_saveexec_b32 s30, s29
	s_cbranch_execnz .LBB142_2578
	s_branch .LBB142_2579
.LBB142_2665:
	s_mov_b32 s31, -1
	s_mov_b32 s30, 0
	s_mov_b32 s28, 0
	s_branch .LBB142_2671
.LBB142_2666:
	s_mov_b32 s46, -1
	s_mov_b32 s48, exec_lo
	v_cmpx_eq_u16_e32 0x80, v2
; %bb.2667:
	s_xor_b32 s46, exec_lo, -1
; %bb.2668:
	s_or_b32 exec_lo, exec_lo, s48
	s_delay_alu instid0(SALU_CYCLE_1)
	s_and_b32 s46, s46, exec_lo
	s_or_saveexec_b32 s47, s47
	v_mov_b64_e32 v[0:1], 0x7ff8000020000000
	s_xor_b32 exec_lo, exec_lo, s47
	s_cbranch_execz .LBB142_1649
.LBB142_2669:
	v_cmp_ne_u16_e32 vcc_lo, 0, v2
	v_mov_b64_e32 v[0:1], 0
	s_and_not1_b32 s46, s46, exec_lo
	s_and_b32 s48, vcc_lo, exec_lo
	s_delay_alu instid0(SALU_CYCLE_1)
	s_or_b32 s46, s46, s48
	s_or_b32 exec_lo, exec_lo, s47
	s_and_saveexec_b32 s47, s46
	s_cbranch_execnz .LBB142_1650
	s_branch .LBB142_1651
.LBB142_2670:
	s_mov_b32 s28, -1
	s_mov_b32 s30, 0
.LBB142_2671:
                                        ; implicit-def: $vgpr18_vgpr19
.LBB142_2672:
	s_and_b32 vcc_lo, exec_lo, s31
	s_cbranch_vccz .LBB142_2677
; %bb.2673:
	s_cmp_eq_u32 s22, 44
	s_cbranch_scc0 .LBB142_2675
; %bb.2674:
	global_load_u8 v18, v[24:25], off
	s_mov_b32 s28, 0
	s_mov_b32 s30, -1
	s_wait_loadcnt 0x0
	v_cmp_ne_u32_e32 vcc_lo, 0xff, v18
	v_lshlrev_b32_e32 v16, 23, v18
	s_delay_alu instid0(VALU_DEP_1) | instskip(NEXT) | instid1(VALU_DEP_1)
	v_cvt_f64_f32_e32 v[16:17], v16
	v_cndmask_b32_e32 v16, 0x20000000, v16, vcc_lo
	s_delay_alu instid0(VALU_DEP_2) | instskip(SKIP_1) | instid1(VALU_DEP_2)
	v_cndmask_b32_e32 v17, 0x7ff80000, v17, vcc_lo
	v_cmp_ne_u32_e32 vcc_lo, 0, v18
	v_cndmask_b32_e32 v17, 0x38000000, v17, vcc_lo
	s_delay_alu instid0(VALU_DEP_4)
	v_cndmask_b32_e32 v16, 0, v16, vcc_lo
	s_branch .LBB142_2676
.LBB142_2675:
	s_mov_b32 s28, -1
                                        ; implicit-def: $vgpr16_vgpr17
.LBB142_2676:
	s_wait_xcnt 0x0
	v_mov_b64_e32 v[18:19], 0
.LBB142_2677:
	s_mov_b32 s31, 0
.LBB142_2678:
	s_delay_alu instid0(SALU_CYCLE_1)
	s_and_b32 vcc_lo, exec_lo, s31
	s_cbranch_vccz .LBB142_2683
; %bb.2679:
	s_cmp_eq_u32 s22, 29
	s_cbranch_scc0 .LBB142_2681
; %bb.2680:
	global_load_b64 v[16:17], v[24:25], off
	s_mov_b32 s28, 0
	s_mov_b32 s30, -1
	s_wait_loadcnt 0x0
	s_wait_xcnt 0x1
	v_cvt_f64_u32_e32 v[18:19], v17
	v_cvt_f64_u32_e32 v[16:17], v16
	s_delay_alu instid0(VALU_DEP_2) | instskip(NEXT) | instid1(VALU_DEP_1)
	v_ldexp_f64 v[18:19], v[18:19], 32
	v_add_f64_e32 v[16:17], v[18:19], v[16:17]
	s_branch .LBB142_2682
.LBB142_2681:
	s_mov_b32 s28, -1
                                        ; implicit-def: $vgpr16_vgpr17
.LBB142_2682:
	s_wait_xcnt 0x0
	v_mov_b64_e32 v[18:19], 0
.LBB142_2683:
	s_mov_b32 s31, 0
.LBB142_2684:
	s_delay_alu instid0(SALU_CYCLE_1)
	s_and_b32 vcc_lo, exec_lo, s31
	s_cbranch_vccz .LBB142_2700
; %bb.2685:
	s_cmp_lt_i32 s22, 27
	s_cbranch_scc1 .LBB142_2688
; %bb.2686:
	s_cmp_gt_i32 s22, 27
	s_cbranch_scc0 .LBB142_2689
; %bb.2687:
	global_load_b32 v16, v[24:25], off
	s_mov_b32 s30, 0
	s_wait_loadcnt 0x0
	v_cvt_f64_u32_e32 v[16:17], v16
	s_branch .LBB142_2690
.LBB142_2688:
	s_mov_b32 s30, -1
                                        ; implicit-def: $vgpr16_vgpr17
	s_branch .LBB142_2693
.LBB142_2689:
	s_mov_b32 s30, -1
                                        ; implicit-def: $vgpr16_vgpr17
.LBB142_2690:
	s_delay_alu instid0(SALU_CYCLE_1)
	s_and_not1_b32 vcc_lo, exec_lo, s30
	s_cbranch_vccnz .LBB142_2692
; %bb.2691:
	global_load_u16 v16, v[24:25], off
	s_wait_loadcnt 0x0
	v_cvt_f64_u32_e32 v[16:17], v16
.LBB142_2692:
	s_mov_b32 s30, 0
.LBB142_2693:
	s_delay_alu instid0(SALU_CYCLE_1)
	s_and_not1_b32 vcc_lo, exec_lo, s30
	s_cbranch_vccnz .LBB142_2699
; %bb.2694:
	global_load_u8 v18, v[24:25], off
	s_mov_b32 s30, 0
	s_mov_b32 s31, exec_lo
	s_wait_loadcnt 0x0
	v_cmpx_lt_i16_e32 0x7f, v18
	s_xor_b32 s31, exec_lo, s31
	s_cbranch_execnz .LBB142_2725
; %bb.2695:
	s_or_saveexec_b32 s31, s31
	v_mov_b64_e32 v[16:17], 0x7ff8000020000000
	s_xor_b32 exec_lo, exec_lo, s31
	s_cbranch_execnz .LBB142_2728
.LBB142_2696:
	s_or_b32 exec_lo, exec_lo, s31
	s_and_saveexec_b32 s31, s30
	s_cbranch_execz .LBB142_2698
.LBB142_2697:
	v_and_b32_e32 v16, 0xffff, v18
	s_delay_alu instid0(VALU_DEP_1) | instskip(SKIP_1) | instid1(VALU_DEP_2)
	v_and_b32_e32 v17, 7, v16
	v_bfe_u32 v23, v16, 3, 4
	v_clz_i32_u32_e32 v19, v17
	s_delay_alu instid0(VALU_DEP_2) | instskip(NEXT) | instid1(VALU_DEP_2)
	v_cmp_eq_u32_e32 vcc_lo, 0, v23
	v_min_u32_e32 v19, 32, v19
	s_delay_alu instid0(VALU_DEP_1) | instskip(NEXT) | instid1(VALU_DEP_1)
	v_subrev_nc_u32_e32 v21, 28, v19
	v_dual_lshlrev_b32 v16, v21, v16 :: v_dual_sub_nc_u32 v19, 29, v19
	s_delay_alu instid0(VALU_DEP_1) | instskip(NEXT) | instid1(VALU_DEP_1)
	v_dual_lshlrev_b32 v18, 24, v18 :: v_dual_bitop2_b32 v16, 7, v16 bitop3:0x40
	v_dual_cndmask_b32 v19, v23, v19 :: v_dual_cndmask_b32 v16, v17, v16
	s_delay_alu instid0(VALU_DEP_2) | instskip(NEXT) | instid1(VALU_DEP_2)
	v_and_b32_e32 v17, 0x80000000, v18
	v_lshl_add_u32 v18, v19, 23, 0x3b800000
	s_delay_alu instid0(VALU_DEP_3) | instskip(NEXT) | instid1(VALU_DEP_1)
	v_lshlrev_b32_e32 v16, 20, v16
	v_or3_b32 v16, v17, v18, v16
	s_delay_alu instid0(VALU_DEP_1)
	v_cvt_f64_f32_e32 v[16:17], v16
.LBB142_2698:
	s_or_b32 exec_lo, exec_lo, s31
.LBB142_2699:
	s_wait_xcnt 0x0
	v_mov_b64_e32 v[18:19], 0
	s_mov_b32 s30, -1
.LBB142_2700:
	s_mov_b32 s31, 0
.LBB142_2701:
	s_delay_alu instid0(SALU_CYCLE_1)
	s_and_b32 vcc_lo, exec_lo, s31
	s_cbranch_vccnz .LBB142_2712
; %bb.2702:
	s_and_b32 vcc_lo, exec_lo, s28
	s_cbranch_vccnz .LBB142_2773
.LBB142_2703:
	s_and_not1_b32 vcc_lo, exec_lo, s29
	s_cbranch_vccnz .LBB142_2705
.LBB142_2704:
	global_load_u8 v16, v[24:25], off
	s_wait_xcnt 0x1
	v_mov_b64_e32 v[18:19], 0
	s_mov_b32 s30, -1
	s_wait_loadcnt 0x0
	v_cmp_ne_u16_e32 vcc_lo, 0, v16
	v_mov_b32_e32 v16, 0
	v_cndmask_b32_e64 v17, 0, 0x3ff00000, vcc_lo
.LBB142_2705:
	s_mov_b32 s22, 0
.LBB142_2706:
	s_delay_alu instid0(SALU_CYCLE_1)
	s_and_b32 vcc_lo, exec_lo, s22
	s_cbranch_vccz .LBB142_2789
; %bb.2707:
	s_and_b32 s22, 0xffff, s3
	s_delay_alu instid0(SALU_CYCLE_1)
	s_cmp_lt_i32 s22, 5
	s_cbranch_scc1 .LBB142_2720
; %bb.2708:
	s_cmp_lt_i32 s22, 8
	s_cbranch_scc1 .LBB142_2721
; %bb.2709:
	;; [unrolled: 3-line block ×3, first 2 shown]
	s_cmp_gt_i32 s22, 9
	s_cbranch_scc0 .LBB142_2729
; %bb.2711:
	global_load_b128 v[16:19], v[24:25], off
	s_mov_b32 s28, 0
	s_branch .LBB142_2730
.LBB142_2712:
	s_cmp_gt_i32 s22, 22
	s_cbranch_scc0 .LBB142_2722
; %bb.2713:
	s_cmp_lt_i32 s22, 24
	s_cbranch_scc1 .LBB142_2724
; %bb.2714:
	s_cmp_gt_i32 s22, 24
	s_cbranch_scc0 .LBB142_2741
; %bb.2715:
	global_load_u8 v18, v[24:25], off
	s_mov_b32 s30, exec_lo
	s_wait_loadcnt 0x0
	v_cmpx_lt_i16_e32 0x7f, v18
	s_xor_b32 s30, exec_lo, s30
	s_cbranch_execnz .LBB142_2801
; %bb.2716:
	s_or_saveexec_b32 s30, s30
	v_mov_b64_e32 v[16:17], 0x7ff8000020000000
	s_xor_b32 exec_lo, exec_lo, s30
	s_cbranch_execnz .LBB142_2804
.LBB142_2717:
	s_or_b32 exec_lo, exec_lo, s30
	s_and_saveexec_b32 s30, s29
	s_cbranch_execz .LBB142_2719
.LBB142_2718:
	v_and_b32_e32 v16, 0xffff, v18
	s_delay_alu instid0(VALU_DEP_1) | instskip(SKIP_1) | instid1(VALU_DEP_2)
	v_and_b32_e32 v17, 3, v16
	v_bfe_u32 v23, v16, 2, 5
	v_clz_i32_u32_e32 v19, v17
	s_delay_alu instid0(VALU_DEP_2) | instskip(NEXT) | instid1(VALU_DEP_2)
	v_cmp_eq_u32_e32 vcc_lo, 0, v23
	v_min_u32_e32 v19, 32, v19
	s_delay_alu instid0(VALU_DEP_1) | instskip(NEXT) | instid1(VALU_DEP_1)
	v_subrev_nc_u32_e32 v21, 29, v19
	v_dual_lshlrev_b32 v16, v21, v16 :: v_dual_sub_nc_u32 v19, 30, v19
	s_delay_alu instid0(VALU_DEP_1) | instskip(NEXT) | instid1(VALU_DEP_1)
	v_dual_lshlrev_b32 v18, 24, v18 :: v_dual_bitop2_b32 v16, 3, v16 bitop3:0x40
	v_dual_cndmask_b32 v19, v23, v19 :: v_dual_cndmask_b32 v16, v17, v16
	s_delay_alu instid0(VALU_DEP_2) | instskip(NEXT) | instid1(VALU_DEP_2)
	v_and_b32_e32 v17, 0x80000000, v18
	v_lshl_add_u32 v18, v19, 23, 0x37800000
	s_delay_alu instid0(VALU_DEP_3) | instskip(NEXT) | instid1(VALU_DEP_1)
	v_lshlrev_b32_e32 v16, 21, v16
	v_or3_b32 v16, v17, v18, v16
	s_delay_alu instid0(VALU_DEP_1)
	v_cvt_f64_f32_e32 v[16:17], v16
.LBB142_2719:
	s_or_b32 exec_lo, exec_lo, s30
	s_mov_b32 s29, 0
	s_branch .LBB142_2742
.LBB142_2720:
	s_mov_b32 s28, -1
                                        ; implicit-def: $vgpr18_vgpr19
	s_branch .LBB142_2761
.LBB142_2721:
	s_mov_b32 s28, -1
                                        ; implicit-def: $vgpr18_vgpr19
	s_branch .LBB142_2736
.LBB142_2722:
	s_mov_b32 s29, -1
                                        ; implicit-def: $vgpr16_vgpr17
	s_branch .LBB142_2748
.LBB142_2723:
	s_mov_b32 s28, -1
                                        ; implicit-def: $vgpr18_vgpr19
	s_branch .LBB142_2733
.LBB142_2724:
	s_mov_b32 s29, -1
                                        ; implicit-def: $vgpr16_vgpr17
	s_branch .LBB142_2745
.LBB142_2725:
	s_mov_b32 s30, -1
	s_mov_b32 s33, exec_lo
	v_cmpx_eq_u16_e32 0x80, v18
; %bb.2726:
	s_xor_b32 s30, exec_lo, -1
; %bb.2727:
	s_or_b32 exec_lo, exec_lo, s33
	s_delay_alu instid0(SALU_CYCLE_1)
	s_and_b32 s30, s30, exec_lo
	s_or_saveexec_b32 s31, s31
	v_mov_b64_e32 v[16:17], 0x7ff8000020000000
	s_xor_b32 exec_lo, exec_lo, s31
	s_cbranch_execz .LBB142_2696
.LBB142_2728:
	v_cmp_ne_u16_e32 vcc_lo, 0, v18
	v_mov_b64_e32 v[16:17], 0
	s_and_not1_b32 s30, s30, exec_lo
	s_and_b32 s33, vcc_lo, exec_lo
	s_delay_alu instid0(SALU_CYCLE_1)
	s_or_b32 s30, s30, s33
	s_or_b32 exec_lo, exec_lo, s31
	s_and_saveexec_b32 s31, s30
	s_cbranch_execnz .LBB142_2697
	s_branch .LBB142_2698
.LBB142_2729:
	s_mov_b32 s28, -1
                                        ; implicit-def: $vgpr18_vgpr19
.LBB142_2730:
	s_delay_alu instid0(SALU_CYCLE_1)
	s_and_not1_b32 vcc_lo, exec_lo, s28
	s_cbranch_vccnz .LBB142_2732
; %bb.2731:
	s_wait_loadcnt 0x0
	global_load_b64 v[18:19], v[24:25], off
	s_wait_loadcnt 0x0
	v_cvt_f64_f32_e32 v[16:17], v18
	v_cvt_f64_f32_e32 v[18:19], v19
.LBB142_2732:
	s_mov_b32 s28, 0
.LBB142_2733:
	s_delay_alu instid0(SALU_CYCLE_1)
	s_and_not1_b32 vcc_lo, exec_lo, s28
	s_cbranch_vccnz .LBB142_2735
; %bb.2734:
	s_wait_loadcnt 0x0
	global_load_b32 v16, v[24:25], off
	s_wait_loadcnt 0x0
	v_lshrrev_b32_e32 v17, 16, v16
	v_cvt_f32_f16_e32 v16, v16
	s_wait_xcnt 0x1
	s_delay_alu instid0(VALU_DEP_2) | instskip(NEXT) | instid1(VALU_DEP_2)
	v_cvt_f32_f16_e32 v18, v17
	v_cvt_f64_f32_e32 v[16:17], v16
	s_delay_alu instid0(VALU_DEP_2)
	v_cvt_f64_f32_e32 v[18:19], v18
.LBB142_2735:
	s_mov_b32 s28, 0
.LBB142_2736:
	s_delay_alu instid0(SALU_CYCLE_1)
	s_and_not1_b32 vcc_lo, exec_lo, s28
	s_cbranch_vccnz .LBB142_2760
; %bb.2737:
	s_cmp_lt_i32 s22, 6
	s_cbranch_scc1 .LBB142_2740
; %bb.2738:
	s_cmp_gt_i32 s22, 6
	s_cbranch_scc0 .LBB142_2753
; %bb.2739:
	s_wait_loadcnt 0x0
	global_load_b64 v[16:17], v[24:25], off
	s_mov_b32 s28, 0
	s_branch .LBB142_2754
.LBB142_2740:
	s_mov_b32 s28, -1
                                        ; implicit-def: $vgpr16_vgpr17
	s_branch .LBB142_2757
.LBB142_2741:
	s_mov_b32 s29, -1
                                        ; implicit-def: $vgpr16_vgpr17
.LBB142_2742:
	s_delay_alu instid0(SALU_CYCLE_1)
	s_and_b32 vcc_lo, exec_lo, s29
	s_cbranch_vccz .LBB142_2744
; %bb.2743:
	global_load_u8 v16, v[24:25], off
	s_wait_loadcnt 0x0
	v_lshlrev_b32_e32 v16, 24, v16
	s_delay_alu instid0(VALU_DEP_1) | instskip(SKIP_1) | instid1(VALU_DEP_1)
	v_and_b32_e32 v17, 0x7f000000, v16
	s_wait_xcnt 0x1
	v_clz_i32_u32_e32 v18, v17
	v_add_nc_u32_e32 v21, 0x1000000, v17
	v_cmp_ne_u32_e32 vcc_lo, 0, v17
	s_delay_alu instid0(VALU_DEP_3) | instskip(NEXT) | instid1(VALU_DEP_1)
	v_min_u32_e32 v18, 32, v18
	v_sub_nc_u32_e64 v18, v18, 4 clamp
	s_delay_alu instid0(VALU_DEP_1) | instskip(NEXT) | instid1(VALU_DEP_1)
	v_dual_lshlrev_b32 v19, v18, v17 :: v_dual_lshlrev_b32 v18, 23, v18
	v_lshrrev_b32_e32 v19, 4, v19
	s_delay_alu instid0(VALU_DEP_1) | instskip(NEXT) | instid1(VALU_DEP_1)
	v_dual_sub_nc_u32 v18, v19, v18 :: v_dual_ashrrev_i32 v19, 8, v21
	v_add_nc_u32_e32 v18, 0x3c000000, v18
	s_delay_alu instid0(VALU_DEP_1) | instskip(NEXT) | instid1(VALU_DEP_1)
	v_and_or_b32 v18, 0x7f800000, v19, v18
	v_cndmask_b32_e32 v17, 0, v18, vcc_lo
	s_delay_alu instid0(VALU_DEP_1) | instskip(NEXT) | instid1(VALU_DEP_1)
	v_and_or_b32 v16, 0x80000000, v16, v17
	v_cvt_f64_f32_e32 v[16:17], v16
.LBB142_2744:
	s_mov_b32 s29, 0
.LBB142_2745:
	s_delay_alu instid0(SALU_CYCLE_1)
	s_and_not1_b32 vcc_lo, exec_lo, s29
	s_cbranch_vccnz .LBB142_2747
; %bb.2746:
	global_load_u8 v16, v[24:25], off
	s_wait_loadcnt 0x0
	v_lshlrev_b32_e32 v17, 25, v16
	v_lshlrev_b16 v16, 8, v16
	s_wait_xcnt 0x1
	s_delay_alu instid0(VALU_DEP_1) | instskip(SKIP_1) | instid1(VALU_DEP_2)
	v_and_or_b32 v19, 0x7f00, v16, 0.5
	v_bfe_i32 v16, v16, 0, 16
	v_dual_add_f32 v19, -0.5, v19 :: v_dual_lshrrev_b32 v18, 4, v17
	v_cmp_gt_u32_e32 vcc_lo, 0x8000000, v17
	s_delay_alu instid0(VALU_DEP_2) | instskip(NEXT) | instid1(VALU_DEP_1)
	v_or_b32_e32 v18, 0x70000000, v18
	v_mul_f32_e32 v18, 0x7800000, v18
	s_delay_alu instid0(VALU_DEP_1) | instskip(NEXT) | instid1(VALU_DEP_1)
	v_cndmask_b32_e32 v17, v18, v19, vcc_lo
	v_and_or_b32 v16, 0x80000000, v16, v17
	s_delay_alu instid0(VALU_DEP_1)
	v_cvt_f64_f32_e32 v[16:17], v16
.LBB142_2747:
	s_mov_b32 s29, 0
	s_mov_b32 s30, -1
.LBB142_2748:
	s_and_not1_b32 vcc_lo, exec_lo, s29
	s_mov_b32 s29, 0
	s_cbranch_vccnz .LBB142_2772
; %bb.2749:
	s_cmp_gt_i32 s22, 14
	s_cbranch_scc0 .LBB142_2752
; %bb.2750:
	s_cmp_eq_u32 s22, 15
	s_cbranch_scc0 .LBB142_2768
; %bb.2751:
	global_load_u16 v16, v[24:25], off
	s_mov_b32 s28, 0
	s_mov_b32 s30, -1
	s_wait_loadcnt 0x0
	v_lshlrev_b32_e32 v16, 16, v16
	s_delay_alu instid0(VALU_DEP_1)
	v_cvt_f64_f32_e32 v[16:17], v16
	s_branch .LBB142_2770
.LBB142_2752:
	s_mov_b32 s29, -1
	s_branch .LBB142_2769
.LBB142_2753:
	s_mov_b32 s28, -1
                                        ; implicit-def: $vgpr16_vgpr17
.LBB142_2754:
	s_delay_alu instid0(SALU_CYCLE_1)
	s_and_not1_b32 vcc_lo, exec_lo, s28
	s_cbranch_vccnz .LBB142_2756
; %bb.2755:
	s_wait_loadcnt 0x0
	global_load_b32 v16, v[24:25], off
	s_wait_loadcnt 0x0
	v_cvt_f64_f32_e32 v[16:17], v16
.LBB142_2756:
	s_mov_b32 s28, 0
.LBB142_2757:
	s_delay_alu instid0(SALU_CYCLE_1)
	s_and_not1_b32 vcc_lo, exec_lo, s28
	s_cbranch_vccnz .LBB142_2759
; %bb.2758:
	s_wait_loadcnt 0x0
	global_load_u16 v16, v[24:25], off
	s_wait_loadcnt 0x0
	v_cvt_f32_f16_e32 v16, v16
	s_delay_alu instid0(VALU_DEP_1)
	v_cvt_f64_f32_e32 v[16:17], v16
.LBB142_2759:
	s_wait_loadcnt 0x0
	v_mov_b64_e32 v[18:19], 0
.LBB142_2760:
	s_mov_b32 s28, 0
.LBB142_2761:
	s_delay_alu instid0(SALU_CYCLE_1)
	s_and_not1_b32 vcc_lo, exec_lo, s28
	s_cbranch_vccnz .LBB142_2788
; %bb.2762:
	s_cmp_lt_i32 s22, 2
	s_cbranch_scc1 .LBB142_2766
; %bb.2763:
	s_cmp_lt_i32 s22, 3
	s_cbranch_scc1 .LBB142_2767
; %bb.2764:
	s_cmp_gt_i32 s22, 3
	s_cbranch_scc0 .LBB142_2774
; %bb.2765:
	s_wait_loadcnt 0x0
	global_load_b64 v[16:17], v[24:25], off
	s_mov_b32 s28, 0
	s_wait_loadcnt 0x0
	s_wait_xcnt 0x1
	v_cvt_f64_i32_e32 v[18:19], v17
	v_cvt_f64_u32_e32 v[16:17], v16
	s_delay_alu instid0(VALU_DEP_2) | instskip(NEXT) | instid1(VALU_DEP_1)
	v_ldexp_f64 v[18:19], v[18:19], 32
	v_add_f64_e32 v[16:17], v[18:19], v[16:17]
	s_branch .LBB142_2775
.LBB142_2766:
	s_mov_b32 s28, -1
                                        ; implicit-def: $vgpr16_vgpr17
	s_branch .LBB142_2781
.LBB142_2767:
	s_mov_b32 s28, -1
                                        ; implicit-def: $vgpr16_vgpr17
	s_branch .LBB142_2778
.LBB142_2768:
	s_mov_b32 s28, -1
.LBB142_2769:
                                        ; implicit-def: $vgpr16_vgpr17
.LBB142_2770:
	s_and_b32 vcc_lo, exec_lo, s29
	s_mov_b32 s29, 0
	s_cbranch_vccz .LBB142_2772
; %bb.2771:
	s_cmp_lg_u32 s22, 11
	s_mov_b32 s29, -1
	s_cselect_b32 s28, -1, 0
.LBB142_2772:
	s_wait_xcnt 0x0
	v_mov_b64_e32 v[18:19], 0
	s_and_b32 vcc_lo, exec_lo, s28
	s_cbranch_vccz .LBB142_2703
.LBB142_2773:
	s_or_b32 s24, s24, exec_lo
	s_trap 2
	s_cbranch_execz .LBB142_2704
	s_branch .LBB142_2705
.LBB142_2774:
	s_mov_b32 s28, -1
                                        ; implicit-def: $vgpr16_vgpr17
.LBB142_2775:
	s_delay_alu instid0(SALU_CYCLE_1)
	s_and_not1_b32 vcc_lo, exec_lo, s28
	s_cbranch_vccnz .LBB142_2777
; %bb.2776:
	s_wait_loadcnt 0x0
	global_load_b32 v16, v[24:25], off
	s_wait_loadcnt 0x0
	v_cvt_f64_i32_e32 v[16:17], v16
.LBB142_2777:
	s_mov_b32 s28, 0
.LBB142_2778:
	s_delay_alu instid0(SALU_CYCLE_1)
	s_and_not1_b32 vcc_lo, exec_lo, s28
	s_cbranch_vccnz .LBB142_2780
; %bb.2779:
	s_wait_loadcnt 0x0
	global_load_i16 v16, v[24:25], off
	s_wait_loadcnt 0x0
	v_cvt_f64_i32_e32 v[16:17], v16
.LBB142_2780:
	s_mov_b32 s28, 0
.LBB142_2781:
	s_delay_alu instid0(SALU_CYCLE_1)
	s_and_not1_b32 vcc_lo, exec_lo, s28
	s_cbranch_vccnz .LBB142_2787
; %bb.2782:
	s_cmp_gt_i32 s22, 0
	s_mov_b32 s22, 0
	s_cbranch_scc0 .LBB142_2784
; %bb.2783:
	s_wait_loadcnt 0x0
	global_load_i8 v16, v[24:25], off
	s_wait_loadcnt 0x0
	v_cvt_f64_i32_e32 v[16:17], v16
	s_branch .LBB142_2785
.LBB142_2784:
	s_mov_b32 s22, -1
                                        ; implicit-def: $vgpr16_vgpr17
.LBB142_2785:
	s_delay_alu instid0(SALU_CYCLE_1)
	s_and_not1_b32 vcc_lo, exec_lo, s22
	s_cbranch_vccnz .LBB142_2787
; %bb.2786:
	s_wait_loadcnt 0x0
	global_load_u8 v16, v[24:25], off
	s_wait_loadcnt 0x0
	v_cvt_f64_u32_e32 v[16:17], v16
.LBB142_2787:
	s_wait_loadcnt 0x0
	v_mov_b64_e32 v[18:19], 0
.LBB142_2788:
	s_mov_b32 s30, -1
.LBB142_2789:
	s_delay_alu instid0(SALU_CYCLE_1)
	s_and_not1_b32 vcc_lo, exec_lo, s30
	s_cbranch_vccnz .LBB142_4181
; %bb.2790:
	s_lshl_b32 s22, s23, 7
	s_cmp_lt_i32 s0, 11
	v_add_nc_u32_e32 v32, s22, v20
	s_delay_alu instid0(VALU_DEP_1) | instskip(NEXT) | instid1(VALU_DEP_1)
	v_ashrrev_i32_e32 v33, 31, v32
	v_add_nc_u64_e32 v[20:21], s[10:11], v[32:33]
	s_cbranch_scc1 .LBB142_2797
; %bb.2791:
	s_cmp_gt_i32 s0, 25
	s_mov_b32 s28, 0
	s_cbranch_scc0 .LBB142_2798
; %bb.2792:
	s_cmp_gt_i32 s0, 28
	s_cbranch_scc0 .LBB142_2799
; %bb.2793:
	s_cmp_gt_i32 s0, 43
	;; [unrolled: 3-line block ×3, first 2 shown]
	s_cbranch_scc0 .LBB142_2805
; %bb.2795:
	s_cmp_eq_u32 s0, 46
	s_mov_b32 s30, 0
	s_cbranch_scc0 .LBB142_2806
; %bb.2796:
	global_load_b32 v23, v[20:21], off
	s_mov_b32 s23, 0
	s_mov_b32 s29, -1
	s_wait_loadcnt 0x0
	s_wait_xcnt 0x1
	v_lshlrev_b32_e32 v24, 16, v23
	v_and_b32_e32 v23, 0xffff0000, v23
	s_delay_alu instid0(VALU_DEP_2) | instskip(NEXT) | instid1(VALU_DEP_2)
	v_cvt_f64_f32_e32 v[24:25], v24
	v_cvt_f64_f32_e32 v[26:27], v23
	s_branch .LBB142_2808
.LBB142_2797:
	s_mov_b32 s23, -1
	s_mov_b32 s29, 0
                                        ; implicit-def: $vgpr26_vgpr27
	s_branch .LBB142_2842
.LBB142_2798:
	s_mov_b32 s30, -1
	s_mov_b32 s29, 0
	s_mov_b32 s23, 0
                                        ; implicit-def: $vgpr26_vgpr27
	s_branch .LBB142_2837
.LBB142_2799:
	s_mov_b32 s30, -1
	s_mov_b32 s29, 0
	s_mov_b32 s23, 0
                                        ; implicit-def: $vgpr26_vgpr27
	s_branch .LBB142_2820
.LBB142_2800:
	s_mov_b32 s30, -1
	s_mov_b32 s29, 0
	s_mov_b32 s23, 0
                                        ; implicit-def: $vgpr26_vgpr27
	s_branch .LBB142_2814
.LBB142_2801:
	s_mov_b32 s29, -1
	s_mov_b32 s31, exec_lo
	v_cmpx_eq_u16_e32 0x80, v18
; %bb.2802:
	s_xor_b32 s29, exec_lo, -1
; %bb.2803:
	s_or_b32 exec_lo, exec_lo, s31
	s_delay_alu instid0(SALU_CYCLE_1)
	s_and_b32 s29, s29, exec_lo
	s_or_saveexec_b32 s30, s30
	v_mov_b64_e32 v[16:17], 0x7ff8000020000000
	s_xor_b32 exec_lo, exec_lo, s30
	s_cbranch_execz .LBB142_2717
.LBB142_2804:
	v_cmp_ne_u16_e32 vcc_lo, 0, v18
	v_mov_b64_e32 v[16:17], 0
	s_and_not1_b32 s29, s29, exec_lo
	s_and_b32 s31, vcc_lo, exec_lo
	s_delay_alu instid0(SALU_CYCLE_1)
	s_or_b32 s29, s29, s31
	s_or_b32 exec_lo, exec_lo, s30
	s_and_saveexec_b32 s30, s29
	s_cbranch_execnz .LBB142_2718
	s_branch .LBB142_2719
.LBB142_2805:
	s_mov_b32 s30, -1
	s_mov_b32 s29, 0
	s_mov_b32 s23, 0
	s_branch .LBB142_2807
.LBB142_2806:
	s_mov_b32 s23, -1
	s_mov_b32 s29, 0
.LBB142_2807:
                                        ; implicit-def: $vgpr26_vgpr27
.LBB142_2808:
	s_and_b32 vcc_lo, exec_lo, s30
	s_cbranch_vccz .LBB142_2813
; %bb.2809:
	s_cmp_eq_u32 s0, 44
	s_cbranch_scc0 .LBB142_2811
; %bb.2810:
	global_load_u8 v23, v[20:21], off
	s_mov_b32 s23, 0
	s_mov_b32 s29, -1
	s_wait_loadcnt 0x0
	v_cmp_ne_u32_e32 vcc_lo, 0xff, v23
	s_wait_xcnt 0x1
	v_lshlrev_b32_e32 v24, 23, v23
	s_delay_alu instid0(VALU_DEP_1) | instskip(NEXT) | instid1(VALU_DEP_1)
	v_cvt_f64_f32_e32 v[24:25], v24
	v_cndmask_b32_e32 v24, 0x20000000, v24, vcc_lo
	s_delay_alu instid0(VALU_DEP_2) | instskip(SKIP_1) | instid1(VALU_DEP_2)
	v_cndmask_b32_e32 v25, 0x7ff80000, v25, vcc_lo
	v_cmp_ne_u32_e32 vcc_lo, 0, v23
	v_cndmask_b32_e32 v25, 0x38000000, v25, vcc_lo
	s_delay_alu instid0(VALU_DEP_4)
	v_cndmask_b32_e32 v24, 0, v24, vcc_lo
	s_branch .LBB142_2812
.LBB142_2811:
	s_mov_b32 s23, -1
                                        ; implicit-def: $vgpr24_vgpr25
.LBB142_2812:
	v_mov_b64_e32 v[26:27], 0
.LBB142_2813:
	s_mov_b32 s30, 0
.LBB142_2814:
	s_delay_alu instid0(SALU_CYCLE_1)
	s_and_b32 vcc_lo, exec_lo, s30
	s_cbranch_vccz .LBB142_2819
; %bb.2815:
	s_cmp_eq_u32 s0, 29
	s_cbranch_scc0 .LBB142_2817
; %bb.2816:
	global_load_b64 v[24:25], v[20:21], off
	s_mov_b32 s23, 0
	s_mov_b32 s29, -1
	s_wait_loadcnt 0x0
	v_cvt_f64_u32_e32 v[26:27], v25
	v_cvt_f64_u32_e32 v[24:25], v24
	s_delay_alu instid0(VALU_DEP_2) | instskip(NEXT) | instid1(VALU_DEP_1)
	v_ldexp_f64 v[26:27], v[26:27], 32
	v_add_f64_e32 v[24:25], v[26:27], v[24:25]
	s_branch .LBB142_2818
.LBB142_2817:
	s_mov_b32 s23, -1
                                        ; implicit-def: $vgpr24_vgpr25
.LBB142_2818:
	v_mov_b64_e32 v[26:27], 0
.LBB142_2819:
	s_mov_b32 s30, 0
.LBB142_2820:
	s_delay_alu instid0(SALU_CYCLE_1)
	s_and_b32 vcc_lo, exec_lo, s30
	s_cbranch_vccz .LBB142_2836
; %bb.2821:
	s_cmp_lt_i32 s0, 27
	s_cbranch_scc1 .LBB142_2824
; %bb.2822:
	s_cmp_gt_i32 s0, 27
	s_cbranch_scc0 .LBB142_2825
; %bb.2823:
	global_load_b32 v23, v[20:21], off
	s_mov_b32 s29, 0
	s_wait_loadcnt 0x0
	s_wait_xcnt 0x1
	v_cvt_f64_u32_e32 v[24:25], v23
	s_branch .LBB142_2826
.LBB142_2824:
	s_mov_b32 s29, -1
                                        ; implicit-def: $vgpr24_vgpr25
	s_branch .LBB142_2829
.LBB142_2825:
	s_mov_b32 s29, -1
                                        ; implicit-def: $vgpr24_vgpr25
.LBB142_2826:
	s_delay_alu instid0(SALU_CYCLE_1)
	s_and_not1_b32 vcc_lo, exec_lo, s29
	s_cbranch_vccnz .LBB142_2828
; %bb.2827:
	global_load_u16 v23, v[20:21], off
	s_wait_loadcnt 0x0
	s_wait_xcnt 0x1
	v_cvt_f64_u32_e32 v[24:25], v23
.LBB142_2828:
	s_mov_b32 s29, 0
.LBB142_2829:
	s_delay_alu instid0(SALU_CYCLE_1)
	s_and_not1_b32 vcc_lo, exec_lo, s29
	s_cbranch_vccnz .LBB142_2835
; %bb.2830:
	global_load_u8 v23, v[20:21], off
	s_mov_b32 s29, 0
	s_mov_b32 s30, exec_lo
	s_wait_loadcnt 0x0
	v_cmpx_lt_i16_e32 0x7f, v23
	s_xor_b32 s30, exec_lo, s30
	s_cbranch_execnz .LBB142_2861
; %bb.2831:
	s_or_saveexec_b32 s30, s30
	v_mov_b64_e32 v[24:25], 0x7ff8000020000000
	s_xor_b32 exec_lo, exec_lo, s30
	s_cbranch_execnz .LBB142_2864
.LBB142_2832:
	s_or_b32 exec_lo, exec_lo, s30
	s_and_saveexec_b32 s30, s29
	s_cbranch_execz .LBB142_2834
.LBB142_2833:
	v_and_b32_e32 v24, 0xffff, v23
	s_delay_alu instid0(VALU_DEP_1) | instskip(SKIP_1) | instid1(VALU_DEP_2)
	v_and_b32_e32 v25, 7, v24
	v_bfe_u32 v29, v24, 3, 4
	v_clz_i32_u32_e32 v26, v25
	s_delay_alu instid0(VALU_DEP_2) | instskip(NEXT) | instid1(VALU_DEP_2)
	v_cmp_eq_u32_e32 vcc_lo, 0, v29
	v_min_u32_e32 v26, 32, v26
	s_delay_alu instid0(VALU_DEP_1) | instskip(NEXT) | instid1(VALU_DEP_1)
	v_subrev_nc_u32_e32 v27, 28, v26
	v_dual_lshlrev_b32 v24, v27, v24 :: v_dual_sub_nc_u32 v26, 29, v26
	s_delay_alu instid0(VALU_DEP_1) | instskip(NEXT) | instid1(VALU_DEP_2)
	v_dual_lshlrev_b32 v23, 24, v23 :: v_dual_bitop2_b32 v24, 7, v24 bitop3:0x40
	v_cndmask_b32_e32 v26, v29, v26, vcc_lo
	s_delay_alu instid0(VALU_DEP_2) | instskip(NEXT) | instid1(VALU_DEP_3)
	v_cndmask_b32_e32 v24, v25, v24, vcc_lo
	v_and_b32_e32 v23, 0x80000000, v23
	s_delay_alu instid0(VALU_DEP_3) | instskip(NEXT) | instid1(VALU_DEP_3)
	v_lshl_add_u32 v25, v26, 23, 0x3b800000
	v_lshlrev_b32_e32 v24, 20, v24
	s_delay_alu instid0(VALU_DEP_1) | instskip(NEXT) | instid1(VALU_DEP_1)
	v_or3_b32 v23, v23, v25, v24
	v_cvt_f64_f32_e32 v[24:25], v23
.LBB142_2834:
	s_or_b32 exec_lo, exec_lo, s30
.LBB142_2835:
	v_mov_b64_e32 v[26:27], 0
	s_mov_b32 s29, -1
.LBB142_2836:
	s_mov_b32 s30, 0
.LBB142_2837:
	s_delay_alu instid0(SALU_CYCLE_1)
	s_and_b32 vcc_lo, exec_lo, s30
	s_cbranch_vccnz .LBB142_2848
; %bb.2838:
	s_and_b32 vcc_lo, exec_lo, s23
	s_cbranch_vccnz .LBB142_2909
.LBB142_2839:
	s_and_not1_b32 vcc_lo, exec_lo, s28
	s_cbranch_vccnz .LBB142_2841
.LBB142_2840:
	global_load_u8 v23, v[20:21], off
	v_mov_b64_e32 v[26:27], 0
	s_wait_xcnt 0x1
	v_mov_b32_e32 v24, 0
	s_mov_b32 s29, -1
	s_wait_loadcnt 0x0
	v_cmp_ne_u16_e32 vcc_lo, 0, v23
	v_cndmask_b32_e64 v25, 0, 0x3ff00000, vcc_lo
.LBB142_2841:
	s_mov_b32 s23, 0
.LBB142_2842:
	s_delay_alu instid0(SALU_CYCLE_1)
	s_and_b32 vcc_lo, exec_lo, s23
	s_cbranch_vccz .LBB142_2925
; %bb.2843:
	s_cmp_lt_i32 s0, 5
	s_cbranch_scc1 .LBB142_2856
; %bb.2844:
	s_cmp_lt_i32 s0, 8
	s_cbranch_scc1 .LBB142_2857
	;; [unrolled: 3-line block ×3, first 2 shown]
; %bb.2846:
	s_cmp_gt_i32 s0, 9
	s_cbranch_scc0 .LBB142_2865
; %bb.2847:
	global_load_b128 v[24:27], v[20:21], off
	s_mov_b32 s23, 0
	s_branch .LBB142_2866
.LBB142_2848:
	s_cmp_gt_i32 s0, 22
	s_cbranch_scc0 .LBB142_2858
; %bb.2849:
	s_cmp_lt_i32 s0, 24
	s_cbranch_scc1 .LBB142_2860
; %bb.2850:
	s_cmp_gt_i32 s0, 24
	s_cbranch_scc0 .LBB142_2877
; %bb.2851:
	global_load_u8 v23, v[20:21], off
	s_mov_b32 s29, exec_lo
	s_wait_loadcnt 0x0
	v_cmpx_lt_i16_e32 0x7f, v23
	s_xor_b32 s29, exec_lo, s29
	s_cbranch_execnz .LBB142_2937
; %bb.2852:
	s_or_saveexec_b32 s29, s29
	v_mov_b64_e32 v[24:25], 0x7ff8000020000000
	s_xor_b32 exec_lo, exec_lo, s29
	s_cbranch_execnz .LBB142_2940
.LBB142_2853:
	s_or_b32 exec_lo, exec_lo, s29
	s_and_saveexec_b32 s29, s28
	s_cbranch_execz .LBB142_2855
.LBB142_2854:
	v_and_b32_e32 v24, 0xffff, v23
	s_delay_alu instid0(VALU_DEP_1) | instskip(SKIP_1) | instid1(VALU_DEP_2)
	v_and_b32_e32 v25, 3, v24
	v_bfe_u32 v29, v24, 2, 5
	v_clz_i32_u32_e32 v26, v25
	s_delay_alu instid0(VALU_DEP_2) | instskip(NEXT) | instid1(VALU_DEP_2)
	v_cmp_eq_u32_e32 vcc_lo, 0, v29
	v_min_u32_e32 v26, 32, v26
	s_delay_alu instid0(VALU_DEP_1) | instskip(NEXT) | instid1(VALU_DEP_1)
	v_subrev_nc_u32_e32 v27, 29, v26
	v_dual_lshlrev_b32 v24, v27, v24 :: v_dual_sub_nc_u32 v26, 30, v26
	s_delay_alu instid0(VALU_DEP_1) | instskip(NEXT) | instid1(VALU_DEP_2)
	v_dual_lshlrev_b32 v23, 24, v23 :: v_dual_bitop2_b32 v24, 3, v24 bitop3:0x40
	v_cndmask_b32_e32 v26, v29, v26, vcc_lo
	s_delay_alu instid0(VALU_DEP_2) | instskip(NEXT) | instid1(VALU_DEP_3)
	v_cndmask_b32_e32 v24, v25, v24, vcc_lo
	v_and_b32_e32 v23, 0x80000000, v23
	s_delay_alu instid0(VALU_DEP_3) | instskip(NEXT) | instid1(VALU_DEP_3)
	v_lshl_add_u32 v25, v26, 23, 0x37800000
	v_lshlrev_b32_e32 v24, 21, v24
	s_delay_alu instid0(VALU_DEP_1) | instskip(NEXT) | instid1(VALU_DEP_1)
	v_or3_b32 v23, v23, v25, v24
	v_cvt_f64_f32_e32 v[24:25], v23
.LBB142_2855:
	s_or_b32 exec_lo, exec_lo, s29
	s_mov_b32 s28, 0
	s_branch .LBB142_2878
.LBB142_2856:
	s_mov_b32 s23, -1
                                        ; implicit-def: $vgpr26_vgpr27
	s_branch .LBB142_2897
.LBB142_2857:
	s_mov_b32 s23, -1
                                        ; implicit-def: $vgpr26_vgpr27
	s_branch .LBB142_2872
.LBB142_2858:
	s_mov_b32 s28, -1
                                        ; implicit-def: $vgpr24_vgpr25
	s_branch .LBB142_2884
.LBB142_2859:
	s_mov_b32 s23, -1
                                        ; implicit-def: $vgpr26_vgpr27
	s_branch .LBB142_2869
.LBB142_2860:
	s_mov_b32 s28, -1
                                        ; implicit-def: $vgpr24_vgpr25
	s_branch .LBB142_2881
.LBB142_2861:
	s_mov_b32 s29, -1
	s_mov_b32 s31, exec_lo
	v_cmpx_eq_u16_e32 0x80, v23
; %bb.2862:
	s_xor_b32 s29, exec_lo, -1
; %bb.2863:
	s_or_b32 exec_lo, exec_lo, s31
	s_delay_alu instid0(SALU_CYCLE_1)
	s_and_b32 s29, s29, exec_lo
	s_or_saveexec_b32 s30, s30
	v_mov_b64_e32 v[24:25], 0x7ff8000020000000
	s_xor_b32 exec_lo, exec_lo, s30
	s_cbranch_execz .LBB142_2832
.LBB142_2864:
	v_cmp_ne_u16_e32 vcc_lo, 0, v23
	v_mov_b64_e32 v[24:25], 0
	s_and_not1_b32 s29, s29, exec_lo
	s_and_b32 s31, vcc_lo, exec_lo
	s_delay_alu instid0(SALU_CYCLE_1)
	s_or_b32 s29, s29, s31
	s_or_b32 exec_lo, exec_lo, s30
	s_and_saveexec_b32 s30, s29
	s_cbranch_execnz .LBB142_2833
	s_branch .LBB142_2834
.LBB142_2865:
	s_mov_b32 s23, -1
                                        ; implicit-def: $vgpr26_vgpr27
.LBB142_2866:
	s_delay_alu instid0(SALU_CYCLE_1)
	s_and_not1_b32 vcc_lo, exec_lo, s23
	s_cbranch_vccnz .LBB142_2868
; %bb.2867:
	s_wait_loadcnt 0x0
	global_load_b64 v[26:27], v[20:21], off
	s_wait_loadcnt 0x0
	s_wait_xcnt 0x1
	v_cvt_f64_f32_e32 v[24:25], v26
	v_cvt_f64_f32_e32 v[26:27], v27
.LBB142_2868:
	s_mov_b32 s23, 0
.LBB142_2869:
	s_delay_alu instid0(SALU_CYCLE_1)
	s_and_not1_b32 vcc_lo, exec_lo, s23
	s_cbranch_vccnz .LBB142_2871
; %bb.2870:
	global_load_b32 v23, v[20:21], off
	s_wait_loadcnt 0x0
	s_wait_xcnt 0x1
	v_lshrrev_b32_e32 v24, 16, v23
	v_cvt_f32_f16_e32 v23, v23
	s_delay_alu instid0(VALU_DEP_2) | instskip(NEXT) | instid1(VALU_DEP_2)
	v_cvt_f32_f16_e32 v26, v24
	v_cvt_f64_f32_e32 v[24:25], v23
	s_delay_alu instid0(VALU_DEP_2)
	v_cvt_f64_f32_e32 v[26:27], v26
.LBB142_2871:
	s_mov_b32 s23, 0
.LBB142_2872:
	s_delay_alu instid0(SALU_CYCLE_1)
	s_and_not1_b32 vcc_lo, exec_lo, s23
	s_cbranch_vccnz .LBB142_2896
; %bb.2873:
	s_cmp_lt_i32 s0, 6
	s_cbranch_scc1 .LBB142_2876
; %bb.2874:
	s_cmp_gt_i32 s0, 6
	s_cbranch_scc0 .LBB142_2889
; %bb.2875:
	s_wait_loadcnt 0x0
	global_load_b64 v[24:25], v[20:21], off
	s_mov_b32 s23, 0
	s_branch .LBB142_2890
.LBB142_2876:
	s_mov_b32 s23, -1
                                        ; implicit-def: $vgpr24_vgpr25
	s_branch .LBB142_2893
.LBB142_2877:
	s_mov_b32 s28, -1
                                        ; implicit-def: $vgpr24_vgpr25
.LBB142_2878:
	s_delay_alu instid0(SALU_CYCLE_1)
	s_and_b32 vcc_lo, exec_lo, s28
	s_cbranch_vccz .LBB142_2880
; %bb.2879:
	global_load_u8 v23, v[20:21], off
	s_wait_loadcnt 0x0
	v_lshlrev_b32_e32 v23, 24, v23
	s_wait_xcnt 0x1
	s_delay_alu instid0(VALU_DEP_1) | instskip(NEXT) | instid1(VALU_DEP_1)
	v_and_b32_e32 v24, 0x7f000000, v23
	v_clz_i32_u32_e32 v25, v24
	v_cmp_ne_u32_e32 vcc_lo, 0, v24
	v_add_nc_u32_e32 v27, 0x1000000, v24
	s_delay_alu instid0(VALU_DEP_3) | instskip(NEXT) | instid1(VALU_DEP_1)
	v_min_u32_e32 v25, 32, v25
	v_sub_nc_u32_e64 v25, v25, 4 clamp
	s_delay_alu instid0(VALU_DEP_1) | instskip(NEXT) | instid1(VALU_DEP_1)
	v_dual_lshlrev_b32 v26, v25, v24 :: v_dual_lshlrev_b32 v25, 23, v25
	v_lshrrev_b32_e32 v26, 4, v26
	s_delay_alu instid0(VALU_DEP_1) | instskip(NEXT) | instid1(VALU_DEP_1)
	v_dual_sub_nc_u32 v25, v26, v25 :: v_dual_ashrrev_i32 v26, 8, v27
	v_add_nc_u32_e32 v25, 0x3c000000, v25
	s_delay_alu instid0(VALU_DEP_1) | instskip(NEXT) | instid1(VALU_DEP_1)
	v_and_or_b32 v25, 0x7f800000, v26, v25
	v_cndmask_b32_e32 v24, 0, v25, vcc_lo
	s_delay_alu instid0(VALU_DEP_1) | instskip(NEXT) | instid1(VALU_DEP_1)
	v_and_or_b32 v23, 0x80000000, v23, v24
	v_cvt_f64_f32_e32 v[24:25], v23
.LBB142_2880:
	s_mov_b32 s28, 0
.LBB142_2881:
	s_delay_alu instid0(SALU_CYCLE_1)
	s_and_not1_b32 vcc_lo, exec_lo, s28
	s_cbranch_vccnz .LBB142_2883
; %bb.2882:
	global_load_u8 v23, v[20:21], off
	s_wait_loadcnt 0x0
	s_wait_xcnt 0x1
	v_lshlrev_b32_e32 v24, 25, v23
	v_lshlrev_b16 v23, 8, v23
	s_delay_alu instid0(VALU_DEP_1) | instskip(SKIP_1) | instid1(VALU_DEP_2)
	v_and_or_b32 v26, 0x7f00, v23, 0.5
	v_bfe_i32 v23, v23, 0, 16
	v_dual_add_f32 v26, -0.5, v26 :: v_dual_lshrrev_b32 v25, 4, v24
	v_cmp_gt_u32_e32 vcc_lo, 0x8000000, v24
	s_delay_alu instid0(VALU_DEP_2) | instskip(NEXT) | instid1(VALU_DEP_1)
	v_or_b32_e32 v25, 0x70000000, v25
	v_mul_f32_e32 v25, 0x7800000, v25
	s_delay_alu instid0(VALU_DEP_1) | instskip(NEXT) | instid1(VALU_DEP_1)
	v_cndmask_b32_e32 v24, v25, v26, vcc_lo
	v_and_or_b32 v23, 0x80000000, v23, v24
	s_delay_alu instid0(VALU_DEP_1)
	v_cvt_f64_f32_e32 v[24:25], v23
.LBB142_2883:
	s_mov_b32 s28, 0
	s_mov_b32 s29, -1
.LBB142_2884:
	s_and_not1_b32 vcc_lo, exec_lo, s28
	s_mov_b32 s28, 0
	s_cbranch_vccnz .LBB142_2908
; %bb.2885:
	s_cmp_gt_i32 s0, 14
	s_cbranch_scc0 .LBB142_2888
; %bb.2886:
	s_cmp_eq_u32 s0, 15
	s_cbranch_scc0 .LBB142_2904
; %bb.2887:
	global_load_u16 v23, v[20:21], off
	s_mov_b32 s23, 0
	s_mov_b32 s29, -1
	s_wait_loadcnt 0x0
	v_lshlrev_b32_e32 v23, 16, v23
	s_wait_xcnt 0x1
	s_delay_alu instid0(VALU_DEP_1)
	v_cvt_f64_f32_e32 v[24:25], v23
	s_branch .LBB142_2906
.LBB142_2888:
	s_mov_b32 s28, -1
	s_branch .LBB142_2905
.LBB142_2889:
	s_mov_b32 s23, -1
                                        ; implicit-def: $vgpr24_vgpr25
.LBB142_2890:
	s_delay_alu instid0(SALU_CYCLE_1)
	s_and_not1_b32 vcc_lo, exec_lo, s23
	s_cbranch_vccnz .LBB142_2892
; %bb.2891:
	global_load_b32 v23, v[20:21], off
	s_wait_loadcnt 0x0
	s_wait_xcnt 0x1
	v_cvt_f64_f32_e32 v[24:25], v23
.LBB142_2892:
	s_mov_b32 s23, 0
.LBB142_2893:
	s_delay_alu instid0(SALU_CYCLE_1)
	s_and_not1_b32 vcc_lo, exec_lo, s23
	s_cbranch_vccnz .LBB142_2895
; %bb.2894:
	global_load_u16 v23, v[20:21], off
	s_wait_loadcnt 0x0
	v_cvt_f32_f16_e32 v23, v23
	s_wait_xcnt 0x1
	s_delay_alu instid0(VALU_DEP_1)
	v_cvt_f64_f32_e32 v[24:25], v23
.LBB142_2895:
	s_wait_loadcnt 0x0
	v_mov_b64_e32 v[26:27], 0
.LBB142_2896:
	s_mov_b32 s23, 0
.LBB142_2897:
	s_delay_alu instid0(SALU_CYCLE_1)
	s_and_not1_b32 vcc_lo, exec_lo, s23
	s_cbranch_vccnz .LBB142_2924
; %bb.2898:
	s_cmp_lt_i32 s0, 2
	s_cbranch_scc1 .LBB142_2902
; %bb.2899:
	s_cmp_lt_i32 s0, 3
	s_cbranch_scc1 .LBB142_2903
; %bb.2900:
	s_cmp_gt_i32 s0, 3
	s_cbranch_scc0 .LBB142_2910
; %bb.2901:
	s_wait_loadcnt 0x0
	global_load_b64 v[24:25], v[20:21], off
	s_mov_b32 s23, 0
	s_wait_loadcnt 0x0
	v_cvt_f64_i32_e32 v[26:27], v25
	v_cvt_f64_u32_e32 v[24:25], v24
	s_delay_alu instid0(VALU_DEP_2) | instskip(NEXT) | instid1(VALU_DEP_1)
	v_ldexp_f64 v[26:27], v[26:27], 32
	v_add_f64_e32 v[24:25], v[26:27], v[24:25]
	s_branch .LBB142_2911
.LBB142_2902:
	s_mov_b32 s23, -1
                                        ; implicit-def: $vgpr24_vgpr25
	s_branch .LBB142_2917
.LBB142_2903:
	s_mov_b32 s23, -1
                                        ; implicit-def: $vgpr24_vgpr25
	s_branch .LBB142_2914
.LBB142_2904:
	s_mov_b32 s23, -1
.LBB142_2905:
                                        ; implicit-def: $vgpr24_vgpr25
.LBB142_2906:
	s_and_b32 vcc_lo, exec_lo, s28
	s_mov_b32 s28, 0
	s_cbranch_vccz .LBB142_2908
; %bb.2907:
	s_cmp_lg_u32 s0, 11
	s_mov_b32 s28, -1
	s_cselect_b32 s23, -1, 0
.LBB142_2908:
	v_mov_b64_e32 v[26:27], 0
	s_and_b32 vcc_lo, exec_lo, s23
	s_cbranch_vccz .LBB142_2839
.LBB142_2909:
	s_or_b32 s24, s24, exec_lo
	s_trap 2
	s_cbranch_execz .LBB142_2840
	s_branch .LBB142_2841
.LBB142_2910:
	s_mov_b32 s23, -1
                                        ; implicit-def: $vgpr24_vgpr25
.LBB142_2911:
	s_delay_alu instid0(SALU_CYCLE_1)
	s_and_not1_b32 vcc_lo, exec_lo, s23
	s_cbranch_vccnz .LBB142_2913
; %bb.2912:
	global_load_b32 v23, v[20:21], off
	s_wait_loadcnt 0x0
	s_wait_xcnt 0x1
	v_cvt_f64_i32_e32 v[24:25], v23
.LBB142_2913:
	s_mov_b32 s23, 0
.LBB142_2914:
	s_delay_alu instid0(SALU_CYCLE_1)
	s_and_not1_b32 vcc_lo, exec_lo, s23
	s_cbranch_vccnz .LBB142_2916
; %bb.2915:
	global_load_i16 v23, v[20:21], off
	s_wait_loadcnt 0x0
	s_wait_xcnt 0x1
	v_cvt_f64_i32_e32 v[24:25], v23
.LBB142_2916:
	s_mov_b32 s23, 0
.LBB142_2917:
	s_delay_alu instid0(SALU_CYCLE_1)
	s_and_not1_b32 vcc_lo, exec_lo, s23
	s_cbranch_vccnz .LBB142_2923
; %bb.2918:
	s_cmp_gt_i32 s0, 0
	s_mov_b32 s23, 0
	s_cbranch_scc0 .LBB142_2920
; %bb.2919:
	global_load_i8 v23, v[20:21], off
	s_wait_loadcnt 0x0
	s_wait_xcnt 0x1
	v_cvt_f64_i32_e32 v[24:25], v23
	s_branch .LBB142_2921
.LBB142_2920:
	s_mov_b32 s23, -1
                                        ; implicit-def: $vgpr24_vgpr25
.LBB142_2921:
	s_delay_alu instid0(SALU_CYCLE_1)
	s_and_not1_b32 vcc_lo, exec_lo, s23
	s_cbranch_vccnz .LBB142_2923
; %bb.2922:
	global_load_u8 v20, v[20:21], off
	s_wait_loadcnt 0x0
	v_cvt_f64_u32_e32 v[24:25], v20
.LBB142_2923:
	s_wait_loadcnt 0x0
	v_mov_b64_e32 v[26:27], 0
.LBB142_2924:
	s_mov_b32 s29, -1
.LBB142_2925:
	s_delay_alu instid0(SALU_CYCLE_1)
	s_and_not1_b32 vcc_lo, exec_lo, s29
	s_cbranch_vccnz .LBB142_4181
; %bb.2926:
	v_add_nc_u32_e32 v34, s1, v22
	s_cmp_lt_i32 s25, 11
	s_delay_alu instid0(VALU_DEP_1) | instskip(NEXT) | instid1(VALU_DEP_1)
	v_ashrrev_i32_e32 v35, 31, v34
	v_add_nc_u64_e32 v[30:31], s[6:7], v[34:35]
	s_cbranch_scc1 .LBB142_2933
; %bb.2927:
	s_and_b32 s23, 0xffff, s25
	s_mov_b32 s29, 0
	s_cmp_gt_i32 s23, 25
	s_cbranch_scc0 .LBB142_2934
; %bb.2928:
	s_cmp_gt_i32 s23, 28
	s_cbranch_scc0 .LBB142_2935
; %bb.2929:
	;; [unrolled: 3-line block ×4, first 2 shown]
	s_cmp_eq_u32 s23, 46
	s_mov_b32 s31, 0
	s_cbranch_scc0 .LBB142_2946
; %bb.2932:
	global_load_b32 v20, v[30:31], off
	s_mov_b32 s28, 0
	s_mov_b32 s30, -1
	s_wait_loadcnt 0x0
	v_lshlrev_b32_e32 v21, 16, v20
	v_and_b32_e32 v22, 0xffff0000, v20
	s_delay_alu instid0(VALU_DEP_2) | instskip(NEXT) | instid1(VALU_DEP_2)
	v_cvt_f64_f32_e32 v[20:21], v21
	v_cvt_f64_f32_e32 v[22:23], v22
	s_branch .LBB142_2948
.LBB142_2933:
	s_mov_b32 s23, -1
	s_mov_b32 s30, 0
                                        ; implicit-def: $vgpr22_vgpr23
	s_branch .LBB142_2982
.LBB142_2934:
	s_mov_b32 s31, -1
	s_mov_b32 s30, 0
	s_mov_b32 s28, 0
                                        ; implicit-def: $vgpr22_vgpr23
	s_branch .LBB142_2977
.LBB142_2935:
	s_mov_b32 s31, -1
	s_mov_b32 s30, 0
	s_mov_b32 s28, 0
                                        ; implicit-def: $vgpr22_vgpr23
	s_branch .LBB142_2960
.LBB142_2936:
	s_mov_b32 s31, -1
	s_mov_b32 s30, 0
	s_mov_b32 s28, 0
                                        ; implicit-def: $vgpr22_vgpr23
	s_branch .LBB142_2954
.LBB142_2937:
	s_mov_b32 s28, -1
	s_mov_b32 s30, exec_lo
	v_cmpx_eq_u16_e32 0x80, v23
; %bb.2938:
	s_xor_b32 s28, exec_lo, -1
; %bb.2939:
	s_or_b32 exec_lo, exec_lo, s30
	s_delay_alu instid0(SALU_CYCLE_1)
	s_and_b32 s28, s28, exec_lo
	s_or_saveexec_b32 s29, s29
	v_mov_b64_e32 v[24:25], 0x7ff8000020000000
	s_xor_b32 exec_lo, exec_lo, s29
	s_cbranch_execz .LBB142_2853
.LBB142_2940:
	v_cmp_ne_u16_e32 vcc_lo, 0, v23
	v_mov_b64_e32 v[24:25], 0
	s_and_not1_b32 s28, s28, exec_lo
	s_and_b32 s30, vcc_lo, exec_lo
	s_delay_alu instid0(SALU_CYCLE_1)
	s_or_b32 s28, s28, s30
	s_or_b32 exec_lo, exec_lo, s29
	s_and_saveexec_b32 s29, s28
	s_cbranch_execnz .LBB142_2854
	s_branch .LBB142_2855
.LBB142_2941:
	s_mov_b32 s31, -1
	s_mov_b32 s30, 0
	s_mov_b32 s28, 0
	s_branch .LBB142_2947
.LBB142_2942:
	v_bfe_u32 v7, v6, 21, 1
	s_mov_b32 s41, exec_lo
	s_delay_alu instid0(VALU_DEP_1) | instskip(NEXT) | instid1(VALU_DEP_1)
	v_add3_u32 v7, v6, v7, 0x88fffff
	v_lshrrev_b32_e32 v7, 21, v7
	s_and_not1_saveexec_b32 s42, s42
	s_cbranch_execz .LBB142_983
.LBB142_2943:
	v_add_f32_e64 v7, 0x42800000, |v6|
	s_and_not1_b32 s41, s41, exec_lo
	s_delay_alu instid0(VALU_DEP_1) | instskip(NEXT) | instid1(VALU_DEP_1)
	v_and_b32_e32 v7, 0xff, v7
	v_cmp_ne_u32_e32 vcc_lo, 0, v7
	s_and_b32 s43, vcc_lo, exec_lo
	s_delay_alu instid0(SALU_CYCLE_1)
	s_or_b32 s41, s41, s43
	s_or_b32 exec_lo, exec_lo, s42
	v_mov_b32_e32 v8, 0
	s_and_saveexec_b32 s42, s41
	s_cbranch_execnz .LBB142_984
	s_branch .LBB142_985
.LBB142_2944:
	v_bfe_u32 v7, v6, 20, 1
	s_mov_b32 s46, exec_lo
	s_delay_alu instid0(VALU_DEP_1) | instskip(NEXT) | instid1(VALU_DEP_1)
	v_add3_u32 v7, v6, v7, 0x487ffff
	v_lshrrev_b32_e32 v7, 20, v7
	s_and_not1_saveexec_b32 s47, s47
	s_cbranch_execz .LBB142_1506
.LBB142_2945:
	v_add_f32_e64 v7, 0x46000000, |v6|
	s_and_not1_b32 s46, s46, exec_lo
	s_delay_alu instid0(VALU_DEP_1) | instskip(NEXT) | instid1(VALU_DEP_1)
	v_and_b32_e32 v7, 0xff, v7
	v_cmp_ne_u32_e32 vcc_lo, 0, v7
	s_and_b32 s48, vcc_lo, exec_lo
	s_delay_alu instid0(SALU_CYCLE_1)
	s_or_b32 s46, s46, s48
	s_or_b32 exec_lo, exec_lo, s47
	v_mov_b32_e32 v8, 0
	s_and_saveexec_b32 s47, s46
	s_cbranch_execnz .LBB142_1507
	s_branch .LBB142_1508
.LBB142_2946:
	s_mov_b32 s28, -1
	s_mov_b32 s30, 0
.LBB142_2947:
                                        ; implicit-def: $vgpr22_vgpr23
.LBB142_2948:
	s_and_b32 vcc_lo, exec_lo, s31
	s_cbranch_vccz .LBB142_2953
; %bb.2949:
	s_cmp_eq_u32 s23, 44
	s_cbranch_scc0 .LBB142_2951
; %bb.2950:
	global_load_u8 v22, v[30:31], off
	s_mov_b32 s28, 0
	s_mov_b32 s30, -1
	s_wait_loadcnt 0x0
	v_cmp_ne_u32_e32 vcc_lo, 0xff, v22
	s_wait_xcnt 0x1
	v_lshlrev_b32_e32 v20, 23, v22
	s_delay_alu instid0(VALU_DEP_1) | instskip(NEXT) | instid1(VALU_DEP_1)
	v_cvt_f64_f32_e32 v[20:21], v20
	v_cndmask_b32_e32 v20, 0x20000000, v20, vcc_lo
	s_delay_alu instid0(VALU_DEP_2) | instskip(SKIP_1) | instid1(VALU_DEP_2)
	v_cndmask_b32_e32 v21, 0x7ff80000, v21, vcc_lo
	v_cmp_ne_u32_e32 vcc_lo, 0, v22
	v_cndmask_b32_e32 v21, 0x38000000, v21, vcc_lo
	s_delay_alu instid0(VALU_DEP_4)
	v_cndmask_b32_e32 v20, 0, v20, vcc_lo
	s_branch .LBB142_2952
.LBB142_2951:
	s_mov_b32 s28, -1
                                        ; implicit-def: $vgpr20_vgpr21
.LBB142_2952:
	v_mov_b64_e32 v[22:23], 0
.LBB142_2953:
	s_mov_b32 s31, 0
.LBB142_2954:
	s_delay_alu instid0(SALU_CYCLE_1)
	s_and_b32 vcc_lo, exec_lo, s31
	s_cbranch_vccz .LBB142_2959
; %bb.2955:
	s_cmp_eq_u32 s23, 29
	s_cbranch_scc0 .LBB142_2957
; %bb.2956:
	global_load_b64 v[20:21], v[30:31], off
	s_mov_b32 s28, 0
	s_mov_b32 s30, -1
	s_wait_loadcnt 0x0
	v_cvt_f64_u32_e32 v[22:23], v21
	v_cvt_f64_u32_e32 v[20:21], v20
	s_delay_alu instid0(VALU_DEP_2) | instskip(NEXT) | instid1(VALU_DEP_1)
	v_ldexp_f64 v[22:23], v[22:23], 32
	v_add_f64_e32 v[20:21], v[22:23], v[20:21]
	s_branch .LBB142_2958
.LBB142_2957:
	s_mov_b32 s28, -1
                                        ; implicit-def: $vgpr20_vgpr21
.LBB142_2958:
	v_mov_b64_e32 v[22:23], 0
.LBB142_2959:
	s_mov_b32 s31, 0
.LBB142_2960:
	s_delay_alu instid0(SALU_CYCLE_1)
	s_and_b32 vcc_lo, exec_lo, s31
	s_cbranch_vccz .LBB142_2976
; %bb.2961:
	s_cmp_lt_i32 s23, 27
	s_cbranch_scc1 .LBB142_2964
; %bb.2962:
	s_cmp_gt_i32 s23, 27
	s_cbranch_scc0 .LBB142_2965
; %bb.2963:
	global_load_b32 v20, v[30:31], off
	s_mov_b32 s30, 0
	s_wait_loadcnt 0x0
	v_cvt_f64_u32_e32 v[20:21], v20
	s_branch .LBB142_2966
.LBB142_2964:
	s_mov_b32 s30, -1
                                        ; implicit-def: $vgpr20_vgpr21
	s_branch .LBB142_2969
.LBB142_2965:
	s_mov_b32 s30, -1
                                        ; implicit-def: $vgpr20_vgpr21
.LBB142_2966:
	s_delay_alu instid0(SALU_CYCLE_1)
	s_and_not1_b32 vcc_lo, exec_lo, s30
	s_cbranch_vccnz .LBB142_2968
; %bb.2967:
	global_load_u16 v20, v[30:31], off
	s_wait_loadcnt 0x0
	v_cvt_f64_u32_e32 v[20:21], v20
.LBB142_2968:
	s_mov_b32 s30, 0
.LBB142_2969:
	s_delay_alu instid0(SALU_CYCLE_1)
	s_and_not1_b32 vcc_lo, exec_lo, s30
	s_cbranch_vccnz .LBB142_2975
; %bb.2970:
	global_load_u8 v22, v[30:31], off
	s_mov_b32 s30, 0
	s_mov_b32 s31, exec_lo
	s_wait_loadcnt 0x0
	v_cmpx_lt_i16_e32 0x7f, v22
	s_xor_b32 s31, exec_lo, s31
	s_cbranch_execnz .LBB142_3001
; %bb.2971:
	s_or_saveexec_b32 s31, s31
	v_mov_b64_e32 v[20:21], 0x7ff8000020000000
	s_xor_b32 exec_lo, exec_lo, s31
	s_cbranch_execnz .LBB142_3004
.LBB142_2972:
	s_or_b32 exec_lo, exec_lo, s31
	s_and_saveexec_b32 s31, s30
	s_cbranch_execz .LBB142_2974
.LBB142_2973:
	v_and_b32_e32 v20, 0xffff, v22
	s_delay_alu instid0(VALU_DEP_1) | instskip(SKIP_1) | instid1(VALU_DEP_2)
	v_and_b32_e32 v21, 7, v20
	v_bfe_u32 v33, v20, 3, 4
	v_clz_i32_u32_e32 v23, v21
	s_delay_alu instid0(VALU_DEP_2) | instskip(NEXT) | instid1(VALU_DEP_2)
	v_cmp_eq_u32_e32 vcc_lo, 0, v33
	v_min_u32_e32 v23, 32, v23
	s_delay_alu instid0(VALU_DEP_1) | instskip(NEXT) | instid1(VALU_DEP_1)
	v_subrev_nc_u32_e32 v29, 28, v23
	v_dual_lshlrev_b32 v20, v29, v20 :: v_dual_sub_nc_u32 v23, 29, v23
	s_delay_alu instid0(VALU_DEP_1) | instskip(NEXT) | instid1(VALU_DEP_2)
	v_dual_lshlrev_b32 v22, 24, v22 :: v_dual_bitop2_b32 v20, 7, v20 bitop3:0x40
	v_cndmask_b32_e32 v23, v33, v23, vcc_lo
	s_delay_alu instid0(VALU_DEP_2) | instskip(NEXT) | instid1(VALU_DEP_3)
	v_cndmask_b32_e32 v20, v21, v20, vcc_lo
	v_and_b32_e32 v21, 0x80000000, v22
	s_delay_alu instid0(VALU_DEP_3) | instskip(NEXT) | instid1(VALU_DEP_3)
	v_lshl_add_u32 v22, v23, 23, 0x3b800000
	v_lshlrev_b32_e32 v20, 20, v20
	s_delay_alu instid0(VALU_DEP_1) | instskip(NEXT) | instid1(VALU_DEP_1)
	v_or3_b32 v20, v21, v22, v20
	v_cvt_f64_f32_e32 v[20:21], v20
.LBB142_2974:
	s_or_b32 exec_lo, exec_lo, s31
.LBB142_2975:
	v_mov_b64_e32 v[22:23], 0
	s_mov_b32 s30, -1
.LBB142_2976:
	s_mov_b32 s31, 0
.LBB142_2977:
	s_delay_alu instid0(SALU_CYCLE_1)
	s_and_b32 vcc_lo, exec_lo, s31
	s_cbranch_vccnz .LBB142_2988
; %bb.2978:
	s_and_b32 vcc_lo, exec_lo, s28
	s_cbranch_vccnz .LBB142_3049
.LBB142_2979:
	s_and_not1_b32 vcc_lo, exec_lo, s29
	s_cbranch_vccnz .LBB142_2981
.LBB142_2980:
	global_load_u8 v20, v[30:31], off
	v_mov_b64_e32 v[22:23], 0
	s_mov_b32 s30, -1
	s_wait_loadcnt 0x0
	v_cmp_ne_u16_e32 vcc_lo, 0, v20
	v_mov_b32_e32 v20, 0
	v_cndmask_b32_e64 v21, 0, 0x3ff00000, vcc_lo
.LBB142_2981:
	s_mov_b32 s23, 0
.LBB142_2982:
	s_delay_alu instid0(SALU_CYCLE_1)
	s_and_b32 vcc_lo, exec_lo, s23
	s_cbranch_vccz .LBB142_3065
; %bb.2983:
	s_and_b32 s23, 0xffff, s25
	s_delay_alu instid0(SALU_CYCLE_1)
	s_cmp_lt_i32 s23, 5
	s_cbranch_scc1 .LBB142_2996
; %bb.2984:
	s_cmp_lt_i32 s23, 8
	s_cbranch_scc1 .LBB142_2997
; %bb.2985:
	;; [unrolled: 3-line block ×3, first 2 shown]
	s_cmp_gt_i32 s23, 9
	s_cbranch_scc0 .LBB142_3005
; %bb.2987:
	global_load_b128 v[20:23], v[30:31], off
	s_mov_b32 s28, 0
	s_branch .LBB142_3006
.LBB142_2988:
	s_cmp_gt_i32 s23, 22
	s_cbranch_scc0 .LBB142_2998
; %bb.2989:
	s_cmp_lt_i32 s23, 24
	s_cbranch_scc1 .LBB142_3000
; %bb.2990:
	s_cmp_gt_i32 s23, 24
	s_cbranch_scc0 .LBB142_3017
; %bb.2991:
	global_load_u8 v22, v[30:31], off
	s_mov_b32 s30, exec_lo
	s_wait_loadcnt 0x0
	v_cmpx_lt_i16_e32 0x7f, v22
	s_xor_b32 s30, exec_lo, s30
	s_cbranch_execnz .LBB142_3077
; %bb.2992:
	s_or_saveexec_b32 s30, s30
	v_mov_b64_e32 v[20:21], 0x7ff8000020000000
	s_xor_b32 exec_lo, exec_lo, s30
	s_cbranch_execnz .LBB142_3080
.LBB142_2993:
	s_or_b32 exec_lo, exec_lo, s30
	s_and_saveexec_b32 s30, s29
	s_cbranch_execz .LBB142_2995
.LBB142_2994:
	v_and_b32_e32 v20, 0xffff, v22
	s_delay_alu instid0(VALU_DEP_1) | instskip(SKIP_1) | instid1(VALU_DEP_2)
	v_and_b32_e32 v21, 3, v20
	v_bfe_u32 v33, v20, 2, 5
	v_clz_i32_u32_e32 v23, v21
	s_delay_alu instid0(VALU_DEP_2) | instskip(NEXT) | instid1(VALU_DEP_2)
	v_cmp_eq_u32_e32 vcc_lo, 0, v33
	v_min_u32_e32 v23, 32, v23
	s_delay_alu instid0(VALU_DEP_1) | instskip(NEXT) | instid1(VALU_DEP_1)
	v_subrev_nc_u32_e32 v29, 29, v23
	v_dual_lshlrev_b32 v20, v29, v20 :: v_dual_sub_nc_u32 v23, 30, v23
	s_delay_alu instid0(VALU_DEP_1) | instskip(NEXT) | instid1(VALU_DEP_2)
	v_dual_lshlrev_b32 v22, 24, v22 :: v_dual_bitop2_b32 v20, 3, v20 bitop3:0x40
	v_cndmask_b32_e32 v23, v33, v23, vcc_lo
	s_delay_alu instid0(VALU_DEP_2) | instskip(NEXT) | instid1(VALU_DEP_3)
	v_cndmask_b32_e32 v20, v21, v20, vcc_lo
	v_and_b32_e32 v21, 0x80000000, v22
	s_delay_alu instid0(VALU_DEP_3) | instskip(NEXT) | instid1(VALU_DEP_3)
	v_lshl_add_u32 v22, v23, 23, 0x37800000
	v_lshlrev_b32_e32 v20, 21, v20
	s_delay_alu instid0(VALU_DEP_1) | instskip(NEXT) | instid1(VALU_DEP_1)
	v_or3_b32 v20, v21, v22, v20
	v_cvt_f64_f32_e32 v[20:21], v20
.LBB142_2995:
	s_or_b32 exec_lo, exec_lo, s30
	s_mov_b32 s29, 0
	s_branch .LBB142_3018
.LBB142_2996:
	s_mov_b32 s28, -1
                                        ; implicit-def: $vgpr22_vgpr23
	s_branch .LBB142_3037
.LBB142_2997:
	s_mov_b32 s28, -1
                                        ; implicit-def: $vgpr22_vgpr23
	s_branch .LBB142_3012
.LBB142_2998:
	s_mov_b32 s29, -1
                                        ; implicit-def: $vgpr20_vgpr21
	s_branch .LBB142_3024
.LBB142_2999:
	s_mov_b32 s28, -1
                                        ; implicit-def: $vgpr22_vgpr23
	s_branch .LBB142_3009
.LBB142_3000:
	s_mov_b32 s29, -1
                                        ; implicit-def: $vgpr20_vgpr21
	s_branch .LBB142_3021
.LBB142_3001:
	s_mov_b32 s30, -1
	s_mov_b32 s33, exec_lo
	v_cmpx_eq_u16_e32 0x80, v22
; %bb.3002:
	s_xor_b32 s30, exec_lo, -1
; %bb.3003:
	s_or_b32 exec_lo, exec_lo, s33
	s_delay_alu instid0(SALU_CYCLE_1)
	s_and_b32 s30, s30, exec_lo
	s_or_saveexec_b32 s31, s31
	v_mov_b64_e32 v[20:21], 0x7ff8000020000000
	s_xor_b32 exec_lo, exec_lo, s31
	s_cbranch_execz .LBB142_2972
.LBB142_3004:
	v_cmp_ne_u16_e32 vcc_lo, 0, v22
	v_mov_b64_e32 v[20:21], 0
	s_and_not1_b32 s30, s30, exec_lo
	s_and_b32 s33, vcc_lo, exec_lo
	s_delay_alu instid0(SALU_CYCLE_1)
	s_or_b32 s30, s30, s33
	s_or_b32 exec_lo, exec_lo, s31
	s_and_saveexec_b32 s31, s30
	s_cbranch_execnz .LBB142_2973
	s_branch .LBB142_2974
.LBB142_3005:
	s_mov_b32 s28, -1
                                        ; implicit-def: $vgpr22_vgpr23
.LBB142_3006:
	s_delay_alu instid0(SALU_CYCLE_1)
	s_and_not1_b32 vcc_lo, exec_lo, s28
	s_cbranch_vccnz .LBB142_3008
; %bb.3007:
	s_wait_loadcnt 0x0
	global_load_b64 v[22:23], v[30:31], off
	s_wait_loadcnt 0x0
	s_wait_xcnt 0x1
	v_cvt_f64_f32_e32 v[20:21], v22
	v_cvt_f64_f32_e32 v[22:23], v23
.LBB142_3008:
	s_mov_b32 s28, 0
.LBB142_3009:
	s_delay_alu instid0(SALU_CYCLE_1)
	s_and_not1_b32 vcc_lo, exec_lo, s28
	s_cbranch_vccnz .LBB142_3011
; %bb.3010:
	s_wait_loadcnt 0x0
	global_load_b32 v20, v[30:31], off
	s_wait_loadcnt 0x0
	v_lshrrev_b32_e32 v21, 16, v20
	v_cvt_f32_f16_e32 v20, v20
	s_delay_alu instid0(VALU_DEP_2) | instskip(NEXT) | instid1(VALU_DEP_2)
	v_cvt_f32_f16_e32 v22, v21
	v_cvt_f64_f32_e32 v[20:21], v20
	s_delay_alu instid0(VALU_DEP_2)
	v_cvt_f64_f32_e32 v[22:23], v22
.LBB142_3011:
	s_mov_b32 s28, 0
.LBB142_3012:
	s_delay_alu instid0(SALU_CYCLE_1)
	s_and_not1_b32 vcc_lo, exec_lo, s28
	s_cbranch_vccnz .LBB142_3036
; %bb.3013:
	s_cmp_lt_i32 s23, 6
	s_cbranch_scc1 .LBB142_3016
; %bb.3014:
	s_cmp_gt_i32 s23, 6
	s_cbranch_scc0 .LBB142_3029
; %bb.3015:
	s_wait_loadcnt 0x0
	global_load_b64 v[20:21], v[30:31], off
	s_mov_b32 s28, 0
	s_branch .LBB142_3030
.LBB142_3016:
	s_mov_b32 s28, -1
                                        ; implicit-def: $vgpr20_vgpr21
	s_branch .LBB142_3033
.LBB142_3017:
	s_mov_b32 s29, -1
                                        ; implicit-def: $vgpr20_vgpr21
.LBB142_3018:
	s_delay_alu instid0(SALU_CYCLE_1)
	s_and_b32 vcc_lo, exec_lo, s29
	s_cbranch_vccz .LBB142_3020
; %bb.3019:
	global_load_u8 v20, v[30:31], off
	s_wait_loadcnt 0x0
	v_lshlrev_b32_e32 v20, 24, v20
	s_delay_alu instid0(VALU_DEP_1) | instskip(NEXT) | instid1(VALU_DEP_1)
	v_and_b32_e32 v21, 0x7f000000, v20
	v_clz_i32_u32_e32 v22, v21
	v_add_nc_u32_e32 v29, 0x1000000, v21
	v_cmp_ne_u32_e32 vcc_lo, 0, v21
	s_delay_alu instid0(VALU_DEP_3) | instskip(NEXT) | instid1(VALU_DEP_1)
	v_min_u32_e32 v22, 32, v22
	v_sub_nc_u32_e64 v22, v22, 4 clamp
	s_delay_alu instid0(VALU_DEP_1) | instskip(NEXT) | instid1(VALU_DEP_1)
	v_dual_lshlrev_b32 v23, v22, v21 :: v_dual_lshlrev_b32 v22, 23, v22
	v_lshrrev_b32_e32 v23, 4, v23
	s_delay_alu instid0(VALU_DEP_1) | instskip(NEXT) | instid1(VALU_DEP_1)
	v_dual_sub_nc_u32 v22, v23, v22 :: v_dual_ashrrev_i32 v23, 8, v29
	v_add_nc_u32_e32 v22, 0x3c000000, v22
	s_delay_alu instid0(VALU_DEP_1) | instskip(NEXT) | instid1(VALU_DEP_1)
	v_and_or_b32 v22, 0x7f800000, v23, v22
	v_cndmask_b32_e32 v21, 0, v22, vcc_lo
	s_delay_alu instid0(VALU_DEP_1) | instskip(NEXT) | instid1(VALU_DEP_1)
	v_and_or_b32 v20, 0x80000000, v20, v21
	v_cvt_f64_f32_e32 v[20:21], v20
.LBB142_3020:
	s_mov_b32 s29, 0
.LBB142_3021:
	s_delay_alu instid0(SALU_CYCLE_1)
	s_and_not1_b32 vcc_lo, exec_lo, s29
	s_cbranch_vccnz .LBB142_3023
; %bb.3022:
	global_load_u8 v20, v[30:31], off
	s_wait_loadcnt 0x0
	v_lshlrev_b32_e32 v21, 25, v20
	v_lshlrev_b16 v20, 8, v20
	s_delay_alu instid0(VALU_DEP_1) | instskip(SKIP_1) | instid1(VALU_DEP_2)
	v_and_or_b32 v23, 0x7f00, v20, 0.5
	v_bfe_i32 v20, v20, 0, 16
	v_dual_add_f32 v23, -0.5, v23 :: v_dual_lshrrev_b32 v22, 4, v21
	v_cmp_gt_u32_e32 vcc_lo, 0x8000000, v21
	s_delay_alu instid0(VALU_DEP_2) | instskip(NEXT) | instid1(VALU_DEP_1)
	v_or_b32_e32 v22, 0x70000000, v22
	v_mul_f32_e32 v22, 0x7800000, v22
	s_delay_alu instid0(VALU_DEP_1) | instskip(NEXT) | instid1(VALU_DEP_1)
	v_cndmask_b32_e32 v21, v22, v23, vcc_lo
	v_and_or_b32 v20, 0x80000000, v20, v21
	s_delay_alu instid0(VALU_DEP_1)
	v_cvt_f64_f32_e32 v[20:21], v20
.LBB142_3023:
	s_mov_b32 s29, 0
	s_mov_b32 s30, -1
.LBB142_3024:
	s_and_not1_b32 vcc_lo, exec_lo, s29
	s_mov_b32 s29, 0
	s_cbranch_vccnz .LBB142_3048
; %bb.3025:
	s_cmp_gt_i32 s23, 14
	s_cbranch_scc0 .LBB142_3028
; %bb.3026:
	s_cmp_eq_u32 s23, 15
	s_cbranch_scc0 .LBB142_3044
; %bb.3027:
	global_load_u16 v20, v[30:31], off
	s_mov_b32 s28, 0
	s_mov_b32 s30, -1
	s_wait_loadcnt 0x0
	v_lshlrev_b32_e32 v20, 16, v20
	s_delay_alu instid0(VALU_DEP_1)
	v_cvt_f64_f32_e32 v[20:21], v20
	s_branch .LBB142_3046
.LBB142_3028:
	s_mov_b32 s29, -1
	s_branch .LBB142_3045
.LBB142_3029:
	s_mov_b32 s28, -1
                                        ; implicit-def: $vgpr20_vgpr21
.LBB142_3030:
	s_delay_alu instid0(SALU_CYCLE_1)
	s_and_not1_b32 vcc_lo, exec_lo, s28
	s_cbranch_vccnz .LBB142_3032
; %bb.3031:
	s_wait_loadcnt 0x0
	global_load_b32 v20, v[30:31], off
	s_wait_loadcnt 0x0
	v_cvt_f64_f32_e32 v[20:21], v20
.LBB142_3032:
	s_mov_b32 s28, 0
.LBB142_3033:
	s_delay_alu instid0(SALU_CYCLE_1)
	s_and_not1_b32 vcc_lo, exec_lo, s28
	s_cbranch_vccnz .LBB142_3035
; %bb.3034:
	s_wait_loadcnt 0x0
	global_load_u16 v20, v[30:31], off
	s_wait_loadcnt 0x0
	v_cvt_f32_f16_e32 v20, v20
	s_delay_alu instid0(VALU_DEP_1)
	v_cvt_f64_f32_e32 v[20:21], v20
.LBB142_3035:
	s_wait_loadcnt 0x0
	v_mov_b64_e32 v[22:23], 0
.LBB142_3036:
	s_mov_b32 s28, 0
.LBB142_3037:
	s_delay_alu instid0(SALU_CYCLE_1)
	s_and_not1_b32 vcc_lo, exec_lo, s28
	s_cbranch_vccnz .LBB142_3064
; %bb.3038:
	s_cmp_lt_i32 s23, 2
	s_cbranch_scc1 .LBB142_3042
; %bb.3039:
	s_cmp_lt_i32 s23, 3
	s_cbranch_scc1 .LBB142_3043
; %bb.3040:
	s_cmp_gt_i32 s23, 3
	s_cbranch_scc0 .LBB142_3050
; %bb.3041:
	s_wait_loadcnt 0x0
	global_load_b64 v[20:21], v[30:31], off
	s_mov_b32 s28, 0
	s_wait_loadcnt 0x0
	v_cvt_f64_i32_e32 v[22:23], v21
	v_cvt_f64_u32_e32 v[20:21], v20
	s_delay_alu instid0(VALU_DEP_2) | instskip(NEXT) | instid1(VALU_DEP_1)
	v_ldexp_f64 v[22:23], v[22:23], 32
	v_add_f64_e32 v[20:21], v[22:23], v[20:21]
	s_branch .LBB142_3051
.LBB142_3042:
	s_mov_b32 s28, -1
                                        ; implicit-def: $vgpr20_vgpr21
	s_branch .LBB142_3057
.LBB142_3043:
	s_mov_b32 s28, -1
                                        ; implicit-def: $vgpr20_vgpr21
	s_branch .LBB142_3054
.LBB142_3044:
	s_mov_b32 s28, -1
.LBB142_3045:
                                        ; implicit-def: $vgpr20_vgpr21
.LBB142_3046:
	s_and_b32 vcc_lo, exec_lo, s29
	s_mov_b32 s29, 0
	s_cbranch_vccz .LBB142_3048
; %bb.3047:
	s_cmp_lg_u32 s23, 11
	s_mov_b32 s29, -1
	s_cselect_b32 s28, -1, 0
.LBB142_3048:
	v_mov_b64_e32 v[22:23], 0
	s_and_b32 vcc_lo, exec_lo, s28
	s_cbranch_vccz .LBB142_2979
.LBB142_3049:
	s_or_b32 s24, s24, exec_lo
	s_trap 2
	s_cbranch_execz .LBB142_2980
	s_branch .LBB142_2981
.LBB142_3050:
	s_mov_b32 s28, -1
                                        ; implicit-def: $vgpr20_vgpr21
.LBB142_3051:
	s_delay_alu instid0(SALU_CYCLE_1)
	s_and_not1_b32 vcc_lo, exec_lo, s28
	s_cbranch_vccnz .LBB142_3053
; %bb.3052:
	s_wait_loadcnt 0x0
	global_load_b32 v20, v[30:31], off
	s_wait_loadcnt 0x0
	v_cvt_f64_i32_e32 v[20:21], v20
.LBB142_3053:
	s_mov_b32 s28, 0
.LBB142_3054:
	s_delay_alu instid0(SALU_CYCLE_1)
	s_and_not1_b32 vcc_lo, exec_lo, s28
	s_cbranch_vccnz .LBB142_3056
; %bb.3055:
	s_wait_loadcnt 0x0
	global_load_i16 v20, v[30:31], off
	s_wait_loadcnt 0x0
	v_cvt_f64_i32_e32 v[20:21], v20
.LBB142_3056:
	s_mov_b32 s28, 0
.LBB142_3057:
	s_delay_alu instid0(SALU_CYCLE_1)
	s_and_not1_b32 vcc_lo, exec_lo, s28
	s_cbranch_vccnz .LBB142_3063
; %bb.3058:
	s_cmp_gt_i32 s23, 0
	s_mov_b32 s23, 0
	s_cbranch_scc0 .LBB142_3060
; %bb.3059:
	s_wait_loadcnt 0x0
	global_load_i8 v20, v[30:31], off
	s_wait_loadcnt 0x0
	v_cvt_f64_i32_e32 v[20:21], v20
	s_branch .LBB142_3061
.LBB142_3060:
	s_mov_b32 s23, -1
                                        ; implicit-def: $vgpr20_vgpr21
.LBB142_3061:
	s_delay_alu instid0(SALU_CYCLE_1)
	s_and_not1_b32 vcc_lo, exec_lo, s23
	s_cbranch_vccnz .LBB142_3063
; %bb.3062:
	s_wait_loadcnt 0x0
	global_load_u8 v20, v[30:31], off
	s_wait_loadcnt 0x0
	v_cvt_f64_u32_e32 v[20:21], v20
.LBB142_3063:
	s_wait_loadcnt 0x0
	v_mov_b64_e32 v[22:23], 0
.LBB142_3064:
	s_mov_b32 s30, -1
.LBB142_3065:
	s_delay_alu instid0(SALU_CYCLE_1)
	s_and_not1_b32 vcc_lo, exec_lo, s30
	s_cbranch_vccnz .LBB142_4181
; %bb.3066:
	v_add_nc_u32_e32 v40, s21, v28
	s_cmp_lt_i32 s3, 11
	s_delay_alu instid0(VALU_DEP_1) | instskip(NEXT) | instid1(VALU_DEP_1)
	v_ashrrev_i32_e32 v41, 31, v40
	v_add_nc_u64_e32 v[36:37], s[8:9], v[40:41]
	s_cbranch_scc1 .LBB142_3073
; %bb.3067:
	s_and_b32 s23, 0xffff, s3
	s_mov_b32 s29, 0
	s_cmp_gt_i32 s23, 25
	s_cbranch_scc0 .LBB142_3074
; %bb.3068:
	s_cmp_gt_i32 s23, 28
	s_cbranch_scc0 .LBB142_3075
; %bb.3069:
	;; [unrolled: 3-line block ×4, first 2 shown]
	s_cmp_eq_u32 s23, 46
	s_mov_b32 s31, 0
	s_cbranch_scc0 .LBB142_3084
; %bb.3072:
	global_load_b32 v28, v[36:37], off
	s_mov_b32 s28, 0
	s_mov_b32 s30, -1
	s_wait_loadcnt 0x0
	v_lshlrev_b32_e32 v29, 16, v28
	s_wait_xcnt 0x1
	v_and_b32_e32 v30, 0xffff0000, v28
	s_delay_alu instid0(VALU_DEP_2) | instskip(NEXT) | instid1(VALU_DEP_2)
	v_cvt_f64_f32_e32 v[28:29], v29
	v_cvt_f64_f32_e32 v[30:31], v30
	s_branch .LBB142_3086
.LBB142_3073:
	s_mov_b32 s23, -1
	s_mov_b32 s30, 0
                                        ; implicit-def: $vgpr30_vgpr31
	s_branch .LBB142_3120
.LBB142_3074:
	s_mov_b32 s31, -1
	s_mov_b32 s30, 0
	s_mov_b32 s28, 0
                                        ; implicit-def: $vgpr30_vgpr31
	s_branch .LBB142_3115
.LBB142_3075:
	s_mov_b32 s31, -1
	s_mov_b32 s30, 0
	s_mov_b32 s28, 0
                                        ; implicit-def: $vgpr30_vgpr31
	s_branch .LBB142_3098
.LBB142_3076:
	s_mov_b32 s31, -1
	s_mov_b32 s30, 0
	s_mov_b32 s28, 0
                                        ; implicit-def: $vgpr30_vgpr31
	s_branch .LBB142_3092
.LBB142_3077:
	s_mov_b32 s29, -1
	s_mov_b32 s31, exec_lo
	v_cmpx_eq_u16_e32 0x80, v22
; %bb.3078:
	s_xor_b32 s29, exec_lo, -1
; %bb.3079:
	s_or_b32 exec_lo, exec_lo, s31
	s_delay_alu instid0(SALU_CYCLE_1)
	s_and_b32 s29, s29, exec_lo
	s_or_saveexec_b32 s30, s30
	v_mov_b64_e32 v[20:21], 0x7ff8000020000000
	s_xor_b32 exec_lo, exec_lo, s30
	s_cbranch_execz .LBB142_2993
.LBB142_3080:
	v_cmp_ne_u16_e32 vcc_lo, 0, v22
	v_mov_b64_e32 v[20:21], 0
	s_and_not1_b32 s29, s29, exec_lo
	s_and_b32 s31, vcc_lo, exec_lo
	s_delay_alu instid0(SALU_CYCLE_1)
	s_or_b32 s29, s29, s31
	s_or_b32 exec_lo, exec_lo, s30
	s_and_saveexec_b32 s30, s29
	s_cbranch_execnz .LBB142_2994
	s_branch .LBB142_2995
.LBB142_3081:
	s_mov_b32 s31, -1
	s_mov_b32 s30, 0
	s_mov_b32 s28, 0
	s_branch .LBB142_3085
.LBB142_3082:
	v_bfe_u32 v7, v6, 21, 1
	s_mov_b32 s46, exec_lo
	s_delay_alu instid0(VALU_DEP_1) | instskip(NEXT) | instid1(VALU_DEP_1)
	v_add3_u32 v7, v6, v7, 0x88fffff
	v_lshrrev_b32_e32 v7, 21, v7
	s_and_not1_saveexec_b32 s47, s47
	s_cbranch_execz .LBB142_1519
.LBB142_3083:
	v_add_f32_e64 v7, 0x42800000, |v6|
	s_and_not1_b32 s46, s46, exec_lo
	s_delay_alu instid0(VALU_DEP_1) | instskip(NEXT) | instid1(VALU_DEP_1)
	v_and_b32_e32 v7, 0xff, v7
	v_cmp_ne_u32_e32 vcc_lo, 0, v7
	s_and_b32 s48, vcc_lo, exec_lo
	s_delay_alu instid0(SALU_CYCLE_1)
	s_or_b32 s46, s46, s48
	s_or_b32 exec_lo, exec_lo, s47
	v_mov_b32_e32 v8, 0
	s_and_saveexec_b32 s47, s46
	s_cbranch_execnz .LBB142_1520
	s_branch .LBB142_1521
.LBB142_3084:
	s_mov_b32 s28, -1
	s_mov_b32 s30, 0
.LBB142_3085:
                                        ; implicit-def: $vgpr30_vgpr31
.LBB142_3086:
	s_and_b32 vcc_lo, exec_lo, s31
	s_cbranch_vccz .LBB142_3091
; %bb.3087:
	s_cmp_eq_u32 s23, 44
	s_cbranch_scc0 .LBB142_3089
; %bb.3088:
	global_load_u8 v30, v[36:37], off
	s_mov_b32 s28, 0
	s_mov_b32 s30, -1
	s_wait_loadcnt 0x0
	v_cmp_ne_u32_e32 vcc_lo, 0xff, v30
	v_lshlrev_b32_e32 v28, 23, v30
	s_delay_alu instid0(VALU_DEP_1) | instskip(NEXT) | instid1(VALU_DEP_1)
	v_cvt_f64_f32_e32 v[28:29], v28
	v_cndmask_b32_e32 v28, 0x20000000, v28, vcc_lo
	s_delay_alu instid0(VALU_DEP_2) | instskip(SKIP_1) | instid1(VALU_DEP_2)
	v_cndmask_b32_e32 v29, 0x7ff80000, v29, vcc_lo
	v_cmp_ne_u32_e32 vcc_lo, 0, v30
	v_cndmask_b32_e32 v29, 0x38000000, v29, vcc_lo
	s_delay_alu instid0(VALU_DEP_4)
	v_cndmask_b32_e32 v28, 0, v28, vcc_lo
	s_branch .LBB142_3090
.LBB142_3089:
	s_mov_b32 s28, -1
                                        ; implicit-def: $vgpr28_vgpr29
.LBB142_3090:
	s_wait_xcnt 0x0
	v_mov_b64_e32 v[30:31], 0
.LBB142_3091:
	s_mov_b32 s31, 0
.LBB142_3092:
	s_delay_alu instid0(SALU_CYCLE_1)
	s_and_b32 vcc_lo, exec_lo, s31
	s_cbranch_vccz .LBB142_3097
; %bb.3093:
	s_cmp_eq_u32 s23, 29
	s_cbranch_scc0 .LBB142_3095
; %bb.3094:
	global_load_b64 v[28:29], v[36:37], off
	s_mov_b32 s28, 0
	s_mov_b32 s30, -1
	s_wait_loadcnt 0x0
	s_wait_xcnt 0x1
	v_cvt_f64_u32_e32 v[30:31], v29
	v_cvt_f64_u32_e32 v[28:29], v28
	s_delay_alu instid0(VALU_DEP_2) | instskip(NEXT) | instid1(VALU_DEP_1)
	v_ldexp_f64 v[30:31], v[30:31], 32
	v_add_f64_e32 v[28:29], v[30:31], v[28:29]
	s_branch .LBB142_3096
.LBB142_3095:
	s_mov_b32 s28, -1
                                        ; implicit-def: $vgpr28_vgpr29
.LBB142_3096:
	s_wait_xcnt 0x0
	v_mov_b64_e32 v[30:31], 0
.LBB142_3097:
	s_mov_b32 s31, 0
.LBB142_3098:
	s_delay_alu instid0(SALU_CYCLE_1)
	s_and_b32 vcc_lo, exec_lo, s31
	s_cbranch_vccz .LBB142_3114
; %bb.3099:
	s_cmp_lt_i32 s23, 27
	s_cbranch_scc1 .LBB142_3102
; %bb.3100:
	s_cmp_gt_i32 s23, 27
	s_cbranch_scc0 .LBB142_3103
; %bb.3101:
	global_load_b32 v28, v[36:37], off
	s_mov_b32 s30, 0
	s_wait_loadcnt 0x0
	v_cvt_f64_u32_e32 v[28:29], v28
	s_branch .LBB142_3104
.LBB142_3102:
	s_mov_b32 s30, -1
                                        ; implicit-def: $vgpr28_vgpr29
	s_branch .LBB142_3107
.LBB142_3103:
	s_mov_b32 s30, -1
                                        ; implicit-def: $vgpr28_vgpr29
.LBB142_3104:
	s_delay_alu instid0(SALU_CYCLE_1)
	s_and_not1_b32 vcc_lo, exec_lo, s30
	s_cbranch_vccnz .LBB142_3106
; %bb.3105:
	global_load_u16 v28, v[36:37], off
	s_wait_loadcnt 0x0
	v_cvt_f64_u32_e32 v[28:29], v28
.LBB142_3106:
	s_mov_b32 s30, 0
.LBB142_3107:
	s_delay_alu instid0(SALU_CYCLE_1)
	s_and_not1_b32 vcc_lo, exec_lo, s30
	s_cbranch_vccnz .LBB142_3113
; %bb.3108:
	global_load_u8 v30, v[36:37], off
	s_mov_b32 s30, 0
	s_mov_b32 s31, exec_lo
	s_wait_loadcnt 0x0
	v_cmpx_lt_i16_e32 0x7f, v30
	s_xor_b32 s31, exec_lo, s31
	s_cbranch_execnz .LBB142_3139
; %bb.3109:
	s_or_saveexec_b32 s31, s31
	v_mov_b64_e32 v[28:29], 0x7ff8000020000000
	s_xor_b32 exec_lo, exec_lo, s31
	s_cbranch_execnz .LBB142_3142
.LBB142_3110:
	s_or_b32 exec_lo, exec_lo, s31
	s_and_saveexec_b32 s31, s30
	s_cbranch_execz .LBB142_3112
.LBB142_3111:
	v_and_b32_e32 v28, 0xffff, v30
	s_delay_alu instid0(VALU_DEP_1) | instskip(SKIP_1) | instid1(VALU_DEP_2)
	v_and_b32_e32 v29, 7, v28
	v_bfe_u32 v35, v28, 3, 4
	v_clz_i32_u32_e32 v31, v29
	s_delay_alu instid0(VALU_DEP_2) | instskip(NEXT) | instid1(VALU_DEP_2)
	v_cmp_eq_u32_e32 vcc_lo, 0, v35
	v_min_u32_e32 v31, 32, v31
	s_delay_alu instid0(VALU_DEP_1) | instskip(NEXT) | instid1(VALU_DEP_1)
	v_subrev_nc_u32_e32 v33, 28, v31
	v_dual_lshlrev_b32 v28, v33, v28 :: v_dual_sub_nc_u32 v31, 29, v31
	s_delay_alu instid0(VALU_DEP_1) | instskip(NEXT) | instid1(VALU_DEP_1)
	v_dual_lshlrev_b32 v30, 24, v30 :: v_dual_bitop2_b32 v28, 7, v28 bitop3:0x40
	v_dual_cndmask_b32 v31, v35, v31 :: v_dual_cndmask_b32 v28, v29, v28
	s_delay_alu instid0(VALU_DEP_2) | instskip(NEXT) | instid1(VALU_DEP_2)
	v_and_b32_e32 v29, 0x80000000, v30
	v_lshl_add_u32 v30, v31, 23, 0x3b800000
	s_delay_alu instid0(VALU_DEP_3) | instskip(NEXT) | instid1(VALU_DEP_1)
	v_lshlrev_b32_e32 v28, 20, v28
	v_or3_b32 v28, v29, v30, v28
	s_delay_alu instid0(VALU_DEP_1)
	v_cvt_f64_f32_e32 v[28:29], v28
.LBB142_3112:
	s_or_b32 exec_lo, exec_lo, s31
.LBB142_3113:
	s_wait_xcnt 0x0
	v_mov_b64_e32 v[30:31], 0
	s_mov_b32 s30, -1
.LBB142_3114:
	s_mov_b32 s31, 0
.LBB142_3115:
	s_delay_alu instid0(SALU_CYCLE_1)
	s_and_b32 vcc_lo, exec_lo, s31
	s_cbranch_vccnz .LBB142_3126
; %bb.3116:
	s_and_b32 vcc_lo, exec_lo, s28
	s_cbranch_vccnz .LBB142_3187
.LBB142_3117:
	s_and_not1_b32 vcc_lo, exec_lo, s29
	s_cbranch_vccnz .LBB142_3119
.LBB142_3118:
	global_load_u8 v28, v[36:37], off
	s_wait_xcnt 0x1
	v_mov_b64_e32 v[30:31], 0
	s_mov_b32 s30, -1
	s_wait_loadcnt 0x0
	v_cmp_ne_u16_e32 vcc_lo, 0, v28
	v_mov_b32_e32 v28, 0
	v_cndmask_b32_e64 v29, 0, 0x3ff00000, vcc_lo
.LBB142_3119:
	s_mov_b32 s23, 0
.LBB142_3120:
	s_delay_alu instid0(SALU_CYCLE_1)
	s_and_b32 vcc_lo, exec_lo, s23
	s_cbranch_vccz .LBB142_3203
; %bb.3121:
	s_and_b32 s23, 0xffff, s3
	s_delay_alu instid0(SALU_CYCLE_1)
	s_cmp_lt_i32 s23, 5
	s_cbranch_scc1 .LBB142_3134
; %bb.3122:
	s_cmp_lt_i32 s23, 8
	s_cbranch_scc1 .LBB142_3135
; %bb.3123:
	;; [unrolled: 3-line block ×3, first 2 shown]
	s_cmp_gt_i32 s23, 9
	s_cbranch_scc0 .LBB142_3143
; %bb.3125:
	global_load_b128 v[28:31], v[36:37], off
	s_mov_b32 s28, 0
	s_branch .LBB142_3144
.LBB142_3126:
	s_cmp_gt_i32 s23, 22
	s_cbranch_scc0 .LBB142_3136
; %bb.3127:
	s_cmp_lt_i32 s23, 24
	s_cbranch_scc1 .LBB142_3138
; %bb.3128:
	s_cmp_gt_i32 s23, 24
	s_cbranch_scc0 .LBB142_3155
; %bb.3129:
	global_load_u8 v30, v[36:37], off
	s_mov_b32 s30, exec_lo
	s_wait_loadcnt 0x0
	v_cmpx_lt_i16_e32 0x7f, v30
	s_xor_b32 s30, exec_lo, s30
	s_cbranch_execnz .LBB142_3215
; %bb.3130:
	s_or_saveexec_b32 s30, s30
	v_mov_b64_e32 v[28:29], 0x7ff8000020000000
	s_xor_b32 exec_lo, exec_lo, s30
	s_cbranch_execnz .LBB142_3218
.LBB142_3131:
	s_or_b32 exec_lo, exec_lo, s30
	s_and_saveexec_b32 s30, s29
	s_cbranch_execz .LBB142_3133
.LBB142_3132:
	v_and_b32_e32 v28, 0xffff, v30
	s_delay_alu instid0(VALU_DEP_1) | instskip(SKIP_1) | instid1(VALU_DEP_2)
	v_and_b32_e32 v29, 3, v28
	v_bfe_u32 v35, v28, 2, 5
	v_clz_i32_u32_e32 v31, v29
	s_delay_alu instid0(VALU_DEP_2) | instskip(NEXT) | instid1(VALU_DEP_2)
	v_cmp_eq_u32_e32 vcc_lo, 0, v35
	v_min_u32_e32 v31, 32, v31
	s_delay_alu instid0(VALU_DEP_1) | instskip(NEXT) | instid1(VALU_DEP_1)
	v_subrev_nc_u32_e32 v33, 29, v31
	v_dual_lshlrev_b32 v28, v33, v28 :: v_dual_sub_nc_u32 v31, 30, v31
	s_delay_alu instid0(VALU_DEP_1) | instskip(NEXT) | instid1(VALU_DEP_1)
	v_dual_lshlrev_b32 v30, 24, v30 :: v_dual_bitop2_b32 v28, 3, v28 bitop3:0x40
	v_dual_cndmask_b32 v31, v35, v31 :: v_dual_cndmask_b32 v28, v29, v28
	s_delay_alu instid0(VALU_DEP_2) | instskip(NEXT) | instid1(VALU_DEP_2)
	v_and_b32_e32 v29, 0x80000000, v30
	v_lshl_add_u32 v30, v31, 23, 0x37800000
	s_delay_alu instid0(VALU_DEP_3) | instskip(NEXT) | instid1(VALU_DEP_1)
	v_lshlrev_b32_e32 v28, 21, v28
	v_or3_b32 v28, v29, v30, v28
	s_delay_alu instid0(VALU_DEP_1)
	v_cvt_f64_f32_e32 v[28:29], v28
.LBB142_3133:
	s_or_b32 exec_lo, exec_lo, s30
	s_mov_b32 s29, 0
	s_branch .LBB142_3156
.LBB142_3134:
	s_mov_b32 s28, -1
                                        ; implicit-def: $vgpr30_vgpr31
	s_branch .LBB142_3175
.LBB142_3135:
	s_mov_b32 s28, -1
                                        ; implicit-def: $vgpr30_vgpr31
	s_branch .LBB142_3150
.LBB142_3136:
	s_mov_b32 s29, -1
                                        ; implicit-def: $vgpr28_vgpr29
	s_branch .LBB142_3162
.LBB142_3137:
	s_mov_b32 s28, -1
                                        ; implicit-def: $vgpr30_vgpr31
	s_branch .LBB142_3147
.LBB142_3138:
	s_mov_b32 s29, -1
                                        ; implicit-def: $vgpr28_vgpr29
	s_branch .LBB142_3159
.LBB142_3139:
	s_mov_b32 s30, -1
	s_mov_b32 s33, exec_lo
	v_cmpx_eq_u16_e32 0x80, v30
; %bb.3140:
	s_xor_b32 s30, exec_lo, -1
; %bb.3141:
	s_or_b32 exec_lo, exec_lo, s33
	s_delay_alu instid0(SALU_CYCLE_1)
	s_and_b32 s30, s30, exec_lo
	s_or_saveexec_b32 s31, s31
	v_mov_b64_e32 v[28:29], 0x7ff8000020000000
	s_xor_b32 exec_lo, exec_lo, s31
	s_cbranch_execz .LBB142_3110
.LBB142_3142:
	v_cmp_ne_u16_e32 vcc_lo, 0, v30
	v_mov_b64_e32 v[28:29], 0
	s_and_not1_b32 s30, s30, exec_lo
	s_and_b32 s33, vcc_lo, exec_lo
	s_delay_alu instid0(SALU_CYCLE_1)
	s_or_b32 s30, s30, s33
	s_or_b32 exec_lo, exec_lo, s31
	s_and_saveexec_b32 s31, s30
	s_cbranch_execnz .LBB142_3111
	s_branch .LBB142_3112
.LBB142_3143:
	s_mov_b32 s28, -1
                                        ; implicit-def: $vgpr30_vgpr31
.LBB142_3144:
	s_delay_alu instid0(SALU_CYCLE_1)
	s_and_not1_b32 vcc_lo, exec_lo, s28
	s_cbranch_vccnz .LBB142_3146
; %bb.3145:
	s_wait_loadcnt 0x0
	global_load_b64 v[30:31], v[36:37], off
	s_wait_loadcnt 0x0
	v_cvt_f64_f32_e32 v[28:29], v30
	v_cvt_f64_f32_e32 v[30:31], v31
.LBB142_3146:
	s_mov_b32 s28, 0
.LBB142_3147:
	s_delay_alu instid0(SALU_CYCLE_1)
	s_and_not1_b32 vcc_lo, exec_lo, s28
	s_cbranch_vccnz .LBB142_3149
; %bb.3148:
	s_wait_loadcnt 0x0
	global_load_b32 v28, v[36:37], off
	s_wait_loadcnt 0x0
	v_lshrrev_b32_e32 v29, 16, v28
	v_cvt_f32_f16_e32 v28, v28
	s_wait_xcnt 0x1
	s_delay_alu instid0(VALU_DEP_2) | instskip(NEXT) | instid1(VALU_DEP_2)
	v_cvt_f32_f16_e32 v30, v29
	v_cvt_f64_f32_e32 v[28:29], v28
	s_delay_alu instid0(VALU_DEP_2)
	v_cvt_f64_f32_e32 v[30:31], v30
.LBB142_3149:
	s_mov_b32 s28, 0
.LBB142_3150:
	s_delay_alu instid0(SALU_CYCLE_1)
	s_and_not1_b32 vcc_lo, exec_lo, s28
	s_cbranch_vccnz .LBB142_3174
; %bb.3151:
	s_cmp_lt_i32 s23, 6
	s_cbranch_scc1 .LBB142_3154
; %bb.3152:
	s_cmp_gt_i32 s23, 6
	s_cbranch_scc0 .LBB142_3167
; %bb.3153:
	s_wait_loadcnt 0x0
	global_load_b64 v[28:29], v[36:37], off
	s_mov_b32 s28, 0
	s_branch .LBB142_3168
.LBB142_3154:
	s_mov_b32 s28, -1
                                        ; implicit-def: $vgpr28_vgpr29
	s_branch .LBB142_3171
.LBB142_3155:
	s_mov_b32 s29, -1
                                        ; implicit-def: $vgpr28_vgpr29
.LBB142_3156:
	s_delay_alu instid0(SALU_CYCLE_1)
	s_and_b32 vcc_lo, exec_lo, s29
	s_cbranch_vccz .LBB142_3158
; %bb.3157:
	global_load_u8 v28, v[36:37], off
	s_wait_loadcnt 0x0
	v_lshlrev_b32_e32 v28, 24, v28
	s_delay_alu instid0(VALU_DEP_1) | instskip(SKIP_1) | instid1(VALU_DEP_1)
	v_and_b32_e32 v29, 0x7f000000, v28
	s_wait_xcnt 0x1
	v_clz_i32_u32_e32 v30, v29
	v_add_nc_u32_e32 v33, 0x1000000, v29
	v_cmp_ne_u32_e32 vcc_lo, 0, v29
	s_delay_alu instid0(VALU_DEP_3) | instskip(NEXT) | instid1(VALU_DEP_1)
	v_min_u32_e32 v30, 32, v30
	v_sub_nc_u32_e64 v30, v30, 4 clamp
	s_delay_alu instid0(VALU_DEP_1) | instskip(NEXT) | instid1(VALU_DEP_1)
	v_dual_lshlrev_b32 v31, v30, v29 :: v_dual_lshlrev_b32 v30, 23, v30
	v_lshrrev_b32_e32 v31, 4, v31
	s_delay_alu instid0(VALU_DEP_1) | instskip(NEXT) | instid1(VALU_DEP_1)
	v_dual_sub_nc_u32 v30, v31, v30 :: v_dual_ashrrev_i32 v31, 8, v33
	v_add_nc_u32_e32 v30, 0x3c000000, v30
	s_delay_alu instid0(VALU_DEP_1) | instskip(NEXT) | instid1(VALU_DEP_1)
	v_and_or_b32 v30, 0x7f800000, v31, v30
	v_cndmask_b32_e32 v29, 0, v30, vcc_lo
	s_delay_alu instid0(VALU_DEP_1) | instskip(NEXT) | instid1(VALU_DEP_1)
	v_and_or_b32 v28, 0x80000000, v28, v29
	v_cvt_f64_f32_e32 v[28:29], v28
.LBB142_3158:
	s_mov_b32 s29, 0
.LBB142_3159:
	s_delay_alu instid0(SALU_CYCLE_1)
	s_and_not1_b32 vcc_lo, exec_lo, s29
	s_cbranch_vccnz .LBB142_3161
; %bb.3160:
	global_load_u8 v28, v[36:37], off
	s_wait_loadcnt 0x0
	v_lshlrev_b32_e32 v29, 25, v28
	v_lshlrev_b16 v28, 8, v28
	s_wait_xcnt 0x1
	s_delay_alu instid0(VALU_DEP_1) | instskip(SKIP_1) | instid1(VALU_DEP_2)
	v_and_or_b32 v31, 0x7f00, v28, 0.5
	v_bfe_i32 v28, v28, 0, 16
	v_dual_add_f32 v31, -0.5, v31 :: v_dual_lshrrev_b32 v30, 4, v29
	v_cmp_gt_u32_e32 vcc_lo, 0x8000000, v29
	s_delay_alu instid0(VALU_DEP_2) | instskip(NEXT) | instid1(VALU_DEP_1)
	v_or_b32_e32 v30, 0x70000000, v30
	v_mul_f32_e32 v30, 0x7800000, v30
	s_delay_alu instid0(VALU_DEP_1) | instskip(NEXT) | instid1(VALU_DEP_1)
	v_cndmask_b32_e32 v29, v30, v31, vcc_lo
	v_and_or_b32 v28, 0x80000000, v28, v29
	s_delay_alu instid0(VALU_DEP_1)
	v_cvt_f64_f32_e32 v[28:29], v28
.LBB142_3161:
	s_mov_b32 s29, 0
	s_mov_b32 s30, -1
.LBB142_3162:
	s_and_not1_b32 vcc_lo, exec_lo, s29
	s_mov_b32 s29, 0
	s_cbranch_vccnz .LBB142_3186
; %bb.3163:
	s_cmp_gt_i32 s23, 14
	s_cbranch_scc0 .LBB142_3166
; %bb.3164:
	s_cmp_eq_u32 s23, 15
	s_cbranch_scc0 .LBB142_3182
; %bb.3165:
	global_load_u16 v28, v[36:37], off
	s_mov_b32 s28, 0
	s_mov_b32 s30, -1
	s_wait_loadcnt 0x0
	v_lshlrev_b32_e32 v28, 16, v28
	s_delay_alu instid0(VALU_DEP_1)
	v_cvt_f64_f32_e32 v[28:29], v28
	s_branch .LBB142_3184
.LBB142_3166:
	s_mov_b32 s29, -1
	s_branch .LBB142_3183
.LBB142_3167:
	s_mov_b32 s28, -1
                                        ; implicit-def: $vgpr28_vgpr29
.LBB142_3168:
	s_delay_alu instid0(SALU_CYCLE_1)
	s_and_not1_b32 vcc_lo, exec_lo, s28
	s_cbranch_vccnz .LBB142_3170
; %bb.3169:
	s_wait_loadcnt 0x0
	global_load_b32 v28, v[36:37], off
	s_wait_loadcnt 0x0
	v_cvt_f64_f32_e32 v[28:29], v28
.LBB142_3170:
	s_mov_b32 s28, 0
.LBB142_3171:
	s_delay_alu instid0(SALU_CYCLE_1)
	s_and_not1_b32 vcc_lo, exec_lo, s28
	s_cbranch_vccnz .LBB142_3173
; %bb.3172:
	s_wait_loadcnt 0x0
	global_load_u16 v28, v[36:37], off
	s_wait_loadcnt 0x0
	v_cvt_f32_f16_e32 v28, v28
	s_delay_alu instid0(VALU_DEP_1)
	v_cvt_f64_f32_e32 v[28:29], v28
.LBB142_3173:
	s_wait_loadcnt 0x0
	v_mov_b64_e32 v[30:31], 0
.LBB142_3174:
	s_mov_b32 s28, 0
.LBB142_3175:
	s_delay_alu instid0(SALU_CYCLE_1)
	s_and_not1_b32 vcc_lo, exec_lo, s28
	s_cbranch_vccnz .LBB142_3202
; %bb.3176:
	s_cmp_lt_i32 s23, 2
	s_cbranch_scc1 .LBB142_3180
; %bb.3177:
	s_cmp_lt_i32 s23, 3
	s_cbranch_scc1 .LBB142_3181
; %bb.3178:
	s_cmp_gt_i32 s23, 3
	s_cbranch_scc0 .LBB142_3188
; %bb.3179:
	s_wait_loadcnt 0x0
	global_load_b64 v[28:29], v[36:37], off
	s_mov_b32 s28, 0
	s_wait_loadcnt 0x0
	s_wait_xcnt 0x1
	v_cvt_f64_i32_e32 v[30:31], v29
	v_cvt_f64_u32_e32 v[28:29], v28
	s_delay_alu instid0(VALU_DEP_2) | instskip(NEXT) | instid1(VALU_DEP_1)
	v_ldexp_f64 v[30:31], v[30:31], 32
	v_add_f64_e32 v[28:29], v[30:31], v[28:29]
	s_branch .LBB142_3189
.LBB142_3180:
	s_mov_b32 s28, -1
                                        ; implicit-def: $vgpr28_vgpr29
	s_branch .LBB142_3195
.LBB142_3181:
	s_mov_b32 s28, -1
                                        ; implicit-def: $vgpr28_vgpr29
	s_branch .LBB142_3192
.LBB142_3182:
	s_mov_b32 s28, -1
.LBB142_3183:
                                        ; implicit-def: $vgpr28_vgpr29
.LBB142_3184:
	s_and_b32 vcc_lo, exec_lo, s29
	s_mov_b32 s29, 0
	s_cbranch_vccz .LBB142_3186
; %bb.3185:
	s_cmp_lg_u32 s23, 11
	s_mov_b32 s29, -1
	s_cselect_b32 s28, -1, 0
.LBB142_3186:
	s_wait_xcnt 0x0
	v_mov_b64_e32 v[30:31], 0
	s_and_b32 vcc_lo, exec_lo, s28
	s_cbranch_vccz .LBB142_3117
.LBB142_3187:
	s_or_b32 s24, s24, exec_lo
	s_trap 2
	s_cbranch_execz .LBB142_3118
	s_branch .LBB142_3119
.LBB142_3188:
	s_mov_b32 s28, -1
                                        ; implicit-def: $vgpr28_vgpr29
.LBB142_3189:
	s_delay_alu instid0(SALU_CYCLE_1)
	s_and_not1_b32 vcc_lo, exec_lo, s28
	s_cbranch_vccnz .LBB142_3191
; %bb.3190:
	s_wait_loadcnt 0x0
	global_load_b32 v28, v[36:37], off
	s_wait_loadcnt 0x0
	v_cvt_f64_i32_e32 v[28:29], v28
.LBB142_3191:
	s_mov_b32 s28, 0
.LBB142_3192:
	s_delay_alu instid0(SALU_CYCLE_1)
	s_and_not1_b32 vcc_lo, exec_lo, s28
	s_cbranch_vccnz .LBB142_3194
; %bb.3193:
	s_wait_loadcnt 0x0
	global_load_i16 v28, v[36:37], off
	s_wait_loadcnt 0x0
	v_cvt_f64_i32_e32 v[28:29], v28
.LBB142_3194:
	s_mov_b32 s28, 0
.LBB142_3195:
	s_delay_alu instid0(SALU_CYCLE_1)
	s_and_not1_b32 vcc_lo, exec_lo, s28
	s_cbranch_vccnz .LBB142_3201
; %bb.3196:
	s_cmp_gt_i32 s23, 0
	s_mov_b32 s23, 0
	s_cbranch_scc0 .LBB142_3198
; %bb.3197:
	s_wait_loadcnt 0x0
	global_load_i8 v28, v[36:37], off
	s_wait_loadcnt 0x0
	v_cvt_f64_i32_e32 v[28:29], v28
	s_branch .LBB142_3199
.LBB142_3198:
	s_mov_b32 s23, -1
                                        ; implicit-def: $vgpr28_vgpr29
.LBB142_3199:
	s_delay_alu instid0(SALU_CYCLE_1)
	s_and_not1_b32 vcc_lo, exec_lo, s23
	s_cbranch_vccnz .LBB142_3201
; %bb.3200:
	s_wait_loadcnt 0x0
	global_load_u8 v28, v[36:37], off
	s_wait_loadcnt 0x0
	v_cvt_f64_u32_e32 v[28:29], v28
.LBB142_3201:
	s_wait_loadcnt 0x0
	v_mov_b64_e32 v[30:31], 0
.LBB142_3202:
	s_mov_b32 s30, -1
.LBB142_3203:
	s_delay_alu instid0(SALU_CYCLE_1)
	s_and_not1_b32 vcc_lo, exec_lo, s30
	s_cbranch_vccnz .LBB142_4181
; %bb.3204:
	v_add_nc_u32_e32 v44, s22, v32
	s_cmp_lt_i32 s0, 11
	s_delay_alu instid0(VALU_DEP_1) | instskip(NEXT) | instid1(VALU_DEP_1)
	v_ashrrev_i32_e32 v45, 31, v44
	v_add_nc_u64_e32 v[32:33], s[10:11], v[44:45]
	s_cbranch_scc1 .LBB142_3211
; %bb.3205:
	s_cmp_gt_i32 s0, 25
	s_mov_b32 s28, 0
	s_cbranch_scc0 .LBB142_3212
; %bb.3206:
	s_cmp_gt_i32 s0, 28
	s_cbranch_scc0 .LBB142_3213
; %bb.3207:
	s_cmp_gt_i32 s0, 43
	;; [unrolled: 3-line block ×3, first 2 shown]
	s_cbranch_scc0 .LBB142_3219
; %bb.3209:
	s_cmp_eq_u32 s0, 46
	s_mov_b32 s30, 0
	s_cbranch_scc0 .LBB142_3220
; %bb.3210:
	global_load_b32 v35, v[32:33], off
	s_mov_b32 s23, 0
	s_mov_b32 s29, -1
	s_wait_loadcnt 0x0
	s_wait_xcnt 0x1
	v_lshlrev_b32_e32 v36, 16, v35
	v_and_b32_e32 v35, 0xffff0000, v35
	s_delay_alu instid0(VALU_DEP_2) | instskip(NEXT) | instid1(VALU_DEP_2)
	v_cvt_f64_f32_e32 v[36:37], v36
	v_cvt_f64_f32_e32 v[38:39], v35
	s_branch .LBB142_3222
.LBB142_3211:
	s_mov_b32 s23, -1
	s_mov_b32 s29, 0
                                        ; implicit-def: $vgpr38_vgpr39
	s_branch .LBB142_3256
.LBB142_3212:
	s_mov_b32 s30, -1
	s_mov_b32 s29, 0
	s_mov_b32 s23, 0
                                        ; implicit-def: $vgpr38_vgpr39
	s_branch .LBB142_3251
.LBB142_3213:
	s_mov_b32 s30, -1
	s_mov_b32 s29, 0
	s_mov_b32 s23, 0
                                        ; implicit-def: $vgpr38_vgpr39
	s_branch .LBB142_3234
.LBB142_3214:
	s_mov_b32 s30, -1
	s_mov_b32 s29, 0
	s_mov_b32 s23, 0
                                        ; implicit-def: $vgpr38_vgpr39
	s_branch .LBB142_3228
.LBB142_3215:
	s_mov_b32 s29, -1
	s_mov_b32 s31, exec_lo
	v_cmpx_eq_u16_e32 0x80, v30
; %bb.3216:
	s_xor_b32 s29, exec_lo, -1
; %bb.3217:
	s_or_b32 exec_lo, exec_lo, s31
	s_delay_alu instid0(SALU_CYCLE_1)
	s_and_b32 s29, s29, exec_lo
	s_or_saveexec_b32 s30, s30
	v_mov_b64_e32 v[28:29], 0x7ff8000020000000
	s_xor_b32 exec_lo, exec_lo, s30
	s_cbranch_execz .LBB142_3131
.LBB142_3218:
	v_cmp_ne_u16_e32 vcc_lo, 0, v30
	v_mov_b64_e32 v[28:29], 0
	s_and_not1_b32 s29, s29, exec_lo
	s_and_b32 s31, vcc_lo, exec_lo
	s_delay_alu instid0(SALU_CYCLE_1)
	s_or_b32 s29, s29, s31
	s_or_b32 exec_lo, exec_lo, s30
	s_and_saveexec_b32 s30, s29
	s_cbranch_execnz .LBB142_3132
	s_branch .LBB142_3133
.LBB142_3219:
	s_mov_b32 s30, -1
	s_mov_b32 s29, 0
	s_mov_b32 s23, 0
	s_branch .LBB142_3221
.LBB142_3220:
	s_mov_b32 s23, -1
	s_mov_b32 s29, 0
.LBB142_3221:
                                        ; implicit-def: $vgpr38_vgpr39
.LBB142_3222:
	s_and_b32 vcc_lo, exec_lo, s30
	s_cbranch_vccz .LBB142_3227
; %bb.3223:
	s_cmp_eq_u32 s0, 44
	s_cbranch_scc0 .LBB142_3225
; %bb.3224:
	global_load_u8 v35, v[32:33], off
	s_mov_b32 s23, 0
	s_mov_b32 s29, -1
	s_wait_loadcnt 0x0
	v_cmp_ne_u32_e32 vcc_lo, 0xff, v35
	s_wait_xcnt 0x1
	v_lshlrev_b32_e32 v36, 23, v35
	s_delay_alu instid0(VALU_DEP_1) | instskip(NEXT) | instid1(VALU_DEP_1)
	v_cvt_f64_f32_e32 v[36:37], v36
	v_cndmask_b32_e32 v36, 0x20000000, v36, vcc_lo
	s_delay_alu instid0(VALU_DEP_2) | instskip(SKIP_1) | instid1(VALU_DEP_2)
	v_cndmask_b32_e32 v37, 0x7ff80000, v37, vcc_lo
	v_cmp_ne_u32_e32 vcc_lo, 0, v35
	v_cndmask_b32_e32 v37, 0x38000000, v37, vcc_lo
	s_delay_alu instid0(VALU_DEP_4)
	v_cndmask_b32_e32 v36, 0, v36, vcc_lo
	s_branch .LBB142_3226
.LBB142_3225:
	s_mov_b32 s23, -1
                                        ; implicit-def: $vgpr36_vgpr37
.LBB142_3226:
	v_mov_b64_e32 v[38:39], 0
.LBB142_3227:
	s_mov_b32 s30, 0
.LBB142_3228:
	s_delay_alu instid0(SALU_CYCLE_1)
	s_and_b32 vcc_lo, exec_lo, s30
	s_cbranch_vccz .LBB142_3233
; %bb.3229:
	s_cmp_eq_u32 s0, 29
	s_cbranch_scc0 .LBB142_3231
; %bb.3230:
	global_load_b64 v[36:37], v[32:33], off
	s_mov_b32 s23, 0
	s_mov_b32 s29, -1
	s_wait_loadcnt 0x0
	v_cvt_f64_u32_e32 v[38:39], v37
	v_cvt_f64_u32_e32 v[36:37], v36
	s_delay_alu instid0(VALU_DEP_2) | instskip(NEXT) | instid1(VALU_DEP_1)
	v_ldexp_f64 v[38:39], v[38:39], 32
	v_add_f64_e32 v[36:37], v[38:39], v[36:37]
	s_branch .LBB142_3232
.LBB142_3231:
	s_mov_b32 s23, -1
                                        ; implicit-def: $vgpr36_vgpr37
.LBB142_3232:
	v_mov_b64_e32 v[38:39], 0
.LBB142_3233:
	s_mov_b32 s30, 0
.LBB142_3234:
	s_delay_alu instid0(SALU_CYCLE_1)
	s_and_b32 vcc_lo, exec_lo, s30
	s_cbranch_vccz .LBB142_3250
; %bb.3235:
	s_cmp_lt_i32 s0, 27
	s_cbranch_scc1 .LBB142_3238
; %bb.3236:
	s_cmp_gt_i32 s0, 27
	s_cbranch_scc0 .LBB142_3239
; %bb.3237:
	global_load_b32 v35, v[32:33], off
	s_mov_b32 s29, 0
	s_wait_loadcnt 0x0
	s_wait_xcnt 0x1
	v_cvt_f64_u32_e32 v[36:37], v35
	s_branch .LBB142_3240
.LBB142_3238:
	s_mov_b32 s29, -1
                                        ; implicit-def: $vgpr36_vgpr37
	s_branch .LBB142_3243
.LBB142_3239:
	s_mov_b32 s29, -1
                                        ; implicit-def: $vgpr36_vgpr37
.LBB142_3240:
	s_delay_alu instid0(SALU_CYCLE_1)
	s_and_not1_b32 vcc_lo, exec_lo, s29
	s_cbranch_vccnz .LBB142_3242
; %bb.3241:
	global_load_u16 v35, v[32:33], off
	s_wait_loadcnt 0x0
	s_wait_xcnt 0x1
	v_cvt_f64_u32_e32 v[36:37], v35
.LBB142_3242:
	s_mov_b32 s29, 0
.LBB142_3243:
	s_delay_alu instid0(SALU_CYCLE_1)
	s_and_not1_b32 vcc_lo, exec_lo, s29
	s_cbranch_vccnz .LBB142_3249
; %bb.3244:
	global_load_u8 v35, v[32:33], off
	s_mov_b32 s29, 0
	s_mov_b32 s30, exec_lo
	s_wait_loadcnt 0x0
	v_cmpx_lt_i16_e32 0x7f, v35
	s_xor_b32 s30, exec_lo, s30
	s_cbranch_execnz .LBB142_3275
; %bb.3245:
	s_or_saveexec_b32 s30, s30
	v_mov_b64_e32 v[36:37], 0x7ff8000020000000
	s_xor_b32 exec_lo, exec_lo, s30
	s_cbranch_execnz .LBB142_3278
.LBB142_3246:
	s_or_b32 exec_lo, exec_lo, s30
	s_and_saveexec_b32 s30, s29
	s_cbranch_execz .LBB142_3248
.LBB142_3247:
	v_and_b32_e32 v36, 0xffff, v35
	s_delay_alu instid0(VALU_DEP_1) | instskip(SKIP_1) | instid1(VALU_DEP_2)
	v_and_b32_e32 v37, 7, v36
	v_bfe_u32 v41, v36, 3, 4
	v_clz_i32_u32_e32 v38, v37
	s_delay_alu instid0(VALU_DEP_2) | instskip(NEXT) | instid1(VALU_DEP_2)
	v_cmp_eq_u32_e32 vcc_lo, 0, v41
	v_min_u32_e32 v38, 32, v38
	s_delay_alu instid0(VALU_DEP_1) | instskip(NEXT) | instid1(VALU_DEP_1)
	v_subrev_nc_u32_e32 v39, 28, v38
	v_dual_lshlrev_b32 v36, v39, v36 :: v_dual_sub_nc_u32 v38, 29, v38
	s_delay_alu instid0(VALU_DEP_1) | instskip(NEXT) | instid1(VALU_DEP_2)
	v_dual_lshlrev_b32 v35, 24, v35 :: v_dual_bitop2_b32 v36, 7, v36 bitop3:0x40
	v_cndmask_b32_e32 v38, v41, v38, vcc_lo
	s_delay_alu instid0(VALU_DEP_2) | instskip(NEXT) | instid1(VALU_DEP_3)
	v_cndmask_b32_e32 v36, v37, v36, vcc_lo
	v_and_b32_e32 v35, 0x80000000, v35
	s_delay_alu instid0(VALU_DEP_3) | instskip(NEXT) | instid1(VALU_DEP_3)
	v_lshl_add_u32 v37, v38, 23, 0x3b800000
	v_lshlrev_b32_e32 v36, 20, v36
	s_delay_alu instid0(VALU_DEP_1) | instskip(NEXT) | instid1(VALU_DEP_1)
	v_or3_b32 v35, v35, v37, v36
	v_cvt_f64_f32_e32 v[36:37], v35
.LBB142_3248:
	s_or_b32 exec_lo, exec_lo, s30
.LBB142_3249:
	v_mov_b64_e32 v[38:39], 0
	s_mov_b32 s29, -1
.LBB142_3250:
	s_mov_b32 s30, 0
.LBB142_3251:
	s_delay_alu instid0(SALU_CYCLE_1)
	s_and_b32 vcc_lo, exec_lo, s30
	s_cbranch_vccnz .LBB142_3262
; %bb.3252:
	s_and_b32 vcc_lo, exec_lo, s23
	s_cbranch_vccnz .LBB142_3323
.LBB142_3253:
	s_and_not1_b32 vcc_lo, exec_lo, s28
	s_cbranch_vccnz .LBB142_3255
.LBB142_3254:
	global_load_u8 v35, v[32:33], off
	v_mov_b64_e32 v[38:39], 0
	s_wait_xcnt 0x1
	v_mov_b32_e32 v36, 0
	s_mov_b32 s29, -1
	s_wait_loadcnt 0x0
	v_cmp_ne_u16_e32 vcc_lo, 0, v35
	v_cndmask_b32_e64 v37, 0, 0x3ff00000, vcc_lo
.LBB142_3255:
	s_mov_b32 s23, 0
.LBB142_3256:
	s_delay_alu instid0(SALU_CYCLE_1)
	s_and_b32 vcc_lo, exec_lo, s23
	s_cbranch_vccz .LBB142_3339
; %bb.3257:
	s_cmp_lt_i32 s0, 5
	s_cbranch_scc1 .LBB142_3270
; %bb.3258:
	s_cmp_lt_i32 s0, 8
	s_cbranch_scc1 .LBB142_3271
	;; [unrolled: 3-line block ×3, first 2 shown]
; %bb.3260:
	s_cmp_gt_i32 s0, 9
	s_cbranch_scc0 .LBB142_3279
; %bb.3261:
	global_load_b128 v[36:39], v[32:33], off
	s_mov_b32 s23, 0
	s_branch .LBB142_3280
.LBB142_3262:
	s_cmp_gt_i32 s0, 22
	s_cbranch_scc0 .LBB142_3272
; %bb.3263:
	s_cmp_lt_i32 s0, 24
	s_cbranch_scc1 .LBB142_3274
; %bb.3264:
	s_cmp_gt_i32 s0, 24
	s_cbranch_scc0 .LBB142_3291
; %bb.3265:
	global_load_u8 v35, v[32:33], off
	s_mov_b32 s29, exec_lo
	s_wait_loadcnt 0x0
	v_cmpx_lt_i16_e32 0x7f, v35
	s_xor_b32 s29, exec_lo, s29
	s_cbranch_execnz .LBB142_3351
; %bb.3266:
	s_or_saveexec_b32 s29, s29
	v_mov_b64_e32 v[36:37], 0x7ff8000020000000
	s_xor_b32 exec_lo, exec_lo, s29
	s_cbranch_execnz .LBB142_3354
.LBB142_3267:
	s_or_b32 exec_lo, exec_lo, s29
	s_and_saveexec_b32 s29, s28
	s_cbranch_execz .LBB142_3269
.LBB142_3268:
	v_and_b32_e32 v36, 0xffff, v35
	s_delay_alu instid0(VALU_DEP_1) | instskip(SKIP_1) | instid1(VALU_DEP_2)
	v_and_b32_e32 v37, 3, v36
	v_bfe_u32 v41, v36, 2, 5
	v_clz_i32_u32_e32 v38, v37
	s_delay_alu instid0(VALU_DEP_2) | instskip(NEXT) | instid1(VALU_DEP_2)
	v_cmp_eq_u32_e32 vcc_lo, 0, v41
	v_min_u32_e32 v38, 32, v38
	s_delay_alu instid0(VALU_DEP_1) | instskip(NEXT) | instid1(VALU_DEP_1)
	v_subrev_nc_u32_e32 v39, 29, v38
	v_dual_lshlrev_b32 v36, v39, v36 :: v_dual_sub_nc_u32 v38, 30, v38
	s_delay_alu instid0(VALU_DEP_1) | instskip(NEXT) | instid1(VALU_DEP_2)
	v_dual_lshlrev_b32 v35, 24, v35 :: v_dual_bitop2_b32 v36, 3, v36 bitop3:0x40
	v_cndmask_b32_e32 v38, v41, v38, vcc_lo
	s_delay_alu instid0(VALU_DEP_2) | instskip(NEXT) | instid1(VALU_DEP_3)
	v_cndmask_b32_e32 v36, v37, v36, vcc_lo
	v_and_b32_e32 v35, 0x80000000, v35
	s_delay_alu instid0(VALU_DEP_3) | instskip(NEXT) | instid1(VALU_DEP_3)
	v_lshl_add_u32 v37, v38, 23, 0x37800000
	v_lshlrev_b32_e32 v36, 21, v36
	s_delay_alu instid0(VALU_DEP_1) | instskip(NEXT) | instid1(VALU_DEP_1)
	v_or3_b32 v35, v35, v37, v36
	v_cvt_f64_f32_e32 v[36:37], v35
.LBB142_3269:
	s_or_b32 exec_lo, exec_lo, s29
	s_mov_b32 s28, 0
	s_branch .LBB142_3292
.LBB142_3270:
	s_mov_b32 s23, -1
                                        ; implicit-def: $vgpr38_vgpr39
	s_branch .LBB142_3311
.LBB142_3271:
	s_mov_b32 s23, -1
                                        ; implicit-def: $vgpr38_vgpr39
	s_branch .LBB142_3286
.LBB142_3272:
	s_mov_b32 s28, -1
                                        ; implicit-def: $vgpr36_vgpr37
	s_branch .LBB142_3298
.LBB142_3273:
	s_mov_b32 s23, -1
                                        ; implicit-def: $vgpr38_vgpr39
	s_branch .LBB142_3283
.LBB142_3274:
	s_mov_b32 s28, -1
                                        ; implicit-def: $vgpr36_vgpr37
	s_branch .LBB142_3295
.LBB142_3275:
	s_mov_b32 s29, -1
	s_mov_b32 s31, exec_lo
	v_cmpx_eq_u16_e32 0x80, v35
; %bb.3276:
	s_xor_b32 s29, exec_lo, -1
; %bb.3277:
	s_or_b32 exec_lo, exec_lo, s31
	s_delay_alu instid0(SALU_CYCLE_1)
	s_and_b32 s29, s29, exec_lo
	s_or_saveexec_b32 s30, s30
	v_mov_b64_e32 v[36:37], 0x7ff8000020000000
	s_xor_b32 exec_lo, exec_lo, s30
	s_cbranch_execz .LBB142_3246
.LBB142_3278:
	v_cmp_ne_u16_e32 vcc_lo, 0, v35
	v_mov_b64_e32 v[36:37], 0
	s_and_not1_b32 s29, s29, exec_lo
	s_and_b32 s31, vcc_lo, exec_lo
	s_delay_alu instid0(SALU_CYCLE_1)
	s_or_b32 s29, s29, s31
	s_or_b32 exec_lo, exec_lo, s30
	s_and_saveexec_b32 s30, s29
	s_cbranch_execnz .LBB142_3247
	s_branch .LBB142_3248
.LBB142_3279:
	s_mov_b32 s23, -1
                                        ; implicit-def: $vgpr38_vgpr39
.LBB142_3280:
	s_delay_alu instid0(SALU_CYCLE_1)
	s_and_not1_b32 vcc_lo, exec_lo, s23
	s_cbranch_vccnz .LBB142_3282
; %bb.3281:
	s_wait_loadcnt 0x0
	global_load_b64 v[38:39], v[32:33], off
	s_wait_loadcnt 0x0
	s_wait_xcnt 0x1
	v_cvt_f64_f32_e32 v[36:37], v38
	v_cvt_f64_f32_e32 v[38:39], v39
.LBB142_3282:
	s_mov_b32 s23, 0
.LBB142_3283:
	s_delay_alu instid0(SALU_CYCLE_1)
	s_and_not1_b32 vcc_lo, exec_lo, s23
	s_cbranch_vccnz .LBB142_3285
; %bb.3284:
	global_load_b32 v35, v[32:33], off
	s_wait_loadcnt 0x0
	s_wait_xcnt 0x1
	v_lshrrev_b32_e32 v36, 16, v35
	v_cvt_f32_f16_e32 v35, v35
	s_delay_alu instid0(VALU_DEP_2) | instskip(NEXT) | instid1(VALU_DEP_2)
	v_cvt_f32_f16_e32 v38, v36
	v_cvt_f64_f32_e32 v[36:37], v35
	s_delay_alu instid0(VALU_DEP_2)
	v_cvt_f64_f32_e32 v[38:39], v38
.LBB142_3285:
	s_mov_b32 s23, 0
.LBB142_3286:
	s_delay_alu instid0(SALU_CYCLE_1)
	s_and_not1_b32 vcc_lo, exec_lo, s23
	s_cbranch_vccnz .LBB142_3310
; %bb.3287:
	s_cmp_lt_i32 s0, 6
	s_cbranch_scc1 .LBB142_3290
; %bb.3288:
	s_cmp_gt_i32 s0, 6
	s_cbranch_scc0 .LBB142_3303
; %bb.3289:
	s_wait_loadcnt 0x0
	global_load_b64 v[36:37], v[32:33], off
	s_mov_b32 s23, 0
	s_branch .LBB142_3304
.LBB142_3290:
	s_mov_b32 s23, -1
                                        ; implicit-def: $vgpr36_vgpr37
	s_branch .LBB142_3307
.LBB142_3291:
	s_mov_b32 s28, -1
                                        ; implicit-def: $vgpr36_vgpr37
.LBB142_3292:
	s_delay_alu instid0(SALU_CYCLE_1)
	s_and_b32 vcc_lo, exec_lo, s28
	s_cbranch_vccz .LBB142_3294
; %bb.3293:
	global_load_u8 v35, v[32:33], off
	s_wait_loadcnt 0x0
	v_lshlrev_b32_e32 v35, 24, v35
	s_wait_xcnt 0x1
	s_delay_alu instid0(VALU_DEP_1) | instskip(NEXT) | instid1(VALU_DEP_1)
	v_and_b32_e32 v36, 0x7f000000, v35
	v_clz_i32_u32_e32 v37, v36
	v_cmp_ne_u32_e32 vcc_lo, 0, v36
	v_add_nc_u32_e32 v39, 0x1000000, v36
	s_delay_alu instid0(VALU_DEP_3) | instskip(NEXT) | instid1(VALU_DEP_1)
	v_min_u32_e32 v37, 32, v37
	v_sub_nc_u32_e64 v37, v37, 4 clamp
	s_delay_alu instid0(VALU_DEP_1) | instskip(NEXT) | instid1(VALU_DEP_1)
	v_dual_lshlrev_b32 v38, v37, v36 :: v_dual_lshlrev_b32 v37, 23, v37
	v_lshrrev_b32_e32 v38, 4, v38
	s_delay_alu instid0(VALU_DEP_1) | instskip(NEXT) | instid1(VALU_DEP_1)
	v_dual_sub_nc_u32 v37, v38, v37 :: v_dual_ashrrev_i32 v38, 8, v39
	v_add_nc_u32_e32 v37, 0x3c000000, v37
	s_delay_alu instid0(VALU_DEP_1) | instskip(NEXT) | instid1(VALU_DEP_1)
	v_and_or_b32 v37, 0x7f800000, v38, v37
	v_cndmask_b32_e32 v36, 0, v37, vcc_lo
	s_delay_alu instid0(VALU_DEP_1) | instskip(NEXT) | instid1(VALU_DEP_1)
	v_and_or_b32 v35, 0x80000000, v35, v36
	v_cvt_f64_f32_e32 v[36:37], v35
.LBB142_3294:
	s_mov_b32 s28, 0
.LBB142_3295:
	s_delay_alu instid0(SALU_CYCLE_1)
	s_and_not1_b32 vcc_lo, exec_lo, s28
	s_cbranch_vccnz .LBB142_3297
; %bb.3296:
	global_load_u8 v35, v[32:33], off
	s_wait_loadcnt 0x0
	s_wait_xcnt 0x1
	v_lshlrev_b32_e32 v36, 25, v35
	v_lshlrev_b16 v35, 8, v35
	s_delay_alu instid0(VALU_DEP_1) | instskip(SKIP_1) | instid1(VALU_DEP_2)
	v_and_or_b32 v38, 0x7f00, v35, 0.5
	v_bfe_i32 v35, v35, 0, 16
	v_dual_add_f32 v38, -0.5, v38 :: v_dual_lshrrev_b32 v37, 4, v36
	v_cmp_gt_u32_e32 vcc_lo, 0x8000000, v36
	s_delay_alu instid0(VALU_DEP_2) | instskip(NEXT) | instid1(VALU_DEP_1)
	v_or_b32_e32 v37, 0x70000000, v37
	v_mul_f32_e32 v37, 0x7800000, v37
	s_delay_alu instid0(VALU_DEP_1) | instskip(NEXT) | instid1(VALU_DEP_1)
	v_cndmask_b32_e32 v36, v37, v38, vcc_lo
	v_and_or_b32 v35, 0x80000000, v35, v36
	s_delay_alu instid0(VALU_DEP_1)
	v_cvt_f64_f32_e32 v[36:37], v35
.LBB142_3297:
	s_mov_b32 s28, 0
	s_mov_b32 s29, -1
.LBB142_3298:
	s_and_not1_b32 vcc_lo, exec_lo, s28
	s_mov_b32 s28, 0
	s_cbranch_vccnz .LBB142_3322
; %bb.3299:
	s_cmp_gt_i32 s0, 14
	s_cbranch_scc0 .LBB142_3302
; %bb.3300:
	s_cmp_eq_u32 s0, 15
	s_cbranch_scc0 .LBB142_3318
; %bb.3301:
	global_load_u16 v35, v[32:33], off
	s_mov_b32 s23, 0
	s_mov_b32 s29, -1
	s_wait_loadcnt 0x0
	v_lshlrev_b32_e32 v35, 16, v35
	s_wait_xcnt 0x1
	s_delay_alu instid0(VALU_DEP_1)
	v_cvt_f64_f32_e32 v[36:37], v35
	s_branch .LBB142_3320
.LBB142_3302:
	s_mov_b32 s28, -1
	s_branch .LBB142_3319
.LBB142_3303:
	s_mov_b32 s23, -1
                                        ; implicit-def: $vgpr36_vgpr37
.LBB142_3304:
	s_delay_alu instid0(SALU_CYCLE_1)
	s_and_not1_b32 vcc_lo, exec_lo, s23
	s_cbranch_vccnz .LBB142_3306
; %bb.3305:
	global_load_b32 v35, v[32:33], off
	s_wait_loadcnt 0x0
	s_wait_xcnt 0x1
	v_cvt_f64_f32_e32 v[36:37], v35
.LBB142_3306:
	s_mov_b32 s23, 0
.LBB142_3307:
	s_delay_alu instid0(SALU_CYCLE_1)
	s_and_not1_b32 vcc_lo, exec_lo, s23
	s_cbranch_vccnz .LBB142_3309
; %bb.3308:
	global_load_u16 v35, v[32:33], off
	s_wait_loadcnt 0x0
	v_cvt_f32_f16_e32 v35, v35
	s_wait_xcnt 0x1
	s_delay_alu instid0(VALU_DEP_1)
	v_cvt_f64_f32_e32 v[36:37], v35
.LBB142_3309:
	s_wait_loadcnt 0x0
	v_mov_b64_e32 v[38:39], 0
.LBB142_3310:
	s_mov_b32 s23, 0
.LBB142_3311:
	s_delay_alu instid0(SALU_CYCLE_1)
	s_and_not1_b32 vcc_lo, exec_lo, s23
	s_cbranch_vccnz .LBB142_3338
; %bb.3312:
	s_cmp_lt_i32 s0, 2
	s_cbranch_scc1 .LBB142_3316
; %bb.3313:
	s_cmp_lt_i32 s0, 3
	s_cbranch_scc1 .LBB142_3317
; %bb.3314:
	s_cmp_gt_i32 s0, 3
	s_cbranch_scc0 .LBB142_3324
; %bb.3315:
	s_wait_loadcnt 0x0
	global_load_b64 v[36:37], v[32:33], off
	s_mov_b32 s23, 0
	s_wait_loadcnt 0x0
	v_cvt_f64_i32_e32 v[38:39], v37
	v_cvt_f64_u32_e32 v[36:37], v36
	s_delay_alu instid0(VALU_DEP_2) | instskip(NEXT) | instid1(VALU_DEP_1)
	v_ldexp_f64 v[38:39], v[38:39], 32
	v_add_f64_e32 v[36:37], v[38:39], v[36:37]
	s_branch .LBB142_3325
.LBB142_3316:
	s_mov_b32 s23, -1
                                        ; implicit-def: $vgpr36_vgpr37
	s_branch .LBB142_3331
.LBB142_3317:
	s_mov_b32 s23, -1
                                        ; implicit-def: $vgpr36_vgpr37
	s_branch .LBB142_3328
.LBB142_3318:
	s_mov_b32 s23, -1
.LBB142_3319:
                                        ; implicit-def: $vgpr36_vgpr37
.LBB142_3320:
	s_and_b32 vcc_lo, exec_lo, s28
	s_mov_b32 s28, 0
	s_cbranch_vccz .LBB142_3322
; %bb.3321:
	s_cmp_lg_u32 s0, 11
	s_mov_b32 s28, -1
	s_cselect_b32 s23, -1, 0
.LBB142_3322:
	v_mov_b64_e32 v[38:39], 0
	s_and_b32 vcc_lo, exec_lo, s23
	s_cbranch_vccz .LBB142_3253
.LBB142_3323:
	s_or_b32 s24, s24, exec_lo
	s_trap 2
	s_cbranch_execz .LBB142_3254
	s_branch .LBB142_3255
.LBB142_3324:
	s_mov_b32 s23, -1
                                        ; implicit-def: $vgpr36_vgpr37
.LBB142_3325:
	s_delay_alu instid0(SALU_CYCLE_1)
	s_and_not1_b32 vcc_lo, exec_lo, s23
	s_cbranch_vccnz .LBB142_3327
; %bb.3326:
	global_load_b32 v35, v[32:33], off
	s_wait_loadcnt 0x0
	s_wait_xcnt 0x1
	v_cvt_f64_i32_e32 v[36:37], v35
.LBB142_3327:
	s_mov_b32 s23, 0
.LBB142_3328:
	s_delay_alu instid0(SALU_CYCLE_1)
	s_and_not1_b32 vcc_lo, exec_lo, s23
	s_cbranch_vccnz .LBB142_3330
; %bb.3329:
	global_load_i16 v35, v[32:33], off
	s_wait_loadcnt 0x0
	s_wait_xcnt 0x1
	v_cvt_f64_i32_e32 v[36:37], v35
.LBB142_3330:
	s_mov_b32 s23, 0
.LBB142_3331:
	s_delay_alu instid0(SALU_CYCLE_1)
	s_and_not1_b32 vcc_lo, exec_lo, s23
	s_cbranch_vccnz .LBB142_3337
; %bb.3332:
	s_cmp_gt_i32 s0, 0
	s_mov_b32 s23, 0
	s_cbranch_scc0 .LBB142_3334
; %bb.3333:
	global_load_i8 v35, v[32:33], off
	s_wait_loadcnt 0x0
	s_wait_xcnt 0x1
	v_cvt_f64_i32_e32 v[36:37], v35
	s_branch .LBB142_3335
.LBB142_3334:
	s_mov_b32 s23, -1
                                        ; implicit-def: $vgpr36_vgpr37
.LBB142_3335:
	s_delay_alu instid0(SALU_CYCLE_1)
	s_and_not1_b32 vcc_lo, exec_lo, s23
	s_cbranch_vccnz .LBB142_3337
; %bb.3336:
	global_load_u8 v32, v[32:33], off
	s_wait_loadcnt 0x0
	v_cvt_f64_u32_e32 v[36:37], v32
.LBB142_3337:
	s_wait_loadcnt 0x0
	v_mov_b64_e32 v[38:39], 0
.LBB142_3338:
	s_mov_b32 s29, -1
.LBB142_3339:
	s_delay_alu instid0(SALU_CYCLE_1)
	s_and_not1_b32 vcc_lo, exec_lo, s29
	s_cbranch_vccnz .LBB142_4181
; %bb.3340:
	s_wait_xcnt 0x0
	v_add_nc_u32_e32 v32, s1, v34
	s_cmp_lt_i32 s25, 11
	s_delay_alu instid0(VALU_DEP_1) | instskip(NEXT) | instid1(VALU_DEP_1)
	v_ashrrev_i32_e32 v33, 31, v32
	v_add_nc_u64_e32 v[42:43], s[6:7], v[32:33]
	s_cbranch_scc1 .LBB142_3347
; %bb.3341:
	s_and_b32 s1, 0xffff, s25
	s_mov_b32 s7, 0
	s_cmp_gt_i32 s1, 25
	s_cbranch_scc0 .LBB142_3348
; %bb.3342:
	s_cmp_gt_i32 s1, 28
	s_cbranch_scc0 .LBB142_3349
; %bb.3343:
	s_cmp_gt_i32 s1, 43
	s_cbranch_scc0 .LBB142_3350
; %bb.3344:
	s_cmp_gt_i32 s1, 45
	s_cbranch_scc0 .LBB142_3355
; %bb.3345:
	s_cmp_eq_u32 s1, 46
	s_mov_b32 s28, 0
	s_cbranch_scc0 .LBB142_3356
; %bb.3346:
	global_load_b32 v32, v[42:43], off
	s_mov_b32 s6, 0
	s_mov_b32 s23, -1
	s_wait_loadcnt 0x0
	v_lshlrev_b32_e32 v33, 16, v32
	v_and_b32_e32 v34, 0xffff0000, v32
	s_delay_alu instid0(VALU_DEP_2) | instskip(NEXT) | instid1(VALU_DEP_2)
	v_cvt_f64_f32_e32 v[32:33], v33
	v_cvt_f64_f32_e32 v[34:35], v34
	s_branch .LBB142_3358
.LBB142_3347:
	s_mov_b32 s1, -1
	s_mov_b32 s23, 0
                                        ; implicit-def: $vgpr34_vgpr35
	s_branch .LBB142_3392
.LBB142_3348:
	s_mov_b32 s28, -1
	s_mov_b32 s23, 0
	s_mov_b32 s6, 0
                                        ; implicit-def: $vgpr34_vgpr35
	s_branch .LBB142_3387
.LBB142_3349:
	s_mov_b32 s28, -1
	s_mov_b32 s23, 0
	s_mov_b32 s6, 0
                                        ; implicit-def: $vgpr34_vgpr35
	s_branch .LBB142_3370
.LBB142_3350:
	s_mov_b32 s28, -1
	s_mov_b32 s23, 0
	s_mov_b32 s6, 0
                                        ; implicit-def: $vgpr34_vgpr35
	s_branch .LBB142_3364
.LBB142_3351:
	s_mov_b32 s28, -1
	s_mov_b32 s30, exec_lo
	v_cmpx_eq_u16_e32 0x80, v35
; %bb.3352:
	s_xor_b32 s28, exec_lo, -1
; %bb.3353:
	s_or_b32 exec_lo, exec_lo, s30
	s_delay_alu instid0(SALU_CYCLE_1)
	s_and_b32 s28, s28, exec_lo
	s_or_saveexec_b32 s29, s29
	v_mov_b64_e32 v[36:37], 0x7ff8000020000000
	s_xor_b32 exec_lo, exec_lo, s29
	s_cbranch_execz .LBB142_3267
.LBB142_3354:
	v_cmp_ne_u16_e32 vcc_lo, 0, v35
	v_mov_b64_e32 v[36:37], 0
	s_and_not1_b32 s28, s28, exec_lo
	s_and_b32 s30, vcc_lo, exec_lo
	s_delay_alu instid0(SALU_CYCLE_1)
	s_or_b32 s28, s28, s30
	s_or_b32 exec_lo, exec_lo, s29
	s_and_saveexec_b32 s29, s28
	s_cbranch_execnz .LBB142_3268
	s_branch .LBB142_3269
.LBB142_3355:
	s_mov_b32 s28, -1
	s_mov_b32 s23, 0
	s_mov_b32 s6, 0
	s_branch .LBB142_3357
.LBB142_3356:
	s_mov_b32 s6, -1
	s_mov_b32 s23, 0
.LBB142_3357:
                                        ; implicit-def: $vgpr34_vgpr35
.LBB142_3358:
	s_and_b32 vcc_lo, exec_lo, s28
	s_cbranch_vccz .LBB142_3363
; %bb.3359:
	s_cmp_eq_u32 s1, 44
	s_cbranch_scc0 .LBB142_3361
; %bb.3360:
	global_load_u8 v34, v[42:43], off
	s_mov_b32 s6, 0
	s_mov_b32 s23, -1
	s_wait_loadcnt 0x0
	v_cmp_ne_u32_e32 vcc_lo, 0xff, v34
	v_lshlrev_b32_e32 v32, 23, v34
	s_delay_alu instid0(VALU_DEP_1) | instskip(NEXT) | instid1(VALU_DEP_1)
	v_cvt_f64_f32_e32 v[32:33], v32
	v_cndmask_b32_e32 v32, 0x20000000, v32, vcc_lo
	s_delay_alu instid0(VALU_DEP_2) | instskip(SKIP_1) | instid1(VALU_DEP_2)
	v_cndmask_b32_e32 v33, 0x7ff80000, v33, vcc_lo
	v_cmp_ne_u32_e32 vcc_lo, 0, v34
	v_cndmask_b32_e32 v33, 0x38000000, v33, vcc_lo
	s_delay_alu instid0(VALU_DEP_4)
	v_cndmask_b32_e32 v32, 0, v32, vcc_lo
	s_branch .LBB142_3362
.LBB142_3361:
	s_mov_b32 s6, -1
                                        ; implicit-def: $vgpr32_vgpr33
.LBB142_3362:
	v_mov_b64_e32 v[34:35], 0
.LBB142_3363:
	s_mov_b32 s28, 0
.LBB142_3364:
	s_delay_alu instid0(SALU_CYCLE_1)
	s_and_b32 vcc_lo, exec_lo, s28
	s_cbranch_vccz .LBB142_3369
; %bb.3365:
	s_cmp_eq_u32 s1, 29
	s_cbranch_scc0 .LBB142_3367
; %bb.3366:
	global_load_b64 v[32:33], v[42:43], off
	s_mov_b32 s6, 0
	s_mov_b32 s23, -1
	s_wait_loadcnt 0x0
	v_cvt_f64_u32_e32 v[34:35], v33
	v_cvt_f64_u32_e32 v[32:33], v32
	s_delay_alu instid0(VALU_DEP_2) | instskip(NEXT) | instid1(VALU_DEP_1)
	v_ldexp_f64 v[34:35], v[34:35], 32
	v_add_f64_e32 v[32:33], v[34:35], v[32:33]
	s_branch .LBB142_3368
.LBB142_3367:
	s_mov_b32 s6, -1
                                        ; implicit-def: $vgpr32_vgpr33
.LBB142_3368:
	v_mov_b64_e32 v[34:35], 0
.LBB142_3369:
	s_mov_b32 s28, 0
.LBB142_3370:
	s_delay_alu instid0(SALU_CYCLE_1)
	s_and_b32 vcc_lo, exec_lo, s28
	s_cbranch_vccz .LBB142_3386
; %bb.3371:
	s_cmp_lt_i32 s1, 27
	s_cbranch_scc1 .LBB142_3374
; %bb.3372:
	s_cmp_gt_i32 s1, 27
	s_cbranch_scc0 .LBB142_3375
; %bb.3373:
	global_load_b32 v32, v[42:43], off
	s_mov_b32 s23, 0
	s_wait_loadcnt 0x0
	v_cvt_f64_u32_e32 v[32:33], v32
	s_branch .LBB142_3376
.LBB142_3374:
	s_mov_b32 s23, -1
                                        ; implicit-def: $vgpr32_vgpr33
	s_branch .LBB142_3379
.LBB142_3375:
	s_mov_b32 s23, -1
                                        ; implicit-def: $vgpr32_vgpr33
.LBB142_3376:
	s_delay_alu instid0(SALU_CYCLE_1)
	s_and_not1_b32 vcc_lo, exec_lo, s23
	s_cbranch_vccnz .LBB142_3378
; %bb.3377:
	global_load_u16 v32, v[42:43], off
	s_wait_loadcnt 0x0
	v_cvt_f64_u32_e32 v[32:33], v32
.LBB142_3378:
	s_mov_b32 s23, 0
.LBB142_3379:
	s_delay_alu instid0(SALU_CYCLE_1)
	s_and_not1_b32 vcc_lo, exec_lo, s23
	s_cbranch_vccnz .LBB142_3385
; %bb.3380:
	global_load_u8 v34, v[42:43], off
	s_mov_b32 s23, 0
	s_mov_b32 s28, exec_lo
	s_wait_loadcnt 0x0
	v_cmpx_lt_i16_e32 0x7f, v34
	s_xor_b32 s28, exec_lo, s28
	s_cbranch_execnz .LBB142_3411
; %bb.3381:
	s_or_saveexec_b32 s28, s28
	v_mov_b64_e32 v[32:33], 0x7ff8000020000000
	s_xor_b32 exec_lo, exec_lo, s28
	s_cbranch_execnz .LBB142_3414
.LBB142_3382:
	s_or_b32 exec_lo, exec_lo, s28
	s_and_saveexec_b32 s28, s23
	s_cbranch_execz .LBB142_3384
.LBB142_3383:
	v_and_b32_e32 v32, 0xffff, v34
	s_delay_alu instid0(VALU_DEP_1) | instskip(SKIP_1) | instid1(VALU_DEP_2)
	v_and_b32_e32 v33, 7, v32
	v_bfe_u32 v45, v32, 3, 4
	v_clz_i32_u32_e32 v35, v33
	s_delay_alu instid0(VALU_DEP_2) | instskip(NEXT) | instid1(VALU_DEP_2)
	v_cmp_eq_u32_e32 vcc_lo, 0, v45
	v_min_u32_e32 v35, 32, v35
	s_delay_alu instid0(VALU_DEP_1) | instskip(NEXT) | instid1(VALU_DEP_1)
	v_subrev_nc_u32_e32 v41, 28, v35
	v_dual_lshlrev_b32 v32, v41, v32 :: v_dual_sub_nc_u32 v35, 29, v35
	s_delay_alu instid0(VALU_DEP_1) | instskip(NEXT) | instid1(VALU_DEP_2)
	v_dual_lshlrev_b32 v34, 24, v34 :: v_dual_bitop2_b32 v32, 7, v32 bitop3:0x40
	v_cndmask_b32_e32 v35, v45, v35, vcc_lo
	s_delay_alu instid0(VALU_DEP_2) | instskip(NEXT) | instid1(VALU_DEP_3)
	v_cndmask_b32_e32 v32, v33, v32, vcc_lo
	v_and_b32_e32 v33, 0x80000000, v34
	s_delay_alu instid0(VALU_DEP_3) | instskip(NEXT) | instid1(VALU_DEP_3)
	v_lshl_add_u32 v34, v35, 23, 0x3b800000
	v_lshlrev_b32_e32 v32, 20, v32
	s_delay_alu instid0(VALU_DEP_1) | instskip(NEXT) | instid1(VALU_DEP_1)
	v_or3_b32 v32, v33, v34, v32
	v_cvt_f64_f32_e32 v[32:33], v32
.LBB142_3384:
	s_or_b32 exec_lo, exec_lo, s28
.LBB142_3385:
	v_mov_b64_e32 v[34:35], 0
	s_mov_b32 s23, -1
.LBB142_3386:
	s_mov_b32 s28, 0
.LBB142_3387:
	s_delay_alu instid0(SALU_CYCLE_1)
	s_and_b32 vcc_lo, exec_lo, s28
	s_cbranch_vccnz .LBB142_3398
; %bb.3388:
	s_and_b32 vcc_lo, exec_lo, s6
	s_cbranch_vccnz .LBB142_3459
.LBB142_3389:
	s_and_not1_b32 vcc_lo, exec_lo, s7
	s_cbranch_vccnz .LBB142_3391
.LBB142_3390:
	global_load_u8 v32, v[42:43], off
	v_mov_b64_e32 v[34:35], 0
	s_mov_b32 s23, -1
	s_wait_loadcnt 0x0
	v_cmp_ne_u16_e32 vcc_lo, 0, v32
	v_mov_b32_e32 v32, 0
	v_cndmask_b32_e64 v33, 0, 0x3ff00000, vcc_lo
.LBB142_3391:
	s_mov_b32 s1, 0
.LBB142_3392:
	s_delay_alu instid0(SALU_CYCLE_1)
	s_and_b32 vcc_lo, exec_lo, s1
	s_cbranch_vccz .LBB142_3475
; %bb.3393:
	s_and_b32 s1, 0xffff, s25
	s_delay_alu instid0(SALU_CYCLE_1)
	s_cmp_lt_i32 s1, 5
	s_cbranch_scc1 .LBB142_3406
; %bb.3394:
	s_cmp_lt_i32 s1, 8
	s_cbranch_scc1 .LBB142_3407
; %bb.3395:
	;; [unrolled: 3-line block ×3, first 2 shown]
	s_cmp_gt_i32 s1, 9
	s_cbranch_scc0 .LBB142_3415
; %bb.3397:
	global_load_b128 v[32:35], v[42:43], off
	s_mov_b32 s6, 0
	s_branch .LBB142_3416
.LBB142_3398:
	s_cmp_gt_i32 s1, 22
	s_cbranch_scc0 .LBB142_3408
; %bb.3399:
	s_cmp_lt_i32 s1, 24
	s_cbranch_scc1 .LBB142_3410
; %bb.3400:
	s_cmp_gt_i32 s1, 24
	s_cbranch_scc0 .LBB142_3427
; %bb.3401:
	global_load_u8 v34, v[42:43], off
	s_mov_b32 s23, exec_lo
	s_wait_loadcnt 0x0
	v_cmpx_lt_i16_e32 0x7f, v34
	s_xor_b32 s23, exec_lo, s23
	s_cbranch_execnz .LBB142_3487
; %bb.3402:
	s_or_saveexec_b32 s23, s23
	v_mov_b64_e32 v[32:33], 0x7ff8000020000000
	s_xor_b32 exec_lo, exec_lo, s23
	s_cbranch_execnz .LBB142_3490
.LBB142_3403:
	s_or_b32 exec_lo, exec_lo, s23
	s_and_saveexec_b32 s23, s7
	s_cbranch_execz .LBB142_3405
.LBB142_3404:
	v_and_b32_e32 v32, 0xffff, v34
	s_delay_alu instid0(VALU_DEP_1) | instskip(SKIP_1) | instid1(VALU_DEP_2)
	v_and_b32_e32 v33, 3, v32
	v_bfe_u32 v45, v32, 2, 5
	v_clz_i32_u32_e32 v35, v33
	s_delay_alu instid0(VALU_DEP_2) | instskip(NEXT) | instid1(VALU_DEP_2)
	v_cmp_eq_u32_e32 vcc_lo, 0, v45
	v_min_u32_e32 v35, 32, v35
	s_delay_alu instid0(VALU_DEP_1) | instskip(NEXT) | instid1(VALU_DEP_1)
	v_subrev_nc_u32_e32 v41, 29, v35
	v_dual_lshlrev_b32 v32, v41, v32 :: v_dual_sub_nc_u32 v35, 30, v35
	s_delay_alu instid0(VALU_DEP_1) | instskip(NEXT) | instid1(VALU_DEP_2)
	v_dual_lshlrev_b32 v34, 24, v34 :: v_dual_bitop2_b32 v32, 3, v32 bitop3:0x40
	v_cndmask_b32_e32 v35, v45, v35, vcc_lo
	s_delay_alu instid0(VALU_DEP_2) | instskip(NEXT) | instid1(VALU_DEP_3)
	v_cndmask_b32_e32 v32, v33, v32, vcc_lo
	v_and_b32_e32 v33, 0x80000000, v34
	s_delay_alu instid0(VALU_DEP_3) | instskip(NEXT) | instid1(VALU_DEP_3)
	v_lshl_add_u32 v34, v35, 23, 0x37800000
	v_lshlrev_b32_e32 v32, 21, v32
	s_delay_alu instid0(VALU_DEP_1) | instskip(NEXT) | instid1(VALU_DEP_1)
	v_or3_b32 v32, v33, v34, v32
	v_cvt_f64_f32_e32 v[32:33], v32
.LBB142_3405:
	s_or_b32 exec_lo, exec_lo, s23
	s_mov_b32 s7, 0
	s_branch .LBB142_3428
.LBB142_3406:
	s_mov_b32 s6, -1
                                        ; implicit-def: $vgpr34_vgpr35
	s_branch .LBB142_3447
.LBB142_3407:
	s_mov_b32 s6, -1
                                        ; implicit-def: $vgpr34_vgpr35
	s_branch .LBB142_3422
.LBB142_3408:
	s_mov_b32 s7, -1
                                        ; implicit-def: $vgpr32_vgpr33
	s_branch .LBB142_3434
.LBB142_3409:
	s_mov_b32 s6, -1
                                        ; implicit-def: $vgpr34_vgpr35
	s_branch .LBB142_3419
.LBB142_3410:
	s_mov_b32 s7, -1
                                        ; implicit-def: $vgpr32_vgpr33
	s_branch .LBB142_3431
.LBB142_3411:
	s_mov_b32 s23, -1
	s_mov_b32 s29, exec_lo
	v_cmpx_eq_u16_e32 0x80, v34
; %bb.3412:
	s_xor_b32 s23, exec_lo, -1
; %bb.3413:
	s_or_b32 exec_lo, exec_lo, s29
	s_delay_alu instid0(SALU_CYCLE_1)
	s_and_b32 s23, s23, exec_lo
	s_or_saveexec_b32 s28, s28
	v_mov_b64_e32 v[32:33], 0x7ff8000020000000
	s_xor_b32 exec_lo, exec_lo, s28
	s_cbranch_execz .LBB142_3382
.LBB142_3414:
	v_cmp_ne_u16_e32 vcc_lo, 0, v34
	v_mov_b64_e32 v[32:33], 0
	s_and_not1_b32 s23, s23, exec_lo
	s_and_b32 s29, vcc_lo, exec_lo
	s_delay_alu instid0(SALU_CYCLE_1)
	s_or_b32 s23, s23, s29
	s_or_b32 exec_lo, exec_lo, s28
	s_and_saveexec_b32 s28, s23
	s_cbranch_execnz .LBB142_3383
	s_branch .LBB142_3384
.LBB142_3415:
	s_mov_b32 s6, -1
                                        ; implicit-def: $vgpr34_vgpr35
.LBB142_3416:
	s_delay_alu instid0(SALU_CYCLE_1)
	s_and_not1_b32 vcc_lo, exec_lo, s6
	s_cbranch_vccnz .LBB142_3418
; %bb.3417:
	s_wait_loadcnt 0x0
	global_load_b64 v[34:35], v[42:43], off
	s_wait_loadcnt 0x0
	v_cvt_f64_f32_e32 v[32:33], v34
	v_cvt_f64_f32_e32 v[34:35], v35
.LBB142_3418:
	s_mov_b32 s6, 0
.LBB142_3419:
	s_delay_alu instid0(SALU_CYCLE_1)
	s_and_not1_b32 vcc_lo, exec_lo, s6
	s_cbranch_vccnz .LBB142_3421
; %bb.3420:
	s_wait_loadcnt 0x0
	global_load_b32 v32, v[42:43], off
	s_wait_loadcnt 0x0
	v_lshrrev_b32_e32 v33, 16, v32
	v_cvt_f32_f16_e32 v32, v32
	s_delay_alu instid0(VALU_DEP_2) | instskip(NEXT) | instid1(VALU_DEP_2)
	v_cvt_f32_f16_e32 v34, v33
	v_cvt_f64_f32_e32 v[32:33], v32
	s_delay_alu instid0(VALU_DEP_2)
	v_cvt_f64_f32_e32 v[34:35], v34
.LBB142_3421:
	s_mov_b32 s6, 0
.LBB142_3422:
	s_delay_alu instid0(SALU_CYCLE_1)
	s_and_not1_b32 vcc_lo, exec_lo, s6
	s_cbranch_vccnz .LBB142_3446
; %bb.3423:
	s_cmp_lt_i32 s1, 6
	s_cbranch_scc1 .LBB142_3426
; %bb.3424:
	s_cmp_gt_i32 s1, 6
	s_cbranch_scc0 .LBB142_3439
; %bb.3425:
	s_wait_loadcnt 0x0
	global_load_b64 v[32:33], v[42:43], off
	s_mov_b32 s6, 0
	s_branch .LBB142_3440
.LBB142_3426:
	s_mov_b32 s6, -1
                                        ; implicit-def: $vgpr32_vgpr33
	s_branch .LBB142_3443
.LBB142_3427:
	s_mov_b32 s7, -1
                                        ; implicit-def: $vgpr32_vgpr33
.LBB142_3428:
	s_delay_alu instid0(SALU_CYCLE_1)
	s_and_b32 vcc_lo, exec_lo, s7
	s_cbranch_vccz .LBB142_3430
; %bb.3429:
	global_load_u8 v32, v[42:43], off
	s_wait_loadcnt 0x0
	v_lshlrev_b32_e32 v32, 24, v32
	s_delay_alu instid0(VALU_DEP_1) | instskip(NEXT) | instid1(VALU_DEP_1)
	v_and_b32_e32 v33, 0x7f000000, v32
	v_clz_i32_u32_e32 v34, v33
	v_add_nc_u32_e32 v41, 0x1000000, v33
	v_cmp_ne_u32_e32 vcc_lo, 0, v33
	s_delay_alu instid0(VALU_DEP_3) | instskip(NEXT) | instid1(VALU_DEP_1)
	v_min_u32_e32 v34, 32, v34
	v_sub_nc_u32_e64 v34, v34, 4 clamp
	s_delay_alu instid0(VALU_DEP_1) | instskip(NEXT) | instid1(VALU_DEP_1)
	v_dual_lshlrev_b32 v35, v34, v33 :: v_dual_lshlrev_b32 v34, 23, v34
	v_lshrrev_b32_e32 v35, 4, v35
	s_delay_alu instid0(VALU_DEP_1) | instskip(NEXT) | instid1(VALU_DEP_1)
	v_dual_sub_nc_u32 v34, v35, v34 :: v_dual_ashrrev_i32 v35, 8, v41
	v_add_nc_u32_e32 v34, 0x3c000000, v34
	s_delay_alu instid0(VALU_DEP_1) | instskip(NEXT) | instid1(VALU_DEP_1)
	v_and_or_b32 v34, 0x7f800000, v35, v34
	v_cndmask_b32_e32 v33, 0, v34, vcc_lo
	s_delay_alu instid0(VALU_DEP_1) | instskip(NEXT) | instid1(VALU_DEP_1)
	v_and_or_b32 v32, 0x80000000, v32, v33
	v_cvt_f64_f32_e32 v[32:33], v32
.LBB142_3430:
	s_mov_b32 s7, 0
.LBB142_3431:
	s_delay_alu instid0(SALU_CYCLE_1)
	s_and_not1_b32 vcc_lo, exec_lo, s7
	s_cbranch_vccnz .LBB142_3433
; %bb.3432:
	global_load_u8 v32, v[42:43], off
	s_wait_loadcnt 0x0
	v_lshlrev_b32_e32 v33, 25, v32
	v_lshlrev_b16 v32, 8, v32
	s_delay_alu instid0(VALU_DEP_1) | instskip(SKIP_1) | instid1(VALU_DEP_2)
	v_and_or_b32 v35, 0x7f00, v32, 0.5
	v_bfe_i32 v32, v32, 0, 16
	v_dual_add_f32 v35, -0.5, v35 :: v_dual_lshrrev_b32 v34, 4, v33
	v_cmp_gt_u32_e32 vcc_lo, 0x8000000, v33
	s_delay_alu instid0(VALU_DEP_2) | instskip(NEXT) | instid1(VALU_DEP_1)
	v_or_b32_e32 v34, 0x70000000, v34
	v_mul_f32_e32 v34, 0x7800000, v34
	s_delay_alu instid0(VALU_DEP_1) | instskip(NEXT) | instid1(VALU_DEP_1)
	v_cndmask_b32_e32 v33, v34, v35, vcc_lo
	v_and_or_b32 v32, 0x80000000, v32, v33
	s_delay_alu instid0(VALU_DEP_1)
	v_cvt_f64_f32_e32 v[32:33], v32
.LBB142_3433:
	s_mov_b32 s7, 0
	s_mov_b32 s23, -1
.LBB142_3434:
	s_and_not1_b32 vcc_lo, exec_lo, s7
	s_mov_b32 s7, 0
	s_cbranch_vccnz .LBB142_3458
; %bb.3435:
	s_cmp_gt_i32 s1, 14
	s_cbranch_scc0 .LBB142_3438
; %bb.3436:
	s_cmp_eq_u32 s1, 15
	s_cbranch_scc0 .LBB142_3454
; %bb.3437:
	global_load_u16 v32, v[42:43], off
	s_mov_b32 s6, 0
	s_mov_b32 s23, -1
	s_wait_loadcnt 0x0
	v_lshlrev_b32_e32 v32, 16, v32
	s_delay_alu instid0(VALU_DEP_1)
	v_cvt_f64_f32_e32 v[32:33], v32
	s_branch .LBB142_3456
.LBB142_3438:
	s_mov_b32 s7, -1
	s_branch .LBB142_3455
.LBB142_3439:
	s_mov_b32 s6, -1
                                        ; implicit-def: $vgpr32_vgpr33
.LBB142_3440:
	s_delay_alu instid0(SALU_CYCLE_1)
	s_and_not1_b32 vcc_lo, exec_lo, s6
	s_cbranch_vccnz .LBB142_3442
; %bb.3441:
	s_wait_loadcnt 0x0
	global_load_b32 v32, v[42:43], off
	s_wait_loadcnt 0x0
	v_cvt_f64_f32_e32 v[32:33], v32
.LBB142_3442:
	s_mov_b32 s6, 0
.LBB142_3443:
	s_delay_alu instid0(SALU_CYCLE_1)
	s_and_not1_b32 vcc_lo, exec_lo, s6
	s_cbranch_vccnz .LBB142_3445
; %bb.3444:
	s_wait_loadcnt 0x0
	global_load_u16 v32, v[42:43], off
	s_wait_loadcnt 0x0
	v_cvt_f32_f16_e32 v32, v32
	s_delay_alu instid0(VALU_DEP_1)
	v_cvt_f64_f32_e32 v[32:33], v32
.LBB142_3445:
	s_wait_loadcnt 0x0
	v_mov_b64_e32 v[34:35], 0
.LBB142_3446:
	s_mov_b32 s6, 0
.LBB142_3447:
	s_delay_alu instid0(SALU_CYCLE_1)
	s_and_not1_b32 vcc_lo, exec_lo, s6
	s_cbranch_vccnz .LBB142_3474
; %bb.3448:
	s_cmp_lt_i32 s1, 2
	s_cbranch_scc1 .LBB142_3452
; %bb.3449:
	s_cmp_lt_i32 s1, 3
	s_cbranch_scc1 .LBB142_3453
; %bb.3450:
	s_cmp_gt_i32 s1, 3
	s_cbranch_scc0 .LBB142_3460
; %bb.3451:
	s_wait_loadcnt 0x0
	global_load_b64 v[32:33], v[42:43], off
	s_mov_b32 s6, 0
	s_wait_loadcnt 0x0
	v_cvt_f64_i32_e32 v[34:35], v33
	v_cvt_f64_u32_e32 v[32:33], v32
	s_delay_alu instid0(VALU_DEP_2) | instskip(NEXT) | instid1(VALU_DEP_1)
	v_ldexp_f64 v[34:35], v[34:35], 32
	v_add_f64_e32 v[32:33], v[34:35], v[32:33]
	s_branch .LBB142_3461
.LBB142_3452:
	s_mov_b32 s6, -1
                                        ; implicit-def: $vgpr32_vgpr33
	s_branch .LBB142_3467
.LBB142_3453:
	s_mov_b32 s6, -1
                                        ; implicit-def: $vgpr32_vgpr33
	s_branch .LBB142_3464
.LBB142_3454:
	s_mov_b32 s6, -1
.LBB142_3455:
                                        ; implicit-def: $vgpr32_vgpr33
.LBB142_3456:
	s_and_b32 vcc_lo, exec_lo, s7
	s_mov_b32 s7, 0
	s_cbranch_vccz .LBB142_3458
; %bb.3457:
	s_cmp_lg_u32 s1, 11
	s_mov_b32 s7, -1
	s_cselect_b32 s6, -1, 0
.LBB142_3458:
	v_mov_b64_e32 v[34:35], 0
	s_and_b32 vcc_lo, exec_lo, s6
	s_cbranch_vccz .LBB142_3389
.LBB142_3459:
	s_or_b32 s24, s24, exec_lo
	s_trap 2
	s_cbranch_execz .LBB142_3390
	s_branch .LBB142_3391
.LBB142_3460:
	s_mov_b32 s6, -1
                                        ; implicit-def: $vgpr32_vgpr33
.LBB142_3461:
	s_delay_alu instid0(SALU_CYCLE_1)
	s_and_not1_b32 vcc_lo, exec_lo, s6
	s_cbranch_vccnz .LBB142_3463
; %bb.3462:
	s_wait_loadcnt 0x0
	global_load_b32 v32, v[42:43], off
	s_wait_loadcnt 0x0
	v_cvt_f64_i32_e32 v[32:33], v32
.LBB142_3463:
	s_mov_b32 s6, 0
.LBB142_3464:
	s_delay_alu instid0(SALU_CYCLE_1)
	s_and_not1_b32 vcc_lo, exec_lo, s6
	s_cbranch_vccnz .LBB142_3466
; %bb.3465:
	s_wait_loadcnt 0x0
	global_load_i16 v32, v[42:43], off
	s_wait_loadcnt 0x0
	v_cvt_f64_i32_e32 v[32:33], v32
.LBB142_3466:
	s_mov_b32 s6, 0
.LBB142_3467:
	s_delay_alu instid0(SALU_CYCLE_1)
	s_and_not1_b32 vcc_lo, exec_lo, s6
	s_cbranch_vccnz .LBB142_3473
; %bb.3468:
	s_cmp_gt_i32 s1, 0
	s_mov_b32 s1, 0
	s_cbranch_scc0 .LBB142_3470
; %bb.3469:
	s_wait_loadcnt 0x0
	global_load_i8 v32, v[42:43], off
	s_wait_loadcnt 0x0
	v_cvt_f64_i32_e32 v[32:33], v32
	s_branch .LBB142_3471
.LBB142_3470:
	s_mov_b32 s1, -1
                                        ; implicit-def: $vgpr32_vgpr33
.LBB142_3471:
	s_delay_alu instid0(SALU_CYCLE_1)
	s_and_not1_b32 vcc_lo, exec_lo, s1
	s_cbranch_vccnz .LBB142_3473
; %bb.3472:
	s_wait_loadcnt 0x0
	global_load_u8 v32, v[42:43], off
	s_wait_loadcnt 0x0
	v_cvt_f64_u32_e32 v[32:33], v32
.LBB142_3473:
	s_wait_loadcnt 0x0
	v_mov_b64_e32 v[34:35], 0
.LBB142_3474:
	s_mov_b32 s23, -1
.LBB142_3475:
	s_delay_alu instid0(SALU_CYCLE_1)
	s_and_not1_b32 vcc_lo, exec_lo, s23
	s_cbranch_vccnz .LBB142_4181
; %bb.3476:
	v_add_nc_u32_e32 v40, s21, v40
	s_cmp_lt_i32 s3, 11
	s_delay_alu instid0(VALU_DEP_1) | instskip(NEXT) | instid1(VALU_DEP_1)
	v_ashrrev_i32_e32 v41, 31, v40
	v_add_nc_u64_e32 v[46:47], s[8:9], v[40:41]
	s_cbranch_scc1 .LBB142_3483
; %bb.3477:
	s_and_b32 s1, 0xffff, s3
	s_mov_b32 s7, 0
	s_cmp_gt_i32 s1, 25
	s_cbranch_scc0 .LBB142_3484
; %bb.3478:
	s_cmp_gt_i32 s1, 28
	s_cbranch_scc0 .LBB142_3485
; %bb.3479:
	s_cmp_gt_i32 s1, 43
	s_cbranch_scc0 .LBB142_3486
; %bb.3480:
	s_cmp_gt_i32 s1, 45
	s_cbranch_scc0 .LBB142_3491
; %bb.3481:
	s_cmp_eq_u32 s1, 46
	s_mov_b32 s9, 0
	s_cbranch_scc0 .LBB142_3492
; %bb.3482:
	global_load_b32 v40, v[46:47], off
	s_mov_b32 s6, 0
	s_mov_b32 s8, -1
	s_wait_loadcnt 0x0
	v_lshlrev_b32_e32 v41, 16, v40
	s_wait_xcnt 0x1
	v_and_b32_e32 v42, 0xffff0000, v40
	s_delay_alu instid0(VALU_DEP_2) | instskip(NEXT) | instid1(VALU_DEP_2)
	v_cvt_f64_f32_e32 v[40:41], v41
	v_cvt_f64_f32_e32 v[42:43], v42
	s_branch .LBB142_3494
.LBB142_3483:
	s_mov_b32 s1, -1
	s_mov_b32 s8, 0
                                        ; implicit-def: $vgpr42_vgpr43
	s_branch .LBB142_3528
.LBB142_3484:
	s_mov_b32 s9, -1
	s_mov_b32 s8, 0
	s_mov_b32 s6, 0
                                        ; implicit-def: $vgpr42_vgpr43
	s_branch .LBB142_3523
.LBB142_3485:
	s_mov_b32 s9, -1
	s_mov_b32 s8, 0
	s_mov_b32 s6, 0
                                        ; implicit-def: $vgpr42_vgpr43
	s_branch .LBB142_3506
.LBB142_3486:
	s_mov_b32 s9, -1
	s_mov_b32 s8, 0
	s_mov_b32 s6, 0
                                        ; implicit-def: $vgpr42_vgpr43
	s_branch .LBB142_3500
.LBB142_3487:
	s_mov_b32 s7, -1
	s_mov_b32 s28, exec_lo
	v_cmpx_eq_u16_e32 0x80, v34
; %bb.3488:
	s_xor_b32 s7, exec_lo, -1
; %bb.3489:
	s_or_b32 exec_lo, exec_lo, s28
	s_delay_alu instid0(SALU_CYCLE_1)
	s_and_b32 s7, s7, exec_lo
	s_or_saveexec_b32 s23, s23
	v_mov_b64_e32 v[32:33], 0x7ff8000020000000
	s_xor_b32 exec_lo, exec_lo, s23
	s_cbranch_execz .LBB142_3403
.LBB142_3490:
	v_cmp_ne_u16_e32 vcc_lo, 0, v34
	v_mov_b64_e32 v[32:33], 0
	s_and_not1_b32 s7, s7, exec_lo
	s_and_b32 s28, vcc_lo, exec_lo
	s_delay_alu instid0(SALU_CYCLE_1)
	s_or_b32 s7, s7, s28
	s_or_b32 exec_lo, exec_lo, s23
	s_and_saveexec_b32 s23, s7
	s_cbranch_execnz .LBB142_3404
	s_branch .LBB142_3405
.LBB142_3491:
	s_mov_b32 s9, -1
	s_mov_b32 s8, 0
	s_mov_b32 s6, 0
	s_branch .LBB142_3493
.LBB142_3492:
	s_mov_b32 s6, -1
	s_mov_b32 s8, 0
.LBB142_3493:
                                        ; implicit-def: $vgpr42_vgpr43
.LBB142_3494:
	s_and_b32 vcc_lo, exec_lo, s9
	s_cbranch_vccz .LBB142_3499
; %bb.3495:
	s_cmp_eq_u32 s1, 44
	s_cbranch_scc0 .LBB142_3497
; %bb.3496:
	global_load_u8 v42, v[46:47], off
	s_mov_b32 s6, 0
	s_mov_b32 s8, -1
	s_wait_loadcnt 0x0
	v_cmp_ne_u32_e32 vcc_lo, 0xff, v42
	v_lshlrev_b32_e32 v40, 23, v42
	s_delay_alu instid0(VALU_DEP_1) | instskip(NEXT) | instid1(VALU_DEP_1)
	v_cvt_f64_f32_e32 v[40:41], v40
	v_cndmask_b32_e32 v40, 0x20000000, v40, vcc_lo
	s_delay_alu instid0(VALU_DEP_2) | instskip(SKIP_1) | instid1(VALU_DEP_2)
	v_cndmask_b32_e32 v41, 0x7ff80000, v41, vcc_lo
	v_cmp_ne_u32_e32 vcc_lo, 0, v42
	v_cndmask_b32_e32 v41, 0x38000000, v41, vcc_lo
	s_delay_alu instid0(VALU_DEP_4)
	v_cndmask_b32_e32 v40, 0, v40, vcc_lo
	s_branch .LBB142_3498
.LBB142_3497:
	s_mov_b32 s6, -1
                                        ; implicit-def: $vgpr40_vgpr41
.LBB142_3498:
	s_wait_xcnt 0x0
	v_mov_b64_e32 v[42:43], 0
.LBB142_3499:
	s_mov_b32 s9, 0
.LBB142_3500:
	s_delay_alu instid0(SALU_CYCLE_1)
	s_and_b32 vcc_lo, exec_lo, s9
	s_cbranch_vccz .LBB142_3505
; %bb.3501:
	s_cmp_eq_u32 s1, 29
	s_cbranch_scc0 .LBB142_3503
; %bb.3502:
	global_load_b64 v[40:41], v[46:47], off
	s_mov_b32 s6, 0
	s_mov_b32 s8, -1
	s_wait_loadcnt 0x0
	s_wait_xcnt 0x1
	v_cvt_f64_u32_e32 v[42:43], v41
	v_cvt_f64_u32_e32 v[40:41], v40
	s_delay_alu instid0(VALU_DEP_2) | instskip(NEXT) | instid1(VALU_DEP_1)
	v_ldexp_f64 v[42:43], v[42:43], 32
	v_add_f64_e32 v[40:41], v[42:43], v[40:41]
	s_branch .LBB142_3504
.LBB142_3503:
	s_mov_b32 s6, -1
                                        ; implicit-def: $vgpr40_vgpr41
.LBB142_3504:
	s_wait_xcnt 0x0
	v_mov_b64_e32 v[42:43], 0
.LBB142_3505:
	s_mov_b32 s9, 0
.LBB142_3506:
	s_delay_alu instid0(SALU_CYCLE_1)
	s_and_b32 vcc_lo, exec_lo, s9
	s_cbranch_vccz .LBB142_3522
; %bb.3507:
	s_cmp_lt_i32 s1, 27
	s_cbranch_scc1 .LBB142_3510
; %bb.3508:
	s_cmp_gt_i32 s1, 27
	s_cbranch_scc0 .LBB142_3511
; %bb.3509:
	global_load_b32 v40, v[46:47], off
	s_mov_b32 s8, 0
	s_wait_loadcnt 0x0
	v_cvt_f64_u32_e32 v[40:41], v40
	s_branch .LBB142_3512
.LBB142_3510:
	s_mov_b32 s8, -1
                                        ; implicit-def: $vgpr40_vgpr41
	s_branch .LBB142_3515
.LBB142_3511:
	s_mov_b32 s8, -1
                                        ; implicit-def: $vgpr40_vgpr41
.LBB142_3512:
	s_delay_alu instid0(SALU_CYCLE_1)
	s_and_not1_b32 vcc_lo, exec_lo, s8
	s_cbranch_vccnz .LBB142_3514
; %bb.3513:
	global_load_u16 v40, v[46:47], off
	s_wait_loadcnt 0x0
	v_cvt_f64_u32_e32 v[40:41], v40
.LBB142_3514:
	s_mov_b32 s8, 0
.LBB142_3515:
	s_delay_alu instid0(SALU_CYCLE_1)
	s_and_not1_b32 vcc_lo, exec_lo, s8
	s_cbranch_vccnz .LBB142_3521
; %bb.3516:
	global_load_u8 v42, v[46:47], off
	s_mov_b32 s8, 0
	s_mov_b32 s9, exec_lo
	s_wait_loadcnt 0x0
	v_cmpx_lt_i16_e32 0x7f, v42
	s_xor_b32 s9, exec_lo, s9
	s_cbranch_execnz .LBB142_3547
; %bb.3517:
	s_or_saveexec_b32 s9, s9
	v_mov_b64_e32 v[40:41], 0x7ff8000020000000
	s_xor_b32 exec_lo, exec_lo, s9
	s_cbranch_execnz .LBB142_3550
.LBB142_3518:
	s_or_b32 exec_lo, exec_lo, s9
	s_and_saveexec_b32 s9, s8
	s_cbranch_execz .LBB142_3520
.LBB142_3519:
	v_and_b32_e32 v40, 0xffff, v42
	s_delay_alu instid0(VALU_DEP_1) | instskip(SKIP_1) | instid1(VALU_DEP_2)
	v_and_b32_e32 v41, 7, v40
	v_bfe_u32 v48, v40, 3, 4
	v_clz_i32_u32_e32 v43, v41
	s_delay_alu instid0(VALU_DEP_2) | instskip(NEXT) | instid1(VALU_DEP_2)
	v_cmp_eq_u32_e32 vcc_lo, 0, v48
	v_min_u32_e32 v43, 32, v43
	s_delay_alu instid0(VALU_DEP_1) | instskip(NEXT) | instid1(VALU_DEP_1)
	v_subrev_nc_u32_e32 v45, 28, v43
	v_dual_lshlrev_b32 v40, v45, v40 :: v_dual_sub_nc_u32 v43, 29, v43
	s_delay_alu instid0(VALU_DEP_1) | instskip(NEXT) | instid1(VALU_DEP_1)
	v_dual_lshlrev_b32 v42, 24, v42 :: v_dual_bitop2_b32 v40, 7, v40 bitop3:0x40
	v_dual_cndmask_b32 v43, v48, v43 :: v_dual_cndmask_b32 v40, v41, v40
	s_delay_alu instid0(VALU_DEP_2) | instskip(NEXT) | instid1(VALU_DEP_2)
	v_and_b32_e32 v41, 0x80000000, v42
	v_lshl_add_u32 v42, v43, 23, 0x3b800000
	s_delay_alu instid0(VALU_DEP_3) | instskip(NEXT) | instid1(VALU_DEP_1)
	v_lshlrev_b32_e32 v40, 20, v40
	v_or3_b32 v40, v41, v42, v40
	s_delay_alu instid0(VALU_DEP_1)
	v_cvt_f64_f32_e32 v[40:41], v40
.LBB142_3520:
	s_or_b32 exec_lo, exec_lo, s9
.LBB142_3521:
	s_wait_xcnt 0x0
	v_mov_b64_e32 v[42:43], 0
	s_mov_b32 s8, -1
.LBB142_3522:
	s_mov_b32 s9, 0
.LBB142_3523:
	s_delay_alu instid0(SALU_CYCLE_1)
	s_and_b32 vcc_lo, exec_lo, s9
	s_cbranch_vccnz .LBB142_3534
; %bb.3524:
	s_and_b32 vcc_lo, exec_lo, s6
	s_cbranch_vccnz .LBB142_3595
.LBB142_3525:
	s_and_not1_b32 vcc_lo, exec_lo, s7
	s_cbranch_vccnz .LBB142_3527
.LBB142_3526:
	global_load_u8 v40, v[46:47], off
	s_wait_xcnt 0x1
	v_mov_b64_e32 v[42:43], 0
	s_mov_b32 s8, -1
	s_wait_loadcnt 0x0
	v_cmp_ne_u16_e32 vcc_lo, 0, v40
	v_mov_b32_e32 v40, 0
	v_cndmask_b32_e64 v41, 0, 0x3ff00000, vcc_lo
.LBB142_3527:
	s_mov_b32 s1, 0
.LBB142_3528:
	s_delay_alu instid0(SALU_CYCLE_1)
	s_and_b32 vcc_lo, exec_lo, s1
	s_cbranch_vccz .LBB142_3611
; %bb.3529:
	s_and_b32 s1, 0xffff, s3
	s_delay_alu instid0(SALU_CYCLE_1)
	s_cmp_lt_i32 s1, 5
	s_cbranch_scc1 .LBB142_3542
; %bb.3530:
	s_cmp_lt_i32 s1, 8
	s_cbranch_scc1 .LBB142_3543
; %bb.3531:
	;; [unrolled: 3-line block ×3, first 2 shown]
	s_cmp_gt_i32 s1, 9
	s_cbranch_scc0 .LBB142_3551
; %bb.3533:
	global_load_b128 v[40:43], v[46:47], off
	s_mov_b32 s3, 0
	s_branch .LBB142_3552
.LBB142_3534:
	s_cmp_gt_i32 s1, 22
	s_cbranch_scc0 .LBB142_3544
; %bb.3535:
	s_cmp_lt_i32 s1, 24
	s_cbranch_scc1 .LBB142_3546
; %bb.3536:
	s_cmp_gt_i32 s1, 24
	s_cbranch_scc0 .LBB142_3563
; %bb.3537:
	global_load_u8 v42, v[46:47], off
	s_mov_b32 s8, exec_lo
	s_wait_loadcnt 0x0
	v_cmpx_lt_i16_e32 0x7f, v42
	s_xor_b32 s8, exec_lo, s8
	s_cbranch_execnz .LBB142_3623
; %bb.3538:
	s_or_saveexec_b32 s8, s8
	v_mov_b64_e32 v[40:41], 0x7ff8000020000000
	s_xor_b32 exec_lo, exec_lo, s8
	s_cbranch_execnz .LBB142_3626
.LBB142_3539:
	s_or_b32 exec_lo, exec_lo, s8
	s_and_saveexec_b32 s8, s7
	s_cbranch_execz .LBB142_3541
.LBB142_3540:
	v_and_b32_e32 v40, 0xffff, v42
	s_delay_alu instid0(VALU_DEP_1) | instskip(SKIP_1) | instid1(VALU_DEP_2)
	v_and_b32_e32 v41, 3, v40
	v_bfe_u32 v48, v40, 2, 5
	v_clz_i32_u32_e32 v43, v41
	s_delay_alu instid0(VALU_DEP_2) | instskip(NEXT) | instid1(VALU_DEP_2)
	v_cmp_eq_u32_e32 vcc_lo, 0, v48
	v_min_u32_e32 v43, 32, v43
	s_delay_alu instid0(VALU_DEP_1) | instskip(NEXT) | instid1(VALU_DEP_1)
	v_subrev_nc_u32_e32 v45, 29, v43
	v_dual_lshlrev_b32 v40, v45, v40 :: v_dual_sub_nc_u32 v43, 30, v43
	s_delay_alu instid0(VALU_DEP_1) | instskip(NEXT) | instid1(VALU_DEP_1)
	v_dual_lshlrev_b32 v42, 24, v42 :: v_dual_bitop2_b32 v40, 3, v40 bitop3:0x40
	v_dual_cndmask_b32 v43, v48, v43 :: v_dual_cndmask_b32 v40, v41, v40
	s_delay_alu instid0(VALU_DEP_2) | instskip(NEXT) | instid1(VALU_DEP_2)
	v_and_b32_e32 v41, 0x80000000, v42
	v_lshl_add_u32 v42, v43, 23, 0x37800000
	s_delay_alu instid0(VALU_DEP_3) | instskip(NEXT) | instid1(VALU_DEP_1)
	v_lshlrev_b32_e32 v40, 21, v40
	v_or3_b32 v40, v41, v42, v40
	s_delay_alu instid0(VALU_DEP_1)
	v_cvt_f64_f32_e32 v[40:41], v40
.LBB142_3541:
	s_or_b32 exec_lo, exec_lo, s8
	s_mov_b32 s7, 0
	s_branch .LBB142_3564
.LBB142_3542:
	s_mov_b32 s3, -1
                                        ; implicit-def: $vgpr42_vgpr43
	s_branch .LBB142_3583
.LBB142_3543:
	s_mov_b32 s3, -1
                                        ; implicit-def: $vgpr42_vgpr43
	s_branch .LBB142_3558
.LBB142_3544:
	s_mov_b32 s7, -1
                                        ; implicit-def: $vgpr40_vgpr41
	s_branch .LBB142_3570
.LBB142_3545:
	s_mov_b32 s3, -1
                                        ; implicit-def: $vgpr42_vgpr43
	s_branch .LBB142_3555
.LBB142_3546:
	s_mov_b32 s7, -1
                                        ; implicit-def: $vgpr40_vgpr41
	s_branch .LBB142_3567
.LBB142_3547:
	s_mov_b32 s8, -1
	s_mov_b32 s21, exec_lo
	v_cmpx_eq_u16_e32 0x80, v42
; %bb.3548:
	s_xor_b32 s8, exec_lo, -1
; %bb.3549:
	s_or_b32 exec_lo, exec_lo, s21
	s_delay_alu instid0(SALU_CYCLE_1)
	s_and_b32 s8, s8, exec_lo
	s_or_saveexec_b32 s9, s9
	v_mov_b64_e32 v[40:41], 0x7ff8000020000000
	s_xor_b32 exec_lo, exec_lo, s9
	s_cbranch_execz .LBB142_3518
.LBB142_3550:
	v_cmp_ne_u16_e32 vcc_lo, 0, v42
	v_mov_b64_e32 v[40:41], 0
	s_and_not1_b32 s8, s8, exec_lo
	s_and_b32 s21, vcc_lo, exec_lo
	s_delay_alu instid0(SALU_CYCLE_1)
	s_or_b32 s8, s8, s21
	s_or_b32 exec_lo, exec_lo, s9
	s_and_saveexec_b32 s9, s8
	s_cbranch_execnz .LBB142_3519
	s_branch .LBB142_3520
.LBB142_3551:
	s_mov_b32 s3, -1
                                        ; implicit-def: $vgpr42_vgpr43
.LBB142_3552:
	s_delay_alu instid0(SALU_CYCLE_1)
	s_and_not1_b32 vcc_lo, exec_lo, s3
	s_cbranch_vccnz .LBB142_3554
; %bb.3553:
	s_wait_loadcnt 0x0
	global_load_b64 v[42:43], v[46:47], off
	s_wait_loadcnt 0x0
	v_cvt_f64_f32_e32 v[40:41], v42
	v_cvt_f64_f32_e32 v[42:43], v43
.LBB142_3554:
	s_mov_b32 s3, 0
.LBB142_3555:
	s_delay_alu instid0(SALU_CYCLE_1)
	s_and_not1_b32 vcc_lo, exec_lo, s3
	s_cbranch_vccnz .LBB142_3557
; %bb.3556:
	s_wait_loadcnt 0x0
	global_load_b32 v40, v[46:47], off
	s_wait_loadcnt 0x0
	v_lshrrev_b32_e32 v41, 16, v40
	v_cvt_f32_f16_e32 v40, v40
	s_wait_xcnt 0x1
	s_delay_alu instid0(VALU_DEP_2) | instskip(NEXT) | instid1(VALU_DEP_2)
	v_cvt_f32_f16_e32 v42, v41
	v_cvt_f64_f32_e32 v[40:41], v40
	s_delay_alu instid0(VALU_DEP_2)
	v_cvt_f64_f32_e32 v[42:43], v42
.LBB142_3557:
	s_mov_b32 s3, 0
.LBB142_3558:
	s_delay_alu instid0(SALU_CYCLE_1)
	s_and_not1_b32 vcc_lo, exec_lo, s3
	s_cbranch_vccnz .LBB142_3582
; %bb.3559:
	s_cmp_lt_i32 s1, 6
	s_cbranch_scc1 .LBB142_3562
; %bb.3560:
	s_cmp_gt_i32 s1, 6
	s_cbranch_scc0 .LBB142_3575
; %bb.3561:
	s_wait_loadcnt 0x0
	global_load_b64 v[40:41], v[46:47], off
	s_mov_b32 s3, 0
	s_branch .LBB142_3576
.LBB142_3562:
	s_mov_b32 s3, -1
                                        ; implicit-def: $vgpr40_vgpr41
	s_branch .LBB142_3579
.LBB142_3563:
	s_mov_b32 s7, -1
                                        ; implicit-def: $vgpr40_vgpr41
.LBB142_3564:
	s_delay_alu instid0(SALU_CYCLE_1)
	s_and_b32 vcc_lo, exec_lo, s7
	s_cbranch_vccz .LBB142_3566
; %bb.3565:
	global_load_u8 v40, v[46:47], off
	s_wait_loadcnt 0x0
	v_lshlrev_b32_e32 v40, 24, v40
	s_delay_alu instid0(VALU_DEP_1) | instskip(SKIP_1) | instid1(VALU_DEP_1)
	v_and_b32_e32 v41, 0x7f000000, v40
	s_wait_xcnt 0x1
	v_clz_i32_u32_e32 v42, v41
	v_add_nc_u32_e32 v45, 0x1000000, v41
	v_cmp_ne_u32_e32 vcc_lo, 0, v41
	s_delay_alu instid0(VALU_DEP_3) | instskip(NEXT) | instid1(VALU_DEP_1)
	v_min_u32_e32 v42, 32, v42
	v_sub_nc_u32_e64 v42, v42, 4 clamp
	s_delay_alu instid0(VALU_DEP_1) | instskip(NEXT) | instid1(VALU_DEP_1)
	v_dual_lshlrev_b32 v43, v42, v41 :: v_dual_lshlrev_b32 v42, 23, v42
	v_lshrrev_b32_e32 v43, 4, v43
	s_delay_alu instid0(VALU_DEP_1) | instskip(NEXT) | instid1(VALU_DEP_1)
	v_dual_sub_nc_u32 v42, v43, v42 :: v_dual_ashrrev_i32 v43, 8, v45
	v_add_nc_u32_e32 v42, 0x3c000000, v42
	s_delay_alu instid0(VALU_DEP_1) | instskip(NEXT) | instid1(VALU_DEP_1)
	v_and_or_b32 v42, 0x7f800000, v43, v42
	v_cndmask_b32_e32 v41, 0, v42, vcc_lo
	s_delay_alu instid0(VALU_DEP_1) | instskip(NEXT) | instid1(VALU_DEP_1)
	v_and_or_b32 v40, 0x80000000, v40, v41
	v_cvt_f64_f32_e32 v[40:41], v40
.LBB142_3566:
	s_mov_b32 s7, 0
.LBB142_3567:
	s_delay_alu instid0(SALU_CYCLE_1)
	s_and_not1_b32 vcc_lo, exec_lo, s7
	s_cbranch_vccnz .LBB142_3569
; %bb.3568:
	global_load_u8 v40, v[46:47], off
	s_wait_loadcnt 0x0
	v_lshlrev_b32_e32 v41, 25, v40
	v_lshlrev_b16 v40, 8, v40
	s_wait_xcnt 0x1
	s_delay_alu instid0(VALU_DEP_1) | instskip(SKIP_1) | instid1(VALU_DEP_2)
	v_and_or_b32 v43, 0x7f00, v40, 0.5
	v_bfe_i32 v40, v40, 0, 16
	v_dual_add_f32 v43, -0.5, v43 :: v_dual_lshrrev_b32 v42, 4, v41
	v_cmp_gt_u32_e32 vcc_lo, 0x8000000, v41
	s_delay_alu instid0(VALU_DEP_2) | instskip(NEXT) | instid1(VALU_DEP_1)
	v_or_b32_e32 v42, 0x70000000, v42
	v_mul_f32_e32 v42, 0x7800000, v42
	s_delay_alu instid0(VALU_DEP_1) | instskip(NEXT) | instid1(VALU_DEP_1)
	v_cndmask_b32_e32 v41, v42, v43, vcc_lo
	v_and_or_b32 v40, 0x80000000, v40, v41
	s_delay_alu instid0(VALU_DEP_1)
	v_cvt_f64_f32_e32 v[40:41], v40
.LBB142_3569:
	s_mov_b32 s7, 0
	s_mov_b32 s8, -1
.LBB142_3570:
	s_and_not1_b32 vcc_lo, exec_lo, s7
	s_mov_b32 s7, 0
	s_cbranch_vccnz .LBB142_3594
; %bb.3571:
	s_cmp_gt_i32 s1, 14
	s_cbranch_scc0 .LBB142_3574
; %bb.3572:
	s_cmp_eq_u32 s1, 15
	s_cbranch_scc0 .LBB142_3590
; %bb.3573:
	global_load_u16 v40, v[46:47], off
	s_mov_b32 s6, 0
	s_mov_b32 s8, -1
	s_wait_loadcnt 0x0
	v_lshlrev_b32_e32 v40, 16, v40
	s_delay_alu instid0(VALU_DEP_1)
	v_cvt_f64_f32_e32 v[40:41], v40
	s_branch .LBB142_3592
.LBB142_3574:
	s_mov_b32 s7, -1
	s_branch .LBB142_3591
.LBB142_3575:
	s_mov_b32 s3, -1
                                        ; implicit-def: $vgpr40_vgpr41
.LBB142_3576:
	s_delay_alu instid0(SALU_CYCLE_1)
	s_and_not1_b32 vcc_lo, exec_lo, s3
	s_cbranch_vccnz .LBB142_3578
; %bb.3577:
	s_wait_loadcnt 0x0
	global_load_b32 v40, v[46:47], off
	s_wait_loadcnt 0x0
	v_cvt_f64_f32_e32 v[40:41], v40
.LBB142_3578:
	s_mov_b32 s3, 0
.LBB142_3579:
	s_delay_alu instid0(SALU_CYCLE_1)
	s_and_not1_b32 vcc_lo, exec_lo, s3
	s_cbranch_vccnz .LBB142_3581
; %bb.3580:
	s_wait_loadcnt 0x0
	global_load_u16 v40, v[46:47], off
	s_wait_loadcnt 0x0
	v_cvt_f32_f16_e32 v40, v40
	s_delay_alu instid0(VALU_DEP_1)
	v_cvt_f64_f32_e32 v[40:41], v40
.LBB142_3581:
	s_wait_loadcnt 0x0
	v_mov_b64_e32 v[42:43], 0
.LBB142_3582:
	s_mov_b32 s3, 0
.LBB142_3583:
	s_delay_alu instid0(SALU_CYCLE_1)
	s_and_not1_b32 vcc_lo, exec_lo, s3
	s_cbranch_vccnz .LBB142_3610
; %bb.3584:
	s_cmp_lt_i32 s1, 2
	s_cbranch_scc1 .LBB142_3588
; %bb.3585:
	s_cmp_lt_i32 s1, 3
	s_cbranch_scc1 .LBB142_3589
; %bb.3586:
	s_cmp_gt_i32 s1, 3
	s_cbranch_scc0 .LBB142_3596
; %bb.3587:
	s_wait_loadcnt 0x0
	global_load_b64 v[40:41], v[46:47], off
	s_mov_b32 s3, 0
	s_wait_loadcnt 0x0
	s_wait_xcnt 0x1
	v_cvt_f64_i32_e32 v[42:43], v41
	v_cvt_f64_u32_e32 v[40:41], v40
	s_delay_alu instid0(VALU_DEP_2) | instskip(NEXT) | instid1(VALU_DEP_1)
	v_ldexp_f64 v[42:43], v[42:43], 32
	v_add_f64_e32 v[40:41], v[42:43], v[40:41]
	s_branch .LBB142_3597
.LBB142_3588:
	s_mov_b32 s3, -1
                                        ; implicit-def: $vgpr40_vgpr41
	s_branch .LBB142_3603
.LBB142_3589:
	s_mov_b32 s3, -1
                                        ; implicit-def: $vgpr40_vgpr41
	s_branch .LBB142_3600
.LBB142_3590:
	s_mov_b32 s6, -1
.LBB142_3591:
                                        ; implicit-def: $vgpr40_vgpr41
.LBB142_3592:
	s_and_b32 vcc_lo, exec_lo, s7
	s_mov_b32 s7, 0
	s_cbranch_vccz .LBB142_3594
; %bb.3593:
	s_cmp_lg_u32 s1, 11
	s_mov_b32 s7, -1
	s_cselect_b32 s6, -1, 0
.LBB142_3594:
	s_wait_xcnt 0x0
	v_mov_b64_e32 v[42:43], 0
	s_and_b32 vcc_lo, exec_lo, s6
	s_cbranch_vccz .LBB142_3525
.LBB142_3595:
	s_or_b32 s24, s24, exec_lo
	s_trap 2
	s_cbranch_execz .LBB142_3526
	s_branch .LBB142_3527
.LBB142_3596:
	s_mov_b32 s3, -1
                                        ; implicit-def: $vgpr40_vgpr41
.LBB142_3597:
	s_delay_alu instid0(SALU_CYCLE_1)
	s_and_not1_b32 vcc_lo, exec_lo, s3
	s_cbranch_vccnz .LBB142_3599
; %bb.3598:
	s_wait_loadcnt 0x0
	global_load_b32 v40, v[46:47], off
	s_wait_loadcnt 0x0
	v_cvt_f64_i32_e32 v[40:41], v40
.LBB142_3599:
	s_mov_b32 s3, 0
.LBB142_3600:
	s_delay_alu instid0(SALU_CYCLE_1)
	s_and_not1_b32 vcc_lo, exec_lo, s3
	s_cbranch_vccnz .LBB142_3602
; %bb.3601:
	s_wait_loadcnt 0x0
	global_load_i16 v40, v[46:47], off
	s_wait_loadcnt 0x0
	v_cvt_f64_i32_e32 v[40:41], v40
.LBB142_3602:
	s_mov_b32 s3, 0
.LBB142_3603:
	s_delay_alu instid0(SALU_CYCLE_1)
	s_and_not1_b32 vcc_lo, exec_lo, s3
	s_cbranch_vccnz .LBB142_3609
; %bb.3604:
	s_cmp_gt_i32 s1, 0
	s_mov_b32 s1, 0
	s_cbranch_scc0 .LBB142_3606
; %bb.3605:
	s_wait_loadcnt 0x0
	global_load_i8 v40, v[46:47], off
	s_wait_loadcnt 0x0
	v_cvt_f64_i32_e32 v[40:41], v40
	s_branch .LBB142_3607
.LBB142_3606:
	s_mov_b32 s1, -1
                                        ; implicit-def: $vgpr40_vgpr41
.LBB142_3607:
	s_delay_alu instid0(SALU_CYCLE_1)
	s_and_not1_b32 vcc_lo, exec_lo, s1
	s_cbranch_vccnz .LBB142_3609
; %bb.3608:
	s_wait_loadcnt 0x0
	global_load_u8 v40, v[46:47], off
	s_wait_loadcnt 0x0
	v_cvt_f64_u32_e32 v[40:41], v40
.LBB142_3609:
	s_wait_loadcnt 0x0
	v_mov_b64_e32 v[42:43], 0
.LBB142_3610:
	s_mov_b32 s8, -1
.LBB142_3611:
	s_delay_alu instid0(SALU_CYCLE_1)
	s_and_not1_b32 vcc_lo, exec_lo, s8
	s_cbranch_vccnz .LBB142_4181
; %bb.3612:
	v_add_nc_u32_e32 v44, s22, v44
	s_cmp_lt_i32 s0, 11
	s_delay_alu instid0(VALU_DEP_1) | instskip(NEXT) | instid1(VALU_DEP_1)
	v_ashrrev_i32_e32 v45, 31, v44
	v_add_nc_u64_e32 v[48:49], s[10:11], v[44:45]
	s_cbranch_scc1 .LBB142_3619
; %bb.3613:
	s_cmp_gt_i32 s0, 25
	s_mov_b32 s3, 0
	s_cbranch_scc0 .LBB142_3620
; %bb.3614:
	s_cmp_gt_i32 s0, 28
	s_cbranch_scc0 .LBB142_3621
; %bb.3615:
	s_cmp_gt_i32 s0, 43
	;; [unrolled: 3-line block ×3, first 2 shown]
	s_cbranch_scc0 .LBB142_3627
; %bb.3617:
	s_cmp_eq_u32 s0, 46
	s_mov_b32 s7, 0
	s_cbranch_scc0 .LBB142_3628
; %bb.3618:
	global_load_b32 v44, v[48:49], off
	s_mov_b32 s1, 0
	s_mov_b32 s6, -1
	s_wait_loadcnt 0x0
	v_lshlrev_b32_e32 v45, 16, v44
	s_wait_xcnt 0x1
	v_and_b32_e32 v46, 0xffff0000, v44
	s_delay_alu instid0(VALU_DEP_2) | instskip(NEXT) | instid1(VALU_DEP_2)
	v_cvt_f64_f32_e32 v[44:45], v45
	v_cvt_f64_f32_e32 v[46:47], v46
	s_branch .LBB142_3630
.LBB142_3619:
	s_mov_b32 s1, -1
	s_mov_b32 s6, 0
                                        ; implicit-def: $vgpr46_vgpr47
	s_branch .LBB142_3664
.LBB142_3620:
	s_mov_b32 s7, -1
	s_mov_b32 s6, 0
	s_mov_b32 s1, 0
                                        ; implicit-def: $vgpr46_vgpr47
	s_branch .LBB142_3659
.LBB142_3621:
	s_mov_b32 s7, -1
	s_mov_b32 s6, 0
	s_mov_b32 s1, 0
                                        ; implicit-def: $vgpr46_vgpr47
	s_branch .LBB142_3642
.LBB142_3622:
	s_mov_b32 s7, -1
	s_mov_b32 s6, 0
	s_mov_b32 s1, 0
                                        ; implicit-def: $vgpr46_vgpr47
	s_branch .LBB142_3636
.LBB142_3623:
	s_mov_b32 s7, -1
	s_mov_b32 s9, exec_lo
	v_cmpx_eq_u16_e32 0x80, v42
; %bb.3624:
	s_xor_b32 s7, exec_lo, -1
; %bb.3625:
	s_or_b32 exec_lo, exec_lo, s9
	s_delay_alu instid0(SALU_CYCLE_1)
	s_and_b32 s7, s7, exec_lo
	s_or_saveexec_b32 s8, s8
	v_mov_b64_e32 v[40:41], 0x7ff8000020000000
	s_xor_b32 exec_lo, exec_lo, s8
	s_cbranch_execz .LBB142_3539
.LBB142_3626:
	v_cmp_ne_u16_e32 vcc_lo, 0, v42
	v_mov_b64_e32 v[40:41], 0
	s_and_not1_b32 s7, s7, exec_lo
	s_and_b32 s9, vcc_lo, exec_lo
	s_delay_alu instid0(SALU_CYCLE_1)
	s_or_b32 s7, s7, s9
	s_or_b32 exec_lo, exec_lo, s8
	s_and_saveexec_b32 s8, s7
	s_cbranch_execnz .LBB142_3540
	s_branch .LBB142_3541
.LBB142_3627:
	s_mov_b32 s7, -1
	s_mov_b32 s6, 0
	s_mov_b32 s1, 0
	s_branch .LBB142_3629
.LBB142_3628:
	s_mov_b32 s1, -1
	s_mov_b32 s6, 0
.LBB142_3629:
                                        ; implicit-def: $vgpr46_vgpr47
.LBB142_3630:
	s_and_b32 vcc_lo, exec_lo, s7
	s_cbranch_vccz .LBB142_3635
; %bb.3631:
	s_cmp_eq_u32 s0, 44
	s_cbranch_scc0 .LBB142_3633
; %bb.3632:
	global_load_u8 v46, v[48:49], off
	s_mov_b32 s1, 0
	s_mov_b32 s6, -1
	s_wait_loadcnt 0x0
	v_cmp_ne_u32_e32 vcc_lo, 0xff, v46
	v_lshlrev_b32_e32 v44, 23, v46
	s_delay_alu instid0(VALU_DEP_1) | instskip(NEXT) | instid1(VALU_DEP_1)
	v_cvt_f64_f32_e32 v[44:45], v44
	v_cndmask_b32_e32 v44, 0x20000000, v44, vcc_lo
	s_delay_alu instid0(VALU_DEP_2) | instskip(SKIP_1) | instid1(VALU_DEP_2)
	v_cndmask_b32_e32 v45, 0x7ff80000, v45, vcc_lo
	v_cmp_ne_u32_e32 vcc_lo, 0, v46
	v_cndmask_b32_e32 v45, 0x38000000, v45, vcc_lo
	s_delay_alu instid0(VALU_DEP_4)
	v_cndmask_b32_e32 v44, 0, v44, vcc_lo
	s_branch .LBB142_3634
.LBB142_3633:
	s_mov_b32 s1, -1
                                        ; implicit-def: $vgpr44_vgpr45
.LBB142_3634:
	s_wait_xcnt 0x0
	v_mov_b64_e32 v[46:47], 0
.LBB142_3635:
	s_mov_b32 s7, 0
.LBB142_3636:
	s_delay_alu instid0(SALU_CYCLE_1)
	s_and_b32 vcc_lo, exec_lo, s7
	s_cbranch_vccz .LBB142_3641
; %bb.3637:
	s_cmp_eq_u32 s0, 29
	s_cbranch_scc0 .LBB142_3639
; %bb.3638:
	global_load_b64 v[44:45], v[48:49], off
	s_mov_b32 s1, 0
	s_mov_b32 s6, -1
	s_wait_loadcnt 0x0
	s_wait_xcnt 0x1
	v_cvt_f64_u32_e32 v[46:47], v45
	v_cvt_f64_u32_e32 v[44:45], v44
	s_delay_alu instid0(VALU_DEP_2) | instskip(NEXT) | instid1(VALU_DEP_1)
	v_ldexp_f64 v[46:47], v[46:47], 32
	v_add_f64_e32 v[44:45], v[46:47], v[44:45]
	s_branch .LBB142_3640
.LBB142_3639:
	s_mov_b32 s1, -1
                                        ; implicit-def: $vgpr44_vgpr45
.LBB142_3640:
	s_wait_xcnt 0x0
	v_mov_b64_e32 v[46:47], 0
.LBB142_3641:
	s_mov_b32 s7, 0
.LBB142_3642:
	s_delay_alu instid0(SALU_CYCLE_1)
	s_and_b32 vcc_lo, exec_lo, s7
	s_cbranch_vccz .LBB142_3658
; %bb.3643:
	s_cmp_lt_i32 s0, 27
	s_cbranch_scc1 .LBB142_3646
; %bb.3644:
	s_cmp_gt_i32 s0, 27
	s_cbranch_scc0 .LBB142_3647
; %bb.3645:
	global_load_b32 v44, v[48:49], off
	s_mov_b32 s6, 0
	s_wait_loadcnt 0x0
	v_cvt_f64_u32_e32 v[44:45], v44
	s_branch .LBB142_3648
.LBB142_3646:
	s_mov_b32 s6, -1
                                        ; implicit-def: $vgpr44_vgpr45
	s_branch .LBB142_3651
.LBB142_3647:
	s_mov_b32 s6, -1
                                        ; implicit-def: $vgpr44_vgpr45
.LBB142_3648:
	s_delay_alu instid0(SALU_CYCLE_1)
	s_and_not1_b32 vcc_lo, exec_lo, s6
	s_cbranch_vccnz .LBB142_3650
; %bb.3649:
	global_load_u16 v44, v[48:49], off
	s_wait_loadcnt 0x0
	v_cvt_f64_u32_e32 v[44:45], v44
.LBB142_3650:
	s_mov_b32 s6, 0
.LBB142_3651:
	s_delay_alu instid0(SALU_CYCLE_1)
	s_and_not1_b32 vcc_lo, exec_lo, s6
	s_cbranch_vccnz .LBB142_3657
; %bb.3652:
	global_load_u8 v46, v[48:49], off
	s_mov_b32 s6, 0
	s_mov_b32 s7, exec_lo
	s_wait_loadcnt 0x0
	v_cmpx_lt_i16_e32 0x7f, v46
	s_xor_b32 s7, exec_lo, s7
	s_cbranch_execnz .LBB142_3683
; %bb.3653:
	s_or_saveexec_b32 s7, s7
	v_mov_b64_e32 v[44:45], 0x7ff8000020000000
	s_xor_b32 exec_lo, exec_lo, s7
	s_cbranch_execnz .LBB142_3686
.LBB142_3654:
	s_or_b32 exec_lo, exec_lo, s7
	s_and_saveexec_b32 s7, s6
	s_cbranch_execz .LBB142_3656
.LBB142_3655:
	v_and_b32_e32 v44, 0xffff, v46
	s_delay_alu instid0(VALU_DEP_1) | instskip(SKIP_1) | instid1(VALU_DEP_2)
	v_and_b32_e32 v45, 7, v44
	v_bfe_u32 v52, v44, 3, 4
	v_clz_i32_u32_e32 v47, v45
	s_delay_alu instid0(VALU_DEP_2) | instskip(NEXT) | instid1(VALU_DEP_2)
	v_cmp_eq_u32_e32 vcc_lo, 0, v52
	v_min_u32_e32 v47, 32, v47
	s_delay_alu instid0(VALU_DEP_1) | instskip(NEXT) | instid1(VALU_DEP_1)
	v_subrev_nc_u32_e32 v51, 28, v47
	v_dual_lshlrev_b32 v44, v51, v44 :: v_dual_sub_nc_u32 v47, 29, v47
	s_delay_alu instid0(VALU_DEP_1) | instskip(NEXT) | instid1(VALU_DEP_1)
	v_dual_lshlrev_b32 v46, 24, v46 :: v_dual_bitop2_b32 v44, 7, v44 bitop3:0x40
	v_dual_cndmask_b32 v47, v52, v47 :: v_dual_cndmask_b32 v44, v45, v44
	s_delay_alu instid0(VALU_DEP_2) | instskip(NEXT) | instid1(VALU_DEP_2)
	v_and_b32_e32 v45, 0x80000000, v46
	v_lshl_add_u32 v46, v47, 23, 0x3b800000
	s_delay_alu instid0(VALU_DEP_3) | instskip(NEXT) | instid1(VALU_DEP_1)
	v_lshlrev_b32_e32 v44, 20, v44
	v_or3_b32 v44, v45, v46, v44
	s_delay_alu instid0(VALU_DEP_1)
	v_cvt_f64_f32_e32 v[44:45], v44
.LBB142_3656:
	s_or_b32 exec_lo, exec_lo, s7
.LBB142_3657:
	s_wait_xcnt 0x0
	v_mov_b64_e32 v[46:47], 0
	s_mov_b32 s6, -1
.LBB142_3658:
	s_mov_b32 s7, 0
.LBB142_3659:
	s_delay_alu instid0(SALU_CYCLE_1)
	s_and_b32 vcc_lo, exec_lo, s7
	s_cbranch_vccnz .LBB142_3670
; %bb.3660:
	s_and_b32 vcc_lo, exec_lo, s1
	s_cbranch_vccnz .LBB142_3731
.LBB142_3661:
	s_and_not1_b32 vcc_lo, exec_lo, s3
	s_cbranch_vccnz .LBB142_3663
.LBB142_3662:
	global_load_u8 v44, v[48:49], off
	s_wait_xcnt 0x1
	v_mov_b64_e32 v[46:47], 0
	s_mov_b32 s6, -1
	s_wait_loadcnt 0x0
	v_cmp_ne_u16_e32 vcc_lo, 0, v44
	v_mov_b32_e32 v44, 0
	v_cndmask_b32_e64 v45, 0, 0x3ff00000, vcc_lo
.LBB142_3663:
	s_mov_b32 s1, 0
.LBB142_3664:
	s_delay_alu instid0(SALU_CYCLE_1)
	s_and_b32 vcc_lo, exec_lo, s1
	s_cbranch_vccz .LBB142_3747
; %bb.3665:
	s_cmp_lt_i32 s0, 5
	s_cbranch_scc1 .LBB142_3678
; %bb.3666:
	s_cmp_lt_i32 s0, 8
	s_cbranch_scc1 .LBB142_3679
	;; [unrolled: 3-line block ×3, first 2 shown]
; %bb.3668:
	s_cmp_gt_i32 s0, 9
	s_cbranch_scc0 .LBB142_3687
; %bb.3669:
	global_load_b128 v[44:47], v[48:49], off
	s_mov_b32 s1, 0
	s_branch .LBB142_3688
.LBB142_3670:
	s_cmp_gt_i32 s0, 22
	s_cbranch_scc0 .LBB142_3680
; %bb.3671:
	s_cmp_lt_i32 s0, 24
	s_cbranch_scc1 .LBB142_3682
; %bb.3672:
	s_cmp_gt_i32 s0, 24
	s_cbranch_scc0 .LBB142_3699
; %bb.3673:
	global_load_u8 v46, v[48:49], off
	s_mov_b32 s6, exec_lo
	s_wait_loadcnt 0x0
	v_cmpx_lt_i16_e32 0x7f, v46
	s_xor_b32 s6, exec_lo, s6
	s_cbranch_execnz .LBB142_4227
; %bb.3674:
	s_or_saveexec_b32 s6, s6
	v_mov_b64_e32 v[44:45], 0x7ff8000020000000
	s_xor_b32 exec_lo, exec_lo, s6
	s_cbranch_execnz .LBB142_4230
.LBB142_3675:
	s_or_b32 exec_lo, exec_lo, s6
	s_and_saveexec_b32 s6, s3
	s_cbranch_execz .LBB142_3677
.LBB142_3676:
	v_and_b32_e32 v44, 0xffff, v46
	s_delay_alu instid0(VALU_DEP_1) | instskip(SKIP_1) | instid1(VALU_DEP_2)
	v_and_b32_e32 v45, 3, v44
	v_bfe_u32 v52, v44, 2, 5
	v_clz_i32_u32_e32 v47, v45
	s_delay_alu instid0(VALU_DEP_2) | instskip(NEXT) | instid1(VALU_DEP_2)
	v_cmp_eq_u32_e32 vcc_lo, 0, v52
	v_min_u32_e32 v47, 32, v47
	s_delay_alu instid0(VALU_DEP_1) | instskip(NEXT) | instid1(VALU_DEP_1)
	v_subrev_nc_u32_e32 v51, 29, v47
	v_dual_lshlrev_b32 v44, v51, v44 :: v_dual_sub_nc_u32 v47, 30, v47
	s_delay_alu instid0(VALU_DEP_1) | instskip(NEXT) | instid1(VALU_DEP_1)
	v_dual_lshlrev_b32 v46, 24, v46 :: v_dual_bitop2_b32 v44, 3, v44 bitop3:0x40
	v_dual_cndmask_b32 v47, v52, v47 :: v_dual_cndmask_b32 v44, v45, v44
	s_delay_alu instid0(VALU_DEP_2) | instskip(NEXT) | instid1(VALU_DEP_2)
	v_and_b32_e32 v45, 0x80000000, v46
	v_lshl_add_u32 v46, v47, 23, 0x37800000
	s_delay_alu instid0(VALU_DEP_3) | instskip(NEXT) | instid1(VALU_DEP_1)
	v_lshlrev_b32_e32 v44, 21, v44
	v_or3_b32 v44, v45, v46, v44
	s_delay_alu instid0(VALU_DEP_1)
	v_cvt_f64_f32_e32 v[44:45], v44
.LBB142_3677:
	s_or_b32 exec_lo, exec_lo, s6
	s_mov_b32 s3, 0
	s_branch .LBB142_3700
.LBB142_3678:
	s_mov_b32 s1, -1
                                        ; implicit-def: $vgpr46_vgpr47
	s_branch .LBB142_3719
.LBB142_3679:
	s_mov_b32 s1, -1
                                        ; implicit-def: $vgpr46_vgpr47
	s_branch .LBB142_3694
.LBB142_3680:
	s_mov_b32 s3, -1
                                        ; implicit-def: $vgpr44_vgpr45
	s_branch .LBB142_3706
.LBB142_3681:
	s_mov_b32 s1, -1
                                        ; implicit-def: $vgpr46_vgpr47
	s_branch .LBB142_3691
.LBB142_3682:
	s_mov_b32 s3, -1
                                        ; implicit-def: $vgpr44_vgpr45
	s_branch .LBB142_3703
.LBB142_3683:
	s_mov_b32 s6, -1
	s_mov_b32 s8, exec_lo
	v_cmpx_eq_u16_e32 0x80, v46
; %bb.3684:
	s_xor_b32 s6, exec_lo, -1
; %bb.3685:
	s_or_b32 exec_lo, exec_lo, s8
	s_delay_alu instid0(SALU_CYCLE_1)
	s_and_b32 s6, s6, exec_lo
	s_or_saveexec_b32 s7, s7
	v_mov_b64_e32 v[44:45], 0x7ff8000020000000
	s_xor_b32 exec_lo, exec_lo, s7
	s_cbranch_execz .LBB142_3654
.LBB142_3686:
	v_cmp_ne_u16_e32 vcc_lo, 0, v46
	v_mov_b64_e32 v[44:45], 0
	s_and_not1_b32 s6, s6, exec_lo
	s_and_b32 s8, vcc_lo, exec_lo
	s_delay_alu instid0(SALU_CYCLE_1)
	s_or_b32 s6, s6, s8
	s_or_b32 exec_lo, exec_lo, s7
	s_and_saveexec_b32 s7, s6
	s_cbranch_execnz .LBB142_3655
	s_branch .LBB142_3656
.LBB142_3687:
	s_mov_b32 s1, -1
                                        ; implicit-def: $vgpr46_vgpr47
.LBB142_3688:
	s_delay_alu instid0(SALU_CYCLE_1)
	s_and_not1_b32 vcc_lo, exec_lo, s1
	s_cbranch_vccnz .LBB142_3690
; %bb.3689:
	s_wait_loadcnt 0x0
	global_load_b64 v[46:47], v[48:49], off
	s_wait_loadcnt 0x0
	v_cvt_f64_f32_e32 v[44:45], v46
	v_cvt_f64_f32_e32 v[46:47], v47
.LBB142_3690:
	s_mov_b32 s1, 0
.LBB142_3691:
	s_delay_alu instid0(SALU_CYCLE_1)
	s_and_not1_b32 vcc_lo, exec_lo, s1
	s_cbranch_vccnz .LBB142_3693
; %bb.3692:
	s_wait_loadcnt 0x0
	global_load_b32 v44, v[48:49], off
	s_wait_loadcnt 0x0
	v_lshrrev_b32_e32 v45, 16, v44
	v_cvt_f32_f16_e32 v44, v44
	s_wait_xcnt 0x1
	s_delay_alu instid0(VALU_DEP_2) | instskip(NEXT) | instid1(VALU_DEP_2)
	v_cvt_f32_f16_e32 v46, v45
	v_cvt_f64_f32_e32 v[44:45], v44
	s_delay_alu instid0(VALU_DEP_2)
	v_cvt_f64_f32_e32 v[46:47], v46
.LBB142_3693:
	s_mov_b32 s1, 0
.LBB142_3694:
	s_delay_alu instid0(SALU_CYCLE_1)
	s_and_not1_b32 vcc_lo, exec_lo, s1
	s_cbranch_vccnz .LBB142_3718
; %bb.3695:
	s_cmp_lt_i32 s0, 6
	s_cbranch_scc1 .LBB142_3698
; %bb.3696:
	s_cmp_gt_i32 s0, 6
	s_cbranch_scc0 .LBB142_3711
; %bb.3697:
	s_wait_loadcnt 0x0
	global_load_b64 v[44:45], v[48:49], off
	s_mov_b32 s1, 0
	s_branch .LBB142_3712
.LBB142_3698:
	s_mov_b32 s1, -1
                                        ; implicit-def: $vgpr44_vgpr45
	s_branch .LBB142_3715
.LBB142_3699:
	s_mov_b32 s3, -1
                                        ; implicit-def: $vgpr44_vgpr45
.LBB142_3700:
	s_delay_alu instid0(SALU_CYCLE_1)
	s_and_b32 vcc_lo, exec_lo, s3
	s_cbranch_vccz .LBB142_3702
; %bb.3701:
	global_load_u8 v44, v[48:49], off
	s_wait_loadcnt 0x0
	v_lshlrev_b32_e32 v44, 24, v44
	s_delay_alu instid0(VALU_DEP_1) | instskip(SKIP_1) | instid1(VALU_DEP_1)
	v_and_b32_e32 v45, 0x7f000000, v44
	s_wait_xcnt 0x1
	v_clz_i32_u32_e32 v46, v45
	v_add_nc_u32_e32 v51, 0x1000000, v45
	v_cmp_ne_u32_e32 vcc_lo, 0, v45
	s_delay_alu instid0(VALU_DEP_3) | instskip(NEXT) | instid1(VALU_DEP_1)
	v_min_u32_e32 v46, 32, v46
	v_sub_nc_u32_e64 v46, v46, 4 clamp
	s_delay_alu instid0(VALU_DEP_1) | instskip(NEXT) | instid1(VALU_DEP_1)
	v_dual_lshlrev_b32 v47, v46, v45 :: v_dual_lshlrev_b32 v46, 23, v46
	v_lshrrev_b32_e32 v47, 4, v47
	s_delay_alu instid0(VALU_DEP_1) | instskip(NEXT) | instid1(VALU_DEP_1)
	v_dual_sub_nc_u32 v46, v47, v46 :: v_dual_ashrrev_i32 v47, 8, v51
	v_add_nc_u32_e32 v46, 0x3c000000, v46
	s_delay_alu instid0(VALU_DEP_1) | instskip(NEXT) | instid1(VALU_DEP_1)
	v_and_or_b32 v46, 0x7f800000, v47, v46
	v_cndmask_b32_e32 v45, 0, v46, vcc_lo
	s_delay_alu instid0(VALU_DEP_1) | instskip(NEXT) | instid1(VALU_DEP_1)
	v_and_or_b32 v44, 0x80000000, v44, v45
	v_cvt_f64_f32_e32 v[44:45], v44
.LBB142_3702:
	s_mov_b32 s3, 0
.LBB142_3703:
	s_delay_alu instid0(SALU_CYCLE_1)
	s_and_not1_b32 vcc_lo, exec_lo, s3
	s_cbranch_vccnz .LBB142_3705
; %bb.3704:
	global_load_u8 v44, v[48:49], off
	s_wait_loadcnt 0x0
	v_lshlrev_b32_e32 v45, 25, v44
	v_lshlrev_b16 v44, 8, v44
	s_wait_xcnt 0x1
	s_delay_alu instid0(VALU_DEP_1) | instskip(SKIP_1) | instid1(VALU_DEP_2)
	v_and_or_b32 v47, 0x7f00, v44, 0.5
	v_bfe_i32 v44, v44, 0, 16
	v_dual_add_f32 v47, -0.5, v47 :: v_dual_lshrrev_b32 v46, 4, v45
	v_cmp_gt_u32_e32 vcc_lo, 0x8000000, v45
	s_delay_alu instid0(VALU_DEP_2) | instskip(NEXT) | instid1(VALU_DEP_1)
	v_or_b32_e32 v46, 0x70000000, v46
	v_mul_f32_e32 v46, 0x7800000, v46
	s_delay_alu instid0(VALU_DEP_1) | instskip(NEXT) | instid1(VALU_DEP_1)
	v_cndmask_b32_e32 v45, v46, v47, vcc_lo
	v_and_or_b32 v44, 0x80000000, v44, v45
	s_delay_alu instid0(VALU_DEP_1)
	v_cvt_f64_f32_e32 v[44:45], v44
.LBB142_3705:
	s_mov_b32 s3, 0
	s_mov_b32 s6, -1
.LBB142_3706:
	s_and_not1_b32 vcc_lo, exec_lo, s3
	s_mov_b32 s3, 0
	s_cbranch_vccnz .LBB142_3730
; %bb.3707:
	s_cmp_gt_i32 s0, 14
	s_cbranch_scc0 .LBB142_3710
; %bb.3708:
	s_cmp_eq_u32 s0, 15
	s_cbranch_scc0 .LBB142_3726
; %bb.3709:
	global_load_u16 v44, v[48:49], off
	s_mov_b32 s1, 0
	s_mov_b32 s6, -1
	s_wait_loadcnt 0x0
	v_lshlrev_b32_e32 v44, 16, v44
	s_delay_alu instid0(VALU_DEP_1)
	v_cvt_f64_f32_e32 v[44:45], v44
	s_branch .LBB142_3728
.LBB142_3710:
	s_mov_b32 s3, -1
	s_branch .LBB142_3727
.LBB142_3711:
	s_mov_b32 s1, -1
                                        ; implicit-def: $vgpr44_vgpr45
.LBB142_3712:
	s_delay_alu instid0(SALU_CYCLE_1)
	s_and_not1_b32 vcc_lo, exec_lo, s1
	s_cbranch_vccnz .LBB142_3714
; %bb.3713:
	s_wait_loadcnt 0x0
	global_load_b32 v44, v[48:49], off
	s_wait_loadcnt 0x0
	v_cvt_f64_f32_e32 v[44:45], v44
.LBB142_3714:
	s_mov_b32 s1, 0
.LBB142_3715:
	s_delay_alu instid0(SALU_CYCLE_1)
	s_and_not1_b32 vcc_lo, exec_lo, s1
	s_cbranch_vccnz .LBB142_3717
; %bb.3716:
	s_wait_loadcnt 0x0
	global_load_u16 v44, v[48:49], off
	s_wait_loadcnt 0x0
	v_cvt_f32_f16_e32 v44, v44
	s_delay_alu instid0(VALU_DEP_1)
	v_cvt_f64_f32_e32 v[44:45], v44
.LBB142_3717:
	s_wait_loadcnt 0x0
	v_mov_b64_e32 v[46:47], 0
.LBB142_3718:
	s_mov_b32 s1, 0
.LBB142_3719:
	s_delay_alu instid0(SALU_CYCLE_1)
	s_and_not1_b32 vcc_lo, exec_lo, s1
	s_cbranch_vccnz .LBB142_3746
; %bb.3720:
	s_cmp_lt_i32 s0, 2
	s_cbranch_scc1 .LBB142_3724
; %bb.3721:
	s_cmp_lt_i32 s0, 3
	s_cbranch_scc1 .LBB142_3725
; %bb.3722:
	s_cmp_gt_i32 s0, 3
	s_cbranch_scc0 .LBB142_3732
; %bb.3723:
	s_wait_loadcnt 0x0
	global_load_b64 v[44:45], v[48:49], off
	s_mov_b32 s1, 0
	s_wait_loadcnt 0x0
	s_wait_xcnt 0x1
	v_cvt_f64_i32_e32 v[46:47], v45
	v_cvt_f64_u32_e32 v[44:45], v44
	s_delay_alu instid0(VALU_DEP_2) | instskip(NEXT) | instid1(VALU_DEP_1)
	v_ldexp_f64 v[46:47], v[46:47], 32
	v_add_f64_e32 v[44:45], v[46:47], v[44:45]
	s_branch .LBB142_3733
.LBB142_3724:
	s_mov_b32 s1, -1
                                        ; implicit-def: $vgpr44_vgpr45
	s_branch .LBB142_3739
.LBB142_3725:
	s_mov_b32 s1, -1
                                        ; implicit-def: $vgpr44_vgpr45
	s_branch .LBB142_3736
.LBB142_3726:
	s_mov_b32 s1, -1
.LBB142_3727:
                                        ; implicit-def: $vgpr44_vgpr45
.LBB142_3728:
	s_and_b32 vcc_lo, exec_lo, s3
	s_mov_b32 s3, 0
	s_cbranch_vccz .LBB142_3730
; %bb.3729:
	s_cmp_lg_u32 s0, 11
	s_mov_b32 s3, -1
	s_cselect_b32 s1, -1, 0
.LBB142_3730:
	s_wait_xcnt 0x0
	v_mov_b64_e32 v[46:47], 0
	s_and_b32 vcc_lo, exec_lo, s1
	s_cbranch_vccz .LBB142_3661
.LBB142_3731:
	s_or_b32 s24, s24, exec_lo
	s_trap 2
	s_cbranch_execz .LBB142_3662
	s_branch .LBB142_3663
.LBB142_3732:
	s_mov_b32 s1, -1
                                        ; implicit-def: $vgpr44_vgpr45
.LBB142_3733:
	s_delay_alu instid0(SALU_CYCLE_1)
	s_and_not1_b32 vcc_lo, exec_lo, s1
	s_cbranch_vccnz .LBB142_3735
; %bb.3734:
	s_wait_loadcnt 0x0
	global_load_b32 v44, v[48:49], off
	s_wait_loadcnt 0x0
	v_cvt_f64_i32_e32 v[44:45], v44
.LBB142_3735:
	s_mov_b32 s1, 0
.LBB142_3736:
	s_delay_alu instid0(SALU_CYCLE_1)
	s_and_not1_b32 vcc_lo, exec_lo, s1
	s_cbranch_vccnz .LBB142_3738
; %bb.3737:
	s_wait_loadcnt 0x0
	global_load_i16 v44, v[48:49], off
	s_wait_loadcnt 0x0
	v_cvt_f64_i32_e32 v[44:45], v44
.LBB142_3738:
	s_mov_b32 s1, 0
.LBB142_3739:
	s_delay_alu instid0(SALU_CYCLE_1)
	s_and_not1_b32 vcc_lo, exec_lo, s1
	s_cbranch_vccnz .LBB142_3745
; %bb.3740:
	s_cmp_gt_i32 s0, 0
	s_mov_b32 s0, 0
	s_cbranch_scc0 .LBB142_3742
; %bb.3741:
	s_wait_loadcnt 0x0
	global_load_i8 v44, v[48:49], off
	s_wait_loadcnt 0x0
	v_cvt_f64_i32_e32 v[44:45], v44
	s_branch .LBB142_3743
.LBB142_3742:
	s_mov_b32 s0, -1
                                        ; implicit-def: $vgpr44_vgpr45
.LBB142_3743:
	s_delay_alu instid0(SALU_CYCLE_1)
	s_and_not1_b32 vcc_lo, exec_lo, s0
	s_cbranch_vccnz .LBB142_3745
; %bb.3744:
	s_wait_loadcnt 0x0
	global_load_u8 v44, v[48:49], off
	s_wait_loadcnt 0x0
	v_cvt_f64_u32_e32 v[44:45], v44
.LBB142_3745:
	s_wait_loadcnt 0x0
	v_mov_b64_e32 v[46:47], 0
.LBB142_3746:
	s_mov_b32 s6, -1
.LBB142_3747:
	s_delay_alu instid0(SALU_CYCLE_1)
	s_and_not1_b32 vcc_lo, exec_lo, s6
	s_cbranch_vccnz .LBB142_4181
; %bb.3748:
	s_wait_loadcnt 0x0
	v_mul_f64_e32 v[48:49], s[16:17], v[6:7]
	v_mul_f64_e32 v[6:7], s[18:19], v[6:7]
	s_and_b32 s28, s2, 0xff
	s_delay_alu instid0(SALU_CYCLE_1) | instskip(NEXT) | instid1(VALU_DEP_2)
	s_cmp_lt_i32 s28, 11
	v_fmac_f64_e32 v[48:49], s[18:19], v[4:5]
	s_delay_alu instid0(VALU_DEP_2) | instskip(SKIP_2) | instid1(VALU_DEP_4)
	v_fma_f64 v[4:5], s[16:17], v[4:5], -v[6:7]
	v_mul_f64_e32 v[6:7], s[14:15], v[2:3]
	v_mul_f64_e32 v[2:3], s[12:13], v[2:3]
	;; [unrolled: 1-line block ×3, first 2 shown]
	s_delay_alu instid0(VALU_DEP_4) | instskip(NEXT) | instid1(VALU_DEP_4)
	v_mul_f64_e32 v[14:15], v[4:5], v[14:15]
	v_fma_f64 v[6:7], s[12:13], v[0:1], -v[6:7]
	s_delay_alu instid0(VALU_DEP_4) | instskip(NEXT) | instid1(VALU_DEP_4)
	v_fmac_f64_e32 v[2:3], s[14:15], v[0:1]
	v_fma_f64 v[0:1], v[4:5], v[12:13], -v[52:53]
	s_delay_alu instid0(VALU_DEP_4) | instskip(SKIP_1) | instid1(VALU_DEP_1)
	v_fmac_f64_e32 v[14:15], v[48:49], v[12:13]
	v_mul_lo_u32 v4, s20, v50
	v_ashrrev_i32_e32 v5, 31, v4
	s_delay_alu instid0(VALU_DEP_4) | instskip(NEXT) | instid1(VALU_DEP_4)
	v_add_f64_e32 v[0:1], v[6:7], v[0:1]
	v_add_f64_e32 v[2:3], v[2:3], v[14:15]
	s_delay_alu instid0(VALU_DEP_3)
	v_add_nc_u64_e32 v[6:7], s[4:5], v[4:5]
	s_cbranch_scc1 .LBB142_3826
; %bb.3749:
	s_and_b32 s1, 0xffff, s28
	s_mov_b32 s6, -1
	s_mov_b32 s2, 0
	s_cmp_gt_i32 s1, 25
	s_mov_b32 s3, 0
	s_mov_b32 s0, 0
	s_cbranch_scc0 .LBB142_3782
; %bb.3750:
	s_cmp_gt_i32 s1, 28
	s_cbranch_scc0 .LBB142_3765
; %bb.3751:
	s_cmp_gt_i32 s1, 43
	;; [unrolled: 3-line block ×3, first 2 shown]
	s_cbranch_scc0 .LBB142_3755
; %bb.3753:
	s_mov_b32 s0, -1
	s_mov_b32 s6, 0
	s_cmp_eq_u32 s1, 46
	s_cbranch_scc0 .LBB142_3755
; %bb.3754:
	s_delay_alu instid0(VALU_DEP_2) | instskip(NEXT) | instid1(VALU_DEP_4)
	v_cvt_f32_f64_e32 v5, v[2:3]
	v_cvt_f32_f64_e32 v12, v[0:1]
	s_mov_b32 s0, 0
	s_mov_b32 s3, -1
	s_delay_alu instid0(VALU_DEP_2) | instskip(NEXT) | instid1(VALU_DEP_2)
	v_bfe_u32 v13, v5, 16, 1
	v_bfe_u32 v14, v12, 16, 1
	v_cmp_o_f32_e32 vcc_lo, v5, v5
	s_delay_alu instid0(VALU_DEP_3) | instskip(NEXT) | instid1(VALU_DEP_3)
	v_add3_u32 v13, v5, v13, 0x7fff
	v_add3_u32 v14, v12, v14, 0x7fff
	s_delay_alu instid0(VALU_DEP_2) | instskip(NEXT) | instid1(VALU_DEP_1)
	v_and_b32_e32 v13, 0xffff0000, v13
	v_dual_cndmask_b32 v5, 0x7fc00000, v13 :: v_dual_lshrrev_b32 v14, 16, v14
	v_cmp_o_f32_e32 vcc_lo, v12, v12
	s_delay_alu instid0(VALU_DEP_2) | instskip(NEXT) | instid1(VALU_DEP_1)
	v_cndmask_b32_e32 v12, 0x7fc0, v14, vcc_lo
	v_or_b32_e32 v5, v5, v12
	global_store_b32 v[6:7], v5, off
.LBB142_3755:
	s_and_b32 vcc_lo, exec_lo, s6
	s_cbranch_vccz .LBB142_3760
; %bb.3756:
	s_cmp_eq_u32 s1, 44
	s_mov_b32 s0, -1
	s_cbranch_scc0 .LBB142_3760
; %bb.3757:
	s_wait_xcnt 0x0
	s_delay_alu instid0(VALU_DEP_3) | instskip(SKIP_2) | instid1(VALU_DEP_2)
	v_cvt_f32_f64_e32 v5, v[0:1]
	v_mov_b32_e32 v12, 0xff
	s_mov_b32 s3, exec_lo
	v_bfe_u32 v13, v5, 23, 8
	s_delay_alu instid0(VALU_DEP_1)
	v_cmpx_ne_u32_e32 0xff, v13
	s_cbranch_execz .LBB142_3759
; %bb.3758:
	v_and_b32_e32 v12, 0x400000, v5
	v_and_or_b32 v13, 0x3fffff, v5, v13
	v_lshrrev_b32_e32 v5, 23, v5
	s_delay_alu instid0(VALU_DEP_3) | instskip(NEXT) | instid1(VALU_DEP_3)
	v_cmp_ne_u32_e32 vcc_lo, 0, v12
	v_cmp_ne_u32_e64 s0, 0, v13
	s_and_b32 s0, vcc_lo, s0
	s_delay_alu instid0(SALU_CYCLE_1) | instskip(NEXT) | instid1(VALU_DEP_1)
	v_cndmask_b32_e64 v12, 0, 1, s0
	v_add_nc_u32_e32 v12, v5, v12
.LBB142_3759:
	s_or_b32 exec_lo, exec_lo, s3
	s_mov_b32 s0, 0
	s_mov_b32 s3, -1
	global_store_b8 v[6:7], v12, off
.LBB142_3760:
	s_mov_b32 s6, 0
.LBB142_3761:
	s_delay_alu instid0(SALU_CYCLE_1)
	s_and_b32 vcc_lo, exec_lo, s6
	s_cbranch_vccz .LBB142_3764
; %bb.3762:
	s_cmp_eq_u32 s1, 29
	s_mov_b32 s0, -1
	s_cbranch_scc0 .LBB142_3764
; %bb.3763:
	s_wait_xcnt 0x0
	s_delay_alu instid0(VALU_DEP_3) | instskip(SKIP_2) | instid1(VALU_DEP_1)
	v_trunc_f64_e32 v[12:13], v[0:1]
	s_mov_b32 s0, 0
	s_mov_b32 s3, -1
	v_ldexp_f64 v[14:15], v[12:13], 0xffffffe0
	s_delay_alu instid0(VALU_DEP_1) | instskip(NEXT) | instid1(VALU_DEP_1)
	v_floor_f64_e32 v[14:15], v[14:15]
	v_fmamk_f64 v[12:13], v[14:15], 0xc1f00000, v[12:13]
	v_cvt_u32_f64_e32 v15, v[14:15]
	s_delay_alu instid0(VALU_DEP_2)
	v_cvt_u32_f64_e32 v14, v[12:13]
	global_store_b64 v[6:7], v[14:15], off
.LBB142_3764:
	s_mov_b32 s6, 0
.LBB142_3765:
	s_delay_alu instid0(SALU_CYCLE_1)
	s_and_b32 vcc_lo, exec_lo, s6
	s_cbranch_vccz .LBB142_3781
; %bb.3766:
	s_cmp_lt_i32 s1, 27
	s_mov_b32 s3, -1
	s_cbranch_scc1 .LBB142_3772
; %bb.3767:
	s_wait_xcnt 0x0
	s_delay_alu instid0(VALU_DEP_3)
	v_cvt_u32_f64_e32 v5, v[0:1]
	s_cmp_gt_i32 s1, 27
	s_cbranch_scc0 .LBB142_3769
; %bb.3768:
	s_mov_b32 s3, 0
	global_store_b32 v[6:7], v5, off
.LBB142_3769:
	s_and_not1_b32 vcc_lo, exec_lo, s3
	s_cbranch_vccnz .LBB142_3771
; %bb.3770:
	global_store_b16 v[6:7], v5, off
.LBB142_3771:
	s_mov_b32 s3, 0
.LBB142_3772:
	s_delay_alu instid0(SALU_CYCLE_1)
	s_and_not1_b32 vcc_lo, exec_lo, s3
	s_cbranch_vccnz .LBB142_3780
; %bb.3773:
	s_wait_xcnt 0x0
	s_delay_alu instid0(VALU_DEP_3) | instskip(SKIP_2) | instid1(VALU_DEP_2)
	v_cvt_f32_f64_e32 v5, v[0:1]
	v_mov_b32_e32 v13, 0x80
	s_mov_b32 s3, exec_lo
	v_and_b32_e32 v12, 0x7fffffff, v5
	s_delay_alu instid0(VALU_DEP_1)
	v_cmpx_gt_u32_e32 0x43800000, v12
	s_cbranch_execz .LBB142_3779
; %bb.3774:
	v_cmp_lt_u32_e32 vcc_lo, 0x3bffffff, v12
	s_mov_b32 s6, 0
                                        ; implicit-def: $vgpr12
	s_and_saveexec_b32 s7, vcc_lo
	s_delay_alu instid0(SALU_CYCLE_1)
	s_xor_b32 s7, exec_lo, s7
	s_cbranch_execnz .LBB142_4232
; %bb.3775:
	s_and_not1_saveexec_b32 s7, s7
	s_cbranch_execnz .LBB142_4233
.LBB142_3776:
	s_or_b32 exec_lo, exec_lo, s7
	v_mov_b32_e32 v13, 0
	s_and_saveexec_b32 s7, s6
.LBB142_3777:
	v_lshrrev_b32_e32 v5, 24, v5
	s_delay_alu instid0(VALU_DEP_1)
	v_and_or_b32 v13, 0x80, v5, v12
.LBB142_3778:
	s_or_b32 exec_lo, exec_lo, s7
.LBB142_3779:
	s_delay_alu instid0(SALU_CYCLE_1)
	s_or_b32 exec_lo, exec_lo, s3
	global_store_b8 v[6:7], v13, off
.LBB142_3780:
	s_mov_b32 s3, -1
.LBB142_3781:
	s_mov_b32 s6, 0
.LBB142_3782:
	s_delay_alu instid0(SALU_CYCLE_1)
	s_and_b32 vcc_lo, exec_lo, s6
	s_cbranch_vccz .LBB142_3822
; %bb.3783:
	s_cmp_gt_i32 s1, 22
	s_mov_b32 s2, -1
	s_cbranch_scc0 .LBB142_3815
; %bb.3784:
	s_cmp_lt_i32 s1, 24
	s_cbranch_scc1 .LBB142_3804
; %bb.3785:
	s_cmp_gt_i32 s1, 24
	s_cbranch_scc0 .LBB142_3793
; %bb.3786:
	s_wait_xcnt 0x0
	s_delay_alu instid0(VALU_DEP_3) | instskip(SKIP_2) | instid1(VALU_DEP_2)
	v_cvt_f32_f64_e32 v5, v[0:1]
	v_mov_b32_e32 v13, 0x80
	s_mov_b32 s2, exec_lo
	v_and_b32_e32 v12, 0x7fffffff, v5
	s_delay_alu instid0(VALU_DEP_1)
	v_cmpx_gt_u32_e32 0x47800000, v12
	s_cbranch_execz .LBB142_3792
; %bb.3787:
	v_cmp_lt_u32_e32 vcc_lo, 0x37ffffff, v12
	s_mov_b32 s3, 0
                                        ; implicit-def: $vgpr12
	s_and_saveexec_b32 s6, vcc_lo
	s_delay_alu instid0(SALU_CYCLE_1)
	s_xor_b32 s6, exec_lo, s6
	s_cbranch_execnz .LBB142_4235
; %bb.3788:
	s_and_not1_saveexec_b32 s6, s6
	s_cbranch_execnz .LBB142_4236
.LBB142_3789:
	s_or_b32 exec_lo, exec_lo, s6
	v_mov_b32_e32 v13, 0
	s_and_saveexec_b32 s6, s3
.LBB142_3790:
	v_lshrrev_b32_e32 v5, 24, v5
	s_delay_alu instid0(VALU_DEP_1)
	v_and_or_b32 v13, 0x80, v5, v12
.LBB142_3791:
	s_or_b32 exec_lo, exec_lo, s6
.LBB142_3792:
	s_delay_alu instid0(SALU_CYCLE_1)
	s_or_b32 exec_lo, exec_lo, s2
	s_mov_b32 s2, 0
	global_store_b8 v[6:7], v13, off
.LBB142_3793:
	s_and_b32 vcc_lo, exec_lo, s2
	s_cbranch_vccz .LBB142_3803
; %bb.3794:
	s_wait_xcnt 0x0
	s_delay_alu instid0(VALU_DEP_3) | instskip(SKIP_1) | instid1(VALU_DEP_1)
	v_cvt_f32_f64_e32 v5, v[0:1]
	s_mov_b32 s2, exec_lo
                                        ; implicit-def: $vgpr12
	v_and_b32_e32 v13, 0x7fffffff, v5
	s_delay_alu instid0(VALU_DEP_1)
	v_cmpx_gt_u32_e32 0x43f00000, v13
	s_xor_b32 s2, exec_lo, s2
	s_cbranch_execz .LBB142_3800
; %bb.3795:
	s_mov_b32 s3, exec_lo
                                        ; implicit-def: $vgpr12
	v_cmpx_lt_u32_e32 0x3c7fffff, v13
	s_xor_b32 s3, exec_lo, s3
; %bb.3796:
	v_bfe_u32 v12, v5, 20, 1
	s_delay_alu instid0(VALU_DEP_1) | instskip(NEXT) | instid1(VALU_DEP_1)
	v_add3_u32 v12, v5, v12, 0x407ffff
	v_and_b32_e32 v13, 0xff00000, v12
	v_lshrrev_b32_e32 v12, 20, v12
	s_delay_alu instid0(VALU_DEP_2) | instskip(NEXT) | instid1(VALU_DEP_2)
	v_cmp_ne_u32_e32 vcc_lo, 0x7f00000, v13
	v_cndmask_b32_e32 v12, 0x7e, v12, vcc_lo
; %bb.3797:
	s_and_not1_saveexec_b32 s3, s3
; %bb.3798:
	v_add_f32_e64 v12, 0x46800000, |v5|
; %bb.3799:
	s_or_b32 exec_lo, exec_lo, s3
                                        ; implicit-def: $vgpr13
.LBB142_3800:
	s_and_not1_saveexec_b32 s2, s2
; %bb.3801:
	v_mov_b32_e32 v12, 0x7f
	v_cmp_lt_u32_e32 vcc_lo, 0x7f800000, v13
	s_delay_alu instid0(VALU_DEP_2)
	v_cndmask_b32_e32 v12, 0x7e, v12, vcc_lo
; %bb.3802:
	s_or_b32 exec_lo, exec_lo, s2
	v_lshrrev_b32_e32 v5, 24, v5
	s_delay_alu instid0(VALU_DEP_1)
	v_and_or_b32 v5, 0x80, v5, v12
	global_store_b8 v[6:7], v5, off
.LBB142_3803:
	s_mov_b32 s2, 0
.LBB142_3804:
	s_delay_alu instid0(SALU_CYCLE_1)
	s_and_not1_b32 vcc_lo, exec_lo, s2
	s_cbranch_vccnz .LBB142_3814
; %bb.3805:
	s_wait_xcnt 0x0
	s_delay_alu instid0(VALU_DEP_3) | instskip(SKIP_1) | instid1(VALU_DEP_1)
	v_cvt_f32_f64_e32 v5, v[0:1]
	s_mov_b32 s2, exec_lo
                                        ; implicit-def: $vgpr12
	v_and_b32_e32 v13, 0x7fffffff, v5
	s_delay_alu instid0(VALU_DEP_1)
	v_cmpx_gt_u32_e32 0x47800000, v13
	s_xor_b32 s2, exec_lo, s2
	s_cbranch_execz .LBB142_3811
; %bb.3806:
	s_mov_b32 s3, exec_lo
                                        ; implicit-def: $vgpr12
	v_cmpx_lt_u32_e32 0x387fffff, v13
	s_xor_b32 s3, exec_lo, s3
; %bb.3807:
	v_bfe_u32 v12, v5, 21, 1
	s_delay_alu instid0(VALU_DEP_1) | instskip(NEXT) | instid1(VALU_DEP_1)
	v_add3_u32 v12, v5, v12, 0x80fffff
	v_lshrrev_b32_e32 v12, 21, v12
; %bb.3808:
	s_and_not1_saveexec_b32 s3, s3
; %bb.3809:
	v_add_f32_e64 v12, 0x43000000, |v5|
; %bb.3810:
	s_or_b32 exec_lo, exec_lo, s3
                                        ; implicit-def: $vgpr13
.LBB142_3811:
	s_and_not1_saveexec_b32 s2, s2
; %bb.3812:
	v_mov_b32_e32 v12, 0x7f
	v_cmp_lt_u32_e32 vcc_lo, 0x7f800000, v13
	s_delay_alu instid0(VALU_DEP_2)
	v_cndmask_b32_e32 v12, 0x7c, v12, vcc_lo
; %bb.3813:
	s_or_b32 exec_lo, exec_lo, s2
	v_lshrrev_b32_e32 v5, 24, v5
	s_delay_alu instid0(VALU_DEP_1)
	v_and_or_b32 v5, 0x80, v5, v12
	global_store_b8 v[6:7], v5, off
.LBB142_3814:
	s_mov_b32 s2, 0
	s_mov_b32 s3, -1
.LBB142_3815:
	s_and_not1_b32 vcc_lo, exec_lo, s2
	s_mov_b32 s2, 0
	s_cbranch_vccnz .LBB142_3822
; %bb.3816:
	s_cmp_gt_i32 s1, 14
	s_mov_b32 s2, -1
	s_cbranch_scc0 .LBB142_3820
; %bb.3817:
	s_cmp_eq_u32 s1, 15
	s_mov_b32 s0, -1
	s_cbranch_scc0 .LBB142_3819
; %bb.3818:
	s_wait_xcnt 0x0
	s_delay_alu instid0(VALU_DEP_3) | instskip(SKIP_2) | instid1(VALU_DEP_1)
	v_cvt_f32_f64_e32 v5, v[0:1]
	s_mov_b32 s0, 0
	s_mov_b32 s3, -1
	v_bfe_u32 v12, v5, 16, 1
	v_cmp_o_f32_e32 vcc_lo, v5, v5
	s_delay_alu instid0(VALU_DEP_2) | instskip(NEXT) | instid1(VALU_DEP_1)
	v_add3_u32 v12, v5, v12, 0x7fff
	v_lshrrev_b32_e32 v12, 16, v12
	s_delay_alu instid0(VALU_DEP_1)
	v_cndmask_b32_e32 v5, 0x7fc0, v12, vcc_lo
	global_store_b16 v[6:7], v5, off
.LBB142_3819:
	s_mov_b32 s2, 0
.LBB142_3820:
	s_delay_alu instid0(SALU_CYCLE_1)
	s_and_b32 vcc_lo, exec_lo, s2
	s_mov_b32 s2, 0
	s_cbranch_vccz .LBB142_3822
; %bb.3821:
	s_cmp_lg_u32 s1, 11
	s_mov_b32 s2, -1
	s_cselect_b32 s0, -1, 0
.LBB142_3822:
	s_delay_alu instid0(SALU_CYCLE_1)
	s_and_b32 vcc_lo, exec_lo, s0
	s_cbranch_vccnz .LBB142_4231
; %bb.3823:
	s_and_not1_b32 vcc_lo, exec_lo, s2
	s_cbranch_vccnz .LBB142_3825
.LBB142_3824:
	s_delay_alu instid0(VALU_DEP_3) | instskip(NEXT) | instid1(VALU_DEP_3)
	v_cmp_neq_f64_e32 vcc_lo, 0, v[0:1]
	v_cmp_neq_f64_e64 s0, 0, v[2:3]
	s_mov_b32 s3, -1
	s_or_b32 s0, vcc_lo, s0
	s_wait_xcnt 0x0
	v_cndmask_b32_e64 v5, 0, 1, s0
	global_store_b8 v[6:7], v5, off
.LBB142_3825:
	s_mov_b32 s0, 0
	s_branch .LBB142_3827
.LBB142_3826:
	s_mov_b32 s0, -1
	s_mov_b32 s3, 0
.LBB142_3827:
	s_and_b32 vcc_lo, exec_lo, s0
	s_cbranch_vccz .LBB142_3866
; %bb.3828:
	s_and_b32 s0, 0xffff, s28
	s_mov_b32 s1, -1
	s_cmp_lt_i32 s0, 5
	s_cbranch_scc1 .LBB142_3849
; %bb.3829:
	s_cmp_lt_i32 s0, 8
	s_cbranch_scc1 .LBB142_3839
; %bb.3830:
	s_cmp_lt_i32 s0, 9
	s_cbranch_scc1 .LBB142_3836
; %bb.3831:
	s_cmp_gt_i32 s0, 9
	s_cbranch_scc0 .LBB142_3833
; %bb.3832:
	s_mov_b32 s1, 0
	global_store_b128 v[6:7], v[0:3], off
.LBB142_3833:
	s_and_not1_b32 vcc_lo, exec_lo, s1
	s_cbranch_vccnz .LBB142_3835
; %bb.3834:
	s_wait_xcnt 0x0
	s_delay_alu instid0(VALU_DEP_3) | instskip(NEXT) | instid1(VALU_DEP_3)
	v_cvt_f32_f64_e32 v12, v[0:1]
	v_cvt_f32_f64_e32 v13, v[2:3]
	global_store_b64 v[6:7], v[12:13], off
.LBB142_3835:
	s_mov_b32 s1, 0
.LBB142_3836:
	s_delay_alu instid0(SALU_CYCLE_1)
	s_and_not1_b32 vcc_lo, exec_lo, s1
	s_cbranch_vccnz .LBB142_3838
; %bb.3837:
	s_wait_xcnt 0x0
	s_delay_alu instid0(VALU_DEP_3) | instskip(NEXT) | instid1(VALU_DEP_3)
	v_and_or_b32 v5, 0x1ff, v1, v0
	v_and_or_b32 v2, 0x1ff, v3, v2
	v_dual_lshrrev_b32 v12, 8, v1 :: v_dual_lshrrev_b32 v15, 8, v3
	v_bfe_u32 v13, v1, 20, 11
	s_delay_alu instid0(VALU_DEP_4) | instskip(SKIP_2) | instid1(VALU_DEP_4)
	v_cmp_ne_u32_e32 vcc_lo, 0, v5
	v_bfe_u32 v14, v3, 20, 11
	v_dual_lshrrev_b32 v53, 16, v1 :: v_dual_lshrrev_b32 v3, 16, v3
	v_sub_nc_u32_e32 v48, 0x3f1, v13
	v_cndmask_b32_e64 v5, 0, 1, vcc_lo
	v_cmp_ne_u32_e32 vcc_lo, 0, v2
	v_add_nc_u32_e32 v13, 0xfffffc10, v13
	s_delay_alu instid0(VALU_DEP_3) | instskip(SKIP_1) | instid1(VALU_DEP_1)
	v_and_or_b32 v5, 0xffe, v12, v5
	v_cndmask_b32_e64 v2, 0, 1, vcc_lo
	v_and_or_b32 v2, 0xffe, v15, v2
	v_med3_i32 v15, v48, 0, 13
	s_delay_alu instid0(VALU_DEP_4) | instskip(NEXT) | instid1(VALU_DEP_3)
	v_or_b32_e32 v48, 0x1000, v5
	v_or_b32_e32 v49, 0x1000, v2
	s_delay_alu instid0(VALU_DEP_2) | instskip(NEXT) | instid1(VALU_DEP_1)
	v_lshrrev_b32_e32 v50, v15, v48
	v_lshlrev_b32_e32 v15, v15, v50
	s_delay_alu instid0(VALU_DEP_1) | instskip(SKIP_2) | instid1(VALU_DEP_1)
	v_cmp_ne_u32_e32 vcc_lo, v15, v48
	v_lshl_or_b32 v48, v13, 12, v5
	v_cndmask_b32_e64 v15, 0, 1, vcc_lo
	v_or_b32_e32 v15, v50, v15
	v_sub_nc_u32_e32 v12, 0x3f1, v14
	v_add_nc_u32_e32 v14, 0xfffffc10, v14
	s_delay_alu instid0(VALU_DEP_2) | instskip(NEXT) | instid1(VALU_DEP_1)
	v_med3_i32 v12, v12, 0, 13
	v_lshrrev_b32_e32 v51, v12, v49
	s_delay_alu instid0(VALU_DEP_1) | instskip(NEXT) | instid1(VALU_DEP_1)
	v_lshlrev_b32_e32 v12, v12, v51
	v_cmp_ne_u32_e32 vcc_lo, v12, v49
	v_lshl_or_b32 v49, v14, 12, v2
	v_cndmask_b32_e64 v12, 0, 1, vcc_lo
	v_cmp_gt_i32_e32 vcc_lo, 1, v13
	s_delay_alu instid0(VALU_DEP_2) | instskip(SKIP_1) | instid1(VALU_DEP_2)
	v_dual_cndmask_b32 v15, v48, v15, vcc_lo :: v_dual_bitop2_b32 v12, v51, v12 bitop3:0x54
	v_cmp_gt_i32_e32 vcc_lo, 1, v14
	v_dual_lshrrev_b32 v15, 2, v15 :: v_dual_bitop2_b32 v48, 7, v15 bitop3:0x40
	s_delay_alu instid0(VALU_DEP_3) | instskip(NEXT) | instid1(VALU_DEP_1)
	v_cndmask_b32_e32 v12, v49, v12, vcc_lo
	v_dual_lshrrev_b32 v12, 2, v12 :: v_dual_bitop2_b32 v49, 7, v12 bitop3:0x40
	s_delay_alu instid0(VALU_DEP_3) | instskip(SKIP_1) | instid1(VALU_DEP_3)
	v_cmp_lt_i32_e32 vcc_lo, 5, v48
	v_cndmask_b32_e64 v51, 0, 1, vcc_lo
	v_cmp_lt_i32_e32 vcc_lo, 5, v49
	v_cndmask_b32_e64 v52, 0, 1, vcc_lo
	v_cmp_eq_u32_e32 vcc_lo, 3, v49
	v_cndmask_b32_e64 v49, 0, 1, vcc_lo
	v_cmp_eq_u32_e32 vcc_lo, 3, v48
	v_cndmask_b32_e64 v48, 0, 1, vcc_lo
	v_cmp_ne_u32_e32 vcc_lo, 0, v5
	s_delay_alu instid0(VALU_DEP_2) | instskip(NEXT) | instid1(VALU_DEP_1)
	v_or_b32_e32 v48, v48, v51
	v_dual_mov_b32 v50, 0x7e00 :: v_dual_add_nc_u32 v15, v15, v48
	s_delay_alu instid0(VALU_DEP_1)
	v_cndmask_b32_e32 v5, 0x7c00, v50, vcc_lo
	v_cmp_ne_u32_e32 vcc_lo, 0, v2
	v_and_b32_e32 v48, 0x8000, v53
	v_cndmask_b32_e32 v2, 0x7c00, v50, vcc_lo
	v_or_b32_e32 v49, v49, v52
	v_cmp_gt_i32_e32 vcc_lo, 31, v14
	s_delay_alu instid0(VALU_DEP_2) | instskip(NEXT) | instid1(VALU_DEP_1)
	v_add_nc_u32_e32 v12, v12, v49
	v_cndmask_b32_e32 v12, 0x7c00, v12, vcc_lo
	v_cmp_gt_i32_e32 vcc_lo, 31, v13
	v_cndmask_b32_e32 v15, 0x7c00, v15, vcc_lo
	v_cmp_eq_u32_e32 vcc_lo, 0x40f, v14
	s_delay_alu instid0(VALU_DEP_4) | instskip(SKIP_1) | instid1(VALU_DEP_2)
	v_cndmask_b32_e32 v2, v12, v2, vcc_lo
	v_cmp_eq_u32_e32 vcc_lo, 0x40f, v13
	v_and_or_b32 v2, 0x8000, v3, v2
	v_cndmask_b32_e32 v5, v15, v5, vcc_lo
	s_delay_alu instid0(VALU_DEP_1) | instskip(NEXT) | instid1(VALU_DEP_1)
	v_bitop3_b32 v3, v48, 0xffff, v5 bitop3:0xc8
	v_lshl_or_b32 v2, v2, 16, v3
	global_store_b32 v[6:7], v2, off
.LBB142_3838:
	s_mov_b32 s1, 0
.LBB142_3839:
	s_delay_alu instid0(SALU_CYCLE_1)
	s_and_not1_b32 vcc_lo, exec_lo, s1
	s_cbranch_vccnz .LBB142_3848
; %bb.3840:
	s_cmp_lt_i32 s0, 6
	s_mov_b32 s1, -1
	s_cbranch_scc1 .LBB142_3846
; %bb.3841:
	s_cmp_gt_i32 s0, 6
	s_cbranch_scc0 .LBB142_3843
; %bb.3842:
	s_mov_b32 s1, 0
	global_store_b64 v[6:7], v[0:1], off
.LBB142_3843:
	s_and_not1_b32 vcc_lo, exec_lo, s1
	s_cbranch_vccnz .LBB142_3845
; %bb.3844:
	s_wait_xcnt 0x0
	s_delay_alu instid0(VALU_DEP_3)
	v_cvt_f32_f64_e32 v2, v[0:1]
	global_store_b32 v[6:7], v2, off
.LBB142_3845:
	s_mov_b32 s1, 0
.LBB142_3846:
	s_delay_alu instid0(SALU_CYCLE_1)
	s_and_not1_b32 vcc_lo, exec_lo, s1
	s_cbranch_vccnz .LBB142_3848
; %bb.3847:
	s_wait_xcnt 0x0
	s_delay_alu instid0(VALU_DEP_3) | instskip(SKIP_2) | instid1(VALU_DEP_3)
	v_and_or_b32 v2, 0x1ff, v1, v0
	v_lshrrev_b32_e32 v3, 8, v1
	v_bfe_u32 v5, v1, 20, 11
	v_cmp_ne_u32_e32 vcc_lo, 0, v2
	s_delay_alu instid0(VALU_DEP_2) | instskip(SKIP_2) | instid1(VALU_DEP_1)
	v_sub_nc_u32_e32 v12, 0x3f1, v5
	v_add_nc_u32_e32 v5, 0xfffffc10, v5
	v_cndmask_b32_e64 v2, 0, 1, vcc_lo
	v_and_or_b32 v2, 0xffe, v3, v2
	s_delay_alu instid0(VALU_DEP_4) | instskip(NEXT) | instid1(VALU_DEP_2)
	v_med3_i32 v3, v12, 0, 13
	v_or_b32_e32 v12, 0x1000, v2
	s_delay_alu instid0(VALU_DEP_1) | instskip(NEXT) | instid1(VALU_DEP_1)
	v_lshrrev_b32_e32 v13, v3, v12
	v_lshlrev_b32_e32 v3, v3, v13
	s_delay_alu instid0(VALU_DEP_1) | instskip(SKIP_3) | instid1(VALU_DEP_2)
	v_cmp_ne_u32_e32 vcc_lo, v3, v12
	v_lshl_or_b32 v12, v5, 12, v2
	v_cndmask_b32_e64 v3, 0, 1, vcc_lo
	v_cmp_gt_i32_e32 vcc_lo, 1, v5
	v_or_b32_e32 v3, v13, v3
	s_delay_alu instid0(VALU_DEP_1) | instskip(NEXT) | instid1(VALU_DEP_1)
	v_cndmask_b32_e32 v3, v12, v3, vcc_lo
	v_dual_lshrrev_b32 v3, 2, v3 :: v_dual_bitop2_b32 v12, 7, v3 bitop3:0x40
	s_delay_alu instid0(VALU_DEP_1) | instskip(SKIP_4) | instid1(VALU_DEP_2)
	v_cmp_lt_i32_e32 vcc_lo, 5, v12
	v_cndmask_b32_e64 v13, 0, 1, vcc_lo
	v_cmp_eq_u32_e32 vcc_lo, 3, v12
	v_cndmask_b32_e64 v12, 0, 1, vcc_lo
	v_cmp_ne_u32_e32 vcc_lo, 0, v2
	v_or_b32_e32 v12, v12, v13
	v_mov_b32_e32 v13, 0x7e00
	s_delay_alu instid0(VALU_DEP_1) | instskip(SKIP_1) | instid1(VALU_DEP_2)
	v_dual_cndmask_b32 v2, 0x7c00, v13 :: v_dual_add_nc_u32 v3, v3, v12
	v_cmp_gt_i32_e32 vcc_lo, 31, v5
	v_cndmask_b32_e32 v3, 0x7c00, v3, vcc_lo
	v_cmp_eq_u32_e32 vcc_lo, 0x40f, v5
	s_delay_alu instid0(VALU_DEP_2) | instskip(NEXT) | instid1(VALU_DEP_1)
	v_dual_cndmask_b32 v2, v3, v2 :: v_dual_lshrrev_b32 v3, 16, v1
	v_and_or_b32 v2, 0x8000, v3, v2
	global_store_b16 v[6:7], v2, off
.LBB142_3848:
	s_mov_b32 s1, 0
.LBB142_3849:
	s_delay_alu instid0(SALU_CYCLE_1)
	s_and_not1_b32 vcc_lo, exec_lo, s1
	s_cbranch_vccnz .LBB142_3865
; %bb.3850:
	s_cmp_lt_i32 s0, 2
	s_mov_b32 s1, -1
	s_cbranch_scc1 .LBB142_3860
; %bb.3851:
	s_cmp_lt_i32 s0, 3
	s_cbranch_scc1 .LBB142_3857
; %bb.3852:
	s_cmp_gt_i32 s0, 3
	s_cbranch_scc0 .LBB142_3854
; %bb.3853:
	s_wait_xcnt 0x0
	s_delay_alu instid0(VALU_DEP_3) | instskip(SKIP_1) | instid1(VALU_DEP_1)
	v_trunc_f64_e32 v[2:3], v[0:1]
	s_mov_b32 s1, 0
	v_ldexp_f64 v[12:13], v[2:3], 0xffffffe0
	s_delay_alu instid0(VALU_DEP_1) | instskip(NEXT) | instid1(VALU_DEP_1)
	v_floor_f64_e32 v[12:13], v[12:13]
	v_fmamk_f64 v[2:3], v[12:13], 0xc1f00000, v[2:3]
	v_cvt_i32_f64_e32 v13, v[12:13]
	s_delay_alu instid0(VALU_DEP_2)
	v_cvt_u32_f64_e32 v12, v[2:3]
	global_store_b64 v[6:7], v[12:13], off
.LBB142_3854:
	s_and_not1_b32 vcc_lo, exec_lo, s1
	s_cbranch_vccnz .LBB142_3856
; %bb.3855:
	s_wait_xcnt 0x0
	s_delay_alu instid0(VALU_DEP_3)
	v_cvt_i32_f64_e32 v2, v[0:1]
	global_store_b32 v[6:7], v2, off
.LBB142_3856:
	s_mov_b32 s1, 0
.LBB142_3857:
	s_delay_alu instid0(SALU_CYCLE_1)
	s_and_not1_b32 vcc_lo, exec_lo, s1
	s_cbranch_vccnz .LBB142_3859
; %bb.3858:
	s_wait_xcnt 0x0
	s_delay_alu instid0(VALU_DEP_3)
	v_cvt_i32_f64_e32 v2, v[0:1]
	global_store_b16 v[6:7], v2, off
.LBB142_3859:
	s_mov_b32 s1, 0
.LBB142_3860:
	s_delay_alu instid0(SALU_CYCLE_1)
	s_and_not1_b32 vcc_lo, exec_lo, s1
	s_cbranch_vccnz .LBB142_3865
; %bb.3861:
	s_cmp_gt_i32 s0, 0
	s_mov_b32 s0, -1
	s_cbranch_scc0 .LBB142_3863
; %bb.3862:
	s_wait_xcnt 0x0
	s_delay_alu instid0(VALU_DEP_3)
	v_cvt_i32_f64_e32 v2, v[0:1]
	s_mov_b32 s0, 0
	global_store_b8 v[6:7], v2, off
.LBB142_3863:
	s_and_not1_b32 vcc_lo, exec_lo, s0
	s_cbranch_vccnz .LBB142_3865
; %bb.3864:
	s_wait_xcnt 0x0
	s_delay_alu instid0(VALU_DEP_3) | instskip(NEXT) | instid1(VALU_DEP_1)
	v_trunc_f64_e32 v[0:1], v[0:1]
	v_ldexp_f64 v[2:3], v[0:1], 0xffffffe0
	s_delay_alu instid0(VALU_DEP_1) | instskip(NEXT) | instid1(VALU_DEP_1)
	v_floor_f64_e32 v[2:3], v[2:3]
	v_fmamk_f64 v[0:1], v[2:3], 0xc1f00000, v[0:1]
	s_delay_alu instid0(VALU_DEP_1)
	v_cvt_u32_f64_e32 v0, v[0:1]
	global_store_b8 v[6:7], v0, off
.LBB142_3865:
	s_mov_b32 s3, -1
.LBB142_3866:
	s_delay_alu instid0(SALU_CYCLE_1)
	s_and_not1_b32 vcc_lo, exec_lo, s3
	s_cbranch_vccnz .LBB142_4181
; %bb.3867:
	s_lshl_b32 s1, s20, 7
	s_wait_xcnt 0x0
	v_dual_mul_f64 v[0:1], s[16:17], v[18:19] :: v_dual_add_nc_u32 v4, s1, v4
	v_mul_f64_e32 v[2:3], s[18:19], v[18:19]
	v_mul_f64_e32 v[6:7], s[14:15], v[10:11]
	;; [unrolled: 1-line block ×3, first 2 shown]
	s_cmp_lt_i32 s28, 11
	v_ashrrev_i32_e32 v5, 31, v4
	v_fmac_f64_e32 v[0:1], s[18:19], v[16:17]
	v_fma_f64 v[2:3], s[16:17], v[16:17], -v[2:3]
	v_fma_f64 v[6:7], s[12:13], v[8:9], -v[6:7]
	v_fmac_f64_e32 v[10:11], s[14:15], v[8:9]
	s_delay_alu instid0(VALU_DEP_4) | instskip(NEXT) | instid1(VALU_DEP_4)
	v_mul_f64_e32 v[12:13], v[0:1], v[26:27]
	v_mul_f64_e32 v[14:15], v[2:3], v[26:27]
	s_delay_alu instid0(VALU_DEP_2) | instskip(NEXT) | instid1(VALU_DEP_2)
	v_fma_f64 v[2:3], v[2:3], v[24:25], -v[12:13]
	v_fmac_f64_e32 v[14:15], v[0:1], v[24:25]
	s_delay_alu instid0(VALU_DEP_2) | instskip(SKIP_1) | instid1(VALU_DEP_3)
	v_add_f64_e32 v[0:1], v[6:7], v[2:3]
	v_add_nc_u64_e32 v[6:7], s[4:5], v[4:5]
	v_add_f64_e32 v[2:3], v[10:11], v[14:15]
	s_cbranch_scc1 .LBB142_3945
; %bb.3868:
	s_and_b32 s2, 0xffff, s28
	s_mov_b32 s7, -1
	s_mov_b32 s3, 0
	s_cmp_gt_i32 s2, 25
	s_mov_b32 s6, 0
	s_mov_b32 s0, 0
	s_cbranch_scc0 .LBB142_3901
; %bb.3869:
	s_cmp_gt_i32 s2, 28
	s_cbranch_scc0 .LBB142_3884
; %bb.3870:
	s_cmp_gt_i32 s2, 43
	;; [unrolled: 3-line block ×3, first 2 shown]
	s_cbranch_scc0 .LBB142_3874
; %bb.3872:
	s_mov_b32 s0, -1
	s_mov_b32 s7, 0
	s_cmp_eq_u32 s2, 46
	s_cbranch_scc0 .LBB142_3874
; %bb.3873:
	s_delay_alu instid0(VALU_DEP_1) | instskip(NEXT) | instid1(VALU_DEP_4)
	v_cvt_f32_f64_e32 v5, v[2:3]
	v_cvt_f32_f64_e32 v8, v[0:1]
	s_mov_b32 s0, 0
	s_mov_b32 s6, -1
	s_delay_alu instid0(VALU_DEP_2) | instskip(NEXT) | instid1(VALU_DEP_2)
	v_bfe_u32 v9, v5, 16, 1
	v_bfe_u32 v10, v8, 16, 1
	v_cmp_o_f32_e32 vcc_lo, v5, v5
	s_delay_alu instid0(VALU_DEP_3) | instskip(NEXT) | instid1(VALU_DEP_3)
	v_add3_u32 v9, v5, v9, 0x7fff
	v_add3_u32 v10, v8, v10, 0x7fff
	s_delay_alu instid0(VALU_DEP_2) | instskip(NEXT) | instid1(VALU_DEP_1)
	v_and_b32_e32 v9, 0xffff0000, v9
	v_dual_cndmask_b32 v5, 0x7fc00000, v9 :: v_dual_lshrrev_b32 v10, 16, v10
	v_cmp_o_f32_e32 vcc_lo, v8, v8
	s_delay_alu instid0(VALU_DEP_2) | instskip(NEXT) | instid1(VALU_DEP_1)
	v_cndmask_b32_e32 v8, 0x7fc0, v10, vcc_lo
	v_or_b32_e32 v5, v5, v8
	global_store_b32 v[6:7], v5, off
.LBB142_3874:
	s_and_b32 vcc_lo, exec_lo, s7
	s_cbranch_vccz .LBB142_3879
; %bb.3875:
	s_cmp_eq_u32 s2, 44
	s_mov_b32 s0, -1
	s_cbranch_scc0 .LBB142_3879
; %bb.3876:
	s_wait_xcnt 0x0
	s_delay_alu instid0(VALU_DEP_3) | instskip(SKIP_2) | instid1(VALU_DEP_2)
	v_cvt_f32_f64_e32 v5, v[0:1]
	v_mov_b32_e32 v8, 0xff
	s_mov_b32 s6, exec_lo
	v_bfe_u32 v9, v5, 23, 8
	s_delay_alu instid0(VALU_DEP_1)
	v_cmpx_ne_u32_e32 0xff, v9
	s_cbranch_execz .LBB142_3878
; %bb.3877:
	v_and_b32_e32 v8, 0x400000, v5
	v_and_or_b32 v9, 0x3fffff, v5, v9
	v_lshrrev_b32_e32 v5, 23, v5
	s_delay_alu instid0(VALU_DEP_3) | instskip(NEXT) | instid1(VALU_DEP_3)
	v_cmp_ne_u32_e32 vcc_lo, 0, v8
	v_cmp_ne_u32_e64 s0, 0, v9
	s_and_b32 s0, vcc_lo, s0
	s_delay_alu instid0(SALU_CYCLE_1) | instskip(NEXT) | instid1(VALU_DEP_1)
	v_cndmask_b32_e64 v8, 0, 1, s0
	v_add_nc_u32_e32 v8, v5, v8
.LBB142_3878:
	s_or_b32 exec_lo, exec_lo, s6
	s_mov_b32 s0, 0
	s_mov_b32 s6, -1
	global_store_b8 v[6:7], v8, off
.LBB142_3879:
	s_mov_b32 s7, 0
.LBB142_3880:
	s_delay_alu instid0(SALU_CYCLE_1)
	s_and_b32 vcc_lo, exec_lo, s7
	s_cbranch_vccz .LBB142_3883
; %bb.3881:
	s_cmp_eq_u32 s2, 29
	s_mov_b32 s0, -1
	s_cbranch_scc0 .LBB142_3883
; %bb.3882:
	s_wait_xcnt 0x0
	s_delay_alu instid0(VALU_DEP_3) | instskip(SKIP_2) | instid1(VALU_DEP_1)
	v_trunc_f64_e32 v[8:9], v[0:1]
	s_mov_b32 s0, 0
	s_mov_b32 s6, -1
	v_ldexp_f64 v[10:11], v[8:9], 0xffffffe0
	s_delay_alu instid0(VALU_DEP_1) | instskip(NEXT) | instid1(VALU_DEP_1)
	v_floor_f64_e32 v[10:11], v[10:11]
	v_fmamk_f64 v[8:9], v[10:11], 0xc1f00000, v[8:9]
	v_cvt_u32_f64_e32 v11, v[10:11]
	s_delay_alu instid0(VALU_DEP_2)
	v_cvt_u32_f64_e32 v10, v[8:9]
	global_store_b64 v[6:7], v[10:11], off
.LBB142_3883:
	s_mov_b32 s7, 0
.LBB142_3884:
	s_delay_alu instid0(SALU_CYCLE_1)
	s_and_b32 vcc_lo, exec_lo, s7
	s_cbranch_vccz .LBB142_3900
; %bb.3885:
	s_cmp_lt_i32 s2, 27
	s_mov_b32 s6, -1
	s_cbranch_scc1 .LBB142_3891
; %bb.3886:
	s_wait_xcnt 0x0
	s_delay_alu instid0(VALU_DEP_3)
	v_cvt_u32_f64_e32 v5, v[0:1]
	s_cmp_gt_i32 s2, 27
	s_cbranch_scc0 .LBB142_3888
; %bb.3887:
	s_mov_b32 s6, 0
	global_store_b32 v[6:7], v5, off
.LBB142_3888:
	s_and_not1_b32 vcc_lo, exec_lo, s6
	s_cbranch_vccnz .LBB142_3890
; %bb.3889:
	global_store_b16 v[6:7], v5, off
.LBB142_3890:
	s_mov_b32 s6, 0
.LBB142_3891:
	s_delay_alu instid0(SALU_CYCLE_1)
	s_and_not1_b32 vcc_lo, exec_lo, s6
	s_cbranch_vccnz .LBB142_3899
; %bb.3892:
	s_wait_xcnt 0x0
	s_delay_alu instid0(VALU_DEP_3) | instskip(SKIP_2) | instid1(VALU_DEP_2)
	v_cvt_f32_f64_e32 v5, v[0:1]
	v_mov_b32_e32 v9, 0x80
	s_mov_b32 s6, exec_lo
	v_and_b32_e32 v8, 0x7fffffff, v5
	s_delay_alu instid0(VALU_DEP_1)
	v_cmpx_gt_u32_e32 0x43800000, v8
	s_cbranch_execz .LBB142_3898
; %bb.3893:
	v_cmp_lt_u32_e32 vcc_lo, 0x3bffffff, v8
	s_mov_b32 s7, 0
                                        ; implicit-def: $vgpr8
	s_and_saveexec_b32 s8, vcc_lo
	s_delay_alu instid0(SALU_CYCLE_1)
	s_xor_b32 s8, exec_lo, s8
	s_cbranch_execnz .LBB142_4237
; %bb.3894:
	s_and_not1_saveexec_b32 s8, s8
	s_cbranch_execnz .LBB142_4238
.LBB142_3895:
	s_or_b32 exec_lo, exec_lo, s8
	v_mov_b32_e32 v9, 0
	s_and_saveexec_b32 s8, s7
.LBB142_3896:
	v_lshrrev_b32_e32 v5, 24, v5
	s_delay_alu instid0(VALU_DEP_1)
	v_and_or_b32 v9, 0x80, v5, v8
.LBB142_3897:
	s_or_b32 exec_lo, exec_lo, s8
.LBB142_3898:
	s_delay_alu instid0(SALU_CYCLE_1)
	s_or_b32 exec_lo, exec_lo, s6
	global_store_b8 v[6:7], v9, off
.LBB142_3899:
	s_mov_b32 s6, -1
.LBB142_3900:
	s_mov_b32 s7, 0
.LBB142_3901:
	s_delay_alu instid0(SALU_CYCLE_1)
	s_and_b32 vcc_lo, exec_lo, s7
	s_cbranch_vccz .LBB142_3941
; %bb.3902:
	s_cmp_gt_i32 s2, 22
	s_mov_b32 s3, -1
	s_cbranch_scc0 .LBB142_3934
; %bb.3903:
	s_cmp_lt_i32 s2, 24
	s_cbranch_scc1 .LBB142_3923
; %bb.3904:
	s_cmp_gt_i32 s2, 24
	s_cbranch_scc0 .LBB142_3912
; %bb.3905:
	s_wait_xcnt 0x0
	s_delay_alu instid0(VALU_DEP_3) | instskip(SKIP_2) | instid1(VALU_DEP_2)
	v_cvt_f32_f64_e32 v5, v[0:1]
	v_mov_b32_e32 v9, 0x80
	s_mov_b32 s3, exec_lo
	v_and_b32_e32 v8, 0x7fffffff, v5
	s_delay_alu instid0(VALU_DEP_1)
	v_cmpx_gt_u32_e32 0x47800000, v8
	s_cbranch_execz .LBB142_3911
; %bb.3906:
	v_cmp_lt_u32_e32 vcc_lo, 0x37ffffff, v8
	s_mov_b32 s6, 0
                                        ; implicit-def: $vgpr8
	s_and_saveexec_b32 s7, vcc_lo
	s_delay_alu instid0(SALU_CYCLE_1)
	s_xor_b32 s7, exec_lo, s7
	s_cbranch_execnz .LBB142_4240
; %bb.3907:
	s_and_not1_saveexec_b32 s7, s7
	s_cbranch_execnz .LBB142_4241
.LBB142_3908:
	s_or_b32 exec_lo, exec_lo, s7
	v_mov_b32_e32 v9, 0
	s_and_saveexec_b32 s7, s6
.LBB142_3909:
	v_lshrrev_b32_e32 v5, 24, v5
	s_delay_alu instid0(VALU_DEP_1)
	v_and_or_b32 v9, 0x80, v5, v8
.LBB142_3910:
	s_or_b32 exec_lo, exec_lo, s7
.LBB142_3911:
	s_delay_alu instid0(SALU_CYCLE_1)
	s_or_b32 exec_lo, exec_lo, s3
	s_mov_b32 s3, 0
	global_store_b8 v[6:7], v9, off
.LBB142_3912:
	s_and_b32 vcc_lo, exec_lo, s3
	s_cbranch_vccz .LBB142_3922
; %bb.3913:
	s_wait_xcnt 0x0
	s_delay_alu instid0(VALU_DEP_3) | instskip(SKIP_1) | instid1(VALU_DEP_1)
	v_cvt_f32_f64_e32 v5, v[0:1]
	s_mov_b32 s3, exec_lo
                                        ; implicit-def: $vgpr8
	v_and_b32_e32 v9, 0x7fffffff, v5
	s_delay_alu instid0(VALU_DEP_1)
	v_cmpx_gt_u32_e32 0x43f00000, v9
	s_xor_b32 s3, exec_lo, s3
	s_cbranch_execz .LBB142_3919
; %bb.3914:
	s_mov_b32 s6, exec_lo
                                        ; implicit-def: $vgpr8
	v_cmpx_lt_u32_e32 0x3c7fffff, v9
	s_xor_b32 s6, exec_lo, s6
; %bb.3915:
	v_bfe_u32 v8, v5, 20, 1
	s_delay_alu instid0(VALU_DEP_1) | instskip(NEXT) | instid1(VALU_DEP_1)
	v_add3_u32 v8, v5, v8, 0x407ffff
	v_and_b32_e32 v9, 0xff00000, v8
	v_lshrrev_b32_e32 v8, 20, v8
	s_delay_alu instid0(VALU_DEP_2) | instskip(NEXT) | instid1(VALU_DEP_2)
	v_cmp_ne_u32_e32 vcc_lo, 0x7f00000, v9
	v_cndmask_b32_e32 v8, 0x7e, v8, vcc_lo
; %bb.3916:
	s_and_not1_saveexec_b32 s6, s6
; %bb.3917:
	v_add_f32_e64 v8, 0x46800000, |v5|
; %bb.3918:
	s_or_b32 exec_lo, exec_lo, s6
                                        ; implicit-def: $vgpr9
.LBB142_3919:
	s_and_not1_saveexec_b32 s3, s3
; %bb.3920:
	v_mov_b32_e32 v8, 0x7f
	v_cmp_lt_u32_e32 vcc_lo, 0x7f800000, v9
	s_delay_alu instid0(VALU_DEP_2)
	v_cndmask_b32_e32 v8, 0x7e, v8, vcc_lo
; %bb.3921:
	s_or_b32 exec_lo, exec_lo, s3
	v_lshrrev_b32_e32 v5, 24, v5
	s_delay_alu instid0(VALU_DEP_1)
	v_and_or_b32 v5, 0x80, v5, v8
	global_store_b8 v[6:7], v5, off
.LBB142_3922:
	s_mov_b32 s3, 0
.LBB142_3923:
	s_delay_alu instid0(SALU_CYCLE_1)
	s_and_not1_b32 vcc_lo, exec_lo, s3
	s_cbranch_vccnz .LBB142_3933
; %bb.3924:
	s_wait_xcnt 0x0
	s_delay_alu instid0(VALU_DEP_3) | instskip(SKIP_1) | instid1(VALU_DEP_1)
	v_cvt_f32_f64_e32 v5, v[0:1]
	s_mov_b32 s3, exec_lo
                                        ; implicit-def: $vgpr8
	v_and_b32_e32 v9, 0x7fffffff, v5
	s_delay_alu instid0(VALU_DEP_1)
	v_cmpx_gt_u32_e32 0x47800000, v9
	s_xor_b32 s3, exec_lo, s3
	s_cbranch_execz .LBB142_3930
; %bb.3925:
	s_mov_b32 s6, exec_lo
                                        ; implicit-def: $vgpr8
	v_cmpx_lt_u32_e32 0x387fffff, v9
	s_xor_b32 s6, exec_lo, s6
; %bb.3926:
	v_bfe_u32 v8, v5, 21, 1
	s_delay_alu instid0(VALU_DEP_1) | instskip(NEXT) | instid1(VALU_DEP_1)
	v_add3_u32 v8, v5, v8, 0x80fffff
	v_lshrrev_b32_e32 v8, 21, v8
; %bb.3927:
	s_and_not1_saveexec_b32 s6, s6
; %bb.3928:
	v_add_f32_e64 v8, 0x43000000, |v5|
; %bb.3929:
	s_or_b32 exec_lo, exec_lo, s6
                                        ; implicit-def: $vgpr9
.LBB142_3930:
	s_and_not1_saveexec_b32 s3, s3
; %bb.3931:
	v_mov_b32_e32 v8, 0x7f
	v_cmp_lt_u32_e32 vcc_lo, 0x7f800000, v9
	s_delay_alu instid0(VALU_DEP_2)
	v_cndmask_b32_e32 v8, 0x7c, v8, vcc_lo
; %bb.3932:
	s_or_b32 exec_lo, exec_lo, s3
	v_lshrrev_b32_e32 v5, 24, v5
	s_delay_alu instid0(VALU_DEP_1)
	v_and_or_b32 v5, 0x80, v5, v8
	global_store_b8 v[6:7], v5, off
.LBB142_3933:
	s_mov_b32 s3, 0
	s_mov_b32 s6, -1
.LBB142_3934:
	s_and_not1_b32 vcc_lo, exec_lo, s3
	s_mov_b32 s3, 0
	s_cbranch_vccnz .LBB142_3941
; %bb.3935:
	s_cmp_gt_i32 s2, 14
	s_mov_b32 s3, -1
	s_cbranch_scc0 .LBB142_3939
; %bb.3936:
	s_cmp_eq_u32 s2, 15
	s_mov_b32 s0, -1
	s_cbranch_scc0 .LBB142_3938
; %bb.3937:
	s_wait_xcnt 0x0
	s_delay_alu instid0(VALU_DEP_3) | instskip(SKIP_2) | instid1(VALU_DEP_1)
	v_cvt_f32_f64_e32 v5, v[0:1]
	s_mov_b32 s0, 0
	s_mov_b32 s6, -1
	v_bfe_u32 v8, v5, 16, 1
	v_cmp_o_f32_e32 vcc_lo, v5, v5
	s_delay_alu instid0(VALU_DEP_2) | instskip(NEXT) | instid1(VALU_DEP_1)
	v_add3_u32 v8, v5, v8, 0x7fff
	v_lshrrev_b32_e32 v8, 16, v8
	s_delay_alu instid0(VALU_DEP_1)
	v_cndmask_b32_e32 v5, 0x7fc0, v8, vcc_lo
	global_store_b16 v[6:7], v5, off
.LBB142_3938:
	s_mov_b32 s3, 0
.LBB142_3939:
	s_delay_alu instid0(SALU_CYCLE_1)
	s_and_b32 vcc_lo, exec_lo, s3
	s_mov_b32 s3, 0
	s_cbranch_vccz .LBB142_3941
; %bb.3940:
	s_cmp_lg_u32 s2, 11
	s_mov_b32 s3, -1
	s_cselect_b32 s0, -1, 0
.LBB142_3941:
	s_delay_alu instid0(SALU_CYCLE_1)
	s_and_b32 vcc_lo, exec_lo, s0
	s_cbranch_vccnz .LBB142_4234
; %bb.3942:
	s_and_not1_b32 vcc_lo, exec_lo, s3
	s_cbranch_vccnz .LBB142_3944
.LBB142_3943:
	s_delay_alu instid0(VALU_DEP_3) | instskip(NEXT) | instid1(VALU_DEP_2)
	v_cmp_neq_f64_e32 vcc_lo, 0, v[0:1]
	v_cmp_neq_f64_e64 s0, 0, v[2:3]
	s_mov_b32 s6, -1
	s_or_b32 s0, vcc_lo, s0
	s_wait_xcnt 0x0
	v_cndmask_b32_e64 v5, 0, 1, s0
	global_store_b8 v[6:7], v5, off
.LBB142_3944:
	s_mov_b32 s0, 0
	s_branch .LBB142_3946
.LBB142_3945:
	s_mov_b32 s0, -1
	s_mov_b32 s6, 0
.LBB142_3946:
	s_and_b32 vcc_lo, exec_lo, s0
	s_cbranch_vccz .LBB142_3985
; %bb.3947:
	s_and_b32 s0, 0xffff, s28
	s_mov_b32 s2, -1
	s_cmp_lt_i32 s0, 5
	s_cbranch_scc1 .LBB142_3968
; %bb.3948:
	s_cmp_lt_i32 s0, 8
	s_cbranch_scc1 .LBB142_3958
; %bb.3949:
	;; [unrolled: 3-line block ×3, first 2 shown]
	s_cmp_gt_i32 s0, 9
	s_cbranch_scc0 .LBB142_3952
; %bb.3951:
	s_mov_b32 s2, 0
	global_store_b128 v[6:7], v[0:3], off
.LBB142_3952:
	s_and_not1_b32 vcc_lo, exec_lo, s2
	s_cbranch_vccnz .LBB142_3954
; %bb.3953:
	s_wait_xcnt 0x0
	s_delay_alu instid0(VALU_DEP_3) | instskip(NEXT) | instid1(VALU_DEP_2)
	v_cvt_f32_f64_e32 v8, v[0:1]
	v_cvt_f32_f64_e32 v9, v[2:3]
	global_store_b64 v[6:7], v[8:9], off
.LBB142_3954:
	s_mov_b32 s2, 0
.LBB142_3955:
	s_delay_alu instid0(SALU_CYCLE_1)
	s_and_not1_b32 vcc_lo, exec_lo, s2
	s_cbranch_vccnz .LBB142_3957
; %bb.3956:
	s_wait_xcnt 0x0
	s_delay_alu instid0(VALU_DEP_3) | instskip(NEXT) | instid1(VALU_DEP_2)
	v_and_or_b32 v5, 0x1ff, v1, v0
	v_and_or_b32 v2, 0x1ff, v3, v2
	v_dual_lshrrev_b32 v8, 8, v1 :: v_dual_lshrrev_b32 v11, 8, v3
	v_bfe_u32 v9, v1, 20, 11
	s_delay_alu instid0(VALU_DEP_4) | instskip(SKIP_2) | instid1(VALU_DEP_4)
	v_cmp_ne_u32_e32 vcc_lo, 0, v5
	v_bfe_u32 v10, v3, 20, 11
	v_dual_lshrrev_b32 v17, 16, v1 :: v_dual_lshrrev_b32 v3, 16, v3
	v_sub_nc_u32_e32 v12, 0x3f1, v9
	v_cndmask_b32_e64 v5, 0, 1, vcc_lo
	v_cmp_ne_u32_e32 vcc_lo, 0, v2
	v_add_nc_u32_e32 v9, 0xfffffc10, v9
	s_delay_alu instid0(VALU_DEP_3) | instskip(SKIP_1) | instid1(VALU_DEP_1)
	v_and_or_b32 v5, 0xffe, v8, v5
	v_cndmask_b32_e64 v2, 0, 1, vcc_lo
	v_and_or_b32 v2, 0xffe, v11, v2
	v_med3_i32 v11, v12, 0, 13
	s_delay_alu instid0(VALU_DEP_4) | instskip(NEXT) | instid1(VALU_DEP_3)
	v_or_b32_e32 v12, 0x1000, v5
	v_or_b32_e32 v13, 0x1000, v2
	s_delay_alu instid0(VALU_DEP_2) | instskip(NEXT) | instid1(VALU_DEP_1)
	v_lshrrev_b32_e32 v14, v11, v12
	v_lshlrev_b32_e32 v11, v11, v14
	s_delay_alu instid0(VALU_DEP_1) | instskip(SKIP_2) | instid1(VALU_DEP_1)
	v_cmp_ne_u32_e32 vcc_lo, v11, v12
	v_lshl_or_b32 v12, v9, 12, v5
	v_cndmask_b32_e64 v11, 0, 1, vcc_lo
	v_or_b32_e32 v11, v14, v11
	v_sub_nc_u32_e32 v8, 0x3f1, v10
	v_add_nc_u32_e32 v10, 0xfffffc10, v10
	s_delay_alu instid0(VALU_DEP_2) | instskip(NEXT) | instid1(VALU_DEP_1)
	v_med3_i32 v8, v8, 0, 13
	v_lshrrev_b32_e32 v15, v8, v13
	s_delay_alu instid0(VALU_DEP_1) | instskip(NEXT) | instid1(VALU_DEP_1)
	v_lshlrev_b32_e32 v8, v8, v15
	v_cmp_ne_u32_e32 vcc_lo, v8, v13
	v_lshl_or_b32 v13, v10, 12, v2
	v_cndmask_b32_e64 v8, 0, 1, vcc_lo
	v_cmp_gt_i32_e32 vcc_lo, 1, v9
	s_delay_alu instid0(VALU_DEP_2) | instskip(SKIP_1) | instid1(VALU_DEP_2)
	v_dual_cndmask_b32 v11, v12, v11, vcc_lo :: v_dual_bitop2_b32 v8, v15, v8 bitop3:0x54
	v_cmp_gt_i32_e32 vcc_lo, 1, v10
	v_dual_lshrrev_b32 v11, 2, v11 :: v_dual_bitop2_b32 v12, 7, v11 bitop3:0x40
	s_delay_alu instid0(VALU_DEP_3) | instskip(NEXT) | instid1(VALU_DEP_1)
	v_cndmask_b32_e32 v8, v13, v8, vcc_lo
	v_dual_lshrrev_b32 v8, 2, v8 :: v_dual_bitop2_b32 v13, 7, v8 bitop3:0x40
	s_delay_alu instid0(VALU_DEP_3) | instskip(SKIP_1) | instid1(VALU_DEP_3)
	v_cmp_lt_i32_e32 vcc_lo, 5, v12
	v_cndmask_b32_e64 v15, 0, 1, vcc_lo
	v_cmp_lt_i32_e32 vcc_lo, 5, v13
	v_cndmask_b32_e64 v16, 0, 1, vcc_lo
	v_cmp_eq_u32_e32 vcc_lo, 3, v13
	v_cndmask_b32_e64 v13, 0, 1, vcc_lo
	v_cmp_eq_u32_e32 vcc_lo, 3, v12
	v_cndmask_b32_e64 v12, 0, 1, vcc_lo
	v_cmp_ne_u32_e32 vcc_lo, 0, v5
	s_delay_alu instid0(VALU_DEP_2) | instskip(NEXT) | instid1(VALU_DEP_1)
	v_or_b32_e32 v12, v12, v15
	v_dual_mov_b32 v14, 0x7e00 :: v_dual_add_nc_u32 v11, v11, v12
	s_delay_alu instid0(VALU_DEP_1)
	v_cndmask_b32_e32 v5, 0x7c00, v14, vcc_lo
	v_cmp_ne_u32_e32 vcc_lo, 0, v2
	v_and_b32_e32 v12, 0x8000, v17
	v_cndmask_b32_e32 v2, 0x7c00, v14, vcc_lo
	v_or_b32_e32 v13, v13, v16
	v_cmp_gt_i32_e32 vcc_lo, 31, v10
	s_delay_alu instid0(VALU_DEP_2) | instskip(NEXT) | instid1(VALU_DEP_1)
	v_add_nc_u32_e32 v8, v8, v13
	v_cndmask_b32_e32 v8, 0x7c00, v8, vcc_lo
	v_cmp_gt_i32_e32 vcc_lo, 31, v9
	v_cndmask_b32_e32 v11, 0x7c00, v11, vcc_lo
	v_cmp_eq_u32_e32 vcc_lo, 0x40f, v10
	s_delay_alu instid0(VALU_DEP_4) | instskip(SKIP_1) | instid1(VALU_DEP_2)
	v_cndmask_b32_e32 v2, v8, v2, vcc_lo
	v_cmp_eq_u32_e32 vcc_lo, 0x40f, v9
	v_and_or_b32 v2, 0x8000, v3, v2
	v_cndmask_b32_e32 v5, v11, v5, vcc_lo
	s_delay_alu instid0(VALU_DEP_1) | instskip(NEXT) | instid1(VALU_DEP_1)
	v_bitop3_b32 v3, v12, 0xffff, v5 bitop3:0xc8
	v_lshl_or_b32 v2, v2, 16, v3
	global_store_b32 v[6:7], v2, off
.LBB142_3957:
	s_mov_b32 s2, 0
.LBB142_3958:
	s_delay_alu instid0(SALU_CYCLE_1)
	s_and_not1_b32 vcc_lo, exec_lo, s2
	s_cbranch_vccnz .LBB142_3967
; %bb.3959:
	s_cmp_lt_i32 s0, 6
	s_mov_b32 s2, -1
	s_cbranch_scc1 .LBB142_3965
; %bb.3960:
	s_cmp_gt_i32 s0, 6
	s_cbranch_scc0 .LBB142_3962
; %bb.3961:
	s_mov_b32 s2, 0
	global_store_b64 v[6:7], v[0:1], off
.LBB142_3962:
	s_and_not1_b32 vcc_lo, exec_lo, s2
	s_cbranch_vccnz .LBB142_3964
; %bb.3963:
	s_wait_xcnt 0x0
	s_delay_alu instid0(VALU_DEP_3)
	v_cvt_f32_f64_e32 v2, v[0:1]
	global_store_b32 v[6:7], v2, off
.LBB142_3964:
	s_mov_b32 s2, 0
.LBB142_3965:
	s_delay_alu instid0(SALU_CYCLE_1)
	s_and_not1_b32 vcc_lo, exec_lo, s2
	s_cbranch_vccnz .LBB142_3967
; %bb.3966:
	s_wait_xcnt 0x0
	s_delay_alu instid0(VALU_DEP_3) | instskip(SKIP_2) | instid1(VALU_DEP_3)
	v_and_or_b32 v2, 0x1ff, v1, v0
	v_lshrrev_b32_e32 v3, 8, v1
	v_bfe_u32 v5, v1, 20, 11
	v_cmp_ne_u32_e32 vcc_lo, 0, v2
	s_delay_alu instid0(VALU_DEP_2) | instskip(SKIP_2) | instid1(VALU_DEP_1)
	v_sub_nc_u32_e32 v8, 0x3f1, v5
	v_add_nc_u32_e32 v5, 0xfffffc10, v5
	v_cndmask_b32_e64 v2, 0, 1, vcc_lo
	v_and_or_b32 v2, 0xffe, v3, v2
	s_delay_alu instid0(VALU_DEP_4) | instskip(NEXT) | instid1(VALU_DEP_2)
	v_med3_i32 v3, v8, 0, 13
	v_or_b32_e32 v8, 0x1000, v2
	s_delay_alu instid0(VALU_DEP_1) | instskip(NEXT) | instid1(VALU_DEP_1)
	v_lshrrev_b32_e32 v9, v3, v8
	v_lshlrev_b32_e32 v3, v3, v9
	s_delay_alu instid0(VALU_DEP_1) | instskip(SKIP_3) | instid1(VALU_DEP_2)
	v_cmp_ne_u32_e32 vcc_lo, v3, v8
	v_lshl_or_b32 v8, v5, 12, v2
	v_cndmask_b32_e64 v3, 0, 1, vcc_lo
	v_cmp_gt_i32_e32 vcc_lo, 1, v5
	v_or_b32_e32 v3, v9, v3
	s_delay_alu instid0(VALU_DEP_1) | instskip(NEXT) | instid1(VALU_DEP_1)
	v_cndmask_b32_e32 v3, v8, v3, vcc_lo
	v_dual_lshrrev_b32 v3, 2, v3 :: v_dual_bitop2_b32 v8, 7, v3 bitop3:0x40
	s_delay_alu instid0(VALU_DEP_1) | instskip(SKIP_4) | instid1(VALU_DEP_2)
	v_cmp_lt_i32_e32 vcc_lo, 5, v8
	v_cndmask_b32_e64 v9, 0, 1, vcc_lo
	v_cmp_eq_u32_e32 vcc_lo, 3, v8
	v_cndmask_b32_e64 v8, 0, 1, vcc_lo
	v_cmp_ne_u32_e32 vcc_lo, 0, v2
	v_or_b32_e32 v8, v8, v9
	v_mov_b32_e32 v9, 0x7e00
	s_delay_alu instid0(VALU_DEP_1) | instskip(SKIP_1) | instid1(VALU_DEP_2)
	v_dual_cndmask_b32 v2, 0x7c00, v9 :: v_dual_add_nc_u32 v3, v3, v8
	v_cmp_gt_i32_e32 vcc_lo, 31, v5
	v_cndmask_b32_e32 v3, 0x7c00, v3, vcc_lo
	v_cmp_eq_u32_e32 vcc_lo, 0x40f, v5
	s_delay_alu instid0(VALU_DEP_2) | instskip(NEXT) | instid1(VALU_DEP_1)
	v_dual_cndmask_b32 v2, v3, v2 :: v_dual_lshrrev_b32 v3, 16, v1
	v_and_or_b32 v2, 0x8000, v3, v2
	global_store_b16 v[6:7], v2, off
.LBB142_3967:
	s_mov_b32 s2, 0
.LBB142_3968:
	s_delay_alu instid0(SALU_CYCLE_1)
	s_and_not1_b32 vcc_lo, exec_lo, s2
	s_cbranch_vccnz .LBB142_3984
; %bb.3969:
	s_cmp_lt_i32 s0, 2
	s_mov_b32 s2, -1
	s_cbranch_scc1 .LBB142_3979
; %bb.3970:
	s_cmp_lt_i32 s0, 3
	s_cbranch_scc1 .LBB142_3976
; %bb.3971:
	s_cmp_gt_i32 s0, 3
	s_cbranch_scc0 .LBB142_3973
; %bb.3972:
	s_wait_xcnt 0x0
	s_delay_alu instid0(VALU_DEP_3) | instskip(SKIP_1) | instid1(VALU_DEP_1)
	v_trunc_f64_e32 v[2:3], v[0:1]
	s_mov_b32 s2, 0
	v_ldexp_f64 v[8:9], v[2:3], 0xffffffe0
	s_delay_alu instid0(VALU_DEP_1) | instskip(NEXT) | instid1(VALU_DEP_1)
	v_floor_f64_e32 v[8:9], v[8:9]
	v_fmamk_f64 v[2:3], v[8:9], 0xc1f00000, v[2:3]
	v_cvt_i32_f64_e32 v9, v[8:9]
	s_delay_alu instid0(VALU_DEP_2)
	v_cvt_u32_f64_e32 v8, v[2:3]
	global_store_b64 v[6:7], v[8:9], off
.LBB142_3973:
	s_and_not1_b32 vcc_lo, exec_lo, s2
	s_cbranch_vccnz .LBB142_3975
; %bb.3974:
	s_wait_xcnt 0x0
	s_delay_alu instid0(VALU_DEP_3)
	v_cvt_i32_f64_e32 v2, v[0:1]
	global_store_b32 v[6:7], v2, off
.LBB142_3975:
	s_mov_b32 s2, 0
.LBB142_3976:
	s_delay_alu instid0(SALU_CYCLE_1)
	s_and_not1_b32 vcc_lo, exec_lo, s2
	s_cbranch_vccnz .LBB142_3978
; %bb.3977:
	s_wait_xcnt 0x0
	s_delay_alu instid0(VALU_DEP_3)
	v_cvt_i32_f64_e32 v2, v[0:1]
	global_store_b16 v[6:7], v2, off
.LBB142_3978:
	s_mov_b32 s2, 0
.LBB142_3979:
	s_delay_alu instid0(SALU_CYCLE_1)
	s_and_not1_b32 vcc_lo, exec_lo, s2
	s_cbranch_vccnz .LBB142_3984
; %bb.3980:
	s_cmp_gt_i32 s0, 0
	s_mov_b32 s0, -1
	s_cbranch_scc0 .LBB142_3982
; %bb.3981:
	s_wait_xcnt 0x0
	s_delay_alu instid0(VALU_DEP_3)
	v_cvt_i32_f64_e32 v2, v[0:1]
	s_mov_b32 s0, 0
	global_store_b8 v[6:7], v2, off
.LBB142_3982:
	s_and_not1_b32 vcc_lo, exec_lo, s0
	s_cbranch_vccnz .LBB142_3984
; %bb.3983:
	s_wait_xcnt 0x0
	s_delay_alu instid0(VALU_DEP_3) | instskip(NEXT) | instid1(VALU_DEP_1)
	v_trunc_f64_e32 v[0:1], v[0:1]
	v_ldexp_f64 v[2:3], v[0:1], 0xffffffe0
	s_delay_alu instid0(VALU_DEP_1) | instskip(NEXT) | instid1(VALU_DEP_1)
	v_floor_f64_e32 v[2:3], v[2:3]
	v_fmamk_f64 v[0:1], v[2:3], 0xc1f00000, v[0:1]
	s_delay_alu instid0(VALU_DEP_1)
	v_cvt_u32_f64_e32 v0, v[0:1]
	global_store_b8 v[6:7], v0, off
.LBB142_3984:
	s_mov_b32 s6, -1
.LBB142_3985:
	s_delay_alu instid0(SALU_CYCLE_1)
	s_and_not1_b32 vcc_lo, exec_lo, s6
	s_cbranch_vccnz .LBB142_4181
; %bb.3986:
	s_wait_xcnt 0x0
	v_dual_mul_f64 v[0:1], s[16:17], v[30:31] :: v_dual_add_nc_u32 v4, s1, v4
	v_mul_f64_e32 v[2:3], s[18:19], v[30:31]
	v_mul_f64_e32 v[6:7], s[14:15], v[22:23]
	;; [unrolled: 1-line block ×3, first 2 shown]
	s_cmp_lt_i32 s28, 11
	v_ashrrev_i32_e32 v5, 31, v4
	v_fmac_f64_e32 v[0:1], s[18:19], v[28:29]
	v_fma_f64 v[2:3], s[16:17], v[28:29], -v[2:3]
	v_fma_f64 v[6:7], s[12:13], v[20:21], -v[6:7]
	v_fmac_f64_e32 v[8:9], s[14:15], v[20:21]
	s_delay_alu instid0(VALU_DEP_4) | instskip(NEXT) | instid1(VALU_DEP_4)
	v_mul_f64_e32 v[10:11], v[0:1], v[38:39]
	v_mul_f64_e32 v[12:13], v[2:3], v[38:39]
	s_delay_alu instid0(VALU_DEP_2) | instskip(NEXT) | instid1(VALU_DEP_2)
	v_fma_f64 v[2:3], v[2:3], v[36:37], -v[10:11]
	v_fmac_f64_e32 v[12:13], v[0:1], v[36:37]
	s_delay_alu instid0(VALU_DEP_2) | instskip(SKIP_1) | instid1(VALU_DEP_3)
	v_add_f64_e32 v[0:1], v[6:7], v[2:3]
	v_add_nc_u64_e32 v[6:7], s[4:5], v[4:5]
	v_add_f64_e32 v[2:3], v[8:9], v[12:13]
	s_cbranch_scc1 .LBB142_4064
; %bb.3987:
	s_and_b32 s2, 0xffff, s28
	s_mov_b32 s7, -1
	s_mov_b32 s3, 0
	s_cmp_gt_i32 s2, 25
	s_mov_b32 s6, 0
	s_mov_b32 s0, 0
	s_cbranch_scc0 .LBB142_4020
; %bb.3988:
	s_cmp_gt_i32 s2, 28
	s_cbranch_scc0 .LBB142_4003
; %bb.3989:
	s_cmp_gt_i32 s2, 43
	;; [unrolled: 3-line block ×3, first 2 shown]
	s_cbranch_scc0 .LBB142_3993
; %bb.3991:
	s_mov_b32 s0, -1
	s_mov_b32 s7, 0
	s_cmp_eq_u32 s2, 46
	s_cbranch_scc0 .LBB142_3993
; %bb.3992:
	s_delay_alu instid0(VALU_DEP_1) | instskip(NEXT) | instid1(VALU_DEP_4)
	v_cvt_f32_f64_e32 v5, v[2:3]
	v_cvt_f32_f64_e32 v8, v[0:1]
	s_mov_b32 s0, 0
	s_mov_b32 s6, -1
	s_delay_alu instid0(VALU_DEP_2) | instskip(NEXT) | instid1(VALU_DEP_2)
	v_bfe_u32 v9, v5, 16, 1
	v_bfe_u32 v10, v8, 16, 1
	v_cmp_o_f32_e32 vcc_lo, v5, v5
	s_delay_alu instid0(VALU_DEP_3) | instskip(NEXT) | instid1(VALU_DEP_3)
	v_add3_u32 v9, v5, v9, 0x7fff
	v_add3_u32 v10, v8, v10, 0x7fff
	s_delay_alu instid0(VALU_DEP_2) | instskip(NEXT) | instid1(VALU_DEP_1)
	v_and_b32_e32 v9, 0xffff0000, v9
	v_dual_cndmask_b32 v5, 0x7fc00000, v9 :: v_dual_lshrrev_b32 v10, 16, v10
	v_cmp_o_f32_e32 vcc_lo, v8, v8
	s_delay_alu instid0(VALU_DEP_2) | instskip(NEXT) | instid1(VALU_DEP_1)
	v_cndmask_b32_e32 v8, 0x7fc0, v10, vcc_lo
	v_or_b32_e32 v5, v5, v8
	global_store_b32 v[6:7], v5, off
.LBB142_3993:
	s_and_b32 vcc_lo, exec_lo, s7
	s_cbranch_vccz .LBB142_3998
; %bb.3994:
	s_cmp_eq_u32 s2, 44
	s_mov_b32 s0, -1
	s_cbranch_scc0 .LBB142_3998
; %bb.3995:
	s_wait_xcnt 0x0
	s_delay_alu instid0(VALU_DEP_3) | instskip(SKIP_2) | instid1(VALU_DEP_2)
	v_cvt_f32_f64_e32 v5, v[0:1]
	v_mov_b32_e32 v8, 0xff
	s_mov_b32 s6, exec_lo
	v_bfe_u32 v9, v5, 23, 8
	s_delay_alu instid0(VALU_DEP_1)
	v_cmpx_ne_u32_e32 0xff, v9
	s_cbranch_execz .LBB142_3997
; %bb.3996:
	v_and_b32_e32 v8, 0x400000, v5
	v_and_or_b32 v9, 0x3fffff, v5, v9
	v_lshrrev_b32_e32 v5, 23, v5
	s_delay_alu instid0(VALU_DEP_3) | instskip(NEXT) | instid1(VALU_DEP_3)
	v_cmp_ne_u32_e32 vcc_lo, 0, v8
	v_cmp_ne_u32_e64 s0, 0, v9
	s_and_b32 s0, vcc_lo, s0
	s_delay_alu instid0(SALU_CYCLE_1) | instskip(NEXT) | instid1(VALU_DEP_1)
	v_cndmask_b32_e64 v8, 0, 1, s0
	v_add_nc_u32_e32 v8, v5, v8
.LBB142_3997:
	s_or_b32 exec_lo, exec_lo, s6
	s_mov_b32 s0, 0
	s_mov_b32 s6, -1
	global_store_b8 v[6:7], v8, off
.LBB142_3998:
	s_mov_b32 s7, 0
.LBB142_3999:
	s_delay_alu instid0(SALU_CYCLE_1)
	s_and_b32 vcc_lo, exec_lo, s7
	s_cbranch_vccz .LBB142_4002
; %bb.4000:
	s_cmp_eq_u32 s2, 29
	s_mov_b32 s0, -1
	s_cbranch_scc0 .LBB142_4002
; %bb.4001:
	s_wait_xcnt 0x0
	s_delay_alu instid0(VALU_DEP_3) | instskip(SKIP_2) | instid1(VALU_DEP_1)
	v_trunc_f64_e32 v[8:9], v[0:1]
	s_mov_b32 s0, 0
	s_mov_b32 s6, -1
	v_ldexp_f64 v[10:11], v[8:9], 0xffffffe0
	s_delay_alu instid0(VALU_DEP_1) | instskip(NEXT) | instid1(VALU_DEP_1)
	v_floor_f64_e32 v[10:11], v[10:11]
	v_fmamk_f64 v[8:9], v[10:11], 0xc1f00000, v[8:9]
	v_cvt_u32_f64_e32 v11, v[10:11]
	s_delay_alu instid0(VALU_DEP_2)
	v_cvt_u32_f64_e32 v10, v[8:9]
	global_store_b64 v[6:7], v[10:11], off
.LBB142_4002:
	s_mov_b32 s7, 0
.LBB142_4003:
	s_delay_alu instid0(SALU_CYCLE_1)
	s_and_b32 vcc_lo, exec_lo, s7
	s_cbranch_vccz .LBB142_4019
; %bb.4004:
	s_cmp_lt_i32 s2, 27
	s_mov_b32 s6, -1
	s_cbranch_scc1 .LBB142_4010
; %bb.4005:
	s_wait_xcnt 0x0
	s_delay_alu instid0(VALU_DEP_3)
	v_cvt_u32_f64_e32 v5, v[0:1]
	s_cmp_gt_i32 s2, 27
	s_cbranch_scc0 .LBB142_4007
; %bb.4006:
	s_mov_b32 s6, 0
	global_store_b32 v[6:7], v5, off
.LBB142_4007:
	s_and_not1_b32 vcc_lo, exec_lo, s6
	s_cbranch_vccnz .LBB142_4009
; %bb.4008:
	global_store_b16 v[6:7], v5, off
.LBB142_4009:
	s_mov_b32 s6, 0
.LBB142_4010:
	s_delay_alu instid0(SALU_CYCLE_1)
	s_and_not1_b32 vcc_lo, exec_lo, s6
	s_cbranch_vccnz .LBB142_4018
; %bb.4011:
	s_wait_xcnt 0x0
	s_delay_alu instid0(VALU_DEP_3) | instskip(SKIP_2) | instid1(VALU_DEP_2)
	v_cvt_f32_f64_e32 v5, v[0:1]
	v_mov_b32_e32 v9, 0x80
	s_mov_b32 s6, exec_lo
	v_and_b32_e32 v8, 0x7fffffff, v5
	s_delay_alu instid0(VALU_DEP_1)
	v_cmpx_gt_u32_e32 0x43800000, v8
	s_cbranch_execz .LBB142_4017
; %bb.4012:
	v_cmp_lt_u32_e32 vcc_lo, 0x3bffffff, v8
	s_mov_b32 s7, 0
                                        ; implicit-def: $vgpr8
	s_and_saveexec_b32 s8, vcc_lo
	s_delay_alu instid0(SALU_CYCLE_1)
	s_xor_b32 s8, exec_lo, s8
	s_cbranch_execnz .LBB142_4242
; %bb.4013:
	s_and_not1_saveexec_b32 s8, s8
	s_cbranch_execnz .LBB142_4243
.LBB142_4014:
	s_or_b32 exec_lo, exec_lo, s8
	v_mov_b32_e32 v9, 0
	s_and_saveexec_b32 s8, s7
.LBB142_4015:
	v_lshrrev_b32_e32 v5, 24, v5
	s_delay_alu instid0(VALU_DEP_1)
	v_and_or_b32 v9, 0x80, v5, v8
.LBB142_4016:
	s_or_b32 exec_lo, exec_lo, s8
.LBB142_4017:
	s_delay_alu instid0(SALU_CYCLE_1)
	s_or_b32 exec_lo, exec_lo, s6
	global_store_b8 v[6:7], v9, off
.LBB142_4018:
	s_mov_b32 s6, -1
.LBB142_4019:
	s_mov_b32 s7, 0
.LBB142_4020:
	s_delay_alu instid0(SALU_CYCLE_1)
	s_and_b32 vcc_lo, exec_lo, s7
	s_cbranch_vccz .LBB142_4060
; %bb.4021:
	s_cmp_gt_i32 s2, 22
	s_mov_b32 s3, -1
	s_cbranch_scc0 .LBB142_4053
; %bb.4022:
	s_cmp_lt_i32 s2, 24
	s_cbranch_scc1 .LBB142_4042
; %bb.4023:
	s_cmp_gt_i32 s2, 24
	s_cbranch_scc0 .LBB142_4031
; %bb.4024:
	s_wait_xcnt 0x0
	s_delay_alu instid0(VALU_DEP_3) | instskip(SKIP_2) | instid1(VALU_DEP_2)
	v_cvt_f32_f64_e32 v5, v[0:1]
	v_mov_b32_e32 v9, 0x80
	s_mov_b32 s3, exec_lo
	v_and_b32_e32 v8, 0x7fffffff, v5
	s_delay_alu instid0(VALU_DEP_1)
	v_cmpx_gt_u32_e32 0x47800000, v8
	s_cbranch_execz .LBB142_4030
; %bb.4025:
	v_cmp_lt_u32_e32 vcc_lo, 0x37ffffff, v8
	s_mov_b32 s6, 0
                                        ; implicit-def: $vgpr8
	s_and_saveexec_b32 s7, vcc_lo
	s_delay_alu instid0(SALU_CYCLE_1)
	s_xor_b32 s7, exec_lo, s7
	s_cbranch_execnz .LBB142_4245
; %bb.4026:
	s_and_not1_saveexec_b32 s7, s7
	s_cbranch_execnz .LBB142_4246
.LBB142_4027:
	s_or_b32 exec_lo, exec_lo, s7
	v_mov_b32_e32 v9, 0
	s_and_saveexec_b32 s7, s6
.LBB142_4028:
	v_lshrrev_b32_e32 v5, 24, v5
	s_delay_alu instid0(VALU_DEP_1)
	v_and_or_b32 v9, 0x80, v5, v8
.LBB142_4029:
	s_or_b32 exec_lo, exec_lo, s7
.LBB142_4030:
	s_delay_alu instid0(SALU_CYCLE_1)
	s_or_b32 exec_lo, exec_lo, s3
	s_mov_b32 s3, 0
	global_store_b8 v[6:7], v9, off
.LBB142_4031:
	s_and_b32 vcc_lo, exec_lo, s3
	s_cbranch_vccz .LBB142_4041
; %bb.4032:
	s_wait_xcnt 0x0
	s_delay_alu instid0(VALU_DEP_3) | instskip(SKIP_1) | instid1(VALU_DEP_1)
	v_cvt_f32_f64_e32 v5, v[0:1]
	s_mov_b32 s3, exec_lo
                                        ; implicit-def: $vgpr8
	v_and_b32_e32 v9, 0x7fffffff, v5
	s_delay_alu instid0(VALU_DEP_1)
	v_cmpx_gt_u32_e32 0x43f00000, v9
	s_xor_b32 s3, exec_lo, s3
	s_cbranch_execz .LBB142_4038
; %bb.4033:
	s_mov_b32 s6, exec_lo
                                        ; implicit-def: $vgpr8
	v_cmpx_lt_u32_e32 0x3c7fffff, v9
	s_xor_b32 s6, exec_lo, s6
; %bb.4034:
	v_bfe_u32 v8, v5, 20, 1
	s_delay_alu instid0(VALU_DEP_1) | instskip(NEXT) | instid1(VALU_DEP_1)
	v_add3_u32 v8, v5, v8, 0x407ffff
	v_and_b32_e32 v9, 0xff00000, v8
	v_lshrrev_b32_e32 v8, 20, v8
	s_delay_alu instid0(VALU_DEP_2) | instskip(NEXT) | instid1(VALU_DEP_2)
	v_cmp_ne_u32_e32 vcc_lo, 0x7f00000, v9
	v_cndmask_b32_e32 v8, 0x7e, v8, vcc_lo
; %bb.4035:
	s_and_not1_saveexec_b32 s6, s6
; %bb.4036:
	v_add_f32_e64 v8, 0x46800000, |v5|
; %bb.4037:
	s_or_b32 exec_lo, exec_lo, s6
                                        ; implicit-def: $vgpr9
.LBB142_4038:
	s_and_not1_saveexec_b32 s3, s3
; %bb.4039:
	v_mov_b32_e32 v8, 0x7f
	v_cmp_lt_u32_e32 vcc_lo, 0x7f800000, v9
	s_delay_alu instid0(VALU_DEP_2)
	v_cndmask_b32_e32 v8, 0x7e, v8, vcc_lo
; %bb.4040:
	s_or_b32 exec_lo, exec_lo, s3
	v_lshrrev_b32_e32 v5, 24, v5
	s_delay_alu instid0(VALU_DEP_1)
	v_and_or_b32 v5, 0x80, v5, v8
	global_store_b8 v[6:7], v5, off
.LBB142_4041:
	s_mov_b32 s3, 0
.LBB142_4042:
	s_delay_alu instid0(SALU_CYCLE_1)
	s_and_not1_b32 vcc_lo, exec_lo, s3
	s_cbranch_vccnz .LBB142_4052
; %bb.4043:
	s_wait_xcnt 0x0
	s_delay_alu instid0(VALU_DEP_3) | instskip(SKIP_1) | instid1(VALU_DEP_1)
	v_cvt_f32_f64_e32 v5, v[0:1]
	s_mov_b32 s3, exec_lo
                                        ; implicit-def: $vgpr8
	v_and_b32_e32 v9, 0x7fffffff, v5
	s_delay_alu instid0(VALU_DEP_1)
	v_cmpx_gt_u32_e32 0x47800000, v9
	s_xor_b32 s3, exec_lo, s3
	s_cbranch_execz .LBB142_4049
; %bb.4044:
	s_mov_b32 s6, exec_lo
                                        ; implicit-def: $vgpr8
	v_cmpx_lt_u32_e32 0x387fffff, v9
	s_xor_b32 s6, exec_lo, s6
; %bb.4045:
	v_bfe_u32 v8, v5, 21, 1
	s_delay_alu instid0(VALU_DEP_1) | instskip(NEXT) | instid1(VALU_DEP_1)
	v_add3_u32 v8, v5, v8, 0x80fffff
	v_lshrrev_b32_e32 v8, 21, v8
; %bb.4046:
	s_and_not1_saveexec_b32 s6, s6
; %bb.4047:
	v_add_f32_e64 v8, 0x43000000, |v5|
; %bb.4048:
	s_or_b32 exec_lo, exec_lo, s6
                                        ; implicit-def: $vgpr9
.LBB142_4049:
	s_and_not1_saveexec_b32 s3, s3
; %bb.4050:
	v_mov_b32_e32 v8, 0x7f
	v_cmp_lt_u32_e32 vcc_lo, 0x7f800000, v9
	s_delay_alu instid0(VALU_DEP_2)
	v_cndmask_b32_e32 v8, 0x7c, v8, vcc_lo
; %bb.4051:
	s_or_b32 exec_lo, exec_lo, s3
	v_lshrrev_b32_e32 v5, 24, v5
	s_delay_alu instid0(VALU_DEP_1)
	v_and_or_b32 v5, 0x80, v5, v8
	global_store_b8 v[6:7], v5, off
.LBB142_4052:
	s_mov_b32 s3, 0
	s_mov_b32 s6, -1
.LBB142_4053:
	s_and_not1_b32 vcc_lo, exec_lo, s3
	s_mov_b32 s3, 0
	s_cbranch_vccnz .LBB142_4060
; %bb.4054:
	s_cmp_gt_i32 s2, 14
	s_mov_b32 s3, -1
	s_cbranch_scc0 .LBB142_4058
; %bb.4055:
	s_cmp_eq_u32 s2, 15
	s_mov_b32 s0, -1
	s_cbranch_scc0 .LBB142_4057
; %bb.4056:
	s_wait_xcnt 0x0
	s_delay_alu instid0(VALU_DEP_3) | instskip(SKIP_2) | instid1(VALU_DEP_1)
	v_cvt_f32_f64_e32 v5, v[0:1]
	s_mov_b32 s0, 0
	s_mov_b32 s6, -1
	v_bfe_u32 v8, v5, 16, 1
	v_cmp_o_f32_e32 vcc_lo, v5, v5
	s_delay_alu instid0(VALU_DEP_2) | instskip(NEXT) | instid1(VALU_DEP_1)
	v_add3_u32 v8, v5, v8, 0x7fff
	v_lshrrev_b32_e32 v8, 16, v8
	s_delay_alu instid0(VALU_DEP_1)
	v_cndmask_b32_e32 v5, 0x7fc0, v8, vcc_lo
	global_store_b16 v[6:7], v5, off
.LBB142_4057:
	s_mov_b32 s3, 0
.LBB142_4058:
	s_delay_alu instid0(SALU_CYCLE_1)
	s_and_b32 vcc_lo, exec_lo, s3
	s_mov_b32 s3, 0
	s_cbranch_vccz .LBB142_4060
; %bb.4059:
	s_cmp_lg_u32 s2, 11
	s_mov_b32 s3, -1
	s_cselect_b32 s0, -1, 0
.LBB142_4060:
	s_delay_alu instid0(SALU_CYCLE_1)
	s_and_b32 vcc_lo, exec_lo, s0
	s_cbranch_vccnz .LBB142_4239
; %bb.4061:
	s_and_not1_b32 vcc_lo, exec_lo, s3
	s_cbranch_vccnz .LBB142_4063
.LBB142_4062:
	s_delay_alu instid0(VALU_DEP_3) | instskip(NEXT) | instid1(VALU_DEP_2)
	v_cmp_neq_f64_e32 vcc_lo, 0, v[0:1]
	v_cmp_neq_f64_e64 s0, 0, v[2:3]
	s_mov_b32 s6, -1
	s_or_b32 s0, vcc_lo, s0
	s_wait_xcnt 0x0
	v_cndmask_b32_e64 v5, 0, 1, s0
	global_store_b8 v[6:7], v5, off
.LBB142_4063:
	s_mov_b32 s0, 0
	s_branch .LBB142_4065
.LBB142_4064:
	s_mov_b32 s0, -1
	s_mov_b32 s6, 0
.LBB142_4065:
	s_and_b32 vcc_lo, exec_lo, s0
	s_cbranch_vccz .LBB142_4104
; %bb.4066:
	s_and_b32 s0, 0xffff, s28
	s_mov_b32 s2, -1
	s_cmp_lt_i32 s0, 5
	s_cbranch_scc1 .LBB142_4087
; %bb.4067:
	s_cmp_lt_i32 s0, 8
	s_cbranch_scc1 .LBB142_4077
; %bb.4068:
	;; [unrolled: 3-line block ×3, first 2 shown]
	s_cmp_gt_i32 s0, 9
	s_cbranch_scc0 .LBB142_4071
; %bb.4070:
	s_mov_b32 s2, 0
	global_store_b128 v[6:7], v[0:3], off
.LBB142_4071:
	s_and_not1_b32 vcc_lo, exec_lo, s2
	s_cbranch_vccnz .LBB142_4073
; %bb.4072:
	s_wait_xcnt 0x0
	s_delay_alu instid0(VALU_DEP_3) | instskip(NEXT) | instid1(VALU_DEP_2)
	v_cvt_f32_f64_e32 v8, v[0:1]
	v_cvt_f32_f64_e32 v9, v[2:3]
	global_store_b64 v[6:7], v[8:9], off
.LBB142_4073:
	s_mov_b32 s2, 0
.LBB142_4074:
	s_delay_alu instid0(SALU_CYCLE_1)
	s_and_not1_b32 vcc_lo, exec_lo, s2
	s_cbranch_vccnz .LBB142_4076
; %bb.4075:
	s_wait_xcnt 0x0
	s_delay_alu instid0(VALU_DEP_3) | instskip(NEXT) | instid1(VALU_DEP_2)
	v_and_or_b32 v5, 0x1ff, v1, v0
	v_and_or_b32 v2, 0x1ff, v3, v2
	v_dual_lshrrev_b32 v8, 8, v1 :: v_dual_lshrrev_b32 v11, 8, v3
	v_bfe_u32 v9, v1, 20, 11
	s_delay_alu instid0(VALU_DEP_4) | instskip(SKIP_2) | instid1(VALU_DEP_4)
	v_cmp_ne_u32_e32 vcc_lo, 0, v5
	v_bfe_u32 v10, v3, 20, 11
	v_dual_lshrrev_b32 v17, 16, v1 :: v_dual_lshrrev_b32 v3, 16, v3
	v_sub_nc_u32_e32 v12, 0x3f1, v9
	v_cndmask_b32_e64 v5, 0, 1, vcc_lo
	v_cmp_ne_u32_e32 vcc_lo, 0, v2
	v_add_nc_u32_e32 v9, 0xfffffc10, v9
	s_delay_alu instid0(VALU_DEP_3) | instskip(SKIP_1) | instid1(VALU_DEP_1)
	v_and_or_b32 v5, 0xffe, v8, v5
	v_cndmask_b32_e64 v2, 0, 1, vcc_lo
	v_and_or_b32 v2, 0xffe, v11, v2
	v_med3_i32 v11, v12, 0, 13
	s_delay_alu instid0(VALU_DEP_4) | instskip(NEXT) | instid1(VALU_DEP_3)
	v_or_b32_e32 v12, 0x1000, v5
	v_or_b32_e32 v13, 0x1000, v2
	s_delay_alu instid0(VALU_DEP_2) | instskip(NEXT) | instid1(VALU_DEP_1)
	v_lshrrev_b32_e32 v14, v11, v12
	v_lshlrev_b32_e32 v11, v11, v14
	s_delay_alu instid0(VALU_DEP_1) | instskip(SKIP_2) | instid1(VALU_DEP_1)
	v_cmp_ne_u32_e32 vcc_lo, v11, v12
	v_lshl_or_b32 v12, v9, 12, v5
	v_cndmask_b32_e64 v11, 0, 1, vcc_lo
	v_or_b32_e32 v11, v14, v11
	v_sub_nc_u32_e32 v8, 0x3f1, v10
	v_add_nc_u32_e32 v10, 0xfffffc10, v10
	s_delay_alu instid0(VALU_DEP_2) | instskip(NEXT) | instid1(VALU_DEP_1)
	v_med3_i32 v8, v8, 0, 13
	v_lshrrev_b32_e32 v15, v8, v13
	s_delay_alu instid0(VALU_DEP_1) | instskip(NEXT) | instid1(VALU_DEP_1)
	v_lshlrev_b32_e32 v8, v8, v15
	v_cmp_ne_u32_e32 vcc_lo, v8, v13
	v_lshl_or_b32 v13, v10, 12, v2
	v_cndmask_b32_e64 v8, 0, 1, vcc_lo
	v_cmp_gt_i32_e32 vcc_lo, 1, v9
	s_delay_alu instid0(VALU_DEP_2) | instskip(SKIP_1) | instid1(VALU_DEP_2)
	v_dual_cndmask_b32 v11, v12, v11, vcc_lo :: v_dual_bitop2_b32 v8, v15, v8 bitop3:0x54
	v_cmp_gt_i32_e32 vcc_lo, 1, v10
	v_dual_lshrrev_b32 v11, 2, v11 :: v_dual_bitop2_b32 v12, 7, v11 bitop3:0x40
	s_delay_alu instid0(VALU_DEP_3) | instskip(NEXT) | instid1(VALU_DEP_1)
	v_cndmask_b32_e32 v8, v13, v8, vcc_lo
	v_dual_lshrrev_b32 v8, 2, v8 :: v_dual_bitop2_b32 v13, 7, v8 bitop3:0x40
	s_delay_alu instid0(VALU_DEP_3) | instskip(SKIP_1) | instid1(VALU_DEP_3)
	v_cmp_lt_i32_e32 vcc_lo, 5, v12
	v_cndmask_b32_e64 v15, 0, 1, vcc_lo
	v_cmp_lt_i32_e32 vcc_lo, 5, v13
	v_cndmask_b32_e64 v16, 0, 1, vcc_lo
	v_cmp_eq_u32_e32 vcc_lo, 3, v13
	v_cndmask_b32_e64 v13, 0, 1, vcc_lo
	v_cmp_eq_u32_e32 vcc_lo, 3, v12
	v_cndmask_b32_e64 v12, 0, 1, vcc_lo
	v_cmp_ne_u32_e32 vcc_lo, 0, v5
	s_delay_alu instid0(VALU_DEP_2) | instskip(NEXT) | instid1(VALU_DEP_1)
	v_or_b32_e32 v12, v12, v15
	v_dual_mov_b32 v14, 0x7e00 :: v_dual_add_nc_u32 v11, v11, v12
	s_delay_alu instid0(VALU_DEP_1)
	v_cndmask_b32_e32 v5, 0x7c00, v14, vcc_lo
	v_cmp_ne_u32_e32 vcc_lo, 0, v2
	v_and_b32_e32 v12, 0x8000, v17
	v_cndmask_b32_e32 v2, 0x7c00, v14, vcc_lo
	v_or_b32_e32 v13, v13, v16
	v_cmp_gt_i32_e32 vcc_lo, 31, v10
	s_delay_alu instid0(VALU_DEP_2) | instskip(NEXT) | instid1(VALU_DEP_1)
	v_add_nc_u32_e32 v8, v8, v13
	v_cndmask_b32_e32 v8, 0x7c00, v8, vcc_lo
	v_cmp_gt_i32_e32 vcc_lo, 31, v9
	v_cndmask_b32_e32 v11, 0x7c00, v11, vcc_lo
	v_cmp_eq_u32_e32 vcc_lo, 0x40f, v10
	s_delay_alu instid0(VALU_DEP_4) | instskip(SKIP_1) | instid1(VALU_DEP_2)
	v_cndmask_b32_e32 v2, v8, v2, vcc_lo
	v_cmp_eq_u32_e32 vcc_lo, 0x40f, v9
	v_and_or_b32 v2, 0x8000, v3, v2
	v_cndmask_b32_e32 v5, v11, v5, vcc_lo
	s_delay_alu instid0(VALU_DEP_1) | instskip(NEXT) | instid1(VALU_DEP_1)
	v_bitop3_b32 v3, v12, 0xffff, v5 bitop3:0xc8
	v_lshl_or_b32 v2, v2, 16, v3
	global_store_b32 v[6:7], v2, off
.LBB142_4076:
	s_mov_b32 s2, 0
.LBB142_4077:
	s_delay_alu instid0(SALU_CYCLE_1)
	s_and_not1_b32 vcc_lo, exec_lo, s2
	s_cbranch_vccnz .LBB142_4086
; %bb.4078:
	s_cmp_lt_i32 s0, 6
	s_mov_b32 s2, -1
	s_cbranch_scc1 .LBB142_4084
; %bb.4079:
	s_cmp_gt_i32 s0, 6
	s_cbranch_scc0 .LBB142_4081
; %bb.4080:
	s_mov_b32 s2, 0
	global_store_b64 v[6:7], v[0:1], off
.LBB142_4081:
	s_and_not1_b32 vcc_lo, exec_lo, s2
	s_cbranch_vccnz .LBB142_4083
; %bb.4082:
	s_wait_xcnt 0x0
	s_delay_alu instid0(VALU_DEP_3)
	v_cvt_f32_f64_e32 v2, v[0:1]
	global_store_b32 v[6:7], v2, off
.LBB142_4083:
	s_mov_b32 s2, 0
.LBB142_4084:
	s_delay_alu instid0(SALU_CYCLE_1)
	s_and_not1_b32 vcc_lo, exec_lo, s2
	s_cbranch_vccnz .LBB142_4086
; %bb.4085:
	s_wait_xcnt 0x0
	s_delay_alu instid0(VALU_DEP_3) | instskip(SKIP_2) | instid1(VALU_DEP_3)
	v_and_or_b32 v2, 0x1ff, v1, v0
	v_lshrrev_b32_e32 v3, 8, v1
	v_bfe_u32 v5, v1, 20, 11
	v_cmp_ne_u32_e32 vcc_lo, 0, v2
	s_delay_alu instid0(VALU_DEP_2) | instskip(SKIP_2) | instid1(VALU_DEP_1)
	v_sub_nc_u32_e32 v8, 0x3f1, v5
	v_add_nc_u32_e32 v5, 0xfffffc10, v5
	v_cndmask_b32_e64 v2, 0, 1, vcc_lo
	v_and_or_b32 v2, 0xffe, v3, v2
	s_delay_alu instid0(VALU_DEP_4) | instskip(NEXT) | instid1(VALU_DEP_2)
	v_med3_i32 v3, v8, 0, 13
	v_or_b32_e32 v8, 0x1000, v2
	s_delay_alu instid0(VALU_DEP_1) | instskip(NEXT) | instid1(VALU_DEP_1)
	v_lshrrev_b32_e32 v9, v3, v8
	v_lshlrev_b32_e32 v3, v3, v9
	s_delay_alu instid0(VALU_DEP_1) | instskip(SKIP_3) | instid1(VALU_DEP_2)
	v_cmp_ne_u32_e32 vcc_lo, v3, v8
	v_lshl_or_b32 v8, v5, 12, v2
	v_cndmask_b32_e64 v3, 0, 1, vcc_lo
	v_cmp_gt_i32_e32 vcc_lo, 1, v5
	v_or_b32_e32 v3, v9, v3
	s_delay_alu instid0(VALU_DEP_1) | instskip(NEXT) | instid1(VALU_DEP_1)
	v_cndmask_b32_e32 v3, v8, v3, vcc_lo
	v_dual_lshrrev_b32 v3, 2, v3 :: v_dual_bitop2_b32 v8, 7, v3 bitop3:0x40
	s_delay_alu instid0(VALU_DEP_1) | instskip(SKIP_4) | instid1(VALU_DEP_2)
	v_cmp_lt_i32_e32 vcc_lo, 5, v8
	v_cndmask_b32_e64 v9, 0, 1, vcc_lo
	v_cmp_eq_u32_e32 vcc_lo, 3, v8
	v_cndmask_b32_e64 v8, 0, 1, vcc_lo
	v_cmp_ne_u32_e32 vcc_lo, 0, v2
	v_or_b32_e32 v8, v8, v9
	v_mov_b32_e32 v9, 0x7e00
	s_delay_alu instid0(VALU_DEP_1) | instskip(SKIP_1) | instid1(VALU_DEP_2)
	v_dual_cndmask_b32 v2, 0x7c00, v9 :: v_dual_add_nc_u32 v3, v3, v8
	v_cmp_gt_i32_e32 vcc_lo, 31, v5
	v_cndmask_b32_e32 v3, 0x7c00, v3, vcc_lo
	v_cmp_eq_u32_e32 vcc_lo, 0x40f, v5
	s_delay_alu instid0(VALU_DEP_2) | instskip(NEXT) | instid1(VALU_DEP_1)
	v_dual_cndmask_b32 v2, v3, v2 :: v_dual_lshrrev_b32 v3, 16, v1
	v_and_or_b32 v2, 0x8000, v3, v2
	global_store_b16 v[6:7], v2, off
.LBB142_4086:
	s_mov_b32 s2, 0
.LBB142_4087:
	s_delay_alu instid0(SALU_CYCLE_1)
	s_and_not1_b32 vcc_lo, exec_lo, s2
	s_cbranch_vccnz .LBB142_4103
; %bb.4088:
	s_cmp_lt_i32 s0, 2
	s_mov_b32 s2, -1
	s_cbranch_scc1 .LBB142_4098
; %bb.4089:
	s_cmp_lt_i32 s0, 3
	s_cbranch_scc1 .LBB142_4095
; %bb.4090:
	s_cmp_gt_i32 s0, 3
	s_cbranch_scc0 .LBB142_4092
; %bb.4091:
	s_wait_xcnt 0x0
	s_delay_alu instid0(VALU_DEP_3) | instskip(SKIP_1) | instid1(VALU_DEP_1)
	v_trunc_f64_e32 v[2:3], v[0:1]
	s_mov_b32 s2, 0
	v_ldexp_f64 v[8:9], v[2:3], 0xffffffe0
	s_delay_alu instid0(VALU_DEP_1) | instskip(NEXT) | instid1(VALU_DEP_1)
	v_floor_f64_e32 v[8:9], v[8:9]
	v_fmamk_f64 v[2:3], v[8:9], 0xc1f00000, v[2:3]
	v_cvt_i32_f64_e32 v9, v[8:9]
	s_delay_alu instid0(VALU_DEP_2)
	v_cvt_u32_f64_e32 v8, v[2:3]
	global_store_b64 v[6:7], v[8:9], off
.LBB142_4092:
	s_and_not1_b32 vcc_lo, exec_lo, s2
	s_cbranch_vccnz .LBB142_4094
; %bb.4093:
	s_wait_xcnt 0x0
	s_delay_alu instid0(VALU_DEP_3)
	v_cvt_i32_f64_e32 v2, v[0:1]
	global_store_b32 v[6:7], v2, off
.LBB142_4094:
	s_mov_b32 s2, 0
.LBB142_4095:
	s_delay_alu instid0(SALU_CYCLE_1)
	s_and_not1_b32 vcc_lo, exec_lo, s2
	s_cbranch_vccnz .LBB142_4097
; %bb.4096:
	s_wait_xcnt 0x0
	s_delay_alu instid0(VALU_DEP_3)
	v_cvt_i32_f64_e32 v2, v[0:1]
	global_store_b16 v[6:7], v2, off
.LBB142_4097:
	s_mov_b32 s2, 0
.LBB142_4098:
	s_delay_alu instid0(SALU_CYCLE_1)
	s_and_not1_b32 vcc_lo, exec_lo, s2
	s_cbranch_vccnz .LBB142_4103
; %bb.4099:
	s_cmp_gt_i32 s0, 0
	s_mov_b32 s0, -1
	s_cbranch_scc0 .LBB142_4101
; %bb.4100:
	s_wait_xcnt 0x0
	s_delay_alu instid0(VALU_DEP_3)
	v_cvt_i32_f64_e32 v2, v[0:1]
	s_mov_b32 s0, 0
	global_store_b8 v[6:7], v2, off
.LBB142_4101:
	s_and_not1_b32 vcc_lo, exec_lo, s0
	s_cbranch_vccnz .LBB142_4103
; %bb.4102:
	s_wait_xcnt 0x0
	s_delay_alu instid0(VALU_DEP_3) | instskip(NEXT) | instid1(VALU_DEP_1)
	v_trunc_f64_e32 v[0:1], v[0:1]
	v_ldexp_f64 v[2:3], v[0:1], 0xffffffe0
	s_delay_alu instid0(VALU_DEP_1) | instskip(NEXT) | instid1(VALU_DEP_1)
	v_floor_f64_e32 v[2:3], v[2:3]
	v_fmamk_f64 v[0:1], v[2:3], 0xc1f00000, v[0:1]
	s_delay_alu instid0(VALU_DEP_1)
	v_cvt_u32_f64_e32 v0, v[0:1]
	global_store_b8 v[6:7], v0, off
.LBB142_4103:
	s_mov_b32 s6, -1
.LBB142_4104:
	s_delay_alu instid0(SALU_CYCLE_1)
	s_and_not1_b32 vcc_lo, exec_lo, s6
	s_cbranch_vccnz .LBB142_4181
; %bb.4105:
	s_wait_xcnt 0x0
	v_dual_mul_f64 v[0:1], s[16:17], v[42:43] :: v_dual_add_nc_u32 v4, s1, v4
	v_mul_f64_e32 v[2:3], s[18:19], v[42:43]
	v_mul_f64_e32 v[6:7], s[14:15], v[34:35]
	;; [unrolled: 1-line block ×3, first 2 shown]
	s_cmp_lt_i32 s28, 11
	v_ashrrev_i32_e32 v5, 31, v4
	s_delay_alu instid0(VALU_DEP_1) | instskip(SKIP_4) | instid1(VALU_DEP_4)
	v_add_nc_u64_e32 v[4:5], s[4:5], v[4:5]
	v_fmac_f64_e32 v[0:1], s[18:19], v[40:41]
	v_fma_f64 v[2:3], s[16:17], v[40:41], -v[2:3]
	v_fma_f64 v[6:7], s[12:13], v[32:33], -v[6:7]
	v_fmac_f64_e32 v[8:9], s[14:15], v[32:33]
	v_mul_f64_e32 v[10:11], v[0:1], v[46:47]
	s_delay_alu instid0(VALU_DEP_4) | instskip(NEXT) | instid1(VALU_DEP_2)
	v_mul_f64_e32 v[12:13], v[2:3], v[46:47]
	v_fma_f64 v[2:3], v[2:3], v[44:45], -v[10:11]
	s_delay_alu instid0(VALU_DEP_2) | instskip(NEXT) | instid1(VALU_DEP_2)
	v_fmac_f64_e32 v[12:13], v[0:1], v[44:45]
	v_add_f64_e32 v[0:1], v[6:7], v[2:3]
	s_delay_alu instid0(VALU_DEP_2)
	v_add_f64_e32 v[2:3], v[8:9], v[12:13]
	s_cbranch_scc1 .LBB142_4226
; %bb.4106:
	s_and_b32 s2, 0xffff, s28
	s_mov_b32 s3, -1
	s_mov_b32 s1, 0
	s_cmp_gt_i32 s2, 25
	s_mov_b32 s0, 0
	s_cbranch_scc0 .LBB142_4139
; %bb.4107:
	s_cmp_gt_i32 s2, 28
	s_cbranch_scc0 .LBB142_4123
; %bb.4108:
	s_cmp_gt_i32 s2, 43
	;; [unrolled: 3-line block ×3, first 2 shown]
	s_cbranch_scc0 .LBB142_4113
; %bb.4110:
	s_cmp_eq_u32 s2, 46
	s_mov_b32 s0, -1
	s_cbranch_scc0 .LBB142_4112
; %bb.4111:
	s_delay_alu instid0(VALU_DEP_1) | instskip(NEXT) | instid1(VALU_DEP_3)
	v_cvt_f32_f64_e32 v6, v[2:3]
	v_cvt_f32_f64_e32 v7, v[0:1]
	s_mov_b32 s0, 0
	s_delay_alu instid0(VALU_DEP_2) | instskip(NEXT) | instid1(VALU_DEP_2)
	v_bfe_u32 v8, v6, 16, 1
	v_bfe_u32 v9, v7, 16, 1
	v_cmp_o_f32_e32 vcc_lo, v6, v6
	s_delay_alu instid0(VALU_DEP_3) | instskip(NEXT) | instid1(VALU_DEP_3)
	v_add3_u32 v8, v6, v8, 0x7fff
	v_add3_u32 v9, v7, v9, 0x7fff
	s_delay_alu instid0(VALU_DEP_2) | instskip(NEXT) | instid1(VALU_DEP_1)
	v_and_b32_e32 v8, 0xffff0000, v8
	v_dual_cndmask_b32 v6, 0x7fc00000, v8 :: v_dual_lshrrev_b32 v9, 16, v9
	v_cmp_o_f32_e32 vcc_lo, v7, v7
	s_delay_alu instid0(VALU_DEP_2) | instskip(NEXT) | instid1(VALU_DEP_1)
	v_cndmask_b32_e32 v7, 0x7fc0, v9, vcc_lo
	v_or_b32_e32 v6, v6, v7
	global_store_b32 v[4:5], v6, off
.LBB142_4112:
	s_mov_b32 s3, 0
.LBB142_4113:
	s_delay_alu instid0(SALU_CYCLE_1)
	s_and_b32 vcc_lo, exec_lo, s3
	s_cbranch_vccz .LBB142_4118
; %bb.4114:
	s_cmp_eq_u32 s2, 44
	s_mov_b32 s0, -1
	s_cbranch_scc0 .LBB142_4118
; %bb.4115:
	s_wait_xcnt 0x0
	s_delay_alu instid0(VALU_DEP_2) | instskip(SKIP_2) | instid1(VALU_DEP_2)
	v_cvt_f32_f64_e32 v6, v[0:1]
	v_mov_b32_e32 v7, 0xff
	s_mov_b32 s3, exec_lo
	v_bfe_u32 v8, v6, 23, 8
	s_delay_alu instid0(VALU_DEP_1)
	v_cmpx_ne_u32_e32 0xff, v8
	s_cbranch_execz .LBB142_4117
; %bb.4116:
	v_and_b32_e32 v7, 0x400000, v6
	v_and_or_b32 v8, 0x3fffff, v6, v8
	v_lshrrev_b32_e32 v6, 23, v6
	s_delay_alu instid0(VALU_DEP_3) | instskip(NEXT) | instid1(VALU_DEP_3)
	v_cmp_ne_u32_e32 vcc_lo, 0, v7
	v_cmp_ne_u32_e64 s0, 0, v8
	s_and_b32 s0, vcc_lo, s0
	s_delay_alu instid0(SALU_CYCLE_1) | instskip(NEXT) | instid1(VALU_DEP_1)
	v_cndmask_b32_e64 v7, 0, 1, s0
	v_add_nc_u32_e32 v7, v6, v7
.LBB142_4117:
	s_or_b32 exec_lo, exec_lo, s3
	s_mov_b32 s0, 0
	global_store_b8 v[4:5], v7, off
.LBB142_4118:
	s_mov_b32 s3, 0
.LBB142_4119:
	s_delay_alu instid0(SALU_CYCLE_1)
	s_and_b32 vcc_lo, exec_lo, s3
	s_cbranch_vccz .LBB142_4122
; %bb.4120:
	s_cmp_eq_u32 s2, 29
	s_mov_b32 s0, -1
	s_cbranch_scc0 .LBB142_4122
; %bb.4121:
	s_wait_xcnt 0x0
	s_delay_alu instid0(VALU_DEP_2) | instskip(SKIP_1) | instid1(VALU_DEP_1)
	v_trunc_f64_e32 v[6:7], v[0:1]
	s_mov_b32 s0, 0
	v_ldexp_f64 v[8:9], v[6:7], 0xffffffe0
	s_delay_alu instid0(VALU_DEP_1) | instskip(NEXT) | instid1(VALU_DEP_1)
	v_floor_f64_e32 v[8:9], v[8:9]
	v_fmamk_f64 v[6:7], v[8:9], 0xc1f00000, v[6:7]
	v_cvt_u32_f64_e32 v9, v[8:9]
	s_delay_alu instid0(VALU_DEP_2)
	v_cvt_u32_f64_e32 v8, v[6:7]
	global_store_b64 v[4:5], v[8:9], off
.LBB142_4122:
	s_mov_b32 s3, 0
.LBB142_4123:
	s_delay_alu instid0(SALU_CYCLE_1)
	s_and_b32 vcc_lo, exec_lo, s3
	s_cbranch_vccz .LBB142_4138
; %bb.4124:
	s_cmp_lt_i32 s2, 27
	s_mov_b32 s3, -1
	s_cbranch_scc1 .LBB142_4130
; %bb.4125:
	s_wait_xcnt 0x0
	s_delay_alu instid0(VALU_DEP_2)
	v_cvt_u32_f64_e32 v6, v[0:1]
	s_cmp_gt_i32 s2, 27
	s_cbranch_scc0 .LBB142_4127
; %bb.4126:
	s_mov_b32 s3, 0
	global_store_b32 v[4:5], v6, off
.LBB142_4127:
	s_and_not1_b32 vcc_lo, exec_lo, s3
	s_cbranch_vccnz .LBB142_4129
; %bb.4128:
	global_store_b16 v[4:5], v6, off
.LBB142_4129:
	s_mov_b32 s3, 0
.LBB142_4130:
	s_delay_alu instid0(SALU_CYCLE_1)
	s_and_not1_b32 vcc_lo, exec_lo, s3
	s_cbranch_vccnz .LBB142_4138
; %bb.4131:
	s_wait_xcnt 0x0
	s_delay_alu instid0(VALU_DEP_2) | instskip(SKIP_2) | instid1(VALU_DEP_2)
	v_cvt_f32_f64_e32 v6, v[0:1]
	v_mov_b32_e32 v8, 0x80
	s_mov_b32 s3, exec_lo
	v_and_b32_e32 v7, 0x7fffffff, v6
	s_delay_alu instid0(VALU_DEP_1)
	v_cmpx_gt_u32_e32 0x43800000, v7
	s_cbranch_execz .LBB142_4137
; %bb.4132:
	v_cmp_lt_u32_e32 vcc_lo, 0x3bffffff, v7
	s_mov_b32 s4, 0
                                        ; implicit-def: $vgpr7
	s_and_saveexec_b32 s5, vcc_lo
	s_delay_alu instid0(SALU_CYCLE_1)
	s_xor_b32 s5, exec_lo, s5
	s_cbranch_execnz .LBB142_4247
; %bb.4133:
	s_and_not1_saveexec_b32 s5, s5
	s_cbranch_execnz .LBB142_4248
.LBB142_4134:
	s_or_b32 exec_lo, exec_lo, s5
	v_mov_b32_e32 v8, 0
	s_and_saveexec_b32 s5, s4
.LBB142_4135:
	v_lshrrev_b32_e32 v6, 24, v6
	s_delay_alu instid0(VALU_DEP_1)
	v_and_or_b32 v8, 0x80, v6, v7
.LBB142_4136:
	s_or_b32 exec_lo, exec_lo, s5
.LBB142_4137:
	s_delay_alu instid0(SALU_CYCLE_1)
	s_or_b32 exec_lo, exec_lo, s3
	global_store_b8 v[4:5], v8, off
.LBB142_4138:
	s_mov_b32 s3, 0
.LBB142_4139:
	s_delay_alu instid0(SALU_CYCLE_1)
	s_and_b32 vcc_lo, exec_lo, s3
	s_cbranch_vccz .LBB142_4179
; %bb.4140:
	s_cmp_gt_i32 s2, 22
	s_mov_b32 s1, -1
	s_cbranch_scc0 .LBB142_4172
; %bb.4141:
	s_cmp_lt_i32 s2, 24
	s_cbranch_scc1 .LBB142_4161
; %bb.4142:
	s_cmp_gt_i32 s2, 24
	s_cbranch_scc0 .LBB142_4150
; %bb.4143:
	s_wait_xcnt 0x0
	s_delay_alu instid0(VALU_DEP_2) | instskip(SKIP_2) | instid1(VALU_DEP_2)
	v_cvt_f32_f64_e32 v6, v[0:1]
	v_mov_b32_e32 v8, 0x80
	s_mov_b32 s1, exec_lo
	v_and_b32_e32 v7, 0x7fffffff, v6
	s_delay_alu instid0(VALU_DEP_1)
	v_cmpx_gt_u32_e32 0x47800000, v7
	s_cbranch_execz .LBB142_4149
; %bb.4144:
	v_cmp_lt_u32_e32 vcc_lo, 0x37ffffff, v7
	s_mov_b32 s3, 0
                                        ; implicit-def: $vgpr7
	s_and_saveexec_b32 s4, vcc_lo
	s_delay_alu instid0(SALU_CYCLE_1)
	s_xor_b32 s4, exec_lo, s4
	s_cbranch_execnz .LBB142_4249
; %bb.4145:
	s_and_not1_saveexec_b32 s4, s4
	s_cbranch_execnz .LBB142_4250
.LBB142_4146:
	s_or_b32 exec_lo, exec_lo, s4
	v_mov_b32_e32 v8, 0
	s_and_saveexec_b32 s4, s3
.LBB142_4147:
	v_lshrrev_b32_e32 v6, 24, v6
	s_delay_alu instid0(VALU_DEP_1)
	v_and_or_b32 v8, 0x80, v6, v7
.LBB142_4148:
	s_or_b32 exec_lo, exec_lo, s4
.LBB142_4149:
	s_delay_alu instid0(SALU_CYCLE_1)
	s_or_b32 exec_lo, exec_lo, s1
	s_mov_b32 s1, 0
	global_store_b8 v[4:5], v8, off
.LBB142_4150:
	s_and_b32 vcc_lo, exec_lo, s1
	s_cbranch_vccz .LBB142_4160
; %bb.4151:
	s_wait_xcnt 0x0
	s_delay_alu instid0(VALU_DEP_2) | instskip(SKIP_1) | instid1(VALU_DEP_1)
	v_cvt_f32_f64_e32 v6, v[0:1]
	s_mov_b32 s1, exec_lo
                                        ; implicit-def: $vgpr7
	v_and_b32_e32 v8, 0x7fffffff, v6
	s_delay_alu instid0(VALU_DEP_1)
	v_cmpx_gt_u32_e32 0x43f00000, v8
	s_xor_b32 s1, exec_lo, s1
	s_cbranch_execz .LBB142_4157
; %bb.4152:
	s_mov_b32 s3, exec_lo
                                        ; implicit-def: $vgpr7
	v_cmpx_lt_u32_e32 0x3c7fffff, v8
	s_xor_b32 s3, exec_lo, s3
; %bb.4153:
	v_bfe_u32 v7, v6, 20, 1
	s_delay_alu instid0(VALU_DEP_1) | instskip(NEXT) | instid1(VALU_DEP_1)
	v_add3_u32 v7, v6, v7, 0x407ffff
	v_and_b32_e32 v8, 0xff00000, v7
	v_lshrrev_b32_e32 v7, 20, v7
	s_delay_alu instid0(VALU_DEP_2) | instskip(NEXT) | instid1(VALU_DEP_2)
	v_cmp_ne_u32_e32 vcc_lo, 0x7f00000, v8
	v_cndmask_b32_e32 v7, 0x7e, v7, vcc_lo
; %bb.4154:
	s_and_not1_saveexec_b32 s3, s3
; %bb.4155:
	v_add_f32_e64 v7, 0x46800000, |v6|
; %bb.4156:
	s_or_b32 exec_lo, exec_lo, s3
                                        ; implicit-def: $vgpr8
.LBB142_4157:
	s_and_not1_saveexec_b32 s1, s1
; %bb.4158:
	v_mov_b32_e32 v7, 0x7f
	v_cmp_lt_u32_e32 vcc_lo, 0x7f800000, v8
	s_delay_alu instid0(VALU_DEP_2)
	v_cndmask_b32_e32 v7, 0x7e, v7, vcc_lo
; %bb.4159:
	s_or_b32 exec_lo, exec_lo, s1
	v_lshrrev_b32_e32 v6, 24, v6
	s_delay_alu instid0(VALU_DEP_1)
	v_and_or_b32 v6, 0x80, v6, v7
	global_store_b8 v[4:5], v6, off
.LBB142_4160:
	s_mov_b32 s1, 0
.LBB142_4161:
	s_delay_alu instid0(SALU_CYCLE_1)
	s_and_not1_b32 vcc_lo, exec_lo, s1
	s_cbranch_vccnz .LBB142_4171
; %bb.4162:
	s_wait_xcnt 0x0
	s_delay_alu instid0(VALU_DEP_2) | instskip(SKIP_1) | instid1(VALU_DEP_1)
	v_cvt_f32_f64_e32 v6, v[0:1]
	s_mov_b32 s1, exec_lo
                                        ; implicit-def: $vgpr7
	v_and_b32_e32 v8, 0x7fffffff, v6
	s_delay_alu instid0(VALU_DEP_1)
	v_cmpx_gt_u32_e32 0x47800000, v8
	s_xor_b32 s1, exec_lo, s1
	s_cbranch_execz .LBB142_4168
; %bb.4163:
	s_mov_b32 s3, exec_lo
                                        ; implicit-def: $vgpr7
	v_cmpx_lt_u32_e32 0x387fffff, v8
	s_xor_b32 s3, exec_lo, s3
; %bb.4164:
	v_bfe_u32 v7, v6, 21, 1
	s_delay_alu instid0(VALU_DEP_1) | instskip(NEXT) | instid1(VALU_DEP_1)
	v_add3_u32 v7, v6, v7, 0x80fffff
	v_lshrrev_b32_e32 v7, 21, v7
; %bb.4165:
	s_and_not1_saveexec_b32 s3, s3
; %bb.4166:
	v_add_f32_e64 v7, 0x43000000, |v6|
; %bb.4167:
	s_or_b32 exec_lo, exec_lo, s3
                                        ; implicit-def: $vgpr8
.LBB142_4168:
	s_and_not1_saveexec_b32 s1, s1
; %bb.4169:
	v_mov_b32_e32 v7, 0x7f
	v_cmp_lt_u32_e32 vcc_lo, 0x7f800000, v8
	s_delay_alu instid0(VALU_DEP_2)
	v_cndmask_b32_e32 v7, 0x7c, v7, vcc_lo
; %bb.4170:
	s_or_b32 exec_lo, exec_lo, s1
	v_lshrrev_b32_e32 v6, 24, v6
	s_delay_alu instid0(VALU_DEP_1)
	v_and_or_b32 v6, 0x80, v6, v7
	global_store_b8 v[4:5], v6, off
.LBB142_4171:
	s_mov_b32 s1, 0
.LBB142_4172:
	s_delay_alu instid0(SALU_CYCLE_1)
	s_and_not1_b32 vcc_lo, exec_lo, s1
	s_mov_b32 s1, 0
	s_cbranch_vccnz .LBB142_4179
; %bb.4173:
	s_cmp_gt_i32 s2, 14
	s_mov_b32 s1, -1
	s_cbranch_scc0 .LBB142_4177
; %bb.4174:
	s_cmp_eq_u32 s2, 15
	s_mov_b32 s0, -1
	s_cbranch_scc0 .LBB142_4176
; %bb.4175:
	s_wait_xcnt 0x0
	s_delay_alu instid0(VALU_DEP_2) | instskip(SKIP_1) | instid1(VALU_DEP_1)
	v_cvt_f32_f64_e32 v6, v[0:1]
	s_mov_b32 s0, 0
	v_bfe_u32 v7, v6, 16, 1
	v_cmp_o_f32_e32 vcc_lo, v6, v6
	s_delay_alu instid0(VALU_DEP_2) | instskip(NEXT) | instid1(VALU_DEP_1)
	v_add3_u32 v7, v6, v7, 0x7fff
	v_lshrrev_b32_e32 v7, 16, v7
	s_delay_alu instid0(VALU_DEP_1)
	v_cndmask_b32_e32 v6, 0x7fc0, v7, vcc_lo
	global_store_b16 v[4:5], v6, off
.LBB142_4176:
	s_mov_b32 s1, 0
.LBB142_4177:
	s_delay_alu instid0(SALU_CYCLE_1)
	s_and_b32 vcc_lo, exec_lo, s1
	s_mov_b32 s1, 0
	s_cbranch_vccz .LBB142_4179
; %bb.4178:
	s_cmp_lg_u32 s2, 11
	s_mov_b32 s1, -1
	s_cselect_b32 s0, -1, 0
.LBB142_4179:
	s_delay_alu instid0(SALU_CYCLE_1)
	s_and_b32 vcc_lo, exec_lo, s0
	s_cbranch_vccnz .LBB142_4244
.LBB142_4180:
	s_mov_b32 s0, 0
	s_branch .LBB142_4182
.LBB142_4181:
	s_mov_b32 s0, 0
	s_mov_b32 s1, 0
                                        ; implicit-def: $sgpr28
                                        ; implicit-def: $vgpr4_vgpr5
                                        ; implicit-def: $vgpr2_vgpr3
.LBB142_4182:
	s_and_b32 s29, s0, exec_lo
	s_and_not1_b32 s0, s27, exec_lo
	s_and_b32 s2, s24, exec_lo
	s_and_b32 s24, s1, exec_lo
	s_or_b32 s27, s0, s2
.LBB142_4183:
	s_wait_xcnt 0x0
	s_or_b32 exec_lo, exec_lo, s26
	s_and_saveexec_b32 s0, s27
	s_cbranch_execnz .LBB142_4187
; %bb.4184:
	s_or_b32 exec_lo, exec_lo, s0
	s_and_saveexec_b32 s0, s24
	s_delay_alu instid0(SALU_CYCLE_1)
	s_xor_b32 s1, exec_lo, s0
	s_cbranch_execnz .LBB142_4188
.LBB142_4185:
	s_or_b32 exec_lo, exec_lo, s1
	s_and_saveexec_b32 s0, s29
	s_cbranch_execnz .LBB142_4189
.LBB142_4186:
	s_endpgm
.LBB142_4187:
	; divergent unreachable
	s_or_b32 exec_lo, exec_lo, s0
	s_and_saveexec_b32 s0, s24
	s_delay_alu instid0(SALU_CYCLE_1)
	s_xor_b32 s1, exec_lo, s0
	s_cbranch_execz .LBB142_4185
.LBB142_4188:
	s_wait_loadcnt 0x0
	s_delay_alu instid0(VALU_DEP_1) | instskip(NEXT) | instid1(VALU_DEP_2)
	v_cmp_neq_f64_e32 vcc_lo, 0, v[0:1]
	v_cmp_neq_f64_e64 s0, 0, v[2:3]
	s_or_b32 s0, vcc_lo, s0
	s_delay_alu instid0(SALU_CYCLE_1)
	v_cndmask_b32_e64 v6, 0, 1, s0
	global_store_b8 v[4:5], v6, off
	s_wait_xcnt 0x0
	s_or_b32 exec_lo, exec_lo, s1
	s_and_saveexec_b32 s0, s29
	s_cbranch_execz .LBB142_4186
.LBB142_4189:
	s_sext_i32_i16 s1, s28
	s_mov_b32 s0, -1
	s_cmp_lt_i32 s1, 5
	s_cbranch_scc1 .LBB142_4210
; %bb.4190:
	s_cmp_lt_i32 s1, 8
	s_cbranch_scc1 .LBB142_4200
; %bb.4191:
	;; [unrolled: 3-line block ×3, first 2 shown]
	s_cmp_gt_i32 s1, 9
	s_cbranch_scc0 .LBB142_4194
; %bb.4193:
	s_mov_b32 s0, 0
	s_wait_loadcnt 0x0
	global_store_b128 v[4:5], v[0:3], off
.LBB142_4194:
	s_and_not1_b32 vcc_lo, exec_lo, s0
	s_cbranch_vccnz .LBB142_4196
; %bb.4195:
	s_wait_loadcnt 0x0
	v_cvt_f32_f64_e32 v6, v[0:1]
	v_cvt_f32_f64_e32 v7, v[2:3]
	global_store_b64 v[4:5], v[6:7], off
.LBB142_4196:
	s_mov_b32 s0, 0
.LBB142_4197:
	s_delay_alu instid0(SALU_CYCLE_1)
	s_and_not1_b32 vcc_lo, exec_lo, s0
	s_cbranch_vccnz .LBB142_4199
; %bb.4198:
	s_wait_loadcnt 0x0
	v_and_or_b32 v6, 0x1ff, v1, v0
	v_and_or_b32 v2, 0x1ff, v3, v2
	v_dual_lshrrev_b32 v7, 8, v1 :: v_dual_lshrrev_b32 v10, 8, v3
	v_bfe_u32 v8, v1, 20, 11
	s_delay_alu instid0(VALU_DEP_4) | instskip(SKIP_2) | instid1(VALU_DEP_4)
	v_cmp_ne_u32_e32 vcc_lo, 0, v6
	v_bfe_u32 v9, v3, 20, 11
	v_dual_lshrrev_b32 v16, 16, v1 :: v_dual_lshrrev_b32 v3, 16, v3
	v_sub_nc_u32_e32 v11, 0x3f1, v8
	v_cndmask_b32_e64 v6, 0, 1, vcc_lo
	v_cmp_ne_u32_e32 vcc_lo, 0, v2
	v_add_nc_u32_e32 v8, 0xfffffc10, v8
	s_delay_alu instid0(VALU_DEP_3) | instskip(SKIP_1) | instid1(VALU_DEP_1)
	v_and_or_b32 v6, 0xffe, v7, v6
	v_cndmask_b32_e64 v2, 0, 1, vcc_lo
	v_and_or_b32 v2, 0xffe, v10, v2
	v_med3_i32 v10, v11, 0, 13
	s_delay_alu instid0(VALU_DEP_4) | instskip(NEXT) | instid1(VALU_DEP_3)
	v_or_b32_e32 v11, 0x1000, v6
	v_or_b32_e32 v12, 0x1000, v2
	s_delay_alu instid0(VALU_DEP_2) | instskip(NEXT) | instid1(VALU_DEP_1)
	v_lshrrev_b32_e32 v13, v10, v11
	v_lshlrev_b32_e32 v10, v10, v13
	s_delay_alu instid0(VALU_DEP_1) | instskip(SKIP_2) | instid1(VALU_DEP_1)
	v_cmp_ne_u32_e32 vcc_lo, v10, v11
	v_lshl_or_b32 v11, v8, 12, v6
	v_cndmask_b32_e64 v10, 0, 1, vcc_lo
	v_or_b32_e32 v10, v13, v10
	v_sub_nc_u32_e32 v7, 0x3f1, v9
	v_add_nc_u32_e32 v9, 0xfffffc10, v9
	s_delay_alu instid0(VALU_DEP_2) | instskip(NEXT) | instid1(VALU_DEP_1)
	v_med3_i32 v7, v7, 0, 13
	v_lshrrev_b32_e32 v14, v7, v12
	s_delay_alu instid0(VALU_DEP_1) | instskip(NEXT) | instid1(VALU_DEP_1)
	v_lshlrev_b32_e32 v7, v7, v14
	v_cmp_ne_u32_e32 vcc_lo, v7, v12
	v_lshl_or_b32 v12, v9, 12, v2
	v_cndmask_b32_e64 v7, 0, 1, vcc_lo
	v_cmp_gt_i32_e32 vcc_lo, 1, v8
	s_delay_alu instid0(VALU_DEP_2) | instskip(SKIP_1) | instid1(VALU_DEP_2)
	v_dual_cndmask_b32 v10, v11, v10, vcc_lo :: v_dual_bitop2_b32 v7, v14, v7 bitop3:0x54
	v_cmp_gt_i32_e32 vcc_lo, 1, v9
	v_dual_lshrrev_b32 v10, 2, v10 :: v_dual_bitop2_b32 v11, 7, v10 bitop3:0x40
	s_delay_alu instid0(VALU_DEP_3) | instskip(NEXT) | instid1(VALU_DEP_1)
	v_cndmask_b32_e32 v7, v12, v7, vcc_lo
	v_dual_lshrrev_b32 v7, 2, v7 :: v_dual_bitop2_b32 v12, 7, v7 bitop3:0x40
	s_delay_alu instid0(VALU_DEP_3) | instskip(SKIP_1) | instid1(VALU_DEP_3)
	v_cmp_lt_i32_e32 vcc_lo, 5, v11
	v_cndmask_b32_e64 v14, 0, 1, vcc_lo
	v_cmp_lt_i32_e32 vcc_lo, 5, v12
	v_cndmask_b32_e64 v15, 0, 1, vcc_lo
	v_cmp_eq_u32_e32 vcc_lo, 3, v12
	v_cndmask_b32_e64 v12, 0, 1, vcc_lo
	v_cmp_eq_u32_e32 vcc_lo, 3, v11
	s_delay_alu instid0(VALU_DEP_2) | instskip(SKIP_2) | instid1(VALU_DEP_3)
	v_or_b32_e32 v12, v12, v15
	v_cndmask_b32_e64 v11, 0, 1, vcc_lo
	v_cmp_ne_u32_e32 vcc_lo, 0, v6
	v_add_nc_u32_e32 v7, v7, v12
	s_delay_alu instid0(VALU_DEP_3) | instskip(NEXT) | instid1(VALU_DEP_1)
	v_or_b32_e32 v11, v11, v14
	v_dual_mov_b32 v13, 0x7e00 :: v_dual_add_nc_u32 v10, v10, v11
	s_delay_alu instid0(VALU_DEP_1)
	v_cndmask_b32_e32 v6, 0x7c00, v13, vcc_lo
	v_cmp_ne_u32_e32 vcc_lo, 0, v2
	v_and_b32_e32 v11, 0x8000, v16
	v_cndmask_b32_e32 v2, 0x7c00, v13, vcc_lo
	v_cmp_gt_i32_e32 vcc_lo, 31, v9
	v_cndmask_b32_e32 v7, 0x7c00, v7, vcc_lo
	v_cmp_gt_i32_e32 vcc_lo, 31, v8
	v_cndmask_b32_e32 v10, 0x7c00, v10, vcc_lo
	v_cmp_eq_u32_e32 vcc_lo, 0x40f, v9
	s_delay_alu instid0(VALU_DEP_4) | instskip(SKIP_1) | instid1(VALU_DEP_2)
	v_cndmask_b32_e32 v2, v7, v2, vcc_lo
	v_cmp_eq_u32_e32 vcc_lo, 0x40f, v8
	v_and_or_b32 v2, 0x8000, v3, v2
	v_cndmask_b32_e32 v6, v10, v6, vcc_lo
	s_delay_alu instid0(VALU_DEP_1) | instskip(NEXT) | instid1(VALU_DEP_1)
	v_bitop3_b32 v3, v11, 0xffff, v6 bitop3:0xc8
	v_lshl_or_b32 v2, v2, 16, v3
	global_store_b32 v[4:5], v2, off
.LBB142_4199:
	s_mov_b32 s0, 0
.LBB142_4200:
	s_delay_alu instid0(SALU_CYCLE_1)
	s_and_not1_b32 vcc_lo, exec_lo, s0
	s_cbranch_vccnz .LBB142_4209
; %bb.4201:
	s_sext_i32_i16 s1, s28
	s_mov_b32 s0, -1
	s_cmp_lt_i32 s1, 6
	s_cbranch_scc1 .LBB142_4207
; %bb.4202:
	s_cmp_gt_i32 s1, 6
	s_cbranch_scc0 .LBB142_4204
; %bb.4203:
	s_mov_b32 s0, 0
	s_wait_loadcnt 0x0
	global_store_b64 v[4:5], v[0:1], off
.LBB142_4204:
	s_and_not1_b32 vcc_lo, exec_lo, s0
	s_cbranch_vccnz .LBB142_4206
; %bb.4205:
	s_wait_loadcnt 0x0
	v_cvt_f32_f64_e32 v2, v[0:1]
	global_store_b32 v[4:5], v2, off
.LBB142_4206:
	s_mov_b32 s0, 0
.LBB142_4207:
	s_delay_alu instid0(SALU_CYCLE_1)
	s_and_not1_b32 vcc_lo, exec_lo, s0
	s_cbranch_vccnz .LBB142_4209
; %bb.4208:
	s_wait_loadcnt 0x0
	v_and_or_b32 v2, 0x1ff, v1, v0
	v_lshrrev_b32_e32 v3, 8, v1
	v_bfe_u32 v6, v1, 20, 11
	s_delay_alu instid0(VALU_DEP_3) | instskip(NEXT) | instid1(VALU_DEP_2)
	v_cmp_ne_u32_e32 vcc_lo, 0, v2
	v_sub_nc_u32_e32 v7, 0x3f1, v6
	v_cndmask_b32_e64 v2, 0, 1, vcc_lo
	s_delay_alu instid0(VALU_DEP_1) | instskip(NEXT) | instid1(VALU_DEP_3)
	v_and_or_b32 v2, 0xffe, v3, v2
	v_med3_i32 v3, v7, 0, 13
	s_delay_alu instid0(VALU_DEP_2) | instskip(NEXT) | instid1(VALU_DEP_1)
	v_or_b32_e32 v7, 0x1000, v2
	v_lshrrev_b32_e32 v8, v3, v7
	s_delay_alu instid0(VALU_DEP_1) | instskip(NEXT) | instid1(VALU_DEP_1)
	v_lshlrev_b32_e32 v3, v3, v8
	v_cmp_ne_u32_e32 vcc_lo, v3, v7
	v_cndmask_b32_e64 v3, 0, 1, vcc_lo
	s_delay_alu instid0(VALU_DEP_1) | instskip(SKIP_1) | instid1(VALU_DEP_1)
	v_or_b32_e32 v3, v8, v3
	v_add_nc_u32_e32 v6, 0xfffffc10, v6
	v_lshl_or_b32 v7, v6, 12, v2
	v_cmp_gt_i32_e32 vcc_lo, 1, v6
	s_delay_alu instid0(VALU_DEP_2) | instskip(NEXT) | instid1(VALU_DEP_1)
	v_cndmask_b32_e32 v3, v7, v3, vcc_lo
	v_dual_lshrrev_b32 v3, 2, v3 :: v_dual_bitop2_b32 v7, 7, v3 bitop3:0x40
	s_delay_alu instid0(VALU_DEP_1) | instskip(SKIP_4) | instid1(VALU_DEP_2)
	v_cmp_lt_i32_e32 vcc_lo, 5, v7
	v_cndmask_b32_e64 v8, 0, 1, vcc_lo
	v_cmp_eq_u32_e32 vcc_lo, 3, v7
	v_cndmask_b32_e64 v7, 0, 1, vcc_lo
	v_cmp_ne_u32_e32 vcc_lo, 0, v2
	v_or_b32_e32 v7, v7, v8
	s_delay_alu instid0(VALU_DEP_1) | instskip(NEXT) | instid1(VALU_DEP_1)
	v_dual_mov_b32 v8, 0x7e00 :: v_dual_add_nc_u32 v3, v3, v7
	v_cndmask_b32_e32 v2, 0x7c00, v8, vcc_lo
	v_cmp_gt_i32_e32 vcc_lo, 31, v6
	s_delay_alu instid0(VALU_DEP_3) | instskip(SKIP_1) | instid1(VALU_DEP_2)
	v_cndmask_b32_e32 v3, 0x7c00, v3, vcc_lo
	v_cmp_eq_u32_e32 vcc_lo, 0x40f, v6
	v_dual_cndmask_b32 v2, v3, v2 :: v_dual_lshrrev_b32 v3, 16, v1
	s_delay_alu instid0(VALU_DEP_1)
	v_and_or_b32 v2, 0x8000, v3, v2
	global_store_b16 v[4:5], v2, off
.LBB142_4209:
	s_mov_b32 s0, 0
.LBB142_4210:
	s_delay_alu instid0(SALU_CYCLE_1)
	s_and_not1_b32 vcc_lo, exec_lo, s0
	s_cbranch_vccnz .LBB142_4186
; %bb.4211:
	s_sext_i32_i16 s1, s28
	s_mov_b32 s0, -1
	s_cmp_lt_i32 s1, 2
	s_cbranch_scc1 .LBB142_4221
; %bb.4212:
	s_cmp_lt_i32 s1, 3
	s_cbranch_scc1 .LBB142_4218
; %bb.4213:
	s_cmp_gt_i32 s1, 3
	s_cbranch_scc0 .LBB142_4215
; %bb.4214:
	s_wait_loadcnt 0x0
	v_trunc_f64_e32 v[2:3], v[0:1]
	s_mov_b32 s0, 0
	s_delay_alu instid0(VALU_DEP_1) | instskip(NEXT) | instid1(VALU_DEP_1)
	v_ldexp_f64 v[6:7], v[2:3], 0xffffffe0
	v_floor_f64_e32 v[6:7], v[6:7]
	s_delay_alu instid0(VALU_DEP_1) | instskip(SKIP_1) | instid1(VALU_DEP_2)
	v_fmamk_f64 v[2:3], v[6:7], 0xc1f00000, v[2:3]
	v_cvt_i32_f64_e32 v7, v[6:7]
	v_cvt_u32_f64_e32 v6, v[2:3]
	global_store_b64 v[4:5], v[6:7], off
.LBB142_4215:
	s_and_not1_b32 vcc_lo, exec_lo, s0
	s_cbranch_vccnz .LBB142_4217
; %bb.4216:
	s_wait_loadcnt 0x0
	v_cvt_i32_f64_e32 v2, v[0:1]
	global_store_b32 v[4:5], v2, off
.LBB142_4217:
	s_mov_b32 s0, 0
.LBB142_4218:
	s_delay_alu instid0(SALU_CYCLE_1)
	s_and_not1_b32 vcc_lo, exec_lo, s0
	s_cbranch_vccnz .LBB142_4220
; %bb.4219:
	s_wait_loadcnt 0x0
	v_cvt_i32_f64_e32 v2, v[0:1]
	global_store_b16 v[4:5], v2, off
.LBB142_4220:
	s_mov_b32 s0, 0
.LBB142_4221:
	s_delay_alu instid0(SALU_CYCLE_1)
	s_and_not1_b32 vcc_lo, exec_lo, s0
	s_cbranch_vccnz .LBB142_4186
; %bb.4222:
	s_sext_i32_i16 s0, s28
	s_delay_alu instid0(SALU_CYCLE_1)
	s_cmp_gt_i32 s0, 0
	s_mov_b32 s0, -1
	s_cbranch_scc0 .LBB142_4224
; %bb.4223:
	s_wait_loadcnt 0x0
	v_cvt_i32_f64_e32 v2, v[0:1]
	s_mov_b32 s0, 0
	global_store_b8 v[4:5], v2, off
.LBB142_4224:
	s_and_not1_b32 vcc_lo, exec_lo, s0
	s_cbranch_vccnz .LBB142_4186
; %bb.4225:
	s_wait_loadcnt 0x0
	v_trunc_f64_e32 v[0:1], v[0:1]
	s_delay_alu instid0(VALU_DEP_1) | instskip(NEXT) | instid1(VALU_DEP_1)
	v_ldexp_f64 v[2:3], v[0:1], 0xffffffe0
	v_floor_f64_e32 v[2:3], v[2:3]
	s_delay_alu instid0(VALU_DEP_1) | instskip(NEXT) | instid1(VALU_DEP_1)
	v_fmamk_f64 v[0:1], v[2:3], 0xc1f00000, v[0:1]
	v_cvt_u32_f64_e32 v0, v[0:1]
	global_store_b8 v[4:5], v0, off
	s_endpgm
.LBB142_4226:
	s_mov_b32 s1, 0
	s_mov_b32 s0, -1
	s_branch .LBB142_4182
.LBB142_4227:
	s_mov_b32 s3, -1
	s_mov_b32 s7, exec_lo
	v_cmpx_eq_u16_e32 0x80, v46
; %bb.4228:
	s_xor_b32 s3, exec_lo, -1
; %bb.4229:
	s_or_b32 exec_lo, exec_lo, s7
	s_delay_alu instid0(SALU_CYCLE_1)
	s_and_b32 s3, s3, exec_lo
	s_or_saveexec_b32 s6, s6
	v_mov_b64_e32 v[44:45], 0x7ff8000020000000
	s_xor_b32 exec_lo, exec_lo, s6
	s_cbranch_execz .LBB142_3675
.LBB142_4230:
	v_cmp_ne_u16_e32 vcc_lo, 0, v46
	v_mov_b64_e32 v[44:45], 0
	s_and_not1_b32 s3, s3, exec_lo
	s_and_b32 s7, vcc_lo, exec_lo
	s_delay_alu instid0(SALU_CYCLE_1)
	s_or_b32 s3, s3, s7
	s_or_b32 exec_lo, exec_lo, s6
	s_and_saveexec_b32 s6, s3
	s_cbranch_execnz .LBB142_3676
	s_branch .LBB142_3677
.LBB142_4231:
	s_or_b32 s24, s24, exec_lo
	s_trap 2
	s_cbranch_execz .LBB142_3824
	s_branch .LBB142_3825
.LBB142_4232:
	v_bfe_u32 v12, v5, 20, 1
	s_mov_b32 s6, exec_lo
	s_delay_alu instid0(VALU_DEP_1) | instskip(NEXT) | instid1(VALU_DEP_1)
	v_add3_u32 v12, v5, v12, 0x487ffff
	v_lshrrev_b32_e32 v12, 20, v12
	s_and_not1_saveexec_b32 s7, s7
	s_cbranch_execz .LBB142_3776
.LBB142_4233:
	v_add_f32_e64 v12, 0x46000000, |v5|
	s_and_not1_b32 s6, s6, exec_lo
	s_delay_alu instid0(VALU_DEP_1) | instskip(NEXT) | instid1(VALU_DEP_1)
	v_and_b32_e32 v12, 0xff, v12
	v_cmp_ne_u32_e32 vcc_lo, 0, v12
	s_and_b32 s8, vcc_lo, exec_lo
	s_delay_alu instid0(SALU_CYCLE_1)
	s_or_b32 s6, s6, s8
	s_or_b32 exec_lo, exec_lo, s7
	v_mov_b32_e32 v13, 0
	s_and_saveexec_b32 s7, s6
	s_cbranch_execnz .LBB142_3777
	s_branch .LBB142_3778
.LBB142_4234:
	s_or_b32 s24, s24, exec_lo
	s_trap 2
	s_cbranch_execz .LBB142_3943
	s_branch .LBB142_3944
.LBB142_4235:
	v_bfe_u32 v12, v5, 21, 1
	s_mov_b32 s3, exec_lo
	s_delay_alu instid0(VALU_DEP_1) | instskip(NEXT) | instid1(VALU_DEP_1)
	v_add3_u32 v12, v5, v12, 0x88fffff
	v_lshrrev_b32_e32 v12, 21, v12
	s_and_not1_saveexec_b32 s6, s6
	s_cbranch_execz .LBB142_3789
.LBB142_4236:
	v_add_f32_e64 v12, 0x42800000, |v5|
	s_and_not1_b32 s3, s3, exec_lo
	s_delay_alu instid0(VALU_DEP_1) | instskip(NEXT) | instid1(VALU_DEP_1)
	v_and_b32_e32 v12, 0xff, v12
	v_cmp_ne_u32_e32 vcc_lo, 0, v12
	s_and_b32 s7, vcc_lo, exec_lo
	s_delay_alu instid0(SALU_CYCLE_1)
	s_or_b32 s3, s3, s7
	s_or_b32 exec_lo, exec_lo, s6
	v_mov_b32_e32 v13, 0
	s_and_saveexec_b32 s6, s3
	s_cbranch_execnz .LBB142_3790
	s_branch .LBB142_3791
.LBB142_4237:
	v_bfe_u32 v8, v5, 20, 1
	s_mov_b32 s7, exec_lo
	s_delay_alu instid0(VALU_DEP_1) | instskip(NEXT) | instid1(VALU_DEP_1)
	v_add3_u32 v8, v5, v8, 0x487ffff
	v_lshrrev_b32_e32 v8, 20, v8
	s_and_not1_saveexec_b32 s8, s8
	s_cbranch_execz .LBB142_3895
.LBB142_4238:
	v_add_f32_e64 v8, 0x46000000, |v5|
	s_and_not1_b32 s7, s7, exec_lo
	s_delay_alu instid0(VALU_DEP_1) | instskip(NEXT) | instid1(VALU_DEP_1)
	v_and_b32_e32 v8, 0xff, v8
	v_cmp_ne_u32_e32 vcc_lo, 0, v8
	s_and_b32 s9, vcc_lo, exec_lo
	s_delay_alu instid0(SALU_CYCLE_1)
	s_or_b32 s7, s7, s9
	s_or_b32 exec_lo, exec_lo, s8
	v_mov_b32_e32 v9, 0
	s_and_saveexec_b32 s8, s7
	s_cbranch_execnz .LBB142_3896
	s_branch .LBB142_3897
.LBB142_4239:
	s_or_b32 s24, s24, exec_lo
	s_trap 2
	s_cbranch_execz .LBB142_4062
	s_branch .LBB142_4063
.LBB142_4240:
	v_bfe_u32 v8, v5, 21, 1
	s_mov_b32 s6, exec_lo
	s_delay_alu instid0(VALU_DEP_1) | instskip(NEXT) | instid1(VALU_DEP_1)
	v_add3_u32 v8, v5, v8, 0x88fffff
	v_lshrrev_b32_e32 v8, 21, v8
	s_and_not1_saveexec_b32 s7, s7
	s_cbranch_execz .LBB142_3908
.LBB142_4241:
	v_add_f32_e64 v8, 0x42800000, |v5|
	s_and_not1_b32 s6, s6, exec_lo
	s_delay_alu instid0(VALU_DEP_1) | instskip(NEXT) | instid1(VALU_DEP_1)
	v_and_b32_e32 v8, 0xff, v8
	v_cmp_ne_u32_e32 vcc_lo, 0, v8
	s_and_b32 s8, vcc_lo, exec_lo
	s_delay_alu instid0(SALU_CYCLE_1)
	s_or_b32 s6, s6, s8
	s_or_b32 exec_lo, exec_lo, s7
	v_mov_b32_e32 v9, 0
	s_and_saveexec_b32 s7, s6
	s_cbranch_execnz .LBB142_3909
	s_branch .LBB142_3910
.LBB142_4242:
	v_bfe_u32 v8, v5, 20, 1
	s_mov_b32 s7, exec_lo
	s_delay_alu instid0(VALU_DEP_1) | instskip(NEXT) | instid1(VALU_DEP_1)
	v_add3_u32 v8, v5, v8, 0x487ffff
	v_lshrrev_b32_e32 v8, 20, v8
	s_and_not1_saveexec_b32 s8, s8
	s_cbranch_execz .LBB142_4014
.LBB142_4243:
	v_add_f32_e64 v8, 0x46000000, |v5|
	s_and_not1_b32 s7, s7, exec_lo
	s_delay_alu instid0(VALU_DEP_1) | instskip(NEXT) | instid1(VALU_DEP_1)
	v_and_b32_e32 v8, 0xff, v8
	v_cmp_ne_u32_e32 vcc_lo, 0, v8
	s_and_b32 s9, vcc_lo, exec_lo
	s_delay_alu instid0(SALU_CYCLE_1)
	s_or_b32 s7, s7, s9
	s_or_b32 exec_lo, exec_lo, s8
	v_mov_b32_e32 v9, 0
	s_and_saveexec_b32 s8, s7
	s_cbranch_execnz .LBB142_4015
	s_branch .LBB142_4016
.LBB142_4244:
	s_mov_b32 s1, 0
	s_or_b32 s24, s24, exec_lo
	s_trap 2
	s_branch .LBB142_4180
.LBB142_4245:
	v_bfe_u32 v8, v5, 21, 1
	s_mov_b32 s6, exec_lo
	s_delay_alu instid0(VALU_DEP_1) | instskip(NEXT) | instid1(VALU_DEP_1)
	v_add3_u32 v8, v5, v8, 0x88fffff
	v_lshrrev_b32_e32 v8, 21, v8
	s_and_not1_saveexec_b32 s7, s7
	s_cbranch_execz .LBB142_4027
.LBB142_4246:
	v_add_f32_e64 v8, 0x42800000, |v5|
	s_and_not1_b32 s6, s6, exec_lo
	s_delay_alu instid0(VALU_DEP_1) | instskip(NEXT) | instid1(VALU_DEP_1)
	v_and_b32_e32 v8, 0xff, v8
	v_cmp_ne_u32_e32 vcc_lo, 0, v8
	s_and_b32 s8, vcc_lo, exec_lo
	s_delay_alu instid0(SALU_CYCLE_1)
	s_or_b32 s6, s6, s8
	s_or_b32 exec_lo, exec_lo, s7
	v_mov_b32_e32 v9, 0
	s_and_saveexec_b32 s7, s6
	s_cbranch_execnz .LBB142_4028
	s_branch .LBB142_4029
.LBB142_4247:
	v_bfe_u32 v7, v6, 20, 1
	s_mov_b32 s4, exec_lo
	s_delay_alu instid0(VALU_DEP_1) | instskip(NEXT) | instid1(VALU_DEP_1)
	v_add3_u32 v7, v6, v7, 0x487ffff
	v_lshrrev_b32_e32 v7, 20, v7
	s_and_not1_saveexec_b32 s5, s5
	s_cbranch_execz .LBB142_4134
.LBB142_4248:
	v_add_f32_e64 v7, 0x46000000, |v6|
	s_and_not1_b32 s4, s4, exec_lo
	s_delay_alu instid0(VALU_DEP_1) | instskip(NEXT) | instid1(VALU_DEP_1)
	v_and_b32_e32 v7, 0xff, v7
	v_cmp_ne_u32_e32 vcc_lo, 0, v7
	s_and_b32 s6, vcc_lo, exec_lo
	s_delay_alu instid0(SALU_CYCLE_1)
	s_or_b32 s4, s4, s6
	s_or_b32 exec_lo, exec_lo, s5
	v_mov_b32_e32 v8, 0
	s_and_saveexec_b32 s5, s4
	s_cbranch_execnz .LBB142_4135
	s_branch .LBB142_4136
.LBB142_4249:
	v_bfe_u32 v7, v6, 21, 1
	s_mov_b32 s3, exec_lo
	s_delay_alu instid0(VALU_DEP_1) | instskip(NEXT) | instid1(VALU_DEP_1)
	v_add3_u32 v7, v6, v7, 0x88fffff
	v_lshrrev_b32_e32 v7, 21, v7
	s_and_not1_saveexec_b32 s4, s4
	s_cbranch_execz .LBB142_4146
.LBB142_4250:
	v_add_f32_e64 v7, 0x42800000, |v6|
	s_and_not1_b32 s3, s3, exec_lo
	s_delay_alu instid0(VALU_DEP_1) | instskip(NEXT) | instid1(VALU_DEP_1)
	v_and_b32_e32 v7, 0xff, v7
	v_cmp_ne_u32_e32 vcc_lo, 0, v7
	s_and_b32 s5, vcc_lo, exec_lo
	s_delay_alu instid0(SALU_CYCLE_1)
	s_or_b32 s3, s3, s5
	s_or_b32 exec_lo, exec_lo, s4
	v_mov_b32_e32 v8, 0
	s_and_saveexec_b32 s4, s3
	s_cbranch_execnz .LBB142_4147
	s_branch .LBB142_4148
	.section	.rodata,"a",@progbits
	.p2align	6, 0x0
	.amdhsa_kernel _ZN2at6native32elementwise_kernel_manual_unrollILi128ELi4EZNS0_15gpu_kernel_implIZZZNS0_12_GLOBAL__N_116addr_kernel_cudaERNS_14TensorIteratorERKN3c106ScalarES9_ENKUlvE_clEvENKUlvE6_clEvEUlNS6_7complexIdEESD_SD_E0_EEvRNS_18TensorIteratorBaseERKT_EUlibE_EEviT1_
		.amdhsa_group_segment_fixed_size 0
		.amdhsa_private_segment_fixed_size 0
		.amdhsa_kernarg_size 112
		.amdhsa_user_sgpr_count 2
		.amdhsa_user_sgpr_dispatch_ptr 0
		.amdhsa_user_sgpr_queue_ptr 0
		.amdhsa_user_sgpr_kernarg_segment_ptr 1
		.amdhsa_user_sgpr_dispatch_id 0
		.amdhsa_user_sgpr_kernarg_preload_length 0
		.amdhsa_user_sgpr_kernarg_preload_offset 0
		.amdhsa_user_sgpr_private_segment_size 0
		.amdhsa_wavefront_size32 1
		.amdhsa_uses_dynamic_stack 0
		.amdhsa_enable_private_segment 0
		.amdhsa_system_sgpr_workgroup_id_x 1
		.amdhsa_system_sgpr_workgroup_id_y 0
		.amdhsa_system_sgpr_workgroup_id_z 0
		.amdhsa_system_sgpr_workgroup_info 0
		.amdhsa_system_vgpr_workitem_id 0
		.amdhsa_next_free_vgpr 54
		.amdhsa_next_free_sgpr 50
		.amdhsa_named_barrier_count 0
		.amdhsa_reserve_vcc 1
		.amdhsa_float_round_mode_32 0
		.amdhsa_float_round_mode_16_64 0
		.amdhsa_float_denorm_mode_32 3
		.amdhsa_float_denorm_mode_16_64 3
		.amdhsa_fp16_overflow 0
		.amdhsa_memory_ordered 1
		.amdhsa_forward_progress 1
		.amdhsa_inst_pref_size 255
		.amdhsa_round_robin_scheduling 0
		.amdhsa_exception_fp_ieee_invalid_op 0
		.amdhsa_exception_fp_denorm_src 0
		.amdhsa_exception_fp_ieee_div_zero 0
		.amdhsa_exception_fp_ieee_overflow 0
		.amdhsa_exception_fp_ieee_underflow 0
		.amdhsa_exception_fp_ieee_inexact 0
		.amdhsa_exception_int_div_zero 0
	.end_amdhsa_kernel
	.section	.text._ZN2at6native32elementwise_kernel_manual_unrollILi128ELi4EZNS0_15gpu_kernel_implIZZZNS0_12_GLOBAL__N_116addr_kernel_cudaERNS_14TensorIteratorERKN3c106ScalarES9_ENKUlvE_clEvENKUlvE6_clEvEUlNS6_7complexIdEESD_SD_E0_EEvRNS_18TensorIteratorBaseERKT_EUlibE_EEviT1_,"axG",@progbits,_ZN2at6native32elementwise_kernel_manual_unrollILi128ELi4EZNS0_15gpu_kernel_implIZZZNS0_12_GLOBAL__N_116addr_kernel_cudaERNS_14TensorIteratorERKN3c106ScalarES9_ENKUlvE_clEvENKUlvE6_clEvEUlNS6_7complexIdEESD_SD_E0_EEvRNS_18TensorIteratorBaseERKT_EUlibE_EEviT1_,comdat
.Lfunc_end142:
	.size	_ZN2at6native32elementwise_kernel_manual_unrollILi128ELi4EZNS0_15gpu_kernel_implIZZZNS0_12_GLOBAL__N_116addr_kernel_cudaERNS_14TensorIteratorERKN3c106ScalarES9_ENKUlvE_clEvENKUlvE6_clEvEUlNS6_7complexIdEESD_SD_E0_EEvRNS_18TensorIteratorBaseERKT_EUlibE_EEviT1_, .Lfunc_end142-_ZN2at6native32elementwise_kernel_manual_unrollILi128ELi4EZNS0_15gpu_kernel_implIZZZNS0_12_GLOBAL__N_116addr_kernel_cudaERNS_14TensorIteratorERKN3c106ScalarES9_ENKUlvE_clEvENKUlvE6_clEvEUlNS6_7complexIdEESD_SD_E0_EEvRNS_18TensorIteratorBaseERKT_EUlibE_EEviT1_
                                        ; -- End function
	.set _ZN2at6native32elementwise_kernel_manual_unrollILi128ELi4EZNS0_15gpu_kernel_implIZZZNS0_12_GLOBAL__N_116addr_kernel_cudaERNS_14TensorIteratorERKN3c106ScalarES9_ENKUlvE_clEvENKUlvE6_clEvEUlNS6_7complexIdEESD_SD_E0_EEvRNS_18TensorIteratorBaseERKT_EUlibE_EEviT1_.num_vgpr, 54
	.set _ZN2at6native32elementwise_kernel_manual_unrollILi128ELi4EZNS0_15gpu_kernel_implIZZZNS0_12_GLOBAL__N_116addr_kernel_cudaERNS_14TensorIteratorERKN3c106ScalarES9_ENKUlvE_clEvENKUlvE6_clEvEUlNS6_7complexIdEESD_SD_E0_EEvRNS_18TensorIteratorBaseERKT_EUlibE_EEviT1_.num_agpr, 0
	.set _ZN2at6native32elementwise_kernel_manual_unrollILi128ELi4EZNS0_15gpu_kernel_implIZZZNS0_12_GLOBAL__N_116addr_kernel_cudaERNS_14TensorIteratorERKN3c106ScalarES9_ENKUlvE_clEvENKUlvE6_clEvEUlNS6_7complexIdEESD_SD_E0_EEvRNS_18TensorIteratorBaseERKT_EUlibE_EEviT1_.numbered_sgpr, 50
	.set _ZN2at6native32elementwise_kernel_manual_unrollILi128ELi4EZNS0_15gpu_kernel_implIZZZNS0_12_GLOBAL__N_116addr_kernel_cudaERNS_14TensorIteratorERKN3c106ScalarES9_ENKUlvE_clEvENKUlvE6_clEvEUlNS6_7complexIdEESD_SD_E0_EEvRNS_18TensorIteratorBaseERKT_EUlibE_EEviT1_.num_named_barrier, 0
	.set _ZN2at6native32elementwise_kernel_manual_unrollILi128ELi4EZNS0_15gpu_kernel_implIZZZNS0_12_GLOBAL__N_116addr_kernel_cudaERNS_14TensorIteratorERKN3c106ScalarES9_ENKUlvE_clEvENKUlvE6_clEvEUlNS6_7complexIdEESD_SD_E0_EEvRNS_18TensorIteratorBaseERKT_EUlibE_EEviT1_.private_seg_size, 0
	.set _ZN2at6native32elementwise_kernel_manual_unrollILi128ELi4EZNS0_15gpu_kernel_implIZZZNS0_12_GLOBAL__N_116addr_kernel_cudaERNS_14TensorIteratorERKN3c106ScalarES9_ENKUlvE_clEvENKUlvE6_clEvEUlNS6_7complexIdEESD_SD_E0_EEvRNS_18TensorIteratorBaseERKT_EUlibE_EEviT1_.uses_vcc, 1
	.set _ZN2at6native32elementwise_kernel_manual_unrollILi128ELi4EZNS0_15gpu_kernel_implIZZZNS0_12_GLOBAL__N_116addr_kernel_cudaERNS_14TensorIteratorERKN3c106ScalarES9_ENKUlvE_clEvENKUlvE6_clEvEUlNS6_7complexIdEESD_SD_E0_EEvRNS_18TensorIteratorBaseERKT_EUlibE_EEviT1_.uses_flat_scratch, 0
	.set _ZN2at6native32elementwise_kernel_manual_unrollILi128ELi4EZNS0_15gpu_kernel_implIZZZNS0_12_GLOBAL__N_116addr_kernel_cudaERNS_14TensorIteratorERKN3c106ScalarES9_ENKUlvE_clEvENKUlvE6_clEvEUlNS6_7complexIdEESD_SD_E0_EEvRNS_18TensorIteratorBaseERKT_EUlibE_EEviT1_.has_dyn_sized_stack, 0
	.set _ZN2at6native32elementwise_kernel_manual_unrollILi128ELi4EZNS0_15gpu_kernel_implIZZZNS0_12_GLOBAL__N_116addr_kernel_cudaERNS_14TensorIteratorERKN3c106ScalarES9_ENKUlvE_clEvENKUlvE6_clEvEUlNS6_7complexIdEESD_SD_E0_EEvRNS_18TensorIteratorBaseERKT_EUlibE_EEviT1_.has_recursion, 0
	.set _ZN2at6native32elementwise_kernel_manual_unrollILi128ELi4EZNS0_15gpu_kernel_implIZZZNS0_12_GLOBAL__N_116addr_kernel_cudaERNS_14TensorIteratorERKN3c106ScalarES9_ENKUlvE_clEvENKUlvE6_clEvEUlNS6_7complexIdEESD_SD_E0_EEvRNS_18TensorIteratorBaseERKT_EUlibE_EEviT1_.has_indirect_call, 0
	.section	.AMDGPU.csdata,"",@progbits
; Kernel info:
; codeLenInByte = 84508
; TotalNumSgprs: 52
; NumVgprs: 54
; ScratchSize: 0
; MemoryBound: 1
; FloatMode: 240
; IeeeMode: 1
; LDSByteSize: 0 bytes/workgroup (compile time only)
; SGPRBlocks: 0
; VGPRBlocks: 3
; NumSGPRsForWavesPerEU: 52
; NumVGPRsForWavesPerEU: 54
; NamedBarCnt: 0
; Occupancy: 16
; WaveLimiterHint : 0
; COMPUTE_PGM_RSRC2:SCRATCH_EN: 0
; COMPUTE_PGM_RSRC2:USER_SGPR: 2
; COMPUTE_PGM_RSRC2:TRAP_HANDLER: 0
; COMPUTE_PGM_RSRC2:TGID_X_EN: 1
; COMPUTE_PGM_RSRC2:TGID_Y_EN: 0
; COMPUTE_PGM_RSRC2:TGID_Z_EN: 0
; COMPUTE_PGM_RSRC2:TIDIG_COMP_CNT: 0
	.section	.text._ZN2at6native32elementwise_kernel_manual_unrollILi128ELi4EZNS0_15gpu_kernel_implIZZZNS0_12_GLOBAL__N_116addr_kernel_cudaERNS_14TensorIteratorERKN3c106ScalarES9_ENKUlvE_clEvENKUlvE6_clEvEUlNS6_7complexIdEESD_SD_E0_EEvRNS_18TensorIteratorBaseERKT_EUlibE0_EEviT1_,"axG",@progbits,_ZN2at6native32elementwise_kernel_manual_unrollILi128ELi4EZNS0_15gpu_kernel_implIZZZNS0_12_GLOBAL__N_116addr_kernel_cudaERNS_14TensorIteratorERKN3c106ScalarES9_ENKUlvE_clEvENKUlvE6_clEvEUlNS6_7complexIdEESD_SD_E0_EEvRNS_18TensorIteratorBaseERKT_EUlibE0_EEviT1_,comdat
	.globl	_ZN2at6native32elementwise_kernel_manual_unrollILi128ELi4EZNS0_15gpu_kernel_implIZZZNS0_12_GLOBAL__N_116addr_kernel_cudaERNS_14TensorIteratorERKN3c106ScalarES9_ENKUlvE_clEvENKUlvE6_clEvEUlNS6_7complexIdEESD_SD_E0_EEvRNS_18TensorIteratorBaseERKT_EUlibE0_EEviT1_ ; -- Begin function _ZN2at6native32elementwise_kernel_manual_unrollILi128ELi4EZNS0_15gpu_kernel_implIZZZNS0_12_GLOBAL__N_116addr_kernel_cudaERNS_14TensorIteratorERKN3c106ScalarES9_ENKUlvE_clEvENKUlvE6_clEvEUlNS6_7complexIdEESD_SD_E0_EEvRNS_18TensorIteratorBaseERKT_EUlibE0_EEviT1_
	.p2align	8
	.type	_ZN2at6native32elementwise_kernel_manual_unrollILi128ELi4EZNS0_15gpu_kernel_implIZZZNS0_12_GLOBAL__N_116addr_kernel_cudaERNS_14TensorIteratorERKN3c106ScalarES9_ENKUlvE_clEvENKUlvE6_clEvEUlNS6_7complexIdEESD_SD_E0_EEvRNS_18TensorIteratorBaseERKT_EUlibE0_EEviT1_,@function
_ZN2at6native32elementwise_kernel_manual_unrollILi128ELi4EZNS0_15gpu_kernel_implIZZZNS0_12_GLOBAL__N_116addr_kernel_cudaERNS_14TensorIteratorERKN3c106ScalarES9_ENKUlvE_clEvENKUlvE6_clEvEUlNS6_7complexIdEESD_SD_E0_EEvRNS_18TensorIteratorBaseERKT_EUlibE0_EEviT1_: ; @_ZN2at6native32elementwise_kernel_manual_unrollILi128ELi4EZNS0_15gpu_kernel_implIZZZNS0_12_GLOBAL__N_116addr_kernel_cudaERNS_14TensorIteratorERKN3c106ScalarES9_ENKUlvE_clEvENKUlvE6_clEvEUlNS6_7complexIdEESD_SD_E0_EEvRNS_18TensorIteratorBaseERKT_EUlibE0_EEviT1_
; %bb.0:
	s_clause 0x1
	s_load_b32 s33, s[0:1], 0x10
	s_load_b32 s51, s[0:1], 0x0
	s_bfe_u32 s2, ttmp6, 0x4000c
	s_and_b32 s3, ttmp6, 15
	s_add_co_i32 s2, s2, 1
	s_getreg_b32 s4, hwreg(HW_REG_IB_STS2, 6, 4)
	s_mul_i32 s2, ttmp9, s2
	s_mov_b32 s43, 0
	s_add_co_i32 s3, s3, s2
	s_cmp_eq_u32 s4, 0
	s_mov_b32 s40, -1
	s_cselect_b32 s2, ttmp9, s3
	s_mov_b32 s16, 0
	v_lshl_or_b32 v12, s2, 9, v0
	s_add_nc_u64 s[2:3], s[0:1], 16
	s_wait_xcnt 0x0
	s_mov_b32 s0, exec_lo
	s_delay_alu instid0(VALU_DEP_1) | instskip(SKIP_2) | instid1(SALU_CYCLE_1)
	v_or_b32_e32 v1, 0x180, v12
	s_wait_kmcnt 0x0
	s_add_co_i32 s42, s33, -1
	s_cmp_gt_u32 s42, 1
	s_cselect_b32 s44, -1, 0
	v_cmpx_le_i32_e64 s51, v1
	s_xor_b32 s45, exec_lo, s0
	s_cbranch_execz .LBB143_2162
; %bb.1:
	s_clause 0x5
	s_load_b128 s[28:31], s[2:3], 0x4
	s_load_b64 s[0:1], s[2:3], 0x14
	s_load_b32 s46, s[2:3], 0x210
	s_load_b256 s[20:27], s[2:3], 0xc4
	s_load_b256 s[4:11], s[2:3], 0x1c8
	s_load_b256 s[12:19], s[2:3], 0x1f0
	s_cmp_lg_u32 s33, 0
	s_mov_b32 s35, 0
	s_cselect_b32 s52, -1, 0
	s_min_u32 s50, s42, 15
	s_cmp_gt_u32 s33, 1
	s_mov_b32 s37, s35
	s_mov_b32 s56, s35
	;; [unrolled: 1-line block ×3, first 2 shown]
	s_cselect_b32 s49, -1, 0
	s_mov_b32 s54, s35
	s_mov_b32 s53, s35
	s_mov_b32 s57, exec_lo
	s_wait_kmcnt 0x0
	s_mov_b32 s34, s29
	s_mov_b32 s36, s0
	s_lshr_b32 s47, s46, 16
	s_lshr_b32 s48, s46, 8
	;; [unrolled: 1-line block ×3, first 2 shown]
	v_cmpx_gt_i32_e64 s51, v12
	s_cbranch_execz .LBB143_537
; %bb.2:
	s_and_not1_b32 vcc_lo, exec_lo, s44
	s_cbranch_vccnz .LBB143_8
; %bb.3:
	s_and_not1_b32 vcc_lo, exec_lo, s52
	s_cbranch_vccnz .LBB143_9
; %bb.4:
	v_dual_mov_b32 v4, 0 :: v_dual_mov_b32 v1, v12
	v_dual_mov_b32 v8, 0 :: v_dual_mov_b32 v14, 0
	v_mov_b32_e32 v0, 0
	s_add_co_i32 s0, s50, 1
	s_mov_b64 s[38:39], 0xffffffffffffffe0
	s_and_b32 s0, s0, 30
	s_add_nc_u64 s[38:39], s[2:3], s[38:39]
	s_mov_b64 s[40:41], s[2:3]
.LBB143_5:                              ; =>This Inner Loop Header: Depth=1
	s_clause 0x1
	s_load_b128 s[68:71], s[40:41], 0x4
	s_load_b64 s[54:55], s[40:41], 0x14
	s_load_b256 s[60:67], s[38:39], 0xe4
	s_add_co_i32 s0, s0, -2
	s_wait_xcnt 0x0
	s_add_nc_u64 s[40:41], s[40:41], 24
	s_cmp_lg_u32 s0, 0
	s_add_nc_u64 s[38:39], s[38:39], 32
	s_wait_kmcnt 0x0
	v_mul_hi_u32 v2, s69, v1
	s_delay_alu instid0(VALU_DEP_1) | instskip(NEXT) | instid1(VALU_DEP_1)
	v_add_nc_u32_e32 v2, v1, v2
	v_lshrrev_b32_e32 v2, s70, v2
	s_delay_alu instid0(VALU_DEP_1) | instskip(SKIP_1) | instid1(VALU_DEP_1)
	v_mul_hi_u32 v3, s54, v2
	v_mul_lo_u32 v5, v2, s68
	v_dual_add_nc_u32 v3, v2, v3 :: v_dual_sub_nc_u32 v5, v1, v5
	s_delay_alu instid0(VALU_DEP_1) | instskip(NEXT) | instid1(VALU_DEP_2)
	v_lshrrev_b32_e32 v1, s55, v3
	v_mad_u32 v0, v5, s61, v0
	v_mad_u32 v6, v5, s60, v14
	;; [unrolled: 1-line block ×4, first 2 shown]
	v_mul_lo_u32 v3, v1, s71
	s_delay_alu instid0(VALU_DEP_1) | instskip(NEXT) | instid1(VALU_DEP_1)
	v_sub_nc_u32_e32 v2, v2, v3
	v_mad_u32 v0, v2, s65, v0
	v_mad_u32 v14, v2, s64, v6
	;; [unrolled: 1-line block ×4, first 2 shown]
	s_cbranch_scc1 .LBB143_5
; %bb.6:
	s_bitcmp1_b32 s50, 0
	s_cselect_b32 s0, -1, 0
	s_delay_alu instid0(SALU_CYCLE_1)
	s_and_b32 vcc_lo, exec_lo, s0
	s_cbranch_vccnz .LBB143_10
; %bb.7:
	s_load_b96 s[64:66], s[40:41], 0x4
	s_load_b128 s[60:63], s[38:39], 0xe4
	s_wait_kmcnt 0x0
	v_mul_hi_u32 v2, s65, v1
	s_delay_alu instid0(VALU_DEP_1) | instskip(NEXT) | instid1(VALU_DEP_1)
	v_add_nc_u32_e32 v2, v1, v2
	v_lshrrev_b32_e32 v2, s66, v2
	s_delay_alu instid0(VALU_DEP_1) | instskip(NEXT) | instid1(VALU_DEP_1)
	v_mul_lo_u32 v2, v2, s64
	v_sub_nc_u32_e32 v1, v1, v2
	s_delay_alu instid0(VALU_DEP_1)
	v_mad_u32 v14, v1, s60, v14
	v_mad_u32 v0, v1, s61, v0
	;; [unrolled: 1-line block ×4, first 2 shown]
	s_cbranch_execz .LBB143_11
	s_branch .LBB143_13
.LBB143_8:
                                        ; implicit-def: $vgpr0
                                        ; implicit-def: $vgpr14
                                        ; implicit-def: $vgpr8
                                        ; implicit-def: $vgpr4
	s_branch .LBB143_11
.LBB143_9:
	v_dual_mov_b32 v0, 0 :: v_dual_mov_b32 v14, 0
	v_dual_mov_b32 v8, 0 :: v_dual_mov_b32 v4, 0
.LBB143_10:
	s_cbranch_execnz .LBB143_13
.LBB143_11:
	v_mov_b32_e32 v13, 0
	s_and_not1_b32 vcc_lo, exec_lo, s49
	s_delay_alu instid0(VALU_DEP_1) | instskip(NEXT) | instid1(VALU_DEP_1)
	v_mul_u64_e32 v[0:1], s[34:35], v[12:13]
	v_add_nc_u32_e32 v0, v12, v1
	s_delay_alu instid0(VALU_DEP_1) | instskip(NEXT) | instid1(VALU_DEP_1)
	v_lshrrev_b32_e32 v2, s30, v0
	v_mul_lo_u32 v0, v2, s28
	s_delay_alu instid0(VALU_DEP_1) | instskip(NEXT) | instid1(VALU_DEP_1)
	v_sub_nc_u32_e32 v1, v12, v0
	v_mul_lo_u32 v0, v1, s21
	v_mul_lo_u32 v14, v1, s20
	;; [unrolled: 1-line block ×4, first 2 shown]
	s_cbranch_vccnz .LBB143_13
; %bb.12:
	v_mov_b32_e32 v3, v13
	s_delay_alu instid0(VALU_DEP_1) | instskip(NEXT) | instid1(VALU_DEP_1)
	v_mul_u64_e32 v[6:7], s[36:37], v[2:3]
	v_add_nc_u32_e32 v1, v2, v7
	s_delay_alu instid0(VALU_DEP_1) | instskip(NEXT) | instid1(VALU_DEP_1)
	v_lshrrev_b32_e32 v1, s1, v1
	v_mul_lo_u32 v1, v1, s31
	s_delay_alu instid0(VALU_DEP_1) | instskip(NEXT) | instid1(VALU_DEP_1)
	v_sub_nc_u32_e32 v1, v2, v1
	v_mad_u32 v14, v1, s24, v14
	v_mad_u32 v0, v1, s25, v0
	v_mad_u32 v4, v1, s26, v4
	v_mad_u32 v8, v1, s27, v8
.LBB143_13:
	v_mov_b32_e32 v1, 0
	s_and_b32 s0, s48, 0xff
	s_delay_alu instid0(SALU_CYCLE_1) | instskip(NEXT) | instid1(VALU_DEP_1)
	s_cmp_lt_i32 s0, 11
	v_add_nc_u64_e32 v[6:7], s[6:7], v[0:1]
	s_cbranch_scc1 .LBB143_20
; %bb.14:
	s_and_b32 s39, 0xffff, s0
	s_delay_alu instid0(SALU_CYCLE_1)
	s_cmp_gt_i32 s39, 25
	s_cbranch_scc0 .LBB143_29
; %bb.15:
	s_cmp_gt_i32 s39, 28
	s_cbranch_scc0 .LBB143_39
; %bb.16:
	;; [unrolled: 3-line block ×4, first 2 shown]
	s_cmp_eq_u32 s39, 46
	s_mov_b32 s41, 0
	s_cbranch_scc0 .LBB143_48
; %bb.19:
	global_load_b32 v0, v[6:7], off
	s_mov_b32 s40, -1
	s_mov_b32 s38, 0
	s_wait_loadcnt 0x0
	v_lshlrev_b32_e32 v1, 16, v0
	v_and_b32_e32 v2, 0xffff0000, v0
	s_delay_alu instid0(VALU_DEP_2) | instskip(NEXT) | instid1(VALU_DEP_2)
	v_cvt_f64_f32_e32 v[0:1], v1
	v_cvt_f64_f32_e32 v[2:3], v2
	s_branch .LBB143_50
.LBB143_20:
	s_mov_b32 s38, 0
	s_mov_b32 s40, 0
                                        ; implicit-def: $vgpr2_vgpr3
	s_cbranch_execnz .LBB143_114
.LBB143_21:
	s_and_not1_b32 vcc_lo, exec_lo, s40
	s_cbranch_vccnz .LBB143_163
.LBB143_22:
	v_mov_b32_e32 v5, 0
	s_and_b32 s0, s47, 0xff
	s_delay_alu instid0(SALU_CYCLE_1) | instskip(NEXT) | instid1(VALU_DEP_1)
	s_cmp_lt_i32 s0, 11
	v_add_nc_u64_e32 v[10:11], s[8:9], v[4:5]
	s_cbranch_scc1 .LBB143_30
; %bb.23:
	s_and_b32 s40, 0xffff, s0
	s_delay_alu instid0(SALU_CYCLE_1)
	s_cmp_gt_i32 s40, 25
	s_cbranch_scc0 .LBB143_40
; %bb.24:
	s_cmp_gt_i32 s40, 28
	s_cbranch_scc0 .LBB143_43
; %bb.25:
	;; [unrolled: 3-line block ×4, first 2 shown]
	s_cmp_eq_u32 s40, 46
	s_mov_b32 s53, 0
	s_cbranch_scc0 .LBB143_168
; %bb.28:
	global_load_b32 v4, v[10:11], off
	s_mov_b32 s41, -1
	s_mov_b32 s39, 0
	s_wait_loadcnt 0x0
	v_lshlrev_b32_e32 v5, 16, v4
	v_and_b32_e32 v6, 0xffff0000, v4
	s_delay_alu instid0(VALU_DEP_2) | instskip(NEXT) | instid1(VALU_DEP_2)
	v_cvt_f64_f32_e32 v[4:5], v5
	v_cvt_f64_f32_e32 v[6:7], v6
	s_branch .LBB143_170
.LBB143_29:
	s_mov_b32 s38, 0
	s_mov_b32 s40, 0
                                        ; implicit-def: $vgpr2_vgpr3
	s_cbranch_execnz .LBB143_81
	s_branch .LBB143_113
.LBB143_30:
	s_mov_b32 s39, 0
	s_mov_b32 s41, 0
                                        ; implicit-def: $vgpr6_vgpr7
	s_cbranch_execnz .LBB143_235
.LBB143_31:
	s_and_not1_b32 vcc_lo, exec_lo, s41
	s_cbranch_vccnz .LBB143_285
.LBB143_32:
	v_mov_b32_e32 v9, 0
	s_and_b32 s0, 0xffff, s29
	s_delay_alu instid0(SALU_CYCLE_1) | instskip(NEXT) | instid1(VALU_DEP_1)
	s_cmp_lt_i32 s0, 11
	v_add_nc_u64_e32 v[16:17], s[10:11], v[8:9]
	s_cbranch_scc1 .LBB143_41
; %bb.33:
	s_cmp_gt_i32 s0, 25
	s_cbranch_scc0 .LBB143_44
; %bb.34:
	s_cmp_gt_i32 s0, 28
	s_cbranch_scc0 .LBB143_47
	;; [unrolled: 3-line block ×4, first 2 shown]
; %bb.37:
	s_cmp_eq_u32 s0, 46
	s_mov_b32 s53, 0
	s_cbranch_scc0 .LBB143_290
; %bb.38:
	global_load_b32 v8, v[16:17], off
	s_mov_b32 s41, -1
	s_mov_b32 s40, 0
	s_wait_loadcnt 0x0
	v_lshlrev_b32_e32 v9, 16, v8
	v_and_b32_e32 v10, 0xffff0000, v8
	s_delay_alu instid0(VALU_DEP_2) | instskip(NEXT) | instid1(VALU_DEP_2)
	v_cvt_f64_f32_e32 v[8:9], v9
	v_cvt_f64_f32_e32 v[10:11], v10
	s_branch .LBB143_292
.LBB143_39:
	s_mov_b32 s41, -1
	s_mov_b32 s38, 0
	s_mov_b32 s40, 0
                                        ; implicit-def: $vgpr2_vgpr3
	s_branch .LBB143_64
.LBB143_40:
	s_mov_b32 s53, -1
	s_mov_b32 s39, 0
	s_mov_b32 s41, 0
                                        ; implicit-def: $vgpr6_vgpr7
	s_branch .LBB143_200
.LBB143_41:
	s_mov_b32 s53, -1
	s_mov_b32 s40, 0
	s_mov_b32 s41, 0
                                        ; implicit-def: $vgpr10_vgpr11
	s_branch .LBB143_356
.LBB143_42:
	s_mov_b32 s41, -1
	s_mov_b32 s38, 0
	s_mov_b32 s40, 0
                                        ; implicit-def: $vgpr2_vgpr3
	s_branch .LBB143_58
.LBB143_43:
	s_mov_b32 s53, -1
	s_mov_b32 s39, 0
	s_mov_b32 s41, 0
                                        ; implicit-def: $vgpr6_vgpr7
	s_branch .LBB143_183
.LBB143_44:
	s_mov_b32 s53, -1
	s_mov_b32 s40, 0
	s_mov_b32 s41, 0
                                        ; implicit-def: $vgpr10_vgpr11
	s_branch .LBB143_321
.LBB143_45:
	s_mov_b32 s41, -1
	s_mov_b32 s38, 0
	s_branch .LBB143_49
.LBB143_46:
	s_mov_b32 s53, -1
	s_mov_b32 s39, 0
	s_mov_b32 s41, 0
                                        ; implicit-def: $vgpr6_vgpr7
	s_branch .LBB143_177
.LBB143_47:
	s_mov_b32 s53, -1
	s_mov_b32 s40, 0
	s_mov_b32 s41, 0
                                        ; implicit-def: $vgpr10_vgpr11
	s_branch .LBB143_304
.LBB143_48:
	s_mov_b32 s38, -1
.LBB143_49:
	s_mov_b32 s40, 0
                                        ; implicit-def: $vgpr2_vgpr3
.LBB143_50:
	s_and_b32 vcc_lo, exec_lo, s41
	s_cbranch_vccz .LBB143_57
; %bb.51:
	s_cmp_eq_u32 s39, 44
	s_cbranch_scc0 .LBB143_55
; %bb.52:
	global_load_u8 v2, v[6:7], off
	s_mov_b32 s38, 0
	s_mov_b32 s40, -1
	s_wait_loadcnt 0x0
	v_cmp_ne_u32_e32 vcc_lo, 0xff, v2
	v_lshlrev_b32_e32 v0, 23, v2
	s_delay_alu instid0(VALU_DEP_1) | instskip(NEXT) | instid1(VALU_DEP_1)
	v_cvt_f64_f32_e32 v[0:1], v0
	v_cndmask_b32_e32 v0, 0x20000000, v0, vcc_lo
	s_delay_alu instid0(VALU_DEP_2) | instskip(SKIP_1) | instid1(VALU_DEP_2)
	v_cndmask_b32_e32 v1, 0x7ff80000, v1, vcc_lo
	v_cmp_ne_u32_e32 vcc_lo, 0, v2
	v_cndmask_b32_e32 v1, 0x38000000, v1, vcc_lo
	s_delay_alu instid0(VALU_DEP_4)
	v_cndmask_b32_e32 v0, 0, v0, vcc_lo
	s_branch .LBB143_56
.LBB143_53:
	s_mov_b32 s53, -1
	s_mov_b32 s39, 0
	s_branch .LBB143_169
.LBB143_54:
	s_mov_b32 s53, -1
	s_mov_b32 s40, 0
	s_mov_b32 s41, 0
                                        ; implicit-def: $vgpr10_vgpr11
	s_branch .LBB143_298
.LBB143_55:
	s_mov_b32 s38, -1
                                        ; implicit-def: $vgpr0_vgpr1
.LBB143_56:
	v_mov_b64_e32 v[2:3], 0
.LBB143_57:
	s_mov_b32 s41, 0
.LBB143_58:
	s_delay_alu instid0(SALU_CYCLE_1)
	s_and_b32 vcc_lo, exec_lo, s41
	s_cbranch_vccz .LBB143_63
; %bb.59:
	s_cmp_eq_u32 s39, 29
	s_cbranch_scc0 .LBB143_61
; %bb.60:
	global_load_b64 v[0:1], v[6:7], off
	s_mov_b32 s40, -1
	s_mov_b32 s38, 0
	s_wait_loadcnt 0x0
	v_cvt_f64_u32_e32 v[2:3], v1
	v_cvt_f64_u32_e32 v[0:1], v0
	s_delay_alu instid0(VALU_DEP_2) | instskip(NEXT) | instid1(VALU_DEP_1)
	v_ldexp_f64 v[2:3], v[2:3], 32
	v_add_f64_e32 v[0:1], v[2:3], v[0:1]
	s_branch .LBB143_62
.LBB143_61:
	s_mov_b32 s38, -1
                                        ; implicit-def: $vgpr0_vgpr1
.LBB143_62:
	v_mov_b64_e32 v[2:3], 0
.LBB143_63:
	s_mov_b32 s41, 0
.LBB143_64:
	s_delay_alu instid0(SALU_CYCLE_1)
	s_and_b32 vcc_lo, exec_lo, s41
	s_cbranch_vccz .LBB143_80
; %bb.65:
	s_cmp_lt_i32 s39, 27
	s_cbranch_scc1 .LBB143_68
; %bb.66:
	s_cmp_gt_i32 s39, 27
	s_cbranch_scc0 .LBB143_69
; %bb.67:
	global_load_b32 v0, v[6:7], off
	s_mov_b32 s40, 0
	s_wait_loadcnt 0x0
	v_cvt_f64_u32_e32 v[0:1], v0
	s_branch .LBB143_70
.LBB143_68:
	s_mov_b32 s40, -1
                                        ; implicit-def: $vgpr0_vgpr1
	s_branch .LBB143_73
.LBB143_69:
	s_mov_b32 s40, -1
                                        ; implicit-def: $vgpr0_vgpr1
.LBB143_70:
	s_delay_alu instid0(SALU_CYCLE_1)
	s_and_not1_b32 vcc_lo, exec_lo, s40
	s_cbranch_vccnz .LBB143_72
; %bb.71:
	global_load_u16 v0, v[6:7], off
	s_wait_loadcnt 0x0
	v_cvt_f64_u32_e32 v[0:1], v0
.LBB143_72:
	s_mov_b32 s40, 0
.LBB143_73:
	s_delay_alu instid0(SALU_CYCLE_1)
	s_and_not1_b32 vcc_lo, exec_lo, s40
	s_cbranch_vccnz .LBB143_79
; %bb.74:
	global_load_u8 v2, v[6:7], off
	s_mov_b32 s40, 0
	s_mov_b32 s41, exec_lo
	s_wait_loadcnt 0x0
	v_cmpx_lt_i16_e32 0x7f, v2
	s_xor_b32 s41, exec_lo, s41
	s_cbranch_execnz .LBB143_91
; %bb.75:
	s_or_saveexec_b32 s41, s41
	v_mov_b64_e32 v[0:1], 0x7ff8000020000000
	s_xor_b32 exec_lo, exec_lo, s41
	s_cbranch_execnz .LBB143_94
.LBB143_76:
	s_or_b32 exec_lo, exec_lo, s41
	s_and_saveexec_b32 s41, s40
	s_cbranch_execz .LBB143_78
.LBB143_77:
	v_and_b32_e32 v0, 0xffff, v2
	s_delay_alu instid0(VALU_DEP_1) | instskip(SKIP_1) | instid1(VALU_DEP_2)
	v_and_b32_e32 v1, 7, v0
	v_bfe_u32 v9, v0, 3, 4
	v_clz_i32_u32_e32 v3, v1
	s_delay_alu instid0(VALU_DEP_2) | instskip(NEXT) | instid1(VALU_DEP_2)
	v_cmp_eq_u32_e32 vcc_lo, 0, v9
	v_min_u32_e32 v3, 32, v3
	s_delay_alu instid0(VALU_DEP_1) | instskip(NEXT) | instid1(VALU_DEP_1)
	v_subrev_nc_u32_e32 v5, 28, v3
	v_dual_lshlrev_b32 v0, v5, v0 :: v_dual_sub_nc_u32 v3, 29, v3
	s_delay_alu instid0(VALU_DEP_1) | instskip(NEXT) | instid1(VALU_DEP_2)
	v_dual_lshlrev_b32 v2, 24, v2 :: v_dual_bitop2_b32 v0, 7, v0 bitop3:0x40
	v_cndmask_b32_e32 v3, v9, v3, vcc_lo
	s_delay_alu instid0(VALU_DEP_2) | instskip(NEXT) | instid1(VALU_DEP_3)
	v_cndmask_b32_e32 v0, v1, v0, vcc_lo
	v_and_b32_e32 v1, 0x80000000, v2
	s_delay_alu instid0(VALU_DEP_3) | instskip(NEXT) | instid1(VALU_DEP_3)
	v_lshl_add_u32 v2, v3, 23, 0x3b800000
	v_lshlrev_b32_e32 v0, 20, v0
	s_delay_alu instid0(VALU_DEP_1) | instskip(NEXT) | instid1(VALU_DEP_1)
	v_or3_b32 v0, v1, v2, v0
	v_cvt_f64_f32_e32 v[0:1], v0
.LBB143_78:
	s_or_b32 exec_lo, exec_lo, s41
.LBB143_79:
	v_mov_b64_e32 v[2:3], 0
	s_mov_b32 s40, -1
.LBB143_80:
	s_branch .LBB143_113
.LBB143_81:
	s_cmp_gt_i32 s39, 22
	s_cbranch_scc0 .LBB143_89
; %bb.82:
	s_cmp_lt_i32 s39, 24
	s_cbranch_scc1 .LBB143_90
; %bb.83:
	s_cmp_gt_i32 s39, 24
	s_cbranch_scc0 .LBB143_95
; %bb.84:
	global_load_u8 v2, v[6:7], off
	s_mov_b32 s40, 0
	s_mov_b32 s41, exec_lo
	s_wait_loadcnt 0x0
	v_cmpx_lt_i16_e32 0x7f, v2
	s_xor_b32 s41, exec_lo, s41
	s_cbranch_execnz .LBB143_164
; %bb.85:
	s_or_saveexec_b32 s41, s41
	v_mov_b64_e32 v[0:1], 0x7ff8000020000000
	s_xor_b32 exec_lo, exec_lo, s41
	s_cbranch_execnz .LBB143_167
.LBB143_86:
	s_or_b32 exec_lo, exec_lo, s41
	s_and_saveexec_b32 s41, s40
	s_cbranch_execz .LBB143_88
.LBB143_87:
	v_and_b32_e32 v0, 0xffff, v2
	s_delay_alu instid0(VALU_DEP_1) | instskip(SKIP_1) | instid1(VALU_DEP_2)
	v_and_b32_e32 v1, 3, v0
	v_bfe_u32 v9, v0, 2, 5
	v_clz_i32_u32_e32 v3, v1
	s_delay_alu instid0(VALU_DEP_2) | instskip(NEXT) | instid1(VALU_DEP_2)
	v_cmp_eq_u32_e32 vcc_lo, 0, v9
	v_min_u32_e32 v3, 32, v3
	s_delay_alu instid0(VALU_DEP_1) | instskip(NEXT) | instid1(VALU_DEP_1)
	v_subrev_nc_u32_e32 v5, 29, v3
	v_dual_lshlrev_b32 v0, v5, v0 :: v_dual_sub_nc_u32 v3, 30, v3
	s_delay_alu instid0(VALU_DEP_1) | instskip(NEXT) | instid1(VALU_DEP_2)
	v_dual_lshlrev_b32 v2, 24, v2 :: v_dual_bitop2_b32 v0, 3, v0 bitop3:0x40
	v_cndmask_b32_e32 v3, v9, v3, vcc_lo
	s_delay_alu instid0(VALU_DEP_2) | instskip(NEXT) | instid1(VALU_DEP_3)
	v_cndmask_b32_e32 v0, v1, v0, vcc_lo
	v_and_b32_e32 v1, 0x80000000, v2
	s_delay_alu instid0(VALU_DEP_3) | instskip(NEXT) | instid1(VALU_DEP_3)
	v_lshl_add_u32 v2, v3, 23, 0x37800000
	v_lshlrev_b32_e32 v0, 21, v0
	s_delay_alu instid0(VALU_DEP_1) | instskip(NEXT) | instid1(VALU_DEP_1)
	v_or3_b32 v0, v1, v2, v0
	v_cvt_f64_f32_e32 v[0:1], v0
.LBB143_88:
	s_or_b32 exec_lo, exec_lo, s41
	s_mov_b32 s40, 0
	s_branch .LBB143_96
.LBB143_89:
                                        ; implicit-def: $vgpr0_vgpr1
	s_branch .LBB143_102
.LBB143_90:
	s_mov_b32 s40, -1
                                        ; implicit-def: $vgpr0_vgpr1
	s_branch .LBB143_99
.LBB143_91:
	s_mov_b32 s40, -1
	s_mov_b32 s53, exec_lo
	v_cmpx_eq_u16_e32 0x80, v2
; %bb.92:
	s_xor_b32 s40, exec_lo, -1
; %bb.93:
	s_or_b32 exec_lo, exec_lo, s53
	s_delay_alu instid0(SALU_CYCLE_1)
	s_and_b32 s40, s40, exec_lo
	s_or_saveexec_b32 s41, s41
	v_mov_b64_e32 v[0:1], 0x7ff8000020000000
	s_xor_b32 exec_lo, exec_lo, s41
	s_cbranch_execz .LBB143_76
.LBB143_94:
	v_cmp_ne_u16_e32 vcc_lo, 0, v2
	v_mov_b64_e32 v[0:1], 0
	s_and_not1_b32 s40, s40, exec_lo
	s_and_b32 s53, vcc_lo, exec_lo
	s_delay_alu instid0(SALU_CYCLE_1)
	s_or_b32 s40, s40, s53
	s_or_b32 exec_lo, exec_lo, s41
	s_and_saveexec_b32 s41, s40
	s_cbranch_execnz .LBB143_77
	s_branch .LBB143_78
.LBB143_95:
	s_mov_b32 s40, -1
                                        ; implicit-def: $vgpr0_vgpr1
.LBB143_96:
	s_delay_alu instid0(SALU_CYCLE_1)
	s_and_b32 vcc_lo, exec_lo, s40
	s_cbranch_vccz .LBB143_98
; %bb.97:
	global_load_u8 v0, v[6:7], off
	s_wait_loadcnt 0x0
	v_lshlrev_b32_e32 v0, 24, v0
	s_delay_alu instid0(VALU_DEP_1) | instskip(NEXT) | instid1(VALU_DEP_1)
	v_and_b32_e32 v1, 0x7f000000, v0
	v_clz_i32_u32_e32 v2, v1
	v_add_nc_u32_e32 v5, 0x1000000, v1
	v_cmp_ne_u32_e32 vcc_lo, 0, v1
	s_delay_alu instid0(VALU_DEP_3) | instskip(NEXT) | instid1(VALU_DEP_1)
	v_min_u32_e32 v2, 32, v2
	v_sub_nc_u32_e64 v2, v2, 4 clamp
	s_delay_alu instid0(VALU_DEP_1) | instskip(NEXT) | instid1(VALU_DEP_1)
	v_dual_lshlrev_b32 v3, v2, v1 :: v_dual_lshlrev_b32 v2, 23, v2
	v_lshrrev_b32_e32 v3, 4, v3
	s_delay_alu instid0(VALU_DEP_1) | instskip(NEXT) | instid1(VALU_DEP_1)
	v_dual_sub_nc_u32 v2, v3, v2 :: v_dual_ashrrev_i32 v3, 8, v5
	v_add_nc_u32_e32 v2, 0x3c000000, v2
	s_delay_alu instid0(VALU_DEP_1) | instskip(NEXT) | instid1(VALU_DEP_1)
	v_and_or_b32 v2, 0x7f800000, v3, v2
	v_cndmask_b32_e32 v1, 0, v2, vcc_lo
	s_delay_alu instid0(VALU_DEP_1) | instskip(NEXT) | instid1(VALU_DEP_1)
	v_and_or_b32 v0, 0x80000000, v0, v1
	v_cvt_f64_f32_e32 v[0:1], v0
.LBB143_98:
	s_mov_b32 s40, 0
.LBB143_99:
	s_delay_alu instid0(SALU_CYCLE_1)
	s_and_not1_b32 vcc_lo, exec_lo, s40
	s_cbranch_vccnz .LBB143_101
; %bb.100:
	global_load_u8 v0, v[6:7], off
	s_wait_loadcnt 0x0
	v_lshlrev_b32_e32 v1, 25, v0
	v_lshlrev_b16 v0, 8, v0
	s_delay_alu instid0(VALU_DEP_1) | instskip(SKIP_1) | instid1(VALU_DEP_2)
	v_and_or_b32 v3, 0x7f00, v0, 0.5
	v_bfe_i32 v0, v0, 0, 16
	v_dual_add_f32 v3, -0.5, v3 :: v_dual_lshrrev_b32 v2, 4, v1
	v_cmp_gt_u32_e32 vcc_lo, 0x8000000, v1
	s_delay_alu instid0(VALU_DEP_2) | instskip(NEXT) | instid1(VALU_DEP_1)
	v_or_b32_e32 v2, 0x70000000, v2
	v_mul_f32_e32 v2, 0x7800000, v2
	s_delay_alu instid0(VALU_DEP_1) | instskip(NEXT) | instid1(VALU_DEP_1)
	v_cndmask_b32_e32 v1, v2, v3, vcc_lo
	v_and_or_b32 v0, 0x80000000, v0, v1
	s_delay_alu instid0(VALU_DEP_1)
	v_cvt_f64_f32_e32 v[0:1], v0
.LBB143_101:
	s_mov_b32 s40, -1
	s_cbranch_execnz .LBB143_112
.LBB143_102:
	s_cmp_gt_i32 s39, 14
	s_cbranch_scc0 .LBB143_105
; %bb.103:
	s_cmp_eq_u32 s39, 15
	s_cbranch_scc0 .LBB143_106
; %bb.104:
	global_load_u16 v0, v[6:7], off
	s_mov_b32 s40, -1
	s_mov_b32 s38, 0
	s_wait_loadcnt 0x0
	v_lshlrev_b32_e32 v0, 16, v0
	s_delay_alu instid0(VALU_DEP_1)
	v_cvt_f64_f32_e32 v[0:1], v0
	s_branch .LBB143_107
.LBB143_105:
	s_mov_b32 s41, -1
                                        ; implicit-def: $vgpr0_vgpr1
	s_branch .LBB143_108
.LBB143_106:
	s_mov_b32 s38, -1
                                        ; implicit-def: $vgpr0_vgpr1
.LBB143_107:
	s_mov_b32 s41, 0
.LBB143_108:
	s_delay_alu instid0(SALU_CYCLE_1)
	s_and_b32 vcc_lo, exec_lo, s41
	s_cbranch_vccz .LBB143_112
; %bb.109:
	s_cmp_eq_u32 s39, 11
	s_cbranch_scc0 .LBB143_111
; %bb.110:
	global_load_u8 v0, v[6:7], off
	s_mov_b32 s38, 0
	s_mov_b32 s40, -1
	v_mov_b64_e32 v[2:3], 0
	s_wait_loadcnt 0x0
	v_cmp_ne_u16_e32 vcc_lo, 0, v0
	v_mov_b32_e32 v0, 0
	v_cndmask_b32_e64 v1, 0, 0x3ff00000, vcc_lo
	s_branch .LBB143_113
.LBB143_111:
	s_mov_b32 s38, -1
                                        ; implicit-def: $vgpr0_vgpr1
.LBB143_112:
	v_mov_b64_e32 v[2:3], 0
.LBB143_113:
	s_branch .LBB143_21
.LBB143_114:
	s_and_b32 s0, 0xffff, s0
	s_delay_alu instid0(SALU_CYCLE_1)
	s_cmp_lt_i32 s0, 5
	s_cbranch_scc1 .LBB143_119
; %bb.115:
	s_cmp_lt_i32 s0, 8
	s_cbranch_scc1 .LBB143_120
; %bb.116:
	;; [unrolled: 3-line block ×3, first 2 shown]
	s_cmp_gt_i32 s0, 9
	s_cbranch_scc0 .LBB143_122
; %bb.118:
	global_load_b128 v[0:3], v[6:7], off
	s_mov_b32 s39, 0
	s_branch .LBB143_123
.LBB143_119:
                                        ; implicit-def: $vgpr2_vgpr3
	s_branch .LBB143_142
.LBB143_120:
	s_mov_b32 s39, -1
                                        ; implicit-def: $vgpr2_vgpr3
	s_branch .LBB143_129
.LBB143_121:
	s_mov_b32 s39, -1
                                        ; implicit-def: $vgpr2_vgpr3
	s_branch .LBB143_126
.LBB143_122:
	s_mov_b32 s39, -1
                                        ; implicit-def: $vgpr2_vgpr3
.LBB143_123:
	s_delay_alu instid0(SALU_CYCLE_1)
	s_and_not1_b32 vcc_lo, exec_lo, s39
	s_cbranch_vccnz .LBB143_125
; %bb.124:
	s_wait_loadcnt 0x0
	global_load_b64 v[2:3], v[6:7], off
	s_wait_loadcnt 0x0
	v_cvt_f64_f32_e32 v[0:1], v2
	v_cvt_f64_f32_e32 v[2:3], v3
.LBB143_125:
	s_mov_b32 s39, 0
.LBB143_126:
	s_delay_alu instid0(SALU_CYCLE_1)
	s_and_not1_b32 vcc_lo, exec_lo, s39
	s_cbranch_vccnz .LBB143_128
; %bb.127:
	s_wait_loadcnt 0x0
	global_load_b32 v0, v[6:7], off
	s_wait_loadcnt 0x0
	v_lshrrev_b32_e32 v1, 16, v0
	v_cvt_f32_f16_e32 v0, v0
	s_delay_alu instid0(VALU_DEP_2) | instskip(NEXT) | instid1(VALU_DEP_2)
	v_cvt_f32_f16_e32 v2, v1
	v_cvt_f64_f32_e32 v[0:1], v0
	s_delay_alu instid0(VALU_DEP_2)
	v_cvt_f64_f32_e32 v[2:3], v2
.LBB143_128:
	s_mov_b32 s39, 0
.LBB143_129:
	s_delay_alu instid0(SALU_CYCLE_1)
	s_and_not1_b32 vcc_lo, exec_lo, s39
	s_cbranch_vccnz .LBB143_141
; %bb.130:
	s_cmp_lt_i32 s0, 6
	s_cbranch_scc1 .LBB143_133
; %bb.131:
	s_cmp_gt_i32 s0, 6
	s_cbranch_scc0 .LBB143_134
; %bb.132:
	s_wait_loadcnt 0x0
	global_load_b64 v[0:1], v[6:7], off
	s_mov_b32 s39, 0
	s_branch .LBB143_135
.LBB143_133:
	s_mov_b32 s39, -1
                                        ; implicit-def: $vgpr0_vgpr1
	s_branch .LBB143_138
.LBB143_134:
	s_mov_b32 s39, -1
                                        ; implicit-def: $vgpr0_vgpr1
.LBB143_135:
	s_delay_alu instid0(SALU_CYCLE_1)
	s_and_not1_b32 vcc_lo, exec_lo, s39
	s_cbranch_vccnz .LBB143_137
; %bb.136:
	s_wait_loadcnt 0x0
	global_load_b32 v0, v[6:7], off
	s_wait_loadcnt 0x0
	v_cvt_f64_f32_e32 v[0:1], v0
.LBB143_137:
	s_mov_b32 s39, 0
.LBB143_138:
	s_delay_alu instid0(SALU_CYCLE_1)
	s_and_not1_b32 vcc_lo, exec_lo, s39
	s_cbranch_vccnz .LBB143_140
; %bb.139:
	s_wait_loadcnt 0x0
	global_load_u16 v0, v[6:7], off
	s_wait_loadcnt 0x0
	v_cvt_f32_f16_e32 v0, v0
	s_delay_alu instid0(VALU_DEP_1)
	v_cvt_f64_f32_e32 v[0:1], v0
.LBB143_140:
	s_wait_loadcnt 0x0
	v_mov_b64_e32 v[2:3], 0
.LBB143_141:
	s_cbranch_execnz .LBB143_162
.LBB143_142:
	s_cmp_lt_i32 s0, 2
	s_cbranch_scc1 .LBB143_146
; %bb.143:
	s_cmp_lt_i32 s0, 3
	s_cbranch_scc1 .LBB143_147
; %bb.144:
	s_cmp_gt_i32 s0, 3
	s_cbranch_scc0 .LBB143_148
; %bb.145:
	s_wait_loadcnt 0x0
	global_load_b64 v[0:1], v[6:7], off
	s_mov_b32 s39, 0
	s_wait_loadcnt 0x0
	v_cvt_f64_i32_e32 v[2:3], v1
	v_cvt_f64_u32_e32 v[0:1], v0
	s_delay_alu instid0(VALU_DEP_2) | instskip(NEXT) | instid1(VALU_DEP_1)
	v_ldexp_f64 v[2:3], v[2:3], 32
	v_add_f64_e32 v[0:1], v[2:3], v[0:1]
	s_branch .LBB143_149
.LBB143_146:
	s_mov_b32 s39, -1
                                        ; implicit-def: $vgpr0_vgpr1
	s_branch .LBB143_155
.LBB143_147:
	s_mov_b32 s39, -1
                                        ; implicit-def: $vgpr0_vgpr1
	s_branch .LBB143_152
.LBB143_148:
	s_mov_b32 s39, -1
                                        ; implicit-def: $vgpr0_vgpr1
.LBB143_149:
	s_delay_alu instid0(SALU_CYCLE_1)
	s_and_not1_b32 vcc_lo, exec_lo, s39
	s_cbranch_vccnz .LBB143_151
; %bb.150:
	s_wait_loadcnt 0x0
	global_load_b32 v0, v[6:7], off
	s_wait_loadcnt 0x0
	v_cvt_f64_i32_e32 v[0:1], v0
.LBB143_151:
	s_mov_b32 s39, 0
.LBB143_152:
	s_delay_alu instid0(SALU_CYCLE_1)
	s_and_not1_b32 vcc_lo, exec_lo, s39
	s_cbranch_vccnz .LBB143_154
; %bb.153:
	s_wait_loadcnt 0x0
	global_load_i16 v0, v[6:7], off
	s_wait_loadcnt 0x0
	v_cvt_f64_i32_e32 v[0:1], v0
.LBB143_154:
	s_mov_b32 s39, 0
.LBB143_155:
	s_delay_alu instid0(SALU_CYCLE_1)
	s_and_not1_b32 vcc_lo, exec_lo, s39
	s_cbranch_vccnz .LBB143_161
; %bb.156:
	s_cmp_gt_i32 s0, 0
	s_mov_b32 s0, 0
	s_cbranch_scc0 .LBB143_158
; %bb.157:
	s_wait_loadcnt 0x0
	global_load_i8 v0, v[6:7], off
	s_wait_loadcnt 0x0
	v_cvt_f64_i32_e32 v[0:1], v0
	s_branch .LBB143_159
.LBB143_158:
	s_mov_b32 s0, -1
                                        ; implicit-def: $vgpr0_vgpr1
.LBB143_159:
	s_delay_alu instid0(SALU_CYCLE_1)
	s_and_not1_b32 vcc_lo, exec_lo, s0
	s_cbranch_vccnz .LBB143_161
; %bb.160:
	s_wait_loadcnt 0x0
	global_load_u8 v0, v[6:7], off
	s_wait_loadcnt 0x0
	v_cvt_f64_u32_e32 v[0:1], v0
.LBB143_161:
	s_wait_loadcnt 0x0
	v_mov_b64_e32 v[2:3], 0
.LBB143_162:
	s_branch .LBB143_22
.LBB143_163:
	s_mov_b32 s0, 0
	s_mov_b32 s40, 0
	;; [unrolled: 1-line block ×3, first 2 shown]
	s_branch .LBB143_535
.LBB143_164:
	s_mov_b32 s40, -1
	s_mov_b32 s53, exec_lo
	v_cmpx_eq_u16_e32 0x80, v2
; %bb.165:
	s_xor_b32 s40, exec_lo, -1
; %bb.166:
	s_or_b32 exec_lo, exec_lo, s53
	s_delay_alu instid0(SALU_CYCLE_1)
	s_and_b32 s40, s40, exec_lo
	s_or_saveexec_b32 s41, s41
	v_mov_b64_e32 v[0:1], 0x7ff8000020000000
	s_xor_b32 exec_lo, exec_lo, s41
	s_cbranch_execz .LBB143_86
.LBB143_167:
	v_cmp_ne_u16_e32 vcc_lo, 0, v2
	v_mov_b64_e32 v[0:1], 0
	s_and_not1_b32 s40, s40, exec_lo
	s_and_b32 s53, vcc_lo, exec_lo
	s_delay_alu instid0(SALU_CYCLE_1)
	s_or_b32 s40, s40, s53
	s_or_b32 exec_lo, exec_lo, s41
	s_and_saveexec_b32 s41, s40
	s_cbranch_execnz .LBB143_87
	s_branch .LBB143_88
.LBB143_168:
	s_mov_b32 s39, -1
.LBB143_169:
	s_mov_b32 s41, 0
                                        ; implicit-def: $vgpr6_vgpr7
.LBB143_170:
	s_and_b32 vcc_lo, exec_lo, s53
	s_cbranch_vccz .LBB143_176
; %bb.171:
	s_cmp_eq_u32 s40, 44
	s_cbranch_scc0 .LBB143_174
; %bb.172:
	global_load_u8 v6, v[10:11], off
	s_mov_b32 s39, 0
	s_mov_b32 s41, -1
	s_wait_loadcnt 0x0
	v_cmp_ne_u32_e32 vcc_lo, 0xff, v6
	v_lshlrev_b32_e32 v4, 23, v6
	s_delay_alu instid0(VALU_DEP_1) | instskip(NEXT) | instid1(VALU_DEP_1)
	v_cvt_f64_f32_e32 v[4:5], v4
	v_cndmask_b32_e32 v4, 0x20000000, v4, vcc_lo
	s_delay_alu instid0(VALU_DEP_2) | instskip(SKIP_1) | instid1(VALU_DEP_2)
	v_cndmask_b32_e32 v5, 0x7ff80000, v5, vcc_lo
	v_cmp_ne_u32_e32 vcc_lo, 0, v6
	v_cndmask_b32_e32 v5, 0x38000000, v5, vcc_lo
	s_delay_alu instid0(VALU_DEP_4)
	v_cndmask_b32_e32 v4, 0, v4, vcc_lo
	s_branch .LBB143_175
.LBB143_173:
	s_mov_b32 s53, -1
	s_mov_b32 s40, 0
	s_branch .LBB143_291
.LBB143_174:
	s_mov_b32 s39, -1
                                        ; implicit-def: $vgpr4_vgpr5
.LBB143_175:
	s_wait_xcnt 0x0
	v_mov_b64_e32 v[6:7], 0
.LBB143_176:
	s_mov_b32 s53, 0
.LBB143_177:
	s_delay_alu instid0(SALU_CYCLE_1)
	s_and_b32 vcc_lo, exec_lo, s53
	s_cbranch_vccz .LBB143_182
; %bb.178:
	s_cmp_eq_u32 s40, 29
	s_cbranch_scc0 .LBB143_180
; %bb.179:
	global_load_b64 v[4:5], v[10:11], off
	s_mov_b32 s41, -1
	s_mov_b32 s39, 0
	s_wait_loadcnt 0x0
	v_cvt_f64_u32_e32 v[6:7], v5
	v_cvt_f64_u32_e32 v[4:5], v4
	s_delay_alu instid0(VALU_DEP_2) | instskip(NEXT) | instid1(VALU_DEP_1)
	v_ldexp_f64 v[6:7], v[6:7], 32
	v_add_f64_e32 v[4:5], v[6:7], v[4:5]
	s_branch .LBB143_181
.LBB143_180:
	s_mov_b32 s39, -1
                                        ; implicit-def: $vgpr4_vgpr5
.LBB143_181:
	s_wait_xcnt 0x0
	v_mov_b64_e32 v[6:7], 0
.LBB143_182:
	s_mov_b32 s53, 0
.LBB143_183:
	s_delay_alu instid0(SALU_CYCLE_1)
	s_and_b32 vcc_lo, exec_lo, s53
	s_cbranch_vccz .LBB143_199
; %bb.184:
	s_cmp_lt_i32 s40, 27
	s_cbranch_scc1 .LBB143_187
; %bb.185:
	s_cmp_gt_i32 s40, 27
	s_cbranch_scc0 .LBB143_188
; %bb.186:
	global_load_b32 v4, v[10:11], off
	s_mov_b32 s41, 0
	s_wait_loadcnt 0x0
	v_cvt_f64_u32_e32 v[4:5], v4
	s_branch .LBB143_189
.LBB143_187:
	s_mov_b32 s41, -1
                                        ; implicit-def: $vgpr4_vgpr5
	s_branch .LBB143_192
.LBB143_188:
	s_mov_b32 s41, -1
                                        ; implicit-def: $vgpr4_vgpr5
.LBB143_189:
	s_delay_alu instid0(SALU_CYCLE_1)
	s_and_not1_b32 vcc_lo, exec_lo, s41
	s_cbranch_vccnz .LBB143_191
; %bb.190:
	global_load_u16 v4, v[10:11], off
	s_wait_loadcnt 0x0
	v_cvt_f64_u32_e32 v[4:5], v4
.LBB143_191:
	s_mov_b32 s41, 0
.LBB143_192:
	s_delay_alu instid0(SALU_CYCLE_1)
	s_and_not1_b32 vcc_lo, exec_lo, s41
	s_cbranch_vccnz .LBB143_198
; %bb.193:
	global_load_u8 v6, v[10:11], off
	s_mov_b32 s41, 0
	s_mov_b32 s53, exec_lo
	s_wait_loadcnt 0x0
	v_cmpx_lt_i16_e32 0x7f, v6
	s_xor_b32 s53, exec_lo, s53
	s_cbranch_execnz .LBB143_211
; %bb.194:
	s_or_saveexec_b32 s53, s53
	v_mov_b64_e32 v[4:5], 0x7ff8000020000000
	s_xor_b32 exec_lo, exec_lo, s53
	s_cbranch_execnz .LBB143_214
.LBB143_195:
	s_or_b32 exec_lo, exec_lo, s53
	s_and_saveexec_b32 s53, s41
	s_cbranch_execz .LBB143_197
.LBB143_196:
	v_and_b32_e32 v4, 0xffff, v6
	s_delay_alu instid0(VALU_DEP_1) | instskip(SKIP_1) | instid1(VALU_DEP_2)
	v_and_b32_e32 v5, 7, v4
	v_bfe_u32 v13, v4, 3, 4
	v_clz_i32_u32_e32 v7, v5
	s_delay_alu instid0(VALU_DEP_2) | instskip(NEXT) | instid1(VALU_DEP_2)
	v_cmp_eq_u32_e32 vcc_lo, 0, v13
	v_min_u32_e32 v7, 32, v7
	s_delay_alu instid0(VALU_DEP_1) | instskip(NEXT) | instid1(VALU_DEP_1)
	v_subrev_nc_u32_e32 v9, 28, v7
	v_dual_lshlrev_b32 v4, v9, v4 :: v_dual_sub_nc_u32 v7, 29, v7
	s_delay_alu instid0(VALU_DEP_1) | instskip(NEXT) | instid1(VALU_DEP_2)
	v_dual_lshlrev_b32 v6, 24, v6 :: v_dual_bitop2_b32 v4, 7, v4 bitop3:0x40
	v_cndmask_b32_e32 v7, v13, v7, vcc_lo
	s_delay_alu instid0(VALU_DEP_2) | instskip(NEXT) | instid1(VALU_DEP_3)
	v_cndmask_b32_e32 v4, v5, v4, vcc_lo
	v_and_b32_e32 v5, 0x80000000, v6
	s_delay_alu instid0(VALU_DEP_3) | instskip(NEXT) | instid1(VALU_DEP_3)
	v_lshl_add_u32 v6, v7, 23, 0x3b800000
	v_lshlrev_b32_e32 v4, 20, v4
	s_delay_alu instid0(VALU_DEP_1) | instskip(NEXT) | instid1(VALU_DEP_1)
	v_or3_b32 v4, v5, v6, v4
	v_cvt_f64_f32_e32 v[4:5], v4
.LBB143_197:
	s_or_b32 exec_lo, exec_lo, s53
.LBB143_198:
	s_wait_xcnt 0x0
	v_mov_b64_e32 v[6:7], 0
	s_mov_b32 s41, -1
.LBB143_199:
	s_mov_b32 s53, 0
.LBB143_200:
	s_delay_alu instid0(SALU_CYCLE_1)
	s_and_b32 vcc_lo, exec_lo, s53
	s_cbranch_vccz .LBB143_234
; %bb.201:
	s_cmp_gt_i32 s40, 22
	s_cbranch_scc0 .LBB143_209
; %bb.202:
	s_cmp_lt_i32 s40, 24
	s_cbranch_scc1 .LBB143_210
; %bb.203:
	s_cmp_gt_i32 s40, 24
	s_cbranch_scc0 .LBB143_215
; %bb.204:
	global_load_u8 v6, v[10:11], off
	s_mov_b32 s41, 0
	s_mov_b32 s53, exec_lo
	s_wait_loadcnt 0x0
	v_cmpx_lt_i16_e32 0x7f, v6
	s_xor_b32 s53, exec_lo, s53
	s_cbranch_execnz .LBB143_286
; %bb.205:
	s_or_saveexec_b32 s53, s53
	v_mov_b64_e32 v[4:5], 0x7ff8000020000000
	s_xor_b32 exec_lo, exec_lo, s53
	s_cbranch_execnz .LBB143_289
.LBB143_206:
	s_or_b32 exec_lo, exec_lo, s53
	s_and_saveexec_b32 s53, s41
	s_cbranch_execz .LBB143_208
.LBB143_207:
	v_and_b32_e32 v4, 0xffff, v6
	s_delay_alu instid0(VALU_DEP_1) | instskip(SKIP_1) | instid1(VALU_DEP_2)
	v_and_b32_e32 v5, 3, v4
	v_bfe_u32 v13, v4, 2, 5
	v_clz_i32_u32_e32 v7, v5
	s_delay_alu instid0(VALU_DEP_2) | instskip(NEXT) | instid1(VALU_DEP_2)
	v_cmp_eq_u32_e32 vcc_lo, 0, v13
	v_min_u32_e32 v7, 32, v7
	s_delay_alu instid0(VALU_DEP_1) | instskip(NEXT) | instid1(VALU_DEP_1)
	v_subrev_nc_u32_e32 v9, 29, v7
	v_dual_lshlrev_b32 v4, v9, v4 :: v_dual_sub_nc_u32 v7, 30, v7
	s_delay_alu instid0(VALU_DEP_1) | instskip(NEXT) | instid1(VALU_DEP_2)
	v_dual_lshlrev_b32 v6, 24, v6 :: v_dual_bitop2_b32 v4, 3, v4 bitop3:0x40
	v_cndmask_b32_e32 v7, v13, v7, vcc_lo
	s_delay_alu instid0(VALU_DEP_2) | instskip(NEXT) | instid1(VALU_DEP_3)
	v_cndmask_b32_e32 v4, v5, v4, vcc_lo
	v_and_b32_e32 v5, 0x80000000, v6
	s_delay_alu instid0(VALU_DEP_3) | instskip(NEXT) | instid1(VALU_DEP_3)
	v_lshl_add_u32 v6, v7, 23, 0x37800000
	v_lshlrev_b32_e32 v4, 21, v4
	s_delay_alu instid0(VALU_DEP_1) | instskip(NEXT) | instid1(VALU_DEP_1)
	v_or3_b32 v4, v5, v6, v4
	v_cvt_f64_f32_e32 v[4:5], v4
.LBB143_208:
	s_or_b32 exec_lo, exec_lo, s53
	s_mov_b32 s41, 0
	s_branch .LBB143_216
.LBB143_209:
	s_mov_b32 s53, -1
                                        ; implicit-def: $vgpr4_vgpr5
	s_branch .LBB143_222
.LBB143_210:
	s_mov_b32 s41, -1
                                        ; implicit-def: $vgpr4_vgpr5
	s_branch .LBB143_219
.LBB143_211:
	s_mov_b32 s41, -1
	s_mov_b32 s54, exec_lo
	v_cmpx_eq_u16_e32 0x80, v6
; %bb.212:
	s_xor_b32 s41, exec_lo, -1
; %bb.213:
	s_or_b32 exec_lo, exec_lo, s54
	s_delay_alu instid0(SALU_CYCLE_1)
	s_and_b32 s41, s41, exec_lo
	s_or_saveexec_b32 s53, s53
	v_mov_b64_e32 v[4:5], 0x7ff8000020000000
	s_xor_b32 exec_lo, exec_lo, s53
	s_cbranch_execz .LBB143_195
.LBB143_214:
	v_cmp_ne_u16_e32 vcc_lo, 0, v6
	v_mov_b64_e32 v[4:5], 0
	s_and_not1_b32 s41, s41, exec_lo
	s_and_b32 s54, vcc_lo, exec_lo
	s_delay_alu instid0(SALU_CYCLE_1)
	s_or_b32 s41, s41, s54
	s_or_b32 exec_lo, exec_lo, s53
	s_and_saveexec_b32 s53, s41
	s_cbranch_execnz .LBB143_196
	s_branch .LBB143_197
.LBB143_215:
	s_mov_b32 s41, -1
                                        ; implicit-def: $vgpr4_vgpr5
.LBB143_216:
	s_delay_alu instid0(SALU_CYCLE_1)
	s_and_b32 vcc_lo, exec_lo, s41
	s_cbranch_vccz .LBB143_218
; %bb.217:
	global_load_u8 v4, v[10:11], off
	s_wait_loadcnt 0x0
	v_lshlrev_b32_e32 v4, 24, v4
	s_delay_alu instid0(VALU_DEP_1) | instskip(NEXT) | instid1(VALU_DEP_1)
	v_and_b32_e32 v5, 0x7f000000, v4
	v_clz_i32_u32_e32 v6, v5
	v_add_nc_u32_e32 v9, 0x1000000, v5
	v_cmp_ne_u32_e32 vcc_lo, 0, v5
	s_delay_alu instid0(VALU_DEP_3) | instskip(NEXT) | instid1(VALU_DEP_1)
	v_min_u32_e32 v6, 32, v6
	v_sub_nc_u32_e64 v6, v6, 4 clamp
	s_delay_alu instid0(VALU_DEP_1) | instskip(NEXT) | instid1(VALU_DEP_1)
	v_dual_lshlrev_b32 v7, v6, v5 :: v_dual_lshlrev_b32 v6, 23, v6
	v_lshrrev_b32_e32 v7, 4, v7
	s_delay_alu instid0(VALU_DEP_1) | instskip(NEXT) | instid1(VALU_DEP_1)
	v_dual_sub_nc_u32 v6, v7, v6 :: v_dual_ashrrev_i32 v7, 8, v9
	v_add_nc_u32_e32 v6, 0x3c000000, v6
	s_delay_alu instid0(VALU_DEP_1) | instskip(NEXT) | instid1(VALU_DEP_1)
	v_and_or_b32 v6, 0x7f800000, v7, v6
	v_cndmask_b32_e32 v5, 0, v6, vcc_lo
	s_delay_alu instid0(VALU_DEP_1) | instskip(NEXT) | instid1(VALU_DEP_1)
	v_and_or_b32 v4, 0x80000000, v4, v5
	v_cvt_f64_f32_e32 v[4:5], v4
.LBB143_218:
	s_mov_b32 s41, 0
.LBB143_219:
	s_delay_alu instid0(SALU_CYCLE_1)
	s_and_not1_b32 vcc_lo, exec_lo, s41
	s_cbranch_vccnz .LBB143_221
; %bb.220:
	global_load_u8 v4, v[10:11], off
	s_wait_loadcnt 0x0
	v_lshlrev_b32_e32 v5, 25, v4
	v_lshlrev_b16 v4, 8, v4
	s_delay_alu instid0(VALU_DEP_1) | instskip(SKIP_1) | instid1(VALU_DEP_2)
	v_and_or_b32 v7, 0x7f00, v4, 0.5
	v_bfe_i32 v4, v4, 0, 16
	v_dual_add_f32 v7, -0.5, v7 :: v_dual_lshrrev_b32 v6, 4, v5
	v_cmp_gt_u32_e32 vcc_lo, 0x8000000, v5
	s_delay_alu instid0(VALU_DEP_2) | instskip(NEXT) | instid1(VALU_DEP_1)
	v_or_b32_e32 v6, 0x70000000, v6
	v_mul_f32_e32 v6, 0x7800000, v6
	s_delay_alu instid0(VALU_DEP_1) | instskip(NEXT) | instid1(VALU_DEP_1)
	v_cndmask_b32_e32 v5, v6, v7, vcc_lo
	v_and_or_b32 v4, 0x80000000, v4, v5
	s_delay_alu instid0(VALU_DEP_1)
	v_cvt_f64_f32_e32 v[4:5], v4
.LBB143_221:
	s_mov_b32 s53, 0
	s_mov_b32 s41, -1
.LBB143_222:
	s_and_not1_b32 vcc_lo, exec_lo, s53
	s_cbranch_vccnz .LBB143_233
; %bb.223:
	s_cmp_gt_i32 s40, 14
	s_cbranch_scc0 .LBB143_226
; %bb.224:
	s_cmp_eq_u32 s40, 15
	s_cbranch_scc0 .LBB143_227
; %bb.225:
	global_load_u16 v4, v[10:11], off
	s_mov_b32 s41, -1
	s_mov_b32 s39, 0
	s_wait_loadcnt 0x0
	v_lshlrev_b32_e32 v4, 16, v4
	s_delay_alu instid0(VALU_DEP_1)
	v_cvt_f64_f32_e32 v[4:5], v4
	s_branch .LBB143_228
.LBB143_226:
	s_mov_b32 s53, -1
                                        ; implicit-def: $vgpr4_vgpr5
	s_branch .LBB143_229
.LBB143_227:
	s_mov_b32 s39, -1
                                        ; implicit-def: $vgpr4_vgpr5
.LBB143_228:
	s_mov_b32 s53, 0
.LBB143_229:
	s_delay_alu instid0(SALU_CYCLE_1)
	s_and_b32 vcc_lo, exec_lo, s53
	s_cbranch_vccz .LBB143_233
; %bb.230:
	s_cmp_eq_u32 s40, 11
	s_cbranch_scc0 .LBB143_232
; %bb.231:
	global_load_u8 v4, v[10:11], off
	s_mov_b32 s39, 0
	s_mov_b32 s41, -1
	s_wait_xcnt 0x1
	v_mov_b64_e32 v[6:7], 0
	s_wait_loadcnt 0x0
	v_cmp_ne_u16_e32 vcc_lo, 0, v4
	v_mov_b32_e32 v4, 0
	v_cndmask_b32_e64 v5, 0, 0x3ff00000, vcc_lo
	s_branch .LBB143_234
.LBB143_232:
	s_mov_b32 s39, -1
                                        ; implicit-def: $vgpr4_vgpr5
.LBB143_233:
	s_wait_xcnt 0x0
	v_mov_b64_e32 v[6:7], 0
.LBB143_234:
	s_branch .LBB143_31
.LBB143_235:
	s_and_b32 s0, 0xffff, s0
	s_delay_alu instid0(SALU_CYCLE_1)
	s_cmp_lt_i32 s0, 5
	s_cbranch_scc1 .LBB143_240
; %bb.236:
	s_cmp_lt_i32 s0, 8
	s_cbranch_scc1 .LBB143_241
; %bb.237:
	;; [unrolled: 3-line block ×3, first 2 shown]
	s_cmp_gt_i32 s0, 9
	s_cbranch_scc0 .LBB143_243
; %bb.239:
	global_load_b128 v[4:7], v[10:11], off
	s_mov_b32 s40, 0
	s_branch .LBB143_244
.LBB143_240:
	s_mov_b32 s40, -1
                                        ; implicit-def: $vgpr6_vgpr7
	s_branch .LBB143_263
.LBB143_241:
	s_mov_b32 s40, -1
                                        ; implicit-def: $vgpr6_vgpr7
	s_branch .LBB143_250
.LBB143_242:
	s_mov_b32 s40, -1
                                        ; implicit-def: $vgpr6_vgpr7
	s_branch .LBB143_247
.LBB143_243:
	s_mov_b32 s40, -1
                                        ; implicit-def: $vgpr6_vgpr7
.LBB143_244:
	s_delay_alu instid0(SALU_CYCLE_1)
	s_and_not1_b32 vcc_lo, exec_lo, s40
	s_cbranch_vccnz .LBB143_246
; %bb.245:
	s_wait_loadcnt 0x0
	global_load_b64 v[6:7], v[10:11], off
	s_wait_loadcnt 0x0
	v_cvt_f64_f32_e32 v[4:5], v6
	v_cvt_f64_f32_e32 v[6:7], v7
.LBB143_246:
	s_mov_b32 s40, 0
.LBB143_247:
	s_delay_alu instid0(SALU_CYCLE_1)
	s_and_not1_b32 vcc_lo, exec_lo, s40
	s_cbranch_vccnz .LBB143_249
; %bb.248:
	s_wait_loadcnt 0x0
	global_load_b32 v4, v[10:11], off
	s_wait_loadcnt 0x0
	v_lshrrev_b32_e32 v5, 16, v4
	v_cvt_f32_f16_e32 v4, v4
	s_delay_alu instid0(VALU_DEP_2) | instskip(NEXT) | instid1(VALU_DEP_2)
	v_cvt_f32_f16_e32 v6, v5
	v_cvt_f64_f32_e32 v[4:5], v4
	s_delay_alu instid0(VALU_DEP_2)
	v_cvt_f64_f32_e32 v[6:7], v6
.LBB143_249:
	s_mov_b32 s40, 0
.LBB143_250:
	s_delay_alu instid0(SALU_CYCLE_1)
	s_and_not1_b32 vcc_lo, exec_lo, s40
	s_cbranch_vccnz .LBB143_262
; %bb.251:
	s_cmp_lt_i32 s0, 6
	s_cbranch_scc1 .LBB143_254
; %bb.252:
	s_cmp_gt_i32 s0, 6
	s_cbranch_scc0 .LBB143_255
; %bb.253:
	s_wait_loadcnt 0x0
	global_load_b64 v[4:5], v[10:11], off
	s_mov_b32 s40, 0
	s_branch .LBB143_256
.LBB143_254:
	s_mov_b32 s40, -1
                                        ; implicit-def: $vgpr4_vgpr5
	s_branch .LBB143_259
.LBB143_255:
	s_mov_b32 s40, -1
                                        ; implicit-def: $vgpr4_vgpr5
.LBB143_256:
	s_delay_alu instid0(SALU_CYCLE_1)
	s_and_not1_b32 vcc_lo, exec_lo, s40
	s_cbranch_vccnz .LBB143_258
; %bb.257:
	s_wait_loadcnt 0x0
	global_load_b32 v4, v[10:11], off
	s_wait_loadcnt 0x0
	v_cvt_f64_f32_e32 v[4:5], v4
.LBB143_258:
	s_mov_b32 s40, 0
.LBB143_259:
	s_delay_alu instid0(SALU_CYCLE_1)
	s_and_not1_b32 vcc_lo, exec_lo, s40
	s_cbranch_vccnz .LBB143_261
; %bb.260:
	s_wait_loadcnt 0x0
	global_load_u16 v4, v[10:11], off
	s_wait_loadcnt 0x0
	v_cvt_f32_f16_e32 v4, v4
	s_delay_alu instid0(VALU_DEP_1)
	v_cvt_f64_f32_e32 v[4:5], v4
.LBB143_261:
	s_wait_loadcnt 0x0
	v_mov_b64_e32 v[6:7], 0
.LBB143_262:
	s_mov_b32 s40, 0
.LBB143_263:
	s_delay_alu instid0(SALU_CYCLE_1)
	s_and_not1_b32 vcc_lo, exec_lo, s40
	s_cbranch_vccnz .LBB143_284
; %bb.264:
	s_cmp_lt_i32 s0, 2
	s_cbranch_scc1 .LBB143_268
; %bb.265:
	s_cmp_lt_i32 s0, 3
	s_cbranch_scc1 .LBB143_269
; %bb.266:
	s_cmp_gt_i32 s0, 3
	s_cbranch_scc0 .LBB143_270
; %bb.267:
	s_wait_loadcnt 0x0
	global_load_b64 v[4:5], v[10:11], off
	s_mov_b32 s40, 0
	s_wait_loadcnt 0x0
	v_cvt_f64_i32_e32 v[6:7], v5
	v_cvt_f64_u32_e32 v[4:5], v4
	s_delay_alu instid0(VALU_DEP_2) | instskip(NEXT) | instid1(VALU_DEP_1)
	v_ldexp_f64 v[6:7], v[6:7], 32
	v_add_f64_e32 v[4:5], v[6:7], v[4:5]
	s_branch .LBB143_271
.LBB143_268:
	s_mov_b32 s40, -1
                                        ; implicit-def: $vgpr4_vgpr5
	s_branch .LBB143_277
.LBB143_269:
	s_mov_b32 s40, -1
                                        ; implicit-def: $vgpr4_vgpr5
	s_branch .LBB143_274
.LBB143_270:
	s_mov_b32 s40, -1
                                        ; implicit-def: $vgpr4_vgpr5
.LBB143_271:
	s_delay_alu instid0(SALU_CYCLE_1)
	s_and_not1_b32 vcc_lo, exec_lo, s40
	s_cbranch_vccnz .LBB143_273
; %bb.272:
	s_wait_loadcnt 0x0
	global_load_b32 v4, v[10:11], off
	s_wait_loadcnt 0x0
	v_cvt_f64_i32_e32 v[4:5], v4
.LBB143_273:
	s_mov_b32 s40, 0
.LBB143_274:
	s_delay_alu instid0(SALU_CYCLE_1)
	s_and_not1_b32 vcc_lo, exec_lo, s40
	s_cbranch_vccnz .LBB143_276
; %bb.275:
	s_wait_loadcnt 0x0
	global_load_i16 v4, v[10:11], off
	s_wait_loadcnt 0x0
	v_cvt_f64_i32_e32 v[4:5], v4
.LBB143_276:
	s_mov_b32 s40, 0
.LBB143_277:
	s_delay_alu instid0(SALU_CYCLE_1)
	s_and_not1_b32 vcc_lo, exec_lo, s40
	s_cbranch_vccnz .LBB143_283
; %bb.278:
	s_cmp_gt_i32 s0, 0
	s_mov_b32 s0, 0
	s_cbranch_scc0 .LBB143_280
; %bb.279:
	s_wait_loadcnt 0x0
	global_load_i8 v4, v[10:11], off
	s_wait_loadcnt 0x0
	v_cvt_f64_i32_e32 v[4:5], v4
	s_branch .LBB143_281
.LBB143_280:
	s_mov_b32 s0, -1
                                        ; implicit-def: $vgpr4_vgpr5
.LBB143_281:
	s_delay_alu instid0(SALU_CYCLE_1)
	s_and_not1_b32 vcc_lo, exec_lo, s0
	s_cbranch_vccnz .LBB143_283
; %bb.282:
	s_wait_loadcnt 0x0
	global_load_u8 v4, v[10:11], off
	s_wait_loadcnt 0x0
	v_cvt_f64_u32_e32 v[4:5], v4
.LBB143_283:
	s_wait_loadcnt 0x0
	v_mov_b64_e32 v[6:7], 0
.LBB143_284:
	s_branch .LBB143_32
.LBB143_285:
	s_mov_b32 s0, 0
	s_mov_b32 s40, 0
	s_branch .LBB143_535
.LBB143_286:
	s_mov_b32 s41, -1
	s_mov_b32 s54, exec_lo
	v_cmpx_eq_u16_e32 0x80, v6
; %bb.287:
	s_xor_b32 s41, exec_lo, -1
; %bb.288:
	s_or_b32 exec_lo, exec_lo, s54
	s_delay_alu instid0(SALU_CYCLE_1)
	s_and_b32 s41, s41, exec_lo
	s_or_saveexec_b32 s53, s53
	v_mov_b64_e32 v[4:5], 0x7ff8000020000000
	s_xor_b32 exec_lo, exec_lo, s53
	s_cbranch_execz .LBB143_206
.LBB143_289:
	v_cmp_ne_u16_e32 vcc_lo, 0, v6
	v_mov_b64_e32 v[4:5], 0
	s_and_not1_b32 s41, s41, exec_lo
	s_and_b32 s54, vcc_lo, exec_lo
	s_delay_alu instid0(SALU_CYCLE_1)
	s_or_b32 s41, s41, s54
	s_or_b32 exec_lo, exec_lo, s53
	s_and_saveexec_b32 s53, s41
	s_cbranch_execnz .LBB143_207
	s_branch .LBB143_208
.LBB143_290:
	s_mov_b32 s40, -1
.LBB143_291:
	s_mov_b32 s41, 0
                                        ; implicit-def: $vgpr10_vgpr11
.LBB143_292:
	s_and_b32 vcc_lo, exec_lo, s53
	s_cbranch_vccz .LBB143_297
; %bb.293:
	s_cmp_eq_u32 s0, 44
	s_cbranch_scc0 .LBB143_295
; %bb.294:
	global_load_u8 v10, v[16:17], off
	s_mov_b32 s40, 0
	s_mov_b32 s41, -1
	s_wait_loadcnt 0x0
	v_cmp_ne_u32_e32 vcc_lo, 0xff, v10
	v_lshlrev_b32_e32 v8, 23, v10
	s_delay_alu instid0(VALU_DEP_1) | instskip(NEXT) | instid1(VALU_DEP_1)
	v_cvt_f64_f32_e32 v[8:9], v8
	v_cndmask_b32_e32 v8, 0x20000000, v8, vcc_lo
	s_delay_alu instid0(VALU_DEP_2) | instskip(SKIP_1) | instid1(VALU_DEP_2)
	v_cndmask_b32_e32 v9, 0x7ff80000, v9, vcc_lo
	v_cmp_ne_u32_e32 vcc_lo, 0, v10
	v_cndmask_b32_e32 v9, 0x38000000, v9, vcc_lo
	s_delay_alu instid0(VALU_DEP_4)
	v_cndmask_b32_e32 v8, 0, v8, vcc_lo
	s_branch .LBB143_296
.LBB143_295:
	s_mov_b32 s40, -1
                                        ; implicit-def: $vgpr8_vgpr9
.LBB143_296:
	s_wait_xcnt 0x0
	v_mov_b64_e32 v[10:11], 0
.LBB143_297:
	s_mov_b32 s53, 0
.LBB143_298:
	s_delay_alu instid0(SALU_CYCLE_1)
	s_and_b32 vcc_lo, exec_lo, s53
	s_cbranch_vccz .LBB143_303
; %bb.299:
	s_cmp_eq_u32 s0, 29
	s_cbranch_scc0 .LBB143_301
; %bb.300:
	global_load_b64 v[8:9], v[16:17], off
	s_mov_b32 s41, -1
	s_mov_b32 s40, 0
	s_wait_loadcnt 0x0
	v_cvt_f64_u32_e32 v[10:11], v9
	v_cvt_f64_u32_e32 v[8:9], v8
	s_delay_alu instid0(VALU_DEP_2) | instskip(NEXT) | instid1(VALU_DEP_1)
	v_ldexp_f64 v[10:11], v[10:11], 32
	v_add_f64_e32 v[8:9], v[10:11], v[8:9]
	s_branch .LBB143_302
.LBB143_301:
	s_mov_b32 s40, -1
                                        ; implicit-def: $vgpr8_vgpr9
.LBB143_302:
	s_wait_xcnt 0x0
	v_mov_b64_e32 v[10:11], 0
.LBB143_303:
	s_mov_b32 s53, 0
.LBB143_304:
	s_delay_alu instid0(SALU_CYCLE_1)
	s_and_b32 vcc_lo, exec_lo, s53
	s_cbranch_vccz .LBB143_320
; %bb.305:
	s_cmp_lt_i32 s0, 27
	s_cbranch_scc1 .LBB143_308
; %bb.306:
	s_cmp_gt_i32 s0, 27
	s_cbranch_scc0 .LBB143_309
; %bb.307:
	global_load_b32 v8, v[16:17], off
	s_mov_b32 s41, 0
	s_wait_loadcnt 0x0
	v_cvt_f64_u32_e32 v[8:9], v8
	s_branch .LBB143_310
.LBB143_308:
	s_mov_b32 s41, -1
                                        ; implicit-def: $vgpr8_vgpr9
	s_branch .LBB143_313
.LBB143_309:
	s_mov_b32 s41, -1
                                        ; implicit-def: $vgpr8_vgpr9
.LBB143_310:
	s_delay_alu instid0(SALU_CYCLE_1)
	s_and_not1_b32 vcc_lo, exec_lo, s41
	s_cbranch_vccnz .LBB143_312
; %bb.311:
	global_load_u16 v8, v[16:17], off
	s_wait_loadcnt 0x0
	v_cvt_f64_u32_e32 v[8:9], v8
.LBB143_312:
	s_mov_b32 s41, 0
.LBB143_313:
	s_delay_alu instid0(SALU_CYCLE_1)
	s_and_not1_b32 vcc_lo, exec_lo, s41
	s_cbranch_vccnz .LBB143_319
; %bb.314:
	global_load_u8 v10, v[16:17], off
	s_mov_b32 s41, 0
	s_mov_b32 s53, exec_lo
	s_wait_loadcnt 0x0
	v_cmpx_lt_i16_e32 0x7f, v10
	s_xor_b32 s53, exec_lo, s53
	s_cbranch_execnz .LBB143_332
; %bb.315:
	s_or_saveexec_b32 s53, s53
	v_mov_b64_e32 v[8:9], 0x7ff8000020000000
	s_xor_b32 exec_lo, exec_lo, s53
	s_cbranch_execnz .LBB143_335
.LBB143_316:
	s_or_b32 exec_lo, exec_lo, s53
	s_and_saveexec_b32 s53, s41
	s_cbranch_execz .LBB143_318
.LBB143_317:
	v_and_b32_e32 v8, 0xffff, v10
	s_delay_alu instid0(VALU_DEP_1) | instskip(SKIP_1) | instid1(VALU_DEP_2)
	v_and_b32_e32 v9, 7, v8
	v_bfe_u32 v15, v8, 3, 4
	v_clz_i32_u32_e32 v11, v9
	s_delay_alu instid0(VALU_DEP_2) | instskip(NEXT) | instid1(VALU_DEP_2)
	v_cmp_eq_u32_e32 vcc_lo, 0, v15
	v_min_u32_e32 v11, 32, v11
	s_delay_alu instid0(VALU_DEP_1) | instskip(NEXT) | instid1(VALU_DEP_1)
	v_subrev_nc_u32_e32 v13, 28, v11
	v_dual_lshlrev_b32 v8, v13, v8 :: v_dual_sub_nc_u32 v11, 29, v11
	s_delay_alu instid0(VALU_DEP_1) | instskip(NEXT) | instid1(VALU_DEP_1)
	v_dual_lshlrev_b32 v10, 24, v10 :: v_dual_bitop2_b32 v8, 7, v8 bitop3:0x40
	v_dual_cndmask_b32 v11, v15, v11 :: v_dual_cndmask_b32 v8, v9, v8
	s_delay_alu instid0(VALU_DEP_2) | instskip(NEXT) | instid1(VALU_DEP_2)
	v_and_b32_e32 v9, 0x80000000, v10
	v_lshl_add_u32 v10, v11, 23, 0x3b800000
	s_delay_alu instid0(VALU_DEP_3) | instskip(NEXT) | instid1(VALU_DEP_1)
	v_lshlrev_b32_e32 v8, 20, v8
	v_or3_b32 v8, v9, v10, v8
	s_delay_alu instid0(VALU_DEP_1)
	v_cvt_f64_f32_e32 v[8:9], v8
.LBB143_318:
	s_or_b32 exec_lo, exec_lo, s53
.LBB143_319:
	s_wait_xcnt 0x0
	v_mov_b64_e32 v[10:11], 0
	s_mov_b32 s41, -1
.LBB143_320:
	s_mov_b32 s53, 0
.LBB143_321:
	s_delay_alu instid0(SALU_CYCLE_1)
	s_and_b32 vcc_lo, exec_lo, s53
	s_cbranch_vccz .LBB143_355
; %bb.322:
	s_cmp_gt_i32 s0, 22
	s_cbranch_scc0 .LBB143_330
; %bb.323:
	s_cmp_lt_i32 s0, 24
	s_cbranch_scc1 .LBB143_331
; %bb.324:
	s_cmp_gt_i32 s0, 24
	s_cbranch_scc0 .LBB143_336
; %bb.325:
	global_load_u8 v10, v[16:17], off
	s_mov_b32 s41, 0
	s_mov_b32 s53, exec_lo
	s_wait_loadcnt 0x0
	v_cmpx_lt_i16_e32 0x7f, v10
	s_xor_b32 s53, exec_lo, s53
	s_cbranch_execnz .LBB143_420
; %bb.326:
	s_or_saveexec_b32 s53, s53
	v_mov_b64_e32 v[8:9], 0x7ff8000020000000
	s_xor_b32 exec_lo, exec_lo, s53
	s_cbranch_execnz .LBB143_423
.LBB143_327:
	s_or_b32 exec_lo, exec_lo, s53
	s_and_saveexec_b32 s53, s41
	s_cbranch_execz .LBB143_329
.LBB143_328:
	v_and_b32_e32 v8, 0xffff, v10
	s_delay_alu instid0(VALU_DEP_1) | instskip(SKIP_1) | instid1(VALU_DEP_2)
	v_and_b32_e32 v9, 3, v8
	v_bfe_u32 v15, v8, 2, 5
	v_clz_i32_u32_e32 v11, v9
	s_delay_alu instid0(VALU_DEP_2) | instskip(NEXT) | instid1(VALU_DEP_2)
	v_cmp_eq_u32_e32 vcc_lo, 0, v15
	v_min_u32_e32 v11, 32, v11
	s_delay_alu instid0(VALU_DEP_1) | instskip(NEXT) | instid1(VALU_DEP_1)
	v_subrev_nc_u32_e32 v13, 29, v11
	v_dual_lshlrev_b32 v8, v13, v8 :: v_dual_sub_nc_u32 v11, 30, v11
	s_delay_alu instid0(VALU_DEP_1) | instskip(NEXT) | instid1(VALU_DEP_1)
	v_dual_lshlrev_b32 v10, 24, v10 :: v_dual_bitop2_b32 v8, 3, v8 bitop3:0x40
	v_dual_cndmask_b32 v11, v15, v11 :: v_dual_cndmask_b32 v8, v9, v8
	s_delay_alu instid0(VALU_DEP_2) | instskip(NEXT) | instid1(VALU_DEP_2)
	v_and_b32_e32 v9, 0x80000000, v10
	v_lshl_add_u32 v10, v11, 23, 0x37800000
	s_delay_alu instid0(VALU_DEP_3) | instskip(NEXT) | instid1(VALU_DEP_1)
	v_lshlrev_b32_e32 v8, 21, v8
	v_or3_b32 v8, v9, v10, v8
	s_delay_alu instid0(VALU_DEP_1)
	v_cvt_f64_f32_e32 v[8:9], v8
.LBB143_329:
	s_or_b32 exec_lo, exec_lo, s53
	s_mov_b32 s41, 0
	s_branch .LBB143_337
.LBB143_330:
	s_mov_b32 s53, -1
                                        ; implicit-def: $vgpr8_vgpr9
	s_branch .LBB143_343
.LBB143_331:
	s_mov_b32 s41, -1
                                        ; implicit-def: $vgpr8_vgpr9
	s_branch .LBB143_340
.LBB143_332:
	s_mov_b32 s41, -1
	s_mov_b32 s54, exec_lo
	v_cmpx_eq_u16_e32 0x80, v10
; %bb.333:
	s_xor_b32 s41, exec_lo, -1
; %bb.334:
	s_or_b32 exec_lo, exec_lo, s54
	s_delay_alu instid0(SALU_CYCLE_1)
	s_and_b32 s41, s41, exec_lo
	s_or_saveexec_b32 s53, s53
	v_mov_b64_e32 v[8:9], 0x7ff8000020000000
	s_xor_b32 exec_lo, exec_lo, s53
	s_cbranch_execz .LBB143_316
.LBB143_335:
	v_cmp_ne_u16_e32 vcc_lo, 0, v10
	v_mov_b64_e32 v[8:9], 0
	s_and_not1_b32 s41, s41, exec_lo
	s_and_b32 s54, vcc_lo, exec_lo
	s_delay_alu instid0(SALU_CYCLE_1)
	s_or_b32 s41, s41, s54
	s_or_b32 exec_lo, exec_lo, s53
	s_and_saveexec_b32 s53, s41
	s_cbranch_execnz .LBB143_317
	s_branch .LBB143_318
.LBB143_336:
	s_mov_b32 s41, -1
                                        ; implicit-def: $vgpr8_vgpr9
.LBB143_337:
	s_delay_alu instid0(SALU_CYCLE_1)
	s_and_b32 vcc_lo, exec_lo, s41
	s_cbranch_vccz .LBB143_339
; %bb.338:
	global_load_u8 v8, v[16:17], off
	s_wait_loadcnt 0x0
	v_lshlrev_b32_e32 v8, 24, v8
	s_delay_alu instid0(VALU_DEP_1) | instskip(NEXT) | instid1(VALU_DEP_1)
	v_and_b32_e32 v9, 0x7f000000, v8
	v_clz_i32_u32_e32 v10, v9
	v_add_nc_u32_e32 v13, 0x1000000, v9
	v_cmp_ne_u32_e32 vcc_lo, 0, v9
	s_delay_alu instid0(VALU_DEP_3) | instskip(NEXT) | instid1(VALU_DEP_1)
	v_min_u32_e32 v10, 32, v10
	v_sub_nc_u32_e64 v10, v10, 4 clamp
	s_delay_alu instid0(VALU_DEP_1) | instskip(NEXT) | instid1(VALU_DEP_1)
	v_dual_lshlrev_b32 v11, v10, v9 :: v_dual_lshlrev_b32 v10, 23, v10
	v_lshrrev_b32_e32 v11, 4, v11
	s_delay_alu instid0(VALU_DEP_1) | instskip(NEXT) | instid1(VALU_DEP_1)
	v_dual_sub_nc_u32 v10, v11, v10 :: v_dual_ashrrev_i32 v11, 8, v13
	v_add_nc_u32_e32 v10, 0x3c000000, v10
	s_delay_alu instid0(VALU_DEP_1) | instskip(NEXT) | instid1(VALU_DEP_1)
	v_and_or_b32 v10, 0x7f800000, v11, v10
	v_cndmask_b32_e32 v9, 0, v10, vcc_lo
	s_delay_alu instid0(VALU_DEP_1) | instskip(NEXT) | instid1(VALU_DEP_1)
	v_and_or_b32 v8, 0x80000000, v8, v9
	v_cvt_f64_f32_e32 v[8:9], v8
.LBB143_339:
	s_mov_b32 s41, 0
.LBB143_340:
	s_delay_alu instid0(SALU_CYCLE_1)
	s_and_not1_b32 vcc_lo, exec_lo, s41
	s_cbranch_vccnz .LBB143_342
; %bb.341:
	global_load_u8 v8, v[16:17], off
	s_wait_loadcnt 0x0
	v_lshlrev_b32_e32 v9, 25, v8
	v_lshlrev_b16 v8, 8, v8
	s_delay_alu instid0(VALU_DEP_1) | instskip(SKIP_1) | instid1(VALU_DEP_2)
	v_and_or_b32 v11, 0x7f00, v8, 0.5
	v_bfe_i32 v8, v8, 0, 16
	v_dual_add_f32 v11, -0.5, v11 :: v_dual_lshrrev_b32 v10, 4, v9
	v_cmp_gt_u32_e32 vcc_lo, 0x8000000, v9
	s_delay_alu instid0(VALU_DEP_2) | instskip(NEXT) | instid1(VALU_DEP_1)
	v_or_b32_e32 v10, 0x70000000, v10
	v_mul_f32_e32 v10, 0x7800000, v10
	s_delay_alu instid0(VALU_DEP_1) | instskip(NEXT) | instid1(VALU_DEP_1)
	v_cndmask_b32_e32 v9, v10, v11, vcc_lo
	v_and_or_b32 v8, 0x80000000, v8, v9
	s_delay_alu instid0(VALU_DEP_1)
	v_cvt_f64_f32_e32 v[8:9], v8
.LBB143_342:
	s_mov_b32 s53, 0
	s_mov_b32 s41, -1
.LBB143_343:
	s_and_not1_b32 vcc_lo, exec_lo, s53
	s_cbranch_vccnz .LBB143_354
; %bb.344:
	s_cmp_gt_i32 s0, 14
	s_cbranch_scc0 .LBB143_347
; %bb.345:
	s_cmp_eq_u32 s0, 15
	s_cbranch_scc0 .LBB143_348
; %bb.346:
	global_load_u16 v8, v[16:17], off
	s_mov_b32 s41, -1
	s_mov_b32 s40, 0
	s_wait_loadcnt 0x0
	v_lshlrev_b32_e32 v8, 16, v8
	s_delay_alu instid0(VALU_DEP_1)
	v_cvt_f64_f32_e32 v[8:9], v8
	s_branch .LBB143_349
.LBB143_347:
	s_mov_b32 s53, -1
                                        ; implicit-def: $vgpr8_vgpr9
	s_branch .LBB143_350
.LBB143_348:
	s_mov_b32 s40, -1
                                        ; implicit-def: $vgpr8_vgpr9
.LBB143_349:
	s_mov_b32 s53, 0
.LBB143_350:
	s_delay_alu instid0(SALU_CYCLE_1)
	s_and_b32 vcc_lo, exec_lo, s53
	s_cbranch_vccz .LBB143_354
; %bb.351:
	s_cmp_eq_u32 s0, 11
	s_cbranch_scc0 .LBB143_353
; %bb.352:
	global_load_u8 v8, v[16:17], off
	s_mov_b32 s40, 0
	s_mov_b32 s41, -1
	s_wait_xcnt 0x1
	v_mov_b64_e32 v[10:11], 0
	s_wait_loadcnt 0x0
	v_cmp_ne_u16_e32 vcc_lo, 0, v8
	v_mov_b32_e32 v8, 0
	v_cndmask_b32_e64 v9, 0, 0x3ff00000, vcc_lo
	s_branch .LBB143_355
.LBB143_353:
	s_mov_b32 s40, -1
                                        ; implicit-def: $vgpr8_vgpr9
.LBB143_354:
	s_wait_xcnt 0x0
	v_mov_b64_e32 v[10:11], 0
.LBB143_355:
	s_mov_b32 s53, 0
.LBB143_356:
	s_delay_alu instid0(SALU_CYCLE_1)
	s_and_b32 vcc_lo, exec_lo, s53
	s_cbranch_vccz .LBB143_407
; %bb.357:
	s_cmp_lt_i32 s0, 5
	s_cbranch_scc1 .LBB143_362
; %bb.358:
	s_cmp_lt_i32 s0, 8
	s_cbranch_scc1 .LBB143_363
	;; [unrolled: 3-line block ×3, first 2 shown]
; %bb.360:
	s_cmp_gt_i32 s0, 9
	s_cbranch_scc0 .LBB143_365
; %bb.361:
	global_load_b128 v[8:11], v[16:17], off
	s_mov_b32 s41, 0
	s_branch .LBB143_366
.LBB143_362:
	s_mov_b32 s41, -1
                                        ; implicit-def: $vgpr10_vgpr11
	s_branch .LBB143_385
.LBB143_363:
	s_mov_b32 s41, -1
                                        ; implicit-def: $vgpr10_vgpr11
	s_branch .LBB143_372
.LBB143_364:
	s_mov_b32 s41, -1
                                        ; implicit-def: $vgpr10_vgpr11
	s_branch .LBB143_369
.LBB143_365:
	s_mov_b32 s41, -1
                                        ; implicit-def: $vgpr10_vgpr11
.LBB143_366:
	s_delay_alu instid0(SALU_CYCLE_1)
	s_and_not1_b32 vcc_lo, exec_lo, s41
	s_cbranch_vccnz .LBB143_368
; %bb.367:
	s_wait_loadcnt 0x0
	global_load_b64 v[10:11], v[16:17], off
	s_wait_loadcnt 0x0
	v_cvt_f64_f32_e32 v[8:9], v10
	v_cvt_f64_f32_e32 v[10:11], v11
.LBB143_368:
	s_mov_b32 s41, 0
.LBB143_369:
	s_delay_alu instid0(SALU_CYCLE_1)
	s_and_not1_b32 vcc_lo, exec_lo, s41
	s_cbranch_vccnz .LBB143_371
; %bb.370:
	s_wait_loadcnt 0x0
	global_load_b32 v8, v[16:17], off
	s_wait_loadcnt 0x0
	v_lshrrev_b32_e32 v9, 16, v8
	v_cvt_f32_f16_e32 v8, v8
	s_delay_alu instid0(VALU_DEP_2) | instskip(NEXT) | instid1(VALU_DEP_2)
	v_cvt_f32_f16_e32 v10, v9
	v_cvt_f64_f32_e32 v[8:9], v8
	s_delay_alu instid0(VALU_DEP_2)
	v_cvt_f64_f32_e32 v[10:11], v10
.LBB143_371:
	s_mov_b32 s41, 0
.LBB143_372:
	s_delay_alu instid0(SALU_CYCLE_1)
	s_and_not1_b32 vcc_lo, exec_lo, s41
	s_cbranch_vccnz .LBB143_384
; %bb.373:
	s_cmp_lt_i32 s0, 6
	s_cbranch_scc1 .LBB143_376
; %bb.374:
	s_cmp_gt_i32 s0, 6
	s_cbranch_scc0 .LBB143_377
; %bb.375:
	s_wait_loadcnt 0x0
	global_load_b64 v[8:9], v[16:17], off
	s_mov_b32 s41, 0
	s_branch .LBB143_378
.LBB143_376:
	s_mov_b32 s41, -1
                                        ; implicit-def: $vgpr8_vgpr9
	s_branch .LBB143_381
.LBB143_377:
	s_mov_b32 s41, -1
                                        ; implicit-def: $vgpr8_vgpr9
.LBB143_378:
	s_delay_alu instid0(SALU_CYCLE_1)
	s_and_not1_b32 vcc_lo, exec_lo, s41
	s_cbranch_vccnz .LBB143_380
; %bb.379:
	s_wait_loadcnt 0x0
	global_load_b32 v8, v[16:17], off
	s_wait_loadcnt 0x0
	v_cvt_f64_f32_e32 v[8:9], v8
.LBB143_380:
	s_mov_b32 s41, 0
.LBB143_381:
	s_delay_alu instid0(SALU_CYCLE_1)
	s_and_not1_b32 vcc_lo, exec_lo, s41
	s_cbranch_vccnz .LBB143_383
; %bb.382:
	s_wait_loadcnt 0x0
	global_load_u16 v8, v[16:17], off
	s_wait_loadcnt 0x0
	v_cvt_f32_f16_e32 v8, v8
	s_delay_alu instid0(VALU_DEP_1)
	v_cvt_f64_f32_e32 v[8:9], v8
.LBB143_383:
	s_wait_loadcnt 0x0
	v_mov_b64_e32 v[10:11], 0
.LBB143_384:
	s_mov_b32 s41, 0
.LBB143_385:
	s_delay_alu instid0(SALU_CYCLE_1)
	s_and_not1_b32 vcc_lo, exec_lo, s41
	s_cbranch_vccnz .LBB143_406
; %bb.386:
	s_cmp_lt_i32 s0, 2
	s_cbranch_scc1 .LBB143_390
; %bb.387:
	s_cmp_lt_i32 s0, 3
	s_cbranch_scc1 .LBB143_391
; %bb.388:
	s_cmp_gt_i32 s0, 3
	s_cbranch_scc0 .LBB143_392
; %bb.389:
	s_wait_loadcnt 0x0
	global_load_b64 v[8:9], v[16:17], off
	s_mov_b32 s41, 0
	s_wait_loadcnt 0x0
	v_cvt_f64_i32_e32 v[10:11], v9
	v_cvt_f64_u32_e32 v[8:9], v8
	s_delay_alu instid0(VALU_DEP_2) | instskip(NEXT) | instid1(VALU_DEP_1)
	v_ldexp_f64 v[10:11], v[10:11], 32
	v_add_f64_e32 v[8:9], v[10:11], v[8:9]
	s_branch .LBB143_393
.LBB143_390:
	s_mov_b32 s41, -1
                                        ; implicit-def: $vgpr8_vgpr9
	s_branch .LBB143_399
.LBB143_391:
	s_mov_b32 s41, -1
                                        ; implicit-def: $vgpr8_vgpr9
	s_branch .LBB143_396
.LBB143_392:
	s_mov_b32 s41, -1
                                        ; implicit-def: $vgpr8_vgpr9
.LBB143_393:
	s_delay_alu instid0(SALU_CYCLE_1)
	s_and_not1_b32 vcc_lo, exec_lo, s41
	s_cbranch_vccnz .LBB143_395
; %bb.394:
	s_wait_loadcnt 0x0
	global_load_b32 v8, v[16:17], off
	s_wait_loadcnt 0x0
	v_cvt_f64_i32_e32 v[8:9], v8
.LBB143_395:
	s_mov_b32 s41, 0
.LBB143_396:
	s_delay_alu instid0(SALU_CYCLE_1)
	s_and_not1_b32 vcc_lo, exec_lo, s41
	s_cbranch_vccnz .LBB143_398
; %bb.397:
	s_wait_loadcnt 0x0
	global_load_i16 v8, v[16:17], off
	s_wait_loadcnt 0x0
	v_cvt_f64_i32_e32 v[8:9], v8
.LBB143_398:
	s_mov_b32 s41, 0
.LBB143_399:
	s_delay_alu instid0(SALU_CYCLE_1)
	s_and_not1_b32 vcc_lo, exec_lo, s41
	s_cbranch_vccnz .LBB143_405
; %bb.400:
	s_cmp_gt_i32 s0, 0
	s_mov_b32 s0, 0
	s_cbranch_scc0 .LBB143_402
; %bb.401:
	s_wait_loadcnt 0x0
	global_load_i8 v8, v[16:17], off
	s_wait_loadcnt 0x0
	v_cvt_f64_i32_e32 v[8:9], v8
	s_branch .LBB143_403
.LBB143_402:
	s_mov_b32 s0, -1
                                        ; implicit-def: $vgpr8_vgpr9
.LBB143_403:
	s_delay_alu instid0(SALU_CYCLE_1)
	s_and_not1_b32 vcc_lo, exec_lo, s0
	s_cbranch_vccnz .LBB143_405
; %bb.404:
	s_wait_loadcnt 0x0
	global_load_u8 v8, v[16:17], off
	s_wait_loadcnt 0x0
	v_cvt_f64_u32_e32 v[8:9], v8
.LBB143_405:
	s_wait_loadcnt 0x0
	v_mov_b64_e32 v[10:11], 0
.LBB143_406:
	s_mov_b32 s41, -1
.LBB143_407:
	s_delay_alu instid0(SALU_CYCLE_1)
	s_and_not1_b32 vcc_lo, exec_lo, s41
	s_cbranch_vccnz .LBB143_415
; %bb.408:
	s_wait_loadcnt 0x0
	s_delay_alu instid0(VALU_DEP_3) | instskip(NEXT) | instid1(VALU_DEP_4)
	v_dual_mul_f64 v[16:17], s[18:19], v[4:5] :: v_dual_mov_b32 v15, 0
	v_mul_f64_e32 v[18:19], s[18:19], v[6:7]
	v_mul_f64_e32 v[20:21], s[14:15], v[0:1]
	s_and_b32 s41, s46, 0xff
	s_delay_alu instid0(SALU_CYCLE_1) | instskip(NEXT) | instid1(VALU_DEP_3)
	s_cmp_lt_i32 s41, 11
	v_fmac_f64_e32 v[16:17], s[16:17], v[6:7]
	v_mul_f64_e32 v[6:7], s[14:15], v[2:3]
	s_delay_alu instid0(VALU_DEP_4) | instskip(NEXT) | instid1(VALU_DEP_4)
	v_fma_f64 v[4:5], v[4:5], s[16:17], -v[18:19]
	v_fmac_f64_e32 v[20:21], s[12:13], v[2:3]
	s_delay_alu instid0(VALU_DEP_4) | instskip(SKIP_2) | instid1(VALU_DEP_3)
	v_mul_f64_e32 v[18:19], v[10:11], v[16:17]
	v_mul_f64_e32 v[16:17], v[8:9], v[16:17]
	v_fma_f64 v[0:1], v[0:1], s[12:13], -v[6:7]
	v_fma_f64 v[2:3], v[8:9], v[4:5], -v[18:19]
	s_delay_alu instid0(VALU_DEP_3) | instskip(SKIP_1) | instid1(VALU_DEP_3)
	v_fmac_f64_e32 v[16:17], v[10:11], v[4:5]
	v_add_nc_u64_e32 v[4:5], s[4:5], v[14:15]
	v_add_f64_e32 v[0:1], v[0:1], v[2:3]
	s_delay_alu instid0(VALU_DEP_3)
	v_add_f64_e32 v[2:3], v[20:21], v[16:17]
	s_cbranch_scc1 .LBB143_416
; %bb.409:
	s_and_b32 s53, 0xffff, s41
	s_delay_alu instid0(SALU_CYCLE_1)
	s_cmp_gt_i32 s53, 25
	s_cbranch_scc0 .LBB143_417
; %bb.410:
	s_cmp_gt_i32 s53, 28
	s_cbranch_scc0 .LBB143_418
; %bb.411:
	;; [unrolled: 3-line block ×4, first 2 shown]
	s_mov_b32 s55, 0
	s_mov_b32 s0, -1
	s_cmp_eq_u32 s53, 46
	s_mov_b32 s54, 0
	s_cbranch_scc0 .LBB143_425
; %bb.414:
	s_delay_alu instid0(VALU_DEP_1) | instskip(NEXT) | instid1(VALU_DEP_3)
	v_cvt_f32_f64_e32 v6, v[2:3]
	v_cvt_f32_f64_e32 v7, v[0:1]
	s_mov_b32 s54, -1
	s_mov_b32 s0, 0
	s_delay_alu instid0(VALU_DEP_2) | instskip(NEXT) | instid1(VALU_DEP_2)
	v_bfe_u32 v8, v6, 16, 1
	v_bfe_u32 v9, v7, 16, 1
	v_cmp_o_f32_e32 vcc_lo, v6, v6
	s_delay_alu instid0(VALU_DEP_3) | instskip(NEXT) | instid1(VALU_DEP_3)
	v_add3_u32 v8, v6, v8, 0x7fff
	v_add3_u32 v9, v7, v9, 0x7fff
	s_delay_alu instid0(VALU_DEP_2) | instskip(NEXT) | instid1(VALU_DEP_1)
	v_and_b32_e32 v8, 0xffff0000, v8
	v_dual_cndmask_b32 v6, 0x7fc00000, v8 :: v_dual_lshrrev_b32 v9, 16, v9
	v_cmp_o_f32_e32 vcc_lo, v7, v7
	s_delay_alu instid0(VALU_DEP_2) | instskip(NEXT) | instid1(VALU_DEP_1)
	v_cndmask_b32_e32 v7, 0x7fc0, v9, vcc_lo
	v_or_b32_e32 v6, v6, v7
	global_store_b32 v[4:5], v6, off
	s_branch .LBB143_425
.LBB143_415:
	s_mov_b32 s0, 0
	s_branch .LBB143_535
.LBB143_416:
	s_mov_b32 s53, -1
	s_mov_b32 s0, 0
	s_mov_b32 s54, 0
	s_branch .LBB143_494
.LBB143_417:
	s_mov_b32 s55, -1
	s_mov_b32 s0, 0
	s_mov_b32 s54, 0
	s_branch .LBB143_452
.LBB143_418:
	s_mov_b32 s55, -1
	s_mov_b32 s0, 0
	s_mov_b32 s54, 0
	s_branch .LBB143_435
.LBB143_419:
	s_mov_b32 s55, -1
	s_mov_b32 s0, 0
	s_mov_b32 s54, 0
	s_branch .LBB143_431
.LBB143_420:
	s_mov_b32 s41, -1
	s_mov_b32 s54, exec_lo
	v_cmpx_eq_u16_e32 0x80, v10
; %bb.421:
	s_xor_b32 s41, exec_lo, -1
; %bb.422:
	s_or_b32 exec_lo, exec_lo, s54
	s_delay_alu instid0(SALU_CYCLE_1)
	s_and_b32 s41, s41, exec_lo
	s_or_saveexec_b32 s53, s53
	v_mov_b64_e32 v[8:9], 0x7ff8000020000000
	s_xor_b32 exec_lo, exec_lo, s53
	s_cbranch_execz .LBB143_327
.LBB143_423:
	v_cmp_ne_u16_e32 vcc_lo, 0, v10
	v_mov_b64_e32 v[8:9], 0
	s_and_not1_b32 s41, s41, exec_lo
	s_and_b32 s54, vcc_lo, exec_lo
	s_delay_alu instid0(SALU_CYCLE_1)
	s_or_b32 s41, s41, s54
	s_or_b32 exec_lo, exec_lo, s53
	s_and_saveexec_b32 s53, s41
	s_cbranch_execnz .LBB143_328
	s_branch .LBB143_329
.LBB143_424:
	s_mov_b32 s55, -1
	s_mov_b32 s0, 0
	s_mov_b32 s54, 0
.LBB143_425:
	s_and_b32 vcc_lo, exec_lo, s55
	s_cbranch_vccz .LBB143_430
; %bb.426:
	s_cmp_eq_u32 s53, 44
	s_mov_b32 s0, -1
	s_cbranch_scc0 .LBB143_430
; %bb.427:
	s_wait_xcnt 0x0
	s_delay_alu instid0(VALU_DEP_2) | instskip(SKIP_2) | instid1(VALU_DEP_2)
	v_cvt_f32_f64_e32 v6, v[0:1]
	v_mov_b32_e32 v7, 0xff
	s_mov_b32 s54, exec_lo
	v_bfe_u32 v8, v6, 23, 8
	s_delay_alu instid0(VALU_DEP_1)
	v_cmpx_ne_u32_e32 0xff, v8
	s_cbranch_execz .LBB143_429
; %bb.428:
	v_and_b32_e32 v7, 0x400000, v6
	v_and_or_b32 v8, 0x3fffff, v6, v8
	v_lshrrev_b32_e32 v6, 23, v6
	s_delay_alu instid0(VALU_DEP_3) | instskip(NEXT) | instid1(VALU_DEP_3)
	v_cmp_ne_u32_e32 vcc_lo, 0, v7
	v_cmp_ne_u32_e64 s0, 0, v8
	s_and_b32 s0, vcc_lo, s0
	s_delay_alu instid0(SALU_CYCLE_1) | instskip(NEXT) | instid1(VALU_DEP_1)
	v_cndmask_b32_e64 v7, 0, 1, s0
	v_add_nc_u32_e32 v7, v6, v7
.LBB143_429:
	s_or_b32 exec_lo, exec_lo, s54
	s_mov_b32 s54, -1
	s_mov_b32 s0, 0
	global_store_b8 v[4:5], v7, off
.LBB143_430:
	s_mov_b32 s55, 0
.LBB143_431:
	s_delay_alu instid0(SALU_CYCLE_1)
	s_and_b32 vcc_lo, exec_lo, s55
	s_cbranch_vccz .LBB143_434
; %bb.432:
	s_cmp_eq_u32 s53, 29
	s_mov_b32 s0, -1
	s_cbranch_scc0 .LBB143_434
; %bb.433:
	s_wait_xcnt 0x0
	s_delay_alu instid0(VALU_DEP_2) | instskip(SKIP_3) | instid1(VALU_DEP_1)
	v_trunc_f64_e32 v[6:7], v[0:1]
	s_mov_b32 s54, -1
	s_mov_b32 s0, 0
	s_mov_b32 s55, 0
	v_ldexp_f64 v[8:9], v[6:7], 0xffffffe0
	s_delay_alu instid0(VALU_DEP_1) | instskip(NEXT) | instid1(VALU_DEP_1)
	v_floor_f64_e32 v[8:9], v[8:9]
	v_fmamk_f64 v[6:7], v[8:9], 0xc1f00000, v[6:7]
	v_cvt_u32_f64_e32 v9, v[8:9]
	s_delay_alu instid0(VALU_DEP_2)
	v_cvt_u32_f64_e32 v8, v[6:7]
	global_store_b64 v[4:5], v[8:9], off
	s_branch .LBB143_435
.LBB143_434:
	s_mov_b32 s55, 0
.LBB143_435:
	s_delay_alu instid0(SALU_CYCLE_1)
	s_and_b32 vcc_lo, exec_lo, s55
	s_cbranch_vccz .LBB143_451
; %bb.436:
	s_cmp_lt_i32 s53, 27
	s_mov_b32 s54, -1
	s_cbranch_scc1 .LBB143_442
; %bb.437:
	s_wait_xcnt 0x0
	s_delay_alu instid0(VALU_DEP_2)
	v_cvt_u32_f64_e32 v6, v[0:1]
	s_cmp_gt_i32 s53, 27
	s_cbranch_scc0 .LBB143_439
; %bb.438:
	s_mov_b32 s54, 0
	global_store_b32 v[4:5], v6, off
.LBB143_439:
	s_and_not1_b32 vcc_lo, exec_lo, s54
	s_cbranch_vccnz .LBB143_441
; %bb.440:
	global_store_b16 v[4:5], v6, off
.LBB143_441:
	s_mov_b32 s54, 0
.LBB143_442:
	s_delay_alu instid0(SALU_CYCLE_1)
	s_and_not1_b32 vcc_lo, exec_lo, s54
	s_cbranch_vccnz .LBB143_450
; %bb.443:
	s_wait_xcnt 0x0
	s_delay_alu instid0(VALU_DEP_2) | instskip(SKIP_2) | instid1(VALU_DEP_2)
	v_cvt_f32_f64_e32 v6, v[0:1]
	v_mov_b32_e32 v8, 0x80
	s_mov_b32 s54, exec_lo
	v_and_b32_e32 v7, 0x7fffffff, v6
	s_delay_alu instid0(VALU_DEP_1)
	v_cmpx_gt_u32_e32 0x43800000, v7
	s_cbranch_execz .LBB143_449
; %bb.444:
	v_cmp_lt_u32_e32 vcc_lo, 0x3bffffff, v7
	s_mov_b32 s55, 0
                                        ; implicit-def: $vgpr7
	s_and_saveexec_b32 s56, vcc_lo
	s_delay_alu instid0(SALU_CYCLE_1)
	s_xor_b32 s56, exec_lo, s56
	s_cbranch_execnz .LBB143_834
; %bb.445:
	s_and_not1_saveexec_b32 s56, s56
	s_cbranch_execnz .LBB143_835
.LBB143_446:
	s_or_b32 exec_lo, exec_lo, s56
	v_mov_b32_e32 v8, 0
	s_and_saveexec_b32 s56, s55
.LBB143_447:
	v_lshrrev_b32_e32 v6, 24, v6
	s_delay_alu instid0(VALU_DEP_1)
	v_and_or_b32 v8, 0x80, v6, v7
.LBB143_448:
	s_or_b32 exec_lo, exec_lo, s56
.LBB143_449:
	s_delay_alu instid0(SALU_CYCLE_1)
	s_or_b32 exec_lo, exec_lo, s54
	global_store_b8 v[4:5], v8, off
.LBB143_450:
	s_mov_b32 s54, -1
.LBB143_451:
	s_mov_b32 s55, 0
.LBB143_452:
	s_delay_alu instid0(SALU_CYCLE_1)
	s_and_b32 vcc_lo, exec_lo, s55
	s_cbranch_vccz .LBB143_493
; %bb.453:
	s_cmp_gt_i32 s53, 22
	s_mov_b32 s55, -1
	s_cbranch_scc0 .LBB143_485
; %bb.454:
	s_cmp_lt_i32 s53, 24
	s_mov_b32 s54, -1
	s_cbranch_scc1 .LBB143_474
; %bb.455:
	s_cmp_gt_i32 s53, 24
	s_cbranch_scc0 .LBB143_463
; %bb.456:
	s_wait_xcnt 0x0
	s_delay_alu instid0(VALU_DEP_2) | instskip(SKIP_2) | instid1(VALU_DEP_2)
	v_cvt_f32_f64_e32 v6, v[0:1]
	v_mov_b32_e32 v8, 0x80
	s_mov_b32 s54, exec_lo
	v_and_b32_e32 v7, 0x7fffffff, v6
	s_delay_alu instid0(VALU_DEP_1)
	v_cmpx_gt_u32_e32 0x47800000, v7
	s_cbranch_execz .LBB143_462
; %bb.457:
	v_cmp_lt_u32_e32 vcc_lo, 0x37ffffff, v7
	s_mov_b32 s55, 0
                                        ; implicit-def: $vgpr7
	s_and_saveexec_b32 s56, vcc_lo
	s_delay_alu instid0(SALU_CYCLE_1)
	s_xor_b32 s56, exec_lo, s56
	s_cbranch_execnz .LBB143_1380
; %bb.458:
	s_and_not1_saveexec_b32 s56, s56
	s_cbranch_execnz .LBB143_1381
.LBB143_459:
	s_or_b32 exec_lo, exec_lo, s56
	v_mov_b32_e32 v8, 0
	s_and_saveexec_b32 s56, s55
.LBB143_460:
	v_lshrrev_b32_e32 v6, 24, v6
	s_delay_alu instid0(VALU_DEP_1)
	v_and_or_b32 v8, 0x80, v6, v7
.LBB143_461:
	s_or_b32 exec_lo, exec_lo, s56
.LBB143_462:
	s_delay_alu instid0(SALU_CYCLE_1)
	s_or_b32 exec_lo, exec_lo, s54
	s_mov_b32 s54, 0
	global_store_b8 v[4:5], v8, off
.LBB143_463:
	s_and_b32 vcc_lo, exec_lo, s54
	s_cbranch_vccz .LBB143_473
; %bb.464:
	s_wait_xcnt 0x0
	s_delay_alu instid0(VALU_DEP_2) | instskip(SKIP_1) | instid1(VALU_DEP_1)
	v_cvt_f32_f64_e32 v6, v[0:1]
	s_mov_b32 s54, exec_lo
                                        ; implicit-def: $vgpr7
	v_and_b32_e32 v8, 0x7fffffff, v6
	s_delay_alu instid0(VALU_DEP_1)
	v_cmpx_gt_u32_e32 0x43f00000, v8
	s_xor_b32 s54, exec_lo, s54
	s_cbranch_execz .LBB143_470
; %bb.465:
	s_mov_b32 s55, exec_lo
                                        ; implicit-def: $vgpr7
	v_cmpx_lt_u32_e32 0x3c7fffff, v8
	s_xor_b32 s55, exec_lo, s55
; %bb.466:
	v_bfe_u32 v7, v6, 20, 1
	s_delay_alu instid0(VALU_DEP_1) | instskip(NEXT) | instid1(VALU_DEP_1)
	v_add3_u32 v7, v6, v7, 0x407ffff
	v_and_b32_e32 v8, 0xff00000, v7
	v_lshrrev_b32_e32 v7, 20, v7
	s_delay_alu instid0(VALU_DEP_2) | instskip(NEXT) | instid1(VALU_DEP_2)
	v_cmp_ne_u32_e32 vcc_lo, 0x7f00000, v8
	v_cndmask_b32_e32 v7, 0x7e, v7, vcc_lo
; %bb.467:
	s_and_not1_saveexec_b32 s55, s55
; %bb.468:
	v_add_f32_e64 v7, 0x46800000, |v6|
; %bb.469:
	s_or_b32 exec_lo, exec_lo, s55
                                        ; implicit-def: $vgpr8
.LBB143_470:
	s_and_not1_saveexec_b32 s54, s54
; %bb.471:
	v_mov_b32_e32 v7, 0x7f
	v_cmp_lt_u32_e32 vcc_lo, 0x7f800000, v8
	s_delay_alu instid0(VALU_DEP_2)
	v_cndmask_b32_e32 v7, 0x7e, v7, vcc_lo
; %bb.472:
	s_or_b32 exec_lo, exec_lo, s54
	v_lshrrev_b32_e32 v6, 24, v6
	s_delay_alu instid0(VALU_DEP_1)
	v_and_or_b32 v6, 0x80, v6, v7
	global_store_b8 v[4:5], v6, off
.LBB143_473:
	s_mov_b32 s54, 0
.LBB143_474:
	s_delay_alu instid0(SALU_CYCLE_1)
	s_and_not1_b32 vcc_lo, exec_lo, s54
	s_cbranch_vccnz .LBB143_484
; %bb.475:
	s_wait_xcnt 0x0
	s_delay_alu instid0(VALU_DEP_2) | instskip(SKIP_1) | instid1(VALU_DEP_1)
	v_cvt_f32_f64_e32 v6, v[0:1]
	s_mov_b32 s54, exec_lo
                                        ; implicit-def: $vgpr7
	v_and_b32_e32 v8, 0x7fffffff, v6
	s_delay_alu instid0(VALU_DEP_1)
	v_cmpx_gt_u32_e32 0x47800000, v8
	s_xor_b32 s54, exec_lo, s54
	s_cbranch_execz .LBB143_481
; %bb.476:
	s_mov_b32 s55, exec_lo
                                        ; implicit-def: $vgpr7
	v_cmpx_lt_u32_e32 0x387fffff, v8
	s_xor_b32 s55, exec_lo, s55
; %bb.477:
	v_bfe_u32 v7, v6, 21, 1
	s_delay_alu instid0(VALU_DEP_1) | instskip(NEXT) | instid1(VALU_DEP_1)
	v_add3_u32 v7, v6, v7, 0x80fffff
	v_lshrrev_b32_e32 v7, 21, v7
; %bb.478:
	s_and_not1_saveexec_b32 s55, s55
; %bb.479:
	v_add_f32_e64 v7, 0x43000000, |v6|
; %bb.480:
	s_or_b32 exec_lo, exec_lo, s55
                                        ; implicit-def: $vgpr8
.LBB143_481:
	s_and_not1_saveexec_b32 s54, s54
; %bb.482:
	v_mov_b32_e32 v7, 0x7f
	v_cmp_lt_u32_e32 vcc_lo, 0x7f800000, v8
	s_delay_alu instid0(VALU_DEP_2)
	v_cndmask_b32_e32 v7, 0x7c, v7, vcc_lo
; %bb.483:
	s_or_b32 exec_lo, exec_lo, s54
	v_lshrrev_b32_e32 v6, 24, v6
	s_delay_alu instid0(VALU_DEP_1)
	v_and_or_b32 v6, 0x80, v6, v7
	global_store_b8 v[4:5], v6, off
.LBB143_484:
	s_mov_b32 s55, 0
	s_mov_b32 s54, -1
.LBB143_485:
	s_and_not1_b32 vcc_lo, exec_lo, s55
	s_cbranch_vccnz .LBB143_493
; %bb.486:
	s_cmp_gt_i32 s53, 14
	s_mov_b32 s55, -1
	s_cbranch_scc0 .LBB143_490
; %bb.487:
	s_cmp_eq_u32 s53, 15
	s_mov_b32 s0, -1
	s_cbranch_scc0 .LBB143_489
; %bb.488:
	s_wait_xcnt 0x0
	s_delay_alu instid0(VALU_DEP_2) | instskip(SKIP_2) | instid1(VALU_DEP_1)
	v_cvt_f32_f64_e32 v6, v[0:1]
	s_mov_b32 s54, -1
	s_mov_b32 s0, 0
	v_bfe_u32 v7, v6, 16, 1
	v_cmp_o_f32_e32 vcc_lo, v6, v6
	s_delay_alu instid0(VALU_DEP_2) | instskip(NEXT) | instid1(VALU_DEP_1)
	v_add3_u32 v7, v6, v7, 0x7fff
	v_lshrrev_b32_e32 v7, 16, v7
	s_delay_alu instid0(VALU_DEP_1)
	v_cndmask_b32_e32 v6, 0x7fc0, v7, vcc_lo
	global_store_b16 v[4:5], v6, off
.LBB143_489:
	s_mov_b32 s55, 0
.LBB143_490:
	s_delay_alu instid0(SALU_CYCLE_1)
	s_and_b32 vcc_lo, exec_lo, s55
	s_cbranch_vccz .LBB143_493
; %bb.491:
	s_cmp_eq_u32 s53, 11
	s_mov_b32 s0, -1
	s_cbranch_scc0 .LBB143_493
; %bb.492:
	s_delay_alu instid0(VALU_DEP_2) | instskip(NEXT) | instid1(VALU_DEP_2)
	v_cmp_neq_f64_e32 vcc_lo, 0, v[0:1]
	v_cmp_neq_f64_e64 s0, 0, v[2:3]
	s_mov_b32 s54, -1
	s_or_b32 s0, vcc_lo, s0
	s_wait_xcnt 0x0
	v_cndmask_b32_e64 v6, 0, 1, s0
	s_mov_b32 s0, 0
	global_store_b8 v[4:5], v6, off
.LBB143_493:
	s_mov_b32 s53, 0
.LBB143_494:
	s_delay_alu instid0(SALU_CYCLE_1)
	s_and_b32 vcc_lo, exec_lo, s53
	s_cbranch_vccz .LBB143_533
; %bb.495:
	s_and_b32 s41, 0xffff, s41
	s_mov_b32 s53, -1
	s_cmp_lt_i32 s41, 5
	s_cbranch_scc1 .LBB143_516
; %bb.496:
	s_cmp_lt_i32 s41, 8
	s_cbranch_scc1 .LBB143_506
; %bb.497:
	;; [unrolled: 3-line block ×3, first 2 shown]
	s_cmp_gt_i32 s41, 9
	s_cbranch_scc0 .LBB143_500
; %bb.499:
	s_mov_b32 s53, 0
	global_store_b128 v[4:5], v[0:3], off
.LBB143_500:
	s_and_not1_b32 vcc_lo, exec_lo, s53
	s_cbranch_vccnz .LBB143_502
; %bb.501:
	s_wait_xcnt 0x0
	s_delay_alu instid0(VALU_DEP_2) | instskip(NEXT) | instid1(VALU_DEP_2)
	v_cvt_f32_f64_e32 v6, v[0:1]
	v_cvt_f32_f64_e32 v7, v[2:3]
	global_store_b64 v[4:5], v[6:7], off
.LBB143_502:
	s_mov_b32 s53, 0
.LBB143_503:
	s_delay_alu instid0(SALU_CYCLE_1)
	s_and_not1_b32 vcc_lo, exec_lo, s53
	s_cbranch_vccnz .LBB143_505
; %bb.504:
	s_wait_xcnt 0x0
	s_delay_alu instid0(VALU_DEP_2) | instskip(NEXT) | instid1(VALU_DEP_2)
	v_and_or_b32 v6, 0x1ff, v1, v0
	v_and_or_b32 v2, 0x1ff, v3, v2
	v_dual_lshrrev_b32 v7, 8, v1 :: v_dual_lshrrev_b32 v10, 8, v3
	v_bfe_u32 v8, v1, 20, 11
	s_delay_alu instid0(VALU_DEP_4) | instskip(SKIP_2) | instid1(VALU_DEP_4)
	v_cmp_ne_u32_e32 vcc_lo, 0, v6
	v_bfe_u32 v9, v3, 20, 11
	v_dual_lshrrev_b32 v17, 16, v1 :: v_dual_lshrrev_b32 v3, 16, v3
	v_sub_nc_u32_e32 v11, 0x3f1, v8
	v_cndmask_b32_e64 v6, 0, 1, vcc_lo
	v_cmp_ne_u32_e32 vcc_lo, 0, v2
	v_add_nc_u32_e32 v8, 0xfffffc10, v8
	s_delay_alu instid0(VALU_DEP_3) | instskip(SKIP_1) | instid1(VALU_DEP_1)
	v_and_or_b32 v6, 0xffe, v7, v6
	v_cndmask_b32_e64 v2, 0, 1, vcc_lo
	v_and_or_b32 v2, 0xffe, v10, v2
	v_med3_i32 v10, v11, 0, 13
	s_delay_alu instid0(VALU_DEP_4) | instskip(NEXT) | instid1(VALU_DEP_3)
	v_or_b32_e32 v11, 0x1000, v6
	v_or_b32_e32 v13, 0x1000, v2
	s_delay_alu instid0(VALU_DEP_2) | instskip(NEXT) | instid1(VALU_DEP_1)
	v_lshrrev_b32_e32 v14, v10, v11
	v_lshlrev_b32_e32 v10, v10, v14
	s_delay_alu instid0(VALU_DEP_1) | instskip(SKIP_2) | instid1(VALU_DEP_1)
	v_cmp_ne_u32_e32 vcc_lo, v10, v11
	v_lshl_or_b32 v11, v8, 12, v6
	v_cndmask_b32_e64 v10, 0, 1, vcc_lo
	v_or_b32_e32 v10, v14, v10
	v_sub_nc_u32_e32 v7, 0x3f1, v9
	v_add_nc_u32_e32 v9, 0xfffffc10, v9
	v_mov_b32_e32 v14, 0x7e00
	s_delay_alu instid0(VALU_DEP_3) | instskip(NEXT) | instid1(VALU_DEP_1)
	v_med3_i32 v7, v7, 0, 13
	v_lshrrev_b32_e32 v15, v7, v13
	s_delay_alu instid0(VALU_DEP_1) | instskip(NEXT) | instid1(VALU_DEP_1)
	v_lshlrev_b32_e32 v7, v7, v15
	v_cmp_ne_u32_e32 vcc_lo, v7, v13
	v_lshl_or_b32 v13, v9, 12, v2
	v_cndmask_b32_e64 v7, 0, 1, vcc_lo
	v_cmp_gt_i32_e32 vcc_lo, 1, v8
	v_cndmask_b32_e32 v10, v11, v10, vcc_lo
	s_delay_alu instid0(VALU_DEP_3) | instskip(SKIP_1) | instid1(VALU_DEP_3)
	v_or_b32_e32 v7, v15, v7
	v_cmp_gt_i32_e32 vcc_lo, 1, v9
	v_dual_lshrrev_b32 v10, 2, v10 :: v_dual_bitop2_b32 v11, 7, v10 bitop3:0x40
	s_delay_alu instid0(VALU_DEP_3) | instskip(NEXT) | instid1(VALU_DEP_1)
	v_cndmask_b32_e32 v7, v13, v7, vcc_lo
	v_dual_lshrrev_b32 v7, 2, v7 :: v_dual_bitop2_b32 v13, 7, v7 bitop3:0x40
	s_delay_alu instid0(VALU_DEP_3) | instskip(SKIP_1) | instid1(VALU_DEP_3)
	v_cmp_lt_i32_e32 vcc_lo, 5, v11
	v_cndmask_b32_e64 v15, 0, 1, vcc_lo
	v_cmp_lt_i32_e32 vcc_lo, 5, v13
	v_cndmask_b32_e64 v16, 0, 1, vcc_lo
	v_cmp_eq_u32_e32 vcc_lo, 3, v13
	v_cndmask_b32_e64 v13, 0, 1, vcc_lo
	v_cmp_eq_u32_e32 vcc_lo, 3, v11
	v_cndmask_b32_e64 v11, 0, 1, vcc_lo
	v_cmp_ne_u32_e32 vcc_lo, 0, v6
	s_delay_alu instid0(VALU_DEP_2) | instskip(NEXT) | instid1(VALU_DEP_1)
	v_or_b32_e32 v11, v11, v15
	v_dual_add_nc_u32 v10, v10, v11 :: v_dual_bitop2_b32 v13, v13, v16 bitop3:0x54
	s_delay_alu instid0(VALU_DEP_1)
	v_dual_cndmask_b32 v6, 0x7c00, v14 :: v_dual_add_nc_u32 v7, v7, v13
	v_cmp_ne_u32_e32 vcc_lo, 0, v2
	v_and_b32_e32 v11, 0x8000, v17
	v_cndmask_b32_e32 v2, 0x7c00, v14, vcc_lo
	v_cmp_gt_i32_e32 vcc_lo, 31, v9
	v_cndmask_b32_e32 v7, 0x7c00, v7, vcc_lo
	v_cmp_gt_i32_e32 vcc_lo, 31, v8
	v_cndmask_b32_e32 v10, 0x7c00, v10, vcc_lo
	v_cmp_eq_u32_e32 vcc_lo, 0x40f, v9
	s_delay_alu instid0(VALU_DEP_4) | instskip(SKIP_1) | instid1(VALU_DEP_2)
	v_cndmask_b32_e32 v2, v7, v2, vcc_lo
	v_cmp_eq_u32_e32 vcc_lo, 0x40f, v8
	v_and_or_b32 v2, 0x8000, v3, v2
	v_cndmask_b32_e32 v6, v10, v6, vcc_lo
	s_delay_alu instid0(VALU_DEP_1) | instskip(NEXT) | instid1(VALU_DEP_1)
	v_bitop3_b32 v3, v11, 0xffff, v6 bitop3:0xc8
	v_lshl_or_b32 v2, v2, 16, v3
	global_store_b32 v[4:5], v2, off
.LBB143_505:
	s_mov_b32 s53, 0
.LBB143_506:
	s_delay_alu instid0(SALU_CYCLE_1)
	s_and_not1_b32 vcc_lo, exec_lo, s53
	s_cbranch_vccnz .LBB143_515
; %bb.507:
	s_cmp_lt_i32 s41, 6
	s_mov_b32 s53, -1
	s_cbranch_scc1 .LBB143_513
; %bb.508:
	s_cmp_gt_i32 s41, 6
	s_cbranch_scc0 .LBB143_510
; %bb.509:
	s_mov_b32 s53, 0
	global_store_b64 v[4:5], v[0:1], off
.LBB143_510:
	s_and_not1_b32 vcc_lo, exec_lo, s53
	s_cbranch_vccnz .LBB143_512
; %bb.511:
	s_wait_xcnt 0x0
	s_delay_alu instid0(VALU_DEP_2)
	v_cvt_f32_f64_e32 v2, v[0:1]
	global_store_b32 v[4:5], v2, off
.LBB143_512:
	s_mov_b32 s53, 0
.LBB143_513:
	s_delay_alu instid0(SALU_CYCLE_1)
	s_and_not1_b32 vcc_lo, exec_lo, s53
	s_cbranch_vccnz .LBB143_515
; %bb.514:
	s_wait_xcnt 0x0
	s_delay_alu instid0(VALU_DEP_2) | instskip(SKIP_2) | instid1(VALU_DEP_3)
	v_and_or_b32 v2, 0x1ff, v1, v0
	v_lshrrev_b32_e32 v3, 8, v1
	v_bfe_u32 v6, v1, 20, 11
	v_cmp_ne_u32_e32 vcc_lo, 0, v2
	s_delay_alu instid0(VALU_DEP_2) | instskip(SKIP_1) | instid1(VALU_DEP_1)
	v_sub_nc_u32_e32 v7, 0x3f1, v6
	v_cndmask_b32_e64 v2, 0, 1, vcc_lo
	v_and_or_b32 v2, 0xffe, v3, v2
	s_delay_alu instid0(VALU_DEP_3) | instskip(NEXT) | instid1(VALU_DEP_2)
	v_med3_i32 v3, v7, 0, 13
	v_or_b32_e32 v7, 0x1000, v2
	s_delay_alu instid0(VALU_DEP_1) | instskip(NEXT) | instid1(VALU_DEP_1)
	v_lshrrev_b32_e32 v8, v3, v7
	v_lshlrev_b32_e32 v3, v3, v8
	s_delay_alu instid0(VALU_DEP_1) | instskip(SKIP_1) | instid1(VALU_DEP_1)
	v_cmp_ne_u32_e32 vcc_lo, v3, v7
	v_cndmask_b32_e64 v3, 0, 1, vcc_lo
	v_or_b32_e32 v3, v8, v3
	v_add_nc_u32_e32 v6, 0xfffffc10, v6
	s_delay_alu instid0(VALU_DEP_1) | instskip(SKIP_1) | instid1(VALU_DEP_2)
	v_lshl_or_b32 v7, v6, 12, v2
	v_cmp_gt_i32_e32 vcc_lo, 1, v6
	v_cndmask_b32_e32 v3, v7, v3, vcc_lo
	s_delay_alu instid0(VALU_DEP_1) | instskip(NEXT) | instid1(VALU_DEP_1)
	v_dual_lshrrev_b32 v3, 2, v3 :: v_dual_bitop2_b32 v7, 7, v3 bitop3:0x40
	v_cmp_lt_i32_e32 vcc_lo, 5, v7
	v_cndmask_b32_e64 v8, 0, 1, vcc_lo
	v_cmp_eq_u32_e32 vcc_lo, 3, v7
	v_cndmask_b32_e64 v7, 0, 1, vcc_lo
	v_cmp_ne_u32_e32 vcc_lo, 0, v2
	s_delay_alu instid0(VALU_DEP_2) | instskip(NEXT) | instid1(VALU_DEP_1)
	v_or_b32_e32 v7, v7, v8
	v_dual_mov_b32 v8, 0x7e00 :: v_dual_add_nc_u32 v3, v3, v7
	s_delay_alu instid0(VALU_DEP_1) | instskip(SKIP_1) | instid1(VALU_DEP_3)
	v_cndmask_b32_e32 v2, 0x7c00, v8, vcc_lo
	v_cmp_gt_i32_e32 vcc_lo, 31, v6
	v_cndmask_b32_e32 v3, 0x7c00, v3, vcc_lo
	v_cmp_eq_u32_e32 vcc_lo, 0x40f, v6
	s_delay_alu instid0(VALU_DEP_2) | instskip(NEXT) | instid1(VALU_DEP_1)
	v_dual_cndmask_b32 v2, v3, v2 :: v_dual_lshrrev_b32 v3, 16, v1
	v_and_or_b32 v2, 0x8000, v3, v2
	global_store_b16 v[4:5], v2, off
.LBB143_515:
	s_mov_b32 s53, 0
.LBB143_516:
	s_delay_alu instid0(SALU_CYCLE_1)
	s_and_not1_b32 vcc_lo, exec_lo, s53
	s_cbranch_vccnz .LBB143_532
; %bb.517:
	s_cmp_lt_i32 s41, 2
	s_mov_b32 s53, -1
	s_cbranch_scc1 .LBB143_527
; %bb.518:
	s_cmp_lt_i32 s41, 3
	s_cbranch_scc1 .LBB143_524
; %bb.519:
	s_cmp_gt_i32 s41, 3
	s_cbranch_scc0 .LBB143_521
; %bb.520:
	s_wait_xcnt 0x0
	s_delay_alu instid0(VALU_DEP_2) | instskip(SKIP_1) | instid1(VALU_DEP_1)
	v_trunc_f64_e32 v[2:3], v[0:1]
	s_mov_b32 s53, 0
	v_ldexp_f64 v[6:7], v[2:3], 0xffffffe0
	s_delay_alu instid0(VALU_DEP_1) | instskip(NEXT) | instid1(VALU_DEP_1)
	v_floor_f64_e32 v[6:7], v[6:7]
	v_fmamk_f64 v[2:3], v[6:7], 0xc1f00000, v[2:3]
	v_cvt_i32_f64_e32 v7, v[6:7]
	s_delay_alu instid0(VALU_DEP_2)
	v_cvt_u32_f64_e32 v6, v[2:3]
	global_store_b64 v[4:5], v[6:7], off
.LBB143_521:
	s_and_not1_b32 vcc_lo, exec_lo, s53
	s_cbranch_vccnz .LBB143_523
; %bb.522:
	s_wait_xcnt 0x0
	s_delay_alu instid0(VALU_DEP_2)
	v_cvt_i32_f64_e32 v2, v[0:1]
	global_store_b32 v[4:5], v2, off
.LBB143_523:
	s_mov_b32 s53, 0
.LBB143_524:
	s_delay_alu instid0(SALU_CYCLE_1)
	s_and_not1_b32 vcc_lo, exec_lo, s53
	s_cbranch_vccnz .LBB143_526
; %bb.525:
	s_wait_xcnt 0x0
	s_delay_alu instid0(VALU_DEP_2)
	v_cvt_i32_f64_e32 v2, v[0:1]
	global_store_b16 v[4:5], v2, off
.LBB143_526:
	s_mov_b32 s53, 0
.LBB143_527:
	s_delay_alu instid0(SALU_CYCLE_1)
	s_and_not1_b32 vcc_lo, exec_lo, s53
	s_cbranch_vccnz .LBB143_532
; %bb.528:
	s_cmp_gt_i32 s41, 0
	s_mov_b32 s41, -1
	s_cbranch_scc0 .LBB143_530
; %bb.529:
	s_wait_xcnt 0x0
	s_delay_alu instid0(VALU_DEP_2)
	v_cvt_i32_f64_e32 v2, v[0:1]
	s_mov_b32 s41, 0
	global_store_b8 v[4:5], v2, off
.LBB143_530:
	s_and_not1_b32 vcc_lo, exec_lo, s41
	s_cbranch_vccnz .LBB143_532
; %bb.531:
	s_wait_xcnt 0x0
	s_delay_alu instid0(VALU_DEP_2) | instskip(NEXT) | instid1(VALU_DEP_1)
	v_trunc_f64_e32 v[0:1], v[0:1]
	v_ldexp_f64 v[2:3], v[0:1], 0xffffffe0
	s_delay_alu instid0(VALU_DEP_1) | instskip(NEXT) | instid1(VALU_DEP_1)
	v_floor_f64_e32 v[2:3], v[2:3]
	v_fmamk_f64 v[0:1], v[2:3], 0xc1f00000, v[0:1]
	s_delay_alu instid0(VALU_DEP_1)
	v_cvt_u32_f64_e32 v0, v[0:1]
	global_store_b8 v[4:5], v0, off
.LBB143_532:
	s_mov_b32 s54, -1
.LBB143_533:
	s_delay_alu instid0(SALU_CYCLE_1)
	s_and_not1_b32 vcc_lo, exec_lo, s54
	s_cbranch_vccnz .LBB143_535
; %bb.534:
	v_add_nc_u32_e32 v12, 0x80, v12
	s_mov_b32 s41, -1
	s_branch .LBB143_536
.LBB143_535:
	s_mov_b32 s41, 0
                                        ; implicit-def: $vgpr12
.LBB143_536:
	s_and_b32 s53, s0, exec_lo
	s_and_b32 s54, s40, exec_lo
	;; [unrolled: 1-line block ×4, first 2 shown]
	s_or_not1_b32 s40, s41, exec_lo
.LBB143_537:
	s_wait_xcnt 0x0
	s_or_b32 exec_lo, exec_lo, s57
	s_mov_b32 s39, 0
	s_mov_b32 s38, 0
                                        ; implicit-def: $sgpr0
                                        ; implicit-def: $vgpr6_vgpr7
                                        ; implicit-def: $vgpr14
                                        ; implicit-def: $vgpr8
                                        ; implicit-def: $vgpr4
                                        ; implicit-def: $vgpr2_vgpr3
	s_and_saveexec_b32 s57, s40
	s_cbranch_execnz .LBB143_541
; %bb.538:
	s_or_b32 exec_lo, exec_lo, s57
	s_mov_b32 s1, 0
	s_and_saveexec_b32 s6, s56
	s_cbranch_execnz .LBB143_1726
.LBB143_539:
	s_or_b32 exec_lo, exec_lo, s6
	s_and_saveexec_b32 s6, s35
	s_delay_alu instid0(SALU_CYCLE_1)
	s_xor_b32 s6, exec_lo, s6
	s_cbranch_execnz .LBB143_1727
.LBB143_540:
	s_or_b32 exec_lo, exec_lo, s6
	s_and_saveexec_b32 s6, s39
	s_cbranch_execnz .LBB143_1728
	s_branch .LBB143_1775
.LBB143_541:
	s_mov_b32 s41, -1
	s_mov_b32 s58, s56
	s_mov_b32 s61, s55
	;; [unrolled: 1-line block ×4, first 2 shown]
	s_mov_b32 s62, exec_lo
	v_cmpx_gt_i32_e64 s51, v12
	s_cbranch_execz .LBB143_1084
; %bb.542:
	s_and_not1_b32 vcc_lo, exec_lo, s44
	s_cbranch_vccnz .LBB143_548
; %bb.543:
	s_and_not1_b32 vcc_lo, exec_lo, s52
	s_cbranch_vccnz .LBB143_549
; %bb.544:
	s_wait_loadcnt 0x0
	v_dual_mov_b32 v4, 0 :: v_dual_mov_b32 v1, v12
	v_dual_mov_b32 v8, 0 :: v_dual_mov_b32 v14, 0
	v_mov_b32_e32 v0, 0
	s_add_co_i32 s0, s50, 1
	s_mov_b64 s[38:39], 0xffffffffffffffe0
	s_and_b32 s0, s0, 30
	s_add_nc_u64 s[38:39], s[2:3], s[38:39]
	s_mov_b64 s[40:41], s[2:3]
.LBB143_545:                            ; =>This Inner Loop Header: Depth=1
	s_clause 0x1
	s_load_b128 s[72:75], s[40:41], 0x4
	s_load_b64 s[58:59], s[40:41], 0x14
	s_load_b256 s[64:71], s[38:39], 0xe4
	s_add_co_i32 s0, s0, -2
	s_wait_xcnt 0x0
	s_add_nc_u64 s[40:41], s[40:41], 24
	s_cmp_eq_u32 s0, 0
	s_add_nc_u64 s[38:39], s[38:39], 32
	s_wait_kmcnt 0x0
	v_mul_hi_u32 v2, s73, v1
	s_delay_alu instid0(VALU_DEP_1) | instskip(NEXT) | instid1(VALU_DEP_1)
	v_add_nc_u32_e32 v2, v1, v2
	v_lshrrev_b32_e32 v2, s74, v2
	s_delay_alu instid0(VALU_DEP_1) | instskip(SKIP_1) | instid1(VALU_DEP_1)
	v_mul_hi_u32 v3, s58, v2
	v_mul_lo_u32 v5, v2, s72
	v_dual_add_nc_u32 v3, v2, v3 :: v_dual_sub_nc_u32 v5, v1, v5
	s_delay_alu instid0(VALU_DEP_1) | instskip(NEXT) | instid1(VALU_DEP_2)
	v_lshrrev_b32_e32 v1, s59, v3
	v_mad_u32 v0, v5, s65, v0
	v_mad_u32 v6, v5, s64, v14
	;; [unrolled: 1-line block ×4, first 2 shown]
	v_mul_lo_u32 v3, v1, s75
	s_delay_alu instid0(VALU_DEP_1) | instskip(NEXT) | instid1(VALU_DEP_1)
	v_sub_nc_u32_e32 v2, v2, v3
	v_mad_u32 v0, v2, s69, v0
	v_mad_u32 v14, v2, s68, v6
	;; [unrolled: 1-line block ×4, first 2 shown]
	s_cbranch_scc0 .LBB143_545
; %bb.546:
	s_bitcmp1_b32 s50, 0
	s_cselect_b32 s0, -1, 0
	s_delay_alu instid0(SALU_CYCLE_1)
	s_and_b32 vcc_lo, exec_lo, s0
	s_cbranch_vccnz .LBB143_550
; %bb.547:
	s_load_b96 s[68:70], s[40:41], 0x4
	s_load_b128 s[64:67], s[38:39], 0xe4
	s_wait_kmcnt 0x0
	v_mul_hi_u32 v2, s69, v1
	s_delay_alu instid0(VALU_DEP_1) | instskip(NEXT) | instid1(VALU_DEP_1)
	v_add_nc_u32_e32 v2, v1, v2
	v_lshrrev_b32_e32 v2, s70, v2
	s_delay_alu instid0(VALU_DEP_1) | instskip(NEXT) | instid1(VALU_DEP_1)
	v_mul_lo_u32 v2, v2, s68
	v_sub_nc_u32_e32 v1, v1, v2
	s_delay_alu instid0(VALU_DEP_1)
	v_mad_u32 v14, v1, s64, v14
	v_mad_u32 v0, v1, s65, v0
	;; [unrolled: 1-line block ×4, first 2 shown]
	s_branch .LBB143_550
.LBB143_548:
                                        ; implicit-def: $vgpr0
                                        ; implicit-def: $vgpr14
                                        ; implicit-def: $vgpr8
                                        ; implicit-def: $vgpr4
	s_branch .LBB143_551
.LBB143_549:
	s_wait_loadcnt 0x0
	v_dual_mov_b32 v0, 0 :: v_dual_mov_b32 v14, 0
	v_dual_mov_b32 v8, 0 :: v_dual_mov_b32 v4, 0
.LBB143_550:
	s_cbranch_execnz .LBB143_553
.LBB143_551:
	v_mov_b32_e32 v13, 0
	s_and_not1_b32 vcc_lo, exec_lo, s49
	s_wait_loadcnt 0x0
	s_delay_alu instid0(VALU_DEP_1) | instskip(NEXT) | instid1(VALU_DEP_1)
	v_mul_u64_e32 v[0:1], s[34:35], v[12:13]
	v_add_nc_u32_e32 v0, v12, v1
	s_delay_alu instid0(VALU_DEP_1) | instskip(NEXT) | instid1(VALU_DEP_1)
	v_lshrrev_b32_e32 v2, s30, v0
	v_mul_lo_u32 v0, v2, s28
	s_delay_alu instid0(VALU_DEP_1) | instskip(NEXT) | instid1(VALU_DEP_1)
	v_sub_nc_u32_e32 v1, v12, v0
	v_mul_lo_u32 v0, v1, s21
	v_mul_lo_u32 v14, v1, s20
	;; [unrolled: 1-line block ×4, first 2 shown]
	s_cbranch_vccnz .LBB143_553
; %bb.552:
	v_mov_b32_e32 v3, v13
	s_delay_alu instid0(VALU_DEP_1) | instskip(NEXT) | instid1(VALU_DEP_1)
	v_mul_u64_e32 v[6:7], s[36:37], v[2:3]
	v_add_nc_u32_e32 v1, v2, v7
	s_delay_alu instid0(VALU_DEP_1) | instskip(NEXT) | instid1(VALU_DEP_1)
	v_lshrrev_b32_e32 v1, s1, v1
	v_mul_lo_u32 v1, v1, s31
	s_delay_alu instid0(VALU_DEP_1) | instskip(NEXT) | instid1(VALU_DEP_1)
	v_sub_nc_u32_e32 v1, v2, v1
	v_mad_u32 v14, v1, s24, v14
	v_mad_u32 v0, v1, s25, v0
	;; [unrolled: 1-line block ×4, first 2 shown]
.LBB143_553:
	s_wait_loadcnt 0x0
	v_mov_b32_e32 v1, 0
	s_and_b32 s0, s48, 0xff
	s_delay_alu instid0(SALU_CYCLE_1) | instskip(NEXT) | instid1(VALU_DEP_1)
	s_cmp_lt_i32 s0, 11
	v_add_nc_u64_e32 v[6:7], s[6:7], v[0:1]
	s_cbranch_scc1 .LBB143_560
; %bb.554:
	s_and_b32 s39, 0xffff, s0
	s_delay_alu instid0(SALU_CYCLE_1)
	s_cmp_gt_i32 s39, 25
	s_cbranch_scc0 .LBB143_569
; %bb.555:
	s_cmp_gt_i32 s39, 28
	s_cbranch_scc0 .LBB143_571
; %bb.556:
	;; [unrolled: 3-line block ×4, first 2 shown]
	s_cmp_eq_u32 s39, 46
	s_mov_b32 s41, 0
	s_cbranch_scc0 .LBB143_577
; %bb.559:
	global_load_b32 v0, v[6:7], off
	s_mov_b32 s40, -1
	s_mov_b32 s38, 0
	s_wait_loadcnt 0x0
	v_lshlrev_b32_e32 v1, 16, v0
	v_and_b32_e32 v2, 0xffff0000, v0
	s_delay_alu instid0(VALU_DEP_2) | instskip(NEXT) | instid1(VALU_DEP_2)
	v_cvt_f64_f32_e32 v[0:1], v1
	v_cvt_f64_f32_e32 v[2:3], v2
	s_branch .LBB143_579
.LBB143_560:
	s_mov_b32 s40, 0
	s_mov_b32 s38, s56
                                        ; implicit-def: $vgpr2_vgpr3
	s_cbranch_execnz .LBB143_644
.LBB143_561:
	s_and_not1_b32 vcc_lo, exec_lo, s40
	s_cbranch_vccnz .LBB143_694
.LBB143_562:
	v_mov_b32_e32 v5, 0
	s_and_b32 s0, s47, 0xff
	s_delay_alu instid0(SALU_CYCLE_1) | instskip(NEXT) | instid1(VALU_DEP_1)
	s_cmp_lt_i32 s0, 11
	v_add_nc_u64_e32 v[10:11], s[8:9], v[4:5]
	s_cbranch_scc1 .LBB143_570
; %bb.563:
	s_and_b32 s40, 0xffff, s0
	s_delay_alu instid0(SALU_CYCLE_1)
	s_cmp_gt_i32 s40, 25
	s_cbranch_scc0 .LBB143_572
; %bb.564:
	s_cmp_gt_i32 s40, 28
	s_cbranch_scc0 .LBB143_574
; %bb.565:
	;; [unrolled: 3-line block ×4, first 2 shown]
	s_cmp_eq_u32 s40, 46
	s_mov_b32 s58, 0
	s_cbranch_scc0 .LBB143_699
; %bb.568:
	global_load_b32 v4, v[10:11], off
	s_mov_b32 s41, -1
	s_mov_b32 s39, 0
	s_wait_loadcnt 0x0
	v_lshlrev_b32_e32 v5, 16, v4
	s_wait_xcnt 0x1
	v_and_b32_e32 v6, 0xffff0000, v4
	s_delay_alu instid0(VALU_DEP_2) | instskip(NEXT) | instid1(VALU_DEP_2)
	v_cvt_f64_f32_e32 v[4:5], v5
	v_cvt_f64_f32_e32 v[6:7], v6
	s_branch .LBB143_701
.LBB143_569:
	s_mov_b32 s41, -1
	s_mov_b32 s40, 0
	s_mov_b32 s38, s56
                                        ; implicit-def: $vgpr2_vgpr3
	s_branch .LBB143_609
.LBB143_570:
	s_mov_b32 s40, -1
	s_mov_b32 s41, 0
	s_mov_b32 s39, s55
                                        ; implicit-def: $vgpr6_vgpr7
	s_branch .LBB143_765
.LBB143_571:
	s_mov_b32 s41, -1
	s_mov_b32 s40, 0
	s_mov_b32 s38, s56
                                        ; implicit-def: $vgpr2_vgpr3
	s_branch .LBB143_592
.LBB143_572:
	s_mov_b32 s58, -1
	s_mov_b32 s41, 0
	s_mov_b32 s39, s55
                                        ; implicit-def: $vgpr6_vgpr7
	s_branch .LBB143_730
.LBB143_573:
	s_mov_b32 s41, -1
	s_mov_b32 s40, 0
	s_mov_b32 s38, s56
                                        ; implicit-def: $vgpr2_vgpr3
	s_branch .LBB143_586
.LBB143_574:
	s_mov_b32 s58, -1
	s_mov_b32 s41, 0
	s_mov_b32 s39, s55
                                        ; implicit-def: $vgpr6_vgpr7
	s_branch .LBB143_713
.LBB143_575:
	s_mov_b32 s41, -1
	s_mov_b32 s40, 0
	s_mov_b32 s38, s56
	s_branch .LBB143_578
.LBB143_576:
	s_mov_b32 s58, -1
	s_mov_b32 s41, 0
	s_mov_b32 s39, s55
                                        ; implicit-def: $vgpr6_vgpr7
	s_branch .LBB143_707
.LBB143_577:
	s_mov_b32 s38, -1
	s_mov_b32 s40, 0
.LBB143_578:
                                        ; implicit-def: $vgpr2_vgpr3
.LBB143_579:
	s_and_b32 vcc_lo, exec_lo, s41
	s_cbranch_vccz .LBB143_585
; %bb.580:
	s_cmp_eq_u32 s39, 44
	s_cbranch_scc0 .LBB143_583
; %bb.581:
	global_load_u8 v2, v[6:7], off
	s_mov_b32 s38, 0
	s_mov_b32 s40, -1
	s_wait_loadcnt 0x0
	v_cmp_ne_u32_e32 vcc_lo, 0xff, v2
	v_lshlrev_b32_e32 v0, 23, v2
	s_delay_alu instid0(VALU_DEP_1) | instskip(NEXT) | instid1(VALU_DEP_1)
	v_cvt_f64_f32_e32 v[0:1], v0
	v_cndmask_b32_e32 v0, 0x20000000, v0, vcc_lo
	s_delay_alu instid0(VALU_DEP_2) | instskip(SKIP_1) | instid1(VALU_DEP_2)
	v_cndmask_b32_e32 v1, 0x7ff80000, v1, vcc_lo
	v_cmp_ne_u32_e32 vcc_lo, 0, v2
	v_cndmask_b32_e32 v1, 0x38000000, v1, vcc_lo
	s_delay_alu instid0(VALU_DEP_4)
	v_cndmask_b32_e32 v0, 0, v0, vcc_lo
	s_branch .LBB143_584
.LBB143_582:
	s_mov_b32 s58, -1
	s_mov_b32 s41, 0
	s_mov_b32 s39, s55
	s_branch .LBB143_700
.LBB143_583:
	s_mov_b32 s38, -1
                                        ; implicit-def: $vgpr0_vgpr1
.LBB143_584:
	v_mov_b64_e32 v[2:3], 0
.LBB143_585:
	s_mov_b32 s41, 0
.LBB143_586:
	s_delay_alu instid0(SALU_CYCLE_1)
	s_and_b32 vcc_lo, exec_lo, s41
	s_cbranch_vccz .LBB143_591
; %bb.587:
	s_cmp_eq_u32 s39, 29
	s_cbranch_scc0 .LBB143_589
; %bb.588:
	global_load_b64 v[0:1], v[6:7], off
	s_mov_b32 s40, -1
	s_mov_b32 s38, 0
	s_wait_loadcnt 0x0
	v_cvt_f64_u32_e32 v[2:3], v1
	v_cvt_f64_u32_e32 v[0:1], v0
	s_delay_alu instid0(VALU_DEP_2) | instskip(NEXT) | instid1(VALU_DEP_1)
	v_ldexp_f64 v[2:3], v[2:3], 32
	v_add_f64_e32 v[0:1], v[2:3], v[0:1]
	s_branch .LBB143_590
.LBB143_589:
	s_mov_b32 s38, -1
                                        ; implicit-def: $vgpr0_vgpr1
.LBB143_590:
	v_mov_b64_e32 v[2:3], 0
.LBB143_591:
	s_mov_b32 s41, 0
.LBB143_592:
	s_delay_alu instid0(SALU_CYCLE_1)
	s_and_b32 vcc_lo, exec_lo, s41
	s_cbranch_vccz .LBB143_608
; %bb.593:
	s_cmp_lt_i32 s39, 27
	s_cbranch_scc1 .LBB143_596
; %bb.594:
	s_cmp_gt_i32 s39, 27
	s_cbranch_scc0 .LBB143_597
; %bb.595:
	global_load_b32 v0, v[6:7], off
	s_mov_b32 s40, 0
	s_wait_loadcnt 0x0
	v_cvt_f64_u32_e32 v[0:1], v0
	s_branch .LBB143_598
.LBB143_596:
	s_mov_b32 s40, -1
                                        ; implicit-def: $vgpr0_vgpr1
	s_branch .LBB143_601
.LBB143_597:
	s_mov_b32 s40, -1
                                        ; implicit-def: $vgpr0_vgpr1
.LBB143_598:
	s_delay_alu instid0(SALU_CYCLE_1)
	s_and_not1_b32 vcc_lo, exec_lo, s40
	s_cbranch_vccnz .LBB143_600
; %bb.599:
	global_load_u16 v0, v[6:7], off
	s_wait_loadcnt 0x0
	v_cvt_f64_u32_e32 v[0:1], v0
.LBB143_600:
	s_mov_b32 s40, 0
.LBB143_601:
	s_delay_alu instid0(SALU_CYCLE_1)
	s_and_not1_b32 vcc_lo, exec_lo, s40
	s_cbranch_vccnz .LBB143_607
; %bb.602:
	global_load_u8 v2, v[6:7], off
	s_mov_b32 s40, 0
	s_mov_b32 s41, exec_lo
	s_wait_loadcnt 0x0
	v_cmpx_lt_i16_e32 0x7f, v2
	s_xor_b32 s41, exec_lo, s41
	s_cbranch_execnz .LBB143_620
; %bb.603:
	s_or_saveexec_b32 s41, s41
	v_mov_b64_e32 v[0:1], 0x7ff8000020000000
	s_xor_b32 exec_lo, exec_lo, s41
	s_cbranch_execnz .LBB143_623
.LBB143_604:
	s_or_b32 exec_lo, exec_lo, s41
	s_and_saveexec_b32 s41, s40
	s_cbranch_execz .LBB143_606
.LBB143_605:
	v_and_b32_e32 v0, 0xffff, v2
	s_delay_alu instid0(VALU_DEP_1) | instskip(SKIP_1) | instid1(VALU_DEP_2)
	v_and_b32_e32 v1, 7, v0
	v_bfe_u32 v9, v0, 3, 4
	v_clz_i32_u32_e32 v3, v1
	s_delay_alu instid0(VALU_DEP_2) | instskip(NEXT) | instid1(VALU_DEP_2)
	v_cmp_eq_u32_e32 vcc_lo, 0, v9
	v_min_u32_e32 v3, 32, v3
	s_delay_alu instid0(VALU_DEP_1) | instskip(NEXT) | instid1(VALU_DEP_1)
	v_subrev_nc_u32_e32 v5, 28, v3
	v_dual_lshlrev_b32 v0, v5, v0 :: v_dual_sub_nc_u32 v3, 29, v3
	s_delay_alu instid0(VALU_DEP_1) | instskip(NEXT) | instid1(VALU_DEP_2)
	v_dual_lshlrev_b32 v2, 24, v2 :: v_dual_bitop2_b32 v0, 7, v0 bitop3:0x40
	v_cndmask_b32_e32 v3, v9, v3, vcc_lo
	s_delay_alu instid0(VALU_DEP_2) | instskip(NEXT) | instid1(VALU_DEP_3)
	v_cndmask_b32_e32 v0, v1, v0, vcc_lo
	v_and_b32_e32 v1, 0x80000000, v2
	s_delay_alu instid0(VALU_DEP_3) | instskip(NEXT) | instid1(VALU_DEP_3)
	v_lshl_add_u32 v2, v3, 23, 0x3b800000
	v_lshlrev_b32_e32 v0, 20, v0
	s_delay_alu instid0(VALU_DEP_1) | instskip(NEXT) | instid1(VALU_DEP_1)
	v_or3_b32 v0, v1, v2, v0
	v_cvt_f64_f32_e32 v[0:1], v0
.LBB143_606:
	s_or_b32 exec_lo, exec_lo, s41
.LBB143_607:
	v_mov_b64_e32 v[2:3], 0
	s_mov_b32 s40, -1
.LBB143_608:
	s_mov_b32 s41, 0
.LBB143_609:
	s_delay_alu instid0(SALU_CYCLE_1)
	s_and_b32 vcc_lo, exec_lo, s41
	s_cbranch_vccz .LBB143_643
; %bb.610:
	s_cmp_gt_i32 s39, 22
	s_cbranch_scc0 .LBB143_618
; %bb.611:
	s_cmp_lt_i32 s39, 24
	s_cbranch_scc1 .LBB143_619
; %bb.612:
	s_cmp_gt_i32 s39, 24
	s_cbranch_scc0 .LBB143_624
; %bb.613:
	global_load_u8 v2, v[6:7], off
	s_mov_b32 s40, 0
	s_mov_b32 s41, exec_lo
	s_wait_loadcnt 0x0
	v_cmpx_lt_i16_e32 0x7f, v2
	s_xor_b32 s41, exec_lo, s41
	s_cbranch_execnz .LBB143_695
; %bb.614:
	s_or_saveexec_b32 s41, s41
	v_mov_b64_e32 v[0:1], 0x7ff8000020000000
	s_xor_b32 exec_lo, exec_lo, s41
	s_cbranch_execnz .LBB143_698
.LBB143_615:
	s_or_b32 exec_lo, exec_lo, s41
	s_and_saveexec_b32 s41, s40
	s_cbranch_execz .LBB143_617
.LBB143_616:
	v_and_b32_e32 v0, 0xffff, v2
	s_delay_alu instid0(VALU_DEP_1) | instskip(SKIP_1) | instid1(VALU_DEP_2)
	v_and_b32_e32 v1, 3, v0
	v_bfe_u32 v9, v0, 2, 5
	v_clz_i32_u32_e32 v3, v1
	s_delay_alu instid0(VALU_DEP_2) | instskip(NEXT) | instid1(VALU_DEP_2)
	v_cmp_eq_u32_e32 vcc_lo, 0, v9
	v_min_u32_e32 v3, 32, v3
	s_delay_alu instid0(VALU_DEP_1) | instskip(NEXT) | instid1(VALU_DEP_1)
	v_subrev_nc_u32_e32 v5, 29, v3
	v_dual_lshlrev_b32 v0, v5, v0 :: v_dual_sub_nc_u32 v3, 30, v3
	s_delay_alu instid0(VALU_DEP_1) | instskip(NEXT) | instid1(VALU_DEP_2)
	v_dual_lshlrev_b32 v2, 24, v2 :: v_dual_bitop2_b32 v0, 3, v0 bitop3:0x40
	v_cndmask_b32_e32 v3, v9, v3, vcc_lo
	s_delay_alu instid0(VALU_DEP_2) | instskip(NEXT) | instid1(VALU_DEP_3)
	v_cndmask_b32_e32 v0, v1, v0, vcc_lo
	v_and_b32_e32 v1, 0x80000000, v2
	s_delay_alu instid0(VALU_DEP_3) | instskip(NEXT) | instid1(VALU_DEP_3)
	v_lshl_add_u32 v2, v3, 23, 0x37800000
	v_lshlrev_b32_e32 v0, 21, v0
	s_delay_alu instid0(VALU_DEP_1) | instskip(NEXT) | instid1(VALU_DEP_1)
	v_or3_b32 v0, v1, v2, v0
	v_cvt_f64_f32_e32 v[0:1], v0
.LBB143_617:
	s_or_b32 exec_lo, exec_lo, s41
	s_mov_b32 s40, 0
	s_branch .LBB143_625
.LBB143_618:
	s_mov_b32 s41, -1
                                        ; implicit-def: $vgpr0_vgpr1
	s_branch .LBB143_631
.LBB143_619:
	s_mov_b32 s40, -1
                                        ; implicit-def: $vgpr0_vgpr1
	s_branch .LBB143_628
.LBB143_620:
	s_mov_b32 s40, -1
	s_mov_b32 s58, exec_lo
	v_cmpx_eq_u16_e32 0x80, v2
; %bb.621:
	s_xor_b32 s40, exec_lo, -1
; %bb.622:
	s_or_b32 exec_lo, exec_lo, s58
	s_delay_alu instid0(SALU_CYCLE_1)
	s_and_b32 s40, s40, exec_lo
	s_or_saveexec_b32 s41, s41
	v_mov_b64_e32 v[0:1], 0x7ff8000020000000
	s_xor_b32 exec_lo, exec_lo, s41
	s_cbranch_execz .LBB143_604
.LBB143_623:
	v_cmp_ne_u16_e32 vcc_lo, 0, v2
	v_mov_b64_e32 v[0:1], 0
	s_and_not1_b32 s40, s40, exec_lo
	s_and_b32 s58, vcc_lo, exec_lo
	s_delay_alu instid0(SALU_CYCLE_1)
	s_or_b32 s40, s40, s58
	s_or_b32 exec_lo, exec_lo, s41
	s_and_saveexec_b32 s41, s40
	s_cbranch_execnz .LBB143_605
	s_branch .LBB143_606
.LBB143_624:
	s_mov_b32 s40, -1
                                        ; implicit-def: $vgpr0_vgpr1
.LBB143_625:
	s_delay_alu instid0(SALU_CYCLE_1)
	s_and_b32 vcc_lo, exec_lo, s40
	s_cbranch_vccz .LBB143_627
; %bb.626:
	global_load_u8 v0, v[6:7], off
	s_wait_loadcnt 0x0
	v_lshlrev_b32_e32 v0, 24, v0
	s_delay_alu instid0(VALU_DEP_1) | instskip(NEXT) | instid1(VALU_DEP_1)
	v_and_b32_e32 v1, 0x7f000000, v0
	v_clz_i32_u32_e32 v2, v1
	v_add_nc_u32_e32 v5, 0x1000000, v1
	v_cmp_ne_u32_e32 vcc_lo, 0, v1
	s_delay_alu instid0(VALU_DEP_3) | instskip(NEXT) | instid1(VALU_DEP_1)
	v_min_u32_e32 v2, 32, v2
	v_sub_nc_u32_e64 v2, v2, 4 clamp
	s_delay_alu instid0(VALU_DEP_1) | instskip(NEXT) | instid1(VALU_DEP_1)
	v_dual_lshlrev_b32 v3, v2, v1 :: v_dual_lshlrev_b32 v2, 23, v2
	v_lshrrev_b32_e32 v3, 4, v3
	s_delay_alu instid0(VALU_DEP_1) | instskip(NEXT) | instid1(VALU_DEP_1)
	v_dual_sub_nc_u32 v2, v3, v2 :: v_dual_ashrrev_i32 v3, 8, v5
	v_add_nc_u32_e32 v2, 0x3c000000, v2
	s_delay_alu instid0(VALU_DEP_1) | instskip(NEXT) | instid1(VALU_DEP_1)
	v_and_or_b32 v2, 0x7f800000, v3, v2
	v_cndmask_b32_e32 v1, 0, v2, vcc_lo
	s_delay_alu instid0(VALU_DEP_1) | instskip(NEXT) | instid1(VALU_DEP_1)
	v_and_or_b32 v0, 0x80000000, v0, v1
	v_cvt_f64_f32_e32 v[0:1], v0
.LBB143_627:
	s_mov_b32 s40, 0
.LBB143_628:
	s_delay_alu instid0(SALU_CYCLE_1)
	s_and_not1_b32 vcc_lo, exec_lo, s40
	s_cbranch_vccnz .LBB143_630
; %bb.629:
	global_load_u8 v0, v[6:7], off
	s_wait_loadcnt 0x0
	v_lshlrev_b32_e32 v1, 25, v0
	v_lshlrev_b16 v0, 8, v0
	s_delay_alu instid0(VALU_DEP_1) | instskip(SKIP_1) | instid1(VALU_DEP_2)
	v_and_or_b32 v3, 0x7f00, v0, 0.5
	v_bfe_i32 v0, v0, 0, 16
	v_dual_add_f32 v3, -0.5, v3 :: v_dual_lshrrev_b32 v2, 4, v1
	v_cmp_gt_u32_e32 vcc_lo, 0x8000000, v1
	s_delay_alu instid0(VALU_DEP_2) | instskip(NEXT) | instid1(VALU_DEP_1)
	v_or_b32_e32 v2, 0x70000000, v2
	v_mul_f32_e32 v2, 0x7800000, v2
	s_delay_alu instid0(VALU_DEP_1) | instskip(NEXT) | instid1(VALU_DEP_1)
	v_cndmask_b32_e32 v1, v2, v3, vcc_lo
	v_and_or_b32 v0, 0x80000000, v0, v1
	s_delay_alu instid0(VALU_DEP_1)
	v_cvt_f64_f32_e32 v[0:1], v0
.LBB143_630:
	s_mov_b32 s41, 0
	s_mov_b32 s40, -1
.LBB143_631:
	s_and_not1_b32 vcc_lo, exec_lo, s41
	s_cbranch_vccnz .LBB143_642
; %bb.632:
	s_cmp_gt_i32 s39, 14
	s_cbranch_scc0 .LBB143_635
; %bb.633:
	s_cmp_eq_u32 s39, 15
	s_cbranch_scc0 .LBB143_636
; %bb.634:
	global_load_u16 v0, v[6:7], off
	s_mov_b32 s40, -1
	s_mov_b32 s38, 0
	s_wait_loadcnt 0x0
	v_lshlrev_b32_e32 v0, 16, v0
	s_delay_alu instid0(VALU_DEP_1)
	v_cvt_f64_f32_e32 v[0:1], v0
	s_branch .LBB143_637
.LBB143_635:
	s_mov_b32 s41, -1
                                        ; implicit-def: $vgpr0_vgpr1
	s_branch .LBB143_638
.LBB143_636:
	s_mov_b32 s38, -1
                                        ; implicit-def: $vgpr0_vgpr1
.LBB143_637:
	s_mov_b32 s41, 0
.LBB143_638:
	s_delay_alu instid0(SALU_CYCLE_1)
	s_and_b32 vcc_lo, exec_lo, s41
	s_cbranch_vccz .LBB143_642
; %bb.639:
	s_cmp_eq_u32 s39, 11
	s_cbranch_scc0 .LBB143_641
; %bb.640:
	global_load_u8 v0, v[6:7], off
	s_mov_b32 s38, 0
	s_mov_b32 s40, -1
	v_mov_b64_e32 v[2:3], 0
	s_wait_loadcnt 0x0
	v_cmp_ne_u16_e32 vcc_lo, 0, v0
	v_mov_b32_e32 v0, 0
	v_cndmask_b32_e64 v1, 0, 0x3ff00000, vcc_lo
	s_branch .LBB143_643
.LBB143_641:
	s_mov_b32 s38, -1
                                        ; implicit-def: $vgpr0_vgpr1
.LBB143_642:
	v_mov_b64_e32 v[2:3], 0
.LBB143_643:
	s_branch .LBB143_561
.LBB143_644:
	s_and_b32 s0, 0xffff, s0
	s_delay_alu instid0(SALU_CYCLE_1)
	s_cmp_lt_i32 s0, 5
	s_cbranch_scc1 .LBB143_649
; %bb.645:
	s_cmp_lt_i32 s0, 8
	s_cbranch_scc1 .LBB143_650
; %bb.646:
	;; [unrolled: 3-line block ×3, first 2 shown]
	s_cmp_gt_i32 s0, 9
	s_cbranch_scc0 .LBB143_652
; %bb.648:
	global_load_b128 v[0:3], v[6:7], off
	s_mov_b32 s39, 0
	s_branch .LBB143_653
.LBB143_649:
	s_mov_b32 s39, -1
                                        ; implicit-def: $vgpr2_vgpr3
	s_branch .LBB143_672
.LBB143_650:
	s_mov_b32 s39, -1
                                        ; implicit-def: $vgpr2_vgpr3
	s_branch .LBB143_659
.LBB143_651:
	s_mov_b32 s39, -1
                                        ; implicit-def: $vgpr2_vgpr3
	s_branch .LBB143_656
.LBB143_652:
	s_mov_b32 s39, -1
                                        ; implicit-def: $vgpr2_vgpr3
.LBB143_653:
	s_delay_alu instid0(SALU_CYCLE_1)
	s_and_not1_b32 vcc_lo, exec_lo, s39
	s_cbranch_vccnz .LBB143_655
; %bb.654:
	s_wait_loadcnt 0x0
	global_load_b64 v[2:3], v[6:7], off
	s_wait_loadcnt 0x0
	v_cvt_f64_f32_e32 v[0:1], v2
	v_cvt_f64_f32_e32 v[2:3], v3
.LBB143_655:
	s_mov_b32 s39, 0
.LBB143_656:
	s_delay_alu instid0(SALU_CYCLE_1)
	s_and_not1_b32 vcc_lo, exec_lo, s39
	s_cbranch_vccnz .LBB143_658
; %bb.657:
	s_wait_loadcnt 0x0
	global_load_b32 v0, v[6:7], off
	s_wait_loadcnt 0x0
	v_lshrrev_b32_e32 v1, 16, v0
	v_cvt_f32_f16_e32 v0, v0
	s_delay_alu instid0(VALU_DEP_2) | instskip(NEXT) | instid1(VALU_DEP_2)
	v_cvt_f32_f16_e32 v2, v1
	v_cvt_f64_f32_e32 v[0:1], v0
	s_delay_alu instid0(VALU_DEP_2)
	v_cvt_f64_f32_e32 v[2:3], v2
.LBB143_658:
	s_mov_b32 s39, 0
.LBB143_659:
	s_delay_alu instid0(SALU_CYCLE_1)
	s_and_not1_b32 vcc_lo, exec_lo, s39
	s_cbranch_vccnz .LBB143_671
; %bb.660:
	s_cmp_lt_i32 s0, 6
	s_cbranch_scc1 .LBB143_663
; %bb.661:
	s_cmp_gt_i32 s0, 6
	s_cbranch_scc0 .LBB143_664
; %bb.662:
	s_wait_loadcnt 0x0
	global_load_b64 v[0:1], v[6:7], off
	s_mov_b32 s39, 0
	s_branch .LBB143_665
.LBB143_663:
	s_mov_b32 s39, -1
                                        ; implicit-def: $vgpr0_vgpr1
	s_branch .LBB143_668
.LBB143_664:
	s_mov_b32 s39, -1
                                        ; implicit-def: $vgpr0_vgpr1
.LBB143_665:
	s_delay_alu instid0(SALU_CYCLE_1)
	s_and_not1_b32 vcc_lo, exec_lo, s39
	s_cbranch_vccnz .LBB143_667
; %bb.666:
	s_wait_loadcnt 0x0
	global_load_b32 v0, v[6:7], off
	s_wait_loadcnt 0x0
	v_cvt_f64_f32_e32 v[0:1], v0
.LBB143_667:
	s_mov_b32 s39, 0
.LBB143_668:
	s_delay_alu instid0(SALU_CYCLE_1)
	s_and_not1_b32 vcc_lo, exec_lo, s39
	s_cbranch_vccnz .LBB143_670
; %bb.669:
	s_wait_loadcnt 0x0
	global_load_u16 v0, v[6:7], off
	s_wait_loadcnt 0x0
	v_cvt_f32_f16_e32 v0, v0
	s_delay_alu instid0(VALU_DEP_1)
	v_cvt_f64_f32_e32 v[0:1], v0
.LBB143_670:
	s_wait_loadcnt 0x0
	v_mov_b64_e32 v[2:3], 0
.LBB143_671:
	s_mov_b32 s39, 0
.LBB143_672:
	s_delay_alu instid0(SALU_CYCLE_1)
	s_and_not1_b32 vcc_lo, exec_lo, s39
	s_cbranch_vccnz .LBB143_693
; %bb.673:
	s_cmp_lt_i32 s0, 2
	s_cbranch_scc1 .LBB143_677
; %bb.674:
	s_cmp_lt_i32 s0, 3
	s_cbranch_scc1 .LBB143_678
; %bb.675:
	s_cmp_gt_i32 s0, 3
	s_cbranch_scc0 .LBB143_679
; %bb.676:
	s_wait_loadcnt 0x0
	global_load_b64 v[0:1], v[6:7], off
	s_mov_b32 s39, 0
	s_wait_loadcnt 0x0
	v_cvt_f64_i32_e32 v[2:3], v1
	v_cvt_f64_u32_e32 v[0:1], v0
	s_delay_alu instid0(VALU_DEP_2) | instskip(NEXT) | instid1(VALU_DEP_1)
	v_ldexp_f64 v[2:3], v[2:3], 32
	v_add_f64_e32 v[0:1], v[2:3], v[0:1]
	s_branch .LBB143_680
.LBB143_677:
	s_mov_b32 s39, -1
                                        ; implicit-def: $vgpr0_vgpr1
	s_branch .LBB143_686
.LBB143_678:
	s_mov_b32 s39, -1
                                        ; implicit-def: $vgpr0_vgpr1
	s_branch .LBB143_683
.LBB143_679:
	s_mov_b32 s39, -1
                                        ; implicit-def: $vgpr0_vgpr1
.LBB143_680:
	s_delay_alu instid0(SALU_CYCLE_1)
	s_and_not1_b32 vcc_lo, exec_lo, s39
	s_cbranch_vccnz .LBB143_682
; %bb.681:
	s_wait_loadcnt 0x0
	global_load_b32 v0, v[6:7], off
	s_wait_loadcnt 0x0
	v_cvt_f64_i32_e32 v[0:1], v0
.LBB143_682:
	s_mov_b32 s39, 0
.LBB143_683:
	s_delay_alu instid0(SALU_CYCLE_1)
	s_and_not1_b32 vcc_lo, exec_lo, s39
	s_cbranch_vccnz .LBB143_685
; %bb.684:
	s_wait_loadcnt 0x0
	global_load_i16 v0, v[6:7], off
	s_wait_loadcnt 0x0
	v_cvt_f64_i32_e32 v[0:1], v0
.LBB143_685:
	s_mov_b32 s39, 0
.LBB143_686:
	s_delay_alu instid0(SALU_CYCLE_1)
	s_and_not1_b32 vcc_lo, exec_lo, s39
	s_cbranch_vccnz .LBB143_692
; %bb.687:
	s_cmp_gt_i32 s0, 0
	s_mov_b32 s0, 0
	s_cbranch_scc0 .LBB143_689
; %bb.688:
	s_wait_loadcnt 0x0
	global_load_i8 v0, v[6:7], off
	s_wait_loadcnt 0x0
	v_cvt_f64_i32_e32 v[0:1], v0
	s_branch .LBB143_690
.LBB143_689:
	s_mov_b32 s0, -1
                                        ; implicit-def: $vgpr0_vgpr1
.LBB143_690:
	s_delay_alu instid0(SALU_CYCLE_1)
	s_and_not1_b32 vcc_lo, exec_lo, s0
	s_cbranch_vccnz .LBB143_692
; %bb.691:
	s_wait_loadcnt 0x0
	global_load_u8 v0, v[6:7], off
	s_wait_loadcnt 0x0
	v_cvt_f64_u32_e32 v[0:1], v0
.LBB143_692:
	s_wait_loadcnt 0x0
	v_mov_b64_e32 v[2:3], 0
.LBB143_693:
	s_branch .LBB143_562
.LBB143_694:
	s_mov_b32 s41, 0
	s_mov_b32 s0, s53
	s_mov_b32 s40, s54
	s_mov_b32 s39, s55
	s_branch .LBB143_1082
.LBB143_695:
	s_mov_b32 s40, -1
	s_mov_b32 s58, exec_lo
	v_cmpx_eq_u16_e32 0x80, v2
; %bb.696:
	s_xor_b32 s40, exec_lo, -1
; %bb.697:
	s_or_b32 exec_lo, exec_lo, s58
	s_delay_alu instid0(SALU_CYCLE_1)
	s_and_b32 s40, s40, exec_lo
	s_or_saveexec_b32 s41, s41
	v_mov_b64_e32 v[0:1], 0x7ff8000020000000
	s_xor_b32 exec_lo, exec_lo, s41
	s_cbranch_execz .LBB143_615
.LBB143_698:
	v_cmp_ne_u16_e32 vcc_lo, 0, v2
	v_mov_b64_e32 v[0:1], 0
	s_and_not1_b32 s40, s40, exec_lo
	s_and_b32 s58, vcc_lo, exec_lo
	s_delay_alu instid0(SALU_CYCLE_1)
	s_or_b32 s40, s40, s58
	s_or_b32 exec_lo, exec_lo, s41
	s_and_saveexec_b32 s41, s40
	s_cbranch_execnz .LBB143_616
	s_branch .LBB143_617
.LBB143_699:
	s_mov_b32 s39, -1
	s_mov_b32 s41, 0
.LBB143_700:
                                        ; implicit-def: $vgpr6_vgpr7
.LBB143_701:
	s_and_b32 vcc_lo, exec_lo, s58
	s_cbranch_vccz .LBB143_706
; %bb.702:
	s_cmp_eq_u32 s40, 44
	s_cbranch_scc0 .LBB143_704
; %bb.703:
	global_load_u8 v6, v[10:11], off
	s_mov_b32 s39, 0
	s_mov_b32 s41, -1
	s_wait_loadcnt 0x0
	v_cmp_ne_u32_e32 vcc_lo, 0xff, v6
	v_lshlrev_b32_e32 v4, 23, v6
	s_delay_alu instid0(VALU_DEP_1) | instskip(NEXT) | instid1(VALU_DEP_1)
	v_cvt_f64_f32_e32 v[4:5], v4
	v_cndmask_b32_e32 v4, 0x20000000, v4, vcc_lo
	s_delay_alu instid0(VALU_DEP_2) | instskip(SKIP_1) | instid1(VALU_DEP_2)
	v_cndmask_b32_e32 v5, 0x7ff80000, v5, vcc_lo
	v_cmp_ne_u32_e32 vcc_lo, 0, v6
	v_cndmask_b32_e32 v5, 0x38000000, v5, vcc_lo
	s_delay_alu instid0(VALU_DEP_4)
	v_cndmask_b32_e32 v4, 0, v4, vcc_lo
	s_branch .LBB143_705
.LBB143_704:
	s_mov_b32 s39, -1
                                        ; implicit-def: $vgpr4_vgpr5
.LBB143_705:
	s_wait_xcnt 0x0
	v_mov_b64_e32 v[6:7], 0
.LBB143_706:
	s_mov_b32 s58, 0
.LBB143_707:
	s_delay_alu instid0(SALU_CYCLE_1)
	s_and_b32 vcc_lo, exec_lo, s58
	s_cbranch_vccz .LBB143_712
; %bb.708:
	s_cmp_eq_u32 s40, 29
	s_cbranch_scc0 .LBB143_710
; %bb.709:
	global_load_b64 v[4:5], v[10:11], off
	s_mov_b32 s41, -1
	s_mov_b32 s39, 0
	s_wait_loadcnt 0x0
	s_wait_xcnt 0x1
	v_cvt_f64_u32_e32 v[6:7], v5
	v_cvt_f64_u32_e32 v[4:5], v4
	s_delay_alu instid0(VALU_DEP_2) | instskip(NEXT) | instid1(VALU_DEP_1)
	v_ldexp_f64 v[6:7], v[6:7], 32
	v_add_f64_e32 v[4:5], v[6:7], v[4:5]
	s_branch .LBB143_711
.LBB143_710:
	s_mov_b32 s39, -1
                                        ; implicit-def: $vgpr4_vgpr5
.LBB143_711:
	s_wait_xcnt 0x0
	v_mov_b64_e32 v[6:7], 0
.LBB143_712:
	s_mov_b32 s58, 0
.LBB143_713:
	s_delay_alu instid0(SALU_CYCLE_1)
	s_and_b32 vcc_lo, exec_lo, s58
	s_cbranch_vccz .LBB143_729
; %bb.714:
	s_cmp_lt_i32 s40, 27
	s_cbranch_scc1 .LBB143_717
; %bb.715:
	s_cmp_gt_i32 s40, 27
	s_cbranch_scc0 .LBB143_718
; %bb.716:
	global_load_b32 v4, v[10:11], off
	s_mov_b32 s41, 0
	s_wait_loadcnt 0x0
	v_cvt_f64_u32_e32 v[4:5], v4
	s_branch .LBB143_719
.LBB143_717:
	s_mov_b32 s41, -1
                                        ; implicit-def: $vgpr4_vgpr5
	s_branch .LBB143_722
.LBB143_718:
	s_mov_b32 s41, -1
                                        ; implicit-def: $vgpr4_vgpr5
.LBB143_719:
	s_delay_alu instid0(SALU_CYCLE_1)
	s_and_not1_b32 vcc_lo, exec_lo, s41
	s_cbranch_vccnz .LBB143_721
; %bb.720:
	global_load_u16 v4, v[10:11], off
	s_wait_loadcnt 0x0
	v_cvt_f64_u32_e32 v[4:5], v4
.LBB143_721:
	s_mov_b32 s41, 0
.LBB143_722:
	s_delay_alu instid0(SALU_CYCLE_1)
	s_and_not1_b32 vcc_lo, exec_lo, s41
	s_cbranch_vccnz .LBB143_728
; %bb.723:
	global_load_u8 v6, v[10:11], off
	s_mov_b32 s41, 0
	s_mov_b32 s58, exec_lo
	s_wait_loadcnt 0x0
	v_cmpx_lt_i16_e32 0x7f, v6
	s_xor_b32 s58, exec_lo, s58
	s_cbranch_execnz .LBB143_741
; %bb.724:
	s_or_saveexec_b32 s58, s58
	v_mov_b64_e32 v[4:5], 0x7ff8000020000000
	s_xor_b32 exec_lo, exec_lo, s58
	s_cbranch_execnz .LBB143_744
.LBB143_725:
	s_or_b32 exec_lo, exec_lo, s58
	s_and_saveexec_b32 s58, s41
	s_cbranch_execz .LBB143_727
.LBB143_726:
	v_and_b32_e32 v4, 0xffff, v6
	s_delay_alu instid0(VALU_DEP_1) | instskip(SKIP_1) | instid1(VALU_DEP_2)
	v_and_b32_e32 v5, 7, v4
	v_bfe_u32 v13, v4, 3, 4
	v_clz_i32_u32_e32 v7, v5
	s_delay_alu instid0(VALU_DEP_2) | instskip(NEXT) | instid1(VALU_DEP_2)
	v_cmp_eq_u32_e32 vcc_lo, 0, v13
	v_min_u32_e32 v7, 32, v7
	s_delay_alu instid0(VALU_DEP_1) | instskip(NEXT) | instid1(VALU_DEP_1)
	v_subrev_nc_u32_e32 v9, 28, v7
	v_dual_lshlrev_b32 v4, v9, v4 :: v_dual_sub_nc_u32 v7, 29, v7
	s_delay_alu instid0(VALU_DEP_1) | instskip(NEXT) | instid1(VALU_DEP_2)
	v_dual_lshlrev_b32 v6, 24, v6 :: v_dual_bitop2_b32 v4, 7, v4 bitop3:0x40
	v_cndmask_b32_e32 v7, v13, v7, vcc_lo
	s_delay_alu instid0(VALU_DEP_2) | instskip(NEXT) | instid1(VALU_DEP_3)
	v_cndmask_b32_e32 v4, v5, v4, vcc_lo
	v_and_b32_e32 v5, 0x80000000, v6
	s_delay_alu instid0(VALU_DEP_3) | instskip(NEXT) | instid1(VALU_DEP_3)
	v_lshl_add_u32 v6, v7, 23, 0x3b800000
	v_lshlrev_b32_e32 v4, 20, v4
	s_delay_alu instid0(VALU_DEP_1) | instskip(NEXT) | instid1(VALU_DEP_1)
	v_or3_b32 v4, v5, v6, v4
	v_cvt_f64_f32_e32 v[4:5], v4
.LBB143_727:
	s_or_b32 exec_lo, exec_lo, s58
.LBB143_728:
	s_wait_xcnt 0x0
	v_mov_b64_e32 v[6:7], 0
	s_mov_b32 s41, -1
.LBB143_729:
	s_mov_b32 s58, 0
.LBB143_730:
	s_delay_alu instid0(SALU_CYCLE_1)
	s_and_b32 vcc_lo, exec_lo, s58
	s_cbranch_vccz .LBB143_764
; %bb.731:
	s_cmp_gt_i32 s40, 22
	s_cbranch_scc0 .LBB143_739
; %bb.732:
	s_cmp_lt_i32 s40, 24
	s_cbranch_scc1 .LBB143_740
; %bb.733:
	s_cmp_gt_i32 s40, 24
	s_cbranch_scc0 .LBB143_745
; %bb.734:
	global_load_u8 v6, v[10:11], off
	s_mov_b32 s41, 0
	s_mov_b32 s58, exec_lo
	s_wait_loadcnt 0x0
	v_cmpx_lt_i16_e32 0x7f, v6
	s_xor_b32 s58, exec_lo, s58
	s_cbranch_execnz .LBB143_829
; %bb.735:
	s_or_saveexec_b32 s58, s58
	v_mov_b64_e32 v[4:5], 0x7ff8000020000000
	s_xor_b32 exec_lo, exec_lo, s58
	s_cbranch_execnz .LBB143_832
.LBB143_736:
	s_or_b32 exec_lo, exec_lo, s58
	s_and_saveexec_b32 s58, s41
	s_cbranch_execz .LBB143_738
.LBB143_737:
	v_and_b32_e32 v4, 0xffff, v6
	s_delay_alu instid0(VALU_DEP_1) | instskip(SKIP_1) | instid1(VALU_DEP_2)
	v_and_b32_e32 v5, 3, v4
	v_bfe_u32 v13, v4, 2, 5
	v_clz_i32_u32_e32 v7, v5
	s_delay_alu instid0(VALU_DEP_2) | instskip(NEXT) | instid1(VALU_DEP_2)
	v_cmp_eq_u32_e32 vcc_lo, 0, v13
	v_min_u32_e32 v7, 32, v7
	s_delay_alu instid0(VALU_DEP_1) | instskip(NEXT) | instid1(VALU_DEP_1)
	v_subrev_nc_u32_e32 v9, 29, v7
	v_dual_lshlrev_b32 v4, v9, v4 :: v_dual_sub_nc_u32 v7, 30, v7
	s_delay_alu instid0(VALU_DEP_1) | instskip(NEXT) | instid1(VALU_DEP_2)
	v_dual_lshlrev_b32 v6, 24, v6 :: v_dual_bitop2_b32 v4, 3, v4 bitop3:0x40
	v_cndmask_b32_e32 v7, v13, v7, vcc_lo
	s_delay_alu instid0(VALU_DEP_2) | instskip(NEXT) | instid1(VALU_DEP_3)
	v_cndmask_b32_e32 v4, v5, v4, vcc_lo
	v_and_b32_e32 v5, 0x80000000, v6
	s_delay_alu instid0(VALU_DEP_3) | instskip(NEXT) | instid1(VALU_DEP_3)
	v_lshl_add_u32 v6, v7, 23, 0x37800000
	v_lshlrev_b32_e32 v4, 21, v4
	s_delay_alu instid0(VALU_DEP_1) | instskip(NEXT) | instid1(VALU_DEP_1)
	v_or3_b32 v4, v5, v6, v4
	v_cvt_f64_f32_e32 v[4:5], v4
.LBB143_738:
	s_or_b32 exec_lo, exec_lo, s58
	s_mov_b32 s41, 0
	s_branch .LBB143_746
.LBB143_739:
	s_mov_b32 s58, -1
                                        ; implicit-def: $vgpr4_vgpr5
	s_branch .LBB143_752
.LBB143_740:
	s_mov_b32 s41, -1
                                        ; implicit-def: $vgpr4_vgpr5
	s_branch .LBB143_749
.LBB143_741:
	s_mov_b32 s41, -1
	s_mov_b32 s59, exec_lo
	v_cmpx_eq_u16_e32 0x80, v6
; %bb.742:
	s_xor_b32 s41, exec_lo, -1
; %bb.743:
	s_or_b32 exec_lo, exec_lo, s59
	s_delay_alu instid0(SALU_CYCLE_1)
	s_and_b32 s41, s41, exec_lo
	s_or_saveexec_b32 s58, s58
	v_mov_b64_e32 v[4:5], 0x7ff8000020000000
	s_xor_b32 exec_lo, exec_lo, s58
	s_cbranch_execz .LBB143_725
.LBB143_744:
	v_cmp_ne_u16_e32 vcc_lo, 0, v6
	v_mov_b64_e32 v[4:5], 0
	s_and_not1_b32 s41, s41, exec_lo
	s_and_b32 s59, vcc_lo, exec_lo
	s_delay_alu instid0(SALU_CYCLE_1)
	s_or_b32 s41, s41, s59
	s_or_b32 exec_lo, exec_lo, s58
	s_and_saveexec_b32 s58, s41
	s_cbranch_execnz .LBB143_726
	s_branch .LBB143_727
.LBB143_745:
	s_mov_b32 s41, -1
                                        ; implicit-def: $vgpr4_vgpr5
.LBB143_746:
	s_delay_alu instid0(SALU_CYCLE_1)
	s_and_b32 vcc_lo, exec_lo, s41
	s_cbranch_vccz .LBB143_748
; %bb.747:
	global_load_u8 v4, v[10:11], off
	s_wait_loadcnt 0x0
	v_lshlrev_b32_e32 v4, 24, v4
	s_delay_alu instid0(VALU_DEP_1) | instskip(SKIP_1) | instid1(VALU_DEP_1)
	v_and_b32_e32 v5, 0x7f000000, v4
	s_wait_xcnt 0x1
	v_clz_i32_u32_e32 v6, v5
	v_add_nc_u32_e32 v9, 0x1000000, v5
	v_cmp_ne_u32_e32 vcc_lo, 0, v5
	s_delay_alu instid0(VALU_DEP_3) | instskip(NEXT) | instid1(VALU_DEP_1)
	v_min_u32_e32 v6, 32, v6
	v_sub_nc_u32_e64 v6, v6, 4 clamp
	s_delay_alu instid0(VALU_DEP_1) | instskip(NEXT) | instid1(VALU_DEP_1)
	v_dual_lshlrev_b32 v7, v6, v5 :: v_dual_lshlrev_b32 v6, 23, v6
	v_lshrrev_b32_e32 v7, 4, v7
	s_delay_alu instid0(VALU_DEP_1) | instskip(NEXT) | instid1(VALU_DEP_1)
	v_dual_sub_nc_u32 v6, v7, v6 :: v_dual_ashrrev_i32 v7, 8, v9
	v_add_nc_u32_e32 v6, 0x3c000000, v6
	s_delay_alu instid0(VALU_DEP_1) | instskip(NEXT) | instid1(VALU_DEP_1)
	v_and_or_b32 v6, 0x7f800000, v7, v6
	v_cndmask_b32_e32 v5, 0, v6, vcc_lo
	s_delay_alu instid0(VALU_DEP_1) | instskip(NEXT) | instid1(VALU_DEP_1)
	v_and_or_b32 v4, 0x80000000, v4, v5
	v_cvt_f64_f32_e32 v[4:5], v4
.LBB143_748:
	s_mov_b32 s41, 0
.LBB143_749:
	s_delay_alu instid0(SALU_CYCLE_1)
	s_and_not1_b32 vcc_lo, exec_lo, s41
	s_cbranch_vccnz .LBB143_751
; %bb.750:
	global_load_u8 v4, v[10:11], off
	s_wait_loadcnt 0x0
	v_lshlrev_b32_e32 v5, 25, v4
	v_lshlrev_b16 v4, 8, v4
	s_wait_xcnt 0x1
	s_delay_alu instid0(VALU_DEP_1) | instskip(SKIP_1) | instid1(VALU_DEP_2)
	v_and_or_b32 v7, 0x7f00, v4, 0.5
	v_bfe_i32 v4, v4, 0, 16
	v_dual_add_f32 v7, -0.5, v7 :: v_dual_lshrrev_b32 v6, 4, v5
	v_cmp_gt_u32_e32 vcc_lo, 0x8000000, v5
	s_delay_alu instid0(VALU_DEP_2) | instskip(NEXT) | instid1(VALU_DEP_1)
	v_or_b32_e32 v6, 0x70000000, v6
	v_mul_f32_e32 v6, 0x7800000, v6
	s_delay_alu instid0(VALU_DEP_1) | instskip(NEXT) | instid1(VALU_DEP_1)
	v_cndmask_b32_e32 v5, v6, v7, vcc_lo
	v_and_or_b32 v4, 0x80000000, v4, v5
	s_delay_alu instid0(VALU_DEP_1)
	v_cvt_f64_f32_e32 v[4:5], v4
.LBB143_751:
	s_mov_b32 s58, 0
	s_mov_b32 s41, -1
.LBB143_752:
	s_and_not1_b32 vcc_lo, exec_lo, s58
	s_cbranch_vccnz .LBB143_763
; %bb.753:
	s_cmp_gt_i32 s40, 14
	s_cbranch_scc0 .LBB143_756
; %bb.754:
	s_cmp_eq_u32 s40, 15
	s_cbranch_scc0 .LBB143_757
; %bb.755:
	global_load_u16 v4, v[10:11], off
	s_mov_b32 s41, -1
	s_mov_b32 s39, 0
	s_wait_loadcnt 0x0
	v_lshlrev_b32_e32 v4, 16, v4
	s_delay_alu instid0(VALU_DEP_1)
	v_cvt_f64_f32_e32 v[4:5], v4
	s_branch .LBB143_758
.LBB143_756:
	s_mov_b32 s58, -1
                                        ; implicit-def: $vgpr4_vgpr5
	s_branch .LBB143_759
.LBB143_757:
	s_mov_b32 s39, -1
                                        ; implicit-def: $vgpr4_vgpr5
.LBB143_758:
	s_mov_b32 s58, 0
.LBB143_759:
	s_delay_alu instid0(SALU_CYCLE_1)
	s_and_b32 vcc_lo, exec_lo, s58
	s_cbranch_vccz .LBB143_763
; %bb.760:
	s_cmp_eq_u32 s40, 11
	s_cbranch_scc0 .LBB143_762
; %bb.761:
	global_load_u8 v4, v[10:11], off
	s_mov_b32 s39, 0
	s_mov_b32 s41, -1
	s_wait_xcnt 0x1
	v_mov_b64_e32 v[6:7], 0
	s_wait_loadcnt 0x0
	v_cmp_ne_u16_e32 vcc_lo, 0, v4
	v_mov_b32_e32 v4, 0
	v_cndmask_b32_e64 v5, 0, 0x3ff00000, vcc_lo
	s_branch .LBB143_764
.LBB143_762:
	s_mov_b32 s39, -1
                                        ; implicit-def: $vgpr4_vgpr5
.LBB143_763:
	s_wait_xcnt 0x0
	v_mov_b64_e32 v[6:7], 0
.LBB143_764:
	s_mov_b32 s40, 0
.LBB143_765:
	s_delay_alu instid0(SALU_CYCLE_1)
	s_and_b32 vcc_lo, exec_lo, s40
	s_cbranch_vccz .LBB143_816
; %bb.766:
	s_and_b32 s0, 0xffff, s0
	s_delay_alu instid0(SALU_CYCLE_1)
	s_cmp_lt_i32 s0, 5
	s_cbranch_scc1 .LBB143_771
; %bb.767:
	s_cmp_lt_i32 s0, 8
	s_cbranch_scc1 .LBB143_772
; %bb.768:
	;; [unrolled: 3-line block ×3, first 2 shown]
	s_cmp_gt_i32 s0, 9
	s_cbranch_scc0 .LBB143_774
; %bb.770:
	global_load_b128 v[4:7], v[10:11], off
	s_mov_b32 s40, 0
	s_branch .LBB143_775
.LBB143_771:
	s_mov_b32 s40, -1
                                        ; implicit-def: $vgpr6_vgpr7
	s_branch .LBB143_794
.LBB143_772:
	s_mov_b32 s40, -1
                                        ; implicit-def: $vgpr6_vgpr7
	s_branch .LBB143_781
.LBB143_773:
	s_mov_b32 s40, -1
                                        ; implicit-def: $vgpr6_vgpr7
	s_branch .LBB143_778
.LBB143_774:
	s_mov_b32 s40, -1
                                        ; implicit-def: $vgpr6_vgpr7
.LBB143_775:
	s_delay_alu instid0(SALU_CYCLE_1)
	s_and_not1_b32 vcc_lo, exec_lo, s40
	s_cbranch_vccnz .LBB143_777
; %bb.776:
	s_wait_loadcnt 0x0
	global_load_b64 v[6:7], v[10:11], off
	s_wait_loadcnt 0x0
	v_cvt_f64_f32_e32 v[4:5], v6
	v_cvt_f64_f32_e32 v[6:7], v7
.LBB143_777:
	s_mov_b32 s40, 0
.LBB143_778:
	s_delay_alu instid0(SALU_CYCLE_1)
	s_and_not1_b32 vcc_lo, exec_lo, s40
	s_cbranch_vccnz .LBB143_780
; %bb.779:
	s_wait_loadcnt 0x0
	global_load_b32 v4, v[10:11], off
	s_wait_loadcnt 0x0
	v_lshrrev_b32_e32 v5, 16, v4
	v_cvt_f32_f16_e32 v4, v4
	s_wait_xcnt 0x1
	s_delay_alu instid0(VALU_DEP_2) | instskip(NEXT) | instid1(VALU_DEP_2)
	v_cvt_f32_f16_e32 v6, v5
	v_cvt_f64_f32_e32 v[4:5], v4
	s_delay_alu instid0(VALU_DEP_2)
	v_cvt_f64_f32_e32 v[6:7], v6
.LBB143_780:
	s_mov_b32 s40, 0
.LBB143_781:
	s_delay_alu instid0(SALU_CYCLE_1)
	s_and_not1_b32 vcc_lo, exec_lo, s40
	s_cbranch_vccnz .LBB143_793
; %bb.782:
	s_cmp_lt_i32 s0, 6
	s_cbranch_scc1 .LBB143_785
; %bb.783:
	s_cmp_gt_i32 s0, 6
	s_cbranch_scc0 .LBB143_786
; %bb.784:
	s_wait_loadcnt 0x0
	global_load_b64 v[4:5], v[10:11], off
	s_mov_b32 s40, 0
	s_branch .LBB143_787
.LBB143_785:
	s_mov_b32 s40, -1
                                        ; implicit-def: $vgpr4_vgpr5
	s_branch .LBB143_790
.LBB143_786:
	s_mov_b32 s40, -1
                                        ; implicit-def: $vgpr4_vgpr5
.LBB143_787:
	s_delay_alu instid0(SALU_CYCLE_1)
	s_and_not1_b32 vcc_lo, exec_lo, s40
	s_cbranch_vccnz .LBB143_789
; %bb.788:
	s_wait_loadcnt 0x0
	global_load_b32 v4, v[10:11], off
	s_wait_loadcnt 0x0
	v_cvt_f64_f32_e32 v[4:5], v4
.LBB143_789:
	s_mov_b32 s40, 0
.LBB143_790:
	s_delay_alu instid0(SALU_CYCLE_1)
	s_and_not1_b32 vcc_lo, exec_lo, s40
	s_cbranch_vccnz .LBB143_792
; %bb.791:
	s_wait_loadcnt 0x0
	global_load_u16 v4, v[10:11], off
	s_wait_loadcnt 0x0
	v_cvt_f32_f16_e32 v4, v4
	s_delay_alu instid0(VALU_DEP_1)
	v_cvt_f64_f32_e32 v[4:5], v4
.LBB143_792:
	s_wait_loadcnt 0x0
	v_mov_b64_e32 v[6:7], 0
.LBB143_793:
	s_mov_b32 s40, 0
.LBB143_794:
	s_delay_alu instid0(SALU_CYCLE_1)
	s_and_not1_b32 vcc_lo, exec_lo, s40
	s_cbranch_vccnz .LBB143_815
; %bb.795:
	s_cmp_lt_i32 s0, 2
	s_cbranch_scc1 .LBB143_799
; %bb.796:
	s_cmp_lt_i32 s0, 3
	s_cbranch_scc1 .LBB143_800
; %bb.797:
	s_cmp_gt_i32 s0, 3
	s_cbranch_scc0 .LBB143_801
; %bb.798:
	s_wait_loadcnt 0x0
	global_load_b64 v[4:5], v[10:11], off
	s_mov_b32 s40, 0
	s_wait_loadcnt 0x0
	s_wait_xcnt 0x1
	v_cvt_f64_i32_e32 v[6:7], v5
	v_cvt_f64_u32_e32 v[4:5], v4
	s_delay_alu instid0(VALU_DEP_2) | instskip(NEXT) | instid1(VALU_DEP_1)
	v_ldexp_f64 v[6:7], v[6:7], 32
	v_add_f64_e32 v[4:5], v[6:7], v[4:5]
	s_branch .LBB143_802
.LBB143_799:
	s_mov_b32 s40, -1
                                        ; implicit-def: $vgpr4_vgpr5
	s_branch .LBB143_808
.LBB143_800:
	s_mov_b32 s40, -1
                                        ; implicit-def: $vgpr4_vgpr5
	s_branch .LBB143_805
.LBB143_801:
	s_mov_b32 s40, -1
                                        ; implicit-def: $vgpr4_vgpr5
.LBB143_802:
	s_delay_alu instid0(SALU_CYCLE_1)
	s_and_not1_b32 vcc_lo, exec_lo, s40
	s_cbranch_vccnz .LBB143_804
; %bb.803:
	s_wait_loadcnt 0x0
	global_load_b32 v4, v[10:11], off
	s_wait_loadcnt 0x0
	v_cvt_f64_i32_e32 v[4:5], v4
.LBB143_804:
	s_mov_b32 s40, 0
.LBB143_805:
	s_delay_alu instid0(SALU_CYCLE_1)
	s_and_not1_b32 vcc_lo, exec_lo, s40
	s_cbranch_vccnz .LBB143_807
; %bb.806:
	s_wait_loadcnt 0x0
	global_load_i16 v4, v[10:11], off
	s_wait_loadcnt 0x0
	v_cvt_f64_i32_e32 v[4:5], v4
.LBB143_807:
	s_mov_b32 s40, 0
.LBB143_808:
	s_delay_alu instid0(SALU_CYCLE_1)
	s_and_not1_b32 vcc_lo, exec_lo, s40
	s_cbranch_vccnz .LBB143_814
; %bb.809:
	s_cmp_gt_i32 s0, 0
	s_mov_b32 s0, 0
	s_cbranch_scc0 .LBB143_811
; %bb.810:
	s_wait_loadcnt 0x0
	global_load_i8 v4, v[10:11], off
	s_wait_loadcnt 0x0
	v_cvt_f64_i32_e32 v[4:5], v4
	s_branch .LBB143_812
.LBB143_811:
	s_mov_b32 s0, -1
                                        ; implicit-def: $vgpr4_vgpr5
.LBB143_812:
	s_delay_alu instid0(SALU_CYCLE_1)
	s_and_not1_b32 vcc_lo, exec_lo, s0
	s_cbranch_vccnz .LBB143_814
; %bb.813:
	s_wait_loadcnt 0x0
	global_load_u8 v4, v[10:11], off
	s_wait_loadcnt 0x0
	v_cvt_f64_u32_e32 v[4:5], v4
.LBB143_814:
	s_wait_loadcnt 0x0
	v_mov_b64_e32 v[6:7], 0
.LBB143_815:
	s_mov_b32 s41, -1
.LBB143_816:
	s_delay_alu instid0(SALU_CYCLE_1)
	s_and_not1_b32 vcc_lo, exec_lo, s41
	s_cbranch_vccnz .LBB143_824
; %bb.817:
	v_mov_b32_e32 v9, 0
	s_and_b32 s0, 0xffff, s29
	s_delay_alu instid0(SALU_CYCLE_1) | instskip(NEXT) | instid1(VALU_DEP_1)
	s_cmp_lt_i32 s0, 11
	v_add_nc_u64_e32 v[16:17], s[10:11], v[8:9]
	s_cbranch_scc1 .LBB143_825
; %bb.818:
	s_cmp_gt_i32 s0, 25
	s_cbranch_scc0 .LBB143_826
; %bb.819:
	s_cmp_gt_i32 s0, 28
	s_cbranch_scc0 .LBB143_827
	;; [unrolled: 3-line block ×4, first 2 shown]
; %bb.822:
	s_cmp_eq_u32 s0, 46
	s_mov_b32 s58, 0
	s_cbranch_scc0 .LBB143_836
; %bb.823:
	global_load_b32 v8, v[16:17], off
	s_mov_b32 s41, -1
	s_mov_b32 s40, 0
	s_wait_loadcnt 0x0
	v_lshlrev_b32_e32 v9, 16, v8
	s_wait_xcnt 0x1
	v_and_b32_e32 v10, 0xffff0000, v8
	s_delay_alu instid0(VALU_DEP_2) | instskip(NEXT) | instid1(VALU_DEP_2)
	v_cvt_f64_f32_e32 v[8:9], v9
	v_cvt_f64_f32_e32 v[10:11], v10
	s_branch .LBB143_838
.LBB143_824:
	s_mov_b32 s41, 0
	s_mov_b32 s0, s53
	;; [unrolled: 1-line block ×3, first 2 shown]
	s_branch .LBB143_1082
.LBB143_825:
	s_mov_b32 s58, -1
	s_mov_b32 s41, 0
	s_mov_b32 s40, s54
                                        ; implicit-def: $vgpr10_vgpr11
	s_branch .LBB143_902
.LBB143_826:
	s_mov_b32 s58, -1
	s_mov_b32 s41, 0
	s_mov_b32 s40, s54
                                        ; implicit-def: $vgpr10_vgpr11
	s_branch .LBB143_867
.LBB143_827:
	s_mov_b32 s58, -1
	s_mov_b32 s41, 0
	s_mov_b32 s40, s54
                                        ; implicit-def: $vgpr10_vgpr11
	s_branch .LBB143_850
.LBB143_828:
	s_mov_b32 s58, -1
	s_mov_b32 s41, 0
	s_mov_b32 s40, s54
                                        ; implicit-def: $vgpr10_vgpr11
	s_branch .LBB143_844
.LBB143_829:
	s_mov_b32 s41, -1
	s_mov_b32 s59, exec_lo
	v_cmpx_eq_u16_e32 0x80, v6
; %bb.830:
	s_xor_b32 s41, exec_lo, -1
; %bb.831:
	s_or_b32 exec_lo, exec_lo, s59
	s_delay_alu instid0(SALU_CYCLE_1)
	s_and_b32 s41, s41, exec_lo
	s_or_saveexec_b32 s58, s58
	v_mov_b64_e32 v[4:5], 0x7ff8000020000000
	s_xor_b32 exec_lo, exec_lo, s58
	s_cbranch_execz .LBB143_736
.LBB143_832:
	v_cmp_ne_u16_e32 vcc_lo, 0, v6
	v_mov_b64_e32 v[4:5], 0
	s_and_not1_b32 s41, s41, exec_lo
	s_and_b32 s59, vcc_lo, exec_lo
	s_delay_alu instid0(SALU_CYCLE_1)
	s_or_b32 s41, s41, s59
	s_or_b32 exec_lo, exec_lo, s58
	s_and_saveexec_b32 s58, s41
	s_cbranch_execnz .LBB143_737
	s_branch .LBB143_738
.LBB143_833:
	s_mov_b32 s58, -1
	s_mov_b32 s41, 0
	s_mov_b32 s40, s54
	s_branch .LBB143_837
.LBB143_834:
	v_bfe_u32 v7, v6, 20, 1
	s_mov_b32 s55, exec_lo
	s_delay_alu instid0(VALU_DEP_1) | instskip(NEXT) | instid1(VALU_DEP_1)
	v_add3_u32 v7, v6, v7, 0x487ffff
	v_lshrrev_b32_e32 v7, 20, v7
	s_and_not1_saveexec_b32 s56, s56
	s_cbranch_execz .LBB143_446
.LBB143_835:
	v_add_f32_e64 v7, 0x46000000, |v6|
	s_and_not1_b32 s55, s55, exec_lo
	s_delay_alu instid0(VALU_DEP_1) | instskip(NEXT) | instid1(VALU_DEP_1)
	v_and_b32_e32 v7, 0xff, v7
	v_cmp_ne_u32_e32 vcc_lo, 0, v7
	s_and_b32 s58, vcc_lo, exec_lo
	s_delay_alu instid0(SALU_CYCLE_1)
	s_or_b32 s55, s55, s58
	s_or_b32 exec_lo, exec_lo, s56
	v_mov_b32_e32 v8, 0
	s_and_saveexec_b32 s56, s55
	s_cbranch_execnz .LBB143_447
	s_branch .LBB143_448
.LBB143_836:
	s_mov_b32 s40, -1
	s_mov_b32 s41, 0
.LBB143_837:
                                        ; implicit-def: $vgpr10_vgpr11
.LBB143_838:
	s_and_b32 vcc_lo, exec_lo, s58
	s_cbranch_vccz .LBB143_843
; %bb.839:
	s_cmp_eq_u32 s0, 44
	s_cbranch_scc0 .LBB143_841
; %bb.840:
	global_load_u8 v10, v[16:17], off
	s_mov_b32 s40, 0
	s_mov_b32 s41, -1
	s_wait_loadcnt 0x0
	v_cmp_ne_u32_e32 vcc_lo, 0xff, v10
	v_lshlrev_b32_e32 v8, 23, v10
	s_delay_alu instid0(VALU_DEP_1) | instskip(NEXT) | instid1(VALU_DEP_1)
	v_cvt_f64_f32_e32 v[8:9], v8
	v_cndmask_b32_e32 v8, 0x20000000, v8, vcc_lo
	s_delay_alu instid0(VALU_DEP_2) | instskip(SKIP_1) | instid1(VALU_DEP_2)
	v_cndmask_b32_e32 v9, 0x7ff80000, v9, vcc_lo
	v_cmp_ne_u32_e32 vcc_lo, 0, v10
	v_cndmask_b32_e32 v9, 0x38000000, v9, vcc_lo
	s_delay_alu instid0(VALU_DEP_4)
	v_cndmask_b32_e32 v8, 0, v8, vcc_lo
	s_branch .LBB143_842
.LBB143_841:
	s_mov_b32 s40, -1
                                        ; implicit-def: $vgpr8_vgpr9
.LBB143_842:
	s_wait_xcnt 0x0
	v_mov_b64_e32 v[10:11], 0
.LBB143_843:
	s_mov_b32 s58, 0
.LBB143_844:
	s_delay_alu instid0(SALU_CYCLE_1)
	s_and_b32 vcc_lo, exec_lo, s58
	s_cbranch_vccz .LBB143_849
; %bb.845:
	s_cmp_eq_u32 s0, 29
	s_cbranch_scc0 .LBB143_847
; %bb.846:
	global_load_b64 v[8:9], v[16:17], off
	s_mov_b32 s41, -1
	s_mov_b32 s40, 0
	s_wait_loadcnt 0x0
	s_wait_xcnt 0x1
	v_cvt_f64_u32_e32 v[10:11], v9
	v_cvt_f64_u32_e32 v[8:9], v8
	s_delay_alu instid0(VALU_DEP_2) | instskip(NEXT) | instid1(VALU_DEP_1)
	v_ldexp_f64 v[10:11], v[10:11], 32
	v_add_f64_e32 v[8:9], v[10:11], v[8:9]
	s_branch .LBB143_848
.LBB143_847:
	s_mov_b32 s40, -1
                                        ; implicit-def: $vgpr8_vgpr9
.LBB143_848:
	s_wait_xcnt 0x0
	v_mov_b64_e32 v[10:11], 0
.LBB143_849:
	s_mov_b32 s58, 0
.LBB143_850:
	s_delay_alu instid0(SALU_CYCLE_1)
	s_and_b32 vcc_lo, exec_lo, s58
	s_cbranch_vccz .LBB143_866
; %bb.851:
	s_cmp_lt_i32 s0, 27
	s_cbranch_scc1 .LBB143_854
; %bb.852:
	s_cmp_gt_i32 s0, 27
	s_cbranch_scc0 .LBB143_855
; %bb.853:
	global_load_b32 v8, v[16:17], off
	s_mov_b32 s41, 0
	s_wait_loadcnt 0x0
	v_cvt_f64_u32_e32 v[8:9], v8
	s_branch .LBB143_856
.LBB143_854:
	s_mov_b32 s41, -1
                                        ; implicit-def: $vgpr8_vgpr9
	s_branch .LBB143_859
.LBB143_855:
	s_mov_b32 s41, -1
                                        ; implicit-def: $vgpr8_vgpr9
.LBB143_856:
	s_delay_alu instid0(SALU_CYCLE_1)
	s_and_not1_b32 vcc_lo, exec_lo, s41
	s_cbranch_vccnz .LBB143_858
; %bb.857:
	global_load_u16 v8, v[16:17], off
	s_wait_loadcnt 0x0
	v_cvt_f64_u32_e32 v[8:9], v8
.LBB143_858:
	s_mov_b32 s41, 0
.LBB143_859:
	s_delay_alu instid0(SALU_CYCLE_1)
	s_and_not1_b32 vcc_lo, exec_lo, s41
	s_cbranch_vccnz .LBB143_865
; %bb.860:
	global_load_u8 v10, v[16:17], off
	s_mov_b32 s41, 0
	s_mov_b32 s58, exec_lo
	s_wait_loadcnt 0x0
	v_cmpx_lt_i16_e32 0x7f, v10
	s_xor_b32 s58, exec_lo, s58
	s_cbranch_execnz .LBB143_878
; %bb.861:
	s_or_saveexec_b32 s58, s58
	v_mov_b64_e32 v[8:9], 0x7ff8000020000000
	s_xor_b32 exec_lo, exec_lo, s58
	s_cbranch_execnz .LBB143_881
.LBB143_862:
	s_or_b32 exec_lo, exec_lo, s58
	s_and_saveexec_b32 s58, s41
	s_cbranch_execz .LBB143_864
.LBB143_863:
	v_and_b32_e32 v8, 0xffff, v10
	s_delay_alu instid0(VALU_DEP_1) | instskip(SKIP_1) | instid1(VALU_DEP_2)
	v_and_b32_e32 v9, 7, v8
	v_bfe_u32 v15, v8, 3, 4
	v_clz_i32_u32_e32 v11, v9
	s_delay_alu instid0(VALU_DEP_2) | instskip(NEXT) | instid1(VALU_DEP_2)
	v_cmp_eq_u32_e32 vcc_lo, 0, v15
	v_min_u32_e32 v11, 32, v11
	s_delay_alu instid0(VALU_DEP_1) | instskip(NEXT) | instid1(VALU_DEP_1)
	v_subrev_nc_u32_e32 v13, 28, v11
	v_dual_lshlrev_b32 v8, v13, v8 :: v_dual_sub_nc_u32 v11, 29, v11
	s_delay_alu instid0(VALU_DEP_1) | instskip(NEXT) | instid1(VALU_DEP_1)
	v_dual_lshlrev_b32 v10, 24, v10 :: v_dual_bitop2_b32 v8, 7, v8 bitop3:0x40
	v_dual_cndmask_b32 v11, v15, v11 :: v_dual_cndmask_b32 v8, v9, v8
	s_delay_alu instid0(VALU_DEP_2) | instskip(NEXT) | instid1(VALU_DEP_2)
	v_and_b32_e32 v9, 0x80000000, v10
	v_lshl_add_u32 v10, v11, 23, 0x3b800000
	s_delay_alu instid0(VALU_DEP_3) | instskip(NEXT) | instid1(VALU_DEP_1)
	v_lshlrev_b32_e32 v8, 20, v8
	v_or3_b32 v8, v9, v10, v8
	s_delay_alu instid0(VALU_DEP_1)
	v_cvt_f64_f32_e32 v[8:9], v8
.LBB143_864:
	s_or_b32 exec_lo, exec_lo, s58
.LBB143_865:
	s_wait_xcnt 0x0
	v_mov_b64_e32 v[10:11], 0
	s_mov_b32 s41, -1
.LBB143_866:
	s_mov_b32 s58, 0
.LBB143_867:
	s_delay_alu instid0(SALU_CYCLE_1)
	s_and_b32 vcc_lo, exec_lo, s58
	s_cbranch_vccz .LBB143_901
; %bb.868:
	s_cmp_gt_i32 s0, 22
	s_cbranch_scc0 .LBB143_876
; %bb.869:
	s_cmp_lt_i32 s0, 24
	s_cbranch_scc1 .LBB143_877
; %bb.870:
	s_cmp_gt_i32 s0, 24
	s_cbranch_scc0 .LBB143_882
; %bb.871:
	global_load_u8 v10, v[16:17], off
	s_mov_b32 s41, 0
	s_mov_b32 s58, exec_lo
	s_wait_loadcnt 0x0
	v_cmpx_lt_i16_e32 0x7f, v10
	s_xor_b32 s58, exec_lo, s58
	s_cbranch_execnz .LBB143_966
; %bb.872:
	s_or_saveexec_b32 s58, s58
	v_mov_b64_e32 v[8:9], 0x7ff8000020000000
	s_xor_b32 exec_lo, exec_lo, s58
	s_cbranch_execnz .LBB143_969
.LBB143_873:
	s_or_b32 exec_lo, exec_lo, s58
	s_and_saveexec_b32 s58, s41
	s_cbranch_execz .LBB143_875
.LBB143_874:
	v_and_b32_e32 v8, 0xffff, v10
	s_delay_alu instid0(VALU_DEP_1) | instskip(SKIP_1) | instid1(VALU_DEP_2)
	v_and_b32_e32 v9, 3, v8
	v_bfe_u32 v15, v8, 2, 5
	v_clz_i32_u32_e32 v11, v9
	s_delay_alu instid0(VALU_DEP_2) | instskip(NEXT) | instid1(VALU_DEP_2)
	v_cmp_eq_u32_e32 vcc_lo, 0, v15
	v_min_u32_e32 v11, 32, v11
	s_delay_alu instid0(VALU_DEP_1) | instskip(NEXT) | instid1(VALU_DEP_1)
	v_subrev_nc_u32_e32 v13, 29, v11
	v_dual_lshlrev_b32 v8, v13, v8 :: v_dual_sub_nc_u32 v11, 30, v11
	s_delay_alu instid0(VALU_DEP_1) | instskip(NEXT) | instid1(VALU_DEP_1)
	v_dual_lshlrev_b32 v10, 24, v10 :: v_dual_bitop2_b32 v8, 3, v8 bitop3:0x40
	v_dual_cndmask_b32 v11, v15, v11 :: v_dual_cndmask_b32 v8, v9, v8
	s_delay_alu instid0(VALU_DEP_2) | instskip(NEXT) | instid1(VALU_DEP_2)
	v_and_b32_e32 v9, 0x80000000, v10
	v_lshl_add_u32 v10, v11, 23, 0x37800000
	s_delay_alu instid0(VALU_DEP_3) | instskip(NEXT) | instid1(VALU_DEP_1)
	v_lshlrev_b32_e32 v8, 21, v8
	v_or3_b32 v8, v9, v10, v8
	s_delay_alu instid0(VALU_DEP_1)
	v_cvt_f64_f32_e32 v[8:9], v8
.LBB143_875:
	s_or_b32 exec_lo, exec_lo, s58
	s_mov_b32 s41, 0
	s_branch .LBB143_883
.LBB143_876:
	s_mov_b32 s58, -1
                                        ; implicit-def: $vgpr8_vgpr9
	s_branch .LBB143_889
.LBB143_877:
	s_mov_b32 s41, -1
                                        ; implicit-def: $vgpr8_vgpr9
	s_branch .LBB143_886
.LBB143_878:
	s_mov_b32 s41, -1
	s_mov_b32 s59, exec_lo
	v_cmpx_eq_u16_e32 0x80, v10
; %bb.879:
	s_xor_b32 s41, exec_lo, -1
; %bb.880:
	s_or_b32 exec_lo, exec_lo, s59
	s_delay_alu instid0(SALU_CYCLE_1)
	s_and_b32 s41, s41, exec_lo
	s_or_saveexec_b32 s58, s58
	v_mov_b64_e32 v[8:9], 0x7ff8000020000000
	s_xor_b32 exec_lo, exec_lo, s58
	s_cbranch_execz .LBB143_862
.LBB143_881:
	v_cmp_ne_u16_e32 vcc_lo, 0, v10
	v_mov_b64_e32 v[8:9], 0
	s_and_not1_b32 s41, s41, exec_lo
	s_and_b32 s59, vcc_lo, exec_lo
	s_delay_alu instid0(SALU_CYCLE_1)
	s_or_b32 s41, s41, s59
	s_or_b32 exec_lo, exec_lo, s58
	s_and_saveexec_b32 s58, s41
	s_cbranch_execnz .LBB143_863
	s_branch .LBB143_864
.LBB143_882:
	s_mov_b32 s41, -1
                                        ; implicit-def: $vgpr8_vgpr9
.LBB143_883:
	s_delay_alu instid0(SALU_CYCLE_1)
	s_and_b32 vcc_lo, exec_lo, s41
	s_cbranch_vccz .LBB143_885
; %bb.884:
	global_load_u8 v8, v[16:17], off
	s_wait_loadcnt 0x0
	v_lshlrev_b32_e32 v8, 24, v8
	s_delay_alu instid0(VALU_DEP_1) | instskip(SKIP_1) | instid1(VALU_DEP_1)
	v_and_b32_e32 v9, 0x7f000000, v8
	s_wait_xcnt 0x1
	v_clz_i32_u32_e32 v10, v9
	v_add_nc_u32_e32 v13, 0x1000000, v9
	v_cmp_ne_u32_e32 vcc_lo, 0, v9
	s_delay_alu instid0(VALU_DEP_3) | instskip(NEXT) | instid1(VALU_DEP_1)
	v_min_u32_e32 v10, 32, v10
	v_sub_nc_u32_e64 v10, v10, 4 clamp
	s_delay_alu instid0(VALU_DEP_1) | instskip(NEXT) | instid1(VALU_DEP_1)
	v_dual_lshlrev_b32 v11, v10, v9 :: v_dual_lshlrev_b32 v10, 23, v10
	v_lshrrev_b32_e32 v11, 4, v11
	s_delay_alu instid0(VALU_DEP_1) | instskip(NEXT) | instid1(VALU_DEP_1)
	v_dual_sub_nc_u32 v10, v11, v10 :: v_dual_ashrrev_i32 v11, 8, v13
	v_add_nc_u32_e32 v10, 0x3c000000, v10
	s_delay_alu instid0(VALU_DEP_1) | instskip(NEXT) | instid1(VALU_DEP_1)
	v_and_or_b32 v10, 0x7f800000, v11, v10
	v_cndmask_b32_e32 v9, 0, v10, vcc_lo
	s_delay_alu instid0(VALU_DEP_1) | instskip(NEXT) | instid1(VALU_DEP_1)
	v_and_or_b32 v8, 0x80000000, v8, v9
	v_cvt_f64_f32_e32 v[8:9], v8
.LBB143_885:
	s_mov_b32 s41, 0
.LBB143_886:
	s_delay_alu instid0(SALU_CYCLE_1)
	s_and_not1_b32 vcc_lo, exec_lo, s41
	s_cbranch_vccnz .LBB143_888
; %bb.887:
	global_load_u8 v8, v[16:17], off
	s_wait_loadcnt 0x0
	v_lshlrev_b32_e32 v9, 25, v8
	v_lshlrev_b16 v8, 8, v8
	s_wait_xcnt 0x1
	s_delay_alu instid0(VALU_DEP_1) | instskip(SKIP_1) | instid1(VALU_DEP_2)
	v_and_or_b32 v11, 0x7f00, v8, 0.5
	v_bfe_i32 v8, v8, 0, 16
	v_dual_add_f32 v11, -0.5, v11 :: v_dual_lshrrev_b32 v10, 4, v9
	v_cmp_gt_u32_e32 vcc_lo, 0x8000000, v9
	s_delay_alu instid0(VALU_DEP_2) | instskip(NEXT) | instid1(VALU_DEP_1)
	v_or_b32_e32 v10, 0x70000000, v10
	v_mul_f32_e32 v10, 0x7800000, v10
	s_delay_alu instid0(VALU_DEP_1) | instskip(NEXT) | instid1(VALU_DEP_1)
	v_cndmask_b32_e32 v9, v10, v11, vcc_lo
	v_and_or_b32 v8, 0x80000000, v8, v9
	s_delay_alu instid0(VALU_DEP_1)
	v_cvt_f64_f32_e32 v[8:9], v8
.LBB143_888:
	s_mov_b32 s58, 0
	s_mov_b32 s41, -1
.LBB143_889:
	s_and_not1_b32 vcc_lo, exec_lo, s58
	s_cbranch_vccnz .LBB143_900
; %bb.890:
	s_cmp_gt_i32 s0, 14
	s_cbranch_scc0 .LBB143_893
; %bb.891:
	s_cmp_eq_u32 s0, 15
	s_cbranch_scc0 .LBB143_894
; %bb.892:
	global_load_u16 v8, v[16:17], off
	s_mov_b32 s41, -1
	s_mov_b32 s40, 0
	s_wait_loadcnt 0x0
	v_lshlrev_b32_e32 v8, 16, v8
	s_delay_alu instid0(VALU_DEP_1)
	v_cvt_f64_f32_e32 v[8:9], v8
	s_branch .LBB143_895
.LBB143_893:
	s_mov_b32 s58, -1
                                        ; implicit-def: $vgpr8_vgpr9
	s_branch .LBB143_896
.LBB143_894:
	s_mov_b32 s40, -1
                                        ; implicit-def: $vgpr8_vgpr9
.LBB143_895:
	s_mov_b32 s58, 0
.LBB143_896:
	s_delay_alu instid0(SALU_CYCLE_1)
	s_and_b32 vcc_lo, exec_lo, s58
	s_cbranch_vccz .LBB143_900
; %bb.897:
	s_cmp_eq_u32 s0, 11
	s_cbranch_scc0 .LBB143_899
; %bb.898:
	global_load_u8 v8, v[16:17], off
	s_mov_b32 s40, 0
	s_mov_b32 s41, -1
	s_wait_xcnt 0x1
	v_mov_b64_e32 v[10:11], 0
	s_wait_loadcnt 0x0
	v_cmp_ne_u16_e32 vcc_lo, 0, v8
	v_mov_b32_e32 v8, 0
	v_cndmask_b32_e64 v9, 0, 0x3ff00000, vcc_lo
	s_branch .LBB143_901
.LBB143_899:
	s_mov_b32 s40, -1
                                        ; implicit-def: $vgpr8_vgpr9
.LBB143_900:
	s_wait_xcnt 0x0
	v_mov_b64_e32 v[10:11], 0
.LBB143_901:
	s_mov_b32 s58, 0
.LBB143_902:
	s_delay_alu instid0(SALU_CYCLE_1)
	s_and_b32 vcc_lo, exec_lo, s58
	s_cbranch_vccz .LBB143_953
; %bb.903:
	s_cmp_lt_i32 s0, 5
	s_cbranch_scc1 .LBB143_908
; %bb.904:
	s_cmp_lt_i32 s0, 8
	s_cbranch_scc1 .LBB143_909
; %bb.905:
	s_cmp_lt_i32 s0, 9
	s_cbranch_scc1 .LBB143_910
; %bb.906:
	s_cmp_gt_i32 s0, 9
	s_cbranch_scc0 .LBB143_911
; %bb.907:
	global_load_b128 v[8:11], v[16:17], off
	s_mov_b32 s41, 0
	s_branch .LBB143_912
.LBB143_908:
	s_mov_b32 s41, -1
                                        ; implicit-def: $vgpr10_vgpr11
	s_branch .LBB143_931
.LBB143_909:
	s_mov_b32 s41, -1
                                        ; implicit-def: $vgpr10_vgpr11
	s_branch .LBB143_918
.LBB143_910:
	s_mov_b32 s41, -1
                                        ; implicit-def: $vgpr10_vgpr11
	s_branch .LBB143_915
.LBB143_911:
	s_mov_b32 s41, -1
                                        ; implicit-def: $vgpr10_vgpr11
.LBB143_912:
	s_delay_alu instid0(SALU_CYCLE_1)
	s_and_not1_b32 vcc_lo, exec_lo, s41
	s_cbranch_vccnz .LBB143_914
; %bb.913:
	s_wait_loadcnt 0x0
	global_load_b64 v[10:11], v[16:17], off
	s_wait_loadcnt 0x0
	v_cvt_f64_f32_e32 v[8:9], v10
	v_cvt_f64_f32_e32 v[10:11], v11
.LBB143_914:
	s_mov_b32 s41, 0
.LBB143_915:
	s_delay_alu instid0(SALU_CYCLE_1)
	s_and_not1_b32 vcc_lo, exec_lo, s41
	s_cbranch_vccnz .LBB143_917
; %bb.916:
	s_wait_loadcnt 0x0
	global_load_b32 v8, v[16:17], off
	s_wait_loadcnt 0x0
	v_lshrrev_b32_e32 v9, 16, v8
	v_cvt_f32_f16_e32 v8, v8
	s_wait_xcnt 0x1
	s_delay_alu instid0(VALU_DEP_2) | instskip(NEXT) | instid1(VALU_DEP_2)
	v_cvt_f32_f16_e32 v10, v9
	v_cvt_f64_f32_e32 v[8:9], v8
	s_delay_alu instid0(VALU_DEP_2)
	v_cvt_f64_f32_e32 v[10:11], v10
.LBB143_917:
	s_mov_b32 s41, 0
.LBB143_918:
	s_delay_alu instid0(SALU_CYCLE_1)
	s_and_not1_b32 vcc_lo, exec_lo, s41
	s_cbranch_vccnz .LBB143_930
; %bb.919:
	s_cmp_lt_i32 s0, 6
	s_cbranch_scc1 .LBB143_922
; %bb.920:
	s_cmp_gt_i32 s0, 6
	s_cbranch_scc0 .LBB143_923
; %bb.921:
	s_wait_loadcnt 0x0
	global_load_b64 v[8:9], v[16:17], off
	s_mov_b32 s41, 0
	s_branch .LBB143_924
.LBB143_922:
	s_mov_b32 s41, -1
                                        ; implicit-def: $vgpr8_vgpr9
	s_branch .LBB143_927
.LBB143_923:
	s_mov_b32 s41, -1
                                        ; implicit-def: $vgpr8_vgpr9
.LBB143_924:
	s_delay_alu instid0(SALU_CYCLE_1)
	s_and_not1_b32 vcc_lo, exec_lo, s41
	s_cbranch_vccnz .LBB143_926
; %bb.925:
	s_wait_loadcnt 0x0
	global_load_b32 v8, v[16:17], off
	s_wait_loadcnt 0x0
	v_cvt_f64_f32_e32 v[8:9], v8
.LBB143_926:
	s_mov_b32 s41, 0
.LBB143_927:
	s_delay_alu instid0(SALU_CYCLE_1)
	s_and_not1_b32 vcc_lo, exec_lo, s41
	s_cbranch_vccnz .LBB143_929
; %bb.928:
	s_wait_loadcnt 0x0
	global_load_u16 v8, v[16:17], off
	s_wait_loadcnt 0x0
	v_cvt_f32_f16_e32 v8, v8
	s_delay_alu instid0(VALU_DEP_1)
	v_cvt_f64_f32_e32 v[8:9], v8
.LBB143_929:
	s_wait_loadcnt 0x0
	v_mov_b64_e32 v[10:11], 0
.LBB143_930:
	s_mov_b32 s41, 0
.LBB143_931:
	s_delay_alu instid0(SALU_CYCLE_1)
	s_and_not1_b32 vcc_lo, exec_lo, s41
	s_cbranch_vccnz .LBB143_952
; %bb.932:
	s_cmp_lt_i32 s0, 2
	s_cbranch_scc1 .LBB143_936
; %bb.933:
	s_cmp_lt_i32 s0, 3
	s_cbranch_scc1 .LBB143_937
; %bb.934:
	s_cmp_gt_i32 s0, 3
	s_cbranch_scc0 .LBB143_938
; %bb.935:
	s_wait_loadcnt 0x0
	global_load_b64 v[8:9], v[16:17], off
	s_mov_b32 s41, 0
	s_wait_loadcnt 0x0
	s_wait_xcnt 0x1
	v_cvt_f64_i32_e32 v[10:11], v9
	v_cvt_f64_u32_e32 v[8:9], v8
	s_delay_alu instid0(VALU_DEP_2) | instskip(NEXT) | instid1(VALU_DEP_1)
	v_ldexp_f64 v[10:11], v[10:11], 32
	v_add_f64_e32 v[8:9], v[10:11], v[8:9]
	s_branch .LBB143_939
.LBB143_936:
	s_mov_b32 s41, -1
                                        ; implicit-def: $vgpr8_vgpr9
	s_branch .LBB143_945
.LBB143_937:
	s_mov_b32 s41, -1
                                        ; implicit-def: $vgpr8_vgpr9
	s_branch .LBB143_942
.LBB143_938:
	s_mov_b32 s41, -1
                                        ; implicit-def: $vgpr8_vgpr9
.LBB143_939:
	s_delay_alu instid0(SALU_CYCLE_1)
	s_and_not1_b32 vcc_lo, exec_lo, s41
	s_cbranch_vccnz .LBB143_941
; %bb.940:
	s_wait_loadcnt 0x0
	global_load_b32 v8, v[16:17], off
	s_wait_loadcnt 0x0
	v_cvt_f64_i32_e32 v[8:9], v8
.LBB143_941:
	s_mov_b32 s41, 0
.LBB143_942:
	s_delay_alu instid0(SALU_CYCLE_1)
	s_and_not1_b32 vcc_lo, exec_lo, s41
	s_cbranch_vccnz .LBB143_944
; %bb.943:
	s_wait_loadcnt 0x0
	global_load_i16 v8, v[16:17], off
	s_wait_loadcnt 0x0
	v_cvt_f64_i32_e32 v[8:9], v8
.LBB143_944:
	s_mov_b32 s41, 0
.LBB143_945:
	s_delay_alu instid0(SALU_CYCLE_1)
	s_and_not1_b32 vcc_lo, exec_lo, s41
	s_cbranch_vccnz .LBB143_951
; %bb.946:
	s_cmp_gt_i32 s0, 0
	s_mov_b32 s0, 0
	s_cbranch_scc0 .LBB143_948
; %bb.947:
	s_wait_loadcnt 0x0
	global_load_i8 v8, v[16:17], off
	s_wait_loadcnt 0x0
	v_cvt_f64_i32_e32 v[8:9], v8
	s_branch .LBB143_949
.LBB143_948:
	s_mov_b32 s0, -1
                                        ; implicit-def: $vgpr8_vgpr9
.LBB143_949:
	s_delay_alu instid0(SALU_CYCLE_1)
	s_and_not1_b32 vcc_lo, exec_lo, s0
	s_cbranch_vccnz .LBB143_951
; %bb.950:
	s_wait_loadcnt 0x0
	global_load_u8 v8, v[16:17], off
	s_wait_loadcnt 0x0
	v_cvt_f64_u32_e32 v[8:9], v8
.LBB143_951:
	s_wait_loadcnt 0x0
	v_mov_b64_e32 v[10:11], 0
.LBB143_952:
	s_mov_b32 s41, -1
.LBB143_953:
	s_delay_alu instid0(SALU_CYCLE_1)
	s_and_not1_b32 vcc_lo, exec_lo, s41
	s_cbranch_vccnz .LBB143_961
; %bb.954:
	s_wait_loadcnt 0x0
	s_delay_alu instid0(VALU_DEP_3) | instskip(NEXT) | instid1(VALU_DEP_4)
	v_dual_mul_f64 v[16:17], s[18:19], v[4:5] :: v_dual_mov_b32 v15, 0
	v_mul_f64_e32 v[18:19], s[18:19], v[6:7]
	v_mul_f64_e32 v[20:21], s[14:15], v[0:1]
	s_and_b32 s41, s46, 0xff
	s_delay_alu instid0(SALU_CYCLE_1) | instskip(NEXT) | instid1(VALU_DEP_3)
	s_cmp_lt_i32 s41, 11
	v_fmac_f64_e32 v[16:17], s[16:17], v[6:7]
	v_mul_f64_e32 v[6:7], s[14:15], v[2:3]
	s_delay_alu instid0(VALU_DEP_4) | instskip(NEXT) | instid1(VALU_DEP_4)
	v_fma_f64 v[4:5], v[4:5], s[16:17], -v[18:19]
	v_fmac_f64_e32 v[20:21], s[12:13], v[2:3]
	s_delay_alu instid0(VALU_DEP_4) | instskip(SKIP_2) | instid1(VALU_DEP_3)
	v_mul_f64_e32 v[18:19], v[10:11], v[16:17]
	v_mul_f64_e32 v[16:17], v[8:9], v[16:17]
	v_fma_f64 v[0:1], v[0:1], s[12:13], -v[6:7]
	v_fma_f64 v[2:3], v[8:9], v[4:5], -v[18:19]
	s_delay_alu instid0(VALU_DEP_3) | instskip(SKIP_1) | instid1(VALU_DEP_3)
	v_fmac_f64_e32 v[16:17], v[10:11], v[4:5]
	v_add_nc_u64_e32 v[4:5], s[4:5], v[14:15]
	v_add_f64_e32 v[0:1], v[0:1], v[2:3]
	s_delay_alu instid0(VALU_DEP_3)
	v_add_f64_e32 v[2:3], v[20:21], v[16:17]
	s_cbranch_scc1 .LBB143_962
; %bb.955:
	s_and_b32 s58, 0xffff, s41
	s_delay_alu instid0(SALU_CYCLE_1)
	s_cmp_gt_i32 s58, 25
	s_cbranch_scc0 .LBB143_963
; %bb.956:
	s_cmp_gt_i32 s58, 28
	s_cbranch_scc0 .LBB143_964
; %bb.957:
	;; [unrolled: 3-line block ×4, first 2 shown]
	s_mov_b32 s60, 0
	s_mov_b32 s0, -1
	s_cmp_eq_u32 s58, 46
	s_mov_b32 s59, 0
	s_cbranch_scc0 .LBB143_971
; %bb.960:
	s_delay_alu instid0(VALU_DEP_1) | instskip(NEXT) | instid1(VALU_DEP_3)
	v_cvt_f32_f64_e32 v6, v[2:3]
	v_cvt_f32_f64_e32 v7, v[0:1]
	s_mov_b32 s59, -1
	s_mov_b32 s0, 0
	s_delay_alu instid0(VALU_DEP_2) | instskip(NEXT) | instid1(VALU_DEP_2)
	v_bfe_u32 v8, v6, 16, 1
	v_bfe_u32 v9, v7, 16, 1
	v_cmp_o_f32_e32 vcc_lo, v6, v6
	s_delay_alu instid0(VALU_DEP_3) | instskip(NEXT) | instid1(VALU_DEP_3)
	v_add3_u32 v8, v6, v8, 0x7fff
	v_add3_u32 v9, v7, v9, 0x7fff
	s_delay_alu instid0(VALU_DEP_2) | instskip(NEXT) | instid1(VALU_DEP_1)
	v_and_b32_e32 v8, 0xffff0000, v8
	v_dual_cndmask_b32 v6, 0x7fc00000, v8 :: v_dual_lshrrev_b32 v9, 16, v9
	v_cmp_o_f32_e32 vcc_lo, v7, v7
	s_delay_alu instid0(VALU_DEP_2) | instskip(NEXT) | instid1(VALU_DEP_1)
	v_cndmask_b32_e32 v7, 0x7fc0, v9, vcc_lo
	v_or_b32_e32 v6, v6, v7
	global_store_b32 v[4:5], v6, off
	s_branch .LBB143_971
.LBB143_961:
	s_mov_b32 s41, 0
	s_mov_b32 s0, s53
	s_branch .LBB143_1082
.LBB143_962:
	s_mov_b32 s58, -1
	s_mov_b32 s59, 0
	s_mov_b32 s0, s53
	s_branch .LBB143_1040
.LBB143_963:
	s_mov_b32 s60, -1
	s_mov_b32 s59, 0
	s_mov_b32 s0, s53
	s_branch .LBB143_998
.LBB143_964:
	s_mov_b32 s60, -1
	s_mov_b32 s59, 0
	s_mov_b32 s0, s53
	s_branch .LBB143_981
.LBB143_965:
	s_mov_b32 s60, -1
	s_mov_b32 s59, 0
	s_mov_b32 s0, s53
	s_branch .LBB143_977
.LBB143_966:
	s_mov_b32 s41, -1
	s_mov_b32 s59, exec_lo
	v_cmpx_eq_u16_e32 0x80, v10
; %bb.967:
	s_xor_b32 s41, exec_lo, -1
; %bb.968:
	s_or_b32 exec_lo, exec_lo, s59
	s_delay_alu instid0(SALU_CYCLE_1)
	s_and_b32 s41, s41, exec_lo
	s_or_saveexec_b32 s58, s58
	v_mov_b64_e32 v[8:9], 0x7ff8000020000000
	s_xor_b32 exec_lo, exec_lo, s58
	s_cbranch_execz .LBB143_873
.LBB143_969:
	v_cmp_ne_u16_e32 vcc_lo, 0, v10
	v_mov_b64_e32 v[8:9], 0
	s_and_not1_b32 s41, s41, exec_lo
	s_and_b32 s59, vcc_lo, exec_lo
	s_delay_alu instid0(SALU_CYCLE_1)
	s_or_b32 s41, s41, s59
	s_or_b32 exec_lo, exec_lo, s58
	s_and_saveexec_b32 s58, s41
	s_cbranch_execnz .LBB143_874
	s_branch .LBB143_875
.LBB143_970:
	s_mov_b32 s60, -1
	s_mov_b32 s59, 0
	s_mov_b32 s0, s53
.LBB143_971:
	s_and_b32 vcc_lo, exec_lo, s60
	s_cbranch_vccz .LBB143_976
; %bb.972:
	s_cmp_eq_u32 s58, 44
	s_mov_b32 s0, -1
	s_cbranch_scc0 .LBB143_976
; %bb.973:
	s_wait_xcnt 0x0
	s_delay_alu instid0(VALU_DEP_2) | instskip(SKIP_2) | instid1(VALU_DEP_2)
	v_cvt_f32_f64_e32 v6, v[0:1]
	v_mov_b32_e32 v7, 0xff
	s_mov_b32 s59, exec_lo
	v_bfe_u32 v8, v6, 23, 8
	s_delay_alu instid0(VALU_DEP_1)
	v_cmpx_ne_u32_e32 0xff, v8
	s_cbranch_execz .LBB143_975
; %bb.974:
	v_and_b32_e32 v7, 0x400000, v6
	v_and_or_b32 v8, 0x3fffff, v6, v8
	v_lshrrev_b32_e32 v6, 23, v6
	s_delay_alu instid0(VALU_DEP_3) | instskip(NEXT) | instid1(VALU_DEP_3)
	v_cmp_ne_u32_e32 vcc_lo, 0, v7
	v_cmp_ne_u32_e64 s0, 0, v8
	s_and_b32 s0, vcc_lo, s0
	s_delay_alu instid0(SALU_CYCLE_1) | instskip(NEXT) | instid1(VALU_DEP_1)
	v_cndmask_b32_e64 v7, 0, 1, s0
	v_add_nc_u32_e32 v7, v6, v7
.LBB143_975:
	s_or_b32 exec_lo, exec_lo, s59
	s_mov_b32 s59, -1
	s_mov_b32 s0, 0
	global_store_b8 v[4:5], v7, off
.LBB143_976:
	s_mov_b32 s60, 0
.LBB143_977:
	s_delay_alu instid0(SALU_CYCLE_1)
	s_and_b32 vcc_lo, exec_lo, s60
	s_cbranch_vccz .LBB143_980
; %bb.978:
	s_cmp_eq_u32 s58, 29
	s_mov_b32 s0, -1
	s_cbranch_scc0 .LBB143_980
; %bb.979:
	s_wait_xcnt 0x0
	s_delay_alu instid0(VALU_DEP_2) | instskip(SKIP_3) | instid1(VALU_DEP_1)
	v_trunc_f64_e32 v[6:7], v[0:1]
	s_mov_b32 s59, -1
	s_mov_b32 s0, 0
	s_mov_b32 s60, 0
	v_ldexp_f64 v[8:9], v[6:7], 0xffffffe0
	s_delay_alu instid0(VALU_DEP_1) | instskip(NEXT) | instid1(VALU_DEP_1)
	v_floor_f64_e32 v[8:9], v[8:9]
	v_fmamk_f64 v[6:7], v[8:9], 0xc1f00000, v[6:7]
	v_cvt_u32_f64_e32 v9, v[8:9]
	s_delay_alu instid0(VALU_DEP_2)
	v_cvt_u32_f64_e32 v8, v[6:7]
	global_store_b64 v[4:5], v[8:9], off
	s_branch .LBB143_981
.LBB143_980:
	s_mov_b32 s60, 0
.LBB143_981:
	s_delay_alu instid0(SALU_CYCLE_1)
	s_and_b32 vcc_lo, exec_lo, s60
	s_cbranch_vccz .LBB143_997
; %bb.982:
	s_cmp_lt_i32 s58, 27
	s_mov_b32 s59, -1
	s_cbranch_scc1 .LBB143_988
; %bb.983:
	s_cmp_gt_i32 s58, 27
	s_cbranch_scc0 .LBB143_985
; %bb.984:
	s_wait_xcnt 0x0
	s_delay_alu instid0(VALU_DEP_2)
	v_cvt_u32_f64_e32 v6, v[0:1]
	s_mov_b32 s59, 0
	global_store_b32 v[4:5], v6, off
.LBB143_985:
	s_and_not1_b32 vcc_lo, exec_lo, s59
	s_cbranch_vccnz .LBB143_987
; %bb.986:
	s_wait_xcnt 0x0
	s_delay_alu instid0(VALU_DEP_2)
	v_cvt_u32_f64_e32 v6, v[0:1]
	global_store_b16 v[4:5], v6, off
.LBB143_987:
	s_mov_b32 s59, 0
.LBB143_988:
	s_delay_alu instid0(SALU_CYCLE_1)
	s_and_not1_b32 vcc_lo, exec_lo, s59
	s_cbranch_vccnz .LBB143_996
; %bb.989:
	s_wait_xcnt 0x0
	s_delay_alu instid0(VALU_DEP_2) | instskip(SKIP_2) | instid1(VALU_DEP_2)
	v_cvt_f32_f64_e32 v6, v[0:1]
	v_mov_b32_e32 v8, 0x80
	s_mov_b32 s59, exec_lo
	v_and_b32_e32 v7, 0x7fffffff, v6
	s_delay_alu instid0(VALU_DEP_1)
	v_cmpx_gt_u32_e32 0x43800000, v7
	s_cbranch_execz .LBB143_995
; %bb.990:
	v_cmp_lt_u32_e32 vcc_lo, 0x3bffffff, v7
	s_mov_b32 s60, 0
                                        ; implicit-def: $vgpr7
	s_and_saveexec_b32 s61, vcc_lo
	s_delay_alu instid0(SALU_CYCLE_1)
	s_xor_b32 s61, exec_lo, s61
	s_cbranch_execnz .LBB143_1382
; %bb.991:
	s_and_not1_saveexec_b32 s61, s61
	s_cbranch_execnz .LBB143_1383
.LBB143_992:
	s_or_b32 exec_lo, exec_lo, s61
	v_mov_b32_e32 v8, 0
	s_and_saveexec_b32 s61, s60
.LBB143_993:
	v_lshrrev_b32_e32 v6, 24, v6
	s_delay_alu instid0(VALU_DEP_1)
	v_and_or_b32 v8, 0x80, v6, v7
.LBB143_994:
	s_or_b32 exec_lo, exec_lo, s61
.LBB143_995:
	s_delay_alu instid0(SALU_CYCLE_1)
	s_or_b32 exec_lo, exec_lo, s59
	global_store_b8 v[4:5], v8, off
.LBB143_996:
	s_mov_b32 s59, -1
.LBB143_997:
	s_mov_b32 s60, 0
.LBB143_998:
	s_delay_alu instid0(SALU_CYCLE_1)
	s_and_b32 vcc_lo, exec_lo, s60
	s_cbranch_vccz .LBB143_1039
; %bb.999:
	s_cmp_gt_i32 s58, 22
	s_mov_b32 s60, -1
	s_cbranch_scc0 .LBB143_1031
; %bb.1000:
	s_cmp_lt_i32 s58, 24
	s_mov_b32 s59, -1
	s_cbranch_scc1 .LBB143_1020
; %bb.1001:
	s_cmp_gt_i32 s58, 24
	s_cbranch_scc0 .LBB143_1009
; %bb.1002:
	s_wait_xcnt 0x0
	s_delay_alu instid0(VALU_DEP_2) | instskip(SKIP_2) | instid1(VALU_DEP_2)
	v_cvt_f32_f64_e32 v6, v[0:1]
	v_mov_b32_e32 v8, 0x80
	s_mov_b32 s59, exec_lo
	v_and_b32_e32 v7, 0x7fffffff, v6
	s_delay_alu instid0(VALU_DEP_1)
	v_cmpx_gt_u32_e32 0x47800000, v7
	s_cbranch_execz .LBB143_1008
; %bb.1003:
	v_cmp_lt_u32_e32 vcc_lo, 0x37ffffff, v7
	s_mov_b32 s60, 0
                                        ; implicit-def: $vgpr7
	s_and_saveexec_b32 s61, vcc_lo
	s_delay_alu instid0(SALU_CYCLE_1)
	s_xor_b32 s61, exec_lo, s61
	s_cbranch_execnz .LBB143_3032
; %bb.1004:
	s_and_not1_saveexec_b32 s61, s61
	s_cbranch_execnz .LBB143_3033
.LBB143_1005:
	s_or_b32 exec_lo, exec_lo, s61
	v_mov_b32_e32 v8, 0
	s_and_saveexec_b32 s61, s60
.LBB143_1006:
	v_lshrrev_b32_e32 v6, 24, v6
	s_delay_alu instid0(VALU_DEP_1)
	v_and_or_b32 v8, 0x80, v6, v7
.LBB143_1007:
	s_or_b32 exec_lo, exec_lo, s61
.LBB143_1008:
	s_delay_alu instid0(SALU_CYCLE_1)
	s_or_b32 exec_lo, exec_lo, s59
	s_mov_b32 s59, 0
	global_store_b8 v[4:5], v8, off
.LBB143_1009:
	s_and_b32 vcc_lo, exec_lo, s59
	s_cbranch_vccz .LBB143_1019
; %bb.1010:
	s_wait_xcnt 0x0
	s_delay_alu instid0(VALU_DEP_2) | instskip(SKIP_1) | instid1(VALU_DEP_1)
	v_cvt_f32_f64_e32 v6, v[0:1]
	s_mov_b32 s59, exec_lo
                                        ; implicit-def: $vgpr7
	v_and_b32_e32 v8, 0x7fffffff, v6
	s_delay_alu instid0(VALU_DEP_1)
	v_cmpx_gt_u32_e32 0x43f00000, v8
	s_xor_b32 s59, exec_lo, s59
	s_cbranch_execz .LBB143_1016
; %bb.1011:
	s_mov_b32 s60, exec_lo
                                        ; implicit-def: $vgpr7
	v_cmpx_lt_u32_e32 0x3c7fffff, v8
	s_xor_b32 s60, exec_lo, s60
; %bb.1012:
	v_bfe_u32 v7, v6, 20, 1
	s_delay_alu instid0(VALU_DEP_1) | instskip(NEXT) | instid1(VALU_DEP_1)
	v_add3_u32 v7, v6, v7, 0x407ffff
	v_and_b32_e32 v8, 0xff00000, v7
	v_lshrrev_b32_e32 v7, 20, v7
	s_delay_alu instid0(VALU_DEP_2) | instskip(NEXT) | instid1(VALU_DEP_2)
	v_cmp_ne_u32_e32 vcc_lo, 0x7f00000, v8
	v_cndmask_b32_e32 v7, 0x7e, v7, vcc_lo
; %bb.1013:
	s_and_not1_saveexec_b32 s60, s60
; %bb.1014:
	v_add_f32_e64 v7, 0x46800000, |v6|
; %bb.1015:
	s_or_b32 exec_lo, exec_lo, s60
                                        ; implicit-def: $vgpr8
.LBB143_1016:
	s_and_not1_saveexec_b32 s59, s59
; %bb.1017:
	v_mov_b32_e32 v7, 0x7f
	v_cmp_lt_u32_e32 vcc_lo, 0x7f800000, v8
	s_delay_alu instid0(VALU_DEP_2)
	v_cndmask_b32_e32 v7, 0x7e, v7, vcc_lo
; %bb.1018:
	s_or_b32 exec_lo, exec_lo, s59
	v_lshrrev_b32_e32 v6, 24, v6
	s_delay_alu instid0(VALU_DEP_1)
	v_and_or_b32 v6, 0x80, v6, v7
	global_store_b8 v[4:5], v6, off
.LBB143_1019:
	s_mov_b32 s59, 0
.LBB143_1020:
	s_delay_alu instid0(SALU_CYCLE_1)
	s_and_not1_b32 vcc_lo, exec_lo, s59
	s_cbranch_vccnz .LBB143_1030
; %bb.1021:
	s_wait_xcnt 0x0
	s_delay_alu instid0(VALU_DEP_2) | instskip(SKIP_1) | instid1(VALU_DEP_1)
	v_cvt_f32_f64_e32 v6, v[0:1]
	s_mov_b32 s59, exec_lo
                                        ; implicit-def: $vgpr7
	v_and_b32_e32 v8, 0x7fffffff, v6
	s_delay_alu instid0(VALU_DEP_1)
	v_cmpx_gt_u32_e32 0x47800000, v8
	s_xor_b32 s59, exec_lo, s59
	s_cbranch_execz .LBB143_1027
; %bb.1022:
	s_mov_b32 s60, exec_lo
                                        ; implicit-def: $vgpr7
	v_cmpx_lt_u32_e32 0x387fffff, v8
	s_xor_b32 s60, exec_lo, s60
; %bb.1023:
	v_bfe_u32 v7, v6, 21, 1
	s_delay_alu instid0(VALU_DEP_1) | instskip(NEXT) | instid1(VALU_DEP_1)
	v_add3_u32 v7, v6, v7, 0x80fffff
	v_lshrrev_b32_e32 v7, 21, v7
; %bb.1024:
	s_and_not1_saveexec_b32 s60, s60
; %bb.1025:
	v_add_f32_e64 v7, 0x43000000, |v6|
; %bb.1026:
	s_or_b32 exec_lo, exec_lo, s60
                                        ; implicit-def: $vgpr8
.LBB143_1027:
	s_and_not1_saveexec_b32 s59, s59
; %bb.1028:
	v_mov_b32_e32 v7, 0x7f
	v_cmp_lt_u32_e32 vcc_lo, 0x7f800000, v8
	s_delay_alu instid0(VALU_DEP_2)
	v_cndmask_b32_e32 v7, 0x7c, v7, vcc_lo
; %bb.1029:
	s_or_b32 exec_lo, exec_lo, s59
	v_lshrrev_b32_e32 v6, 24, v6
	s_delay_alu instid0(VALU_DEP_1)
	v_and_or_b32 v6, 0x80, v6, v7
	global_store_b8 v[4:5], v6, off
.LBB143_1030:
	s_mov_b32 s60, 0
	s_mov_b32 s59, -1
.LBB143_1031:
	s_and_not1_b32 vcc_lo, exec_lo, s60
	s_cbranch_vccnz .LBB143_1039
; %bb.1032:
	s_cmp_gt_i32 s58, 14
	s_mov_b32 s60, -1
	s_cbranch_scc0 .LBB143_1036
; %bb.1033:
	s_cmp_eq_u32 s58, 15
	s_mov_b32 s0, -1
	s_cbranch_scc0 .LBB143_1035
; %bb.1034:
	s_wait_xcnt 0x0
	s_delay_alu instid0(VALU_DEP_2) | instskip(SKIP_2) | instid1(VALU_DEP_1)
	v_cvt_f32_f64_e32 v6, v[0:1]
	s_mov_b32 s59, -1
	s_mov_b32 s0, 0
	v_bfe_u32 v7, v6, 16, 1
	v_cmp_o_f32_e32 vcc_lo, v6, v6
	s_delay_alu instid0(VALU_DEP_2) | instskip(NEXT) | instid1(VALU_DEP_1)
	v_add3_u32 v7, v6, v7, 0x7fff
	v_lshrrev_b32_e32 v7, 16, v7
	s_delay_alu instid0(VALU_DEP_1)
	v_cndmask_b32_e32 v6, 0x7fc0, v7, vcc_lo
	global_store_b16 v[4:5], v6, off
.LBB143_1035:
	s_mov_b32 s60, 0
.LBB143_1036:
	s_delay_alu instid0(SALU_CYCLE_1)
	s_and_b32 vcc_lo, exec_lo, s60
	s_cbranch_vccz .LBB143_1039
; %bb.1037:
	s_cmp_eq_u32 s58, 11
	s_mov_b32 s0, -1
	s_cbranch_scc0 .LBB143_1039
; %bb.1038:
	s_delay_alu instid0(VALU_DEP_2) | instskip(NEXT) | instid1(VALU_DEP_2)
	v_cmp_neq_f64_e32 vcc_lo, 0, v[0:1]
	v_cmp_neq_f64_e64 s0, 0, v[2:3]
	s_mov_b32 s59, -1
	s_or_b32 s0, vcc_lo, s0
	s_wait_xcnt 0x0
	v_cndmask_b32_e64 v6, 0, 1, s0
	s_mov_b32 s0, 0
	global_store_b8 v[4:5], v6, off
.LBB143_1039:
	s_mov_b32 s58, 0
.LBB143_1040:
	s_delay_alu instid0(SALU_CYCLE_1)
	s_and_b32 vcc_lo, exec_lo, s58
	s_cbranch_vccz .LBB143_1079
; %bb.1041:
	s_and_b32 s41, 0xffff, s41
	s_mov_b32 s58, -1
	s_cmp_lt_i32 s41, 5
	s_cbranch_scc1 .LBB143_1062
; %bb.1042:
	s_cmp_lt_i32 s41, 8
	s_cbranch_scc1 .LBB143_1052
; %bb.1043:
	;; [unrolled: 3-line block ×3, first 2 shown]
	s_cmp_gt_i32 s41, 9
	s_cbranch_scc0 .LBB143_1046
; %bb.1045:
	s_mov_b32 s58, 0
	global_store_b128 v[4:5], v[0:3], off
.LBB143_1046:
	s_and_not1_b32 vcc_lo, exec_lo, s58
	s_cbranch_vccnz .LBB143_1048
; %bb.1047:
	s_wait_xcnt 0x0
	s_delay_alu instid0(VALU_DEP_2) | instskip(NEXT) | instid1(VALU_DEP_2)
	v_cvt_f32_f64_e32 v6, v[0:1]
	v_cvt_f32_f64_e32 v7, v[2:3]
	global_store_b64 v[4:5], v[6:7], off
.LBB143_1048:
	s_mov_b32 s58, 0
.LBB143_1049:
	s_delay_alu instid0(SALU_CYCLE_1)
	s_and_not1_b32 vcc_lo, exec_lo, s58
	s_cbranch_vccnz .LBB143_1051
; %bb.1050:
	s_wait_xcnt 0x0
	s_delay_alu instid0(VALU_DEP_2) | instskip(NEXT) | instid1(VALU_DEP_2)
	v_and_or_b32 v6, 0x1ff, v1, v0
	v_and_or_b32 v2, 0x1ff, v3, v2
	v_dual_lshrrev_b32 v7, 8, v1 :: v_dual_lshrrev_b32 v10, 8, v3
	v_bfe_u32 v8, v1, 20, 11
	s_delay_alu instid0(VALU_DEP_4) | instskip(SKIP_2) | instid1(VALU_DEP_4)
	v_cmp_ne_u32_e32 vcc_lo, 0, v6
	v_bfe_u32 v9, v3, 20, 11
	v_dual_lshrrev_b32 v17, 16, v1 :: v_dual_lshrrev_b32 v3, 16, v3
	v_sub_nc_u32_e32 v11, 0x3f1, v8
	v_cndmask_b32_e64 v6, 0, 1, vcc_lo
	v_cmp_ne_u32_e32 vcc_lo, 0, v2
	v_add_nc_u32_e32 v8, 0xfffffc10, v8
	s_delay_alu instid0(VALU_DEP_3) | instskip(SKIP_1) | instid1(VALU_DEP_1)
	v_and_or_b32 v6, 0xffe, v7, v6
	v_cndmask_b32_e64 v2, 0, 1, vcc_lo
	v_and_or_b32 v2, 0xffe, v10, v2
	v_med3_i32 v10, v11, 0, 13
	s_delay_alu instid0(VALU_DEP_4) | instskip(NEXT) | instid1(VALU_DEP_3)
	v_or_b32_e32 v11, 0x1000, v6
	v_or_b32_e32 v13, 0x1000, v2
	s_delay_alu instid0(VALU_DEP_2) | instskip(NEXT) | instid1(VALU_DEP_1)
	v_lshrrev_b32_e32 v14, v10, v11
	v_lshlrev_b32_e32 v10, v10, v14
	s_delay_alu instid0(VALU_DEP_1) | instskip(SKIP_2) | instid1(VALU_DEP_1)
	v_cmp_ne_u32_e32 vcc_lo, v10, v11
	v_lshl_or_b32 v11, v8, 12, v6
	v_cndmask_b32_e64 v10, 0, 1, vcc_lo
	v_or_b32_e32 v10, v14, v10
	v_sub_nc_u32_e32 v7, 0x3f1, v9
	v_add_nc_u32_e32 v9, 0xfffffc10, v9
	v_mov_b32_e32 v14, 0x7e00
	s_delay_alu instid0(VALU_DEP_3) | instskip(NEXT) | instid1(VALU_DEP_1)
	v_med3_i32 v7, v7, 0, 13
	v_lshrrev_b32_e32 v15, v7, v13
	s_delay_alu instid0(VALU_DEP_1) | instskip(NEXT) | instid1(VALU_DEP_1)
	v_lshlrev_b32_e32 v7, v7, v15
	v_cmp_ne_u32_e32 vcc_lo, v7, v13
	v_lshl_or_b32 v13, v9, 12, v2
	v_cndmask_b32_e64 v7, 0, 1, vcc_lo
	v_cmp_gt_i32_e32 vcc_lo, 1, v8
	v_cndmask_b32_e32 v10, v11, v10, vcc_lo
	s_delay_alu instid0(VALU_DEP_3) | instskip(SKIP_1) | instid1(VALU_DEP_3)
	v_or_b32_e32 v7, v15, v7
	v_cmp_gt_i32_e32 vcc_lo, 1, v9
	v_dual_lshrrev_b32 v10, 2, v10 :: v_dual_bitop2_b32 v11, 7, v10 bitop3:0x40
	s_delay_alu instid0(VALU_DEP_3) | instskip(NEXT) | instid1(VALU_DEP_1)
	v_cndmask_b32_e32 v7, v13, v7, vcc_lo
	v_dual_lshrrev_b32 v7, 2, v7 :: v_dual_bitop2_b32 v13, 7, v7 bitop3:0x40
	s_delay_alu instid0(VALU_DEP_3) | instskip(SKIP_1) | instid1(VALU_DEP_3)
	v_cmp_lt_i32_e32 vcc_lo, 5, v11
	v_cndmask_b32_e64 v15, 0, 1, vcc_lo
	v_cmp_lt_i32_e32 vcc_lo, 5, v13
	v_cndmask_b32_e64 v16, 0, 1, vcc_lo
	v_cmp_eq_u32_e32 vcc_lo, 3, v13
	v_cndmask_b32_e64 v13, 0, 1, vcc_lo
	v_cmp_eq_u32_e32 vcc_lo, 3, v11
	v_cndmask_b32_e64 v11, 0, 1, vcc_lo
	v_cmp_ne_u32_e32 vcc_lo, 0, v6
	s_delay_alu instid0(VALU_DEP_2) | instskip(NEXT) | instid1(VALU_DEP_1)
	v_or_b32_e32 v11, v11, v15
	v_dual_add_nc_u32 v10, v10, v11 :: v_dual_bitop2_b32 v13, v13, v16 bitop3:0x54
	s_delay_alu instid0(VALU_DEP_1)
	v_dual_cndmask_b32 v6, 0x7c00, v14 :: v_dual_add_nc_u32 v7, v7, v13
	v_cmp_ne_u32_e32 vcc_lo, 0, v2
	v_and_b32_e32 v11, 0x8000, v17
	v_cndmask_b32_e32 v2, 0x7c00, v14, vcc_lo
	v_cmp_gt_i32_e32 vcc_lo, 31, v9
	v_cndmask_b32_e32 v7, 0x7c00, v7, vcc_lo
	v_cmp_gt_i32_e32 vcc_lo, 31, v8
	v_cndmask_b32_e32 v10, 0x7c00, v10, vcc_lo
	v_cmp_eq_u32_e32 vcc_lo, 0x40f, v9
	s_delay_alu instid0(VALU_DEP_4) | instskip(SKIP_1) | instid1(VALU_DEP_2)
	v_cndmask_b32_e32 v2, v7, v2, vcc_lo
	v_cmp_eq_u32_e32 vcc_lo, 0x40f, v8
	v_and_or_b32 v2, 0x8000, v3, v2
	v_cndmask_b32_e32 v6, v10, v6, vcc_lo
	s_delay_alu instid0(VALU_DEP_1) | instskip(NEXT) | instid1(VALU_DEP_1)
	v_bitop3_b32 v3, v11, 0xffff, v6 bitop3:0xc8
	v_lshl_or_b32 v2, v2, 16, v3
	global_store_b32 v[4:5], v2, off
.LBB143_1051:
	s_mov_b32 s58, 0
.LBB143_1052:
	s_delay_alu instid0(SALU_CYCLE_1)
	s_and_not1_b32 vcc_lo, exec_lo, s58
	s_cbranch_vccnz .LBB143_1061
; %bb.1053:
	s_cmp_lt_i32 s41, 6
	s_mov_b32 s58, -1
	s_cbranch_scc1 .LBB143_1059
; %bb.1054:
	s_cmp_gt_i32 s41, 6
	s_cbranch_scc0 .LBB143_1056
; %bb.1055:
	s_mov_b32 s58, 0
	global_store_b64 v[4:5], v[0:1], off
.LBB143_1056:
	s_and_not1_b32 vcc_lo, exec_lo, s58
	s_cbranch_vccnz .LBB143_1058
; %bb.1057:
	s_wait_xcnt 0x0
	s_delay_alu instid0(VALU_DEP_2)
	v_cvt_f32_f64_e32 v2, v[0:1]
	global_store_b32 v[4:5], v2, off
.LBB143_1058:
	s_mov_b32 s58, 0
.LBB143_1059:
	s_delay_alu instid0(SALU_CYCLE_1)
	s_and_not1_b32 vcc_lo, exec_lo, s58
	s_cbranch_vccnz .LBB143_1061
; %bb.1060:
	s_wait_xcnt 0x0
	s_delay_alu instid0(VALU_DEP_2) | instskip(SKIP_2) | instid1(VALU_DEP_3)
	v_and_or_b32 v2, 0x1ff, v1, v0
	v_lshrrev_b32_e32 v3, 8, v1
	v_bfe_u32 v6, v1, 20, 11
	v_cmp_ne_u32_e32 vcc_lo, 0, v2
	s_delay_alu instid0(VALU_DEP_2) | instskip(SKIP_1) | instid1(VALU_DEP_1)
	v_sub_nc_u32_e32 v7, 0x3f1, v6
	v_cndmask_b32_e64 v2, 0, 1, vcc_lo
	v_and_or_b32 v2, 0xffe, v3, v2
	s_delay_alu instid0(VALU_DEP_3) | instskip(NEXT) | instid1(VALU_DEP_2)
	v_med3_i32 v3, v7, 0, 13
	v_or_b32_e32 v7, 0x1000, v2
	s_delay_alu instid0(VALU_DEP_1) | instskip(NEXT) | instid1(VALU_DEP_1)
	v_lshrrev_b32_e32 v8, v3, v7
	v_lshlrev_b32_e32 v3, v3, v8
	s_delay_alu instid0(VALU_DEP_1) | instskip(SKIP_1) | instid1(VALU_DEP_1)
	v_cmp_ne_u32_e32 vcc_lo, v3, v7
	v_cndmask_b32_e64 v3, 0, 1, vcc_lo
	v_or_b32_e32 v3, v8, v3
	v_add_nc_u32_e32 v6, 0xfffffc10, v6
	s_delay_alu instid0(VALU_DEP_1) | instskip(SKIP_1) | instid1(VALU_DEP_2)
	v_lshl_or_b32 v7, v6, 12, v2
	v_cmp_gt_i32_e32 vcc_lo, 1, v6
	v_cndmask_b32_e32 v3, v7, v3, vcc_lo
	s_delay_alu instid0(VALU_DEP_1) | instskip(NEXT) | instid1(VALU_DEP_1)
	v_dual_lshrrev_b32 v3, 2, v3 :: v_dual_bitop2_b32 v7, 7, v3 bitop3:0x40
	v_cmp_lt_i32_e32 vcc_lo, 5, v7
	v_cndmask_b32_e64 v8, 0, 1, vcc_lo
	v_cmp_eq_u32_e32 vcc_lo, 3, v7
	v_cndmask_b32_e64 v7, 0, 1, vcc_lo
	v_cmp_ne_u32_e32 vcc_lo, 0, v2
	s_delay_alu instid0(VALU_DEP_2) | instskip(NEXT) | instid1(VALU_DEP_1)
	v_or_b32_e32 v7, v7, v8
	v_dual_mov_b32 v8, 0x7e00 :: v_dual_add_nc_u32 v3, v3, v7
	s_delay_alu instid0(VALU_DEP_1) | instskip(SKIP_1) | instid1(VALU_DEP_3)
	v_cndmask_b32_e32 v2, 0x7c00, v8, vcc_lo
	v_cmp_gt_i32_e32 vcc_lo, 31, v6
	v_cndmask_b32_e32 v3, 0x7c00, v3, vcc_lo
	v_cmp_eq_u32_e32 vcc_lo, 0x40f, v6
	s_delay_alu instid0(VALU_DEP_2) | instskip(NEXT) | instid1(VALU_DEP_1)
	v_dual_cndmask_b32 v2, v3, v2 :: v_dual_lshrrev_b32 v3, 16, v1
	v_and_or_b32 v2, 0x8000, v3, v2
	global_store_b16 v[4:5], v2, off
.LBB143_1061:
	s_mov_b32 s58, 0
.LBB143_1062:
	s_delay_alu instid0(SALU_CYCLE_1)
	s_and_not1_b32 vcc_lo, exec_lo, s58
	s_cbranch_vccnz .LBB143_1078
; %bb.1063:
	s_cmp_lt_i32 s41, 2
	s_mov_b32 s58, -1
	s_cbranch_scc1 .LBB143_1073
; %bb.1064:
	s_cmp_lt_i32 s41, 3
	s_cbranch_scc1 .LBB143_1070
; %bb.1065:
	s_cmp_gt_i32 s41, 3
	s_cbranch_scc0 .LBB143_1067
; %bb.1066:
	s_wait_xcnt 0x0
	s_delay_alu instid0(VALU_DEP_2) | instskip(SKIP_1) | instid1(VALU_DEP_1)
	v_trunc_f64_e32 v[2:3], v[0:1]
	s_mov_b32 s58, 0
	v_ldexp_f64 v[6:7], v[2:3], 0xffffffe0
	s_delay_alu instid0(VALU_DEP_1) | instskip(NEXT) | instid1(VALU_DEP_1)
	v_floor_f64_e32 v[6:7], v[6:7]
	v_fmamk_f64 v[2:3], v[6:7], 0xc1f00000, v[2:3]
	v_cvt_i32_f64_e32 v7, v[6:7]
	s_delay_alu instid0(VALU_DEP_2)
	v_cvt_u32_f64_e32 v6, v[2:3]
	global_store_b64 v[4:5], v[6:7], off
.LBB143_1067:
	s_and_not1_b32 vcc_lo, exec_lo, s58
	s_cbranch_vccnz .LBB143_1069
; %bb.1068:
	s_wait_xcnt 0x0
	s_delay_alu instid0(VALU_DEP_2)
	v_cvt_i32_f64_e32 v2, v[0:1]
	global_store_b32 v[4:5], v2, off
.LBB143_1069:
	s_mov_b32 s58, 0
.LBB143_1070:
	s_delay_alu instid0(SALU_CYCLE_1)
	s_and_not1_b32 vcc_lo, exec_lo, s58
	s_cbranch_vccnz .LBB143_1072
; %bb.1071:
	s_wait_xcnt 0x0
	s_delay_alu instid0(VALU_DEP_2)
	v_cvt_i32_f64_e32 v2, v[0:1]
	global_store_b16 v[4:5], v2, off
.LBB143_1072:
	s_mov_b32 s58, 0
.LBB143_1073:
	s_delay_alu instid0(SALU_CYCLE_1)
	s_and_not1_b32 vcc_lo, exec_lo, s58
	s_cbranch_vccnz .LBB143_1078
; %bb.1074:
	s_cmp_gt_i32 s41, 0
	s_mov_b32 s41, -1
	s_cbranch_scc0 .LBB143_1076
; %bb.1075:
	s_wait_xcnt 0x0
	s_delay_alu instid0(VALU_DEP_2)
	v_cvt_i32_f64_e32 v2, v[0:1]
	s_mov_b32 s41, 0
	global_store_b8 v[4:5], v2, off
.LBB143_1076:
	s_and_not1_b32 vcc_lo, exec_lo, s41
	s_cbranch_vccnz .LBB143_1078
; %bb.1077:
	s_wait_xcnt 0x0
	s_delay_alu instid0(VALU_DEP_2) | instskip(NEXT) | instid1(VALU_DEP_1)
	v_trunc_f64_e32 v[0:1], v[0:1]
	v_ldexp_f64 v[2:3], v[0:1], 0xffffffe0
	s_delay_alu instid0(VALU_DEP_1) | instskip(NEXT) | instid1(VALU_DEP_1)
	v_floor_f64_e32 v[2:3], v[2:3]
	v_fmamk_f64 v[0:1], v[2:3], 0xc1f00000, v[0:1]
	s_delay_alu instid0(VALU_DEP_1)
	v_cvt_u32_f64_e32 v0, v[0:1]
	global_store_b8 v[4:5], v0, off
.LBB143_1078:
	s_mov_b32 s59, -1
.LBB143_1079:
	s_delay_alu instid0(SALU_CYCLE_1)
	s_and_not1_b32 vcc_lo, exec_lo, s59
	s_cbranch_vccnz .LBB143_1081
; %bb.1080:
	v_add_nc_u32_e32 v12, 0x80, v12
	s_mov_b32 s41, -1
	s_branch .LBB143_1083
.LBB143_1081:
	s_mov_b32 s41, 0
.LBB143_1082:
                                        ; implicit-def: $vgpr12
.LBB143_1083:
	s_and_not1_b32 s58, s53, exec_lo
	s_and_b32 s0, s0, exec_lo
	s_and_not1_b32 s60, s54, exec_lo
	s_and_b32 s40, s40, exec_lo
	s_or_b32 s59, s58, s0
	s_or_b32 s60, s60, s40
	s_and_not1_b32 s0, s55, exec_lo
	s_and_b32 s39, s39, exec_lo
	s_and_not1_b32 s40, s56, exec_lo
	s_and_b32 s38, s38, exec_lo
	s_or_b32 s61, s0, s39
	s_or_b32 s58, s40, s38
	s_or_not1_b32 s41, s41, exec_lo
.LBB143_1084:
	s_wait_xcnt 0x0
	s_or_b32 exec_lo, exec_lo, s62
	s_mov_b32 s40, 0
	s_mov_b32 s39, 0
	;; [unrolled: 1-line block ×3, first 2 shown]
                                        ; implicit-def: $sgpr0
                                        ; implicit-def: $vgpr6_vgpr7
                                        ; implicit-def: $vgpr14
                                        ; implicit-def: $vgpr8
                                        ; implicit-def: $vgpr4
                                        ; implicit-def: $vgpr2_vgpr3
	s_and_saveexec_b32 s62, s41
	s_cbranch_execz .LBB143_1725
; %bb.1085:
	s_mov_b32 s41, -1
	s_mov_b32 s64, s58
	s_mov_b32 s66, s61
	s_mov_b32 s65, s60
	s_mov_b32 s67, s59
	s_mov_b32 s63, exec_lo
	v_cmpx_gt_i32_e64 s51, v12
	s_cbranch_execz .LBB143_1632
; %bb.1086:
	s_and_not1_b32 vcc_lo, exec_lo, s44
	s_cbranch_vccnz .LBB143_1092
; %bb.1087:
	s_and_not1_b32 vcc_lo, exec_lo, s52
	s_cbranch_vccnz .LBB143_1093
; %bb.1088:
	s_wait_loadcnt 0x0
	v_dual_mov_b32 v4, 0 :: v_dual_mov_b32 v1, v12
	v_dual_mov_b32 v8, 0 :: v_dual_mov_b32 v14, 0
	v_mov_b32_e32 v0, 0
	s_add_co_i32 s0, s50, 1
	s_mov_b64 s[38:39], 0xffffffffffffffe0
	s_and_b32 s0, s0, 30
	s_add_nc_u64 s[38:39], s[2:3], s[38:39]
	s_mov_b64 s[40:41], s[2:3]
.LBB143_1089:                           ; =>This Inner Loop Header: Depth=1
	s_clause 0x1
	s_load_b128 s[72:75], s[40:41], 0x4
	s_load_b64 s[76:77], s[40:41], 0x14
	s_load_b256 s[64:71], s[38:39], 0xe4
	s_add_co_i32 s0, s0, -2
	s_wait_xcnt 0x0
	s_add_nc_u64 s[40:41], s[40:41], 24
	s_cmp_eq_u32 s0, 0
	s_add_nc_u64 s[38:39], s[38:39], 32
	s_wait_kmcnt 0x0
	v_mul_hi_u32 v2, s73, v1
	s_delay_alu instid0(VALU_DEP_1) | instskip(NEXT) | instid1(VALU_DEP_1)
	v_add_nc_u32_e32 v2, v1, v2
	v_lshrrev_b32_e32 v2, s74, v2
	s_delay_alu instid0(VALU_DEP_1) | instskip(SKIP_1) | instid1(VALU_DEP_1)
	v_mul_hi_u32 v3, s76, v2
	v_mul_lo_u32 v5, v2, s72
	v_dual_add_nc_u32 v3, v2, v3 :: v_dual_sub_nc_u32 v5, v1, v5
	s_delay_alu instid0(VALU_DEP_1) | instskip(NEXT) | instid1(VALU_DEP_2)
	v_lshrrev_b32_e32 v1, s77, v3
	v_mad_u32 v0, v5, s65, v0
	v_mad_u32 v6, v5, s64, v14
	;; [unrolled: 1-line block ×4, first 2 shown]
	v_mul_lo_u32 v3, v1, s75
	s_delay_alu instid0(VALU_DEP_1) | instskip(NEXT) | instid1(VALU_DEP_1)
	v_sub_nc_u32_e32 v2, v2, v3
	v_mad_u32 v0, v2, s69, v0
	v_mad_u32 v14, v2, s68, v6
	;; [unrolled: 1-line block ×4, first 2 shown]
	s_cbranch_scc0 .LBB143_1089
; %bb.1090:
	s_bitcmp1_b32 s50, 0
	s_cselect_b32 s0, -1, 0
	s_delay_alu instid0(SALU_CYCLE_1)
	s_and_b32 vcc_lo, exec_lo, s0
	s_cbranch_vccnz .LBB143_1094
; %bb.1091:
	s_load_b96 s[68:70], s[40:41], 0x4
	s_load_b128 s[64:67], s[38:39], 0xe4
	s_wait_kmcnt 0x0
	v_mul_hi_u32 v2, s69, v1
	s_delay_alu instid0(VALU_DEP_1) | instskip(NEXT) | instid1(VALU_DEP_1)
	v_add_nc_u32_e32 v2, v1, v2
	v_lshrrev_b32_e32 v2, s70, v2
	s_delay_alu instid0(VALU_DEP_1) | instskip(NEXT) | instid1(VALU_DEP_1)
	v_mul_lo_u32 v2, v2, s68
	v_sub_nc_u32_e32 v1, v1, v2
	s_delay_alu instid0(VALU_DEP_1)
	v_mad_u32 v14, v1, s64, v14
	v_mad_u32 v0, v1, s65, v0
	;; [unrolled: 1-line block ×4, first 2 shown]
	s_branch .LBB143_1094
.LBB143_1092:
	s_mov_b32 s0, -1
                                        ; implicit-def: $vgpr0
                                        ; implicit-def: $vgpr14
                                        ; implicit-def: $vgpr8
                                        ; implicit-def: $vgpr4
	s_branch .LBB143_1095
.LBB143_1093:
	s_wait_loadcnt 0x0
	v_dual_mov_b32 v0, 0 :: v_dual_mov_b32 v14, 0
	v_dual_mov_b32 v8, 0 :: v_dual_mov_b32 v4, 0
.LBB143_1094:
	s_mov_b32 s0, 0
.LBB143_1095:
	s_delay_alu instid0(SALU_CYCLE_1)
	s_and_not1_b32 vcc_lo, exec_lo, s0
	s_cbranch_vccnz .LBB143_1098
; %bb.1096:
	v_mov_b32_e32 v13, 0
	s_and_not1_b32 vcc_lo, exec_lo, s49
	s_wait_loadcnt 0x0
	s_delay_alu instid0(VALU_DEP_1) | instskip(NEXT) | instid1(VALU_DEP_1)
	v_mul_u64_e32 v[0:1], s[34:35], v[12:13]
	v_add_nc_u32_e32 v0, v12, v1
	s_delay_alu instid0(VALU_DEP_1) | instskip(NEXT) | instid1(VALU_DEP_1)
	v_lshrrev_b32_e32 v2, s30, v0
	v_mul_lo_u32 v0, v2, s28
	s_delay_alu instid0(VALU_DEP_1) | instskip(NEXT) | instid1(VALU_DEP_1)
	v_sub_nc_u32_e32 v1, v12, v0
	v_mul_lo_u32 v0, v1, s21
	v_mul_lo_u32 v14, v1, s20
	;; [unrolled: 1-line block ×4, first 2 shown]
	s_cbranch_vccnz .LBB143_1098
; %bb.1097:
	v_mov_b32_e32 v3, v13
	s_delay_alu instid0(VALU_DEP_1) | instskip(NEXT) | instid1(VALU_DEP_1)
	v_mul_u64_e32 v[6:7], s[36:37], v[2:3]
	v_add_nc_u32_e32 v1, v2, v7
	s_delay_alu instid0(VALU_DEP_1) | instskip(NEXT) | instid1(VALU_DEP_1)
	v_lshrrev_b32_e32 v1, s1, v1
	v_mul_lo_u32 v1, v1, s31
	s_delay_alu instid0(VALU_DEP_1) | instskip(NEXT) | instid1(VALU_DEP_1)
	v_sub_nc_u32_e32 v1, v2, v1
	v_mad_u32 v14, v1, s24, v14
	v_mad_u32 v0, v1, s25, v0
	;; [unrolled: 1-line block ×4, first 2 shown]
.LBB143_1098:
	s_wait_loadcnt 0x0
	v_mov_b32_e32 v1, 0
	s_and_b32 s0, s48, 0xff
	s_delay_alu instid0(SALU_CYCLE_1) | instskip(NEXT) | instid1(VALU_DEP_1)
	s_cmp_lt_i32 s0, 11
	v_add_nc_u64_e32 v[6:7], s[6:7], v[0:1]
	s_cbranch_scc1 .LBB143_1105
; %bb.1099:
	s_and_b32 s39, 0xffff, s0
	s_delay_alu instid0(SALU_CYCLE_1)
	s_cmp_gt_i32 s39, 25
	s_cbranch_scc0 .LBB143_1106
; %bb.1100:
	s_cmp_gt_i32 s39, 28
	s_cbranch_scc0 .LBB143_1107
; %bb.1101:
	s_cmp_gt_i32 s39, 43
	s_cbranch_scc0 .LBB143_1108
; %bb.1102:
	s_cmp_gt_i32 s39, 45
	s_cbranch_scc0 .LBB143_1109
; %bb.1103:
	s_cmp_eq_u32 s39, 46
	s_mov_b32 s41, 0
	s_cbranch_scc0 .LBB143_1110
; %bb.1104:
	global_load_b32 v0, v[6:7], off
	s_mov_b32 s40, -1
	s_mov_b32 s38, 0
	s_wait_loadcnt 0x0
	v_lshlrev_b32_e32 v1, 16, v0
	v_and_b32_e32 v2, 0xffff0000, v0
	s_delay_alu instid0(VALU_DEP_2) | instskip(NEXT) | instid1(VALU_DEP_2)
	v_cvt_f64_f32_e32 v[0:1], v1
	v_cvt_f64_f32_e32 v[2:3], v2
	s_branch .LBB143_1112
.LBB143_1105:
	s_mov_b32 s39, -1
	s_mov_b32 s40, 0
	s_mov_b32 s38, s58
                                        ; implicit-def: $vgpr2_vgpr3
	s_branch .LBB143_1176
.LBB143_1106:
	s_mov_b32 s41, -1
	s_mov_b32 s40, 0
	s_mov_b32 s38, s58
                                        ; implicit-def: $vgpr2_vgpr3
	s_branch .LBB143_1141
.LBB143_1107:
	s_mov_b32 s41, -1
	s_mov_b32 s40, 0
	s_mov_b32 s38, s58
                                        ; implicit-def: $vgpr2_vgpr3
	s_branch .LBB143_1124
.LBB143_1108:
	s_mov_b32 s41, -1
	s_mov_b32 s40, 0
	s_mov_b32 s38, s58
                                        ; implicit-def: $vgpr2_vgpr3
	s_branch .LBB143_1118
.LBB143_1109:
	s_mov_b32 s41, -1
	s_mov_b32 s40, 0
	s_mov_b32 s38, s58
	s_branch .LBB143_1111
.LBB143_1110:
	s_mov_b32 s38, -1
	s_mov_b32 s40, 0
.LBB143_1111:
                                        ; implicit-def: $vgpr2_vgpr3
.LBB143_1112:
	s_and_b32 vcc_lo, exec_lo, s41
	s_cbranch_vccz .LBB143_1117
; %bb.1113:
	s_cmp_eq_u32 s39, 44
	s_cbranch_scc0 .LBB143_1115
; %bb.1114:
	global_load_u8 v2, v[6:7], off
	s_mov_b32 s38, 0
	s_mov_b32 s40, -1
	s_wait_loadcnt 0x0
	v_cmp_ne_u32_e32 vcc_lo, 0xff, v2
	v_lshlrev_b32_e32 v0, 23, v2
	s_delay_alu instid0(VALU_DEP_1) | instskip(NEXT) | instid1(VALU_DEP_1)
	v_cvt_f64_f32_e32 v[0:1], v0
	v_cndmask_b32_e32 v0, 0x20000000, v0, vcc_lo
	s_delay_alu instid0(VALU_DEP_2) | instskip(SKIP_1) | instid1(VALU_DEP_2)
	v_cndmask_b32_e32 v1, 0x7ff80000, v1, vcc_lo
	v_cmp_ne_u32_e32 vcc_lo, 0, v2
	v_cndmask_b32_e32 v1, 0x38000000, v1, vcc_lo
	s_delay_alu instid0(VALU_DEP_4)
	v_cndmask_b32_e32 v0, 0, v0, vcc_lo
	s_branch .LBB143_1116
.LBB143_1115:
	s_mov_b32 s38, -1
                                        ; implicit-def: $vgpr0_vgpr1
.LBB143_1116:
	v_mov_b64_e32 v[2:3], 0
.LBB143_1117:
	s_mov_b32 s41, 0
.LBB143_1118:
	s_delay_alu instid0(SALU_CYCLE_1)
	s_and_b32 vcc_lo, exec_lo, s41
	s_cbranch_vccz .LBB143_1123
; %bb.1119:
	s_cmp_eq_u32 s39, 29
	s_cbranch_scc0 .LBB143_1121
; %bb.1120:
	global_load_b64 v[0:1], v[6:7], off
	s_mov_b32 s40, -1
	s_mov_b32 s38, 0
	s_wait_loadcnt 0x0
	v_cvt_f64_u32_e32 v[2:3], v1
	v_cvt_f64_u32_e32 v[0:1], v0
	s_delay_alu instid0(VALU_DEP_2) | instskip(NEXT) | instid1(VALU_DEP_1)
	v_ldexp_f64 v[2:3], v[2:3], 32
	v_add_f64_e32 v[0:1], v[2:3], v[0:1]
	s_branch .LBB143_1122
.LBB143_1121:
	s_mov_b32 s38, -1
                                        ; implicit-def: $vgpr0_vgpr1
.LBB143_1122:
	v_mov_b64_e32 v[2:3], 0
.LBB143_1123:
	s_mov_b32 s41, 0
.LBB143_1124:
	s_delay_alu instid0(SALU_CYCLE_1)
	s_and_b32 vcc_lo, exec_lo, s41
	s_cbranch_vccz .LBB143_1140
; %bb.1125:
	s_cmp_lt_i32 s39, 27
	s_cbranch_scc1 .LBB143_1128
; %bb.1126:
	s_cmp_gt_i32 s39, 27
	s_cbranch_scc0 .LBB143_1129
; %bb.1127:
	global_load_b32 v0, v[6:7], off
	s_mov_b32 s40, 0
	s_wait_loadcnt 0x0
	v_cvt_f64_u32_e32 v[0:1], v0
	s_branch .LBB143_1130
.LBB143_1128:
	s_mov_b32 s40, -1
                                        ; implicit-def: $vgpr0_vgpr1
	s_branch .LBB143_1133
.LBB143_1129:
	s_mov_b32 s40, -1
                                        ; implicit-def: $vgpr0_vgpr1
.LBB143_1130:
	s_delay_alu instid0(SALU_CYCLE_1)
	s_and_not1_b32 vcc_lo, exec_lo, s40
	s_cbranch_vccnz .LBB143_1132
; %bb.1131:
	global_load_u16 v0, v[6:7], off
	s_wait_loadcnt 0x0
	v_cvt_f64_u32_e32 v[0:1], v0
.LBB143_1132:
	s_mov_b32 s40, 0
.LBB143_1133:
	s_delay_alu instid0(SALU_CYCLE_1)
	s_and_not1_b32 vcc_lo, exec_lo, s40
	s_cbranch_vccnz .LBB143_1139
; %bb.1134:
	global_load_u8 v2, v[6:7], off
	s_mov_b32 s40, 0
	s_mov_b32 s41, exec_lo
	s_wait_loadcnt 0x0
	v_cmpx_lt_i16_e32 0x7f, v2
	s_xor_b32 s41, exec_lo, s41
	s_cbranch_execnz .LBB143_1152
; %bb.1135:
	s_or_saveexec_b32 s41, s41
	v_mov_b64_e32 v[0:1], 0x7ff8000020000000
	s_xor_b32 exec_lo, exec_lo, s41
	s_cbranch_execnz .LBB143_1155
.LBB143_1136:
	s_or_b32 exec_lo, exec_lo, s41
	s_and_saveexec_b32 s41, s40
	s_cbranch_execz .LBB143_1138
.LBB143_1137:
	v_and_b32_e32 v0, 0xffff, v2
	s_delay_alu instid0(VALU_DEP_1) | instskip(SKIP_1) | instid1(VALU_DEP_2)
	v_and_b32_e32 v1, 7, v0
	v_bfe_u32 v9, v0, 3, 4
	v_clz_i32_u32_e32 v3, v1
	s_delay_alu instid0(VALU_DEP_2) | instskip(NEXT) | instid1(VALU_DEP_2)
	v_cmp_eq_u32_e32 vcc_lo, 0, v9
	v_min_u32_e32 v3, 32, v3
	s_delay_alu instid0(VALU_DEP_1) | instskip(NEXT) | instid1(VALU_DEP_1)
	v_subrev_nc_u32_e32 v5, 28, v3
	v_dual_lshlrev_b32 v0, v5, v0 :: v_dual_sub_nc_u32 v3, 29, v3
	s_delay_alu instid0(VALU_DEP_1) | instskip(NEXT) | instid1(VALU_DEP_2)
	v_dual_lshlrev_b32 v2, 24, v2 :: v_dual_bitop2_b32 v0, 7, v0 bitop3:0x40
	v_cndmask_b32_e32 v3, v9, v3, vcc_lo
	s_delay_alu instid0(VALU_DEP_2) | instskip(NEXT) | instid1(VALU_DEP_3)
	v_cndmask_b32_e32 v0, v1, v0, vcc_lo
	v_and_b32_e32 v1, 0x80000000, v2
	s_delay_alu instid0(VALU_DEP_3) | instskip(NEXT) | instid1(VALU_DEP_3)
	v_lshl_add_u32 v2, v3, 23, 0x3b800000
	v_lshlrev_b32_e32 v0, 20, v0
	s_delay_alu instid0(VALU_DEP_1) | instskip(NEXT) | instid1(VALU_DEP_1)
	v_or3_b32 v0, v1, v2, v0
	v_cvt_f64_f32_e32 v[0:1], v0
.LBB143_1138:
	s_or_b32 exec_lo, exec_lo, s41
.LBB143_1139:
	v_mov_b64_e32 v[2:3], 0
	s_mov_b32 s40, -1
.LBB143_1140:
	s_mov_b32 s41, 0
.LBB143_1141:
	s_delay_alu instid0(SALU_CYCLE_1)
	s_and_b32 vcc_lo, exec_lo, s41
	s_cbranch_vccz .LBB143_1175
; %bb.1142:
	s_cmp_gt_i32 s39, 22
	s_cbranch_scc0 .LBB143_1150
; %bb.1143:
	s_cmp_lt_i32 s39, 24
	s_cbranch_scc1 .LBB143_1151
; %bb.1144:
	s_cmp_gt_i32 s39, 24
	s_cbranch_scc0 .LBB143_1156
; %bb.1145:
	global_load_u8 v2, v[6:7], off
	s_mov_b32 s40, 0
	s_mov_b32 s41, exec_lo
	s_wait_loadcnt 0x0
	v_cmpx_lt_i16_e32 0x7f, v2
	s_xor_b32 s41, exec_lo, s41
	s_cbranch_execnz .LBB143_1240
; %bb.1146:
	s_or_saveexec_b32 s41, s41
	v_mov_b64_e32 v[0:1], 0x7ff8000020000000
	s_xor_b32 exec_lo, exec_lo, s41
	s_cbranch_execnz .LBB143_1243
.LBB143_1147:
	s_or_b32 exec_lo, exec_lo, s41
	s_and_saveexec_b32 s41, s40
	s_cbranch_execz .LBB143_1149
.LBB143_1148:
	v_and_b32_e32 v0, 0xffff, v2
	s_delay_alu instid0(VALU_DEP_1) | instskip(SKIP_1) | instid1(VALU_DEP_2)
	v_and_b32_e32 v1, 3, v0
	v_bfe_u32 v9, v0, 2, 5
	v_clz_i32_u32_e32 v3, v1
	s_delay_alu instid0(VALU_DEP_2) | instskip(NEXT) | instid1(VALU_DEP_2)
	v_cmp_eq_u32_e32 vcc_lo, 0, v9
	v_min_u32_e32 v3, 32, v3
	s_delay_alu instid0(VALU_DEP_1) | instskip(NEXT) | instid1(VALU_DEP_1)
	v_subrev_nc_u32_e32 v5, 29, v3
	v_dual_lshlrev_b32 v0, v5, v0 :: v_dual_sub_nc_u32 v3, 30, v3
	s_delay_alu instid0(VALU_DEP_1) | instskip(NEXT) | instid1(VALU_DEP_2)
	v_dual_lshlrev_b32 v2, 24, v2 :: v_dual_bitop2_b32 v0, 3, v0 bitop3:0x40
	v_cndmask_b32_e32 v3, v9, v3, vcc_lo
	s_delay_alu instid0(VALU_DEP_2) | instskip(NEXT) | instid1(VALU_DEP_3)
	v_cndmask_b32_e32 v0, v1, v0, vcc_lo
	v_and_b32_e32 v1, 0x80000000, v2
	s_delay_alu instid0(VALU_DEP_3) | instskip(NEXT) | instid1(VALU_DEP_3)
	v_lshl_add_u32 v2, v3, 23, 0x37800000
	v_lshlrev_b32_e32 v0, 21, v0
	s_delay_alu instid0(VALU_DEP_1) | instskip(NEXT) | instid1(VALU_DEP_1)
	v_or3_b32 v0, v1, v2, v0
	v_cvt_f64_f32_e32 v[0:1], v0
.LBB143_1149:
	s_or_b32 exec_lo, exec_lo, s41
	s_mov_b32 s40, 0
	s_branch .LBB143_1157
.LBB143_1150:
	s_mov_b32 s41, -1
                                        ; implicit-def: $vgpr0_vgpr1
	s_branch .LBB143_1163
.LBB143_1151:
	s_mov_b32 s40, -1
                                        ; implicit-def: $vgpr0_vgpr1
	s_branch .LBB143_1160
.LBB143_1152:
	s_mov_b32 s40, -1
	s_mov_b32 s64, exec_lo
	v_cmpx_eq_u16_e32 0x80, v2
; %bb.1153:
	s_xor_b32 s40, exec_lo, -1
; %bb.1154:
	s_or_b32 exec_lo, exec_lo, s64
	s_delay_alu instid0(SALU_CYCLE_1)
	s_and_b32 s40, s40, exec_lo
	s_or_saveexec_b32 s41, s41
	v_mov_b64_e32 v[0:1], 0x7ff8000020000000
	s_xor_b32 exec_lo, exec_lo, s41
	s_cbranch_execz .LBB143_1136
.LBB143_1155:
	v_cmp_ne_u16_e32 vcc_lo, 0, v2
	v_mov_b64_e32 v[0:1], 0
	s_and_not1_b32 s40, s40, exec_lo
	s_and_b32 s64, vcc_lo, exec_lo
	s_delay_alu instid0(SALU_CYCLE_1)
	s_or_b32 s40, s40, s64
	s_or_b32 exec_lo, exec_lo, s41
	s_and_saveexec_b32 s41, s40
	s_cbranch_execnz .LBB143_1137
	s_branch .LBB143_1138
.LBB143_1156:
	s_mov_b32 s40, -1
                                        ; implicit-def: $vgpr0_vgpr1
.LBB143_1157:
	s_delay_alu instid0(SALU_CYCLE_1)
	s_and_b32 vcc_lo, exec_lo, s40
	s_cbranch_vccz .LBB143_1159
; %bb.1158:
	global_load_u8 v0, v[6:7], off
	s_wait_loadcnt 0x0
	v_lshlrev_b32_e32 v0, 24, v0
	s_delay_alu instid0(VALU_DEP_1) | instskip(NEXT) | instid1(VALU_DEP_1)
	v_and_b32_e32 v1, 0x7f000000, v0
	v_clz_i32_u32_e32 v2, v1
	v_add_nc_u32_e32 v5, 0x1000000, v1
	v_cmp_ne_u32_e32 vcc_lo, 0, v1
	s_delay_alu instid0(VALU_DEP_3) | instskip(NEXT) | instid1(VALU_DEP_1)
	v_min_u32_e32 v2, 32, v2
	v_sub_nc_u32_e64 v2, v2, 4 clamp
	s_delay_alu instid0(VALU_DEP_1) | instskip(NEXT) | instid1(VALU_DEP_1)
	v_dual_lshlrev_b32 v3, v2, v1 :: v_dual_lshlrev_b32 v2, 23, v2
	v_lshrrev_b32_e32 v3, 4, v3
	s_delay_alu instid0(VALU_DEP_1) | instskip(NEXT) | instid1(VALU_DEP_1)
	v_dual_sub_nc_u32 v2, v3, v2 :: v_dual_ashrrev_i32 v3, 8, v5
	v_add_nc_u32_e32 v2, 0x3c000000, v2
	s_delay_alu instid0(VALU_DEP_1) | instskip(NEXT) | instid1(VALU_DEP_1)
	v_and_or_b32 v2, 0x7f800000, v3, v2
	v_cndmask_b32_e32 v1, 0, v2, vcc_lo
	s_delay_alu instid0(VALU_DEP_1) | instskip(NEXT) | instid1(VALU_DEP_1)
	v_and_or_b32 v0, 0x80000000, v0, v1
	v_cvt_f64_f32_e32 v[0:1], v0
.LBB143_1159:
	s_mov_b32 s40, 0
.LBB143_1160:
	s_delay_alu instid0(SALU_CYCLE_1)
	s_and_not1_b32 vcc_lo, exec_lo, s40
	s_cbranch_vccnz .LBB143_1162
; %bb.1161:
	global_load_u8 v0, v[6:7], off
	s_wait_loadcnt 0x0
	v_lshlrev_b32_e32 v1, 25, v0
	v_lshlrev_b16 v0, 8, v0
	s_delay_alu instid0(VALU_DEP_1) | instskip(SKIP_1) | instid1(VALU_DEP_2)
	v_and_or_b32 v3, 0x7f00, v0, 0.5
	v_bfe_i32 v0, v0, 0, 16
	v_dual_add_f32 v3, -0.5, v3 :: v_dual_lshrrev_b32 v2, 4, v1
	v_cmp_gt_u32_e32 vcc_lo, 0x8000000, v1
	s_delay_alu instid0(VALU_DEP_2) | instskip(NEXT) | instid1(VALU_DEP_1)
	v_or_b32_e32 v2, 0x70000000, v2
	v_mul_f32_e32 v2, 0x7800000, v2
	s_delay_alu instid0(VALU_DEP_1) | instskip(NEXT) | instid1(VALU_DEP_1)
	v_cndmask_b32_e32 v1, v2, v3, vcc_lo
	v_and_or_b32 v0, 0x80000000, v0, v1
	s_delay_alu instid0(VALU_DEP_1)
	v_cvt_f64_f32_e32 v[0:1], v0
.LBB143_1162:
	s_mov_b32 s41, 0
	s_mov_b32 s40, -1
.LBB143_1163:
	s_and_not1_b32 vcc_lo, exec_lo, s41
	s_cbranch_vccnz .LBB143_1174
; %bb.1164:
	s_cmp_gt_i32 s39, 14
	s_cbranch_scc0 .LBB143_1167
; %bb.1165:
	s_cmp_eq_u32 s39, 15
	s_cbranch_scc0 .LBB143_1168
; %bb.1166:
	global_load_u16 v0, v[6:7], off
	s_mov_b32 s40, -1
	s_mov_b32 s38, 0
	s_wait_loadcnt 0x0
	v_lshlrev_b32_e32 v0, 16, v0
	s_delay_alu instid0(VALU_DEP_1)
	v_cvt_f64_f32_e32 v[0:1], v0
	s_branch .LBB143_1169
.LBB143_1167:
	s_mov_b32 s41, -1
                                        ; implicit-def: $vgpr0_vgpr1
	s_branch .LBB143_1170
.LBB143_1168:
	s_mov_b32 s38, -1
                                        ; implicit-def: $vgpr0_vgpr1
.LBB143_1169:
	s_mov_b32 s41, 0
.LBB143_1170:
	s_delay_alu instid0(SALU_CYCLE_1)
	s_and_b32 vcc_lo, exec_lo, s41
	s_cbranch_vccz .LBB143_1174
; %bb.1171:
	s_cmp_eq_u32 s39, 11
	s_cbranch_scc0 .LBB143_1173
; %bb.1172:
	global_load_u8 v0, v[6:7], off
	s_mov_b32 s38, 0
	s_mov_b32 s40, -1
	v_mov_b64_e32 v[2:3], 0
	s_wait_loadcnt 0x0
	v_cmp_ne_u16_e32 vcc_lo, 0, v0
	v_mov_b32_e32 v0, 0
	v_cndmask_b32_e64 v1, 0, 0x3ff00000, vcc_lo
	s_branch .LBB143_1175
.LBB143_1173:
	s_mov_b32 s38, -1
                                        ; implicit-def: $vgpr0_vgpr1
.LBB143_1174:
	v_mov_b64_e32 v[2:3], 0
.LBB143_1175:
	s_mov_b32 s39, 0
.LBB143_1176:
	s_delay_alu instid0(SALU_CYCLE_1)
	s_and_b32 vcc_lo, exec_lo, s39
	s_cbranch_vccz .LBB143_1227
; %bb.1177:
	s_and_b32 s0, 0xffff, s0
	s_delay_alu instid0(SALU_CYCLE_1)
	s_cmp_lt_i32 s0, 5
	s_cbranch_scc1 .LBB143_1182
; %bb.1178:
	s_cmp_lt_i32 s0, 8
	s_cbranch_scc1 .LBB143_1183
; %bb.1179:
	;; [unrolled: 3-line block ×3, first 2 shown]
	s_cmp_gt_i32 s0, 9
	s_cbranch_scc0 .LBB143_1185
; %bb.1181:
	global_load_b128 v[0:3], v[6:7], off
	s_mov_b32 s39, 0
	s_branch .LBB143_1186
.LBB143_1182:
	s_mov_b32 s39, -1
                                        ; implicit-def: $vgpr2_vgpr3
	s_branch .LBB143_1205
.LBB143_1183:
	s_mov_b32 s39, -1
                                        ; implicit-def: $vgpr2_vgpr3
	s_branch .LBB143_1192
.LBB143_1184:
	s_mov_b32 s39, -1
                                        ; implicit-def: $vgpr2_vgpr3
	s_branch .LBB143_1189
.LBB143_1185:
	s_mov_b32 s39, -1
                                        ; implicit-def: $vgpr2_vgpr3
.LBB143_1186:
	s_delay_alu instid0(SALU_CYCLE_1)
	s_and_not1_b32 vcc_lo, exec_lo, s39
	s_cbranch_vccnz .LBB143_1188
; %bb.1187:
	s_wait_loadcnt 0x0
	global_load_b64 v[2:3], v[6:7], off
	s_wait_loadcnt 0x0
	v_cvt_f64_f32_e32 v[0:1], v2
	v_cvt_f64_f32_e32 v[2:3], v3
.LBB143_1188:
	s_mov_b32 s39, 0
.LBB143_1189:
	s_delay_alu instid0(SALU_CYCLE_1)
	s_and_not1_b32 vcc_lo, exec_lo, s39
	s_cbranch_vccnz .LBB143_1191
; %bb.1190:
	s_wait_loadcnt 0x0
	global_load_b32 v0, v[6:7], off
	s_wait_loadcnt 0x0
	v_lshrrev_b32_e32 v1, 16, v0
	v_cvt_f32_f16_e32 v0, v0
	s_delay_alu instid0(VALU_DEP_2) | instskip(NEXT) | instid1(VALU_DEP_2)
	v_cvt_f32_f16_e32 v2, v1
	v_cvt_f64_f32_e32 v[0:1], v0
	s_delay_alu instid0(VALU_DEP_2)
	v_cvt_f64_f32_e32 v[2:3], v2
.LBB143_1191:
	s_mov_b32 s39, 0
.LBB143_1192:
	s_delay_alu instid0(SALU_CYCLE_1)
	s_and_not1_b32 vcc_lo, exec_lo, s39
	s_cbranch_vccnz .LBB143_1204
; %bb.1193:
	s_cmp_lt_i32 s0, 6
	s_cbranch_scc1 .LBB143_1196
; %bb.1194:
	s_cmp_gt_i32 s0, 6
	s_cbranch_scc0 .LBB143_1197
; %bb.1195:
	s_wait_loadcnt 0x0
	global_load_b64 v[0:1], v[6:7], off
	s_mov_b32 s39, 0
	s_branch .LBB143_1198
.LBB143_1196:
	s_mov_b32 s39, -1
                                        ; implicit-def: $vgpr0_vgpr1
	s_branch .LBB143_1201
.LBB143_1197:
	s_mov_b32 s39, -1
                                        ; implicit-def: $vgpr0_vgpr1
.LBB143_1198:
	s_delay_alu instid0(SALU_CYCLE_1)
	s_and_not1_b32 vcc_lo, exec_lo, s39
	s_cbranch_vccnz .LBB143_1200
; %bb.1199:
	s_wait_loadcnt 0x0
	global_load_b32 v0, v[6:7], off
	s_wait_loadcnt 0x0
	v_cvt_f64_f32_e32 v[0:1], v0
.LBB143_1200:
	s_mov_b32 s39, 0
.LBB143_1201:
	s_delay_alu instid0(SALU_CYCLE_1)
	s_and_not1_b32 vcc_lo, exec_lo, s39
	s_cbranch_vccnz .LBB143_1203
; %bb.1202:
	s_wait_loadcnt 0x0
	global_load_u16 v0, v[6:7], off
	s_wait_loadcnt 0x0
	v_cvt_f32_f16_e32 v0, v0
	s_delay_alu instid0(VALU_DEP_1)
	v_cvt_f64_f32_e32 v[0:1], v0
.LBB143_1203:
	s_wait_loadcnt 0x0
	v_mov_b64_e32 v[2:3], 0
.LBB143_1204:
	s_mov_b32 s39, 0
.LBB143_1205:
	s_delay_alu instid0(SALU_CYCLE_1)
	s_and_not1_b32 vcc_lo, exec_lo, s39
	s_cbranch_vccnz .LBB143_1226
; %bb.1206:
	s_cmp_lt_i32 s0, 2
	s_cbranch_scc1 .LBB143_1210
; %bb.1207:
	s_cmp_lt_i32 s0, 3
	s_cbranch_scc1 .LBB143_1211
; %bb.1208:
	s_cmp_gt_i32 s0, 3
	s_cbranch_scc0 .LBB143_1212
; %bb.1209:
	s_wait_loadcnt 0x0
	global_load_b64 v[0:1], v[6:7], off
	s_mov_b32 s39, 0
	s_wait_loadcnt 0x0
	v_cvt_f64_i32_e32 v[2:3], v1
	v_cvt_f64_u32_e32 v[0:1], v0
	s_delay_alu instid0(VALU_DEP_2) | instskip(NEXT) | instid1(VALU_DEP_1)
	v_ldexp_f64 v[2:3], v[2:3], 32
	v_add_f64_e32 v[0:1], v[2:3], v[0:1]
	s_branch .LBB143_1213
.LBB143_1210:
	s_mov_b32 s39, -1
                                        ; implicit-def: $vgpr0_vgpr1
	s_branch .LBB143_1219
.LBB143_1211:
	s_mov_b32 s39, -1
                                        ; implicit-def: $vgpr0_vgpr1
	s_branch .LBB143_1216
.LBB143_1212:
	s_mov_b32 s39, -1
                                        ; implicit-def: $vgpr0_vgpr1
.LBB143_1213:
	s_delay_alu instid0(SALU_CYCLE_1)
	s_and_not1_b32 vcc_lo, exec_lo, s39
	s_cbranch_vccnz .LBB143_1215
; %bb.1214:
	s_wait_loadcnt 0x0
	global_load_b32 v0, v[6:7], off
	s_wait_loadcnt 0x0
	v_cvt_f64_i32_e32 v[0:1], v0
.LBB143_1215:
	s_mov_b32 s39, 0
.LBB143_1216:
	s_delay_alu instid0(SALU_CYCLE_1)
	s_and_not1_b32 vcc_lo, exec_lo, s39
	s_cbranch_vccnz .LBB143_1218
; %bb.1217:
	s_wait_loadcnt 0x0
	global_load_i16 v0, v[6:7], off
	s_wait_loadcnt 0x0
	v_cvt_f64_i32_e32 v[0:1], v0
.LBB143_1218:
	s_mov_b32 s39, 0
.LBB143_1219:
	s_delay_alu instid0(SALU_CYCLE_1)
	s_and_not1_b32 vcc_lo, exec_lo, s39
	s_cbranch_vccnz .LBB143_1225
; %bb.1220:
	s_cmp_gt_i32 s0, 0
	s_mov_b32 s0, 0
	s_cbranch_scc0 .LBB143_1222
; %bb.1221:
	s_wait_loadcnt 0x0
	global_load_i8 v0, v[6:7], off
	s_wait_loadcnt 0x0
	v_cvt_f64_i32_e32 v[0:1], v0
	s_branch .LBB143_1223
.LBB143_1222:
	s_mov_b32 s0, -1
                                        ; implicit-def: $vgpr0_vgpr1
.LBB143_1223:
	s_delay_alu instid0(SALU_CYCLE_1)
	s_and_not1_b32 vcc_lo, exec_lo, s0
	s_cbranch_vccnz .LBB143_1225
; %bb.1224:
	s_wait_loadcnt 0x0
	global_load_u8 v0, v[6:7], off
	s_wait_loadcnt 0x0
	v_cvt_f64_u32_e32 v[0:1], v0
.LBB143_1225:
	s_wait_loadcnt 0x0
	v_mov_b64_e32 v[2:3], 0
.LBB143_1226:
	s_mov_b32 s40, -1
.LBB143_1227:
	s_delay_alu instid0(SALU_CYCLE_1)
	s_and_not1_b32 vcc_lo, exec_lo, s40
	s_cbranch_vccnz .LBB143_1235
; %bb.1228:
	v_mov_b32_e32 v5, 0
	s_and_b32 s0, s47, 0xff
	s_delay_alu instid0(SALU_CYCLE_1) | instskip(NEXT) | instid1(VALU_DEP_1)
	s_cmp_lt_i32 s0, 11
	v_add_nc_u64_e32 v[10:11], s[8:9], v[4:5]
	s_cbranch_scc1 .LBB143_1236
; %bb.1229:
	s_and_b32 s40, 0xffff, s0
	s_delay_alu instid0(SALU_CYCLE_1)
	s_cmp_gt_i32 s40, 25
	s_cbranch_scc0 .LBB143_1237
; %bb.1230:
	s_cmp_gt_i32 s40, 28
	s_cbranch_scc0 .LBB143_1238
; %bb.1231:
	;; [unrolled: 3-line block ×4, first 2 shown]
	s_cmp_eq_u32 s40, 46
	s_mov_b32 s64, 0
	s_cbranch_scc0 .LBB143_1245
; %bb.1234:
	global_load_b32 v4, v[10:11], off
	s_mov_b32 s41, -1
	s_mov_b32 s39, 0
	s_wait_loadcnt 0x0
	v_lshlrev_b32_e32 v5, 16, v4
	s_wait_xcnt 0x1
	v_and_b32_e32 v6, 0xffff0000, v4
	s_delay_alu instid0(VALU_DEP_2) | instskip(NEXT) | instid1(VALU_DEP_2)
	v_cvt_f64_f32_e32 v[4:5], v5
	v_cvt_f64_f32_e32 v[6:7], v6
	s_branch .LBB143_1247
.LBB143_1235:
	s_mov_b32 s41, 0
	s_mov_b32 s0, s59
	;; [unrolled: 1-line block ×4, first 2 shown]
	s_branch .LBB143_1630
.LBB143_1236:
	s_mov_b32 s40, -1
	s_mov_b32 s41, 0
	s_mov_b32 s39, s61
                                        ; implicit-def: $vgpr6_vgpr7
	s_branch .LBB143_1311
.LBB143_1237:
	s_mov_b32 s64, -1
	s_mov_b32 s41, 0
	s_mov_b32 s39, s61
                                        ; implicit-def: $vgpr6_vgpr7
	s_branch .LBB143_1276
.LBB143_1238:
	s_mov_b32 s64, -1
	s_mov_b32 s41, 0
	s_mov_b32 s39, s61
                                        ; implicit-def: $vgpr6_vgpr7
	s_branch .LBB143_1259
.LBB143_1239:
	s_mov_b32 s64, -1
	s_mov_b32 s41, 0
	s_mov_b32 s39, s61
                                        ; implicit-def: $vgpr6_vgpr7
	s_branch .LBB143_1253
.LBB143_1240:
	s_mov_b32 s40, -1
	s_mov_b32 s64, exec_lo
	v_cmpx_eq_u16_e32 0x80, v2
; %bb.1241:
	s_xor_b32 s40, exec_lo, -1
; %bb.1242:
	s_or_b32 exec_lo, exec_lo, s64
	s_delay_alu instid0(SALU_CYCLE_1)
	s_and_b32 s40, s40, exec_lo
	s_or_saveexec_b32 s41, s41
	v_mov_b64_e32 v[0:1], 0x7ff8000020000000
	s_xor_b32 exec_lo, exec_lo, s41
	s_cbranch_execz .LBB143_1147
.LBB143_1243:
	v_cmp_ne_u16_e32 vcc_lo, 0, v2
	v_mov_b64_e32 v[0:1], 0
	s_and_not1_b32 s40, s40, exec_lo
	s_and_b32 s64, vcc_lo, exec_lo
	s_delay_alu instid0(SALU_CYCLE_1)
	s_or_b32 s40, s40, s64
	s_or_b32 exec_lo, exec_lo, s41
	s_and_saveexec_b32 s41, s40
	s_cbranch_execnz .LBB143_1148
	s_branch .LBB143_1149
.LBB143_1244:
	s_mov_b32 s64, -1
	s_mov_b32 s41, 0
	s_mov_b32 s39, s61
	s_branch .LBB143_1246
.LBB143_1245:
	s_mov_b32 s39, -1
	s_mov_b32 s41, 0
.LBB143_1246:
                                        ; implicit-def: $vgpr6_vgpr7
.LBB143_1247:
	s_and_b32 vcc_lo, exec_lo, s64
	s_cbranch_vccz .LBB143_1252
; %bb.1248:
	s_cmp_eq_u32 s40, 44
	s_cbranch_scc0 .LBB143_1250
; %bb.1249:
	global_load_u8 v6, v[10:11], off
	s_mov_b32 s39, 0
	s_mov_b32 s41, -1
	s_wait_loadcnt 0x0
	v_cmp_ne_u32_e32 vcc_lo, 0xff, v6
	v_lshlrev_b32_e32 v4, 23, v6
	s_delay_alu instid0(VALU_DEP_1) | instskip(NEXT) | instid1(VALU_DEP_1)
	v_cvt_f64_f32_e32 v[4:5], v4
	v_cndmask_b32_e32 v4, 0x20000000, v4, vcc_lo
	s_delay_alu instid0(VALU_DEP_2) | instskip(SKIP_1) | instid1(VALU_DEP_2)
	v_cndmask_b32_e32 v5, 0x7ff80000, v5, vcc_lo
	v_cmp_ne_u32_e32 vcc_lo, 0, v6
	v_cndmask_b32_e32 v5, 0x38000000, v5, vcc_lo
	s_delay_alu instid0(VALU_DEP_4)
	v_cndmask_b32_e32 v4, 0, v4, vcc_lo
	s_branch .LBB143_1251
.LBB143_1250:
	s_mov_b32 s39, -1
                                        ; implicit-def: $vgpr4_vgpr5
.LBB143_1251:
	s_wait_xcnt 0x0
	v_mov_b64_e32 v[6:7], 0
.LBB143_1252:
	s_mov_b32 s64, 0
.LBB143_1253:
	s_delay_alu instid0(SALU_CYCLE_1)
	s_and_b32 vcc_lo, exec_lo, s64
	s_cbranch_vccz .LBB143_1258
; %bb.1254:
	s_cmp_eq_u32 s40, 29
	s_cbranch_scc0 .LBB143_1256
; %bb.1255:
	global_load_b64 v[4:5], v[10:11], off
	s_mov_b32 s41, -1
	s_mov_b32 s39, 0
	s_wait_loadcnt 0x0
	s_wait_xcnt 0x1
	v_cvt_f64_u32_e32 v[6:7], v5
	v_cvt_f64_u32_e32 v[4:5], v4
	s_delay_alu instid0(VALU_DEP_2) | instskip(NEXT) | instid1(VALU_DEP_1)
	v_ldexp_f64 v[6:7], v[6:7], 32
	v_add_f64_e32 v[4:5], v[6:7], v[4:5]
	s_branch .LBB143_1257
.LBB143_1256:
	s_mov_b32 s39, -1
                                        ; implicit-def: $vgpr4_vgpr5
.LBB143_1257:
	s_wait_xcnt 0x0
	v_mov_b64_e32 v[6:7], 0
.LBB143_1258:
	s_mov_b32 s64, 0
.LBB143_1259:
	s_delay_alu instid0(SALU_CYCLE_1)
	s_and_b32 vcc_lo, exec_lo, s64
	s_cbranch_vccz .LBB143_1275
; %bb.1260:
	s_cmp_lt_i32 s40, 27
	s_cbranch_scc1 .LBB143_1263
; %bb.1261:
	s_cmp_gt_i32 s40, 27
	s_cbranch_scc0 .LBB143_1264
; %bb.1262:
	global_load_b32 v4, v[10:11], off
	s_mov_b32 s41, 0
	s_wait_loadcnt 0x0
	v_cvt_f64_u32_e32 v[4:5], v4
	s_branch .LBB143_1265
.LBB143_1263:
	s_mov_b32 s41, -1
                                        ; implicit-def: $vgpr4_vgpr5
	s_branch .LBB143_1268
.LBB143_1264:
	s_mov_b32 s41, -1
                                        ; implicit-def: $vgpr4_vgpr5
.LBB143_1265:
	s_delay_alu instid0(SALU_CYCLE_1)
	s_and_not1_b32 vcc_lo, exec_lo, s41
	s_cbranch_vccnz .LBB143_1267
; %bb.1266:
	global_load_u16 v4, v[10:11], off
	s_wait_loadcnt 0x0
	v_cvt_f64_u32_e32 v[4:5], v4
.LBB143_1267:
	s_mov_b32 s41, 0
.LBB143_1268:
	s_delay_alu instid0(SALU_CYCLE_1)
	s_and_not1_b32 vcc_lo, exec_lo, s41
	s_cbranch_vccnz .LBB143_1274
; %bb.1269:
	global_load_u8 v6, v[10:11], off
	s_mov_b32 s41, 0
	s_mov_b32 s64, exec_lo
	s_wait_loadcnt 0x0
	v_cmpx_lt_i16_e32 0x7f, v6
	s_xor_b32 s64, exec_lo, s64
	s_cbranch_execnz .LBB143_1287
; %bb.1270:
	s_or_saveexec_b32 s64, s64
	v_mov_b64_e32 v[4:5], 0x7ff8000020000000
	s_xor_b32 exec_lo, exec_lo, s64
	s_cbranch_execnz .LBB143_1290
.LBB143_1271:
	s_or_b32 exec_lo, exec_lo, s64
	s_and_saveexec_b32 s64, s41
	s_cbranch_execz .LBB143_1273
.LBB143_1272:
	v_and_b32_e32 v4, 0xffff, v6
	s_delay_alu instid0(VALU_DEP_1) | instskip(SKIP_1) | instid1(VALU_DEP_2)
	v_and_b32_e32 v5, 7, v4
	v_bfe_u32 v13, v4, 3, 4
	v_clz_i32_u32_e32 v7, v5
	s_delay_alu instid0(VALU_DEP_2) | instskip(NEXT) | instid1(VALU_DEP_2)
	v_cmp_eq_u32_e32 vcc_lo, 0, v13
	v_min_u32_e32 v7, 32, v7
	s_delay_alu instid0(VALU_DEP_1) | instskip(NEXT) | instid1(VALU_DEP_1)
	v_subrev_nc_u32_e32 v9, 28, v7
	v_dual_lshlrev_b32 v4, v9, v4 :: v_dual_sub_nc_u32 v7, 29, v7
	s_delay_alu instid0(VALU_DEP_1) | instskip(NEXT) | instid1(VALU_DEP_2)
	v_dual_lshlrev_b32 v6, 24, v6 :: v_dual_bitop2_b32 v4, 7, v4 bitop3:0x40
	v_cndmask_b32_e32 v7, v13, v7, vcc_lo
	s_delay_alu instid0(VALU_DEP_2) | instskip(NEXT) | instid1(VALU_DEP_3)
	v_cndmask_b32_e32 v4, v5, v4, vcc_lo
	v_and_b32_e32 v5, 0x80000000, v6
	s_delay_alu instid0(VALU_DEP_3) | instskip(NEXT) | instid1(VALU_DEP_3)
	v_lshl_add_u32 v6, v7, 23, 0x3b800000
	v_lshlrev_b32_e32 v4, 20, v4
	s_delay_alu instid0(VALU_DEP_1) | instskip(NEXT) | instid1(VALU_DEP_1)
	v_or3_b32 v4, v5, v6, v4
	v_cvt_f64_f32_e32 v[4:5], v4
.LBB143_1273:
	s_or_b32 exec_lo, exec_lo, s64
.LBB143_1274:
	s_wait_xcnt 0x0
	v_mov_b64_e32 v[6:7], 0
	s_mov_b32 s41, -1
.LBB143_1275:
	s_mov_b32 s64, 0
.LBB143_1276:
	s_delay_alu instid0(SALU_CYCLE_1)
	s_and_b32 vcc_lo, exec_lo, s64
	s_cbranch_vccz .LBB143_1310
; %bb.1277:
	s_cmp_gt_i32 s40, 22
	s_cbranch_scc0 .LBB143_1285
; %bb.1278:
	s_cmp_lt_i32 s40, 24
	s_cbranch_scc1 .LBB143_1286
; %bb.1279:
	s_cmp_gt_i32 s40, 24
	s_cbranch_scc0 .LBB143_1291
; %bb.1280:
	global_load_u8 v6, v[10:11], off
	s_mov_b32 s41, 0
	s_mov_b32 s64, exec_lo
	s_wait_loadcnt 0x0
	v_cmpx_lt_i16_e32 0x7f, v6
	s_xor_b32 s64, exec_lo, s64
	s_cbranch_execnz .LBB143_1375
; %bb.1281:
	s_or_saveexec_b32 s64, s64
	v_mov_b64_e32 v[4:5], 0x7ff8000020000000
	s_xor_b32 exec_lo, exec_lo, s64
	s_cbranch_execnz .LBB143_1378
.LBB143_1282:
	s_or_b32 exec_lo, exec_lo, s64
	s_and_saveexec_b32 s64, s41
	s_cbranch_execz .LBB143_1284
.LBB143_1283:
	v_and_b32_e32 v4, 0xffff, v6
	s_delay_alu instid0(VALU_DEP_1) | instskip(SKIP_1) | instid1(VALU_DEP_2)
	v_and_b32_e32 v5, 3, v4
	v_bfe_u32 v13, v4, 2, 5
	v_clz_i32_u32_e32 v7, v5
	s_delay_alu instid0(VALU_DEP_2) | instskip(NEXT) | instid1(VALU_DEP_2)
	v_cmp_eq_u32_e32 vcc_lo, 0, v13
	v_min_u32_e32 v7, 32, v7
	s_delay_alu instid0(VALU_DEP_1) | instskip(NEXT) | instid1(VALU_DEP_1)
	v_subrev_nc_u32_e32 v9, 29, v7
	v_dual_lshlrev_b32 v4, v9, v4 :: v_dual_sub_nc_u32 v7, 30, v7
	s_delay_alu instid0(VALU_DEP_1) | instskip(NEXT) | instid1(VALU_DEP_2)
	v_dual_lshlrev_b32 v6, 24, v6 :: v_dual_bitop2_b32 v4, 3, v4 bitop3:0x40
	v_cndmask_b32_e32 v7, v13, v7, vcc_lo
	s_delay_alu instid0(VALU_DEP_2) | instskip(NEXT) | instid1(VALU_DEP_3)
	v_cndmask_b32_e32 v4, v5, v4, vcc_lo
	v_and_b32_e32 v5, 0x80000000, v6
	s_delay_alu instid0(VALU_DEP_3) | instskip(NEXT) | instid1(VALU_DEP_3)
	v_lshl_add_u32 v6, v7, 23, 0x37800000
	v_lshlrev_b32_e32 v4, 21, v4
	s_delay_alu instid0(VALU_DEP_1) | instskip(NEXT) | instid1(VALU_DEP_1)
	v_or3_b32 v4, v5, v6, v4
	v_cvt_f64_f32_e32 v[4:5], v4
.LBB143_1284:
	s_or_b32 exec_lo, exec_lo, s64
	s_mov_b32 s41, 0
	s_branch .LBB143_1292
.LBB143_1285:
	s_mov_b32 s64, -1
                                        ; implicit-def: $vgpr4_vgpr5
	s_branch .LBB143_1298
.LBB143_1286:
	s_mov_b32 s41, -1
                                        ; implicit-def: $vgpr4_vgpr5
	s_branch .LBB143_1295
.LBB143_1287:
	s_mov_b32 s41, -1
	s_mov_b32 s65, exec_lo
	v_cmpx_eq_u16_e32 0x80, v6
; %bb.1288:
	s_xor_b32 s41, exec_lo, -1
; %bb.1289:
	s_or_b32 exec_lo, exec_lo, s65
	s_delay_alu instid0(SALU_CYCLE_1)
	s_and_b32 s41, s41, exec_lo
	s_or_saveexec_b32 s64, s64
	v_mov_b64_e32 v[4:5], 0x7ff8000020000000
	s_xor_b32 exec_lo, exec_lo, s64
	s_cbranch_execz .LBB143_1271
.LBB143_1290:
	v_cmp_ne_u16_e32 vcc_lo, 0, v6
	v_mov_b64_e32 v[4:5], 0
	s_and_not1_b32 s41, s41, exec_lo
	s_and_b32 s65, vcc_lo, exec_lo
	s_delay_alu instid0(SALU_CYCLE_1)
	s_or_b32 s41, s41, s65
	s_or_b32 exec_lo, exec_lo, s64
	s_and_saveexec_b32 s64, s41
	s_cbranch_execnz .LBB143_1272
	s_branch .LBB143_1273
.LBB143_1291:
	s_mov_b32 s41, -1
                                        ; implicit-def: $vgpr4_vgpr5
.LBB143_1292:
	s_delay_alu instid0(SALU_CYCLE_1)
	s_and_b32 vcc_lo, exec_lo, s41
	s_cbranch_vccz .LBB143_1294
; %bb.1293:
	global_load_u8 v4, v[10:11], off
	s_wait_loadcnt 0x0
	v_lshlrev_b32_e32 v4, 24, v4
	s_delay_alu instid0(VALU_DEP_1) | instskip(SKIP_1) | instid1(VALU_DEP_1)
	v_and_b32_e32 v5, 0x7f000000, v4
	s_wait_xcnt 0x1
	v_clz_i32_u32_e32 v6, v5
	v_add_nc_u32_e32 v9, 0x1000000, v5
	v_cmp_ne_u32_e32 vcc_lo, 0, v5
	s_delay_alu instid0(VALU_DEP_3) | instskip(NEXT) | instid1(VALU_DEP_1)
	v_min_u32_e32 v6, 32, v6
	v_sub_nc_u32_e64 v6, v6, 4 clamp
	s_delay_alu instid0(VALU_DEP_1) | instskip(NEXT) | instid1(VALU_DEP_1)
	v_dual_lshlrev_b32 v7, v6, v5 :: v_dual_lshlrev_b32 v6, 23, v6
	v_lshrrev_b32_e32 v7, 4, v7
	s_delay_alu instid0(VALU_DEP_1) | instskip(NEXT) | instid1(VALU_DEP_1)
	v_dual_sub_nc_u32 v6, v7, v6 :: v_dual_ashrrev_i32 v7, 8, v9
	v_add_nc_u32_e32 v6, 0x3c000000, v6
	s_delay_alu instid0(VALU_DEP_1) | instskip(NEXT) | instid1(VALU_DEP_1)
	v_and_or_b32 v6, 0x7f800000, v7, v6
	v_cndmask_b32_e32 v5, 0, v6, vcc_lo
	s_delay_alu instid0(VALU_DEP_1) | instskip(NEXT) | instid1(VALU_DEP_1)
	v_and_or_b32 v4, 0x80000000, v4, v5
	v_cvt_f64_f32_e32 v[4:5], v4
.LBB143_1294:
	s_mov_b32 s41, 0
.LBB143_1295:
	s_delay_alu instid0(SALU_CYCLE_1)
	s_and_not1_b32 vcc_lo, exec_lo, s41
	s_cbranch_vccnz .LBB143_1297
; %bb.1296:
	global_load_u8 v4, v[10:11], off
	s_wait_loadcnt 0x0
	v_lshlrev_b32_e32 v5, 25, v4
	v_lshlrev_b16 v4, 8, v4
	s_wait_xcnt 0x1
	s_delay_alu instid0(VALU_DEP_1) | instskip(SKIP_1) | instid1(VALU_DEP_2)
	v_and_or_b32 v7, 0x7f00, v4, 0.5
	v_bfe_i32 v4, v4, 0, 16
	v_dual_add_f32 v7, -0.5, v7 :: v_dual_lshrrev_b32 v6, 4, v5
	v_cmp_gt_u32_e32 vcc_lo, 0x8000000, v5
	s_delay_alu instid0(VALU_DEP_2) | instskip(NEXT) | instid1(VALU_DEP_1)
	v_or_b32_e32 v6, 0x70000000, v6
	v_mul_f32_e32 v6, 0x7800000, v6
	s_delay_alu instid0(VALU_DEP_1) | instskip(NEXT) | instid1(VALU_DEP_1)
	v_cndmask_b32_e32 v5, v6, v7, vcc_lo
	v_and_or_b32 v4, 0x80000000, v4, v5
	s_delay_alu instid0(VALU_DEP_1)
	v_cvt_f64_f32_e32 v[4:5], v4
.LBB143_1297:
	s_mov_b32 s64, 0
	s_mov_b32 s41, -1
.LBB143_1298:
	s_and_not1_b32 vcc_lo, exec_lo, s64
	s_cbranch_vccnz .LBB143_1309
; %bb.1299:
	s_cmp_gt_i32 s40, 14
	s_cbranch_scc0 .LBB143_1302
; %bb.1300:
	s_cmp_eq_u32 s40, 15
	s_cbranch_scc0 .LBB143_1303
; %bb.1301:
	global_load_u16 v4, v[10:11], off
	s_mov_b32 s41, -1
	s_mov_b32 s39, 0
	s_wait_loadcnt 0x0
	v_lshlrev_b32_e32 v4, 16, v4
	s_delay_alu instid0(VALU_DEP_1)
	v_cvt_f64_f32_e32 v[4:5], v4
	s_branch .LBB143_1304
.LBB143_1302:
	s_mov_b32 s64, -1
                                        ; implicit-def: $vgpr4_vgpr5
	s_branch .LBB143_1305
.LBB143_1303:
	s_mov_b32 s39, -1
                                        ; implicit-def: $vgpr4_vgpr5
.LBB143_1304:
	s_mov_b32 s64, 0
.LBB143_1305:
	s_delay_alu instid0(SALU_CYCLE_1)
	s_and_b32 vcc_lo, exec_lo, s64
	s_cbranch_vccz .LBB143_1309
; %bb.1306:
	s_cmp_eq_u32 s40, 11
	s_cbranch_scc0 .LBB143_1308
; %bb.1307:
	global_load_u8 v4, v[10:11], off
	s_mov_b32 s39, 0
	s_mov_b32 s41, -1
	s_wait_xcnt 0x1
	v_mov_b64_e32 v[6:7], 0
	s_wait_loadcnt 0x0
	v_cmp_ne_u16_e32 vcc_lo, 0, v4
	v_mov_b32_e32 v4, 0
	v_cndmask_b32_e64 v5, 0, 0x3ff00000, vcc_lo
	s_branch .LBB143_1310
.LBB143_1308:
	s_mov_b32 s39, -1
                                        ; implicit-def: $vgpr4_vgpr5
.LBB143_1309:
	s_wait_xcnt 0x0
	v_mov_b64_e32 v[6:7], 0
.LBB143_1310:
	s_mov_b32 s40, 0
.LBB143_1311:
	s_delay_alu instid0(SALU_CYCLE_1)
	s_and_b32 vcc_lo, exec_lo, s40
	s_cbranch_vccz .LBB143_1362
; %bb.1312:
	s_and_b32 s0, 0xffff, s0
	s_delay_alu instid0(SALU_CYCLE_1)
	s_cmp_lt_i32 s0, 5
	s_cbranch_scc1 .LBB143_1317
; %bb.1313:
	s_cmp_lt_i32 s0, 8
	s_cbranch_scc1 .LBB143_1318
; %bb.1314:
	;; [unrolled: 3-line block ×3, first 2 shown]
	s_cmp_gt_i32 s0, 9
	s_cbranch_scc0 .LBB143_1320
; %bb.1316:
	global_load_b128 v[4:7], v[10:11], off
	s_mov_b32 s40, 0
	s_branch .LBB143_1321
.LBB143_1317:
	s_mov_b32 s40, -1
                                        ; implicit-def: $vgpr6_vgpr7
	s_branch .LBB143_1340
.LBB143_1318:
	s_mov_b32 s40, -1
                                        ; implicit-def: $vgpr6_vgpr7
	s_branch .LBB143_1327
.LBB143_1319:
	s_mov_b32 s40, -1
                                        ; implicit-def: $vgpr6_vgpr7
	s_branch .LBB143_1324
.LBB143_1320:
	s_mov_b32 s40, -1
                                        ; implicit-def: $vgpr6_vgpr7
.LBB143_1321:
	s_delay_alu instid0(SALU_CYCLE_1)
	s_and_not1_b32 vcc_lo, exec_lo, s40
	s_cbranch_vccnz .LBB143_1323
; %bb.1322:
	s_wait_loadcnt 0x0
	global_load_b64 v[6:7], v[10:11], off
	s_wait_loadcnt 0x0
	v_cvt_f64_f32_e32 v[4:5], v6
	v_cvt_f64_f32_e32 v[6:7], v7
.LBB143_1323:
	s_mov_b32 s40, 0
.LBB143_1324:
	s_delay_alu instid0(SALU_CYCLE_1)
	s_and_not1_b32 vcc_lo, exec_lo, s40
	s_cbranch_vccnz .LBB143_1326
; %bb.1325:
	s_wait_loadcnt 0x0
	global_load_b32 v4, v[10:11], off
	s_wait_loadcnt 0x0
	v_lshrrev_b32_e32 v5, 16, v4
	v_cvt_f32_f16_e32 v4, v4
	s_wait_xcnt 0x1
	s_delay_alu instid0(VALU_DEP_2) | instskip(NEXT) | instid1(VALU_DEP_2)
	v_cvt_f32_f16_e32 v6, v5
	v_cvt_f64_f32_e32 v[4:5], v4
	s_delay_alu instid0(VALU_DEP_2)
	v_cvt_f64_f32_e32 v[6:7], v6
.LBB143_1326:
	s_mov_b32 s40, 0
.LBB143_1327:
	s_delay_alu instid0(SALU_CYCLE_1)
	s_and_not1_b32 vcc_lo, exec_lo, s40
	s_cbranch_vccnz .LBB143_1339
; %bb.1328:
	s_cmp_lt_i32 s0, 6
	s_cbranch_scc1 .LBB143_1331
; %bb.1329:
	s_cmp_gt_i32 s0, 6
	s_cbranch_scc0 .LBB143_1332
; %bb.1330:
	s_wait_loadcnt 0x0
	global_load_b64 v[4:5], v[10:11], off
	s_mov_b32 s40, 0
	s_branch .LBB143_1333
.LBB143_1331:
	s_mov_b32 s40, -1
                                        ; implicit-def: $vgpr4_vgpr5
	s_branch .LBB143_1336
.LBB143_1332:
	s_mov_b32 s40, -1
                                        ; implicit-def: $vgpr4_vgpr5
.LBB143_1333:
	s_delay_alu instid0(SALU_CYCLE_1)
	s_and_not1_b32 vcc_lo, exec_lo, s40
	s_cbranch_vccnz .LBB143_1335
; %bb.1334:
	s_wait_loadcnt 0x0
	global_load_b32 v4, v[10:11], off
	s_wait_loadcnt 0x0
	v_cvt_f64_f32_e32 v[4:5], v4
.LBB143_1335:
	s_mov_b32 s40, 0
.LBB143_1336:
	s_delay_alu instid0(SALU_CYCLE_1)
	s_and_not1_b32 vcc_lo, exec_lo, s40
	s_cbranch_vccnz .LBB143_1338
; %bb.1337:
	s_wait_loadcnt 0x0
	global_load_u16 v4, v[10:11], off
	s_wait_loadcnt 0x0
	v_cvt_f32_f16_e32 v4, v4
	s_delay_alu instid0(VALU_DEP_1)
	v_cvt_f64_f32_e32 v[4:5], v4
.LBB143_1338:
	s_wait_loadcnt 0x0
	v_mov_b64_e32 v[6:7], 0
.LBB143_1339:
	s_mov_b32 s40, 0
.LBB143_1340:
	s_delay_alu instid0(SALU_CYCLE_1)
	s_and_not1_b32 vcc_lo, exec_lo, s40
	s_cbranch_vccnz .LBB143_1361
; %bb.1341:
	s_cmp_lt_i32 s0, 2
	s_cbranch_scc1 .LBB143_1345
; %bb.1342:
	s_cmp_lt_i32 s0, 3
	s_cbranch_scc1 .LBB143_1346
; %bb.1343:
	s_cmp_gt_i32 s0, 3
	s_cbranch_scc0 .LBB143_1347
; %bb.1344:
	s_wait_loadcnt 0x0
	global_load_b64 v[4:5], v[10:11], off
	s_mov_b32 s40, 0
	s_wait_loadcnt 0x0
	s_wait_xcnt 0x1
	v_cvt_f64_i32_e32 v[6:7], v5
	v_cvt_f64_u32_e32 v[4:5], v4
	s_delay_alu instid0(VALU_DEP_2) | instskip(NEXT) | instid1(VALU_DEP_1)
	v_ldexp_f64 v[6:7], v[6:7], 32
	v_add_f64_e32 v[4:5], v[6:7], v[4:5]
	s_branch .LBB143_1348
.LBB143_1345:
	s_mov_b32 s40, -1
                                        ; implicit-def: $vgpr4_vgpr5
	s_branch .LBB143_1354
.LBB143_1346:
	s_mov_b32 s40, -1
                                        ; implicit-def: $vgpr4_vgpr5
	s_branch .LBB143_1351
.LBB143_1347:
	s_mov_b32 s40, -1
                                        ; implicit-def: $vgpr4_vgpr5
.LBB143_1348:
	s_delay_alu instid0(SALU_CYCLE_1)
	s_and_not1_b32 vcc_lo, exec_lo, s40
	s_cbranch_vccnz .LBB143_1350
; %bb.1349:
	s_wait_loadcnt 0x0
	global_load_b32 v4, v[10:11], off
	s_wait_loadcnt 0x0
	v_cvt_f64_i32_e32 v[4:5], v4
.LBB143_1350:
	s_mov_b32 s40, 0
.LBB143_1351:
	s_delay_alu instid0(SALU_CYCLE_1)
	s_and_not1_b32 vcc_lo, exec_lo, s40
	s_cbranch_vccnz .LBB143_1353
; %bb.1352:
	s_wait_loadcnt 0x0
	global_load_i16 v4, v[10:11], off
	s_wait_loadcnt 0x0
	v_cvt_f64_i32_e32 v[4:5], v4
.LBB143_1353:
	s_mov_b32 s40, 0
.LBB143_1354:
	s_delay_alu instid0(SALU_CYCLE_1)
	s_and_not1_b32 vcc_lo, exec_lo, s40
	s_cbranch_vccnz .LBB143_1360
; %bb.1355:
	s_cmp_gt_i32 s0, 0
	s_mov_b32 s0, 0
	s_cbranch_scc0 .LBB143_1357
; %bb.1356:
	s_wait_loadcnt 0x0
	global_load_i8 v4, v[10:11], off
	s_wait_loadcnt 0x0
	v_cvt_f64_i32_e32 v[4:5], v4
	s_branch .LBB143_1358
.LBB143_1357:
	s_mov_b32 s0, -1
                                        ; implicit-def: $vgpr4_vgpr5
.LBB143_1358:
	s_delay_alu instid0(SALU_CYCLE_1)
	s_and_not1_b32 vcc_lo, exec_lo, s0
	s_cbranch_vccnz .LBB143_1360
; %bb.1359:
	s_wait_loadcnt 0x0
	global_load_u8 v4, v[10:11], off
	s_wait_loadcnt 0x0
	v_cvt_f64_u32_e32 v[4:5], v4
.LBB143_1360:
	s_wait_loadcnt 0x0
	v_mov_b64_e32 v[6:7], 0
.LBB143_1361:
	s_mov_b32 s41, -1
.LBB143_1362:
	s_delay_alu instid0(SALU_CYCLE_1)
	s_and_not1_b32 vcc_lo, exec_lo, s41
	s_cbranch_vccnz .LBB143_1370
; %bb.1363:
	v_mov_b32_e32 v9, 0
	s_and_b32 s0, 0xffff, s29
	s_delay_alu instid0(SALU_CYCLE_1) | instskip(NEXT) | instid1(VALU_DEP_1)
	s_cmp_lt_i32 s0, 11
	v_add_nc_u64_e32 v[16:17], s[10:11], v[8:9]
	s_cbranch_scc1 .LBB143_1371
; %bb.1364:
	s_cmp_gt_i32 s0, 25
	s_cbranch_scc0 .LBB143_1372
; %bb.1365:
	s_cmp_gt_i32 s0, 28
	s_cbranch_scc0 .LBB143_1373
	;; [unrolled: 3-line block ×4, first 2 shown]
; %bb.1368:
	s_cmp_eq_u32 s0, 46
	s_mov_b32 s64, 0
	s_cbranch_scc0 .LBB143_1384
; %bb.1369:
	global_load_b32 v8, v[16:17], off
	s_mov_b32 s41, -1
	s_mov_b32 s40, 0
	s_wait_loadcnt 0x0
	v_lshlrev_b32_e32 v9, 16, v8
	s_wait_xcnt 0x1
	v_and_b32_e32 v10, 0xffff0000, v8
	s_delay_alu instid0(VALU_DEP_2) | instskip(NEXT) | instid1(VALU_DEP_2)
	v_cvt_f64_f32_e32 v[8:9], v9
	v_cvt_f64_f32_e32 v[10:11], v10
	s_branch .LBB143_1386
.LBB143_1370:
	s_mov_b32 s41, 0
	s_mov_b32 s0, s59
	;; [unrolled: 1-line block ×3, first 2 shown]
	s_branch .LBB143_1630
.LBB143_1371:
	s_mov_b32 s64, -1
	s_mov_b32 s41, 0
	s_mov_b32 s40, s60
                                        ; implicit-def: $vgpr10_vgpr11
	s_branch .LBB143_1450
.LBB143_1372:
	s_mov_b32 s64, -1
	s_mov_b32 s41, 0
	s_mov_b32 s40, s60
                                        ; implicit-def: $vgpr10_vgpr11
	s_branch .LBB143_1415
.LBB143_1373:
	s_mov_b32 s64, -1
	s_mov_b32 s41, 0
	s_mov_b32 s40, s60
                                        ; implicit-def: $vgpr10_vgpr11
	s_branch .LBB143_1398
.LBB143_1374:
	s_mov_b32 s64, -1
	s_mov_b32 s41, 0
	s_mov_b32 s40, s60
                                        ; implicit-def: $vgpr10_vgpr11
	s_branch .LBB143_1392
.LBB143_1375:
	s_mov_b32 s41, -1
	s_mov_b32 s65, exec_lo
	v_cmpx_eq_u16_e32 0x80, v6
; %bb.1376:
	s_xor_b32 s41, exec_lo, -1
; %bb.1377:
	s_or_b32 exec_lo, exec_lo, s65
	s_delay_alu instid0(SALU_CYCLE_1)
	s_and_b32 s41, s41, exec_lo
	s_or_saveexec_b32 s64, s64
	v_mov_b64_e32 v[4:5], 0x7ff8000020000000
	s_xor_b32 exec_lo, exec_lo, s64
	s_cbranch_execz .LBB143_1282
.LBB143_1378:
	v_cmp_ne_u16_e32 vcc_lo, 0, v6
	v_mov_b64_e32 v[4:5], 0
	s_and_not1_b32 s41, s41, exec_lo
	s_and_b32 s65, vcc_lo, exec_lo
	s_delay_alu instid0(SALU_CYCLE_1)
	s_or_b32 s41, s41, s65
	s_or_b32 exec_lo, exec_lo, s64
	s_and_saveexec_b32 s64, s41
	s_cbranch_execnz .LBB143_1283
	s_branch .LBB143_1284
.LBB143_1379:
	s_mov_b32 s64, -1
	s_mov_b32 s41, 0
	s_mov_b32 s40, s60
	s_branch .LBB143_1385
.LBB143_1380:
	v_bfe_u32 v7, v6, 21, 1
	s_mov_b32 s55, exec_lo
	s_delay_alu instid0(VALU_DEP_1) | instskip(NEXT) | instid1(VALU_DEP_1)
	v_add3_u32 v7, v6, v7, 0x88fffff
	v_lshrrev_b32_e32 v7, 21, v7
	s_and_not1_saveexec_b32 s56, s56
	s_cbranch_execz .LBB143_459
.LBB143_1381:
	v_add_f32_e64 v7, 0x42800000, |v6|
	s_and_not1_b32 s55, s55, exec_lo
	s_delay_alu instid0(VALU_DEP_1) | instskip(NEXT) | instid1(VALU_DEP_1)
	v_and_b32_e32 v7, 0xff, v7
	v_cmp_ne_u32_e32 vcc_lo, 0, v7
	s_and_b32 s58, vcc_lo, exec_lo
	s_delay_alu instid0(SALU_CYCLE_1)
	s_or_b32 s55, s55, s58
	s_or_b32 exec_lo, exec_lo, s56
	v_mov_b32_e32 v8, 0
	s_and_saveexec_b32 s56, s55
	s_cbranch_execnz .LBB143_460
	s_branch .LBB143_461
.LBB143_1382:
	v_bfe_u32 v7, v6, 20, 1
	s_mov_b32 s60, exec_lo
	s_delay_alu instid0(VALU_DEP_1) | instskip(NEXT) | instid1(VALU_DEP_1)
	v_add3_u32 v7, v6, v7, 0x487ffff
	v_lshrrev_b32_e32 v7, 20, v7
	s_and_not1_saveexec_b32 s61, s61
	s_cbranch_execz .LBB143_992
.LBB143_1383:
	v_add_f32_e64 v7, 0x46000000, |v6|
	s_and_not1_b32 s60, s60, exec_lo
	s_delay_alu instid0(VALU_DEP_1) | instskip(NEXT) | instid1(VALU_DEP_1)
	v_and_b32_e32 v7, 0xff, v7
	v_cmp_ne_u32_e32 vcc_lo, 0, v7
	s_and_b32 s63, vcc_lo, exec_lo
	s_delay_alu instid0(SALU_CYCLE_1)
	s_or_b32 s60, s60, s63
	s_or_b32 exec_lo, exec_lo, s61
	v_mov_b32_e32 v8, 0
	s_and_saveexec_b32 s61, s60
	s_cbranch_execnz .LBB143_993
	s_branch .LBB143_994
.LBB143_1384:
	s_mov_b32 s40, -1
	s_mov_b32 s41, 0
.LBB143_1385:
                                        ; implicit-def: $vgpr10_vgpr11
.LBB143_1386:
	s_and_b32 vcc_lo, exec_lo, s64
	s_cbranch_vccz .LBB143_1391
; %bb.1387:
	s_cmp_eq_u32 s0, 44
	s_cbranch_scc0 .LBB143_1389
; %bb.1388:
	global_load_u8 v10, v[16:17], off
	s_mov_b32 s40, 0
	s_mov_b32 s41, -1
	s_wait_loadcnt 0x0
	v_cmp_ne_u32_e32 vcc_lo, 0xff, v10
	v_lshlrev_b32_e32 v8, 23, v10
	s_delay_alu instid0(VALU_DEP_1) | instskip(NEXT) | instid1(VALU_DEP_1)
	v_cvt_f64_f32_e32 v[8:9], v8
	v_cndmask_b32_e32 v8, 0x20000000, v8, vcc_lo
	s_delay_alu instid0(VALU_DEP_2) | instskip(SKIP_1) | instid1(VALU_DEP_2)
	v_cndmask_b32_e32 v9, 0x7ff80000, v9, vcc_lo
	v_cmp_ne_u32_e32 vcc_lo, 0, v10
	v_cndmask_b32_e32 v9, 0x38000000, v9, vcc_lo
	s_delay_alu instid0(VALU_DEP_4)
	v_cndmask_b32_e32 v8, 0, v8, vcc_lo
	s_branch .LBB143_1390
.LBB143_1389:
	s_mov_b32 s40, -1
                                        ; implicit-def: $vgpr8_vgpr9
.LBB143_1390:
	s_wait_xcnt 0x0
	v_mov_b64_e32 v[10:11], 0
.LBB143_1391:
	s_mov_b32 s64, 0
.LBB143_1392:
	s_delay_alu instid0(SALU_CYCLE_1)
	s_and_b32 vcc_lo, exec_lo, s64
	s_cbranch_vccz .LBB143_1397
; %bb.1393:
	s_cmp_eq_u32 s0, 29
	s_cbranch_scc0 .LBB143_1395
; %bb.1394:
	global_load_b64 v[8:9], v[16:17], off
	s_mov_b32 s41, -1
	s_mov_b32 s40, 0
	s_wait_loadcnt 0x0
	s_wait_xcnt 0x1
	v_cvt_f64_u32_e32 v[10:11], v9
	v_cvt_f64_u32_e32 v[8:9], v8
	s_delay_alu instid0(VALU_DEP_2) | instskip(NEXT) | instid1(VALU_DEP_1)
	v_ldexp_f64 v[10:11], v[10:11], 32
	v_add_f64_e32 v[8:9], v[10:11], v[8:9]
	s_branch .LBB143_1396
.LBB143_1395:
	s_mov_b32 s40, -1
                                        ; implicit-def: $vgpr8_vgpr9
.LBB143_1396:
	s_wait_xcnt 0x0
	v_mov_b64_e32 v[10:11], 0
.LBB143_1397:
	s_mov_b32 s64, 0
.LBB143_1398:
	s_delay_alu instid0(SALU_CYCLE_1)
	s_and_b32 vcc_lo, exec_lo, s64
	s_cbranch_vccz .LBB143_1414
; %bb.1399:
	s_cmp_lt_i32 s0, 27
	s_cbranch_scc1 .LBB143_1402
; %bb.1400:
	s_cmp_gt_i32 s0, 27
	s_cbranch_scc0 .LBB143_1403
; %bb.1401:
	global_load_b32 v8, v[16:17], off
	s_mov_b32 s41, 0
	s_wait_loadcnt 0x0
	v_cvt_f64_u32_e32 v[8:9], v8
	s_branch .LBB143_1404
.LBB143_1402:
	s_mov_b32 s41, -1
                                        ; implicit-def: $vgpr8_vgpr9
	s_branch .LBB143_1407
.LBB143_1403:
	s_mov_b32 s41, -1
                                        ; implicit-def: $vgpr8_vgpr9
.LBB143_1404:
	s_delay_alu instid0(SALU_CYCLE_1)
	s_and_not1_b32 vcc_lo, exec_lo, s41
	s_cbranch_vccnz .LBB143_1406
; %bb.1405:
	global_load_u16 v8, v[16:17], off
	s_wait_loadcnt 0x0
	v_cvt_f64_u32_e32 v[8:9], v8
.LBB143_1406:
	s_mov_b32 s41, 0
.LBB143_1407:
	s_delay_alu instid0(SALU_CYCLE_1)
	s_and_not1_b32 vcc_lo, exec_lo, s41
	s_cbranch_vccnz .LBB143_1413
; %bb.1408:
	global_load_u8 v10, v[16:17], off
	s_mov_b32 s41, 0
	s_mov_b32 s64, exec_lo
	s_wait_loadcnt 0x0
	v_cmpx_lt_i16_e32 0x7f, v10
	s_xor_b32 s64, exec_lo, s64
	s_cbranch_execnz .LBB143_1426
; %bb.1409:
	s_or_saveexec_b32 s64, s64
	v_mov_b64_e32 v[8:9], 0x7ff8000020000000
	s_xor_b32 exec_lo, exec_lo, s64
	s_cbranch_execnz .LBB143_1429
.LBB143_1410:
	s_or_b32 exec_lo, exec_lo, s64
	s_and_saveexec_b32 s64, s41
	s_cbranch_execz .LBB143_1412
.LBB143_1411:
	v_and_b32_e32 v8, 0xffff, v10
	s_delay_alu instid0(VALU_DEP_1) | instskip(SKIP_1) | instid1(VALU_DEP_2)
	v_and_b32_e32 v9, 7, v8
	v_bfe_u32 v15, v8, 3, 4
	v_clz_i32_u32_e32 v11, v9
	s_delay_alu instid0(VALU_DEP_2) | instskip(NEXT) | instid1(VALU_DEP_2)
	v_cmp_eq_u32_e32 vcc_lo, 0, v15
	v_min_u32_e32 v11, 32, v11
	s_delay_alu instid0(VALU_DEP_1) | instskip(NEXT) | instid1(VALU_DEP_1)
	v_subrev_nc_u32_e32 v13, 28, v11
	v_dual_lshlrev_b32 v8, v13, v8 :: v_dual_sub_nc_u32 v11, 29, v11
	s_delay_alu instid0(VALU_DEP_1) | instskip(NEXT) | instid1(VALU_DEP_1)
	v_dual_lshlrev_b32 v10, 24, v10 :: v_dual_bitop2_b32 v8, 7, v8 bitop3:0x40
	v_dual_cndmask_b32 v11, v15, v11 :: v_dual_cndmask_b32 v8, v9, v8
	s_delay_alu instid0(VALU_DEP_2) | instskip(NEXT) | instid1(VALU_DEP_2)
	v_and_b32_e32 v9, 0x80000000, v10
	v_lshl_add_u32 v10, v11, 23, 0x3b800000
	s_delay_alu instid0(VALU_DEP_3) | instskip(NEXT) | instid1(VALU_DEP_1)
	v_lshlrev_b32_e32 v8, 20, v8
	v_or3_b32 v8, v9, v10, v8
	s_delay_alu instid0(VALU_DEP_1)
	v_cvt_f64_f32_e32 v[8:9], v8
.LBB143_1412:
	s_or_b32 exec_lo, exec_lo, s64
.LBB143_1413:
	s_wait_xcnt 0x0
	v_mov_b64_e32 v[10:11], 0
	s_mov_b32 s41, -1
.LBB143_1414:
	s_mov_b32 s64, 0
.LBB143_1415:
	s_delay_alu instid0(SALU_CYCLE_1)
	s_and_b32 vcc_lo, exec_lo, s64
	s_cbranch_vccz .LBB143_1449
; %bb.1416:
	s_cmp_gt_i32 s0, 22
	s_cbranch_scc0 .LBB143_1424
; %bb.1417:
	s_cmp_lt_i32 s0, 24
	s_cbranch_scc1 .LBB143_1425
; %bb.1418:
	s_cmp_gt_i32 s0, 24
	s_cbranch_scc0 .LBB143_1430
; %bb.1419:
	global_load_u8 v10, v[16:17], off
	s_mov_b32 s41, 0
	s_mov_b32 s64, exec_lo
	s_wait_loadcnt 0x0
	v_cmpx_lt_i16_e32 0x7f, v10
	s_xor_b32 s64, exec_lo, s64
	s_cbranch_execnz .LBB143_1514
; %bb.1420:
	s_or_saveexec_b32 s64, s64
	v_mov_b64_e32 v[8:9], 0x7ff8000020000000
	s_xor_b32 exec_lo, exec_lo, s64
	s_cbranch_execnz .LBB143_1517
.LBB143_1421:
	s_or_b32 exec_lo, exec_lo, s64
	s_and_saveexec_b32 s64, s41
	s_cbranch_execz .LBB143_1423
.LBB143_1422:
	v_and_b32_e32 v8, 0xffff, v10
	s_delay_alu instid0(VALU_DEP_1) | instskip(SKIP_1) | instid1(VALU_DEP_2)
	v_and_b32_e32 v9, 3, v8
	v_bfe_u32 v15, v8, 2, 5
	v_clz_i32_u32_e32 v11, v9
	s_delay_alu instid0(VALU_DEP_2) | instskip(NEXT) | instid1(VALU_DEP_2)
	v_cmp_eq_u32_e32 vcc_lo, 0, v15
	v_min_u32_e32 v11, 32, v11
	s_delay_alu instid0(VALU_DEP_1) | instskip(NEXT) | instid1(VALU_DEP_1)
	v_subrev_nc_u32_e32 v13, 29, v11
	v_dual_lshlrev_b32 v8, v13, v8 :: v_dual_sub_nc_u32 v11, 30, v11
	s_delay_alu instid0(VALU_DEP_1) | instskip(NEXT) | instid1(VALU_DEP_1)
	v_dual_lshlrev_b32 v10, 24, v10 :: v_dual_bitop2_b32 v8, 3, v8 bitop3:0x40
	v_dual_cndmask_b32 v11, v15, v11 :: v_dual_cndmask_b32 v8, v9, v8
	s_delay_alu instid0(VALU_DEP_2) | instskip(NEXT) | instid1(VALU_DEP_2)
	v_and_b32_e32 v9, 0x80000000, v10
	v_lshl_add_u32 v10, v11, 23, 0x37800000
	s_delay_alu instid0(VALU_DEP_3) | instskip(NEXT) | instid1(VALU_DEP_1)
	v_lshlrev_b32_e32 v8, 21, v8
	v_or3_b32 v8, v9, v10, v8
	s_delay_alu instid0(VALU_DEP_1)
	v_cvt_f64_f32_e32 v[8:9], v8
.LBB143_1423:
	s_or_b32 exec_lo, exec_lo, s64
	s_mov_b32 s41, 0
	s_branch .LBB143_1431
.LBB143_1424:
	s_mov_b32 s64, -1
                                        ; implicit-def: $vgpr8_vgpr9
	s_branch .LBB143_1437
.LBB143_1425:
	s_mov_b32 s41, -1
                                        ; implicit-def: $vgpr8_vgpr9
	s_branch .LBB143_1434
.LBB143_1426:
	s_mov_b32 s41, -1
	s_mov_b32 s65, exec_lo
	v_cmpx_eq_u16_e32 0x80, v10
; %bb.1427:
	s_xor_b32 s41, exec_lo, -1
; %bb.1428:
	s_or_b32 exec_lo, exec_lo, s65
	s_delay_alu instid0(SALU_CYCLE_1)
	s_and_b32 s41, s41, exec_lo
	s_or_saveexec_b32 s64, s64
	v_mov_b64_e32 v[8:9], 0x7ff8000020000000
	s_xor_b32 exec_lo, exec_lo, s64
	s_cbranch_execz .LBB143_1410
.LBB143_1429:
	v_cmp_ne_u16_e32 vcc_lo, 0, v10
	v_mov_b64_e32 v[8:9], 0
	s_and_not1_b32 s41, s41, exec_lo
	s_and_b32 s65, vcc_lo, exec_lo
	s_delay_alu instid0(SALU_CYCLE_1)
	s_or_b32 s41, s41, s65
	s_or_b32 exec_lo, exec_lo, s64
	s_and_saveexec_b32 s64, s41
	s_cbranch_execnz .LBB143_1411
	s_branch .LBB143_1412
.LBB143_1430:
	s_mov_b32 s41, -1
                                        ; implicit-def: $vgpr8_vgpr9
.LBB143_1431:
	s_delay_alu instid0(SALU_CYCLE_1)
	s_and_b32 vcc_lo, exec_lo, s41
	s_cbranch_vccz .LBB143_1433
; %bb.1432:
	global_load_u8 v8, v[16:17], off
	s_wait_loadcnt 0x0
	v_lshlrev_b32_e32 v8, 24, v8
	s_delay_alu instid0(VALU_DEP_1) | instskip(SKIP_1) | instid1(VALU_DEP_1)
	v_and_b32_e32 v9, 0x7f000000, v8
	s_wait_xcnt 0x1
	v_clz_i32_u32_e32 v10, v9
	v_add_nc_u32_e32 v13, 0x1000000, v9
	v_cmp_ne_u32_e32 vcc_lo, 0, v9
	s_delay_alu instid0(VALU_DEP_3) | instskip(NEXT) | instid1(VALU_DEP_1)
	v_min_u32_e32 v10, 32, v10
	v_sub_nc_u32_e64 v10, v10, 4 clamp
	s_delay_alu instid0(VALU_DEP_1) | instskip(NEXT) | instid1(VALU_DEP_1)
	v_dual_lshlrev_b32 v11, v10, v9 :: v_dual_lshlrev_b32 v10, 23, v10
	v_lshrrev_b32_e32 v11, 4, v11
	s_delay_alu instid0(VALU_DEP_1) | instskip(NEXT) | instid1(VALU_DEP_1)
	v_dual_sub_nc_u32 v10, v11, v10 :: v_dual_ashrrev_i32 v11, 8, v13
	v_add_nc_u32_e32 v10, 0x3c000000, v10
	s_delay_alu instid0(VALU_DEP_1) | instskip(NEXT) | instid1(VALU_DEP_1)
	v_and_or_b32 v10, 0x7f800000, v11, v10
	v_cndmask_b32_e32 v9, 0, v10, vcc_lo
	s_delay_alu instid0(VALU_DEP_1) | instskip(NEXT) | instid1(VALU_DEP_1)
	v_and_or_b32 v8, 0x80000000, v8, v9
	v_cvt_f64_f32_e32 v[8:9], v8
.LBB143_1433:
	s_mov_b32 s41, 0
.LBB143_1434:
	s_delay_alu instid0(SALU_CYCLE_1)
	s_and_not1_b32 vcc_lo, exec_lo, s41
	s_cbranch_vccnz .LBB143_1436
; %bb.1435:
	global_load_u8 v8, v[16:17], off
	s_wait_loadcnt 0x0
	v_lshlrev_b32_e32 v9, 25, v8
	v_lshlrev_b16 v8, 8, v8
	s_wait_xcnt 0x1
	s_delay_alu instid0(VALU_DEP_1) | instskip(SKIP_1) | instid1(VALU_DEP_2)
	v_and_or_b32 v11, 0x7f00, v8, 0.5
	v_bfe_i32 v8, v8, 0, 16
	v_dual_add_f32 v11, -0.5, v11 :: v_dual_lshrrev_b32 v10, 4, v9
	v_cmp_gt_u32_e32 vcc_lo, 0x8000000, v9
	s_delay_alu instid0(VALU_DEP_2) | instskip(NEXT) | instid1(VALU_DEP_1)
	v_or_b32_e32 v10, 0x70000000, v10
	v_mul_f32_e32 v10, 0x7800000, v10
	s_delay_alu instid0(VALU_DEP_1) | instskip(NEXT) | instid1(VALU_DEP_1)
	v_cndmask_b32_e32 v9, v10, v11, vcc_lo
	v_and_or_b32 v8, 0x80000000, v8, v9
	s_delay_alu instid0(VALU_DEP_1)
	v_cvt_f64_f32_e32 v[8:9], v8
.LBB143_1436:
	s_mov_b32 s64, 0
	s_mov_b32 s41, -1
.LBB143_1437:
	s_and_not1_b32 vcc_lo, exec_lo, s64
	s_cbranch_vccnz .LBB143_1448
; %bb.1438:
	s_cmp_gt_i32 s0, 14
	s_cbranch_scc0 .LBB143_1441
; %bb.1439:
	s_cmp_eq_u32 s0, 15
	s_cbranch_scc0 .LBB143_1442
; %bb.1440:
	global_load_u16 v8, v[16:17], off
	s_mov_b32 s41, -1
	s_mov_b32 s40, 0
	s_wait_loadcnt 0x0
	v_lshlrev_b32_e32 v8, 16, v8
	s_delay_alu instid0(VALU_DEP_1)
	v_cvt_f64_f32_e32 v[8:9], v8
	s_branch .LBB143_1443
.LBB143_1441:
	s_mov_b32 s64, -1
                                        ; implicit-def: $vgpr8_vgpr9
	s_branch .LBB143_1444
.LBB143_1442:
	s_mov_b32 s40, -1
                                        ; implicit-def: $vgpr8_vgpr9
.LBB143_1443:
	s_mov_b32 s64, 0
.LBB143_1444:
	s_delay_alu instid0(SALU_CYCLE_1)
	s_and_b32 vcc_lo, exec_lo, s64
	s_cbranch_vccz .LBB143_1448
; %bb.1445:
	s_cmp_eq_u32 s0, 11
	s_cbranch_scc0 .LBB143_1447
; %bb.1446:
	global_load_u8 v8, v[16:17], off
	s_mov_b32 s40, 0
	s_mov_b32 s41, -1
	s_wait_xcnt 0x1
	v_mov_b64_e32 v[10:11], 0
	s_wait_loadcnt 0x0
	v_cmp_ne_u16_e32 vcc_lo, 0, v8
	v_mov_b32_e32 v8, 0
	v_cndmask_b32_e64 v9, 0, 0x3ff00000, vcc_lo
	s_branch .LBB143_1449
.LBB143_1447:
	s_mov_b32 s40, -1
                                        ; implicit-def: $vgpr8_vgpr9
.LBB143_1448:
	s_wait_xcnt 0x0
	v_mov_b64_e32 v[10:11], 0
.LBB143_1449:
	s_mov_b32 s64, 0
.LBB143_1450:
	s_delay_alu instid0(SALU_CYCLE_1)
	s_and_b32 vcc_lo, exec_lo, s64
	s_cbranch_vccz .LBB143_1501
; %bb.1451:
	s_cmp_lt_i32 s0, 5
	s_cbranch_scc1 .LBB143_1456
; %bb.1452:
	s_cmp_lt_i32 s0, 8
	s_cbranch_scc1 .LBB143_1457
	;; [unrolled: 3-line block ×3, first 2 shown]
; %bb.1454:
	s_cmp_gt_i32 s0, 9
	s_cbranch_scc0 .LBB143_1459
; %bb.1455:
	global_load_b128 v[8:11], v[16:17], off
	s_mov_b32 s41, 0
	s_branch .LBB143_1460
.LBB143_1456:
	s_mov_b32 s41, -1
                                        ; implicit-def: $vgpr10_vgpr11
	s_branch .LBB143_1479
.LBB143_1457:
	s_mov_b32 s41, -1
                                        ; implicit-def: $vgpr10_vgpr11
	s_branch .LBB143_1466
.LBB143_1458:
	s_mov_b32 s41, -1
                                        ; implicit-def: $vgpr10_vgpr11
	s_branch .LBB143_1463
.LBB143_1459:
	s_mov_b32 s41, -1
                                        ; implicit-def: $vgpr10_vgpr11
.LBB143_1460:
	s_delay_alu instid0(SALU_CYCLE_1)
	s_and_not1_b32 vcc_lo, exec_lo, s41
	s_cbranch_vccnz .LBB143_1462
; %bb.1461:
	s_wait_loadcnt 0x0
	global_load_b64 v[10:11], v[16:17], off
	s_wait_loadcnt 0x0
	v_cvt_f64_f32_e32 v[8:9], v10
	v_cvt_f64_f32_e32 v[10:11], v11
.LBB143_1462:
	s_mov_b32 s41, 0
.LBB143_1463:
	s_delay_alu instid0(SALU_CYCLE_1)
	s_and_not1_b32 vcc_lo, exec_lo, s41
	s_cbranch_vccnz .LBB143_1465
; %bb.1464:
	s_wait_loadcnt 0x0
	global_load_b32 v8, v[16:17], off
	s_wait_loadcnt 0x0
	v_lshrrev_b32_e32 v9, 16, v8
	v_cvt_f32_f16_e32 v8, v8
	s_wait_xcnt 0x1
	s_delay_alu instid0(VALU_DEP_2) | instskip(NEXT) | instid1(VALU_DEP_2)
	v_cvt_f32_f16_e32 v10, v9
	v_cvt_f64_f32_e32 v[8:9], v8
	s_delay_alu instid0(VALU_DEP_2)
	v_cvt_f64_f32_e32 v[10:11], v10
.LBB143_1465:
	s_mov_b32 s41, 0
.LBB143_1466:
	s_delay_alu instid0(SALU_CYCLE_1)
	s_and_not1_b32 vcc_lo, exec_lo, s41
	s_cbranch_vccnz .LBB143_1478
; %bb.1467:
	s_cmp_lt_i32 s0, 6
	s_cbranch_scc1 .LBB143_1470
; %bb.1468:
	s_cmp_gt_i32 s0, 6
	s_cbranch_scc0 .LBB143_1471
; %bb.1469:
	s_wait_loadcnt 0x0
	global_load_b64 v[8:9], v[16:17], off
	s_mov_b32 s41, 0
	s_branch .LBB143_1472
.LBB143_1470:
	s_mov_b32 s41, -1
                                        ; implicit-def: $vgpr8_vgpr9
	s_branch .LBB143_1475
.LBB143_1471:
	s_mov_b32 s41, -1
                                        ; implicit-def: $vgpr8_vgpr9
.LBB143_1472:
	s_delay_alu instid0(SALU_CYCLE_1)
	s_and_not1_b32 vcc_lo, exec_lo, s41
	s_cbranch_vccnz .LBB143_1474
; %bb.1473:
	s_wait_loadcnt 0x0
	global_load_b32 v8, v[16:17], off
	s_wait_loadcnt 0x0
	v_cvt_f64_f32_e32 v[8:9], v8
.LBB143_1474:
	s_mov_b32 s41, 0
.LBB143_1475:
	s_delay_alu instid0(SALU_CYCLE_1)
	s_and_not1_b32 vcc_lo, exec_lo, s41
	s_cbranch_vccnz .LBB143_1477
; %bb.1476:
	s_wait_loadcnt 0x0
	global_load_u16 v8, v[16:17], off
	s_wait_loadcnt 0x0
	v_cvt_f32_f16_e32 v8, v8
	s_delay_alu instid0(VALU_DEP_1)
	v_cvt_f64_f32_e32 v[8:9], v8
.LBB143_1477:
	s_wait_loadcnt 0x0
	v_mov_b64_e32 v[10:11], 0
.LBB143_1478:
	s_mov_b32 s41, 0
.LBB143_1479:
	s_delay_alu instid0(SALU_CYCLE_1)
	s_and_not1_b32 vcc_lo, exec_lo, s41
	s_cbranch_vccnz .LBB143_1500
; %bb.1480:
	s_cmp_lt_i32 s0, 2
	s_cbranch_scc1 .LBB143_1484
; %bb.1481:
	s_cmp_lt_i32 s0, 3
	s_cbranch_scc1 .LBB143_1485
; %bb.1482:
	s_cmp_gt_i32 s0, 3
	s_cbranch_scc0 .LBB143_1486
; %bb.1483:
	s_wait_loadcnt 0x0
	global_load_b64 v[8:9], v[16:17], off
	s_mov_b32 s41, 0
	s_wait_loadcnt 0x0
	s_wait_xcnt 0x1
	v_cvt_f64_i32_e32 v[10:11], v9
	v_cvt_f64_u32_e32 v[8:9], v8
	s_delay_alu instid0(VALU_DEP_2) | instskip(NEXT) | instid1(VALU_DEP_1)
	v_ldexp_f64 v[10:11], v[10:11], 32
	v_add_f64_e32 v[8:9], v[10:11], v[8:9]
	s_branch .LBB143_1487
.LBB143_1484:
	s_mov_b32 s41, -1
                                        ; implicit-def: $vgpr8_vgpr9
	s_branch .LBB143_1493
.LBB143_1485:
	s_mov_b32 s41, -1
                                        ; implicit-def: $vgpr8_vgpr9
	s_branch .LBB143_1490
.LBB143_1486:
	s_mov_b32 s41, -1
                                        ; implicit-def: $vgpr8_vgpr9
.LBB143_1487:
	s_delay_alu instid0(SALU_CYCLE_1)
	s_and_not1_b32 vcc_lo, exec_lo, s41
	s_cbranch_vccnz .LBB143_1489
; %bb.1488:
	s_wait_loadcnt 0x0
	global_load_b32 v8, v[16:17], off
	s_wait_loadcnt 0x0
	v_cvt_f64_i32_e32 v[8:9], v8
.LBB143_1489:
	s_mov_b32 s41, 0
.LBB143_1490:
	s_delay_alu instid0(SALU_CYCLE_1)
	s_and_not1_b32 vcc_lo, exec_lo, s41
	s_cbranch_vccnz .LBB143_1492
; %bb.1491:
	s_wait_loadcnt 0x0
	global_load_i16 v8, v[16:17], off
	s_wait_loadcnt 0x0
	v_cvt_f64_i32_e32 v[8:9], v8
.LBB143_1492:
	s_mov_b32 s41, 0
.LBB143_1493:
	s_delay_alu instid0(SALU_CYCLE_1)
	s_and_not1_b32 vcc_lo, exec_lo, s41
	s_cbranch_vccnz .LBB143_1499
; %bb.1494:
	s_cmp_gt_i32 s0, 0
	s_mov_b32 s0, 0
	s_cbranch_scc0 .LBB143_1496
; %bb.1495:
	s_wait_loadcnt 0x0
	global_load_i8 v8, v[16:17], off
	s_wait_loadcnt 0x0
	v_cvt_f64_i32_e32 v[8:9], v8
	s_branch .LBB143_1497
.LBB143_1496:
	s_mov_b32 s0, -1
                                        ; implicit-def: $vgpr8_vgpr9
.LBB143_1497:
	s_delay_alu instid0(SALU_CYCLE_1)
	s_and_not1_b32 vcc_lo, exec_lo, s0
	s_cbranch_vccnz .LBB143_1499
; %bb.1498:
	s_wait_loadcnt 0x0
	global_load_u8 v8, v[16:17], off
	s_wait_loadcnt 0x0
	v_cvt_f64_u32_e32 v[8:9], v8
.LBB143_1499:
	s_wait_loadcnt 0x0
	v_mov_b64_e32 v[10:11], 0
.LBB143_1500:
	s_mov_b32 s41, -1
.LBB143_1501:
	s_delay_alu instid0(SALU_CYCLE_1)
	s_and_not1_b32 vcc_lo, exec_lo, s41
	s_cbranch_vccnz .LBB143_1509
; %bb.1502:
	s_wait_loadcnt 0x0
	s_delay_alu instid0(VALU_DEP_3) | instskip(NEXT) | instid1(VALU_DEP_4)
	v_dual_mul_f64 v[16:17], s[18:19], v[4:5] :: v_dual_mov_b32 v15, 0
	v_mul_f64_e32 v[18:19], s[18:19], v[6:7]
	v_mul_f64_e32 v[20:21], s[14:15], v[0:1]
	s_and_b32 s41, s46, 0xff
	s_delay_alu instid0(SALU_CYCLE_1) | instskip(NEXT) | instid1(VALU_DEP_3)
	s_cmp_lt_i32 s41, 11
	v_fmac_f64_e32 v[16:17], s[16:17], v[6:7]
	v_mul_f64_e32 v[6:7], s[14:15], v[2:3]
	s_delay_alu instid0(VALU_DEP_4) | instskip(NEXT) | instid1(VALU_DEP_4)
	v_fma_f64 v[4:5], v[4:5], s[16:17], -v[18:19]
	v_fmac_f64_e32 v[20:21], s[12:13], v[2:3]
	s_delay_alu instid0(VALU_DEP_4) | instskip(SKIP_2) | instid1(VALU_DEP_3)
	v_mul_f64_e32 v[18:19], v[10:11], v[16:17]
	v_mul_f64_e32 v[16:17], v[8:9], v[16:17]
	v_fma_f64 v[0:1], v[0:1], s[12:13], -v[6:7]
	v_fma_f64 v[2:3], v[8:9], v[4:5], -v[18:19]
	s_delay_alu instid0(VALU_DEP_3) | instskip(SKIP_1) | instid1(VALU_DEP_3)
	v_fmac_f64_e32 v[16:17], v[10:11], v[4:5]
	v_add_nc_u64_e32 v[4:5], s[4:5], v[14:15]
	v_add_f64_e32 v[0:1], v[0:1], v[2:3]
	s_delay_alu instid0(VALU_DEP_3)
	v_add_f64_e32 v[2:3], v[20:21], v[16:17]
	s_cbranch_scc1 .LBB143_1510
; %bb.1503:
	s_and_b32 s64, 0xffff, s41
	s_delay_alu instid0(SALU_CYCLE_1)
	s_cmp_gt_i32 s64, 25
	s_cbranch_scc0 .LBB143_1511
; %bb.1504:
	s_cmp_gt_i32 s64, 28
	s_cbranch_scc0 .LBB143_1512
; %bb.1505:
	s_cmp_gt_i32 s64, 43
	s_cbranch_scc0 .LBB143_1513
; %bb.1506:
	s_cmp_gt_i32 s64, 45
	s_cbranch_scc0 .LBB143_1518
; %bb.1507:
	s_mov_b32 s66, 0
	s_mov_b32 s0, -1
	s_cmp_eq_u32 s64, 46
	s_mov_b32 s65, 0
	s_cbranch_scc0 .LBB143_1519
; %bb.1508:
	s_delay_alu instid0(VALU_DEP_1) | instskip(NEXT) | instid1(VALU_DEP_3)
	v_cvt_f32_f64_e32 v6, v[2:3]
	v_cvt_f32_f64_e32 v7, v[0:1]
	s_mov_b32 s65, -1
	s_mov_b32 s0, 0
	s_delay_alu instid0(VALU_DEP_2) | instskip(NEXT) | instid1(VALU_DEP_2)
	v_bfe_u32 v8, v6, 16, 1
	v_bfe_u32 v9, v7, 16, 1
	v_cmp_o_f32_e32 vcc_lo, v6, v6
	s_delay_alu instid0(VALU_DEP_3) | instskip(NEXT) | instid1(VALU_DEP_3)
	v_add3_u32 v8, v6, v8, 0x7fff
	v_add3_u32 v9, v7, v9, 0x7fff
	s_delay_alu instid0(VALU_DEP_2) | instskip(NEXT) | instid1(VALU_DEP_1)
	v_and_b32_e32 v8, 0xffff0000, v8
	v_dual_cndmask_b32 v6, 0x7fc00000, v8 :: v_dual_lshrrev_b32 v9, 16, v9
	v_cmp_o_f32_e32 vcc_lo, v7, v7
	s_delay_alu instid0(VALU_DEP_2) | instskip(NEXT) | instid1(VALU_DEP_1)
	v_cndmask_b32_e32 v7, 0x7fc0, v9, vcc_lo
	v_or_b32_e32 v6, v6, v7
	global_store_b32 v[4:5], v6, off
	s_branch .LBB143_1519
.LBB143_1509:
	s_mov_b32 s41, 0
	s_mov_b32 s0, s59
	s_branch .LBB143_1630
.LBB143_1510:
	s_mov_b32 s64, -1
	s_mov_b32 s65, 0
	s_mov_b32 s0, s59
	s_branch .LBB143_1588
.LBB143_1511:
	s_mov_b32 s66, -1
	s_mov_b32 s65, 0
	s_mov_b32 s0, s59
	s_branch .LBB143_1546
.LBB143_1512:
	s_mov_b32 s66, -1
	s_mov_b32 s65, 0
	s_mov_b32 s0, s59
	s_branch .LBB143_1529
.LBB143_1513:
	s_mov_b32 s66, -1
	s_mov_b32 s65, 0
	s_mov_b32 s0, s59
	s_branch .LBB143_1525
.LBB143_1514:
	s_mov_b32 s41, -1
	s_mov_b32 s65, exec_lo
	v_cmpx_eq_u16_e32 0x80, v10
; %bb.1515:
	s_xor_b32 s41, exec_lo, -1
; %bb.1516:
	s_or_b32 exec_lo, exec_lo, s65
	s_delay_alu instid0(SALU_CYCLE_1)
	s_and_b32 s41, s41, exec_lo
	s_or_saveexec_b32 s64, s64
	v_mov_b64_e32 v[8:9], 0x7ff8000020000000
	s_xor_b32 exec_lo, exec_lo, s64
	s_cbranch_execz .LBB143_1421
.LBB143_1517:
	v_cmp_ne_u16_e32 vcc_lo, 0, v10
	v_mov_b64_e32 v[8:9], 0
	s_and_not1_b32 s41, s41, exec_lo
	s_and_b32 s65, vcc_lo, exec_lo
	s_delay_alu instid0(SALU_CYCLE_1)
	s_or_b32 s41, s41, s65
	s_or_b32 exec_lo, exec_lo, s64
	s_and_saveexec_b32 s64, s41
	s_cbranch_execnz .LBB143_1422
	s_branch .LBB143_1423
.LBB143_1518:
	s_mov_b32 s66, -1
	s_mov_b32 s65, 0
	s_mov_b32 s0, s59
.LBB143_1519:
	s_and_b32 vcc_lo, exec_lo, s66
	s_cbranch_vccz .LBB143_1524
; %bb.1520:
	s_cmp_eq_u32 s64, 44
	s_mov_b32 s0, -1
	s_cbranch_scc0 .LBB143_1524
; %bb.1521:
	s_wait_xcnt 0x0
	s_delay_alu instid0(VALU_DEP_2) | instskip(SKIP_2) | instid1(VALU_DEP_2)
	v_cvt_f32_f64_e32 v6, v[0:1]
	v_mov_b32_e32 v7, 0xff
	s_mov_b32 s65, exec_lo
	v_bfe_u32 v8, v6, 23, 8
	s_delay_alu instid0(VALU_DEP_1)
	v_cmpx_ne_u32_e32 0xff, v8
	s_cbranch_execz .LBB143_1523
; %bb.1522:
	v_and_b32_e32 v7, 0x400000, v6
	v_and_or_b32 v8, 0x3fffff, v6, v8
	v_lshrrev_b32_e32 v6, 23, v6
	s_delay_alu instid0(VALU_DEP_3) | instskip(NEXT) | instid1(VALU_DEP_3)
	v_cmp_ne_u32_e32 vcc_lo, 0, v7
	v_cmp_ne_u32_e64 s0, 0, v8
	s_and_b32 s0, vcc_lo, s0
	s_delay_alu instid0(SALU_CYCLE_1) | instskip(NEXT) | instid1(VALU_DEP_1)
	v_cndmask_b32_e64 v7, 0, 1, s0
	v_add_nc_u32_e32 v7, v6, v7
.LBB143_1523:
	s_or_b32 exec_lo, exec_lo, s65
	s_mov_b32 s65, -1
	s_mov_b32 s0, 0
	global_store_b8 v[4:5], v7, off
.LBB143_1524:
	s_mov_b32 s66, 0
.LBB143_1525:
	s_delay_alu instid0(SALU_CYCLE_1)
	s_and_b32 vcc_lo, exec_lo, s66
	s_cbranch_vccz .LBB143_1528
; %bb.1526:
	s_cmp_eq_u32 s64, 29
	s_mov_b32 s0, -1
	s_cbranch_scc0 .LBB143_1528
; %bb.1527:
	s_wait_xcnt 0x0
	s_delay_alu instid0(VALU_DEP_2) | instskip(SKIP_3) | instid1(VALU_DEP_1)
	v_trunc_f64_e32 v[6:7], v[0:1]
	s_mov_b32 s65, -1
	s_mov_b32 s0, 0
	s_mov_b32 s66, 0
	v_ldexp_f64 v[8:9], v[6:7], 0xffffffe0
	s_delay_alu instid0(VALU_DEP_1) | instskip(NEXT) | instid1(VALU_DEP_1)
	v_floor_f64_e32 v[8:9], v[8:9]
	v_fmamk_f64 v[6:7], v[8:9], 0xc1f00000, v[6:7]
	v_cvt_u32_f64_e32 v9, v[8:9]
	s_delay_alu instid0(VALU_DEP_2)
	v_cvt_u32_f64_e32 v8, v[6:7]
	global_store_b64 v[4:5], v[8:9], off
	s_branch .LBB143_1529
.LBB143_1528:
	s_mov_b32 s66, 0
.LBB143_1529:
	s_delay_alu instid0(SALU_CYCLE_1)
	s_and_b32 vcc_lo, exec_lo, s66
	s_cbranch_vccz .LBB143_1545
; %bb.1530:
	s_cmp_lt_i32 s64, 27
	s_mov_b32 s65, -1
	s_cbranch_scc1 .LBB143_1536
; %bb.1531:
	s_cmp_gt_i32 s64, 27
	s_cbranch_scc0 .LBB143_1533
; %bb.1532:
	s_wait_xcnt 0x0
	s_delay_alu instid0(VALU_DEP_2)
	v_cvt_u32_f64_e32 v6, v[0:1]
	s_mov_b32 s65, 0
	global_store_b32 v[4:5], v6, off
.LBB143_1533:
	s_and_not1_b32 vcc_lo, exec_lo, s65
	s_cbranch_vccnz .LBB143_1535
; %bb.1534:
	s_wait_xcnt 0x0
	s_delay_alu instid0(VALU_DEP_2)
	v_cvt_u32_f64_e32 v6, v[0:1]
	global_store_b16 v[4:5], v6, off
.LBB143_1535:
	s_mov_b32 s65, 0
.LBB143_1536:
	s_delay_alu instid0(SALU_CYCLE_1)
	s_and_not1_b32 vcc_lo, exec_lo, s65
	s_cbranch_vccnz .LBB143_1544
; %bb.1537:
	s_wait_xcnt 0x0
	s_delay_alu instid0(VALU_DEP_2) | instskip(SKIP_2) | instid1(VALU_DEP_2)
	v_cvt_f32_f64_e32 v6, v[0:1]
	v_mov_b32_e32 v8, 0x80
	s_mov_b32 s65, exec_lo
	v_and_b32_e32 v7, 0x7fffffff, v6
	s_delay_alu instid0(VALU_DEP_1)
	v_cmpx_gt_u32_e32 0x43800000, v7
	s_cbranch_execz .LBB143_1543
; %bb.1538:
	v_cmp_lt_u32_e32 vcc_lo, 0x3bffffff, v7
	s_mov_b32 s66, 0
                                        ; implicit-def: $vgpr7
	s_and_saveexec_b32 s67, vcc_lo
	s_delay_alu instid0(SALU_CYCLE_1)
	s_xor_b32 s67, exec_lo, s67
	s_cbranch_execnz .LBB143_3034
; %bb.1539:
	s_and_not1_saveexec_b32 s67, s67
	s_cbranch_execnz .LBB143_3035
.LBB143_1540:
	s_or_b32 exec_lo, exec_lo, s67
	v_mov_b32_e32 v8, 0
	s_and_saveexec_b32 s67, s66
.LBB143_1541:
	v_lshrrev_b32_e32 v6, 24, v6
	s_delay_alu instid0(VALU_DEP_1)
	v_and_or_b32 v8, 0x80, v6, v7
.LBB143_1542:
	s_or_b32 exec_lo, exec_lo, s67
.LBB143_1543:
	s_delay_alu instid0(SALU_CYCLE_1)
	s_or_b32 exec_lo, exec_lo, s65
	global_store_b8 v[4:5], v8, off
.LBB143_1544:
	s_mov_b32 s65, -1
.LBB143_1545:
	s_mov_b32 s66, 0
.LBB143_1546:
	s_delay_alu instid0(SALU_CYCLE_1)
	s_and_b32 vcc_lo, exec_lo, s66
	s_cbranch_vccz .LBB143_1587
; %bb.1547:
	s_cmp_gt_i32 s64, 22
	s_mov_b32 s66, -1
	s_cbranch_scc0 .LBB143_1579
; %bb.1548:
	s_cmp_lt_i32 s64, 24
	s_mov_b32 s65, -1
	s_cbranch_scc1 .LBB143_1568
; %bb.1549:
	s_cmp_gt_i32 s64, 24
	s_cbranch_scc0 .LBB143_1557
; %bb.1550:
	s_wait_xcnt 0x0
	s_delay_alu instid0(VALU_DEP_2) | instskip(SKIP_2) | instid1(VALU_DEP_2)
	v_cvt_f32_f64_e32 v6, v[0:1]
	v_mov_b32_e32 v8, 0x80
	s_mov_b32 s65, exec_lo
	v_and_b32_e32 v7, 0x7fffffff, v6
	s_delay_alu instid0(VALU_DEP_1)
	v_cmpx_gt_u32_e32 0x47800000, v7
	s_cbranch_execz .LBB143_1556
; %bb.1551:
	v_cmp_lt_u32_e32 vcc_lo, 0x37ffffff, v7
	s_mov_b32 s66, 0
                                        ; implicit-def: $vgpr7
	s_and_saveexec_b32 s67, vcc_lo
	s_delay_alu instid0(SALU_CYCLE_1)
	s_xor_b32 s67, exec_lo, s67
	s_cbranch_execnz .LBB143_3172
; %bb.1552:
	s_and_not1_saveexec_b32 s67, s67
	s_cbranch_execnz .LBB143_3173
.LBB143_1553:
	s_or_b32 exec_lo, exec_lo, s67
	v_mov_b32_e32 v8, 0
	s_and_saveexec_b32 s67, s66
.LBB143_1554:
	v_lshrrev_b32_e32 v6, 24, v6
	s_delay_alu instid0(VALU_DEP_1)
	v_and_or_b32 v8, 0x80, v6, v7
.LBB143_1555:
	s_or_b32 exec_lo, exec_lo, s67
.LBB143_1556:
	s_delay_alu instid0(SALU_CYCLE_1)
	s_or_b32 exec_lo, exec_lo, s65
	s_mov_b32 s65, 0
	global_store_b8 v[4:5], v8, off
.LBB143_1557:
	s_and_b32 vcc_lo, exec_lo, s65
	s_cbranch_vccz .LBB143_1567
; %bb.1558:
	s_wait_xcnt 0x0
	s_delay_alu instid0(VALU_DEP_2) | instskip(SKIP_1) | instid1(VALU_DEP_1)
	v_cvt_f32_f64_e32 v6, v[0:1]
	s_mov_b32 s65, exec_lo
                                        ; implicit-def: $vgpr7
	v_and_b32_e32 v8, 0x7fffffff, v6
	s_delay_alu instid0(VALU_DEP_1)
	v_cmpx_gt_u32_e32 0x43f00000, v8
	s_xor_b32 s65, exec_lo, s65
	s_cbranch_execz .LBB143_1564
; %bb.1559:
	s_mov_b32 s66, exec_lo
                                        ; implicit-def: $vgpr7
	v_cmpx_lt_u32_e32 0x3c7fffff, v8
	s_xor_b32 s66, exec_lo, s66
; %bb.1560:
	v_bfe_u32 v7, v6, 20, 1
	s_delay_alu instid0(VALU_DEP_1) | instskip(NEXT) | instid1(VALU_DEP_1)
	v_add3_u32 v7, v6, v7, 0x407ffff
	v_and_b32_e32 v8, 0xff00000, v7
	v_lshrrev_b32_e32 v7, 20, v7
	s_delay_alu instid0(VALU_DEP_2) | instskip(NEXT) | instid1(VALU_DEP_2)
	v_cmp_ne_u32_e32 vcc_lo, 0x7f00000, v8
	v_cndmask_b32_e32 v7, 0x7e, v7, vcc_lo
; %bb.1561:
	s_and_not1_saveexec_b32 s66, s66
; %bb.1562:
	v_add_f32_e64 v7, 0x46800000, |v6|
; %bb.1563:
	s_or_b32 exec_lo, exec_lo, s66
                                        ; implicit-def: $vgpr8
.LBB143_1564:
	s_and_not1_saveexec_b32 s65, s65
; %bb.1565:
	v_mov_b32_e32 v7, 0x7f
	v_cmp_lt_u32_e32 vcc_lo, 0x7f800000, v8
	s_delay_alu instid0(VALU_DEP_2)
	v_cndmask_b32_e32 v7, 0x7e, v7, vcc_lo
; %bb.1566:
	s_or_b32 exec_lo, exec_lo, s65
	v_lshrrev_b32_e32 v6, 24, v6
	s_delay_alu instid0(VALU_DEP_1)
	v_and_or_b32 v6, 0x80, v6, v7
	global_store_b8 v[4:5], v6, off
.LBB143_1567:
	s_mov_b32 s65, 0
.LBB143_1568:
	s_delay_alu instid0(SALU_CYCLE_1)
	s_and_not1_b32 vcc_lo, exec_lo, s65
	s_cbranch_vccnz .LBB143_1578
; %bb.1569:
	s_wait_xcnt 0x0
	s_delay_alu instid0(VALU_DEP_2) | instskip(SKIP_1) | instid1(VALU_DEP_1)
	v_cvt_f32_f64_e32 v6, v[0:1]
	s_mov_b32 s65, exec_lo
                                        ; implicit-def: $vgpr7
	v_and_b32_e32 v8, 0x7fffffff, v6
	s_delay_alu instid0(VALU_DEP_1)
	v_cmpx_gt_u32_e32 0x47800000, v8
	s_xor_b32 s65, exec_lo, s65
	s_cbranch_execz .LBB143_1575
; %bb.1570:
	s_mov_b32 s66, exec_lo
                                        ; implicit-def: $vgpr7
	v_cmpx_lt_u32_e32 0x387fffff, v8
	s_xor_b32 s66, exec_lo, s66
; %bb.1571:
	v_bfe_u32 v7, v6, 21, 1
	s_delay_alu instid0(VALU_DEP_1) | instskip(NEXT) | instid1(VALU_DEP_1)
	v_add3_u32 v7, v6, v7, 0x80fffff
	v_lshrrev_b32_e32 v7, 21, v7
; %bb.1572:
	s_and_not1_saveexec_b32 s66, s66
; %bb.1573:
	v_add_f32_e64 v7, 0x43000000, |v6|
; %bb.1574:
	s_or_b32 exec_lo, exec_lo, s66
                                        ; implicit-def: $vgpr8
.LBB143_1575:
	s_and_not1_saveexec_b32 s65, s65
; %bb.1576:
	v_mov_b32_e32 v7, 0x7f
	v_cmp_lt_u32_e32 vcc_lo, 0x7f800000, v8
	s_delay_alu instid0(VALU_DEP_2)
	v_cndmask_b32_e32 v7, 0x7c, v7, vcc_lo
; %bb.1577:
	s_or_b32 exec_lo, exec_lo, s65
	v_lshrrev_b32_e32 v6, 24, v6
	s_delay_alu instid0(VALU_DEP_1)
	v_and_or_b32 v6, 0x80, v6, v7
	global_store_b8 v[4:5], v6, off
.LBB143_1578:
	s_mov_b32 s66, 0
	s_mov_b32 s65, -1
.LBB143_1579:
	s_and_not1_b32 vcc_lo, exec_lo, s66
	s_cbranch_vccnz .LBB143_1587
; %bb.1580:
	s_cmp_gt_i32 s64, 14
	s_mov_b32 s66, -1
	s_cbranch_scc0 .LBB143_1584
; %bb.1581:
	s_cmp_eq_u32 s64, 15
	s_mov_b32 s0, -1
	s_cbranch_scc0 .LBB143_1583
; %bb.1582:
	s_wait_xcnt 0x0
	s_delay_alu instid0(VALU_DEP_2) | instskip(SKIP_2) | instid1(VALU_DEP_1)
	v_cvt_f32_f64_e32 v6, v[0:1]
	s_mov_b32 s65, -1
	s_mov_b32 s0, 0
	v_bfe_u32 v7, v6, 16, 1
	v_cmp_o_f32_e32 vcc_lo, v6, v6
	s_delay_alu instid0(VALU_DEP_2) | instskip(NEXT) | instid1(VALU_DEP_1)
	v_add3_u32 v7, v6, v7, 0x7fff
	v_lshrrev_b32_e32 v7, 16, v7
	s_delay_alu instid0(VALU_DEP_1)
	v_cndmask_b32_e32 v6, 0x7fc0, v7, vcc_lo
	global_store_b16 v[4:5], v6, off
.LBB143_1583:
	s_mov_b32 s66, 0
.LBB143_1584:
	s_delay_alu instid0(SALU_CYCLE_1)
	s_and_b32 vcc_lo, exec_lo, s66
	s_cbranch_vccz .LBB143_1587
; %bb.1585:
	s_cmp_eq_u32 s64, 11
	s_mov_b32 s0, -1
	s_cbranch_scc0 .LBB143_1587
; %bb.1586:
	s_delay_alu instid0(VALU_DEP_2) | instskip(NEXT) | instid1(VALU_DEP_2)
	v_cmp_neq_f64_e32 vcc_lo, 0, v[0:1]
	v_cmp_neq_f64_e64 s0, 0, v[2:3]
	s_mov_b32 s65, -1
	s_or_b32 s0, vcc_lo, s0
	s_wait_xcnt 0x0
	v_cndmask_b32_e64 v6, 0, 1, s0
	s_mov_b32 s0, 0
	global_store_b8 v[4:5], v6, off
.LBB143_1587:
	s_mov_b32 s64, 0
.LBB143_1588:
	s_delay_alu instid0(SALU_CYCLE_1)
	s_and_b32 vcc_lo, exec_lo, s64
	s_cbranch_vccz .LBB143_1627
; %bb.1589:
	s_and_b32 s41, 0xffff, s41
	s_mov_b32 s64, -1
	s_cmp_lt_i32 s41, 5
	s_cbranch_scc1 .LBB143_1610
; %bb.1590:
	s_cmp_lt_i32 s41, 8
	s_cbranch_scc1 .LBB143_1600
; %bb.1591:
	;; [unrolled: 3-line block ×3, first 2 shown]
	s_cmp_gt_i32 s41, 9
	s_cbranch_scc0 .LBB143_1594
; %bb.1593:
	s_mov_b32 s64, 0
	global_store_b128 v[4:5], v[0:3], off
.LBB143_1594:
	s_and_not1_b32 vcc_lo, exec_lo, s64
	s_cbranch_vccnz .LBB143_1596
; %bb.1595:
	s_wait_xcnt 0x0
	s_delay_alu instid0(VALU_DEP_2) | instskip(NEXT) | instid1(VALU_DEP_2)
	v_cvt_f32_f64_e32 v6, v[0:1]
	v_cvt_f32_f64_e32 v7, v[2:3]
	global_store_b64 v[4:5], v[6:7], off
.LBB143_1596:
	s_mov_b32 s64, 0
.LBB143_1597:
	s_delay_alu instid0(SALU_CYCLE_1)
	s_and_not1_b32 vcc_lo, exec_lo, s64
	s_cbranch_vccnz .LBB143_1599
; %bb.1598:
	s_wait_xcnt 0x0
	s_delay_alu instid0(VALU_DEP_2) | instskip(NEXT) | instid1(VALU_DEP_2)
	v_and_or_b32 v6, 0x1ff, v1, v0
	v_and_or_b32 v2, 0x1ff, v3, v2
	v_dual_lshrrev_b32 v7, 8, v1 :: v_dual_lshrrev_b32 v10, 8, v3
	v_bfe_u32 v8, v1, 20, 11
	s_delay_alu instid0(VALU_DEP_4) | instskip(SKIP_2) | instid1(VALU_DEP_4)
	v_cmp_ne_u32_e32 vcc_lo, 0, v6
	v_bfe_u32 v9, v3, 20, 11
	v_dual_lshrrev_b32 v17, 16, v1 :: v_dual_lshrrev_b32 v3, 16, v3
	v_sub_nc_u32_e32 v11, 0x3f1, v8
	v_cndmask_b32_e64 v6, 0, 1, vcc_lo
	v_cmp_ne_u32_e32 vcc_lo, 0, v2
	v_add_nc_u32_e32 v8, 0xfffffc10, v8
	s_delay_alu instid0(VALU_DEP_3) | instskip(SKIP_1) | instid1(VALU_DEP_1)
	v_and_or_b32 v6, 0xffe, v7, v6
	v_cndmask_b32_e64 v2, 0, 1, vcc_lo
	v_and_or_b32 v2, 0xffe, v10, v2
	v_med3_i32 v10, v11, 0, 13
	s_delay_alu instid0(VALU_DEP_4) | instskip(NEXT) | instid1(VALU_DEP_3)
	v_or_b32_e32 v11, 0x1000, v6
	v_or_b32_e32 v13, 0x1000, v2
	s_delay_alu instid0(VALU_DEP_2) | instskip(NEXT) | instid1(VALU_DEP_1)
	v_lshrrev_b32_e32 v14, v10, v11
	v_lshlrev_b32_e32 v10, v10, v14
	s_delay_alu instid0(VALU_DEP_1) | instskip(SKIP_2) | instid1(VALU_DEP_1)
	v_cmp_ne_u32_e32 vcc_lo, v10, v11
	v_lshl_or_b32 v11, v8, 12, v6
	v_cndmask_b32_e64 v10, 0, 1, vcc_lo
	v_or_b32_e32 v10, v14, v10
	v_sub_nc_u32_e32 v7, 0x3f1, v9
	v_add_nc_u32_e32 v9, 0xfffffc10, v9
	v_mov_b32_e32 v14, 0x7e00
	s_delay_alu instid0(VALU_DEP_3) | instskip(NEXT) | instid1(VALU_DEP_1)
	v_med3_i32 v7, v7, 0, 13
	v_lshrrev_b32_e32 v15, v7, v13
	s_delay_alu instid0(VALU_DEP_1) | instskip(NEXT) | instid1(VALU_DEP_1)
	v_lshlrev_b32_e32 v7, v7, v15
	v_cmp_ne_u32_e32 vcc_lo, v7, v13
	v_lshl_or_b32 v13, v9, 12, v2
	v_cndmask_b32_e64 v7, 0, 1, vcc_lo
	v_cmp_gt_i32_e32 vcc_lo, 1, v8
	v_cndmask_b32_e32 v10, v11, v10, vcc_lo
	s_delay_alu instid0(VALU_DEP_3) | instskip(SKIP_1) | instid1(VALU_DEP_3)
	v_or_b32_e32 v7, v15, v7
	v_cmp_gt_i32_e32 vcc_lo, 1, v9
	v_dual_lshrrev_b32 v10, 2, v10 :: v_dual_bitop2_b32 v11, 7, v10 bitop3:0x40
	s_delay_alu instid0(VALU_DEP_3) | instskip(NEXT) | instid1(VALU_DEP_1)
	v_cndmask_b32_e32 v7, v13, v7, vcc_lo
	v_dual_lshrrev_b32 v7, 2, v7 :: v_dual_bitop2_b32 v13, 7, v7 bitop3:0x40
	s_delay_alu instid0(VALU_DEP_3) | instskip(SKIP_1) | instid1(VALU_DEP_3)
	v_cmp_lt_i32_e32 vcc_lo, 5, v11
	v_cndmask_b32_e64 v15, 0, 1, vcc_lo
	v_cmp_lt_i32_e32 vcc_lo, 5, v13
	v_cndmask_b32_e64 v16, 0, 1, vcc_lo
	v_cmp_eq_u32_e32 vcc_lo, 3, v13
	v_cndmask_b32_e64 v13, 0, 1, vcc_lo
	v_cmp_eq_u32_e32 vcc_lo, 3, v11
	v_cndmask_b32_e64 v11, 0, 1, vcc_lo
	v_cmp_ne_u32_e32 vcc_lo, 0, v6
	s_delay_alu instid0(VALU_DEP_2) | instskip(NEXT) | instid1(VALU_DEP_1)
	v_or_b32_e32 v11, v11, v15
	v_dual_add_nc_u32 v10, v10, v11 :: v_dual_bitop2_b32 v13, v13, v16 bitop3:0x54
	s_delay_alu instid0(VALU_DEP_1)
	v_dual_cndmask_b32 v6, 0x7c00, v14 :: v_dual_add_nc_u32 v7, v7, v13
	v_cmp_ne_u32_e32 vcc_lo, 0, v2
	v_and_b32_e32 v11, 0x8000, v17
	v_cndmask_b32_e32 v2, 0x7c00, v14, vcc_lo
	v_cmp_gt_i32_e32 vcc_lo, 31, v9
	v_cndmask_b32_e32 v7, 0x7c00, v7, vcc_lo
	v_cmp_gt_i32_e32 vcc_lo, 31, v8
	v_cndmask_b32_e32 v10, 0x7c00, v10, vcc_lo
	v_cmp_eq_u32_e32 vcc_lo, 0x40f, v9
	s_delay_alu instid0(VALU_DEP_4) | instskip(SKIP_1) | instid1(VALU_DEP_2)
	v_cndmask_b32_e32 v2, v7, v2, vcc_lo
	v_cmp_eq_u32_e32 vcc_lo, 0x40f, v8
	v_and_or_b32 v2, 0x8000, v3, v2
	v_cndmask_b32_e32 v6, v10, v6, vcc_lo
	s_delay_alu instid0(VALU_DEP_1) | instskip(NEXT) | instid1(VALU_DEP_1)
	v_bitop3_b32 v3, v11, 0xffff, v6 bitop3:0xc8
	v_lshl_or_b32 v2, v2, 16, v3
	global_store_b32 v[4:5], v2, off
.LBB143_1599:
	s_mov_b32 s64, 0
.LBB143_1600:
	s_delay_alu instid0(SALU_CYCLE_1)
	s_and_not1_b32 vcc_lo, exec_lo, s64
	s_cbranch_vccnz .LBB143_1609
; %bb.1601:
	s_cmp_lt_i32 s41, 6
	s_mov_b32 s64, -1
	s_cbranch_scc1 .LBB143_1607
; %bb.1602:
	s_cmp_gt_i32 s41, 6
	s_cbranch_scc0 .LBB143_1604
; %bb.1603:
	s_mov_b32 s64, 0
	global_store_b64 v[4:5], v[0:1], off
.LBB143_1604:
	s_and_not1_b32 vcc_lo, exec_lo, s64
	s_cbranch_vccnz .LBB143_1606
; %bb.1605:
	s_wait_xcnt 0x0
	s_delay_alu instid0(VALU_DEP_2)
	v_cvt_f32_f64_e32 v2, v[0:1]
	global_store_b32 v[4:5], v2, off
.LBB143_1606:
	s_mov_b32 s64, 0
.LBB143_1607:
	s_delay_alu instid0(SALU_CYCLE_1)
	s_and_not1_b32 vcc_lo, exec_lo, s64
	s_cbranch_vccnz .LBB143_1609
; %bb.1608:
	s_wait_xcnt 0x0
	s_delay_alu instid0(VALU_DEP_2) | instskip(SKIP_2) | instid1(VALU_DEP_3)
	v_and_or_b32 v2, 0x1ff, v1, v0
	v_lshrrev_b32_e32 v3, 8, v1
	v_bfe_u32 v6, v1, 20, 11
	v_cmp_ne_u32_e32 vcc_lo, 0, v2
	s_delay_alu instid0(VALU_DEP_2) | instskip(SKIP_1) | instid1(VALU_DEP_1)
	v_sub_nc_u32_e32 v7, 0x3f1, v6
	v_cndmask_b32_e64 v2, 0, 1, vcc_lo
	v_and_or_b32 v2, 0xffe, v3, v2
	s_delay_alu instid0(VALU_DEP_3) | instskip(NEXT) | instid1(VALU_DEP_2)
	v_med3_i32 v3, v7, 0, 13
	v_or_b32_e32 v7, 0x1000, v2
	s_delay_alu instid0(VALU_DEP_1) | instskip(NEXT) | instid1(VALU_DEP_1)
	v_lshrrev_b32_e32 v8, v3, v7
	v_lshlrev_b32_e32 v3, v3, v8
	s_delay_alu instid0(VALU_DEP_1) | instskip(SKIP_1) | instid1(VALU_DEP_1)
	v_cmp_ne_u32_e32 vcc_lo, v3, v7
	v_cndmask_b32_e64 v3, 0, 1, vcc_lo
	v_or_b32_e32 v3, v8, v3
	v_add_nc_u32_e32 v6, 0xfffffc10, v6
	s_delay_alu instid0(VALU_DEP_1) | instskip(SKIP_1) | instid1(VALU_DEP_2)
	v_lshl_or_b32 v7, v6, 12, v2
	v_cmp_gt_i32_e32 vcc_lo, 1, v6
	v_cndmask_b32_e32 v3, v7, v3, vcc_lo
	s_delay_alu instid0(VALU_DEP_1) | instskip(NEXT) | instid1(VALU_DEP_1)
	v_dual_lshrrev_b32 v3, 2, v3 :: v_dual_bitop2_b32 v7, 7, v3 bitop3:0x40
	v_cmp_lt_i32_e32 vcc_lo, 5, v7
	v_cndmask_b32_e64 v8, 0, 1, vcc_lo
	v_cmp_eq_u32_e32 vcc_lo, 3, v7
	v_cndmask_b32_e64 v7, 0, 1, vcc_lo
	v_cmp_ne_u32_e32 vcc_lo, 0, v2
	s_delay_alu instid0(VALU_DEP_2) | instskip(NEXT) | instid1(VALU_DEP_1)
	v_or_b32_e32 v7, v7, v8
	v_dual_mov_b32 v8, 0x7e00 :: v_dual_add_nc_u32 v3, v3, v7
	s_delay_alu instid0(VALU_DEP_1) | instskip(SKIP_1) | instid1(VALU_DEP_3)
	v_cndmask_b32_e32 v2, 0x7c00, v8, vcc_lo
	v_cmp_gt_i32_e32 vcc_lo, 31, v6
	v_cndmask_b32_e32 v3, 0x7c00, v3, vcc_lo
	v_cmp_eq_u32_e32 vcc_lo, 0x40f, v6
	s_delay_alu instid0(VALU_DEP_2) | instskip(NEXT) | instid1(VALU_DEP_1)
	v_dual_cndmask_b32 v2, v3, v2 :: v_dual_lshrrev_b32 v3, 16, v1
	v_and_or_b32 v2, 0x8000, v3, v2
	global_store_b16 v[4:5], v2, off
.LBB143_1609:
	s_mov_b32 s64, 0
.LBB143_1610:
	s_delay_alu instid0(SALU_CYCLE_1)
	s_and_not1_b32 vcc_lo, exec_lo, s64
	s_cbranch_vccnz .LBB143_1626
; %bb.1611:
	s_cmp_lt_i32 s41, 2
	s_mov_b32 s64, -1
	s_cbranch_scc1 .LBB143_1621
; %bb.1612:
	s_cmp_lt_i32 s41, 3
	s_cbranch_scc1 .LBB143_1618
; %bb.1613:
	s_cmp_gt_i32 s41, 3
	s_cbranch_scc0 .LBB143_1615
; %bb.1614:
	s_wait_xcnt 0x0
	s_delay_alu instid0(VALU_DEP_2) | instskip(SKIP_1) | instid1(VALU_DEP_1)
	v_trunc_f64_e32 v[2:3], v[0:1]
	s_mov_b32 s64, 0
	v_ldexp_f64 v[6:7], v[2:3], 0xffffffe0
	s_delay_alu instid0(VALU_DEP_1) | instskip(NEXT) | instid1(VALU_DEP_1)
	v_floor_f64_e32 v[6:7], v[6:7]
	v_fmamk_f64 v[2:3], v[6:7], 0xc1f00000, v[2:3]
	v_cvt_i32_f64_e32 v7, v[6:7]
	s_delay_alu instid0(VALU_DEP_2)
	v_cvt_u32_f64_e32 v6, v[2:3]
	global_store_b64 v[4:5], v[6:7], off
.LBB143_1615:
	s_and_not1_b32 vcc_lo, exec_lo, s64
	s_cbranch_vccnz .LBB143_1617
; %bb.1616:
	s_wait_xcnt 0x0
	s_delay_alu instid0(VALU_DEP_2)
	v_cvt_i32_f64_e32 v2, v[0:1]
	global_store_b32 v[4:5], v2, off
.LBB143_1617:
	s_mov_b32 s64, 0
.LBB143_1618:
	s_delay_alu instid0(SALU_CYCLE_1)
	s_and_not1_b32 vcc_lo, exec_lo, s64
	s_cbranch_vccnz .LBB143_1620
; %bb.1619:
	s_wait_xcnt 0x0
	s_delay_alu instid0(VALU_DEP_2)
	v_cvt_i32_f64_e32 v2, v[0:1]
	global_store_b16 v[4:5], v2, off
.LBB143_1620:
	s_mov_b32 s64, 0
.LBB143_1621:
	s_delay_alu instid0(SALU_CYCLE_1)
	s_and_not1_b32 vcc_lo, exec_lo, s64
	s_cbranch_vccnz .LBB143_1626
; %bb.1622:
	s_cmp_gt_i32 s41, 0
	s_mov_b32 s41, -1
	s_cbranch_scc0 .LBB143_1624
; %bb.1623:
	s_wait_xcnt 0x0
	s_delay_alu instid0(VALU_DEP_2)
	v_cvt_i32_f64_e32 v2, v[0:1]
	s_mov_b32 s41, 0
	global_store_b8 v[4:5], v2, off
.LBB143_1624:
	s_and_not1_b32 vcc_lo, exec_lo, s41
	s_cbranch_vccnz .LBB143_1626
; %bb.1625:
	s_wait_xcnt 0x0
	s_delay_alu instid0(VALU_DEP_2) | instskip(NEXT) | instid1(VALU_DEP_1)
	v_trunc_f64_e32 v[0:1], v[0:1]
	v_ldexp_f64 v[2:3], v[0:1], 0xffffffe0
	s_delay_alu instid0(VALU_DEP_1) | instskip(NEXT) | instid1(VALU_DEP_1)
	v_floor_f64_e32 v[2:3], v[2:3]
	v_fmamk_f64 v[0:1], v[2:3], 0xc1f00000, v[0:1]
	s_delay_alu instid0(VALU_DEP_1)
	v_cvt_u32_f64_e32 v0, v[0:1]
	global_store_b8 v[4:5], v0, off
.LBB143_1626:
	s_mov_b32 s65, -1
.LBB143_1627:
	s_delay_alu instid0(SALU_CYCLE_1)
	s_and_not1_b32 vcc_lo, exec_lo, s65
	s_cbranch_vccnz .LBB143_1629
; %bb.1628:
	v_add_nc_u32_e32 v12, 0x80, v12
	s_mov_b32 s41, -1
	s_branch .LBB143_1631
.LBB143_1629:
	s_mov_b32 s41, 0
.LBB143_1630:
                                        ; implicit-def: $vgpr12
.LBB143_1631:
	s_and_not1_b32 s64, s59, exec_lo
	s_and_b32 s0, s0, exec_lo
	s_and_not1_b32 s65, s60, exec_lo
	s_and_b32 s40, s40, exec_lo
	s_or_b32 s67, s64, s0
	s_or_b32 s65, s65, s40
	s_and_not1_b32 s0, s61, exec_lo
	s_and_b32 s39, s39, exec_lo
	s_and_not1_b32 s40, s58, exec_lo
	s_and_b32 s38, s38, exec_lo
	s_or_b32 s66, s0, s39
	s_or_b32 s64, s40, s38
	s_or_not1_b32 s41, s41, exec_lo
.LBB143_1632:
	s_wait_xcnt 0x0
	s_or_b32 exec_lo, exec_lo, s63
	s_mov_b32 s40, 0
	s_mov_b32 s39, 0
	;; [unrolled: 1-line block ×3, first 2 shown]
                                        ; implicit-def: $sgpr0
                                        ; implicit-def: $vgpr6_vgpr7
                                        ; implicit-def: $vgpr14
                                        ; implicit-def: $vgpr8
                                        ; implicit-def: $vgpr4
                                        ; implicit-def: $vgpr2_vgpr3
	s_and_saveexec_b32 s63, s41
	s_cbranch_execz .LBB143_1724
; %bb.1633:
	v_cmp_gt_i32_e32 vcc_lo, s51, v12
	s_mov_b32 s41, s64
                                        ; implicit-def: $sgpr0
                                        ; implicit-def: $vgpr6_vgpr7
                                        ; implicit-def: $vgpr14
                                        ; implicit-def: $vgpr8
                                        ; implicit-def: $vgpr4
                                        ; implicit-def: $vgpr2_vgpr3
	s_and_saveexec_b32 s51, vcc_lo
	s_cbranch_execz .LBB143_1723
; %bb.1634:
	s_and_not1_b32 vcc_lo, exec_lo, s44
	s_cbranch_vccnz .LBB143_1640
; %bb.1635:
	s_and_not1_b32 vcc_lo, exec_lo, s52
	s_cbranch_vccnz .LBB143_1641
; %bb.1636:
	s_wait_loadcnt 0x0
	v_dual_mov_b32 v4, 0 :: v_dual_mov_b32 v1, v12
	v_dual_mov_b32 v8, 0 :: v_dual_mov_b32 v14, 0
	v_mov_b32_e32 v0, 0
	s_add_co_i32 s0, s50, 1
	s_mov_b64 s[38:39], 0xffffffffffffffe0
	s_and_b32 s0, s0, 30
	s_add_nc_u64 s[38:39], s[2:3], s[38:39]
	s_mov_b64 s[40:41], s[2:3]
.LBB143_1637:                           ; =>This Inner Loop Header: Depth=1
	s_clause 0x1
	s_load_b128 s[76:79], s[40:41], 0x4
	s_load_b64 s[80:81], s[40:41], 0x14
	s_load_b256 s[68:75], s[38:39], 0xe4
	s_add_co_i32 s0, s0, -2
	s_wait_xcnt 0x0
	s_add_nc_u64 s[40:41], s[40:41], 24
	s_cmp_eq_u32 s0, 0
	s_add_nc_u64 s[38:39], s[38:39], 32
	s_wait_kmcnt 0x0
	v_mul_hi_u32 v2, s77, v1
	s_delay_alu instid0(VALU_DEP_1) | instskip(NEXT) | instid1(VALU_DEP_1)
	v_add_nc_u32_e32 v2, v1, v2
	v_lshrrev_b32_e32 v2, s78, v2
	s_delay_alu instid0(VALU_DEP_1) | instskip(SKIP_1) | instid1(VALU_DEP_1)
	v_mul_hi_u32 v3, s80, v2
	v_mul_lo_u32 v5, v2, s76
	v_dual_add_nc_u32 v3, v2, v3 :: v_dual_sub_nc_u32 v5, v1, v5
	s_delay_alu instid0(VALU_DEP_1) | instskip(NEXT) | instid1(VALU_DEP_2)
	v_lshrrev_b32_e32 v1, s81, v3
	v_mad_u32 v0, v5, s69, v0
	v_mad_u32 v6, v5, s68, v14
	v_mad_u32 v7, v5, s71, v8
	v_mad_u32 v4, v5, s70, v4
	v_mul_lo_u32 v3, v1, s79
	s_delay_alu instid0(VALU_DEP_1) | instskip(NEXT) | instid1(VALU_DEP_1)
	v_sub_nc_u32_e32 v2, v2, v3
	v_mad_u32 v0, v2, s73, v0
	v_mad_u32 v14, v2, s72, v6
	;; [unrolled: 1-line block ×4, first 2 shown]
	s_cbranch_scc0 .LBB143_1637
; %bb.1638:
	s_bitcmp1_b32 s50, 0
	s_cselect_b32 s0, -1, 0
	s_delay_alu instid0(SALU_CYCLE_1)
	s_and_b32 vcc_lo, exec_lo, s0
	s_cbranch_vccnz .LBB143_1642
; %bb.1639:
	s_load_b96 s[72:74], s[40:41], 0x4
	s_load_b128 s[68:71], s[38:39], 0xe4
	s_wait_kmcnt 0x0
	v_mul_hi_u32 v2, s73, v1
	s_delay_alu instid0(VALU_DEP_1) | instskip(NEXT) | instid1(VALU_DEP_1)
	v_add_nc_u32_e32 v2, v1, v2
	v_lshrrev_b32_e32 v2, s74, v2
	s_delay_alu instid0(VALU_DEP_1) | instskip(NEXT) | instid1(VALU_DEP_1)
	v_mul_lo_u32 v2, v2, s72
	v_sub_nc_u32_e32 v1, v1, v2
	s_delay_alu instid0(VALU_DEP_1)
	v_mad_u32 v14, v1, s68, v14
	v_mad_u32 v0, v1, s69, v0
	;; [unrolled: 1-line block ×4, first 2 shown]
	s_branch .LBB143_1642
.LBB143_1640:
	s_mov_b32 s0, -1
                                        ; implicit-def: $vgpr0
                                        ; implicit-def: $vgpr14
                                        ; implicit-def: $vgpr8
                                        ; implicit-def: $vgpr4
	s_branch .LBB143_1643
.LBB143_1641:
	s_wait_loadcnt 0x0
	v_dual_mov_b32 v0, 0 :: v_dual_mov_b32 v14, 0
	v_dual_mov_b32 v8, 0 :: v_dual_mov_b32 v4, 0
.LBB143_1642:
	s_mov_b32 s0, 0
.LBB143_1643:
	s_delay_alu instid0(SALU_CYCLE_1)
	s_and_not1_b32 vcc_lo, exec_lo, s0
	s_cbranch_vccnz .LBB143_1646
; %bb.1644:
	v_mov_b32_e32 v13, 0
	s_and_not1_b32 vcc_lo, exec_lo, s49
	s_wait_loadcnt 0x0
	s_delay_alu instid0(VALU_DEP_1) | instskip(NEXT) | instid1(VALU_DEP_1)
	v_mul_u64_e32 v[0:1], s[34:35], v[12:13]
	v_add_nc_u32_e32 v0, v12, v1
	s_delay_alu instid0(VALU_DEP_1) | instskip(NEXT) | instid1(VALU_DEP_1)
	v_lshrrev_b32_e32 v2, s30, v0
	v_mul_lo_u32 v0, v2, s28
	s_delay_alu instid0(VALU_DEP_1) | instskip(NEXT) | instid1(VALU_DEP_1)
	v_sub_nc_u32_e32 v1, v12, v0
	v_mul_lo_u32 v0, v1, s21
	v_mul_lo_u32 v14, v1, s20
	;; [unrolled: 1-line block ×4, first 2 shown]
	s_cbranch_vccnz .LBB143_1646
; %bb.1645:
	v_mov_b32_e32 v3, v13
	s_delay_alu instid0(VALU_DEP_1) | instskip(NEXT) | instid1(VALU_DEP_1)
	v_mul_u64_e32 v[6:7], s[36:37], v[2:3]
	v_add_nc_u32_e32 v1, v2, v7
	s_delay_alu instid0(VALU_DEP_1) | instskip(NEXT) | instid1(VALU_DEP_1)
	v_lshrrev_b32_e32 v1, s1, v1
	v_mul_lo_u32 v1, v1, s31
	s_delay_alu instid0(VALU_DEP_1) | instskip(NEXT) | instid1(VALU_DEP_1)
	v_sub_nc_u32_e32 v1, v2, v1
	v_mad_u32 v14, v1, s24, v14
	v_mad_u32 v0, v1, s25, v0
	;; [unrolled: 1-line block ×4, first 2 shown]
.LBB143_1646:
	s_wait_loadcnt 0x0
	v_mov_b32_e32 v1, 0
	s_and_b32 s0, s48, 0xff
	s_delay_alu instid0(SALU_CYCLE_1) | instskip(NEXT) | instid1(VALU_DEP_1)
	s_cmp_lt_i32 s0, 11
	v_add_nc_u64_e32 v[6:7], s[6:7], v[0:1]
	s_cbranch_scc1 .LBB143_1653
; %bb.1647:
	s_and_b32 s1, 0xffff, s0
	s_mov_b32 s7, 0
	s_cmp_gt_i32 s1, 25
	s_cbranch_scc0 .LBB143_1654
; %bb.1648:
	s_cmp_gt_i32 s1, 28
	s_cbranch_scc0 .LBB143_1655
; %bb.1649:
	;; [unrolled: 3-line block ×4, first 2 shown]
	s_cmp_eq_u32 s1, 46
	s_mov_b32 s21, 0
	s_cbranch_scc0 .LBB143_1658
; %bb.1652:
	global_load_b32 v0, v[6:7], off
	s_mov_b32 s6, 0
	s_mov_b32 s20, -1
	s_wait_loadcnt 0x0
	v_lshlrev_b32_e32 v1, 16, v0
	v_and_b32_e32 v2, 0xffff0000, v0
	s_delay_alu instid0(VALU_DEP_2) | instskip(NEXT) | instid1(VALU_DEP_2)
	v_cvt_f64_f32_e32 v[0:1], v1
	v_cvt_f64_f32_e32 v[2:3], v2
	s_branch .LBB143_1660
.LBB143_1653:
	s_mov_b32 s1, -1
	s_mov_b32 s20, 0
	s_mov_b32 s7, 0
	;; [unrolled: 1-line block ×3, first 2 shown]
                                        ; implicit-def: $vgpr2_vgpr3
	s_branch .LBB143_1722
.LBB143_1654:
	s_mov_b32 s21, -1
	s_mov_b32 s20, 0
	s_mov_b32 s6, s64
                                        ; implicit-def: $vgpr2_vgpr3
	s_branch .LBB143_1689
.LBB143_1655:
	s_mov_b32 s21, -1
	s_mov_b32 s20, 0
	s_mov_b32 s6, s64
                                        ; implicit-def: $vgpr2_vgpr3
	s_branch .LBB143_1672
.LBB143_1656:
	s_mov_b32 s21, -1
	s_mov_b32 s20, 0
	s_mov_b32 s6, s64
                                        ; implicit-def: $vgpr2_vgpr3
	s_branch .LBB143_1666
.LBB143_1657:
	s_mov_b32 s21, -1
	s_mov_b32 s20, 0
	s_mov_b32 s6, s64
	s_branch .LBB143_1659
.LBB143_1658:
	s_mov_b32 s6, -1
	s_mov_b32 s20, 0
.LBB143_1659:
                                        ; implicit-def: $vgpr2_vgpr3
.LBB143_1660:
	s_and_b32 vcc_lo, exec_lo, s21
	s_cbranch_vccz .LBB143_1665
; %bb.1661:
	s_cmp_eq_u32 s1, 44
	s_cbranch_scc0 .LBB143_1663
; %bb.1662:
	global_load_u8 v2, v[6:7], off
	s_mov_b32 s6, 0
	s_mov_b32 s20, -1
	s_wait_loadcnt 0x0
	v_cmp_ne_u32_e32 vcc_lo, 0xff, v2
	v_lshlrev_b32_e32 v0, 23, v2
	s_delay_alu instid0(VALU_DEP_1) | instskip(NEXT) | instid1(VALU_DEP_1)
	v_cvt_f64_f32_e32 v[0:1], v0
	v_cndmask_b32_e32 v0, 0x20000000, v0, vcc_lo
	s_delay_alu instid0(VALU_DEP_2) | instskip(SKIP_1) | instid1(VALU_DEP_2)
	v_cndmask_b32_e32 v1, 0x7ff80000, v1, vcc_lo
	v_cmp_ne_u32_e32 vcc_lo, 0, v2
	v_cndmask_b32_e32 v1, 0x38000000, v1, vcc_lo
	s_delay_alu instid0(VALU_DEP_4)
	v_cndmask_b32_e32 v0, 0, v0, vcc_lo
	s_branch .LBB143_1664
.LBB143_1663:
	s_mov_b32 s6, -1
                                        ; implicit-def: $vgpr0_vgpr1
.LBB143_1664:
	v_mov_b64_e32 v[2:3], 0
.LBB143_1665:
	s_mov_b32 s21, 0
.LBB143_1666:
	s_delay_alu instid0(SALU_CYCLE_1)
	s_and_b32 vcc_lo, exec_lo, s21
	s_cbranch_vccz .LBB143_1671
; %bb.1667:
	s_cmp_eq_u32 s1, 29
	s_cbranch_scc0 .LBB143_1669
; %bb.1668:
	global_load_b64 v[0:1], v[6:7], off
	s_mov_b32 s6, 0
	s_mov_b32 s20, -1
	s_wait_loadcnt 0x0
	v_cvt_f64_u32_e32 v[2:3], v1
	v_cvt_f64_u32_e32 v[0:1], v0
	s_delay_alu instid0(VALU_DEP_2) | instskip(NEXT) | instid1(VALU_DEP_1)
	v_ldexp_f64 v[2:3], v[2:3], 32
	v_add_f64_e32 v[0:1], v[2:3], v[0:1]
	s_branch .LBB143_1670
.LBB143_1669:
	s_mov_b32 s6, -1
                                        ; implicit-def: $vgpr0_vgpr1
.LBB143_1670:
	v_mov_b64_e32 v[2:3], 0
.LBB143_1671:
	s_mov_b32 s21, 0
.LBB143_1672:
	s_delay_alu instid0(SALU_CYCLE_1)
	s_and_b32 vcc_lo, exec_lo, s21
	s_cbranch_vccz .LBB143_1688
; %bb.1673:
	s_cmp_lt_i32 s1, 27
	s_cbranch_scc1 .LBB143_1676
; %bb.1674:
	s_cmp_gt_i32 s1, 27
	s_cbranch_scc0 .LBB143_1677
; %bb.1675:
	global_load_b32 v0, v[6:7], off
	s_mov_b32 s20, 0
	s_wait_loadcnt 0x0
	v_cvt_f64_u32_e32 v[0:1], v0
	s_branch .LBB143_1678
.LBB143_1676:
	s_mov_b32 s20, -1
                                        ; implicit-def: $vgpr0_vgpr1
	s_branch .LBB143_1681
.LBB143_1677:
	s_mov_b32 s20, -1
                                        ; implicit-def: $vgpr0_vgpr1
.LBB143_1678:
	s_delay_alu instid0(SALU_CYCLE_1)
	s_and_not1_b32 vcc_lo, exec_lo, s20
	s_cbranch_vccnz .LBB143_1680
; %bb.1679:
	global_load_u16 v0, v[6:7], off
	s_wait_loadcnt 0x0
	v_cvt_f64_u32_e32 v[0:1], v0
.LBB143_1680:
	s_mov_b32 s20, 0
.LBB143_1681:
	s_delay_alu instid0(SALU_CYCLE_1)
	s_and_not1_b32 vcc_lo, exec_lo, s20
	s_cbranch_vccnz .LBB143_1687
; %bb.1682:
	global_load_u8 v2, v[6:7], off
	s_mov_b32 s20, 0
	s_mov_b32 s21, exec_lo
	s_wait_loadcnt 0x0
	v_cmpx_lt_i16_e32 0x7f, v2
	s_xor_b32 s21, exec_lo, s21
	s_cbranch_execnz .LBB143_1700
; %bb.1683:
	s_or_saveexec_b32 s21, s21
	v_mov_b64_e32 v[0:1], 0x7ff8000020000000
	s_xor_b32 exec_lo, exec_lo, s21
	s_cbranch_execnz .LBB143_1703
.LBB143_1684:
	s_or_b32 exec_lo, exec_lo, s21
	s_and_saveexec_b32 s21, s20
	s_cbranch_execz .LBB143_1686
.LBB143_1685:
	v_and_b32_e32 v0, 0xffff, v2
	s_delay_alu instid0(VALU_DEP_1) | instskip(SKIP_1) | instid1(VALU_DEP_2)
	v_and_b32_e32 v1, 7, v0
	v_bfe_u32 v9, v0, 3, 4
	v_clz_i32_u32_e32 v3, v1
	s_delay_alu instid0(VALU_DEP_2) | instskip(NEXT) | instid1(VALU_DEP_2)
	v_cmp_eq_u32_e32 vcc_lo, 0, v9
	v_min_u32_e32 v3, 32, v3
	s_delay_alu instid0(VALU_DEP_1) | instskip(NEXT) | instid1(VALU_DEP_1)
	v_subrev_nc_u32_e32 v5, 28, v3
	v_dual_lshlrev_b32 v0, v5, v0 :: v_dual_sub_nc_u32 v3, 29, v3
	s_delay_alu instid0(VALU_DEP_1) | instskip(NEXT) | instid1(VALU_DEP_2)
	v_dual_lshlrev_b32 v2, 24, v2 :: v_dual_bitop2_b32 v0, 7, v0 bitop3:0x40
	v_cndmask_b32_e32 v3, v9, v3, vcc_lo
	s_delay_alu instid0(VALU_DEP_2) | instskip(NEXT) | instid1(VALU_DEP_3)
	v_cndmask_b32_e32 v0, v1, v0, vcc_lo
	v_and_b32_e32 v1, 0x80000000, v2
	s_delay_alu instid0(VALU_DEP_3) | instskip(NEXT) | instid1(VALU_DEP_3)
	v_lshl_add_u32 v2, v3, 23, 0x3b800000
	v_lshlrev_b32_e32 v0, 20, v0
	s_delay_alu instid0(VALU_DEP_1) | instskip(NEXT) | instid1(VALU_DEP_1)
	v_or3_b32 v0, v1, v2, v0
	v_cvt_f64_f32_e32 v[0:1], v0
.LBB143_1686:
	s_or_b32 exec_lo, exec_lo, s21
.LBB143_1687:
	v_mov_b64_e32 v[2:3], 0
	s_mov_b32 s20, -1
.LBB143_1688:
	s_mov_b32 s21, 0
.LBB143_1689:
	s_delay_alu instid0(SALU_CYCLE_1)
	s_and_b32 vcc_lo, exec_lo, s21
	s_cbranch_vccz .LBB143_1721
; %bb.1690:
	s_cmp_gt_i32 s1, 22
	s_cbranch_scc0 .LBB143_1698
; %bb.1691:
	s_cmp_lt_i32 s1, 24
	s_cbranch_scc1 .LBB143_1699
; %bb.1692:
	s_cmp_gt_i32 s1, 24
	s_cbranch_scc0 .LBB143_1704
; %bb.1693:
	global_load_u8 v2, v[6:7], off
	s_mov_b32 s20, exec_lo
	s_wait_loadcnt 0x0
	v_cmpx_lt_i16_e32 0x7f, v2
	s_xor_b32 s20, exec_lo, s20
	s_cbranch_execnz .LBB143_2756
; %bb.1694:
	s_or_saveexec_b32 s20, s20
	v_mov_b64_e32 v[0:1], 0x7ff8000020000000
	s_xor_b32 exec_lo, exec_lo, s20
	s_cbranch_execnz .LBB143_2759
.LBB143_1695:
	s_or_b32 exec_lo, exec_lo, s20
	s_and_saveexec_b32 s20, s7
	s_cbranch_execz .LBB143_1697
.LBB143_1696:
	v_and_b32_e32 v0, 0xffff, v2
	s_delay_alu instid0(VALU_DEP_1) | instskip(SKIP_1) | instid1(VALU_DEP_2)
	v_and_b32_e32 v1, 3, v0
	v_bfe_u32 v9, v0, 2, 5
	v_clz_i32_u32_e32 v3, v1
	s_delay_alu instid0(VALU_DEP_2) | instskip(NEXT) | instid1(VALU_DEP_2)
	v_cmp_eq_u32_e32 vcc_lo, 0, v9
	v_min_u32_e32 v3, 32, v3
	s_delay_alu instid0(VALU_DEP_1) | instskip(NEXT) | instid1(VALU_DEP_1)
	v_subrev_nc_u32_e32 v5, 29, v3
	v_dual_lshlrev_b32 v0, v5, v0 :: v_dual_sub_nc_u32 v3, 30, v3
	s_delay_alu instid0(VALU_DEP_1) | instskip(NEXT) | instid1(VALU_DEP_2)
	v_dual_lshlrev_b32 v2, 24, v2 :: v_dual_bitop2_b32 v0, 3, v0 bitop3:0x40
	v_cndmask_b32_e32 v3, v9, v3, vcc_lo
	s_delay_alu instid0(VALU_DEP_2) | instskip(NEXT) | instid1(VALU_DEP_3)
	v_cndmask_b32_e32 v0, v1, v0, vcc_lo
	v_and_b32_e32 v1, 0x80000000, v2
	s_delay_alu instid0(VALU_DEP_3) | instskip(NEXT) | instid1(VALU_DEP_3)
	v_lshl_add_u32 v2, v3, 23, 0x37800000
	v_lshlrev_b32_e32 v0, 21, v0
	s_delay_alu instid0(VALU_DEP_1) | instskip(NEXT) | instid1(VALU_DEP_1)
	v_or3_b32 v0, v1, v2, v0
	v_cvt_f64_f32_e32 v[0:1], v0
.LBB143_1697:
	s_or_b32 exec_lo, exec_lo, s20
	s_mov_b32 s7, 0
	s_branch .LBB143_1705
.LBB143_1698:
	s_mov_b32 s7, -1
                                        ; implicit-def: $vgpr0_vgpr1
	s_branch .LBB143_1711
.LBB143_1699:
	s_mov_b32 s7, -1
                                        ; implicit-def: $vgpr0_vgpr1
	s_branch .LBB143_1708
.LBB143_1700:
	s_mov_b32 s20, -1
	s_mov_b32 s22, exec_lo
	v_cmpx_eq_u16_e32 0x80, v2
; %bb.1701:
	s_xor_b32 s20, exec_lo, -1
; %bb.1702:
	s_or_b32 exec_lo, exec_lo, s22
	s_delay_alu instid0(SALU_CYCLE_1)
	s_and_b32 s20, s20, exec_lo
	s_or_saveexec_b32 s21, s21
	v_mov_b64_e32 v[0:1], 0x7ff8000020000000
	s_xor_b32 exec_lo, exec_lo, s21
	s_cbranch_execz .LBB143_1684
.LBB143_1703:
	v_cmp_ne_u16_e32 vcc_lo, 0, v2
	v_mov_b64_e32 v[0:1], 0
	s_and_not1_b32 s20, s20, exec_lo
	s_and_b32 s22, vcc_lo, exec_lo
	s_delay_alu instid0(SALU_CYCLE_1)
	s_or_b32 s20, s20, s22
	s_or_b32 exec_lo, exec_lo, s21
	s_and_saveexec_b32 s21, s20
	s_cbranch_execnz .LBB143_1685
	s_branch .LBB143_1686
.LBB143_1704:
	s_mov_b32 s7, -1
                                        ; implicit-def: $vgpr0_vgpr1
.LBB143_1705:
	s_delay_alu instid0(SALU_CYCLE_1)
	s_and_b32 vcc_lo, exec_lo, s7
	s_cbranch_vccz .LBB143_1707
; %bb.1706:
	global_load_u8 v0, v[6:7], off
	s_wait_loadcnt 0x0
	v_lshlrev_b32_e32 v0, 24, v0
	s_delay_alu instid0(VALU_DEP_1) | instskip(NEXT) | instid1(VALU_DEP_1)
	v_and_b32_e32 v1, 0x7f000000, v0
	v_clz_i32_u32_e32 v2, v1
	v_add_nc_u32_e32 v5, 0x1000000, v1
	v_cmp_ne_u32_e32 vcc_lo, 0, v1
	s_delay_alu instid0(VALU_DEP_3) | instskip(NEXT) | instid1(VALU_DEP_1)
	v_min_u32_e32 v2, 32, v2
	v_sub_nc_u32_e64 v2, v2, 4 clamp
	s_delay_alu instid0(VALU_DEP_1) | instskip(NEXT) | instid1(VALU_DEP_1)
	v_dual_lshlrev_b32 v3, v2, v1 :: v_dual_lshlrev_b32 v2, 23, v2
	v_lshrrev_b32_e32 v3, 4, v3
	s_delay_alu instid0(VALU_DEP_1) | instskip(NEXT) | instid1(VALU_DEP_1)
	v_dual_sub_nc_u32 v2, v3, v2 :: v_dual_ashrrev_i32 v3, 8, v5
	v_add_nc_u32_e32 v2, 0x3c000000, v2
	s_delay_alu instid0(VALU_DEP_1) | instskip(NEXT) | instid1(VALU_DEP_1)
	v_and_or_b32 v2, 0x7f800000, v3, v2
	v_cndmask_b32_e32 v1, 0, v2, vcc_lo
	s_delay_alu instid0(VALU_DEP_1) | instskip(NEXT) | instid1(VALU_DEP_1)
	v_and_or_b32 v0, 0x80000000, v0, v1
	v_cvt_f64_f32_e32 v[0:1], v0
.LBB143_1707:
	s_mov_b32 s7, 0
.LBB143_1708:
	s_delay_alu instid0(SALU_CYCLE_1)
	s_and_not1_b32 vcc_lo, exec_lo, s7
	s_cbranch_vccnz .LBB143_1710
; %bb.1709:
	global_load_u8 v0, v[6:7], off
	s_wait_loadcnt 0x0
	v_lshlrev_b32_e32 v1, 25, v0
	v_lshlrev_b16 v0, 8, v0
	s_delay_alu instid0(VALU_DEP_1) | instskip(SKIP_1) | instid1(VALU_DEP_2)
	v_and_or_b32 v3, 0x7f00, v0, 0.5
	v_bfe_i32 v0, v0, 0, 16
	v_dual_add_f32 v3, -0.5, v3 :: v_dual_lshrrev_b32 v2, 4, v1
	v_cmp_gt_u32_e32 vcc_lo, 0x8000000, v1
	s_delay_alu instid0(VALU_DEP_2) | instskip(NEXT) | instid1(VALU_DEP_1)
	v_or_b32_e32 v2, 0x70000000, v2
	v_mul_f32_e32 v2, 0x7800000, v2
	s_delay_alu instid0(VALU_DEP_1) | instskip(NEXT) | instid1(VALU_DEP_1)
	v_cndmask_b32_e32 v1, v2, v3, vcc_lo
	v_and_or_b32 v0, 0x80000000, v0, v1
	s_delay_alu instid0(VALU_DEP_1)
	v_cvt_f64_f32_e32 v[0:1], v0
.LBB143_1710:
	s_mov_b32 s7, 0
	s_mov_b32 s20, -1
.LBB143_1711:
	s_and_not1_b32 vcc_lo, exec_lo, s7
	s_mov_b32 s7, 0
	s_cbranch_vccnz .LBB143_1720
; %bb.1712:
	s_cmp_gt_i32 s1, 14
	s_cbranch_scc0 .LBB143_1715
; %bb.1713:
	s_cmp_eq_u32 s1, 15
	s_cbranch_scc0 .LBB143_1716
; %bb.1714:
	global_load_u16 v0, v[6:7], off
	s_mov_b32 s6, 0
	s_mov_b32 s20, -1
	s_wait_loadcnt 0x0
	v_lshlrev_b32_e32 v0, 16, v0
	s_delay_alu instid0(VALU_DEP_1)
	v_cvt_f64_f32_e32 v[0:1], v0
	s_branch .LBB143_1718
.LBB143_1715:
	s_mov_b32 s7, -1
	s_branch .LBB143_1717
.LBB143_1716:
	s_mov_b32 s6, -1
.LBB143_1717:
                                        ; implicit-def: $vgpr0_vgpr1
.LBB143_1718:
	s_and_b32 vcc_lo, exec_lo, s7
	s_mov_b32 s7, 0
	s_cbranch_vccz .LBB143_1720
; %bb.1719:
	s_cmp_lg_u32 s1, 11
	s_mov_b32 s7, -1
	s_cselect_b32 s1, -1, 0
	s_and_not1_b32 s6, s6, exec_lo
	s_and_b32 s1, s1, exec_lo
	s_delay_alu instid0(SALU_CYCLE_1)
	s_or_b32 s6, s6, s1
.LBB143_1720:
	v_mov_b64_e32 v[2:3], 0
.LBB143_1721:
	s_mov_b32 s1, 0
.LBB143_1722:
	s_delay_alu instid0(SALU_CYCLE_1)
	s_and_b32 s39, s1, exec_lo
	s_and_not1_b32 s1, s64, exec_lo
	s_and_b32 s6, s6, exec_lo
	s_and_b32 s38, s20, exec_lo
	;; [unrolled: 1-line block ×3, first 2 shown]
	s_or_b32 s41, s1, s6
.LBB143_1723:
	s_wait_xcnt 0x0
	s_or_b32 exec_lo, exec_lo, s51
	s_delay_alu instid0(SALU_CYCLE_1)
	s_and_not1_b32 s1, s64, exec_lo
	s_and_b32 s6, s41, exec_lo
	s_and_b32 s38, s38, exec_lo
	;; [unrolled: 1-line block ×4, first 2 shown]
	s_or_b32 s64, s1, s6
.LBB143_1724:
	s_or_b32 exec_lo, exec_lo, s63
	s_delay_alu instid0(SALU_CYCLE_1)
	s_and_not1_b32 s1, s59, exec_lo
	s_and_b32 s6, s67, exec_lo
	s_and_not1_b32 s7, s61, exec_lo
	s_or_b32 s59, s1, s6
	s_and_not1_b32 s1, s60, exec_lo
	s_and_b32 s6, s65, exec_lo
	s_and_b32 s20, s66, exec_lo
	s_or_b32 s60, s1, s6
	s_and_not1_b32 s1, s58, exec_lo
	s_and_b32 s6, s64, exec_lo
	s_or_b32 s61, s7, s20
	s_and_b32 s38, s38, exec_lo
	s_and_b32 s39, s39, exec_lo
	;; [unrolled: 1-line block ×3, first 2 shown]
	s_or_b32 s58, s1, s6
.LBB143_1725:
	s_or_b32 exec_lo, exec_lo, s62
	s_delay_alu instid0(SALU_CYCLE_1)
	s_and_not1_b32 s1, s53, exec_lo
	s_and_b32 s6, s59, exec_lo
	s_and_not1_b32 s7, s55, exec_lo
	s_or_b32 s53, s1, s6
	s_and_not1_b32 s1, s54, exec_lo
	s_and_b32 s6, s60, exec_lo
	s_and_b32 s20, s61, exec_lo
	s_or_b32 s54, s1, s6
	s_and_not1_b32 s1, s56, exec_lo
	s_and_b32 s6, s58, exec_lo
	s_or_b32 s55, s7, s20
	s_and_b32 s38, s38, exec_lo
	s_and_b32 s39, s39, exec_lo
	;; [unrolled: 1-line block ×3, first 2 shown]
	s_or_b32 s56, s1, s6
	s_or_b32 exec_lo, exec_lo, s57
	s_mov_b32 s1, 0
	s_and_saveexec_b32 s6, s56
	s_cbranch_execz .LBB143_539
.LBB143_1726:
	s_mov_b32 s1, exec_lo
	s_and_not1_b32 s35, s35, exec_lo
	s_trap 2
	s_or_b32 exec_lo, exec_lo, s6
	s_and_saveexec_b32 s6, s35
	s_delay_alu instid0(SALU_CYCLE_1)
	s_xor_b32 s6, exec_lo, s6
	s_cbranch_execz .LBB143_540
.LBB143_1727:
	s_wait_loadcnt 0x0
	global_load_u8 v0, v[6:7], off
	v_mov_b64_e32 v[2:3], 0
	s_or_b32 s38, s38, exec_lo
	s_wait_loadcnt 0x0
	v_cmp_ne_u16_e32 vcc_lo, 0, v0
	v_mov_b32_e32 v0, 0
	v_cndmask_b32_e64 v1, 0, 0x3ff00000, vcc_lo
	s_wait_xcnt 0x0
	s_or_b32 exec_lo, exec_lo, s6
	s_and_saveexec_b32 s6, s39
	s_cbranch_execz .LBB143_1775
.LBB143_1728:
	s_sext_i32_i16 s7, s0
	s_delay_alu instid0(SALU_CYCLE_1)
	s_cmp_lt_i32 s7, 5
	s_cbranch_scc1 .LBB143_1733
; %bb.1729:
	s_cmp_lt_i32 s7, 8
	s_cbranch_scc1 .LBB143_1734
; %bb.1730:
	;; [unrolled: 3-line block ×3, first 2 shown]
	s_cmp_gt_i32 s7, 9
	s_cbranch_scc0 .LBB143_1736
; %bb.1732:
	s_wait_loadcnt 0x0
	global_load_b128 v[0:3], v[6:7], off
	s_mov_b32 s7, 0
	s_branch .LBB143_1737
.LBB143_1733:
                                        ; implicit-def: $vgpr2_vgpr3
	s_branch .LBB143_1755
.LBB143_1734:
                                        ; implicit-def: $vgpr2_vgpr3
	s_branch .LBB143_1743
.LBB143_1735:
	s_mov_b32 s7, -1
                                        ; implicit-def: $vgpr2_vgpr3
	s_branch .LBB143_1740
.LBB143_1736:
	s_mov_b32 s7, -1
                                        ; implicit-def: $vgpr2_vgpr3
.LBB143_1737:
	s_delay_alu instid0(SALU_CYCLE_1)
	s_and_not1_b32 vcc_lo, exec_lo, s7
	s_cbranch_vccnz .LBB143_1739
; %bb.1738:
	s_wait_loadcnt 0x0
	global_load_b64 v[2:3], v[6:7], off
	s_wait_loadcnt 0x0
	v_cvt_f64_f32_e32 v[0:1], v2
	v_cvt_f64_f32_e32 v[2:3], v3
.LBB143_1739:
	s_mov_b32 s7, 0
.LBB143_1740:
	s_delay_alu instid0(SALU_CYCLE_1)
	s_and_not1_b32 vcc_lo, exec_lo, s7
	s_cbranch_vccnz .LBB143_1742
; %bb.1741:
	s_wait_loadcnt 0x0
	global_load_b32 v0, v[6:7], off
	s_wait_loadcnt 0x0
	v_lshrrev_b32_e32 v1, 16, v0
	v_cvt_f32_f16_e32 v0, v0
	s_delay_alu instid0(VALU_DEP_2) | instskip(NEXT) | instid1(VALU_DEP_2)
	v_cvt_f32_f16_e32 v2, v1
	v_cvt_f64_f32_e32 v[0:1], v0
	s_delay_alu instid0(VALU_DEP_2)
	v_cvt_f64_f32_e32 v[2:3], v2
.LBB143_1742:
	s_cbranch_execnz .LBB143_1754
.LBB143_1743:
	s_sext_i32_i16 s7, s0
	s_delay_alu instid0(SALU_CYCLE_1)
	s_cmp_lt_i32 s7, 6
	s_cbranch_scc1 .LBB143_1746
; %bb.1744:
	s_cmp_gt_i32 s7, 6
	s_cbranch_scc0 .LBB143_1747
; %bb.1745:
	s_wait_loadcnt 0x0
	global_load_b64 v[0:1], v[6:7], off
	s_mov_b32 s7, 0
	s_branch .LBB143_1748
.LBB143_1746:
	s_mov_b32 s7, -1
                                        ; implicit-def: $vgpr0_vgpr1
	s_branch .LBB143_1751
.LBB143_1747:
	s_mov_b32 s7, -1
                                        ; implicit-def: $vgpr0_vgpr1
.LBB143_1748:
	s_delay_alu instid0(SALU_CYCLE_1)
	s_and_not1_b32 vcc_lo, exec_lo, s7
	s_cbranch_vccnz .LBB143_1750
; %bb.1749:
	s_wait_loadcnt 0x0
	global_load_b32 v0, v[6:7], off
	s_wait_loadcnt 0x0
	v_cvt_f64_f32_e32 v[0:1], v0
.LBB143_1750:
	s_mov_b32 s7, 0
.LBB143_1751:
	s_delay_alu instid0(SALU_CYCLE_1)
	s_and_not1_b32 vcc_lo, exec_lo, s7
	s_cbranch_vccnz .LBB143_1753
; %bb.1752:
	s_wait_loadcnt 0x0
	global_load_u16 v0, v[6:7], off
	s_wait_loadcnt 0x0
	v_cvt_f32_f16_e32 v0, v0
	s_delay_alu instid0(VALU_DEP_1)
	v_cvt_f64_f32_e32 v[0:1], v0
.LBB143_1753:
	s_wait_loadcnt 0x0
	v_mov_b64_e32 v[2:3], 0
.LBB143_1754:
	s_cbranch_execnz .LBB143_1774
.LBB143_1755:
	s_sext_i32_i16 s7, s0
	s_delay_alu instid0(SALU_CYCLE_1)
	s_cmp_lt_i32 s7, 2
	s_cbranch_scc1 .LBB143_1759
; %bb.1756:
	s_cmp_lt_i32 s7, 3
	s_cbranch_scc1 .LBB143_1760
; %bb.1757:
	s_cmp_gt_i32 s7, 3
	s_cbranch_scc0 .LBB143_1761
; %bb.1758:
	s_wait_loadcnt 0x0
	global_load_b64 v[0:1], v[6:7], off
	s_mov_b32 s7, 0
	s_wait_loadcnt 0x0
	v_cvt_f64_i32_e32 v[2:3], v1
	v_cvt_f64_u32_e32 v[0:1], v0
	s_delay_alu instid0(VALU_DEP_2) | instskip(NEXT) | instid1(VALU_DEP_1)
	v_ldexp_f64 v[2:3], v[2:3], 32
	v_add_f64_e32 v[0:1], v[2:3], v[0:1]
	s_branch .LBB143_1762
.LBB143_1759:
                                        ; implicit-def: $vgpr0_vgpr1
	s_branch .LBB143_1768
.LBB143_1760:
	s_mov_b32 s7, -1
                                        ; implicit-def: $vgpr0_vgpr1
	s_branch .LBB143_1765
.LBB143_1761:
	s_mov_b32 s7, -1
                                        ; implicit-def: $vgpr0_vgpr1
.LBB143_1762:
	s_delay_alu instid0(SALU_CYCLE_1)
	s_and_not1_b32 vcc_lo, exec_lo, s7
	s_cbranch_vccnz .LBB143_1764
; %bb.1763:
	s_wait_loadcnt 0x0
	global_load_b32 v0, v[6:7], off
	s_wait_loadcnt 0x0
	v_cvt_f64_i32_e32 v[0:1], v0
.LBB143_1764:
	s_mov_b32 s7, 0
.LBB143_1765:
	s_delay_alu instid0(SALU_CYCLE_1)
	s_and_not1_b32 vcc_lo, exec_lo, s7
	s_cbranch_vccnz .LBB143_1767
; %bb.1766:
	s_wait_loadcnt 0x0
	global_load_i16 v0, v[6:7], off
	s_wait_loadcnt 0x0
	v_cvt_f64_i32_e32 v[0:1], v0
.LBB143_1767:
	s_cbranch_execnz .LBB143_1773
.LBB143_1768:
	s_sext_i32_i16 s0, s0
	s_delay_alu instid0(SALU_CYCLE_1)
	s_cmp_gt_i32 s0, 0
	s_mov_b32 s0, 0
	s_cbranch_scc0 .LBB143_1770
; %bb.1769:
	s_wait_loadcnt 0x0
	global_load_i8 v0, v[6:7], off
	s_wait_loadcnt 0x0
	v_cvt_f64_i32_e32 v[0:1], v0
	s_branch .LBB143_1771
.LBB143_1770:
	s_mov_b32 s0, -1
                                        ; implicit-def: $vgpr0_vgpr1
.LBB143_1771:
	s_delay_alu instid0(SALU_CYCLE_1)
	s_and_not1_b32 vcc_lo, exec_lo, s0
	s_cbranch_vccnz .LBB143_1773
; %bb.1772:
	s_wait_loadcnt 0x0
	global_load_u8 v0, v[6:7], off
	s_wait_loadcnt 0x0
	v_cvt_f64_u32_e32 v[0:1], v0
.LBB143_1773:
	s_wait_loadcnt 0x0
	v_mov_b64_e32 v[2:3], 0
.LBB143_1774:
	s_or_b32 s38, s38, exec_lo
.LBB143_1775:
	s_wait_xcnt 0x0
	s_or_b32 exec_lo, exec_lo, s6
	s_mov_b32 s21, 0
	s_mov_b32 s20, 0
	;; [unrolled: 1-line block ×3, first 2 shown]
                                        ; implicit-def: $sgpr0
                                        ; implicit-def: $vgpr10_vgpr11
                                        ; implicit-def: $vgpr6_vgpr7
	s_and_saveexec_b32 s6, s38
	s_cbranch_execnz .LBB143_1779
; %bb.1776:
	s_or_b32 exec_lo, exec_lo, s6
	s_and_saveexec_b32 s6, s55
	s_cbranch_execnz .LBB143_1855
.LBB143_1777:
	s_or_b32 exec_lo, exec_lo, s6
	s_and_saveexec_b32 s6, s21
	s_delay_alu instid0(SALU_CYCLE_1)
	s_xor_b32 s6, exec_lo, s6
	s_cbranch_execnz .LBB143_1856
.LBB143_1778:
	s_or_b32 exec_lo, exec_lo, s6
	s_and_saveexec_b32 s6, s20
	s_cbranch_execnz .LBB143_1857
	s_branch .LBB143_1904
.LBB143_1779:
	s_wait_loadcnt 0x0
	v_mov_b32_e32 v5, 0
	s_and_b32 s0, s47, 0xff
	s_delay_alu instid0(SALU_CYCLE_1) | instskip(NEXT) | instid1(VALU_DEP_1)
	s_cmp_lt_i32 s0, 11
	v_add_nc_u64_e32 v[10:11], s[8:9], v[4:5]
	s_cbranch_scc1 .LBB143_1786
; %bb.1780:
	s_and_b32 s7, 0xffff, s0
	s_mov_b32 s9, 0
	s_cmp_gt_i32 s7, 25
	s_cbranch_scc0 .LBB143_1787
; %bb.1781:
	s_cmp_gt_i32 s7, 28
	s_cbranch_scc0 .LBB143_1788
; %bb.1782:
	;; [unrolled: 3-line block ×4, first 2 shown]
	s_cmp_eq_u32 s7, 46
	s_cbranch_scc0 .LBB143_1791
; %bb.1785:
	global_load_b32 v4, v[10:11], off
	s_mov_b32 s8, 0
	s_mov_b32 s20, -1
	s_wait_loadcnt 0x0
	v_lshlrev_b32_e32 v5, 16, v4
	v_and_b32_e32 v6, 0xffff0000, v4
	s_delay_alu instid0(VALU_DEP_2) | instskip(NEXT) | instid1(VALU_DEP_2)
	v_cvt_f64_f32_e32 v[4:5], v5
	v_cvt_f64_f32_e32 v[6:7], v6
	s_branch .LBB143_1793
.LBB143_1786:
	s_mov_b32 s21, -1
	s_mov_b32 s9, 0
	s_mov_b32 s8, s55
                                        ; implicit-def: $vgpr6_vgpr7
	s_branch .LBB143_1854
.LBB143_1787:
	s_mov_b32 s8, s55
                                        ; implicit-def: $vgpr6_vgpr7
	s_cbranch_execnz .LBB143_1822
	s_branch .LBB143_1853
.LBB143_1788:
	s_mov_b32 s21, -1
	s_mov_b32 s8, s55
                                        ; implicit-def: $vgpr6_vgpr7
	s_branch .LBB143_1805
.LBB143_1789:
	s_mov_b32 s21, -1
	s_mov_b32 s8, s55
                                        ; implicit-def: $vgpr6_vgpr7
	s_branch .LBB143_1799
.LBB143_1790:
	s_mov_b32 s21, -1
	s_mov_b32 s8, s55
	s_branch .LBB143_1792
.LBB143_1791:
	s_mov_b32 s8, -1
.LBB143_1792:
                                        ; implicit-def: $vgpr6_vgpr7
.LBB143_1793:
	s_and_b32 vcc_lo, exec_lo, s21
	s_cbranch_vccz .LBB143_1798
; %bb.1794:
	s_cmp_eq_u32 s7, 44
	s_cbranch_scc0 .LBB143_1796
; %bb.1795:
	global_load_u8 v6, v[10:11], off
	s_mov_b32 s8, 0
	s_mov_b32 s20, -1
	s_wait_loadcnt 0x0
	v_cmp_ne_u32_e32 vcc_lo, 0xff, v6
	v_lshlrev_b32_e32 v4, 23, v6
	s_delay_alu instid0(VALU_DEP_1) | instskip(NEXT) | instid1(VALU_DEP_1)
	v_cvt_f64_f32_e32 v[4:5], v4
	v_cndmask_b32_e32 v4, 0x20000000, v4, vcc_lo
	s_delay_alu instid0(VALU_DEP_2) | instskip(SKIP_1) | instid1(VALU_DEP_2)
	v_cndmask_b32_e32 v5, 0x7ff80000, v5, vcc_lo
	v_cmp_ne_u32_e32 vcc_lo, 0, v6
	v_cndmask_b32_e32 v5, 0x38000000, v5, vcc_lo
	s_delay_alu instid0(VALU_DEP_4)
	v_cndmask_b32_e32 v4, 0, v4, vcc_lo
	s_branch .LBB143_1797
.LBB143_1796:
	s_mov_b32 s8, -1
                                        ; implicit-def: $vgpr4_vgpr5
.LBB143_1797:
	v_mov_b64_e32 v[6:7], 0
.LBB143_1798:
	s_mov_b32 s21, 0
.LBB143_1799:
	s_delay_alu instid0(SALU_CYCLE_1)
	s_and_b32 vcc_lo, exec_lo, s21
	s_cbranch_vccz .LBB143_1804
; %bb.1800:
	s_cmp_eq_u32 s7, 29
	s_cbranch_scc0 .LBB143_1802
; %bb.1801:
	global_load_b64 v[4:5], v[10:11], off
	s_mov_b32 s8, 0
	s_mov_b32 s20, -1
	s_wait_loadcnt 0x0
	v_cvt_f64_u32_e32 v[6:7], v5
	v_cvt_f64_u32_e32 v[4:5], v4
	s_delay_alu instid0(VALU_DEP_2) | instskip(NEXT) | instid1(VALU_DEP_1)
	v_ldexp_f64 v[6:7], v[6:7], 32
	v_add_f64_e32 v[4:5], v[6:7], v[4:5]
	s_branch .LBB143_1803
.LBB143_1802:
	s_mov_b32 s8, -1
                                        ; implicit-def: $vgpr4_vgpr5
.LBB143_1803:
	v_mov_b64_e32 v[6:7], 0
.LBB143_1804:
	s_mov_b32 s21, 0
.LBB143_1805:
	s_delay_alu instid0(SALU_CYCLE_1)
	s_and_b32 vcc_lo, exec_lo, s21
	s_cbranch_vccz .LBB143_1821
; %bb.1806:
	s_cmp_lt_i32 s7, 27
	s_cbranch_scc1 .LBB143_1809
; %bb.1807:
	s_cmp_gt_i32 s7, 27
	s_cbranch_scc0 .LBB143_1810
; %bb.1808:
	global_load_b32 v4, v[10:11], off
	s_mov_b32 s20, 0
	s_wait_loadcnt 0x0
	v_cvt_f64_u32_e32 v[4:5], v4
	s_branch .LBB143_1811
.LBB143_1809:
	s_mov_b32 s20, -1
                                        ; implicit-def: $vgpr4_vgpr5
	s_branch .LBB143_1814
.LBB143_1810:
	s_mov_b32 s20, -1
                                        ; implicit-def: $vgpr4_vgpr5
.LBB143_1811:
	s_delay_alu instid0(SALU_CYCLE_1)
	s_and_not1_b32 vcc_lo, exec_lo, s20
	s_cbranch_vccnz .LBB143_1813
; %bb.1812:
	global_load_u16 v4, v[10:11], off
	s_wait_loadcnt 0x0
	v_cvt_f64_u32_e32 v[4:5], v4
.LBB143_1813:
	s_mov_b32 s20, 0
.LBB143_1814:
	s_delay_alu instid0(SALU_CYCLE_1)
	s_and_not1_b32 vcc_lo, exec_lo, s20
	s_cbranch_vccnz .LBB143_1820
; %bb.1815:
	global_load_u8 v6, v[10:11], off
	s_mov_b32 s20, 0
	s_mov_b32 s21, exec_lo
	s_wait_loadcnt 0x0
	v_cmpx_lt_i16_e32 0x7f, v6
	s_xor_b32 s21, exec_lo, s21
	s_cbranch_execnz .LBB143_1832
; %bb.1816:
	s_or_saveexec_b32 s21, s21
	v_mov_b64_e32 v[4:5], 0x7ff8000020000000
	s_xor_b32 exec_lo, exec_lo, s21
	s_cbranch_execnz .LBB143_1835
.LBB143_1817:
	s_or_b32 exec_lo, exec_lo, s21
	s_and_saveexec_b32 s21, s20
	s_cbranch_execz .LBB143_1819
.LBB143_1818:
	v_and_b32_e32 v4, 0xffff, v6
	s_delay_alu instid0(VALU_DEP_1) | instskip(SKIP_1) | instid1(VALU_DEP_2)
	v_and_b32_e32 v5, 7, v4
	v_bfe_u32 v12, v4, 3, 4
	v_clz_i32_u32_e32 v7, v5
	s_delay_alu instid0(VALU_DEP_2) | instskip(NEXT) | instid1(VALU_DEP_2)
	v_cmp_eq_u32_e32 vcc_lo, 0, v12
	v_min_u32_e32 v7, 32, v7
	s_delay_alu instid0(VALU_DEP_1) | instskip(NEXT) | instid1(VALU_DEP_1)
	v_subrev_nc_u32_e32 v9, 28, v7
	v_dual_lshlrev_b32 v4, v9, v4 :: v_dual_sub_nc_u32 v7, 29, v7
	s_delay_alu instid0(VALU_DEP_1) | instskip(NEXT) | instid1(VALU_DEP_1)
	v_dual_lshlrev_b32 v6, 24, v6 :: v_dual_bitop2_b32 v4, 7, v4 bitop3:0x40
	v_dual_cndmask_b32 v7, v12, v7 :: v_dual_cndmask_b32 v4, v5, v4
	s_delay_alu instid0(VALU_DEP_2) | instskip(NEXT) | instid1(VALU_DEP_2)
	v_and_b32_e32 v5, 0x80000000, v6
	v_lshl_add_u32 v6, v7, 23, 0x3b800000
	s_delay_alu instid0(VALU_DEP_3) | instskip(NEXT) | instid1(VALU_DEP_1)
	v_lshlrev_b32_e32 v4, 20, v4
	v_or3_b32 v4, v5, v6, v4
	s_delay_alu instid0(VALU_DEP_1)
	v_cvt_f64_f32_e32 v[4:5], v4
.LBB143_1819:
	s_or_b32 exec_lo, exec_lo, s21
.LBB143_1820:
	v_mov_b64_e32 v[6:7], 0
	s_mov_b32 s20, -1
.LBB143_1821:
	s_branch .LBB143_1853
.LBB143_1822:
	s_cmp_gt_i32 s7, 22
	s_cbranch_scc0 .LBB143_1830
; %bb.1823:
	s_cmp_lt_i32 s7, 24
	s_cbranch_scc1 .LBB143_1831
; %bb.1824:
	s_cmp_gt_i32 s7, 24
	s_cbranch_scc0 .LBB143_1836
; %bb.1825:
	global_load_u8 v6, v[10:11], off
	s_mov_b32 s20, exec_lo
	s_wait_loadcnt 0x0
	v_cmpx_lt_i16_e32 0x7f, v6
	s_xor_b32 s20, exec_lo, s20
	s_cbranch_execnz .LBB143_1920
; %bb.1826:
	s_or_saveexec_b32 s20, s20
	v_mov_b64_e32 v[4:5], 0x7ff8000020000000
	s_xor_b32 exec_lo, exec_lo, s20
	s_cbranch_execnz .LBB143_1923
.LBB143_1827:
	s_or_b32 exec_lo, exec_lo, s20
	s_and_saveexec_b32 s20, s9
	s_cbranch_execz .LBB143_1829
.LBB143_1828:
	v_and_b32_e32 v4, 0xffff, v6
	s_delay_alu instid0(VALU_DEP_1) | instskip(SKIP_1) | instid1(VALU_DEP_2)
	v_and_b32_e32 v5, 3, v4
	v_bfe_u32 v12, v4, 2, 5
	v_clz_i32_u32_e32 v7, v5
	s_delay_alu instid0(VALU_DEP_2) | instskip(NEXT) | instid1(VALU_DEP_2)
	v_cmp_eq_u32_e32 vcc_lo, 0, v12
	v_min_u32_e32 v7, 32, v7
	s_delay_alu instid0(VALU_DEP_1) | instskip(NEXT) | instid1(VALU_DEP_1)
	v_subrev_nc_u32_e32 v9, 29, v7
	v_dual_lshlrev_b32 v4, v9, v4 :: v_dual_sub_nc_u32 v7, 30, v7
	s_delay_alu instid0(VALU_DEP_1) | instskip(NEXT) | instid1(VALU_DEP_1)
	v_dual_lshlrev_b32 v6, 24, v6 :: v_dual_bitop2_b32 v4, 3, v4 bitop3:0x40
	v_dual_cndmask_b32 v7, v12, v7 :: v_dual_cndmask_b32 v4, v5, v4
	s_delay_alu instid0(VALU_DEP_2) | instskip(NEXT) | instid1(VALU_DEP_2)
	v_and_b32_e32 v5, 0x80000000, v6
	v_lshl_add_u32 v6, v7, 23, 0x37800000
	s_delay_alu instid0(VALU_DEP_3) | instskip(NEXT) | instid1(VALU_DEP_1)
	v_lshlrev_b32_e32 v4, 21, v4
	v_or3_b32 v4, v5, v6, v4
	s_delay_alu instid0(VALU_DEP_1)
	v_cvt_f64_f32_e32 v[4:5], v4
.LBB143_1829:
	s_or_b32 exec_lo, exec_lo, s20
	s_mov_b32 s9, 0
	s_branch .LBB143_1837
.LBB143_1830:
	s_mov_b32 s9, -1
                                        ; implicit-def: $vgpr4_vgpr5
	s_branch .LBB143_1843
.LBB143_1831:
	s_mov_b32 s9, -1
                                        ; implicit-def: $vgpr4_vgpr5
	s_branch .LBB143_1840
.LBB143_1832:
	s_mov_b32 s20, -1
	s_mov_b32 s22, exec_lo
	v_cmpx_eq_u16_e32 0x80, v6
; %bb.1833:
	s_xor_b32 s20, exec_lo, -1
; %bb.1834:
	s_or_b32 exec_lo, exec_lo, s22
	s_delay_alu instid0(SALU_CYCLE_1)
	s_and_b32 s20, s20, exec_lo
	s_or_saveexec_b32 s21, s21
	v_mov_b64_e32 v[4:5], 0x7ff8000020000000
	s_xor_b32 exec_lo, exec_lo, s21
	s_cbranch_execz .LBB143_1817
.LBB143_1835:
	v_cmp_ne_u16_e32 vcc_lo, 0, v6
	v_mov_b64_e32 v[4:5], 0
	s_and_not1_b32 s20, s20, exec_lo
	s_and_b32 s22, vcc_lo, exec_lo
	s_delay_alu instid0(SALU_CYCLE_1)
	s_or_b32 s20, s20, s22
	s_or_b32 exec_lo, exec_lo, s21
	s_and_saveexec_b32 s21, s20
	s_cbranch_execnz .LBB143_1818
	s_branch .LBB143_1819
.LBB143_1836:
	s_mov_b32 s9, -1
                                        ; implicit-def: $vgpr4_vgpr5
.LBB143_1837:
	s_delay_alu instid0(SALU_CYCLE_1)
	s_and_b32 vcc_lo, exec_lo, s9
	s_cbranch_vccz .LBB143_1839
; %bb.1838:
	global_load_u8 v4, v[10:11], off
	s_wait_loadcnt 0x0
	v_lshlrev_b32_e32 v4, 24, v4
	s_delay_alu instid0(VALU_DEP_1) | instskip(NEXT) | instid1(VALU_DEP_1)
	v_and_b32_e32 v5, 0x7f000000, v4
	v_clz_i32_u32_e32 v6, v5
	v_add_nc_u32_e32 v9, 0x1000000, v5
	v_cmp_ne_u32_e32 vcc_lo, 0, v5
	s_delay_alu instid0(VALU_DEP_3) | instskip(NEXT) | instid1(VALU_DEP_1)
	v_min_u32_e32 v6, 32, v6
	v_sub_nc_u32_e64 v6, v6, 4 clamp
	s_delay_alu instid0(VALU_DEP_1) | instskip(NEXT) | instid1(VALU_DEP_1)
	v_dual_lshlrev_b32 v7, v6, v5 :: v_dual_lshlrev_b32 v6, 23, v6
	v_lshrrev_b32_e32 v7, 4, v7
	s_delay_alu instid0(VALU_DEP_1) | instskip(NEXT) | instid1(VALU_DEP_1)
	v_dual_sub_nc_u32 v6, v7, v6 :: v_dual_ashrrev_i32 v7, 8, v9
	v_add_nc_u32_e32 v6, 0x3c000000, v6
	s_delay_alu instid0(VALU_DEP_1) | instskip(NEXT) | instid1(VALU_DEP_1)
	v_and_or_b32 v6, 0x7f800000, v7, v6
	v_cndmask_b32_e32 v5, 0, v6, vcc_lo
	s_delay_alu instid0(VALU_DEP_1) | instskip(NEXT) | instid1(VALU_DEP_1)
	v_and_or_b32 v4, 0x80000000, v4, v5
	v_cvt_f64_f32_e32 v[4:5], v4
.LBB143_1839:
	s_mov_b32 s9, 0
.LBB143_1840:
	s_delay_alu instid0(SALU_CYCLE_1)
	s_and_not1_b32 vcc_lo, exec_lo, s9
	s_cbranch_vccnz .LBB143_1842
; %bb.1841:
	global_load_u8 v4, v[10:11], off
	s_wait_loadcnt 0x0
	v_lshlrev_b32_e32 v5, 25, v4
	v_lshlrev_b16 v4, 8, v4
	s_delay_alu instid0(VALU_DEP_1) | instskip(SKIP_1) | instid1(VALU_DEP_2)
	v_and_or_b32 v7, 0x7f00, v4, 0.5
	v_bfe_i32 v4, v4, 0, 16
	v_dual_add_f32 v7, -0.5, v7 :: v_dual_lshrrev_b32 v6, 4, v5
	v_cmp_gt_u32_e32 vcc_lo, 0x8000000, v5
	s_delay_alu instid0(VALU_DEP_2) | instskip(NEXT) | instid1(VALU_DEP_1)
	v_or_b32_e32 v6, 0x70000000, v6
	v_mul_f32_e32 v6, 0x7800000, v6
	s_delay_alu instid0(VALU_DEP_1) | instskip(NEXT) | instid1(VALU_DEP_1)
	v_cndmask_b32_e32 v5, v6, v7, vcc_lo
	v_and_or_b32 v4, 0x80000000, v4, v5
	s_delay_alu instid0(VALU_DEP_1)
	v_cvt_f64_f32_e32 v[4:5], v4
.LBB143_1842:
	s_mov_b32 s9, 0
	s_mov_b32 s20, -1
.LBB143_1843:
	s_and_not1_b32 vcc_lo, exec_lo, s9
	s_mov_b32 s9, 0
	s_cbranch_vccnz .LBB143_1852
; %bb.1844:
	s_cmp_gt_i32 s7, 14
	s_cbranch_scc0 .LBB143_1847
; %bb.1845:
	s_cmp_eq_u32 s7, 15
	s_cbranch_scc0 .LBB143_1848
; %bb.1846:
	global_load_u16 v4, v[10:11], off
	s_mov_b32 s8, 0
	s_mov_b32 s20, -1
	s_wait_loadcnt 0x0
	v_lshlrev_b32_e32 v4, 16, v4
	s_delay_alu instid0(VALU_DEP_1)
	v_cvt_f64_f32_e32 v[4:5], v4
	s_branch .LBB143_1850
.LBB143_1847:
	s_mov_b32 s9, -1
	s_branch .LBB143_1849
.LBB143_1848:
	s_mov_b32 s8, -1
.LBB143_1849:
                                        ; implicit-def: $vgpr4_vgpr5
.LBB143_1850:
	s_and_b32 vcc_lo, exec_lo, s9
	s_mov_b32 s9, 0
	s_cbranch_vccz .LBB143_1852
; %bb.1851:
	s_cmp_lg_u32 s7, 11
	s_mov_b32 s9, -1
	s_cselect_b32 s7, -1, 0
	s_and_not1_b32 s8, s8, exec_lo
	s_and_b32 s7, s7, exec_lo
	s_delay_alu instid0(SALU_CYCLE_1)
	s_or_b32 s8, s8, s7
.LBB143_1852:
	v_mov_b64_e32 v[6:7], 0
.LBB143_1853:
	s_mov_b32 s21, 0
.LBB143_1854:
	s_and_not1_b32 s22, s55, exec_lo
	s_and_b32 s8, s8, exec_lo
	s_and_b32 s7, s20, exec_lo
	;; [unrolled: 1-line block ×4, first 2 shown]
	s_or_b32 s55, s22, s8
	s_wait_xcnt 0x0
	s_or_b32 exec_lo, exec_lo, s6
	s_and_saveexec_b32 s6, s55
	s_cbranch_execz .LBB143_1777
.LBB143_1855:
	s_or_b32 s1, s1, exec_lo
	s_and_not1_b32 s21, s21, exec_lo
	s_trap 2
	s_or_b32 exec_lo, exec_lo, s6
	s_and_saveexec_b32 s6, s21
	s_delay_alu instid0(SALU_CYCLE_1)
	s_xor_b32 s6, exec_lo, s6
	s_cbranch_execz .LBB143_1778
.LBB143_1856:
	s_wait_loadcnt 0x0
	global_load_u8 v4, v[10:11], off
	v_mov_b64_e32 v[6:7], 0
	s_or_b32 s7, s7, exec_lo
	s_wait_loadcnt 0x0
	v_cmp_ne_u16_e32 vcc_lo, 0, v4
	v_mov_b32_e32 v4, 0
	v_cndmask_b32_e64 v5, 0, 0x3ff00000, vcc_lo
	s_wait_xcnt 0x0
	s_or_b32 exec_lo, exec_lo, s6
	s_and_saveexec_b32 s6, s20
	s_cbranch_execz .LBB143_1904
.LBB143_1857:
	s_sext_i32_i16 s8, s0
	s_delay_alu instid0(SALU_CYCLE_1)
	s_cmp_lt_i32 s8, 5
	s_cbranch_scc1 .LBB143_1862
; %bb.1858:
	s_cmp_lt_i32 s8, 8
	s_cbranch_scc1 .LBB143_1863
; %bb.1859:
	;; [unrolled: 3-line block ×3, first 2 shown]
	s_cmp_gt_i32 s8, 9
	s_cbranch_scc0 .LBB143_1865
; %bb.1861:
	s_wait_loadcnt 0x0
	global_load_b128 v[4:7], v[10:11], off
	s_mov_b32 s8, 0
	s_branch .LBB143_1866
.LBB143_1862:
                                        ; implicit-def: $vgpr6_vgpr7
	s_branch .LBB143_1884
.LBB143_1863:
                                        ; implicit-def: $vgpr6_vgpr7
	s_branch .LBB143_1872
.LBB143_1864:
	s_mov_b32 s8, -1
                                        ; implicit-def: $vgpr6_vgpr7
	s_branch .LBB143_1869
.LBB143_1865:
	s_mov_b32 s8, -1
                                        ; implicit-def: $vgpr6_vgpr7
.LBB143_1866:
	s_delay_alu instid0(SALU_CYCLE_1)
	s_and_not1_b32 vcc_lo, exec_lo, s8
	s_cbranch_vccnz .LBB143_1868
; %bb.1867:
	s_wait_loadcnt 0x0
	global_load_b64 v[6:7], v[10:11], off
	s_wait_loadcnt 0x0
	v_cvt_f64_f32_e32 v[4:5], v6
	v_cvt_f64_f32_e32 v[6:7], v7
.LBB143_1868:
	s_mov_b32 s8, 0
.LBB143_1869:
	s_delay_alu instid0(SALU_CYCLE_1)
	s_and_not1_b32 vcc_lo, exec_lo, s8
	s_cbranch_vccnz .LBB143_1871
; %bb.1870:
	s_wait_loadcnt 0x0
	global_load_b32 v4, v[10:11], off
	s_wait_loadcnt 0x0
	v_lshrrev_b32_e32 v5, 16, v4
	v_cvt_f32_f16_e32 v4, v4
	s_delay_alu instid0(VALU_DEP_2) | instskip(NEXT) | instid1(VALU_DEP_2)
	v_cvt_f32_f16_e32 v6, v5
	v_cvt_f64_f32_e32 v[4:5], v4
	s_delay_alu instid0(VALU_DEP_2)
	v_cvt_f64_f32_e32 v[6:7], v6
.LBB143_1871:
	s_cbranch_execnz .LBB143_1883
.LBB143_1872:
	s_sext_i32_i16 s8, s0
	s_delay_alu instid0(SALU_CYCLE_1)
	s_cmp_lt_i32 s8, 6
	s_cbranch_scc1 .LBB143_1875
; %bb.1873:
	s_cmp_gt_i32 s8, 6
	s_cbranch_scc0 .LBB143_1876
; %bb.1874:
	s_wait_loadcnt 0x0
	global_load_b64 v[4:5], v[10:11], off
	s_mov_b32 s8, 0
	s_branch .LBB143_1877
.LBB143_1875:
	s_mov_b32 s8, -1
                                        ; implicit-def: $vgpr4_vgpr5
	s_branch .LBB143_1880
.LBB143_1876:
	s_mov_b32 s8, -1
                                        ; implicit-def: $vgpr4_vgpr5
.LBB143_1877:
	s_delay_alu instid0(SALU_CYCLE_1)
	s_and_not1_b32 vcc_lo, exec_lo, s8
	s_cbranch_vccnz .LBB143_1879
; %bb.1878:
	s_wait_loadcnt 0x0
	global_load_b32 v4, v[10:11], off
	s_wait_loadcnt 0x0
	v_cvt_f64_f32_e32 v[4:5], v4
.LBB143_1879:
	s_mov_b32 s8, 0
.LBB143_1880:
	s_delay_alu instid0(SALU_CYCLE_1)
	s_and_not1_b32 vcc_lo, exec_lo, s8
	s_cbranch_vccnz .LBB143_1882
; %bb.1881:
	s_wait_loadcnt 0x0
	global_load_u16 v4, v[10:11], off
	s_wait_loadcnt 0x0
	v_cvt_f32_f16_e32 v4, v4
	s_delay_alu instid0(VALU_DEP_1)
	v_cvt_f64_f32_e32 v[4:5], v4
.LBB143_1882:
	s_wait_loadcnt 0x0
	v_mov_b64_e32 v[6:7], 0
.LBB143_1883:
	s_cbranch_execnz .LBB143_1903
.LBB143_1884:
	s_sext_i32_i16 s8, s0
	s_delay_alu instid0(SALU_CYCLE_1)
	s_cmp_lt_i32 s8, 2
	s_cbranch_scc1 .LBB143_1888
; %bb.1885:
	s_cmp_lt_i32 s8, 3
	s_cbranch_scc1 .LBB143_1889
; %bb.1886:
	s_cmp_gt_i32 s8, 3
	s_cbranch_scc0 .LBB143_1890
; %bb.1887:
	s_wait_loadcnt 0x0
	global_load_b64 v[4:5], v[10:11], off
	s_mov_b32 s8, 0
	s_wait_loadcnt 0x0
	v_cvt_f64_i32_e32 v[6:7], v5
	v_cvt_f64_u32_e32 v[4:5], v4
	s_delay_alu instid0(VALU_DEP_2) | instskip(NEXT) | instid1(VALU_DEP_1)
	v_ldexp_f64 v[6:7], v[6:7], 32
	v_add_f64_e32 v[4:5], v[6:7], v[4:5]
	s_branch .LBB143_1891
.LBB143_1888:
                                        ; implicit-def: $vgpr4_vgpr5
	s_branch .LBB143_1897
.LBB143_1889:
	s_mov_b32 s8, -1
                                        ; implicit-def: $vgpr4_vgpr5
	s_branch .LBB143_1894
.LBB143_1890:
	s_mov_b32 s8, -1
                                        ; implicit-def: $vgpr4_vgpr5
.LBB143_1891:
	s_delay_alu instid0(SALU_CYCLE_1)
	s_and_not1_b32 vcc_lo, exec_lo, s8
	s_cbranch_vccnz .LBB143_1893
; %bb.1892:
	s_wait_loadcnt 0x0
	global_load_b32 v4, v[10:11], off
	s_wait_loadcnt 0x0
	v_cvt_f64_i32_e32 v[4:5], v4
.LBB143_1893:
	s_mov_b32 s8, 0
.LBB143_1894:
	s_delay_alu instid0(SALU_CYCLE_1)
	s_and_not1_b32 vcc_lo, exec_lo, s8
	s_cbranch_vccnz .LBB143_1896
; %bb.1895:
	s_wait_loadcnt 0x0
	global_load_i16 v4, v[10:11], off
	s_wait_loadcnt 0x0
	v_cvt_f64_i32_e32 v[4:5], v4
.LBB143_1896:
	s_cbranch_execnz .LBB143_1902
.LBB143_1897:
	s_sext_i32_i16 s0, s0
	s_delay_alu instid0(SALU_CYCLE_1)
	s_cmp_gt_i32 s0, 0
	s_mov_b32 s0, 0
	s_cbranch_scc0 .LBB143_1899
; %bb.1898:
	s_wait_loadcnt 0x0
	global_load_i8 v4, v[10:11], off
	s_wait_loadcnt 0x0
	v_cvt_f64_i32_e32 v[4:5], v4
	s_branch .LBB143_1900
.LBB143_1899:
	s_mov_b32 s0, -1
                                        ; implicit-def: $vgpr4_vgpr5
.LBB143_1900:
	s_delay_alu instid0(SALU_CYCLE_1)
	s_and_not1_b32 vcc_lo, exec_lo, s0
	s_cbranch_vccnz .LBB143_1902
; %bb.1901:
	s_wait_loadcnt 0x0
	global_load_u8 v4, v[10:11], off
	s_wait_loadcnt 0x0
	v_cvt_f64_u32_e32 v[4:5], v4
.LBB143_1902:
	s_wait_loadcnt 0x0
	v_mov_b64_e32 v[6:7], 0
.LBB143_1903:
	s_or_b32 s7, s7, exec_lo
.LBB143_1904:
	s_wait_xcnt 0x0
	s_or_b32 exec_lo, exec_lo, s6
	s_mov_b32 s8, 0
	s_mov_b32 s6, 0
	;; [unrolled: 1-line block ×3, first 2 shown]
                                        ; implicit-def: $vgpr16_vgpr17
                                        ; implicit-def: $vgpr12_vgpr13
	s_and_saveexec_b32 s0, s7
	s_cbranch_execnz .LBB143_1908
; %bb.1905:
	s_or_b32 exec_lo, exec_lo, s0
	s_and_saveexec_b32 s0, s54
	s_cbranch_execnz .LBB143_1988
.LBB143_1906:
	s_or_b32 exec_lo, exec_lo, s0
	s_and_saveexec_b32 s0, s8
	s_delay_alu instid0(SALU_CYCLE_1)
	s_xor_b32 s0, exec_lo, s0
	s_cbranch_execnz .LBB143_1989
.LBB143_1907:
	s_or_b32 exec_lo, exec_lo, s0
	s_and_saveexec_b32 s0, s6
	s_cbranch_execnz .LBB143_1990
	s_branch .LBB143_2037
.LBB143_1908:
	s_wait_loadcnt 0x0
	v_mov_b32_e32 v9, 0
	s_and_b32 s6, 0xffff, s29
	s_delay_alu instid0(SALU_CYCLE_1) | instskip(NEXT) | instid1(VALU_DEP_1)
	s_cmp_lt_i32 s6, 11
	v_add_nc_u64_e32 v[16:17], s[10:11], v[8:9]
	s_cbranch_scc1 .LBB143_1915
; %bb.1909:
	s_cmp_gt_i32 s6, 25
	s_cbranch_scc0 .LBB143_1916
; %bb.1910:
	s_cmp_gt_i32 s6, 28
	s_cbranch_scc0 .LBB143_1917
	;; [unrolled: 3-line block ×4, first 2 shown]
; %bb.1913:
	s_cmp_eq_u32 s6, 46
	s_mov_b32 s10, 0
	s_cbranch_scc0 .LBB143_1924
; %bb.1914:
	global_load_b32 v8, v[16:17], off
	s_mov_b32 s7, 0
	s_mov_b32 s9, -1
	s_wait_loadcnt 0x0
	v_lshlrev_b32_e32 v9, 16, v8
	v_and_b32_e32 v8, 0xffff0000, v8
	s_delay_alu instid0(VALU_DEP_2) | instskip(NEXT) | instid1(VALU_DEP_2)
	v_cvt_f64_f32_e32 v[10:11], v9
	v_cvt_f64_f32_e32 v[12:13], v8
	s_branch .LBB143_1926
.LBB143_1915:
	s_mov_b32 s6, -1
	s_mov_b32 s7, s54
                                        ; implicit-def: $vgpr12_vgpr13
	s_branch .LBB143_1987
.LBB143_1916:
	s_mov_b32 s7, s54
                                        ; implicit-def: $vgpr12_vgpr13
	s_cbranch_execnz .LBB143_1955
	s_branch .LBB143_1986
.LBB143_1917:
	s_mov_b32 s10, -1
	s_mov_b32 s7, s54
                                        ; implicit-def: $vgpr12_vgpr13
	s_branch .LBB143_1938
.LBB143_1918:
	s_mov_b32 s10, -1
	s_mov_b32 s7, s54
                                        ; implicit-def: $vgpr12_vgpr13
	s_branch .LBB143_1932
.LBB143_1919:
	s_mov_b32 s10, -1
	s_mov_b32 s7, s54
	s_branch .LBB143_1925
.LBB143_1920:
	s_mov_b32 s9, -1
	s_mov_b32 s21, exec_lo
	v_cmpx_eq_u16_e32 0x80, v6
; %bb.1921:
	s_xor_b32 s9, exec_lo, -1
; %bb.1922:
	s_or_b32 exec_lo, exec_lo, s21
	s_delay_alu instid0(SALU_CYCLE_1)
	s_and_b32 s9, s9, exec_lo
	s_or_saveexec_b32 s20, s20
	v_mov_b64_e32 v[4:5], 0x7ff8000020000000
	s_xor_b32 exec_lo, exec_lo, s20
	s_cbranch_execz .LBB143_1827
.LBB143_1923:
	v_cmp_ne_u16_e32 vcc_lo, 0, v6
	v_mov_b64_e32 v[4:5], 0
	s_and_not1_b32 s9, s9, exec_lo
	s_and_b32 s21, vcc_lo, exec_lo
	s_delay_alu instid0(SALU_CYCLE_1)
	s_or_b32 s9, s9, s21
	s_or_b32 exec_lo, exec_lo, s20
	s_and_saveexec_b32 s20, s9
	s_cbranch_execnz .LBB143_1828
	s_branch .LBB143_1829
.LBB143_1924:
	s_mov_b32 s7, -1
.LBB143_1925:
                                        ; implicit-def: $vgpr12_vgpr13
.LBB143_1926:
	s_and_b32 vcc_lo, exec_lo, s10
	s_cbranch_vccz .LBB143_1931
; %bb.1927:
	s_cmp_eq_u32 s6, 44
	s_cbranch_scc0 .LBB143_1929
; %bb.1928:
	global_load_u8 v10, v[16:17], off
	s_mov_b32 s7, 0
	s_mov_b32 s9, -1
	s_wait_loadcnt 0x0
	v_cmp_ne_u32_e32 vcc_lo, 0xff, v10
	v_lshlrev_b32_e32 v8, 23, v10
	s_delay_alu instid0(VALU_DEP_1) | instskip(NEXT) | instid1(VALU_DEP_1)
	v_cvt_f64_f32_e32 v[8:9], v8
	v_cndmask_b32_e32 v8, 0x20000000, v8, vcc_lo
	s_delay_alu instid0(VALU_DEP_2) | instskip(SKIP_1) | instid1(VALU_DEP_2)
	v_cndmask_b32_e32 v9, 0x7ff80000, v9, vcc_lo
	v_cmp_ne_u32_e32 vcc_lo, 0, v10
	v_cndmask_b32_e32 v11, 0x38000000, v9, vcc_lo
	s_delay_alu instid0(VALU_DEP_4)
	v_cndmask_b32_e32 v10, 0, v8, vcc_lo
	s_branch .LBB143_1930
.LBB143_1929:
	s_mov_b32 s7, -1
                                        ; implicit-def: $vgpr10_vgpr11
.LBB143_1930:
	v_mov_b64_e32 v[12:13], 0
.LBB143_1931:
	s_mov_b32 s10, 0
.LBB143_1932:
	s_delay_alu instid0(SALU_CYCLE_1)
	s_and_b32 vcc_lo, exec_lo, s10
	s_cbranch_vccz .LBB143_1937
; %bb.1933:
	s_cmp_eq_u32 s6, 29
	s_cbranch_scc0 .LBB143_1935
; %bb.1934:
	global_load_b64 v[8:9], v[16:17], off
	s_mov_b32 s7, 0
	s_mov_b32 s9, -1
	s_wait_loadcnt 0x0
	v_cvt_f64_u32_e32 v[10:11], v9
	v_cvt_f64_u32_e32 v[8:9], v8
	s_delay_alu instid0(VALU_DEP_2) | instskip(NEXT) | instid1(VALU_DEP_1)
	v_ldexp_f64 v[10:11], v[10:11], 32
	v_add_f64_e32 v[10:11], v[10:11], v[8:9]
	s_branch .LBB143_1936
.LBB143_1935:
	s_mov_b32 s7, -1
                                        ; implicit-def: $vgpr10_vgpr11
.LBB143_1936:
	v_mov_b64_e32 v[12:13], 0
.LBB143_1937:
	s_mov_b32 s10, 0
.LBB143_1938:
	s_delay_alu instid0(SALU_CYCLE_1)
	s_and_b32 vcc_lo, exec_lo, s10
	s_cbranch_vccz .LBB143_1954
; %bb.1939:
	s_cmp_lt_i32 s6, 27
	s_cbranch_scc1 .LBB143_1942
; %bb.1940:
	s_cmp_gt_i32 s6, 27
	s_cbranch_scc0 .LBB143_1943
; %bb.1941:
	global_load_b32 v8, v[16:17], off
	s_mov_b32 s9, 0
	s_wait_loadcnt 0x0
	v_cvt_f64_u32_e32 v[10:11], v8
	s_branch .LBB143_1944
.LBB143_1942:
	s_mov_b32 s9, -1
                                        ; implicit-def: $vgpr10_vgpr11
	s_branch .LBB143_1947
.LBB143_1943:
	s_mov_b32 s9, -1
                                        ; implicit-def: $vgpr10_vgpr11
.LBB143_1944:
	s_delay_alu instid0(SALU_CYCLE_1)
	s_and_not1_b32 vcc_lo, exec_lo, s9
	s_cbranch_vccnz .LBB143_1946
; %bb.1945:
	global_load_u16 v8, v[16:17], off
	s_wait_loadcnt 0x0
	v_cvt_f64_u32_e32 v[10:11], v8
.LBB143_1946:
	s_mov_b32 s9, 0
.LBB143_1947:
	s_delay_alu instid0(SALU_CYCLE_1)
	s_and_not1_b32 vcc_lo, exec_lo, s9
	s_cbranch_vccnz .LBB143_1953
; %bb.1948:
	global_load_u8 v8, v[16:17], off
	s_mov_b32 s9, 0
	s_mov_b32 s10, exec_lo
	s_wait_loadcnt 0x0
	v_cmpx_lt_i16_e32 0x7f, v8
	s_xor_b32 s10, exec_lo, s10
	s_cbranch_execnz .LBB143_1965
; %bb.1949:
	s_or_saveexec_b32 s10, s10
	v_mov_b64_e32 v[10:11], 0x7ff8000020000000
	s_xor_b32 exec_lo, exec_lo, s10
	s_cbranch_execnz .LBB143_1968
.LBB143_1950:
	s_or_b32 exec_lo, exec_lo, s10
	s_and_saveexec_b32 s10, s9
	s_cbranch_execz .LBB143_1952
.LBB143_1951:
	v_and_b32_e32 v9, 0xffff, v8
	s_delay_alu instid0(VALU_DEP_1) | instskip(SKIP_1) | instid1(VALU_DEP_2)
	v_and_b32_e32 v10, 7, v9
	v_bfe_u32 v13, v9, 3, 4
	v_clz_i32_u32_e32 v11, v10
	s_delay_alu instid0(VALU_DEP_2) | instskip(NEXT) | instid1(VALU_DEP_2)
	v_cmp_eq_u32_e32 vcc_lo, 0, v13
	v_min_u32_e32 v11, 32, v11
	s_delay_alu instid0(VALU_DEP_1) | instskip(NEXT) | instid1(VALU_DEP_1)
	v_subrev_nc_u32_e32 v12, 28, v11
	v_dual_lshlrev_b32 v9, v12, v9 :: v_dual_sub_nc_u32 v11, 29, v11
	s_delay_alu instid0(VALU_DEP_1) | instskip(NEXT) | instid1(VALU_DEP_1)
	v_dual_lshlrev_b32 v8, 24, v8 :: v_dual_bitop2_b32 v9, 7, v9 bitop3:0x40
	v_dual_cndmask_b32 v11, v13, v11, vcc_lo :: v_dual_cndmask_b32 v9, v10, v9, vcc_lo
	s_delay_alu instid0(VALU_DEP_2) | instskip(NEXT) | instid1(VALU_DEP_2)
	v_and_b32_e32 v8, 0x80000000, v8
	v_lshl_add_u32 v10, v11, 23, 0x3b800000
	s_delay_alu instid0(VALU_DEP_3) | instskip(NEXT) | instid1(VALU_DEP_1)
	v_lshlrev_b32_e32 v9, 20, v9
	v_or3_b32 v8, v8, v10, v9
	s_delay_alu instid0(VALU_DEP_1)
	v_cvt_f64_f32_e32 v[10:11], v8
.LBB143_1952:
	s_or_b32 exec_lo, exec_lo, s10
.LBB143_1953:
	v_mov_b64_e32 v[12:13], 0
	s_mov_b32 s9, -1
.LBB143_1954:
	s_branch .LBB143_1986
.LBB143_1955:
	s_cmp_gt_i32 s6, 22
	s_cbranch_scc0 .LBB143_1963
; %bb.1956:
	s_cmp_lt_i32 s6, 24
	s_cbranch_scc1 .LBB143_1964
; %bb.1957:
	s_cmp_gt_i32 s6, 24
	s_cbranch_scc0 .LBB143_1969
; %bb.1958:
	global_load_u8 v8, v[16:17], off
	s_mov_b32 s9, exec_lo
	s_wait_loadcnt 0x0
	v_cmpx_lt_i16_e32 0x7f, v8
	s_xor_b32 s9, exec_lo, s9
	s_cbranch_execnz .LBB143_2049
; %bb.1959:
	s_or_saveexec_b32 s9, s9
	v_mov_b64_e32 v[10:11], 0x7ff8000020000000
	s_xor_b32 exec_lo, exec_lo, s9
	s_cbranch_execnz .LBB143_2052
.LBB143_1960:
	s_or_b32 exec_lo, exec_lo, s9
	s_and_saveexec_b32 s9, s8
	s_cbranch_execz .LBB143_1962
.LBB143_1961:
	v_and_b32_e32 v9, 0xffff, v8
	s_delay_alu instid0(VALU_DEP_1) | instskip(SKIP_1) | instid1(VALU_DEP_2)
	v_and_b32_e32 v10, 3, v9
	v_bfe_u32 v13, v9, 2, 5
	v_clz_i32_u32_e32 v11, v10
	s_delay_alu instid0(VALU_DEP_2) | instskip(NEXT) | instid1(VALU_DEP_2)
	v_cmp_eq_u32_e32 vcc_lo, 0, v13
	v_min_u32_e32 v11, 32, v11
	s_delay_alu instid0(VALU_DEP_1) | instskip(NEXT) | instid1(VALU_DEP_1)
	v_subrev_nc_u32_e32 v12, 29, v11
	v_dual_lshlrev_b32 v9, v12, v9 :: v_dual_sub_nc_u32 v11, 30, v11
	s_delay_alu instid0(VALU_DEP_1) | instskip(NEXT) | instid1(VALU_DEP_1)
	v_dual_lshlrev_b32 v8, 24, v8 :: v_dual_bitop2_b32 v9, 3, v9 bitop3:0x40
	v_dual_cndmask_b32 v11, v13, v11, vcc_lo :: v_dual_cndmask_b32 v9, v10, v9, vcc_lo
	s_delay_alu instid0(VALU_DEP_2) | instskip(NEXT) | instid1(VALU_DEP_2)
	v_and_b32_e32 v8, 0x80000000, v8
	v_lshl_add_u32 v10, v11, 23, 0x37800000
	s_delay_alu instid0(VALU_DEP_3) | instskip(NEXT) | instid1(VALU_DEP_1)
	v_lshlrev_b32_e32 v9, 21, v9
	v_or3_b32 v8, v8, v10, v9
	s_delay_alu instid0(VALU_DEP_1)
	v_cvt_f64_f32_e32 v[10:11], v8
.LBB143_1962:
	s_or_b32 exec_lo, exec_lo, s9
	s_mov_b32 s8, 0
	s_branch .LBB143_1970
.LBB143_1963:
	s_mov_b32 s8, -1
                                        ; implicit-def: $vgpr10_vgpr11
	s_branch .LBB143_1976
.LBB143_1964:
	s_mov_b32 s8, -1
                                        ; implicit-def: $vgpr10_vgpr11
	s_branch .LBB143_1973
.LBB143_1965:
	s_mov_b32 s9, -1
	s_mov_b32 s11, exec_lo
	v_cmpx_eq_u16_e32 0x80, v8
; %bb.1966:
	s_xor_b32 s9, exec_lo, -1
; %bb.1967:
	s_or_b32 exec_lo, exec_lo, s11
	s_delay_alu instid0(SALU_CYCLE_1)
	s_and_b32 s9, s9, exec_lo
	s_or_saveexec_b32 s10, s10
	v_mov_b64_e32 v[10:11], 0x7ff8000020000000
	s_xor_b32 exec_lo, exec_lo, s10
	s_cbranch_execz .LBB143_1950
.LBB143_1968:
	v_cmp_ne_u16_e32 vcc_lo, 0, v8
	v_mov_b64_e32 v[10:11], 0
	s_and_not1_b32 s9, s9, exec_lo
	s_and_b32 s11, vcc_lo, exec_lo
	s_delay_alu instid0(SALU_CYCLE_1)
	s_or_b32 s9, s9, s11
	s_or_b32 exec_lo, exec_lo, s10
	s_and_saveexec_b32 s10, s9
	s_cbranch_execnz .LBB143_1951
	s_branch .LBB143_1952
.LBB143_1969:
	s_mov_b32 s8, -1
                                        ; implicit-def: $vgpr10_vgpr11
.LBB143_1970:
	s_delay_alu instid0(SALU_CYCLE_1)
	s_and_b32 vcc_lo, exec_lo, s8
	s_cbranch_vccz .LBB143_1972
; %bb.1971:
	global_load_u8 v8, v[16:17], off
	s_wait_loadcnt 0x0
	v_lshlrev_b32_e32 v8, 24, v8
	s_delay_alu instid0(VALU_DEP_1) | instskip(NEXT) | instid1(VALU_DEP_1)
	v_and_b32_e32 v9, 0x7f000000, v8
	v_clz_i32_u32_e32 v10, v9
	v_cmp_ne_u32_e32 vcc_lo, 0, v9
	v_add_nc_u32_e32 v12, 0x1000000, v9
	s_delay_alu instid0(VALU_DEP_3) | instskip(NEXT) | instid1(VALU_DEP_1)
	v_min_u32_e32 v10, 32, v10
	v_sub_nc_u32_e64 v10, v10, 4 clamp
	s_delay_alu instid0(VALU_DEP_1) | instskip(NEXT) | instid1(VALU_DEP_1)
	v_dual_lshlrev_b32 v11, v10, v9 :: v_dual_lshlrev_b32 v10, 23, v10
	v_lshrrev_b32_e32 v11, 4, v11
	s_delay_alu instid0(VALU_DEP_1) | instskip(NEXT) | instid1(VALU_DEP_1)
	v_dual_sub_nc_u32 v10, v11, v10 :: v_dual_ashrrev_i32 v11, 8, v12
	v_add_nc_u32_e32 v10, 0x3c000000, v10
	s_delay_alu instid0(VALU_DEP_1) | instskip(NEXT) | instid1(VALU_DEP_1)
	v_and_or_b32 v10, 0x7f800000, v11, v10
	v_cndmask_b32_e32 v9, 0, v10, vcc_lo
	s_delay_alu instid0(VALU_DEP_1) | instskip(NEXT) | instid1(VALU_DEP_1)
	v_and_or_b32 v8, 0x80000000, v8, v9
	v_cvt_f64_f32_e32 v[10:11], v8
.LBB143_1972:
	s_mov_b32 s8, 0
.LBB143_1973:
	s_delay_alu instid0(SALU_CYCLE_1)
	s_and_not1_b32 vcc_lo, exec_lo, s8
	s_cbranch_vccnz .LBB143_1975
; %bb.1974:
	global_load_u8 v8, v[16:17], off
	s_wait_loadcnt 0x0
	v_lshlrev_b32_e32 v9, 25, v8
	v_lshlrev_b16 v8, 8, v8
	s_delay_alu instid0(VALU_DEP_1) | instskip(SKIP_1) | instid1(VALU_DEP_2)
	v_and_or_b32 v11, 0x7f00, v8, 0.5
	v_bfe_i32 v8, v8, 0, 16
	v_dual_add_f32 v11, -0.5, v11 :: v_dual_lshrrev_b32 v10, 4, v9
	v_cmp_gt_u32_e32 vcc_lo, 0x8000000, v9
	s_delay_alu instid0(VALU_DEP_2) | instskip(NEXT) | instid1(VALU_DEP_1)
	v_or_b32_e32 v10, 0x70000000, v10
	v_mul_f32_e32 v10, 0x7800000, v10
	s_delay_alu instid0(VALU_DEP_1) | instskip(NEXT) | instid1(VALU_DEP_1)
	v_cndmask_b32_e32 v9, v10, v11, vcc_lo
	v_and_or_b32 v8, 0x80000000, v8, v9
	s_delay_alu instid0(VALU_DEP_1)
	v_cvt_f64_f32_e32 v[10:11], v8
.LBB143_1975:
	s_mov_b32 s8, 0
	s_mov_b32 s9, -1
.LBB143_1976:
	s_and_not1_b32 vcc_lo, exec_lo, s8
	s_mov_b32 s8, 0
	s_cbranch_vccnz .LBB143_1985
; %bb.1977:
	s_cmp_gt_i32 s6, 14
	s_cbranch_scc0 .LBB143_1980
; %bb.1978:
	s_cmp_eq_u32 s6, 15
	s_cbranch_scc0 .LBB143_1981
; %bb.1979:
	global_load_u16 v8, v[16:17], off
	s_mov_b32 s7, 0
	s_mov_b32 s9, -1
	s_wait_loadcnt 0x0
	v_lshlrev_b32_e32 v8, 16, v8
	s_delay_alu instid0(VALU_DEP_1)
	v_cvt_f64_f32_e32 v[10:11], v8
	s_branch .LBB143_1983
.LBB143_1980:
	s_mov_b32 s8, -1
	s_branch .LBB143_1982
.LBB143_1981:
	s_mov_b32 s7, -1
.LBB143_1982:
                                        ; implicit-def: $vgpr10_vgpr11
.LBB143_1983:
	s_and_b32 vcc_lo, exec_lo, s8
	s_mov_b32 s8, 0
	s_cbranch_vccz .LBB143_1985
; %bb.1984:
	s_cmp_lg_u32 s6, 11
	s_mov_b32 s8, -1
	s_cselect_b32 s6, -1, 0
	s_and_not1_b32 s7, s7, exec_lo
	s_and_b32 s6, s6, exec_lo
	s_delay_alu instid0(SALU_CYCLE_1)
	s_or_b32 s7, s7, s6
.LBB143_1985:
	v_mov_b64_e32 v[12:13], 0
.LBB143_1986:
	s_mov_b32 s6, 0
.LBB143_1987:
	s_and_not1_b32 s10, s54, exec_lo
	s_and_b32 s7, s7, exec_lo
	s_and_b32 s9, s9, exec_lo
	s_and_b32 s6, s6, exec_lo
	s_and_b32 s8, s8, exec_lo
	s_or_b32 s54, s10, s7
	s_wait_xcnt 0x0
	s_or_b32 exec_lo, exec_lo, s0
	s_and_saveexec_b32 s0, s54
	s_cbranch_execz .LBB143_1906
.LBB143_1988:
	s_or_b32 s1, s1, exec_lo
	s_and_not1_b32 s8, s8, exec_lo
	s_trap 2
	s_or_b32 exec_lo, exec_lo, s0
	s_and_saveexec_b32 s0, s8
	s_delay_alu instid0(SALU_CYCLE_1)
	s_xor_b32 s0, exec_lo, s0
	s_cbranch_execz .LBB143_1907
.LBB143_1989:
	s_wait_loadcnt 0x0
	global_load_u8 v8, v[16:17], off
	v_mov_b64_e32 v[12:13], 0
	v_mov_b32_e32 v10, 0
	s_or_b32 s9, s9, exec_lo
	s_wait_loadcnt 0x0
	v_cmp_ne_u16_e32 vcc_lo, 0, v8
	v_cndmask_b32_e64 v11, 0, 0x3ff00000, vcc_lo
	s_wait_xcnt 0x0
	s_or_b32 exec_lo, exec_lo, s0
	s_and_saveexec_b32 s0, s6
	s_cbranch_execz .LBB143_2037
.LBB143_1990:
	s_sext_i32_i16 s6, s29
	s_delay_alu instid0(SALU_CYCLE_1)
	s_cmp_lt_i32 s6, 5
	s_cbranch_scc1 .LBB143_1995
; %bb.1991:
	s_cmp_lt_i32 s6, 8
	s_cbranch_scc1 .LBB143_1996
; %bb.1992:
	;; [unrolled: 3-line block ×3, first 2 shown]
	s_cmp_gt_i32 s6, 9
	s_cbranch_scc0 .LBB143_1998
; %bb.1994:
	s_wait_loadcnt 0x0
	global_load_b128 v[10:13], v[16:17], off
	s_mov_b32 s6, 0
	s_branch .LBB143_1999
.LBB143_1995:
                                        ; implicit-def: $vgpr12_vgpr13
	s_branch .LBB143_2017
.LBB143_1996:
                                        ; implicit-def: $vgpr12_vgpr13
	s_branch .LBB143_2005
.LBB143_1997:
	s_mov_b32 s6, -1
                                        ; implicit-def: $vgpr12_vgpr13
	s_branch .LBB143_2002
.LBB143_1998:
	s_mov_b32 s6, -1
                                        ; implicit-def: $vgpr12_vgpr13
.LBB143_1999:
	s_delay_alu instid0(SALU_CYCLE_1)
	s_and_not1_b32 vcc_lo, exec_lo, s6
	s_cbranch_vccnz .LBB143_2001
; %bb.2000:
	s_wait_loadcnt 0x0
	global_load_b64 v[8:9], v[16:17], off
	s_wait_loadcnt 0x0
	v_cvt_f64_f32_e32 v[10:11], v8
	v_cvt_f64_f32_e32 v[12:13], v9
.LBB143_2001:
	s_mov_b32 s6, 0
.LBB143_2002:
	s_delay_alu instid0(SALU_CYCLE_1)
	s_and_not1_b32 vcc_lo, exec_lo, s6
	s_cbranch_vccnz .LBB143_2004
; %bb.2003:
	s_wait_loadcnt 0x0
	global_load_b32 v8, v[16:17], off
	s_wait_loadcnt 0x0
	v_lshrrev_b32_e32 v9, 16, v8
	v_cvt_f32_f16_e32 v8, v8
	s_delay_alu instid0(VALU_DEP_2) | instskip(NEXT) | instid1(VALU_DEP_2)
	v_cvt_f32_f16_e32 v9, v9
	v_cvt_f64_f32_e32 v[10:11], v8
	s_delay_alu instid0(VALU_DEP_2)
	v_cvt_f64_f32_e32 v[12:13], v9
.LBB143_2004:
	s_cbranch_execnz .LBB143_2016
.LBB143_2005:
	s_sext_i32_i16 s6, s29
	s_delay_alu instid0(SALU_CYCLE_1)
	s_cmp_lt_i32 s6, 6
	s_cbranch_scc1 .LBB143_2008
; %bb.2006:
	s_cmp_gt_i32 s6, 6
	s_cbranch_scc0 .LBB143_2009
; %bb.2007:
	s_wait_loadcnt 0x0
	global_load_b64 v[10:11], v[16:17], off
	s_mov_b32 s6, 0
	s_branch .LBB143_2010
.LBB143_2008:
	s_mov_b32 s6, -1
                                        ; implicit-def: $vgpr10_vgpr11
	s_branch .LBB143_2013
.LBB143_2009:
	s_mov_b32 s6, -1
                                        ; implicit-def: $vgpr10_vgpr11
.LBB143_2010:
	s_delay_alu instid0(SALU_CYCLE_1)
	s_and_not1_b32 vcc_lo, exec_lo, s6
	s_cbranch_vccnz .LBB143_2012
; %bb.2011:
	s_wait_loadcnt 0x0
	global_load_b32 v8, v[16:17], off
	s_wait_loadcnt 0x0
	v_cvt_f64_f32_e32 v[10:11], v8
.LBB143_2012:
	s_mov_b32 s6, 0
.LBB143_2013:
	s_delay_alu instid0(SALU_CYCLE_1)
	s_and_not1_b32 vcc_lo, exec_lo, s6
	s_cbranch_vccnz .LBB143_2015
; %bb.2014:
	s_wait_loadcnt 0x0
	global_load_u16 v8, v[16:17], off
	s_wait_loadcnt 0x0
	v_cvt_f32_f16_e32 v8, v8
	s_delay_alu instid0(VALU_DEP_1)
	v_cvt_f64_f32_e32 v[10:11], v8
.LBB143_2015:
	s_wait_loadcnt 0x0
	v_mov_b64_e32 v[12:13], 0
.LBB143_2016:
	s_cbranch_execnz .LBB143_2036
.LBB143_2017:
	s_sext_i32_i16 s6, s29
	s_delay_alu instid0(SALU_CYCLE_1)
	s_cmp_lt_i32 s6, 2
	s_cbranch_scc1 .LBB143_2021
; %bb.2018:
	s_cmp_lt_i32 s6, 3
	s_cbranch_scc1 .LBB143_2022
; %bb.2019:
	s_cmp_gt_i32 s6, 3
	s_cbranch_scc0 .LBB143_2023
; %bb.2020:
	s_wait_loadcnt 0x0
	global_load_b64 v[8:9], v[16:17], off
	s_mov_b32 s6, 0
	s_wait_loadcnt 0x0
	v_cvt_f64_i32_e32 v[10:11], v9
	v_cvt_f64_u32_e32 v[8:9], v8
	s_delay_alu instid0(VALU_DEP_2) | instskip(NEXT) | instid1(VALU_DEP_1)
	v_ldexp_f64 v[10:11], v[10:11], 32
	v_add_f64_e32 v[10:11], v[10:11], v[8:9]
	s_branch .LBB143_2024
.LBB143_2021:
                                        ; implicit-def: $vgpr10_vgpr11
	s_branch .LBB143_2030
.LBB143_2022:
	s_mov_b32 s6, -1
                                        ; implicit-def: $vgpr10_vgpr11
	s_branch .LBB143_2027
.LBB143_2023:
	s_mov_b32 s6, -1
                                        ; implicit-def: $vgpr10_vgpr11
.LBB143_2024:
	s_delay_alu instid0(SALU_CYCLE_1)
	s_and_not1_b32 vcc_lo, exec_lo, s6
	s_cbranch_vccnz .LBB143_2026
; %bb.2025:
	s_wait_loadcnt 0x0
	global_load_b32 v8, v[16:17], off
	s_wait_loadcnt 0x0
	v_cvt_f64_i32_e32 v[10:11], v8
.LBB143_2026:
	s_mov_b32 s6, 0
.LBB143_2027:
	s_delay_alu instid0(SALU_CYCLE_1)
	s_and_not1_b32 vcc_lo, exec_lo, s6
	s_cbranch_vccnz .LBB143_2029
; %bb.2028:
	s_wait_loadcnt 0x0
	global_load_i16 v8, v[16:17], off
	s_wait_loadcnt 0x0
	v_cvt_f64_i32_e32 v[10:11], v8
.LBB143_2029:
	s_cbranch_execnz .LBB143_2035
.LBB143_2030:
	s_sext_i32_i16 s6, s29
	s_delay_alu instid0(SALU_CYCLE_1)
	s_cmp_gt_i32 s6, 0
	s_mov_b32 s6, 0
	s_cbranch_scc0 .LBB143_2032
; %bb.2031:
	s_wait_loadcnt 0x0
	global_load_i8 v8, v[16:17], off
	s_wait_loadcnt 0x0
	v_cvt_f64_i32_e32 v[10:11], v8
	s_branch .LBB143_2033
.LBB143_2032:
	s_mov_b32 s6, -1
                                        ; implicit-def: $vgpr10_vgpr11
.LBB143_2033:
	s_delay_alu instid0(SALU_CYCLE_1)
	s_and_not1_b32 vcc_lo, exec_lo, s6
	s_cbranch_vccnz .LBB143_2035
; %bb.2034:
	s_wait_loadcnt 0x0
	global_load_u8 v8, v[16:17], off
	s_wait_loadcnt 0x0
	v_cvt_f64_u32_e32 v[10:11], v8
.LBB143_2035:
	s_wait_loadcnt 0x0
	v_mov_b64_e32 v[12:13], 0
.LBB143_2036:
	s_or_b32 s9, s9, exec_lo
.LBB143_2037:
	s_wait_xcnt 0x0
	s_or_b32 exec_lo, exec_lo, s0
	s_mov_b32 s0, 0
	s_mov_b32 s8, 0
                                        ; implicit-def: $sgpr6
                                        ; implicit-def: $vgpr16_vgpr17
                                        ; implicit-def: $vgpr8_vgpr9
	s_and_saveexec_b32 s7, s9
	s_cbranch_execnz .LBB143_2041
; %bb.2038:
	s_or_b32 exec_lo, exec_lo, s7
	s_and_saveexec_b32 s4, s53
	s_cbranch_execnz .LBB143_2122
.LBB143_2039:
	s_or_b32 exec_lo, exec_lo, s4
	s_and_saveexec_b32 s4, s0
	s_delay_alu instid0(SALU_CYCLE_1)
	s_xor_b32 s4, exec_lo, s4
	s_cbranch_execnz .LBB143_2123
.LBB143_2040:
	s_or_b32 exec_lo, exec_lo, s4
	s_and_saveexec_b32 s0, s8
	s_delay_alu instid0(SALU_CYCLE_1)
	s_xor_b32 s0, exec_lo, s0
	s_cbranch_execnz .LBB143_2124
	s_branch .LBB143_2161
.LBB143_2041:
	s_wait_loadcnt 0x0
	s_delay_alu instid0(VALU_DEP_2) | instskip(NEXT) | instid1(VALU_DEP_2)
	v_dual_mul_f64 v[8:9], s[18:19], v[4:5] :: v_dual_mov_b32 v15, 0
	v_mul_f64_e32 v[16:17], s[18:19], v[6:7]
	v_mul_f64_e32 v[18:19], s[14:15], v[0:1]
	s_and_b32 s6, s46, 0xff
	s_delay_alu instid0(SALU_CYCLE_1) | instskip(NEXT) | instid1(VALU_DEP_3)
	s_cmp_lt_i32 s6, 11
	v_fmac_f64_e32 v[8:9], s[16:17], v[6:7]
	v_mul_f64_e32 v[6:7], s[14:15], v[2:3]
	s_delay_alu instid0(VALU_DEP_4) | instskip(NEXT) | instid1(VALU_DEP_4)
	v_fma_f64 v[4:5], v[4:5], s[16:17], -v[16:17]
	v_fmac_f64_e32 v[18:19], s[12:13], v[2:3]
	s_delay_alu instid0(VALU_DEP_4) | instskip(SKIP_2) | instid1(VALU_DEP_3)
	v_mul_f64_e32 v[16:17], v[12:13], v[8:9]
	v_mul_f64_e32 v[8:9], v[10:11], v[8:9]
	v_fma_f64 v[0:1], v[0:1], s[12:13], -v[6:7]
	v_fma_f64 v[2:3], v[10:11], v[4:5], -v[16:17]
	s_delay_alu instid0(VALU_DEP_3) | instskip(SKIP_1) | instid1(VALU_DEP_3)
	v_fmac_f64_e32 v[8:9], v[12:13], v[4:5]
	v_add_nc_u64_e32 v[16:17], s[4:5], v[14:15]
	v_add_f64_e32 v[6:7], v[0:1], v[2:3]
	s_delay_alu instid0(VALU_DEP_3)
	v_add_f64_e32 v[8:9], v[18:19], v[8:9]
	s_cbranch_scc1 .LBB143_2048
; %bb.2042:
	s_and_b32 s4, 0xffff, s6
	s_mov_b32 s5, -1
	s_cmp_gt_i32 s4, 25
	s_mov_b32 s0, s53
	s_cbranch_scc0 .LBB143_2080
; %bb.2043:
	s_cmp_gt_i32 s4, 28
	s_mov_b32 s0, s53
	s_cbranch_scc0 .LBB143_2064
; %bb.2044:
	s_cmp_gt_i32 s4, 43
	s_mov_b32 s0, s53
	s_cbranch_scc0 .LBB143_2060
; %bb.2045:
	s_cmp_gt_i32 s4, 45
	s_mov_b32 s0, s53
	s_cbranch_scc0 .LBB143_2054
; %bb.2046:
	s_cmp_eq_u32 s4, 46
	s_mov_b32 s0, -1
	s_cbranch_scc0 .LBB143_2053
; %bb.2047:
	s_delay_alu instid0(VALU_DEP_1) | instskip(NEXT) | instid1(VALU_DEP_3)
	v_cvt_f32_f64_e32 v0, v[8:9]
	v_cvt_f32_f64_e32 v1, v[6:7]
	s_mov_b32 s0, 0
	s_mov_b32 s5, 0
	s_delay_alu instid0(VALU_DEP_2) | instskip(NEXT) | instid1(VALU_DEP_2)
	v_bfe_u32 v2, v0, 16, 1
	v_bfe_u32 v3, v1, 16, 1
	v_cmp_o_f32_e32 vcc_lo, v0, v0
	s_delay_alu instid0(VALU_DEP_3) | instskip(NEXT) | instid1(VALU_DEP_3)
	v_add3_u32 v2, v0, v2, 0x7fff
	v_add3_u32 v3, v1, v3, 0x7fff
	s_delay_alu instid0(VALU_DEP_2) | instskip(NEXT) | instid1(VALU_DEP_1)
	v_and_b32_e32 v2, 0xffff0000, v2
	v_dual_cndmask_b32 v0, 0x7fc00000, v2 :: v_dual_lshrrev_b32 v3, 16, v3
	v_cmp_o_f32_e32 vcc_lo, v1, v1
	s_delay_alu instid0(VALU_DEP_2) | instskip(NEXT) | instid1(VALU_DEP_1)
	v_cndmask_b32_e32 v1, 0x7fc0, v3, vcc_lo
	v_or_b32_e32 v0, v0, v1
	global_store_b32 v[16:17], v0, off
	s_branch .LBB143_2054
.LBB143_2048:
	s_mov_b32 s9, 0
	s_mov_b32 s5, -1
	s_mov_b32 s0, s53
	s_branch .LBB143_2121
.LBB143_2049:
	s_mov_b32 s8, -1
	s_mov_b32 s10, exec_lo
	v_cmpx_eq_u16_e32 0x80, v8
; %bb.2050:
	s_xor_b32 s8, exec_lo, -1
; %bb.2051:
	s_or_b32 exec_lo, exec_lo, s10
	s_delay_alu instid0(SALU_CYCLE_1)
	s_and_b32 s8, s8, exec_lo
	s_or_saveexec_b32 s9, s9
	v_mov_b64_e32 v[10:11], 0x7ff8000020000000
	s_xor_b32 exec_lo, exec_lo, s9
	s_cbranch_execz .LBB143_1960
.LBB143_2052:
	v_cmp_ne_u16_e32 vcc_lo, 0, v8
	v_mov_b64_e32 v[10:11], 0
	s_and_not1_b32 s8, s8, exec_lo
	s_and_b32 s10, vcc_lo, exec_lo
	s_delay_alu instid0(SALU_CYCLE_1)
	s_or_b32 s8, s8, s10
	s_or_b32 exec_lo, exec_lo, s9
	s_and_saveexec_b32 s9, s8
	s_cbranch_execnz .LBB143_1961
	s_branch .LBB143_1962
.LBB143_2053:
	s_mov_b32 s5, 0
.LBB143_2054:
	s_delay_alu instid0(SALU_CYCLE_1)
	s_and_b32 vcc_lo, exec_lo, s5
	s_cbranch_vccz .LBB143_2059
; %bb.2055:
	s_cmp_eq_u32 s4, 44
	s_mov_b32 s0, -1
	s_cbranch_scc0 .LBB143_2059
; %bb.2056:
	s_wait_xcnt 0x0
	s_delay_alu instid0(VALU_DEP_2) | instskip(SKIP_2) | instid1(VALU_DEP_2)
	v_cvt_f32_f64_e32 v0, v[6:7]
	v_mov_b32_e32 v1, 0xff
	s_mov_b32 s5, exec_lo
	v_bfe_u32 v2, v0, 23, 8
	s_delay_alu instid0(VALU_DEP_1)
	v_cmpx_ne_u32_e32 0xff, v2
	s_cbranch_execz .LBB143_2058
; %bb.2057:
	v_and_b32_e32 v1, 0x400000, v0
	v_and_or_b32 v2, 0x3fffff, v0, v2
	v_lshrrev_b32_e32 v0, 23, v0
	s_delay_alu instid0(VALU_DEP_3) | instskip(NEXT) | instid1(VALU_DEP_3)
	v_cmp_ne_u32_e32 vcc_lo, 0, v1
	v_cmp_ne_u32_e64 s0, 0, v2
	s_and_b32 s0, vcc_lo, s0
	s_delay_alu instid0(SALU_CYCLE_1) | instskip(NEXT) | instid1(VALU_DEP_1)
	v_cndmask_b32_e64 v1, 0, 1, s0
	v_add_nc_u32_e32 v1, v0, v1
.LBB143_2058:
	s_or_b32 exec_lo, exec_lo, s5
	s_mov_b32 s0, 0
	global_store_b8 v[16:17], v1, off
.LBB143_2059:
	s_mov_b32 s5, 0
.LBB143_2060:
	s_delay_alu instid0(SALU_CYCLE_1)
	s_and_b32 vcc_lo, exec_lo, s5
	s_cbranch_vccz .LBB143_2063
; %bb.2061:
	s_cmp_eq_u32 s4, 29
	s_mov_b32 s0, -1
	s_cbranch_scc0 .LBB143_2063
; %bb.2062:
	s_wait_xcnt 0x0
	s_delay_alu instid0(VALU_DEP_2) | instskip(SKIP_2) | instid1(VALU_DEP_1)
	v_trunc_f64_e32 v[0:1], v[6:7]
	s_mov_b32 s0, 0
	s_mov_b32 s5, 0
	v_ldexp_f64 v[2:3], v[0:1], 0xffffffe0
	s_delay_alu instid0(VALU_DEP_1) | instskip(NEXT) | instid1(VALU_DEP_1)
	v_floor_f64_e32 v[2:3], v[2:3]
	v_fmamk_f64 v[0:1], v[2:3], 0xc1f00000, v[0:1]
	v_cvt_u32_f64_e32 v3, v[2:3]
	s_delay_alu instid0(VALU_DEP_2)
	v_cvt_u32_f64_e32 v2, v[0:1]
	global_store_b64 v[16:17], v[2:3], off
	s_branch .LBB143_2064
.LBB143_2063:
	s_mov_b32 s5, 0
.LBB143_2064:
	s_delay_alu instid0(SALU_CYCLE_1)
	s_and_b32 vcc_lo, exec_lo, s5
	s_cbranch_vccz .LBB143_2079
; %bb.2065:
	s_cmp_lt_i32 s4, 27
	s_mov_b32 s5, -1
	s_cbranch_scc1 .LBB143_2071
; %bb.2066:
	s_cmp_gt_i32 s4, 27
	s_cbranch_scc0 .LBB143_2068
; %bb.2067:
	s_wait_xcnt 0x0
	s_delay_alu instid0(VALU_DEP_2)
	v_cvt_u32_f64_e32 v0, v[6:7]
	s_mov_b32 s5, 0
	global_store_b32 v[16:17], v0, off
.LBB143_2068:
	s_and_not1_b32 vcc_lo, exec_lo, s5
	s_cbranch_vccnz .LBB143_2070
; %bb.2069:
	s_wait_xcnt 0x0
	s_delay_alu instid0(VALU_DEP_2)
	v_cvt_u32_f64_e32 v0, v[6:7]
	global_store_b16 v[16:17], v0, off
.LBB143_2070:
	s_mov_b32 s5, 0
.LBB143_2071:
	s_delay_alu instid0(SALU_CYCLE_1)
	s_and_not1_b32 vcc_lo, exec_lo, s5
	s_cbranch_vccnz .LBB143_2079
; %bb.2072:
	s_wait_xcnt 0x0
	s_delay_alu instid0(VALU_DEP_2) | instskip(SKIP_2) | instid1(VALU_DEP_2)
	v_cvt_f32_f64_e32 v0, v[6:7]
	v_mov_b32_e32 v2, 0x80
	s_mov_b32 s5, exec_lo
	v_and_b32_e32 v1, 0x7fffffff, v0
	s_delay_alu instid0(VALU_DEP_1)
	v_cmpx_gt_u32_e32 0x43800000, v1
	s_cbranch_execz .LBB143_2078
; %bb.2073:
	v_cmp_lt_u32_e32 vcc_lo, 0x3bffffff, v1
                                        ; implicit-def: $vgpr1
	s_and_saveexec_b32 s9, vcc_lo
	s_delay_alu instid0(SALU_CYCLE_1)
	s_xor_b32 s9, exec_lo, s9
	s_cbranch_execnz .LBB143_2349
; %bb.2074:
	s_and_not1_saveexec_b32 s9, s9
	s_cbranch_execnz .LBB143_2350
.LBB143_2075:
	s_or_b32 exec_lo, exec_lo, s9
	v_mov_b32_e32 v2, 0
	s_and_saveexec_b32 s9, s8
.LBB143_2076:
	v_lshrrev_b32_e32 v0, 24, v0
	s_delay_alu instid0(VALU_DEP_1)
	v_and_or_b32 v2, 0x80, v0, v1
.LBB143_2077:
	s_or_b32 exec_lo, exec_lo, s9
.LBB143_2078:
	s_delay_alu instid0(SALU_CYCLE_1)
	s_or_b32 exec_lo, exec_lo, s5
	global_store_b8 v[16:17], v2, off
.LBB143_2079:
	s_mov_b32 s5, 0
.LBB143_2080:
	s_delay_alu instid0(SALU_CYCLE_1)
	s_and_b32 vcc_lo, exec_lo, s5
	s_mov_b32 s5, 0
	s_cbranch_vccz .LBB143_2120
; %bb.2081:
	s_cmp_gt_i32 s4, 22
	s_mov_b32 s8, -1
	s_cbranch_scc0 .LBB143_2113
; %bb.2082:
	s_cmp_lt_i32 s4, 24
	s_cbranch_scc1 .LBB143_2102
; %bb.2083:
	s_cmp_gt_i32 s4, 24
	s_cbranch_scc0 .LBB143_2091
; %bb.2084:
	s_wait_xcnt 0x0
	s_delay_alu instid0(VALU_DEP_2) | instskip(SKIP_2) | instid1(VALU_DEP_2)
	v_cvt_f32_f64_e32 v0, v[6:7]
	v_mov_b32_e32 v2, 0x80
	s_mov_b32 s8, exec_lo
	v_and_b32_e32 v1, 0x7fffffff, v0
	s_delay_alu instid0(VALU_DEP_1)
	v_cmpx_gt_u32_e32 0x47800000, v1
	s_cbranch_execz .LBB143_2090
; %bb.2085:
	v_cmp_lt_u32_e32 vcc_lo, 0x37ffffff, v1
	s_mov_b32 s9, 0
                                        ; implicit-def: $vgpr1
	s_and_saveexec_b32 s10, vcc_lo
	s_delay_alu instid0(SALU_CYCLE_1)
	s_xor_b32 s10, exec_lo, s10
	s_cbranch_execnz .LBB143_2484
; %bb.2086:
	s_and_not1_saveexec_b32 s10, s10
	s_cbranch_execnz .LBB143_2485
.LBB143_2087:
	s_or_b32 exec_lo, exec_lo, s10
	v_mov_b32_e32 v2, 0
	s_and_saveexec_b32 s10, s9
.LBB143_2088:
	v_lshrrev_b32_e32 v0, 24, v0
	s_delay_alu instid0(VALU_DEP_1)
	v_and_or_b32 v2, 0x80, v0, v1
.LBB143_2089:
	s_or_b32 exec_lo, exec_lo, s10
.LBB143_2090:
	s_delay_alu instid0(SALU_CYCLE_1)
	s_or_b32 exec_lo, exec_lo, s8
	s_mov_b32 s8, 0
	global_store_b8 v[16:17], v2, off
.LBB143_2091:
	s_and_b32 vcc_lo, exec_lo, s8
	s_cbranch_vccz .LBB143_2101
; %bb.2092:
	s_wait_xcnt 0x0
	s_delay_alu instid0(VALU_DEP_2) | instskip(SKIP_1) | instid1(VALU_DEP_1)
	v_cvt_f32_f64_e32 v0, v[6:7]
	s_mov_b32 s8, exec_lo
                                        ; implicit-def: $vgpr1
	v_and_b32_e32 v2, 0x7fffffff, v0
	s_delay_alu instid0(VALU_DEP_1)
	v_cmpx_gt_u32_e32 0x43f00000, v2
	s_xor_b32 s8, exec_lo, s8
	s_cbranch_execz .LBB143_2098
; %bb.2093:
	s_mov_b32 s9, exec_lo
                                        ; implicit-def: $vgpr1
	v_cmpx_lt_u32_e32 0x3c7fffff, v2
	s_xor_b32 s9, exec_lo, s9
; %bb.2094:
	v_bfe_u32 v1, v0, 20, 1
	s_delay_alu instid0(VALU_DEP_1) | instskip(NEXT) | instid1(VALU_DEP_1)
	v_add3_u32 v1, v0, v1, 0x407ffff
	v_and_b32_e32 v2, 0xff00000, v1
	v_lshrrev_b32_e32 v1, 20, v1
	s_delay_alu instid0(VALU_DEP_2) | instskip(NEXT) | instid1(VALU_DEP_2)
	v_cmp_ne_u32_e32 vcc_lo, 0x7f00000, v2
	v_cndmask_b32_e32 v1, 0x7e, v1, vcc_lo
; %bb.2095:
	s_and_not1_saveexec_b32 s9, s9
; %bb.2096:
	v_add_f32_e64 v1, 0x46800000, |v0|
; %bb.2097:
	s_or_b32 exec_lo, exec_lo, s9
                                        ; implicit-def: $vgpr2
.LBB143_2098:
	s_and_not1_saveexec_b32 s8, s8
; %bb.2099:
	v_mov_b32_e32 v1, 0x7f
	v_cmp_lt_u32_e32 vcc_lo, 0x7f800000, v2
	s_delay_alu instid0(VALU_DEP_2)
	v_cndmask_b32_e32 v1, 0x7e, v1, vcc_lo
; %bb.2100:
	s_or_b32 exec_lo, exec_lo, s8
	v_lshrrev_b32_e32 v0, 24, v0
	s_delay_alu instid0(VALU_DEP_1)
	v_and_or_b32 v0, 0x80, v0, v1
	global_store_b8 v[16:17], v0, off
.LBB143_2101:
	s_mov_b32 s8, 0
.LBB143_2102:
	s_delay_alu instid0(SALU_CYCLE_1)
	s_and_not1_b32 vcc_lo, exec_lo, s8
	s_cbranch_vccnz .LBB143_2112
; %bb.2103:
	s_wait_xcnt 0x0
	s_delay_alu instid0(VALU_DEP_2) | instskip(SKIP_1) | instid1(VALU_DEP_1)
	v_cvt_f32_f64_e32 v0, v[6:7]
	s_mov_b32 s8, exec_lo
                                        ; implicit-def: $vgpr1
	v_and_b32_e32 v2, 0x7fffffff, v0
	s_delay_alu instid0(VALU_DEP_1)
	v_cmpx_gt_u32_e32 0x47800000, v2
	s_xor_b32 s8, exec_lo, s8
	s_cbranch_execz .LBB143_2109
; %bb.2104:
	s_mov_b32 s9, exec_lo
                                        ; implicit-def: $vgpr1
	v_cmpx_lt_u32_e32 0x387fffff, v2
	s_xor_b32 s9, exec_lo, s9
; %bb.2105:
	v_bfe_u32 v1, v0, 21, 1
	s_delay_alu instid0(VALU_DEP_1) | instskip(NEXT) | instid1(VALU_DEP_1)
	v_add3_u32 v1, v0, v1, 0x80fffff
	v_lshrrev_b32_e32 v1, 21, v1
; %bb.2106:
	s_and_not1_saveexec_b32 s9, s9
; %bb.2107:
	v_add_f32_e64 v1, 0x43000000, |v0|
; %bb.2108:
	s_or_b32 exec_lo, exec_lo, s9
                                        ; implicit-def: $vgpr2
.LBB143_2109:
	s_and_not1_saveexec_b32 s8, s8
; %bb.2110:
	v_mov_b32_e32 v1, 0x7f
	v_cmp_lt_u32_e32 vcc_lo, 0x7f800000, v2
	s_delay_alu instid0(VALU_DEP_2)
	v_cndmask_b32_e32 v1, 0x7c, v1, vcc_lo
; %bb.2111:
	s_or_b32 exec_lo, exec_lo, s8
	v_lshrrev_b32_e32 v0, 24, v0
	s_delay_alu instid0(VALU_DEP_1)
	v_and_or_b32 v0, 0x80, v0, v1
	global_store_b8 v[16:17], v0, off
.LBB143_2112:
	s_mov_b32 s8, 0
.LBB143_2113:
	s_delay_alu instid0(SALU_CYCLE_1)
	s_and_not1_b32 vcc_lo, exec_lo, s8
	s_mov_b32 s9, 0
	s_cbranch_vccnz .LBB143_2121
; %bb.2114:
	s_cmp_gt_i32 s4, 14
	s_mov_b32 s8, -1
	s_cbranch_scc0 .LBB143_2118
; %bb.2115:
	s_cmp_eq_u32 s4, 15
	s_mov_b32 s0, -1
	s_cbranch_scc0 .LBB143_2117
; %bb.2116:
	s_wait_xcnt 0x0
	s_delay_alu instid0(VALU_DEP_2) | instskip(SKIP_1) | instid1(VALU_DEP_1)
	v_cvt_f32_f64_e32 v0, v[6:7]
	s_mov_b32 s0, 0
	v_bfe_u32 v1, v0, 16, 1
	v_cmp_o_f32_e32 vcc_lo, v0, v0
	s_delay_alu instid0(VALU_DEP_2) | instskip(NEXT) | instid1(VALU_DEP_1)
	v_add3_u32 v1, v0, v1, 0x7fff
	v_lshrrev_b32_e32 v1, 16, v1
	s_delay_alu instid0(VALU_DEP_1)
	v_cndmask_b32_e32 v0, 0x7fc0, v1, vcc_lo
	global_store_b16 v[16:17], v0, off
.LBB143_2117:
	s_mov_b32 s8, 0
.LBB143_2118:
	s_delay_alu instid0(SALU_CYCLE_1)
	s_and_b32 vcc_lo, exec_lo, s8
	s_cbranch_vccz .LBB143_2121
; %bb.2119:
	s_cmp_lg_u32 s4, 11
	s_mov_b32 s9, -1
	s_cselect_b32 s4, -1, 0
	s_and_not1_b32 s0, s0, exec_lo
	s_and_b32 s4, s4, exec_lo
	s_delay_alu instid0(SALU_CYCLE_1)
	s_or_b32 s0, s0, s4
	s_branch .LBB143_2121
.LBB143_2120:
	s_mov_b32 s9, 0
.LBB143_2121:
	s_and_b32 s8, s5, exec_lo
	s_and_not1_b32 s4, s53, exec_lo
	s_and_b32 s5, s0, exec_lo
	s_and_b32 s0, s9, exec_lo
	s_or_b32 s53, s4, s5
	s_wait_xcnt 0x0
	s_or_b32 exec_lo, exec_lo, s7
	s_and_saveexec_b32 s4, s53
	s_cbranch_execz .LBB143_2039
.LBB143_2122:
	s_or_b32 s1, s1, exec_lo
	s_and_not1_b32 s0, s0, exec_lo
	s_trap 2
	s_or_b32 exec_lo, exec_lo, s4
	s_and_saveexec_b32 s4, s0
	s_delay_alu instid0(SALU_CYCLE_1)
	s_xor_b32 s4, exec_lo, s4
	s_cbranch_execz .LBB143_2040
.LBB143_2123:
	s_wait_loadcnt 0x0
	s_delay_alu instid0(VALU_DEP_1) | instskip(NEXT) | instid1(VALU_DEP_2)
	v_cmp_neq_f64_e32 vcc_lo, 0, v[6:7]
	v_cmp_neq_f64_e64 s0, 0, v[8:9]
	s_or_b32 s0, vcc_lo, s0
	s_delay_alu instid0(SALU_CYCLE_1) | instskip(SKIP_4) | instid1(SALU_CYCLE_1)
	v_cndmask_b32_e64 v0, 0, 1, s0
	global_store_b8 v[16:17], v0, off
	s_wait_xcnt 0x0
	s_or_b32 exec_lo, exec_lo, s4
	s_and_saveexec_b32 s0, s8
	s_xor_b32 s0, exec_lo, s0
	s_cbranch_execz .LBB143_2161
.LBB143_2124:
	s_sext_i32_i16 s5, s6
	s_mov_b32 s4, -1
	s_cmp_lt_i32 s5, 5
	s_cbranch_scc1 .LBB143_2145
; %bb.2125:
	s_cmp_lt_i32 s5, 8
	s_cbranch_scc1 .LBB143_2135
; %bb.2126:
	;; [unrolled: 3-line block ×3, first 2 shown]
	s_cmp_gt_i32 s5, 9
	s_cbranch_scc0 .LBB143_2129
; %bb.2128:
	s_mov_b32 s4, 0
	s_wait_loadcnt 0x0
	global_store_b128 v[16:17], v[6:9], off
.LBB143_2129:
	s_and_not1_b32 vcc_lo, exec_lo, s4
	s_cbranch_vccnz .LBB143_2131
; %bb.2130:
	s_wait_loadcnt 0x0
	v_cvt_f32_f64_e32 v0, v[6:7]
	v_cvt_f32_f64_e32 v1, v[8:9]
	global_store_b64 v[16:17], v[0:1], off
.LBB143_2131:
	s_mov_b32 s4, 0
.LBB143_2132:
	s_delay_alu instid0(SALU_CYCLE_1)
	s_and_not1_b32 vcc_lo, exec_lo, s4
	s_cbranch_vccnz .LBB143_2134
; %bb.2133:
	s_wait_loadcnt 0x0
	v_and_or_b32 v0, 0x1ff, v7, v6
	v_and_or_b32 v1, 0x1ff, v9, v8
	v_dual_lshrrev_b32 v2, 8, v7 :: v_dual_lshrrev_b32 v5, 8, v9
	v_bfe_u32 v3, v7, 20, 11
	s_delay_alu instid0(VALU_DEP_4) | instskip(SKIP_2) | instid1(VALU_DEP_4)
	v_cmp_ne_u32_e32 vcc_lo, 0, v0
	v_bfe_u32 v4, v9, 20, 11
	v_dual_lshrrev_b32 v14, 16, v7 :: v_dual_lshrrev_b32 v9, 16, v9
	v_sub_nc_u32_e32 v8, 0x3f1, v3
	v_cndmask_b32_e64 v0, 0, 1, vcc_lo
	v_cmp_ne_u32_e32 vcc_lo, 0, v1
	v_add_nc_u32_e32 v3, 0xfffffc10, v3
	s_delay_alu instid0(VALU_DEP_3) | instskip(SKIP_1) | instid1(VALU_DEP_1)
	v_and_or_b32 v0, 0xffe, v2, v0
	v_cndmask_b32_e64 v1, 0, 1, vcc_lo
	v_and_or_b32 v1, 0xffe, v5, v1
	v_med3_i32 v5, v8, 0, 13
	s_delay_alu instid0(VALU_DEP_4) | instskip(NEXT) | instid1(VALU_DEP_3)
	v_or_b32_e32 v8, 0x1000, v0
	v_or_b32_e32 v10, 0x1000, v1
	s_delay_alu instid0(VALU_DEP_2) | instskip(NEXT) | instid1(VALU_DEP_1)
	v_lshrrev_b32_e32 v11, v5, v8
	v_lshlrev_b32_e32 v5, v5, v11
	s_delay_alu instid0(VALU_DEP_1) | instskip(SKIP_2) | instid1(VALU_DEP_1)
	v_cmp_ne_u32_e32 vcc_lo, v5, v8
	v_lshl_or_b32 v8, v3, 12, v0
	v_cndmask_b32_e64 v5, 0, 1, vcc_lo
	v_or_b32_e32 v5, v11, v5
	v_sub_nc_u32_e32 v2, 0x3f1, v4
	v_add_nc_u32_e32 v4, 0xfffffc10, v4
	s_delay_alu instid0(VALU_DEP_2) | instskip(NEXT) | instid1(VALU_DEP_1)
	v_med3_i32 v2, v2, 0, 13
	v_lshrrev_b32_e32 v12, v2, v10
	s_delay_alu instid0(VALU_DEP_1) | instskip(NEXT) | instid1(VALU_DEP_1)
	v_lshlrev_b32_e32 v2, v2, v12
	v_cmp_ne_u32_e32 vcc_lo, v2, v10
	v_lshl_or_b32 v10, v4, 12, v1
	v_cndmask_b32_e64 v2, 0, 1, vcc_lo
	v_cmp_gt_i32_e32 vcc_lo, 1, v3
	v_cndmask_b32_e32 v5, v8, v5, vcc_lo
	s_delay_alu instid0(VALU_DEP_3) | instskip(SKIP_1) | instid1(VALU_DEP_3)
	v_or_b32_e32 v2, v12, v2
	v_cmp_gt_i32_e32 vcc_lo, 1, v4
	v_dual_lshrrev_b32 v5, 2, v5 :: v_dual_bitop2_b32 v8, 7, v5 bitop3:0x40
	s_delay_alu instid0(VALU_DEP_3) | instskip(NEXT) | instid1(VALU_DEP_1)
	v_cndmask_b32_e32 v2, v10, v2, vcc_lo
	v_dual_lshrrev_b32 v2, 2, v2 :: v_dual_bitop2_b32 v10, 7, v2 bitop3:0x40
	s_delay_alu instid0(VALU_DEP_3) | instskip(SKIP_1) | instid1(VALU_DEP_3)
	v_cmp_lt_i32_e32 vcc_lo, 5, v8
	v_cndmask_b32_e64 v12, 0, 1, vcc_lo
	v_cmp_lt_i32_e32 vcc_lo, 5, v10
	v_cndmask_b32_e64 v13, 0, 1, vcc_lo
	v_cmp_eq_u32_e32 vcc_lo, 3, v10
	v_cndmask_b32_e64 v10, 0, 1, vcc_lo
	v_cmp_eq_u32_e32 vcc_lo, 3, v8
	v_cndmask_b32_e64 v8, 0, 1, vcc_lo
	v_cmp_ne_u32_e32 vcc_lo, 0, v0
	s_delay_alu instid0(VALU_DEP_2) | instskip(NEXT) | instid1(VALU_DEP_1)
	v_or_b32_e32 v8, v8, v12
	v_dual_add_nc_u32 v5, v5, v8 :: v_dual_bitop2_b32 v10, v10, v13 bitop3:0x54
	s_delay_alu instid0(VALU_DEP_1) | instskip(SKIP_1) | instid1(VALU_DEP_2)
	v_dual_mov_b32 v11, 0x7e00 :: v_dual_add_nc_u32 v2, v2, v10
	v_and_b32_e32 v8, 0x8000, v14
	v_cndmask_b32_e32 v0, 0x7c00, v11, vcc_lo
	v_cmp_ne_u32_e32 vcc_lo, 0, v1
	v_cndmask_b32_e32 v1, 0x7c00, v11, vcc_lo
	v_cmp_gt_i32_e32 vcc_lo, 31, v4
	v_cndmask_b32_e32 v2, 0x7c00, v2, vcc_lo
	v_cmp_gt_i32_e32 vcc_lo, 31, v3
	v_cndmask_b32_e32 v5, 0x7c00, v5, vcc_lo
	v_cmp_eq_u32_e32 vcc_lo, 0x40f, v4
	s_delay_alu instid0(VALU_DEP_4) | instskip(SKIP_1) | instid1(VALU_DEP_2)
	v_cndmask_b32_e32 v1, v2, v1, vcc_lo
	v_cmp_eq_u32_e32 vcc_lo, 0x40f, v3
	v_and_or_b32 v1, 0x8000, v9, v1
	v_cndmask_b32_e32 v0, v5, v0, vcc_lo
	s_delay_alu instid0(VALU_DEP_1) | instskip(NEXT) | instid1(VALU_DEP_1)
	v_bitop3_b32 v0, v8, 0xffff, v0 bitop3:0xc8
	v_lshl_or_b32 v0, v1, 16, v0
	global_store_b32 v[16:17], v0, off
.LBB143_2134:
	s_mov_b32 s4, 0
.LBB143_2135:
	s_delay_alu instid0(SALU_CYCLE_1)
	s_and_not1_b32 vcc_lo, exec_lo, s4
	s_cbranch_vccnz .LBB143_2144
; %bb.2136:
	s_sext_i32_i16 s5, s6
	s_mov_b32 s4, -1
	s_cmp_lt_i32 s5, 6
	s_cbranch_scc1 .LBB143_2142
; %bb.2137:
	s_cmp_gt_i32 s5, 6
	s_cbranch_scc0 .LBB143_2139
; %bb.2138:
	s_mov_b32 s4, 0
	s_wait_loadcnt 0x0
	global_store_b64 v[16:17], v[6:7], off
.LBB143_2139:
	s_and_not1_b32 vcc_lo, exec_lo, s4
	s_cbranch_vccnz .LBB143_2141
; %bb.2140:
	s_wait_loadcnt 0x0
	v_cvt_f32_f64_e32 v0, v[6:7]
	global_store_b32 v[16:17], v0, off
.LBB143_2141:
	s_mov_b32 s4, 0
.LBB143_2142:
	s_delay_alu instid0(SALU_CYCLE_1)
	s_and_not1_b32 vcc_lo, exec_lo, s4
	s_cbranch_vccnz .LBB143_2144
; %bb.2143:
	s_wait_loadcnt 0x0
	v_and_or_b32 v0, 0x1ff, v7, v6
	v_lshrrev_b32_e32 v1, 8, v7
	v_bfe_u32 v2, v7, 20, 11
	s_delay_alu instid0(VALU_DEP_3) | instskip(NEXT) | instid1(VALU_DEP_2)
	v_cmp_ne_u32_e32 vcc_lo, 0, v0
	v_sub_nc_u32_e32 v3, 0x3f1, v2
	v_add_nc_u32_e32 v2, 0xfffffc10, v2
	v_cndmask_b32_e64 v0, 0, 1, vcc_lo
	s_delay_alu instid0(VALU_DEP_1) | instskip(NEXT) | instid1(VALU_DEP_4)
	v_and_or_b32 v0, 0xffe, v1, v0
	v_med3_i32 v1, v3, 0, 13
	s_delay_alu instid0(VALU_DEP_2) | instskip(NEXT) | instid1(VALU_DEP_1)
	v_or_b32_e32 v3, 0x1000, v0
	v_lshrrev_b32_e32 v4, v1, v3
	s_delay_alu instid0(VALU_DEP_1) | instskip(NEXT) | instid1(VALU_DEP_1)
	v_lshlrev_b32_e32 v1, v1, v4
	v_cmp_ne_u32_e32 vcc_lo, v1, v3
	v_lshl_or_b32 v3, v2, 12, v0
	v_cndmask_b32_e64 v1, 0, 1, vcc_lo
	v_cmp_gt_i32_e32 vcc_lo, 1, v2
	s_delay_alu instid0(VALU_DEP_2) | instskip(NEXT) | instid1(VALU_DEP_1)
	v_or_b32_e32 v1, v4, v1
	v_cndmask_b32_e32 v1, v3, v1, vcc_lo
	s_delay_alu instid0(VALU_DEP_1) | instskip(NEXT) | instid1(VALU_DEP_1)
	v_dual_lshrrev_b32 v1, 2, v1 :: v_dual_bitop2_b32 v3, 7, v1 bitop3:0x40
	v_cmp_lt_i32_e32 vcc_lo, 5, v3
	v_cndmask_b32_e64 v4, 0, 1, vcc_lo
	v_cmp_eq_u32_e32 vcc_lo, 3, v3
	v_cndmask_b32_e64 v3, 0, 1, vcc_lo
	v_cmp_ne_u32_e32 vcc_lo, 0, v0
	s_delay_alu instid0(VALU_DEP_2) | instskip(NEXT) | instid1(VALU_DEP_1)
	v_or_b32_e32 v3, v3, v4
	v_dual_mov_b32 v4, 0x7e00 :: v_dual_add_nc_u32 v1, v1, v3
	s_delay_alu instid0(VALU_DEP_1) | instskip(SKIP_1) | instid1(VALU_DEP_3)
	v_cndmask_b32_e32 v0, 0x7c00, v4, vcc_lo
	v_cmp_gt_i32_e32 vcc_lo, 31, v2
	v_cndmask_b32_e32 v1, 0x7c00, v1, vcc_lo
	v_cmp_eq_u32_e32 vcc_lo, 0x40f, v2
	s_delay_alu instid0(VALU_DEP_2) | instskip(NEXT) | instid1(VALU_DEP_1)
	v_dual_cndmask_b32 v0, v1, v0 :: v_dual_lshrrev_b32 v1, 16, v7
	v_and_or_b32 v0, 0x8000, v1, v0
	global_store_b16 v[16:17], v0, off
.LBB143_2144:
	s_mov_b32 s4, 0
.LBB143_2145:
	s_delay_alu instid0(SALU_CYCLE_1)
	s_and_not1_b32 vcc_lo, exec_lo, s4
	s_cbranch_vccnz .LBB143_2161
; %bb.2146:
	s_sext_i32_i16 s5, s6
	s_mov_b32 s4, -1
	s_cmp_lt_i32 s5, 2
	s_cbranch_scc1 .LBB143_2156
; %bb.2147:
	s_cmp_lt_i32 s5, 3
	s_cbranch_scc1 .LBB143_2153
; %bb.2148:
	s_cmp_gt_i32 s5, 3
	s_cbranch_scc0 .LBB143_2150
; %bb.2149:
	s_wait_loadcnt 0x0
	v_trunc_f64_e32 v[0:1], v[6:7]
	s_mov_b32 s4, 0
	s_delay_alu instid0(VALU_DEP_1) | instskip(NEXT) | instid1(VALU_DEP_1)
	v_ldexp_f64 v[2:3], v[0:1], 0xffffffe0
	v_floor_f64_e32 v[2:3], v[2:3]
	s_delay_alu instid0(VALU_DEP_1) | instskip(SKIP_1) | instid1(VALU_DEP_2)
	v_fmamk_f64 v[0:1], v[2:3], 0xc1f00000, v[0:1]
	v_cvt_i32_f64_e32 v3, v[2:3]
	v_cvt_u32_f64_e32 v2, v[0:1]
	global_store_b64 v[16:17], v[2:3], off
.LBB143_2150:
	s_and_not1_b32 vcc_lo, exec_lo, s4
	s_cbranch_vccnz .LBB143_2152
; %bb.2151:
	s_wait_loadcnt 0x0
	v_cvt_i32_f64_e32 v0, v[6:7]
	global_store_b32 v[16:17], v0, off
.LBB143_2152:
	s_mov_b32 s4, 0
.LBB143_2153:
	s_delay_alu instid0(SALU_CYCLE_1)
	s_and_not1_b32 vcc_lo, exec_lo, s4
	s_cbranch_vccnz .LBB143_2155
; %bb.2154:
	s_wait_loadcnt 0x0
	v_cvt_i32_f64_e32 v0, v[6:7]
	global_store_b16 v[16:17], v0, off
.LBB143_2155:
	s_mov_b32 s4, 0
.LBB143_2156:
	s_delay_alu instid0(SALU_CYCLE_1)
	s_and_not1_b32 vcc_lo, exec_lo, s4
	s_cbranch_vccnz .LBB143_2161
; %bb.2157:
	s_sext_i32_i16 s4, s6
	s_delay_alu instid0(SALU_CYCLE_1)
	s_cmp_gt_i32 s4, 0
	s_mov_b32 s4, -1
	s_cbranch_scc0 .LBB143_2159
; %bb.2158:
	s_wait_loadcnt 0x0
	v_cvt_i32_f64_e32 v0, v[6:7]
	s_mov_b32 s4, 0
	global_store_b8 v[16:17], v0, off
.LBB143_2159:
	s_and_not1_b32 vcc_lo, exec_lo, s4
	s_cbranch_vccnz .LBB143_2161
; %bb.2160:
	s_wait_loadcnt 0x0
	v_trunc_f64_e32 v[0:1], v[6:7]
	s_delay_alu instid0(VALU_DEP_1) | instskip(NEXT) | instid1(VALU_DEP_1)
	v_ldexp_f64 v[2:3], v[0:1], 0xffffffe0
	v_floor_f64_e32 v[2:3], v[2:3]
	s_delay_alu instid0(VALU_DEP_1) | instskip(NEXT) | instid1(VALU_DEP_1)
	v_fmamk_f64 v[0:1], v[2:3], 0xc1f00000, v[0:1]
	v_cvt_u32_f64_e32 v0, v[0:1]
	global_store_b8 v[16:17], v0, off
.LBB143_2161:
	s_wait_xcnt 0x0
	s_or_b32 exec_lo, exec_lo, s0
	s_delay_alu instid0(SALU_CYCLE_1)
	s_and_b32 s16, s1, exec_lo
                                        ; implicit-def: $vgpr1
                                        ; implicit-def: $vgpr12
.LBB143_2162:
	s_or_saveexec_b32 s17, s45
	s_mov_b32 s4, 0
                                        ; implicit-def: $vgpr4_vgpr5
                                        ; implicit-def: $sgpr1
                                        ; implicit-def: $vgpr2_vgpr3
	s_xor_b32 exec_lo, exec_lo, s17
	s_cbranch_execz .LBB143_4273
; %bb.2163:
	s_wait_loadcnt 0x0
	v_cndmask_b32_e64 v2, 0, 1, s44
	s_and_not1_b32 vcc_lo, exec_lo, s44
	s_cbranch_vccnz .LBB143_2169
; %bb.2164:
	s_cmp_lg_u32 s33, 0
	s_mov_b32 s6, 0
	s_cbranch_scc0 .LBB143_2173
; %bb.2165:
	s_min_u32 s7, s42, 15
	v_dual_mov_b32 v4, 0 :: v_dual_mov_b32 v3, v12
	v_dual_mov_b32 v10, 0 :: v_dual_mov_b32 v54, 0
	v_mov_b32_e32 v0, 0
	s_add_co_i32 s4, s7, 1
	s_mov_b64 s[0:1], 0xffffffffffffffe0
	s_and_b32 s8, s4, 30
	s_add_nc_u64 s[0:1], s[2:3], s[0:1]
	s_mov_b64 s[4:5], s[2:3]
.LBB143_2166:                           ; =>This Inner Loop Header: Depth=1
	s_clause 0x1
	s_load_b128 s[12:15], s[4:5], 0x4
	s_load_b64 s[10:11], s[4:5], 0x14
	s_load_b256 s[20:27], s[0:1], 0xe4
	s_add_co_i32 s8, s8, -2
	s_wait_xcnt 0x0
	s_add_nc_u64 s[4:5], s[4:5], 24
	s_cmp_lg_u32 s8, 0
	s_add_nc_u64 s[0:1], s[0:1], 32
	s_wait_kmcnt 0x0
	v_mul_hi_u32 v5, s13, v3
	s_delay_alu instid0(VALU_DEP_1) | instskip(NEXT) | instid1(VALU_DEP_1)
	v_add_nc_u32_e32 v5, v3, v5
	v_lshrrev_b32_e32 v5, s14, v5
	s_delay_alu instid0(VALU_DEP_1) | instskip(SKIP_1) | instid1(VALU_DEP_1)
	v_mul_hi_u32 v6, s10, v5
	v_mul_lo_u32 v7, v5, s12
	v_dual_add_nc_u32 v6, v5, v6 :: v_dual_sub_nc_u32 v7, v3, v7
	s_delay_alu instid0(VALU_DEP_1) | instskip(NEXT) | instid1(VALU_DEP_2)
	v_lshrrev_b32_e32 v3, s11, v6
	v_mad_u32 v0, v7, s21, v0
	v_mad_u32 v8, v7, s20, v54
	;; [unrolled: 1-line block ×4, first 2 shown]
	v_mul_lo_u32 v6, v3, s15
	s_delay_alu instid0(VALU_DEP_1) | instskip(NEXT) | instid1(VALU_DEP_1)
	v_sub_nc_u32_e32 v5, v5, v6
	v_mad_u32 v0, v5, s25, v0
	v_mad_u32 v54, v5, s24, v8
	;; [unrolled: 1-line block ×4, first 2 shown]
	s_cbranch_scc1 .LBB143_2166
; %bb.2167:
	s_bitcmp1_b32 s7, 0
	s_cselect_b32 s7, -1, 0
	s_delay_alu instid0(SALU_CYCLE_1)
	s_and_b32 vcc_lo, exec_lo, s7
	s_cbranch_vccnz .LBB143_2170
; %bb.2168:
	s_load_b96 s[12:14], s[4:5], 0x4
	s_load_b128 s[8:11], s[0:1], 0xe4
	s_wait_kmcnt 0x0
	v_mul_hi_u32 v5, s13, v3
	s_delay_alu instid0(VALU_DEP_1) | instskip(NEXT) | instid1(VALU_DEP_1)
	v_add_nc_u32_e32 v5, v3, v5
	v_lshrrev_b32_e32 v5, s14, v5
	s_delay_alu instid0(VALU_DEP_1) | instskip(NEXT) | instid1(VALU_DEP_1)
	v_mul_lo_u32 v5, v5, s12
	v_sub_nc_u32_e32 v3, v3, v5
	s_delay_alu instid0(VALU_DEP_1)
	v_mad_u32 v54, v3, s8, v54
	v_mad_u32 v0, v3, s9, v0
	;; [unrolled: 1-line block ×4, first 2 shown]
	s_and_not1_b32 vcc_lo, exec_lo, s6
	s_cbranch_vccz .LBB143_2171
	s_branch .LBB143_2174
.LBB143_2169:
	s_mov_b32 s6, -1
                                        ; implicit-def: $vgpr0
                                        ; implicit-def: $vgpr54
                                        ; implicit-def: $vgpr10
                                        ; implicit-def: $vgpr4
.LBB143_2170:
	s_delay_alu instid0(SALU_CYCLE_1)
	s_and_not1_b32 vcc_lo, exec_lo, s6
	s_cbranch_vccnz .LBB143_2174
.LBB143_2171:
	s_clause 0x1
	s_load_b96 s[8:10], s[2:3], 0x4
	s_load_b128 s[4:7], s[2:3], 0xc4
	s_cmp_lt_u32 s33, 2
	s_wait_kmcnt 0x0
	v_mul_hi_u32 v0, s9, v12
	s_delay_alu instid0(VALU_DEP_1) | instskip(NEXT) | instid1(VALU_DEP_1)
	v_add_nc_u32_e32 v0, v12, v0
	v_lshrrev_b32_e32 v3, s10, v0
	s_delay_alu instid0(VALU_DEP_1) | instskip(NEXT) | instid1(VALU_DEP_1)
	v_mul_lo_u32 v0, v3, s8
	v_sub_nc_u32_e32 v4, v12, v0
	s_delay_alu instid0(VALU_DEP_1)
	v_mul_lo_u32 v0, v4, s5
	v_mul_lo_u32 v54, v4, s4
	;; [unrolled: 1-line block ×4, first 2 shown]
	s_cbranch_scc1 .LBB143_2174
; %bb.2172:
	s_clause 0x1
	s_load_b96 s[8:10], s[2:3], 0x10
	s_load_b128 s[4:7], s[2:3], 0xd4
	s_wait_kmcnt 0x0
	v_mul_hi_u32 v5, s9, v3
	s_delay_alu instid0(VALU_DEP_1) | instskip(NEXT) | instid1(VALU_DEP_1)
	v_add_nc_u32_e32 v5, v3, v5
	v_lshrrev_b32_e32 v5, s10, v5
	s_delay_alu instid0(VALU_DEP_1) | instskip(NEXT) | instid1(VALU_DEP_1)
	v_mul_lo_u32 v5, v5, s8
	v_sub_nc_u32_e32 v3, v3, v5
	s_delay_alu instid0(VALU_DEP_1)
	v_mad_u32 v54, v3, s4, v54
	v_mad_u32 v0, v3, s5, v0
	;; [unrolled: 1-line block ×4, first 2 shown]
	s_branch .LBB143_2174
.LBB143_2173:
	v_dual_mov_b32 v0, 0 :: v_dual_mov_b32 v54, 0
	v_dual_mov_b32 v10, 0 :: v_dual_mov_b32 v4, 0
	s_and_not1_b32 vcc_lo, exec_lo, s6
	s_cbranch_vccz .LBB143_2171
.LBB143_2174:
	v_cmp_ne_u32_e32 vcc_lo, 1, v2
	v_add_nc_u32_e32 v3, 0x80, v12
	s_cbranch_vccnz .LBB143_2180
; %bb.2175:
	s_cmp_lg_u32 s33, 0
	s_mov_b32 s6, 0
	s_cbranch_scc0 .LBB143_2184
; %bb.2176:
	s_min_u32 s7, s42, 15
	v_dual_mov_b32 v16, 0 :: v_dual_mov_b32 v5, v3
	v_dual_mov_b32 v22, 0 :: v_dual_mov_b32 v52, 0
	v_mov_b32_e32 v8, 0
	s_add_co_i32 s4, s7, 1
	s_mov_b64 s[0:1], 0xffffffffffffffe0
	s_and_b32 s8, s4, 30
	s_add_nc_u64 s[0:1], s[2:3], s[0:1]
	s_mov_b64 s[4:5], s[2:3]
.LBB143_2177:                           ; =>This Inner Loop Header: Depth=1
	s_clause 0x1
	s_load_b128 s[12:15], s[4:5], 0x4
	s_load_b64 s[10:11], s[4:5], 0x14
	s_load_b256 s[20:27], s[0:1], 0xe4
	s_add_co_i32 s8, s8, -2
	s_wait_xcnt 0x0
	s_add_nc_u64 s[4:5], s[4:5], 24
	s_cmp_lg_u32 s8, 0
	s_add_nc_u64 s[0:1], s[0:1], 32
	s_wait_kmcnt 0x0
	v_mul_hi_u32 v6, s13, v5
	s_delay_alu instid0(VALU_DEP_1) | instskip(NEXT) | instid1(VALU_DEP_1)
	v_add_nc_u32_e32 v6, v5, v6
	v_lshrrev_b32_e32 v6, s14, v6
	s_delay_alu instid0(VALU_DEP_1) | instskip(SKIP_1) | instid1(VALU_DEP_1)
	v_mul_hi_u32 v7, s10, v6
	v_mul_lo_u32 v9, v6, s12
	v_dual_add_nc_u32 v7, v6, v7 :: v_dual_sub_nc_u32 v9, v5, v9
	s_delay_alu instid0(VALU_DEP_1) | instskip(NEXT) | instid1(VALU_DEP_2)
	v_lshrrev_b32_e32 v5, s11, v7
	v_mad_u32 v8, v9, s21, v8
	v_mad_u32 v11, v9, s20, v52
	;; [unrolled: 1-line block ×4, first 2 shown]
	v_mul_lo_u32 v7, v5, s15
	s_delay_alu instid0(VALU_DEP_1) | instskip(NEXT) | instid1(VALU_DEP_1)
	v_sub_nc_u32_e32 v6, v6, v7
	v_mad_u32 v8, v6, s25, v8
	v_mad_u32 v52, v6, s24, v11
	;; [unrolled: 1-line block ×4, first 2 shown]
	s_cbranch_scc1 .LBB143_2177
; %bb.2178:
	s_bitcmp1_b32 s7, 0
	s_cselect_b32 s7, -1, 0
	s_delay_alu instid0(SALU_CYCLE_1)
	s_and_b32 vcc_lo, exec_lo, s7
	s_cbranch_vccnz .LBB143_2181
; %bb.2179:
	s_load_b96 s[12:14], s[4:5], 0x4
	s_load_b128 s[8:11], s[0:1], 0xe4
	s_wait_kmcnt 0x0
	v_mul_hi_u32 v6, s13, v5
	s_delay_alu instid0(VALU_DEP_1) | instskip(NEXT) | instid1(VALU_DEP_1)
	v_add_nc_u32_e32 v6, v5, v6
	v_lshrrev_b32_e32 v6, s14, v6
	s_delay_alu instid0(VALU_DEP_1) | instskip(NEXT) | instid1(VALU_DEP_1)
	v_mul_lo_u32 v6, v6, s12
	v_sub_nc_u32_e32 v5, v5, v6
	s_delay_alu instid0(VALU_DEP_1)
	v_mad_u32 v52, v5, s8, v52
	v_mad_u32 v8, v5, s9, v8
	;; [unrolled: 1-line block ×4, first 2 shown]
	s_and_not1_b32 vcc_lo, exec_lo, s6
	s_cbranch_vccz .LBB143_2182
	s_branch .LBB143_2185
.LBB143_2180:
	s_mov_b32 s6, -1
                                        ; implicit-def: $vgpr8
                                        ; implicit-def: $vgpr52
                                        ; implicit-def: $vgpr22
                                        ; implicit-def: $vgpr16
.LBB143_2181:
	s_delay_alu instid0(SALU_CYCLE_1)
	s_and_not1_b32 vcc_lo, exec_lo, s6
	s_cbranch_vccnz .LBB143_2185
.LBB143_2182:
	s_clause 0x1
	s_load_b96 s[8:10], s[2:3], 0x4
	s_load_b128 s[4:7], s[2:3], 0xc4
	s_cmp_lt_u32 s33, 2
	s_wait_kmcnt 0x0
	v_mul_hi_u32 v5, s9, v3
	s_delay_alu instid0(VALU_DEP_1) | instskip(NEXT) | instid1(VALU_DEP_1)
	v_add_nc_u32_e32 v5, v3, v5
	v_lshrrev_b32_e32 v5, s10, v5
	s_delay_alu instid0(VALU_DEP_1) | instskip(NEXT) | instid1(VALU_DEP_1)
	v_mul_lo_u32 v6, v5, s8
	v_sub_nc_u32_e32 v3, v3, v6
	s_delay_alu instid0(VALU_DEP_1)
	v_mul_lo_u32 v8, v3, s5
	v_mul_lo_u32 v52, v3, s4
	;; [unrolled: 1-line block ×4, first 2 shown]
	s_cbranch_scc1 .LBB143_2185
; %bb.2183:
	s_clause 0x1
	s_load_b96 s[8:10], s[2:3], 0x10
	s_load_b128 s[4:7], s[2:3], 0xd4
	s_wait_kmcnt 0x0
	v_mul_hi_u32 v3, s9, v5
	s_delay_alu instid0(VALU_DEP_1) | instskip(NEXT) | instid1(VALU_DEP_1)
	v_add_nc_u32_e32 v3, v5, v3
	v_lshrrev_b32_e32 v3, s10, v3
	s_delay_alu instid0(VALU_DEP_1) | instskip(NEXT) | instid1(VALU_DEP_1)
	v_mul_lo_u32 v3, v3, s8
	v_sub_nc_u32_e32 v3, v5, v3
	s_delay_alu instid0(VALU_DEP_1)
	v_mad_u32 v52, v3, s4, v52
	v_mad_u32 v8, v3, s5, v8
	;; [unrolled: 1-line block ×4, first 2 shown]
	s_branch .LBB143_2185
.LBB143_2184:
	v_dual_mov_b32 v8, 0 :: v_dual_mov_b32 v52, 0
	v_dual_mov_b32 v22, 0 :: v_dual_mov_b32 v16, 0
	s_and_not1_b32 vcc_lo, exec_lo, s6
	s_cbranch_vccz .LBB143_2182
.LBB143_2185:
	v_cmp_ne_u32_e32 vcc_lo, 1, v2
	v_add_nc_u32_e32 v3, 0x100, v12
	s_cbranch_vccnz .LBB143_2191
; %bb.2186:
	s_cmp_lg_u32 s33, 0
	s_mov_b32 s6, 0
	s_cbranch_scc0 .LBB143_2195
; %bb.2187:
	s_min_u32 s7, s42, 15
	v_dual_mov_b32 v28, 0 :: v_dual_mov_b32 v5, v3
	v_dual_mov_b32 v34, 0 :: v_dual_mov_b32 v50, 0
	v_mov_b32_e32 v20, 0
	s_add_co_i32 s4, s7, 1
	s_mov_b64 s[0:1], 0xffffffffffffffe0
	s_and_b32 s8, s4, 30
	s_add_nc_u64 s[0:1], s[2:3], s[0:1]
	s_mov_b64 s[4:5], s[2:3]
.LBB143_2188:                           ; =>This Inner Loop Header: Depth=1
	s_clause 0x1
	s_load_b128 s[12:15], s[4:5], 0x4
	s_load_b64 s[10:11], s[4:5], 0x14
	s_load_b256 s[20:27], s[0:1], 0xe4
	s_add_co_i32 s8, s8, -2
	s_wait_xcnt 0x0
	s_add_nc_u64 s[4:5], s[4:5], 24
	s_cmp_lg_u32 s8, 0
	s_add_nc_u64 s[0:1], s[0:1], 32
	s_wait_kmcnt 0x0
	v_mul_hi_u32 v6, s13, v5
	s_delay_alu instid0(VALU_DEP_1) | instskip(NEXT) | instid1(VALU_DEP_1)
	v_add_nc_u32_e32 v6, v5, v6
	v_lshrrev_b32_e32 v6, s14, v6
	s_delay_alu instid0(VALU_DEP_1) | instskip(SKIP_1) | instid1(VALU_DEP_1)
	v_mul_hi_u32 v7, s10, v6
	v_mul_lo_u32 v9, v6, s12
	v_dual_add_nc_u32 v7, v6, v7 :: v_dual_sub_nc_u32 v9, v5, v9
	s_delay_alu instid0(VALU_DEP_1) | instskip(NEXT) | instid1(VALU_DEP_2)
	v_lshrrev_b32_e32 v5, s11, v7
	v_mad_u32 v11, v9, s21, v20
	v_mad_u32 v12, v9, s20, v50
	v_mad_u32 v13, v9, s23, v34
	v_mad_u32 v9, v9, s22, v28
	v_mul_lo_u32 v7, v5, s15
	s_delay_alu instid0(VALU_DEP_1) | instskip(NEXT) | instid1(VALU_DEP_1)
	v_sub_nc_u32_e32 v6, v6, v7
	v_mad_u32 v20, v6, s25, v11
	v_mad_u32 v50, v6, s24, v12
	;; [unrolled: 1-line block ×4, first 2 shown]
	s_cbranch_scc1 .LBB143_2188
; %bb.2189:
	s_bitcmp1_b32 s7, 0
	s_cselect_b32 s7, -1, 0
	s_delay_alu instid0(SALU_CYCLE_1)
	s_and_b32 vcc_lo, exec_lo, s7
	s_cbranch_vccnz .LBB143_2192
; %bb.2190:
	s_load_b96 s[12:14], s[4:5], 0x4
	s_load_b128 s[8:11], s[0:1], 0xe4
	s_wait_kmcnt 0x0
	v_mul_hi_u32 v6, s13, v5
	s_delay_alu instid0(VALU_DEP_1) | instskip(NEXT) | instid1(VALU_DEP_1)
	v_add_nc_u32_e32 v6, v5, v6
	v_lshrrev_b32_e32 v6, s14, v6
	s_delay_alu instid0(VALU_DEP_1) | instskip(NEXT) | instid1(VALU_DEP_1)
	v_mul_lo_u32 v6, v6, s12
	v_sub_nc_u32_e32 v5, v5, v6
	s_delay_alu instid0(VALU_DEP_1)
	v_mad_u32 v50, v5, s8, v50
	v_mad_u32 v20, v5, s9, v20
	;; [unrolled: 1-line block ×4, first 2 shown]
	s_and_not1_b32 vcc_lo, exec_lo, s6
	s_cbranch_vccz .LBB143_2193
	s_branch .LBB143_2196
.LBB143_2191:
	s_mov_b32 s6, -1
                                        ; implicit-def: $vgpr20
                                        ; implicit-def: $vgpr50
                                        ; implicit-def: $vgpr34
                                        ; implicit-def: $vgpr28
.LBB143_2192:
	s_delay_alu instid0(SALU_CYCLE_1)
	s_and_not1_b32 vcc_lo, exec_lo, s6
	s_cbranch_vccnz .LBB143_2196
.LBB143_2193:
	s_clause 0x1
	s_load_b96 s[8:10], s[2:3], 0x4
	s_load_b128 s[4:7], s[2:3], 0xc4
	s_cmp_lt_u32 s33, 2
	s_wait_kmcnt 0x0
	v_mul_hi_u32 v5, s9, v3
	s_delay_alu instid0(VALU_DEP_1) | instskip(NEXT) | instid1(VALU_DEP_1)
	v_add_nc_u32_e32 v5, v3, v5
	v_lshrrev_b32_e32 v5, s10, v5
	s_delay_alu instid0(VALU_DEP_1) | instskip(NEXT) | instid1(VALU_DEP_1)
	v_mul_lo_u32 v6, v5, s8
	v_sub_nc_u32_e32 v3, v3, v6
	s_delay_alu instid0(VALU_DEP_1)
	v_mul_lo_u32 v20, v3, s5
	v_mul_lo_u32 v50, v3, s4
	;; [unrolled: 1-line block ×4, first 2 shown]
	s_cbranch_scc1 .LBB143_2196
; %bb.2194:
	s_clause 0x1
	s_load_b96 s[8:10], s[2:3], 0x10
	s_load_b128 s[4:7], s[2:3], 0xd4
	s_wait_kmcnt 0x0
	v_mul_hi_u32 v3, s9, v5
	s_delay_alu instid0(VALU_DEP_1) | instskip(NEXT) | instid1(VALU_DEP_1)
	v_add_nc_u32_e32 v3, v5, v3
	v_lshrrev_b32_e32 v3, s10, v3
	s_delay_alu instid0(VALU_DEP_1) | instskip(NEXT) | instid1(VALU_DEP_1)
	v_mul_lo_u32 v3, v3, s8
	v_sub_nc_u32_e32 v3, v5, v3
	s_delay_alu instid0(VALU_DEP_1)
	v_mad_u32 v50, v3, s4, v50
	v_mad_u32 v20, v3, s5, v20
	;; [unrolled: 1-line block ×4, first 2 shown]
	s_branch .LBB143_2196
.LBB143_2195:
	v_dual_mov_b32 v20, 0 :: v_dual_mov_b32 v50, 0
	v_dual_mov_b32 v34, 0 :: v_dual_mov_b32 v28, 0
	s_and_not1_b32 vcc_lo, exec_lo, s6
	s_cbranch_vccz .LBB143_2193
.LBB143_2196:
	v_cmp_ne_u32_e32 vcc_lo, 1, v2
	s_cbranch_vccnz .LBB143_2202
; %bb.2197:
	s_cmp_lg_u32 s33, 0
	s_mov_b32 s6, 0
	s_cbranch_scc0 .LBB143_2206
; %bb.2198:
	s_min_u32 s7, s42, 15
	v_dual_mov_b32 v40, 0 :: v_dual_mov_b32 v2, v1
	v_dual_mov_b32 v44, 0 :: v_dual_mov_b32 v48, 0
	v_mov_b32_e32 v32, 0
	s_add_co_i32 s4, s7, 1
	s_mov_b64 s[0:1], 0xffffffffffffffe0
	s_and_b32 s8, s4, 30
	s_add_nc_u64 s[0:1], s[2:3], s[0:1]
	s_mov_b64 s[4:5], s[2:3]
.LBB143_2199:                           ; =>This Inner Loop Header: Depth=1
	s_clause 0x1
	s_load_b128 s[12:15], s[4:5], 0x4
	s_load_b64 s[10:11], s[4:5], 0x14
	s_load_b256 s[20:27], s[0:1], 0xe4
	s_add_co_i32 s8, s8, -2
	s_wait_xcnt 0x0
	s_add_nc_u64 s[4:5], s[4:5], 24
	s_cmp_lg_u32 s8, 0
	s_add_nc_u64 s[0:1], s[0:1], 32
	s_wait_kmcnt 0x0
	v_mul_hi_u32 v3, s13, v2
	s_delay_alu instid0(VALU_DEP_1) | instskip(NEXT) | instid1(VALU_DEP_1)
	v_add_nc_u32_e32 v3, v2, v3
	v_lshrrev_b32_e32 v3, s14, v3
	s_delay_alu instid0(VALU_DEP_1) | instskip(SKIP_1) | instid1(VALU_DEP_1)
	v_mul_hi_u32 v5, s10, v3
	v_mul_lo_u32 v6, v3, s12
	v_dual_add_nc_u32 v5, v3, v5 :: v_dual_sub_nc_u32 v6, v2, v6
	s_delay_alu instid0(VALU_DEP_1) | instskip(NEXT) | instid1(VALU_DEP_2)
	v_lshrrev_b32_e32 v2, s11, v5
	v_mad_u32 v7, v6, s21, v32
	v_mad_u32 v9, v6, s20, v48
	v_mad_u32 v11, v6, s23, v44
	v_mad_u32 v6, v6, s22, v40
	v_mul_lo_u32 v5, v2, s15
	s_delay_alu instid0(VALU_DEP_1) | instskip(NEXT) | instid1(VALU_DEP_1)
	v_sub_nc_u32_e32 v3, v3, v5
	v_mad_u32 v32, v3, s25, v7
	v_mad_u32 v48, v3, s24, v9
	;; [unrolled: 1-line block ×4, first 2 shown]
	s_cbranch_scc1 .LBB143_2199
; %bb.2200:
	s_bitcmp1_b32 s7, 0
	s_cselect_b32 s7, -1, 0
	s_delay_alu instid0(SALU_CYCLE_1)
	s_and_b32 vcc_lo, exec_lo, s7
	s_cbranch_vccnz .LBB143_2203
; %bb.2201:
	s_load_b96 s[12:14], s[4:5], 0x4
	s_load_b128 s[8:11], s[0:1], 0xe4
	s_wait_kmcnt 0x0
	v_mul_hi_u32 v3, s13, v2
	s_delay_alu instid0(VALU_DEP_1) | instskip(NEXT) | instid1(VALU_DEP_1)
	v_add_nc_u32_e32 v3, v2, v3
	v_lshrrev_b32_e32 v3, s14, v3
	s_delay_alu instid0(VALU_DEP_1) | instskip(NEXT) | instid1(VALU_DEP_1)
	v_mul_lo_u32 v3, v3, s12
	v_sub_nc_u32_e32 v2, v2, v3
	s_delay_alu instid0(VALU_DEP_1)
	v_mad_u32 v48, v2, s8, v48
	v_mad_u32 v32, v2, s9, v32
	;; [unrolled: 1-line block ×4, first 2 shown]
	s_and_not1_b32 vcc_lo, exec_lo, s6
	s_cbranch_vccz .LBB143_2204
	s_branch .LBB143_2207
.LBB143_2202:
	s_mov_b32 s6, -1
                                        ; implicit-def: $vgpr32
                                        ; implicit-def: $vgpr48
                                        ; implicit-def: $vgpr44
                                        ; implicit-def: $vgpr40
.LBB143_2203:
	s_delay_alu instid0(SALU_CYCLE_1)
	s_and_not1_b32 vcc_lo, exec_lo, s6
	s_cbranch_vccnz .LBB143_2207
.LBB143_2204:
	s_clause 0x1
	s_load_b96 s[8:10], s[2:3], 0x4
	s_load_b128 s[4:7], s[2:3], 0xc4
	s_cmp_lt_u32 s33, 2
	s_wait_kmcnt 0x0
	v_mul_hi_u32 v2, s9, v1
	s_delay_alu instid0(VALU_DEP_1) | instskip(NEXT) | instid1(VALU_DEP_1)
	v_add_nc_u32_e32 v2, v1, v2
	v_lshrrev_b32_e32 v2, s10, v2
	s_delay_alu instid0(VALU_DEP_1) | instskip(NEXT) | instid1(VALU_DEP_1)
	v_mul_lo_u32 v3, v2, s8
	v_sub_nc_u32_e32 v1, v1, v3
	s_delay_alu instid0(VALU_DEP_1)
	v_mul_lo_u32 v32, v1, s5
	v_mul_lo_u32 v48, v1, s4
	;; [unrolled: 1-line block ×4, first 2 shown]
	s_cbranch_scc1 .LBB143_2207
; %bb.2205:
	s_clause 0x1
	s_load_b96 s[8:10], s[2:3], 0x10
	s_load_b128 s[4:7], s[2:3], 0xd4
	s_wait_kmcnt 0x0
	v_mul_hi_u32 v1, s9, v2
	s_delay_alu instid0(VALU_DEP_1) | instskip(NEXT) | instid1(VALU_DEP_1)
	v_add_nc_u32_e32 v1, v2, v1
	v_lshrrev_b32_e32 v1, s10, v1
	s_delay_alu instid0(VALU_DEP_1) | instskip(NEXT) | instid1(VALU_DEP_1)
	v_mul_lo_u32 v1, v1, s8
	v_sub_nc_u32_e32 v1, v2, v1
	s_delay_alu instid0(VALU_DEP_1)
	v_mad_u32 v48, v1, s4, v48
	v_mad_u32 v32, v1, s5, v32
	;; [unrolled: 1-line block ×4, first 2 shown]
	s_branch .LBB143_2207
.LBB143_2206:
	v_dual_mov_b32 v32, 0 :: v_dual_mov_b32 v48, 0
	v_dual_mov_b32 v44, 0 :: v_dual_mov_b32 v40, 0
	s_and_not1_b32 vcc_lo, exec_lo, s6
	s_cbranch_vccz .LBB143_2204
.LBB143_2207:
	v_mov_b32_e32 v1, 0
	s_load_b128 s[12:15], s[2:3], 0x1c8
	global_load_u8 v2, v1, s[2:3] offset:529
	s_wait_kmcnt 0x0
	v_add_nc_u64_e32 v[6:7], s[14:15], v[0:1]
	s_wait_loadcnt 0x0
	v_and_b32_e32 v3, 0xffff, v2
	v_readfirstlane_b32 s6, v2
	s_delay_alu instid0(VALU_DEP_2)
	v_cmp_gt_i32_e32 vcc_lo, 11, v3
	s_cbranch_vccnz .LBB143_2214
; %bb.2208:
	s_and_b32 s0, 0xffff, s6
	s_mov_b32 s4, 0
	s_cmp_gt_i32 s0, 25
	s_cbranch_scc0 .LBB143_2216
; %bb.2209:
	s_cmp_gt_i32 s0, 28
	s_cbranch_scc0 .LBB143_2217
; %bb.2210:
	;; [unrolled: 3-line block ×4, first 2 shown]
	s_cmp_eq_u32 s0, 46
	s_mov_b32 s7, 0
	s_cbranch_scc0 .LBB143_2220
; %bb.2213:
	global_load_b32 v0, v[6:7], off
	s_mov_b32 s1, 0
	s_mov_b32 s5, -1
	s_wait_loadcnt 0x0
	s_wait_xcnt 0x1
	v_lshlrev_b32_e32 v1, 16, v0
	v_and_b32_e32 v2, 0xffff0000, v0
	s_delay_alu instid0(VALU_DEP_2) | instskip(NEXT) | instid1(VALU_DEP_2)
	v_cvt_f64_f32_e32 v[0:1], v1
	v_cvt_f64_f32_e32 v[2:3], v2
	s_branch .LBB143_2222
.LBB143_2214:
	s_mov_b32 s5, 0
	s_mov_b32 s18, s16
                                        ; implicit-def: $vgpr2_vgpr3
	s_cbranch_execnz .LBB143_2284
.LBB143_2215:
	s_and_not1_b32 vcc_lo, exec_lo, s5
	s_cbranch_vccz .LBB143_2331
	s_branch .LBB143_4271
.LBB143_2216:
	s_mov_b32 s5, 0
	s_mov_b32 s1, 0
                                        ; implicit-def: $vgpr2_vgpr3
	s_cbranch_execnz .LBB143_2250
	s_branch .LBB143_2280
.LBB143_2217:
	s_mov_b32 s5, 0
	s_mov_b32 s1, 0
                                        ; implicit-def: $vgpr2_vgpr3
	s_cbranch_execnz .LBB143_2234
	s_branch .LBB143_2249
.LBB143_2218:
	s_mov_b32 s7, -1
	s_mov_b32 s5, 0
	s_mov_b32 s1, 0
                                        ; implicit-def: $vgpr2_vgpr3
	s_branch .LBB143_2228
.LBB143_2219:
	s_mov_b32 s7, -1
	s_mov_b32 s5, 0
	s_mov_b32 s1, 0
	s_branch .LBB143_2221
.LBB143_2220:
	s_mov_b32 s1, -1
	s_mov_b32 s5, 0
.LBB143_2221:
                                        ; implicit-def: $vgpr2_vgpr3
.LBB143_2222:
	s_and_b32 vcc_lo, exec_lo, s7
	s_cbranch_vccz .LBB143_2227
; %bb.2223:
	s_cmp_eq_u32 s0, 44
	s_cbranch_scc0 .LBB143_2225
; %bb.2224:
	global_load_u8 v2, v[6:7], off
	s_mov_b32 s1, 0
	s_mov_b32 s5, -1
	s_wait_loadcnt 0x0
	v_cmp_ne_u32_e32 vcc_lo, 0xff, v2
	v_lshlrev_b32_e32 v0, 23, v2
	s_wait_xcnt 0x1
	s_delay_alu instid0(VALU_DEP_1) | instskip(NEXT) | instid1(VALU_DEP_1)
	v_cvt_f64_f32_e32 v[0:1], v0
	v_cndmask_b32_e32 v0, 0x20000000, v0, vcc_lo
	s_delay_alu instid0(VALU_DEP_2) | instskip(SKIP_1) | instid1(VALU_DEP_2)
	v_cndmask_b32_e32 v1, 0x7ff80000, v1, vcc_lo
	v_cmp_ne_u32_e32 vcc_lo, 0, v2
	v_cndmask_b32_e32 v1, 0x38000000, v1, vcc_lo
	s_delay_alu instid0(VALU_DEP_4)
	v_cndmask_b32_e32 v0, 0, v0, vcc_lo
	s_branch .LBB143_2226
.LBB143_2225:
	s_mov_b32 s1, -1
                                        ; implicit-def: $vgpr0_vgpr1
.LBB143_2226:
	v_mov_b64_e32 v[2:3], 0
.LBB143_2227:
	s_mov_b32 s7, 0
.LBB143_2228:
	s_delay_alu instid0(SALU_CYCLE_1)
	s_and_b32 vcc_lo, exec_lo, s7
	s_cbranch_vccz .LBB143_2233
; %bb.2229:
	s_cmp_eq_u32 s0, 29
	s_cbranch_scc0 .LBB143_2231
; %bb.2230:
	global_load_b64 v[0:1], v[6:7], off
	s_mov_b32 s1, 0
	s_mov_b32 s5, -1
	s_wait_loadcnt 0x0
	v_cvt_f64_u32_e32 v[2:3], v1
	v_cvt_f64_u32_e32 v[0:1], v0
	s_delay_alu instid0(VALU_DEP_2) | instskip(NEXT) | instid1(VALU_DEP_1)
	v_ldexp_f64 v[2:3], v[2:3], 32
	v_add_f64_e32 v[0:1], v[2:3], v[0:1]
	s_branch .LBB143_2232
.LBB143_2231:
	s_mov_b32 s1, -1
                                        ; implicit-def: $vgpr0_vgpr1
.LBB143_2232:
	v_mov_b64_e32 v[2:3], 0
.LBB143_2233:
	s_branch .LBB143_2249
.LBB143_2234:
	s_cmp_lt_i32 s0, 27
	s_cbranch_scc1 .LBB143_2237
; %bb.2235:
	s_cmp_gt_i32 s0, 27
	s_cbranch_scc0 .LBB143_2238
; %bb.2236:
	global_load_b32 v0, v[6:7], off
	s_mov_b32 s5, 0
	s_wait_loadcnt 0x0
	s_wait_xcnt 0x1
	v_cvt_f64_u32_e32 v[0:1], v0
	s_branch .LBB143_2239
.LBB143_2237:
	s_mov_b32 s5, -1
                                        ; implicit-def: $vgpr0_vgpr1
	s_branch .LBB143_2242
.LBB143_2238:
	s_mov_b32 s5, -1
                                        ; implicit-def: $vgpr0_vgpr1
.LBB143_2239:
	s_delay_alu instid0(SALU_CYCLE_1)
	s_and_not1_b32 vcc_lo, exec_lo, s5
	s_cbranch_vccnz .LBB143_2241
; %bb.2240:
	global_load_u16 v0, v[6:7], off
	s_wait_loadcnt 0x0
	s_wait_xcnt 0x1
	v_cvt_f64_u32_e32 v[0:1], v0
.LBB143_2241:
	s_mov_b32 s5, 0
.LBB143_2242:
	s_delay_alu instid0(SALU_CYCLE_1)
	s_and_not1_b32 vcc_lo, exec_lo, s5
	s_cbranch_vccnz .LBB143_2248
; %bb.2243:
	global_load_u8 v2, v[6:7], off
	s_mov_b32 s5, 0
	s_mov_b32 s7, exec_lo
	s_wait_loadcnt 0x0
	v_cmpx_lt_i16_e32 0x7f, v2
	s_xor_b32 s7, exec_lo, s7
	s_cbranch_execnz .LBB143_2260
; %bb.2244:
	s_or_saveexec_b32 s7, s7
	v_mov_b64_e32 v[0:1], 0x7ff8000020000000
	s_xor_b32 exec_lo, exec_lo, s7
	s_cbranch_execnz .LBB143_2263
.LBB143_2245:
	s_or_b32 exec_lo, exec_lo, s7
	s_and_saveexec_b32 s7, s5
	s_cbranch_execz .LBB143_2247
.LBB143_2246:
	v_and_b32_e32 v0, 0xffff, v2
	s_delay_alu instid0(VALU_DEP_1) | instskip(SKIP_1) | instid1(VALU_DEP_2)
	v_and_b32_e32 v1, 7, v0
	v_bfe_u32 v9, v0, 3, 4
	v_clz_i32_u32_e32 v3, v1
	s_delay_alu instid0(VALU_DEP_2) | instskip(NEXT) | instid1(VALU_DEP_2)
	v_cmp_eq_u32_e32 vcc_lo, 0, v9
	v_min_u32_e32 v3, 32, v3
	s_delay_alu instid0(VALU_DEP_1) | instskip(NEXT) | instid1(VALU_DEP_1)
	v_subrev_nc_u32_e32 v5, 28, v3
	v_dual_lshlrev_b32 v0, v5, v0 :: v_dual_sub_nc_u32 v3, 29, v3
	s_delay_alu instid0(VALU_DEP_1) | instskip(NEXT) | instid1(VALU_DEP_2)
	v_dual_lshlrev_b32 v2, 24, v2 :: v_dual_bitop2_b32 v0, 7, v0 bitop3:0x40
	v_cndmask_b32_e32 v3, v9, v3, vcc_lo
	s_delay_alu instid0(VALU_DEP_2) | instskip(NEXT) | instid1(VALU_DEP_3)
	v_cndmask_b32_e32 v0, v1, v0, vcc_lo
	v_and_b32_e32 v1, 0x80000000, v2
	s_delay_alu instid0(VALU_DEP_3) | instskip(NEXT) | instid1(VALU_DEP_3)
	v_lshl_add_u32 v2, v3, 23, 0x3b800000
	v_lshlrev_b32_e32 v0, 20, v0
	s_delay_alu instid0(VALU_DEP_1) | instskip(NEXT) | instid1(VALU_DEP_1)
	v_or3_b32 v0, v1, v2, v0
	v_cvt_f64_f32_e32 v[0:1], v0
.LBB143_2247:
	s_or_b32 exec_lo, exec_lo, s7
.LBB143_2248:
	v_mov_b64_e32 v[2:3], 0
	s_mov_b32 s5, -1
.LBB143_2249:
	s_branch .LBB143_2280
.LBB143_2250:
	s_cmp_gt_i32 s0, 22
	s_cbranch_scc0 .LBB143_2258
; %bb.2251:
	s_cmp_lt_i32 s0, 24
	s_cbranch_scc1 .LBB143_2259
; %bb.2252:
	s_cmp_gt_i32 s0, 24
	s_cbranch_scc0 .LBB143_2264
; %bb.2253:
	global_load_u8 v2, v[6:7], off
	s_mov_b32 s5, exec_lo
	s_wait_loadcnt 0x0
	v_cmpx_lt_i16_e32 0x7f, v2
	s_xor_b32 s5, exec_lo, s5
	s_cbranch_execnz .LBB143_2344
; %bb.2254:
	s_or_saveexec_b32 s5, s5
	v_mov_b64_e32 v[0:1], 0x7ff8000020000000
	s_xor_b32 exec_lo, exec_lo, s5
	s_cbranch_execnz .LBB143_2347
.LBB143_2255:
	s_or_b32 exec_lo, exec_lo, s5
	s_and_saveexec_b32 s5, s4
	s_cbranch_execz .LBB143_2257
.LBB143_2256:
	v_and_b32_e32 v0, 0xffff, v2
	s_delay_alu instid0(VALU_DEP_1) | instskip(SKIP_1) | instid1(VALU_DEP_2)
	v_and_b32_e32 v1, 3, v0
	v_bfe_u32 v9, v0, 2, 5
	v_clz_i32_u32_e32 v3, v1
	s_delay_alu instid0(VALU_DEP_2) | instskip(NEXT) | instid1(VALU_DEP_2)
	v_cmp_eq_u32_e32 vcc_lo, 0, v9
	v_min_u32_e32 v3, 32, v3
	s_delay_alu instid0(VALU_DEP_1) | instskip(NEXT) | instid1(VALU_DEP_1)
	v_subrev_nc_u32_e32 v5, 29, v3
	v_dual_lshlrev_b32 v0, v5, v0 :: v_dual_sub_nc_u32 v3, 30, v3
	s_delay_alu instid0(VALU_DEP_1) | instskip(NEXT) | instid1(VALU_DEP_2)
	v_dual_lshlrev_b32 v2, 24, v2 :: v_dual_bitop2_b32 v0, 3, v0 bitop3:0x40
	v_cndmask_b32_e32 v3, v9, v3, vcc_lo
	s_delay_alu instid0(VALU_DEP_2) | instskip(NEXT) | instid1(VALU_DEP_3)
	v_cndmask_b32_e32 v0, v1, v0, vcc_lo
	v_and_b32_e32 v1, 0x80000000, v2
	s_delay_alu instid0(VALU_DEP_3) | instskip(NEXT) | instid1(VALU_DEP_3)
	v_lshl_add_u32 v2, v3, 23, 0x37800000
	v_lshlrev_b32_e32 v0, 21, v0
	s_delay_alu instid0(VALU_DEP_1) | instskip(NEXT) | instid1(VALU_DEP_1)
	v_or3_b32 v0, v1, v2, v0
	v_cvt_f64_f32_e32 v[0:1], v0
.LBB143_2257:
	s_or_b32 exec_lo, exec_lo, s5
	s_mov_b32 s4, 0
	s_branch .LBB143_2265
.LBB143_2258:
                                        ; implicit-def: $vgpr0_vgpr1
	s_mov_b32 s4, 0
	s_branch .LBB143_2271
.LBB143_2259:
	s_mov_b32 s4, -1
                                        ; implicit-def: $vgpr0_vgpr1
	s_branch .LBB143_2268
.LBB143_2260:
	s_mov_b32 s5, -1
	s_mov_b32 s8, exec_lo
	v_cmpx_eq_u16_e32 0x80, v2
; %bb.2261:
	s_xor_b32 s5, exec_lo, -1
; %bb.2262:
	s_or_b32 exec_lo, exec_lo, s8
	s_delay_alu instid0(SALU_CYCLE_1)
	s_and_b32 s5, s5, exec_lo
	s_or_saveexec_b32 s7, s7
	v_mov_b64_e32 v[0:1], 0x7ff8000020000000
	s_xor_b32 exec_lo, exec_lo, s7
	s_cbranch_execz .LBB143_2245
.LBB143_2263:
	v_cmp_ne_u16_e32 vcc_lo, 0, v2
	v_mov_b64_e32 v[0:1], 0
	s_and_not1_b32 s5, s5, exec_lo
	s_and_b32 s8, vcc_lo, exec_lo
	s_delay_alu instid0(SALU_CYCLE_1)
	s_or_b32 s5, s5, s8
	s_or_b32 exec_lo, exec_lo, s7
	s_and_saveexec_b32 s7, s5
	s_cbranch_execnz .LBB143_2246
	s_branch .LBB143_2247
.LBB143_2264:
	s_mov_b32 s4, -1
                                        ; implicit-def: $vgpr0_vgpr1
.LBB143_2265:
	s_delay_alu instid0(SALU_CYCLE_1)
	s_and_b32 vcc_lo, exec_lo, s4
	s_cbranch_vccz .LBB143_2267
; %bb.2266:
	global_load_u8 v0, v[6:7], off
	s_wait_loadcnt 0x0
	v_lshlrev_b32_e32 v0, 24, v0
	s_wait_xcnt 0x1
	s_delay_alu instid0(VALU_DEP_1) | instskip(NEXT) | instid1(VALU_DEP_1)
	v_and_b32_e32 v1, 0x7f000000, v0
	v_clz_i32_u32_e32 v2, v1
	v_add_nc_u32_e32 v5, 0x1000000, v1
	v_cmp_ne_u32_e32 vcc_lo, 0, v1
	s_delay_alu instid0(VALU_DEP_3) | instskip(NEXT) | instid1(VALU_DEP_1)
	v_min_u32_e32 v2, 32, v2
	v_sub_nc_u32_e64 v2, v2, 4 clamp
	s_delay_alu instid0(VALU_DEP_1) | instskip(NEXT) | instid1(VALU_DEP_1)
	v_dual_lshlrev_b32 v3, v2, v1 :: v_dual_lshlrev_b32 v2, 23, v2
	v_lshrrev_b32_e32 v3, 4, v3
	s_delay_alu instid0(VALU_DEP_1) | instskip(NEXT) | instid1(VALU_DEP_1)
	v_dual_sub_nc_u32 v2, v3, v2 :: v_dual_ashrrev_i32 v3, 8, v5
	v_add_nc_u32_e32 v2, 0x3c000000, v2
	s_delay_alu instid0(VALU_DEP_1) | instskip(NEXT) | instid1(VALU_DEP_1)
	v_and_or_b32 v2, 0x7f800000, v3, v2
	v_cndmask_b32_e32 v1, 0, v2, vcc_lo
	s_delay_alu instid0(VALU_DEP_1) | instskip(NEXT) | instid1(VALU_DEP_1)
	v_and_or_b32 v0, 0x80000000, v0, v1
	v_cvt_f64_f32_e32 v[0:1], v0
.LBB143_2267:
	s_mov_b32 s4, 0
.LBB143_2268:
	s_delay_alu instid0(SALU_CYCLE_1)
	s_and_not1_b32 vcc_lo, exec_lo, s4
	s_cbranch_vccnz .LBB143_2270
; %bb.2269:
	global_load_u8 v0, v[6:7], off
	s_wait_loadcnt 0x0
	s_wait_xcnt 0x1
	v_lshlrev_b32_e32 v1, 25, v0
	v_lshlrev_b16 v0, 8, v0
	s_delay_alu instid0(VALU_DEP_1) | instskip(SKIP_1) | instid1(VALU_DEP_2)
	v_and_or_b32 v3, 0x7f00, v0, 0.5
	v_bfe_i32 v0, v0, 0, 16
	v_dual_add_f32 v3, -0.5, v3 :: v_dual_lshrrev_b32 v2, 4, v1
	v_cmp_gt_u32_e32 vcc_lo, 0x8000000, v1
	s_delay_alu instid0(VALU_DEP_2) | instskip(NEXT) | instid1(VALU_DEP_1)
	v_or_b32_e32 v2, 0x70000000, v2
	v_mul_f32_e32 v2, 0x7800000, v2
	s_delay_alu instid0(VALU_DEP_1) | instskip(NEXT) | instid1(VALU_DEP_1)
	v_cndmask_b32_e32 v1, v2, v3, vcc_lo
	v_and_or_b32 v0, 0x80000000, v0, v1
	s_delay_alu instid0(VALU_DEP_1)
	v_cvt_f64_f32_e32 v[0:1], v0
.LBB143_2270:
	s_mov_b32 s5, -1
	s_mov_b32 s4, 0
	s_cbranch_execnz .LBB143_2279
.LBB143_2271:
	s_cmp_gt_i32 s0, 14
	s_cbranch_scc0 .LBB143_2274
; %bb.2272:
	s_cmp_eq_u32 s0, 15
	s_cbranch_scc0 .LBB143_2275
; %bb.2273:
	global_load_u16 v0, v[6:7], off
	s_mov_b32 s1, 0
	s_mov_b32 s5, -1
	s_wait_loadcnt 0x0
	v_lshlrev_b32_e32 v0, 16, v0
	s_wait_xcnt 0x1
	s_delay_alu instid0(VALU_DEP_1)
	v_cvt_f64_f32_e32 v[0:1], v0
	s_branch .LBB143_2277
.LBB143_2274:
	s_mov_b32 s4, -1
	s_branch .LBB143_2276
.LBB143_2275:
	s_mov_b32 s1, -1
.LBB143_2276:
                                        ; implicit-def: $vgpr0_vgpr1
.LBB143_2277:
	s_and_b32 vcc_lo, exec_lo, s4
	s_mov_b32 s4, 0
	s_cbranch_vccz .LBB143_2279
; %bb.2278:
	s_cmp_lg_u32 s0, 11
	s_mov_b32 s4, -1
	s_cselect_b32 s1, -1, 0
.LBB143_2279:
	v_mov_b64_e32 v[2:3], 0
.LBB143_2280:
	s_and_b32 vcc_lo, exec_lo, s1
	s_mov_b32 s18, s16
	s_cbranch_vccnz .LBB143_2343
; %bb.2281:
	s_and_not1_b32 vcc_lo, exec_lo, s4
	s_cbranch_vccnz .LBB143_2283
.LBB143_2282:
	global_load_u8 v0, v[6:7], off
	v_mov_b64_e32 v[2:3], 0
	s_mov_b32 s5, -1
	s_wait_loadcnt 0x0
	v_cmp_ne_u16_e32 vcc_lo, 0, v0
	v_mov_b32_e32 v0, 0
	s_wait_xcnt 0x1
	v_cndmask_b32_e64 v1, 0, 0x3ff00000, vcc_lo
.LBB143_2283:
	s_branch .LBB143_2215
.LBB143_2284:
	s_and_b32 s0, 0xffff, s6
	s_delay_alu instid0(SALU_CYCLE_1)
	s_cmp_lt_i32 s0, 5
	s_cbranch_scc1 .LBB143_2289
; %bb.2285:
	s_cmp_lt_i32 s0, 8
	s_cbranch_scc1 .LBB143_2291
; %bb.2286:
	;; [unrolled: 3-line block ×3, first 2 shown]
	s_cmp_gt_i32 s0, 9
	s_cbranch_scc0 .LBB143_2293
; %bb.2288:
	global_load_b128 v[0:3], v[6:7], off
	s_mov_b32 s1, 0
	s_branch .LBB143_2294
.LBB143_2289:
                                        ; implicit-def: $vgpr2_vgpr3
	s_branch .LBB143_2312
.LBB143_2290:
	s_branch .LBB143_2331
.LBB143_2291:
                                        ; implicit-def: $vgpr2_vgpr3
	s_branch .LBB143_2300
.LBB143_2292:
	s_mov_b32 s1, -1
                                        ; implicit-def: $vgpr2_vgpr3
	s_branch .LBB143_2297
.LBB143_2293:
	s_mov_b32 s1, -1
                                        ; implicit-def: $vgpr2_vgpr3
.LBB143_2294:
	s_delay_alu instid0(SALU_CYCLE_1)
	s_and_not1_b32 vcc_lo, exec_lo, s1
	s_cbranch_vccnz .LBB143_2296
; %bb.2295:
	s_wait_loadcnt 0x0
	global_load_b64 v[2:3], v[6:7], off
	s_wait_loadcnt 0x0
	s_wait_xcnt 0x1
	v_cvt_f64_f32_e32 v[0:1], v2
	v_cvt_f64_f32_e32 v[2:3], v3
.LBB143_2296:
	s_mov_b32 s1, 0
.LBB143_2297:
	s_delay_alu instid0(SALU_CYCLE_1)
	s_and_not1_b32 vcc_lo, exec_lo, s1
	s_cbranch_vccnz .LBB143_2299
; %bb.2298:
	s_wait_loadcnt 0x0
	global_load_b32 v0, v[6:7], off
	s_wait_loadcnt 0x0
	s_wait_xcnt 0x1
	v_lshrrev_b32_e32 v1, 16, v0
	v_cvt_f32_f16_e32 v0, v0
	s_delay_alu instid0(VALU_DEP_2) | instskip(NEXT) | instid1(VALU_DEP_2)
	v_cvt_f32_f16_e32 v2, v1
	v_cvt_f64_f32_e32 v[0:1], v0
	s_delay_alu instid0(VALU_DEP_2)
	v_cvt_f64_f32_e32 v[2:3], v2
.LBB143_2299:
	s_cbranch_execnz .LBB143_2311
.LBB143_2300:
	s_cmp_lt_i32 s0, 6
	s_cbranch_scc1 .LBB143_2303
; %bb.2301:
	s_cmp_gt_i32 s0, 6
	s_cbranch_scc0 .LBB143_2304
; %bb.2302:
	s_wait_loadcnt 0x0
	global_load_b64 v[0:1], v[6:7], off
	s_mov_b32 s1, 0
	s_branch .LBB143_2305
.LBB143_2303:
	s_mov_b32 s1, -1
                                        ; implicit-def: $vgpr0_vgpr1
	s_branch .LBB143_2308
.LBB143_2304:
	s_mov_b32 s1, -1
                                        ; implicit-def: $vgpr0_vgpr1
.LBB143_2305:
	s_delay_alu instid0(SALU_CYCLE_1)
	s_and_not1_b32 vcc_lo, exec_lo, s1
	s_cbranch_vccnz .LBB143_2307
; %bb.2306:
	s_wait_loadcnt 0x0
	global_load_b32 v0, v[6:7], off
	s_wait_loadcnt 0x0
	s_wait_xcnt 0x1
	v_cvt_f64_f32_e32 v[0:1], v0
.LBB143_2307:
	s_mov_b32 s1, 0
.LBB143_2308:
	s_delay_alu instid0(SALU_CYCLE_1)
	s_and_not1_b32 vcc_lo, exec_lo, s1
	s_cbranch_vccnz .LBB143_2310
; %bb.2309:
	s_wait_loadcnt 0x0
	global_load_u16 v0, v[6:7], off
	s_wait_loadcnt 0x0
	v_cvt_f32_f16_e32 v0, v0
	s_wait_xcnt 0x1
	s_delay_alu instid0(VALU_DEP_1)
	v_cvt_f64_f32_e32 v[0:1], v0
.LBB143_2310:
	s_wait_loadcnt 0x0
	v_mov_b64_e32 v[2:3], 0
.LBB143_2311:
	s_cbranch_execnz .LBB143_2290
.LBB143_2312:
	s_cmp_lt_i32 s0, 2
	s_cbranch_scc1 .LBB143_2316
; %bb.2313:
	s_cmp_lt_i32 s0, 3
	s_cbranch_scc1 .LBB143_2317
; %bb.2314:
	s_cmp_gt_i32 s0, 3
	s_cbranch_scc0 .LBB143_2318
; %bb.2315:
	s_wait_loadcnt 0x0
	global_load_b64 v[0:1], v[6:7], off
	s_mov_b32 s1, 0
	s_wait_loadcnt 0x0
	v_cvt_f64_i32_e32 v[2:3], v1
	v_cvt_f64_u32_e32 v[0:1], v0
	s_delay_alu instid0(VALU_DEP_2) | instskip(NEXT) | instid1(VALU_DEP_1)
	v_ldexp_f64 v[2:3], v[2:3], 32
	v_add_f64_e32 v[0:1], v[2:3], v[0:1]
	s_branch .LBB143_2319
.LBB143_2316:
                                        ; implicit-def: $vgpr0_vgpr1
	s_branch .LBB143_2325
.LBB143_2317:
	s_mov_b32 s1, -1
                                        ; implicit-def: $vgpr0_vgpr1
	s_branch .LBB143_2322
.LBB143_2318:
	s_mov_b32 s1, -1
                                        ; implicit-def: $vgpr0_vgpr1
.LBB143_2319:
	s_delay_alu instid0(SALU_CYCLE_1)
	s_and_not1_b32 vcc_lo, exec_lo, s1
	s_cbranch_vccnz .LBB143_2321
; %bb.2320:
	s_wait_loadcnt 0x0
	global_load_b32 v0, v[6:7], off
	s_wait_loadcnt 0x0
	s_wait_xcnt 0x1
	v_cvt_f64_i32_e32 v[0:1], v0
.LBB143_2321:
	s_mov_b32 s1, 0
.LBB143_2322:
	s_delay_alu instid0(SALU_CYCLE_1)
	s_and_not1_b32 vcc_lo, exec_lo, s1
	s_cbranch_vccnz .LBB143_2324
; %bb.2323:
	s_wait_loadcnt 0x0
	global_load_i16 v0, v[6:7], off
	s_wait_loadcnt 0x0
	s_wait_xcnt 0x1
	v_cvt_f64_i32_e32 v[0:1], v0
.LBB143_2324:
	s_cbranch_execnz .LBB143_2330
.LBB143_2325:
	s_cmp_gt_i32 s0, 0
	s_mov_b32 s0, 0
	s_cbranch_scc0 .LBB143_2327
; %bb.2326:
	s_wait_loadcnt 0x0
	global_load_i8 v0, v[6:7], off
	s_wait_loadcnt 0x0
	s_wait_xcnt 0x1
	v_cvt_f64_i32_e32 v[0:1], v0
	s_branch .LBB143_2328
.LBB143_2327:
	s_mov_b32 s0, -1
                                        ; implicit-def: $vgpr0_vgpr1
.LBB143_2328:
	s_delay_alu instid0(SALU_CYCLE_1)
	s_and_not1_b32 vcc_lo, exec_lo, s0
	s_cbranch_vccnz .LBB143_2330
; %bb.2329:
	s_wait_loadcnt 0x0
	global_load_u8 v0, v[6:7], off
	s_wait_loadcnt 0x0
	s_wait_xcnt 0x1
	v_cvt_f64_u32_e32 v[0:1], v0
.LBB143_2330:
	s_wait_loadcnt 0x0
	v_mov_b64_e32 v[2:3], 0
.LBB143_2331:
	v_mov_b32_e32 v5, 0
	s_load_b64 s[0:1], s[2:3], 0x1d8
	global_load_u8 v6, v5, s[2:3] offset:530
	s_wait_kmcnt 0x0
	v_add_nc_u64_e32 v[12:13], s[0:1], v[4:5]
	s_wait_loadcnt 0x0
	v_and_b32_e32 v7, 0xffff, v6
	v_readfirstlane_b32 s7, v6
	s_delay_alu instid0(VALU_DEP_2)
	v_cmp_gt_i32_e32 vcc_lo, 11, v7
	s_cbranch_vccnz .LBB143_2338
; %bb.2332:
	s_and_b32 s4, 0xffff, s7
	s_mov_b32 s8, 0
	s_cmp_gt_i32 s4, 25
	s_cbranch_scc0 .LBB143_2340
; %bb.2333:
	s_cmp_gt_i32 s4, 28
	s_cbranch_scc0 .LBB143_2341
; %bb.2334:
	;; [unrolled: 3-line block ×4, first 2 shown]
	s_cmp_eq_u32 s4, 46
	s_mov_b32 s10, 0
	s_cbranch_scc0 .LBB143_2351
; %bb.2337:
	global_load_b32 v4, v[12:13], off
	s_mov_b32 s5, 0
	s_mov_b32 s9, -1
	s_wait_loadcnt 0x0
	s_wait_xcnt 0x1
	v_lshlrev_b32_e32 v5, 16, v4
	v_and_b32_e32 v6, 0xffff0000, v4
	s_delay_alu instid0(VALU_DEP_2) | instskip(NEXT) | instid1(VALU_DEP_2)
	v_cvt_f64_f32_e32 v[4:5], v5
	v_cvt_f64_f32_e32 v[6:7], v6
	s_branch .LBB143_2353
.LBB143_2338:
	s_mov_b32 s9, 0
                                        ; implicit-def: $vgpr6_vgpr7
	s_cbranch_execnz .LBB143_2417
.LBB143_2339:
	s_and_not1_b32 vcc_lo, exec_lo, s9
	s_cbranch_vccz .LBB143_2466
	s_branch .LBB143_4271
.LBB143_2340:
	s_mov_b32 s9, 0
	s_mov_b32 s5, 0
                                        ; implicit-def: $vgpr6_vgpr7
	s_cbranch_execnz .LBB143_2382
	s_branch .LBB143_2413
.LBB143_2341:
	s_mov_b32 s10, -1
	s_mov_b32 s9, 0
	s_mov_b32 s5, 0
                                        ; implicit-def: $vgpr6_vgpr7
	s_branch .LBB143_2365
.LBB143_2342:
	s_mov_b32 s10, -1
	s_mov_b32 s9, 0
	s_mov_b32 s5, 0
                                        ; implicit-def: $vgpr6_vgpr7
	s_branch .LBB143_2359
.LBB143_2343:
	s_or_b32 s18, s16, exec_lo
	s_trap 2
	s_cbranch_execz .LBB143_2282
	s_branch .LBB143_2283
.LBB143_2344:
	s_mov_b32 s4, -1
	s_mov_b32 s7, exec_lo
	v_cmpx_eq_u16_e32 0x80, v2
; %bb.2345:
	s_xor_b32 s4, exec_lo, -1
; %bb.2346:
	s_or_b32 exec_lo, exec_lo, s7
	s_delay_alu instid0(SALU_CYCLE_1)
	s_and_b32 s4, s4, exec_lo
	s_or_saveexec_b32 s5, s5
	v_mov_b64_e32 v[0:1], 0x7ff8000020000000
	s_xor_b32 exec_lo, exec_lo, s5
	s_cbranch_execz .LBB143_2255
.LBB143_2347:
	v_cmp_ne_u16_e32 vcc_lo, 0, v2
	v_mov_b64_e32 v[0:1], 0
	s_and_not1_b32 s4, s4, exec_lo
	s_and_b32 s7, vcc_lo, exec_lo
	s_delay_alu instid0(SALU_CYCLE_1)
	s_or_b32 s4, s4, s7
	s_or_b32 exec_lo, exec_lo, s5
	s_and_saveexec_b32 s5, s4
	s_cbranch_execnz .LBB143_2256
	s_branch .LBB143_2257
.LBB143_2348:
	s_mov_b32 s10, -1
	s_mov_b32 s9, 0
	s_mov_b32 s5, 0
	s_branch .LBB143_2352
.LBB143_2349:
	v_bfe_u32 v1, v0, 20, 1
	s_mov_b32 s8, exec_lo
	s_delay_alu instid0(VALU_DEP_1) | instskip(NEXT) | instid1(VALU_DEP_1)
	v_add3_u32 v1, v0, v1, 0x487ffff
	v_lshrrev_b32_e32 v1, 20, v1
	s_and_not1_saveexec_b32 s9, s9
	s_cbranch_execz .LBB143_2075
.LBB143_2350:
	v_add_f32_e64 v1, 0x46000000, |v0|
	s_and_not1_b32 s8, s8, exec_lo
	s_delay_alu instid0(VALU_DEP_1) | instskip(NEXT) | instid1(VALU_DEP_1)
	v_and_b32_e32 v1, 0xff, v1
	v_cmp_ne_u32_e32 vcc_lo, 0, v1
	s_and_b32 s10, vcc_lo, exec_lo
	s_delay_alu instid0(SALU_CYCLE_1)
	s_or_b32 s8, s8, s10
	s_or_b32 exec_lo, exec_lo, s9
	v_mov_b32_e32 v2, 0
	s_and_saveexec_b32 s9, s8
	s_cbranch_execnz .LBB143_2076
	s_branch .LBB143_2077
.LBB143_2351:
	s_mov_b32 s5, -1
	s_mov_b32 s9, 0
.LBB143_2352:
                                        ; implicit-def: $vgpr6_vgpr7
.LBB143_2353:
	s_and_b32 vcc_lo, exec_lo, s10
	s_cbranch_vccz .LBB143_2358
; %bb.2354:
	s_cmp_eq_u32 s4, 44
	s_cbranch_scc0 .LBB143_2356
; %bb.2355:
	global_load_u8 v6, v[12:13], off
	s_mov_b32 s5, 0
	s_mov_b32 s9, -1
	s_wait_loadcnt 0x0
	v_cmp_ne_u32_e32 vcc_lo, 0xff, v6
	v_lshlrev_b32_e32 v4, 23, v6
	s_wait_xcnt 0x1
	s_delay_alu instid0(VALU_DEP_1) | instskip(NEXT) | instid1(VALU_DEP_1)
	v_cvt_f64_f32_e32 v[4:5], v4
	v_cndmask_b32_e32 v4, 0x20000000, v4, vcc_lo
	s_delay_alu instid0(VALU_DEP_2) | instskip(SKIP_1) | instid1(VALU_DEP_2)
	v_cndmask_b32_e32 v5, 0x7ff80000, v5, vcc_lo
	v_cmp_ne_u32_e32 vcc_lo, 0, v6
	v_cndmask_b32_e32 v5, 0x38000000, v5, vcc_lo
	s_delay_alu instid0(VALU_DEP_4)
	v_cndmask_b32_e32 v4, 0, v4, vcc_lo
	s_branch .LBB143_2357
.LBB143_2356:
	s_mov_b32 s5, -1
                                        ; implicit-def: $vgpr4_vgpr5
.LBB143_2357:
	v_mov_b64_e32 v[6:7], 0
.LBB143_2358:
	s_mov_b32 s10, 0
.LBB143_2359:
	s_delay_alu instid0(SALU_CYCLE_1)
	s_and_b32 vcc_lo, exec_lo, s10
	s_cbranch_vccz .LBB143_2364
; %bb.2360:
	s_cmp_eq_u32 s4, 29
	s_cbranch_scc0 .LBB143_2362
; %bb.2361:
	global_load_b64 v[4:5], v[12:13], off
	s_mov_b32 s5, 0
	s_mov_b32 s9, -1
	s_wait_loadcnt 0x0
	v_cvt_f64_u32_e32 v[6:7], v5
	v_cvt_f64_u32_e32 v[4:5], v4
	s_delay_alu instid0(VALU_DEP_2) | instskip(NEXT) | instid1(VALU_DEP_1)
	v_ldexp_f64 v[6:7], v[6:7], 32
	v_add_f64_e32 v[4:5], v[6:7], v[4:5]
	s_branch .LBB143_2363
.LBB143_2362:
	s_mov_b32 s5, -1
                                        ; implicit-def: $vgpr4_vgpr5
.LBB143_2363:
	v_mov_b64_e32 v[6:7], 0
.LBB143_2364:
	s_mov_b32 s10, 0
.LBB143_2365:
	s_delay_alu instid0(SALU_CYCLE_1)
	s_and_b32 vcc_lo, exec_lo, s10
	s_cbranch_vccz .LBB143_2381
; %bb.2366:
	s_cmp_lt_i32 s4, 27
	s_cbranch_scc1 .LBB143_2369
; %bb.2367:
	s_cmp_gt_i32 s4, 27
	s_cbranch_scc0 .LBB143_2370
; %bb.2368:
	global_load_b32 v4, v[12:13], off
	s_mov_b32 s9, 0
	s_wait_loadcnt 0x0
	s_wait_xcnt 0x1
	v_cvt_f64_u32_e32 v[4:5], v4
	s_branch .LBB143_2371
.LBB143_2369:
	s_mov_b32 s9, -1
                                        ; implicit-def: $vgpr4_vgpr5
	s_branch .LBB143_2374
.LBB143_2370:
	s_mov_b32 s9, -1
                                        ; implicit-def: $vgpr4_vgpr5
.LBB143_2371:
	s_delay_alu instid0(SALU_CYCLE_1)
	s_and_not1_b32 vcc_lo, exec_lo, s9
	s_cbranch_vccnz .LBB143_2373
; %bb.2372:
	global_load_u16 v4, v[12:13], off
	s_wait_loadcnt 0x0
	s_wait_xcnt 0x1
	v_cvt_f64_u32_e32 v[4:5], v4
.LBB143_2373:
	s_mov_b32 s9, 0
.LBB143_2374:
	s_delay_alu instid0(SALU_CYCLE_1)
	s_and_not1_b32 vcc_lo, exec_lo, s9
	s_cbranch_vccnz .LBB143_2380
; %bb.2375:
	global_load_u8 v6, v[12:13], off
	s_mov_b32 s9, 0
	s_mov_b32 s10, exec_lo
	s_wait_loadcnt 0x0
	v_cmpx_lt_i16_e32 0x7f, v6
	s_xor_b32 s10, exec_lo, s10
	s_cbranch_execnz .LBB143_2392
; %bb.2376:
	s_or_saveexec_b32 s10, s10
	v_mov_b64_e32 v[4:5], 0x7ff8000020000000
	s_xor_b32 exec_lo, exec_lo, s10
	s_cbranch_execnz .LBB143_2395
.LBB143_2377:
	s_or_b32 exec_lo, exec_lo, s10
	s_and_saveexec_b32 s10, s9
	s_cbranch_execz .LBB143_2379
.LBB143_2378:
	v_and_b32_e32 v4, 0xffff, v6
	s_delay_alu instid0(VALU_DEP_1) | instskip(SKIP_1) | instid1(VALU_DEP_2)
	v_and_b32_e32 v5, 7, v4
	v_bfe_u32 v11, v4, 3, 4
	v_clz_i32_u32_e32 v7, v5
	s_delay_alu instid0(VALU_DEP_2) | instskip(NEXT) | instid1(VALU_DEP_2)
	v_cmp_eq_u32_e32 vcc_lo, 0, v11
	v_min_u32_e32 v7, 32, v7
	s_delay_alu instid0(VALU_DEP_1) | instskip(NEXT) | instid1(VALU_DEP_1)
	v_subrev_nc_u32_e32 v9, 28, v7
	v_dual_lshlrev_b32 v4, v9, v4 :: v_dual_sub_nc_u32 v7, 29, v7
	s_delay_alu instid0(VALU_DEP_1) | instskip(NEXT) | instid1(VALU_DEP_1)
	v_dual_lshlrev_b32 v6, 24, v6 :: v_dual_bitop2_b32 v4, 7, v4 bitop3:0x40
	v_dual_cndmask_b32 v7, v11, v7 :: v_dual_cndmask_b32 v4, v5, v4
	s_delay_alu instid0(VALU_DEP_2) | instskip(NEXT) | instid1(VALU_DEP_2)
	v_and_b32_e32 v5, 0x80000000, v6
	v_lshl_add_u32 v6, v7, 23, 0x3b800000
	s_delay_alu instid0(VALU_DEP_3) | instskip(NEXT) | instid1(VALU_DEP_1)
	v_lshlrev_b32_e32 v4, 20, v4
	v_or3_b32 v4, v5, v6, v4
	s_delay_alu instid0(VALU_DEP_1)
	v_cvt_f64_f32_e32 v[4:5], v4
.LBB143_2379:
	s_or_b32 exec_lo, exec_lo, s10
.LBB143_2380:
	v_mov_b64_e32 v[6:7], 0
	s_mov_b32 s9, -1
.LBB143_2381:
	s_branch .LBB143_2413
.LBB143_2382:
	s_cmp_gt_i32 s4, 22
	s_cbranch_scc0 .LBB143_2390
; %bb.2383:
	s_cmp_lt_i32 s4, 24
	s_cbranch_scc1 .LBB143_2391
; %bb.2384:
	s_cmp_gt_i32 s4, 24
	s_cbranch_scc0 .LBB143_2396
; %bb.2385:
	global_load_u8 v6, v[12:13], off
	s_mov_b32 s9, exec_lo
	s_wait_loadcnt 0x0
	v_cmpx_lt_i16_e32 0x7f, v6
	s_xor_b32 s9, exec_lo, s9
	s_cbranch_execnz .LBB143_2479
; %bb.2386:
	s_or_saveexec_b32 s9, s9
	v_mov_b64_e32 v[4:5], 0x7ff8000020000000
	s_xor_b32 exec_lo, exec_lo, s9
	s_cbranch_execnz .LBB143_2482
.LBB143_2387:
	s_or_b32 exec_lo, exec_lo, s9
	s_and_saveexec_b32 s9, s8
	s_cbranch_execz .LBB143_2389
.LBB143_2388:
	v_and_b32_e32 v4, 0xffff, v6
	s_delay_alu instid0(VALU_DEP_1) | instskip(SKIP_1) | instid1(VALU_DEP_2)
	v_and_b32_e32 v5, 3, v4
	v_bfe_u32 v11, v4, 2, 5
	v_clz_i32_u32_e32 v7, v5
	s_delay_alu instid0(VALU_DEP_2) | instskip(NEXT) | instid1(VALU_DEP_2)
	v_cmp_eq_u32_e32 vcc_lo, 0, v11
	v_min_u32_e32 v7, 32, v7
	s_delay_alu instid0(VALU_DEP_1) | instskip(NEXT) | instid1(VALU_DEP_1)
	v_subrev_nc_u32_e32 v9, 29, v7
	v_dual_lshlrev_b32 v4, v9, v4 :: v_dual_sub_nc_u32 v7, 30, v7
	s_delay_alu instid0(VALU_DEP_1) | instskip(NEXT) | instid1(VALU_DEP_1)
	v_dual_lshlrev_b32 v6, 24, v6 :: v_dual_bitop2_b32 v4, 3, v4 bitop3:0x40
	v_dual_cndmask_b32 v7, v11, v7 :: v_dual_cndmask_b32 v4, v5, v4
	s_delay_alu instid0(VALU_DEP_2) | instskip(NEXT) | instid1(VALU_DEP_2)
	v_and_b32_e32 v5, 0x80000000, v6
	v_lshl_add_u32 v6, v7, 23, 0x37800000
	s_delay_alu instid0(VALU_DEP_3) | instskip(NEXT) | instid1(VALU_DEP_1)
	v_lshlrev_b32_e32 v4, 21, v4
	v_or3_b32 v4, v5, v6, v4
	s_delay_alu instid0(VALU_DEP_1)
	v_cvt_f64_f32_e32 v[4:5], v4
.LBB143_2389:
	s_or_b32 exec_lo, exec_lo, s9
	s_mov_b32 s8, 0
	s_branch .LBB143_2397
.LBB143_2390:
	s_mov_b32 s8, -1
                                        ; implicit-def: $vgpr4_vgpr5
	s_branch .LBB143_2403
.LBB143_2391:
	s_mov_b32 s8, -1
                                        ; implicit-def: $vgpr4_vgpr5
	s_branch .LBB143_2400
.LBB143_2392:
	s_mov_b32 s9, -1
	s_mov_b32 s11, exec_lo
	v_cmpx_eq_u16_e32 0x80, v6
; %bb.2393:
	s_xor_b32 s9, exec_lo, -1
; %bb.2394:
	s_or_b32 exec_lo, exec_lo, s11
	s_delay_alu instid0(SALU_CYCLE_1)
	s_and_b32 s9, s9, exec_lo
	s_or_saveexec_b32 s10, s10
	v_mov_b64_e32 v[4:5], 0x7ff8000020000000
	s_xor_b32 exec_lo, exec_lo, s10
	s_cbranch_execz .LBB143_2377
.LBB143_2395:
	v_cmp_ne_u16_e32 vcc_lo, 0, v6
	v_mov_b64_e32 v[4:5], 0
	s_and_not1_b32 s9, s9, exec_lo
	s_and_b32 s11, vcc_lo, exec_lo
	s_delay_alu instid0(SALU_CYCLE_1)
	s_or_b32 s9, s9, s11
	s_or_b32 exec_lo, exec_lo, s10
	s_and_saveexec_b32 s10, s9
	s_cbranch_execnz .LBB143_2378
	s_branch .LBB143_2379
.LBB143_2396:
	s_mov_b32 s8, -1
                                        ; implicit-def: $vgpr4_vgpr5
.LBB143_2397:
	s_delay_alu instid0(SALU_CYCLE_1)
	s_and_b32 vcc_lo, exec_lo, s8
	s_cbranch_vccz .LBB143_2399
; %bb.2398:
	global_load_u8 v4, v[12:13], off
	s_wait_loadcnt 0x0
	v_lshlrev_b32_e32 v4, 24, v4
	s_wait_xcnt 0x1
	s_delay_alu instid0(VALU_DEP_1) | instskip(NEXT) | instid1(VALU_DEP_1)
	v_and_b32_e32 v5, 0x7f000000, v4
	v_clz_i32_u32_e32 v6, v5
	v_add_nc_u32_e32 v9, 0x1000000, v5
	v_cmp_ne_u32_e32 vcc_lo, 0, v5
	s_delay_alu instid0(VALU_DEP_3) | instskip(NEXT) | instid1(VALU_DEP_1)
	v_min_u32_e32 v6, 32, v6
	v_sub_nc_u32_e64 v6, v6, 4 clamp
	s_delay_alu instid0(VALU_DEP_1) | instskip(NEXT) | instid1(VALU_DEP_1)
	v_dual_lshlrev_b32 v7, v6, v5 :: v_dual_lshlrev_b32 v6, 23, v6
	v_lshrrev_b32_e32 v7, 4, v7
	s_delay_alu instid0(VALU_DEP_1) | instskip(NEXT) | instid1(VALU_DEP_1)
	v_dual_sub_nc_u32 v6, v7, v6 :: v_dual_ashrrev_i32 v7, 8, v9
	v_add_nc_u32_e32 v6, 0x3c000000, v6
	s_delay_alu instid0(VALU_DEP_1) | instskip(NEXT) | instid1(VALU_DEP_1)
	v_and_or_b32 v6, 0x7f800000, v7, v6
	v_cndmask_b32_e32 v5, 0, v6, vcc_lo
	s_delay_alu instid0(VALU_DEP_1) | instskip(NEXT) | instid1(VALU_DEP_1)
	v_and_or_b32 v4, 0x80000000, v4, v5
	v_cvt_f64_f32_e32 v[4:5], v4
.LBB143_2399:
	s_mov_b32 s8, 0
.LBB143_2400:
	s_delay_alu instid0(SALU_CYCLE_1)
	s_and_not1_b32 vcc_lo, exec_lo, s8
	s_cbranch_vccnz .LBB143_2402
; %bb.2401:
	global_load_u8 v4, v[12:13], off
	s_wait_loadcnt 0x0
	s_wait_xcnt 0x1
	v_lshlrev_b32_e32 v5, 25, v4
	v_lshlrev_b16 v4, 8, v4
	s_delay_alu instid0(VALU_DEP_1) | instskip(SKIP_1) | instid1(VALU_DEP_2)
	v_and_or_b32 v7, 0x7f00, v4, 0.5
	v_bfe_i32 v4, v4, 0, 16
	v_dual_add_f32 v7, -0.5, v7 :: v_dual_lshrrev_b32 v6, 4, v5
	v_cmp_gt_u32_e32 vcc_lo, 0x8000000, v5
	s_delay_alu instid0(VALU_DEP_2) | instskip(NEXT) | instid1(VALU_DEP_1)
	v_or_b32_e32 v6, 0x70000000, v6
	v_mul_f32_e32 v6, 0x7800000, v6
	s_delay_alu instid0(VALU_DEP_1) | instskip(NEXT) | instid1(VALU_DEP_1)
	v_cndmask_b32_e32 v5, v6, v7, vcc_lo
	v_and_or_b32 v4, 0x80000000, v4, v5
	s_delay_alu instid0(VALU_DEP_1)
	v_cvt_f64_f32_e32 v[4:5], v4
.LBB143_2402:
	s_mov_b32 s8, 0
	s_mov_b32 s9, -1
.LBB143_2403:
	s_and_not1_b32 vcc_lo, exec_lo, s8
	s_mov_b32 s8, 0
	s_cbranch_vccnz .LBB143_2412
; %bb.2404:
	s_cmp_gt_i32 s4, 14
	s_cbranch_scc0 .LBB143_2407
; %bb.2405:
	s_cmp_eq_u32 s4, 15
	s_cbranch_scc0 .LBB143_2408
; %bb.2406:
	global_load_u16 v4, v[12:13], off
	s_mov_b32 s5, 0
	s_mov_b32 s9, -1
	s_wait_loadcnt 0x0
	v_lshlrev_b32_e32 v4, 16, v4
	s_wait_xcnt 0x1
	s_delay_alu instid0(VALU_DEP_1)
	v_cvt_f64_f32_e32 v[4:5], v4
	s_branch .LBB143_2410
.LBB143_2407:
	s_mov_b32 s8, -1
	s_branch .LBB143_2409
.LBB143_2408:
	s_mov_b32 s5, -1
.LBB143_2409:
                                        ; implicit-def: $vgpr4_vgpr5
.LBB143_2410:
	s_and_b32 vcc_lo, exec_lo, s8
	s_mov_b32 s8, 0
	s_cbranch_vccz .LBB143_2412
; %bb.2411:
	s_cmp_lg_u32 s4, 11
	s_mov_b32 s8, -1
	s_cselect_b32 s5, -1, 0
.LBB143_2412:
	v_mov_b64_e32 v[6:7], 0
.LBB143_2413:
	s_and_b32 vcc_lo, exec_lo, s5
	s_cbranch_vccnz .LBB143_2478
; %bb.2414:
	s_and_not1_b32 vcc_lo, exec_lo, s8
	s_cbranch_vccnz .LBB143_2416
.LBB143_2415:
	global_load_u8 v4, v[12:13], off
	v_mov_b64_e32 v[6:7], 0
	s_mov_b32 s9, -1
	s_wait_loadcnt 0x0
	v_cmp_ne_u16_e32 vcc_lo, 0, v4
	v_mov_b32_e32 v4, 0
	s_wait_xcnt 0x1
	v_cndmask_b32_e64 v5, 0, 0x3ff00000, vcc_lo
.LBB143_2416:
	s_branch .LBB143_2339
.LBB143_2417:
	s_and_b32 s4, 0xffff, s7
	s_delay_alu instid0(SALU_CYCLE_1)
	s_cmp_lt_i32 s4, 5
	s_cbranch_scc1 .LBB143_2422
; %bb.2418:
	s_cmp_lt_i32 s4, 8
	s_cbranch_scc1 .LBB143_2424
; %bb.2419:
	;; [unrolled: 3-line block ×3, first 2 shown]
	s_cmp_gt_i32 s4, 9
	s_cbranch_scc0 .LBB143_2426
; %bb.2421:
	global_load_b128 v[4:7], v[12:13], off
	s_mov_b32 s5, 0
	s_branch .LBB143_2427
.LBB143_2422:
                                        ; implicit-def: $vgpr6_vgpr7
	s_branch .LBB143_2446
.LBB143_2423:
	s_branch .LBB143_2466
.LBB143_2424:
	s_mov_b32 s5, -1
                                        ; implicit-def: $vgpr6_vgpr7
	s_branch .LBB143_2433
.LBB143_2425:
	s_mov_b32 s5, -1
                                        ; implicit-def: $vgpr6_vgpr7
	s_branch .LBB143_2430
.LBB143_2426:
	s_mov_b32 s5, -1
                                        ; implicit-def: $vgpr6_vgpr7
.LBB143_2427:
	s_delay_alu instid0(SALU_CYCLE_1)
	s_and_not1_b32 vcc_lo, exec_lo, s5
	s_cbranch_vccnz .LBB143_2429
; %bb.2428:
	s_wait_loadcnt 0x0
	global_load_b64 v[6:7], v[12:13], off
	s_wait_loadcnt 0x0
	s_wait_xcnt 0x1
	v_cvt_f64_f32_e32 v[4:5], v6
	v_cvt_f64_f32_e32 v[6:7], v7
.LBB143_2429:
	s_mov_b32 s5, 0
.LBB143_2430:
	s_delay_alu instid0(SALU_CYCLE_1)
	s_and_not1_b32 vcc_lo, exec_lo, s5
	s_cbranch_vccnz .LBB143_2432
; %bb.2431:
	s_wait_loadcnt 0x0
	global_load_b32 v4, v[12:13], off
	s_wait_loadcnt 0x0
	s_wait_xcnt 0x1
	v_lshrrev_b32_e32 v5, 16, v4
	v_cvt_f32_f16_e32 v4, v4
	s_delay_alu instid0(VALU_DEP_2) | instskip(NEXT) | instid1(VALU_DEP_2)
	v_cvt_f32_f16_e32 v6, v5
	v_cvt_f64_f32_e32 v[4:5], v4
	s_delay_alu instid0(VALU_DEP_2)
	v_cvt_f64_f32_e32 v[6:7], v6
.LBB143_2432:
	s_mov_b32 s5, 0
.LBB143_2433:
	s_delay_alu instid0(SALU_CYCLE_1)
	s_and_not1_b32 vcc_lo, exec_lo, s5
	s_cbranch_vccnz .LBB143_2445
; %bb.2434:
	s_cmp_lt_i32 s4, 6
	s_cbranch_scc1 .LBB143_2437
; %bb.2435:
	s_cmp_gt_i32 s4, 6
	s_cbranch_scc0 .LBB143_2438
; %bb.2436:
	s_wait_loadcnt 0x0
	global_load_b64 v[4:5], v[12:13], off
	s_mov_b32 s5, 0
	s_branch .LBB143_2439
.LBB143_2437:
	s_mov_b32 s5, -1
                                        ; implicit-def: $vgpr4_vgpr5
	s_branch .LBB143_2442
.LBB143_2438:
	s_mov_b32 s5, -1
                                        ; implicit-def: $vgpr4_vgpr5
.LBB143_2439:
	s_delay_alu instid0(SALU_CYCLE_1)
	s_and_not1_b32 vcc_lo, exec_lo, s5
	s_cbranch_vccnz .LBB143_2441
; %bb.2440:
	s_wait_loadcnt 0x0
	global_load_b32 v4, v[12:13], off
	s_wait_loadcnt 0x0
	s_wait_xcnt 0x1
	v_cvt_f64_f32_e32 v[4:5], v4
.LBB143_2441:
	s_mov_b32 s5, 0
.LBB143_2442:
	s_delay_alu instid0(SALU_CYCLE_1)
	s_and_not1_b32 vcc_lo, exec_lo, s5
	s_cbranch_vccnz .LBB143_2444
; %bb.2443:
	s_wait_loadcnt 0x0
	global_load_u16 v4, v[12:13], off
	s_wait_loadcnt 0x0
	v_cvt_f32_f16_e32 v4, v4
	s_wait_xcnt 0x1
	s_delay_alu instid0(VALU_DEP_1)
	v_cvt_f64_f32_e32 v[4:5], v4
.LBB143_2444:
	s_wait_loadcnt 0x0
	v_mov_b64_e32 v[6:7], 0
.LBB143_2445:
	s_cbranch_execnz .LBB143_2423
.LBB143_2446:
	s_cmp_lt_i32 s4, 2
	s_cbranch_scc1 .LBB143_2450
; %bb.2447:
	s_cmp_lt_i32 s4, 3
	s_cbranch_scc1 .LBB143_2451
; %bb.2448:
	s_cmp_gt_i32 s4, 3
	s_cbranch_scc0 .LBB143_2452
; %bb.2449:
	s_wait_loadcnt 0x0
	global_load_b64 v[4:5], v[12:13], off
	s_mov_b32 s5, 0
	s_wait_loadcnt 0x0
	v_cvt_f64_i32_e32 v[6:7], v5
	v_cvt_f64_u32_e32 v[4:5], v4
	s_delay_alu instid0(VALU_DEP_2) | instskip(NEXT) | instid1(VALU_DEP_1)
	v_ldexp_f64 v[6:7], v[6:7], 32
	v_add_f64_e32 v[4:5], v[6:7], v[4:5]
	s_branch .LBB143_2453
.LBB143_2450:
	s_mov_b32 s5, -1
                                        ; implicit-def: $vgpr4_vgpr5
	s_branch .LBB143_2459
.LBB143_2451:
	s_mov_b32 s5, -1
                                        ; implicit-def: $vgpr4_vgpr5
	s_branch .LBB143_2456
.LBB143_2452:
	s_mov_b32 s5, -1
                                        ; implicit-def: $vgpr4_vgpr5
.LBB143_2453:
	s_delay_alu instid0(SALU_CYCLE_1)
	s_and_not1_b32 vcc_lo, exec_lo, s5
	s_cbranch_vccnz .LBB143_2455
; %bb.2454:
	s_wait_loadcnt 0x0
	global_load_b32 v4, v[12:13], off
	s_wait_loadcnt 0x0
	s_wait_xcnt 0x1
	v_cvt_f64_i32_e32 v[4:5], v4
.LBB143_2455:
	s_mov_b32 s5, 0
.LBB143_2456:
	s_delay_alu instid0(SALU_CYCLE_1)
	s_and_not1_b32 vcc_lo, exec_lo, s5
	s_cbranch_vccnz .LBB143_2458
; %bb.2457:
	s_wait_loadcnt 0x0
	global_load_i16 v4, v[12:13], off
	s_wait_loadcnt 0x0
	s_wait_xcnt 0x1
	v_cvt_f64_i32_e32 v[4:5], v4
.LBB143_2458:
	s_mov_b32 s5, 0
.LBB143_2459:
	s_delay_alu instid0(SALU_CYCLE_1)
	s_and_not1_b32 vcc_lo, exec_lo, s5
	s_cbranch_vccnz .LBB143_2465
; %bb.2460:
	s_cmp_gt_i32 s4, 0
	s_mov_b32 s4, 0
	s_cbranch_scc0 .LBB143_2462
; %bb.2461:
	s_wait_loadcnt 0x0
	global_load_i8 v4, v[12:13], off
	s_wait_loadcnt 0x0
	s_wait_xcnt 0x1
	v_cvt_f64_i32_e32 v[4:5], v4
	s_branch .LBB143_2463
.LBB143_2462:
	s_mov_b32 s4, -1
                                        ; implicit-def: $vgpr4_vgpr5
.LBB143_2463:
	s_delay_alu instid0(SALU_CYCLE_1)
	s_and_not1_b32 vcc_lo, exec_lo, s4
	s_cbranch_vccnz .LBB143_2465
; %bb.2464:
	s_wait_loadcnt 0x0
	global_load_u8 v4, v[12:13], off
	s_wait_loadcnt 0x0
	s_wait_xcnt 0x1
	v_cvt_f64_u32_e32 v[4:5], v4
.LBB143_2465:
	s_wait_loadcnt 0x0
	v_mov_b64_e32 v[6:7], 0
.LBB143_2466:
	v_mov_b32_e32 v11, 0
	s_load_b64 s[4:5], s[2:3], 0x1e0
	global_load_u8 v9, v11, s[2:3] offset:531
	s_wait_kmcnt 0x0
	v_add_nc_u64_e32 v[10:11], s[4:5], v[10:11]
	s_wait_loadcnt 0x0
	v_and_b32_e32 v12, 0xffff, v9
	v_readfirstlane_b32 s8, v9
	s_delay_alu instid0(VALU_DEP_2)
	v_cmp_gt_i32_e32 vcc_lo, 11, v12
	s_cbranch_vccnz .LBB143_2473
; %bb.2467:
	s_and_b32 s9, 0xffff, s8
	s_mov_b32 s11, 0
	s_cmp_gt_i32 s9, 25
	s_cbranch_scc0 .LBB143_2475
; %bb.2468:
	s_cmp_gt_i32 s9, 28
	s_cbranch_scc0 .LBB143_2476
; %bb.2469:
	;; [unrolled: 3-line block ×4, first 2 shown]
	s_cmp_eq_u32 s9, 46
	s_mov_b32 s20, 0
	s_cbranch_scc0 .LBB143_2486
; %bb.2472:
	global_load_b32 v9, v[10:11], off
	s_mov_b32 s10, 0
	s_mov_b32 s19, -1
	s_wait_loadcnt 0x0
	v_lshlrev_b32_e32 v12, 16, v9
	v_and_b32_e32 v9, 0xffff0000, v9
	s_delay_alu instid0(VALU_DEP_2) | instskip(NEXT) | instid1(VALU_DEP_2)
	v_cvt_f64_f32_e32 v[12:13], v12
	v_cvt_f64_f32_e32 v[14:15], v9
	s_branch .LBB143_2488
.LBB143_2473:
	s_mov_b32 s19, 0
                                        ; implicit-def: $vgpr14_vgpr15
	s_cbranch_execnz .LBB143_2522
.LBB143_2474:
	s_and_not1_b32 vcc_lo, exec_lo, s19
	s_cbranch_vccz .LBB143_2604
	s_branch .LBB143_4271
.LBB143_2475:
	s_mov_b32 s20, -1
	s_mov_b32 s19, 0
	s_mov_b32 s10, 0
                                        ; implicit-def: $vgpr14_vgpr15
	s_branch .LBB143_2517
.LBB143_2476:
	s_mov_b32 s20, -1
	s_mov_b32 s19, 0
	s_mov_b32 s10, 0
                                        ; implicit-def: $vgpr14_vgpr15
	s_branch .LBB143_2500
.LBB143_2477:
	s_mov_b32 s20, -1
	s_mov_b32 s19, 0
	s_mov_b32 s10, 0
                                        ; implicit-def: $vgpr14_vgpr15
	s_branch .LBB143_2494
.LBB143_2478:
	s_or_b32 s18, s18, exec_lo
	s_trap 2
	s_cbranch_execz .LBB143_2415
	s_branch .LBB143_2416
.LBB143_2479:
	s_mov_b32 s8, -1
	s_mov_b32 s10, exec_lo
	v_cmpx_eq_u16_e32 0x80, v6
; %bb.2480:
	s_xor_b32 s8, exec_lo, -1
; %bb.2481:
	s_or_b32 exec_lo, exec_lo, s10
	s_delay_alu instid0(SALU_CYCLE_1)
	s_and_b32 s8, s8, exec_lo
	s_or_saveexec_b32 s9, s9
	v_mov_b64_e32 v[4:5], 0x7ff8000020000000
	s_xor_b32 exec_lo, exec_lo, s9
	s_cbranch_execz .LBB143_2387
.LBB143_2482:
	v_cmp_ne_u16_e32 vcc_lo, 0, v6
	v_mov_b64_e32 v[4:5], 0
	s_and_not1_b32 s8, s8, exec_lo
	s_and_b32 s10, vcc_lo, exec_lo
	s_delay_alu instid0(SALU_CYCLE_1)
	s_or_b32 s8, s8, s10
	s_or_b32 exec_lo, exec_lo, s9
	s_and_saveexec_b32 s9, s8
	s_cbranch_execnz .LBB143_2388
	s_branch .LBB143_2389
.LBB143_2483:
	s_mov_b32 s20, -1
	s_mov_b32 s19, 0
	s_mov_b32 s10, 0
	s_branch .LBB143_2487
.LBB143_2484:
	v_bfe_u32 v1, v0, 21, 1
	s_mov_b32 s9, exec_lo
	s_delay_alu instid0(VALU_DEP_1) | instskip(NEXT) | instid1(VALU_DEP_1)
	v_add3_u32 v1, v0, v1, 0x88fffff
	v_lshrrev_b32_e32 v1, 21, v1
	s_and_not1_saveexec_b32 s10, s10
	s_cbranch_execz .LBB143_2087
.LBB143_2485:
	v_add_f32_e64 v1, 0x42800000, |v0|
	s_and_not1_b32 s9, s9, exec_lo
	s_delay_alu instid0(VALU_DEP_1) | instskip(NEXT) | instid1(VALU_DEP_1)
	v_and_b32_e32 v1, 0xff, v1
	v_cmp_ne_u32_e32 vcc_lo, 0, v1
	s_and_b32 s11, vcc_lo, exec_lo
	s_delay_alu instid0(SALU_CYCLE_1)
	s_or_b32 s9, s9, s11
	s_or_b32 exec_lo, exec_lo, s10
	v_mov_b32_e32 v2, 0
	s_and_saveexec_b32 s10, s9
	s_cbranch_execnz .LBB143_2088
	s_branch .LBB143_2089
.LBB143_2486:
	s_mov_b32 s10, -1
	s_mov_b32 s19, 0
.LBB143_2487:
                                        ; implicit-def: $vgpr14_vgpr15
.LBB143_2488:
	s_and_b32 vcc_lo, exec_lo, s20
	s_cbranch_vccz .LBB143_2493
; %bb.2489:
	s_cmp_eq_u32 s9, 44
	s_cbranch_scc0 .LBB143_2491
; %bb.2490:
	global_load_u8 v9, v[10:11], off
	s_mov_b32 s10, 0
	s_mov_b32 s19, -1
	s_wait_loadcnt 0x0
	v_lshlrev_b32_e32 v12, 23, v9
	v_cmp_ne_u32_e32 vcc_lo, 0xff, v9
	s_delay_alu instid0(VALU_DEP_2) | instskip(NEXT) | instid1(VALU_DEP_1)
	v_cvt_f64_f32_e32 v[12:13], v12
	v_cndmask_b32_e32 v12, 0x20000000, v12, vcc_lo
	s_delay_alu instid0(VALU_DEP_2) | instskip(SKIP_1) | instid1(VALU_DEP_2)
	v_cndmask_b32_e32 v13, 0x7ff80000, v13, vcc_lo
	v_cmp_ne_u32_e32 vcc_lo, 0, v9
	v_cndmask_b32_e32 v13, 0x38000000, v13, vcc_lo
	s_delay_alu instid0(VALU_DEP_4)
	v_cndmask_b32_e32 v12, 0, v12, vcc_lo
	s_branch .LBB143_2492
.LBB143_2491:
	s_mov_b32 s10, -1
                                        ; implicit-def: $vgpr12_vgpr13
.LBB143_2492:
	v_mov_b64_e32 v[14:15], 0
.LBB143_2493:
	s_mov_b32 s20, 0
.LBB143_2494:
	s_delay_alu instid0(SALU_CYCLE_1)
	s_and_b32 vcc_lo, exec_lo, s20
	s_cbranch_vccz .LBB143_2499
; %bb.2495:
	s_cmp_eq_u32 s9, 29
	s_cbranch_scc0 .LBB143_2497
; %bb.2496:
	global_load_b64 v[12:13], v[10:11], off
	s_mov_b32 s10, 0
	s_mov_b32 s19, -1
	s_wait_loadcnt 0x0
	v_cvt_f64_u32_e32 v[14:15], v13
	v_cvt_f64_u32_e32 v[12:13], v12
	s_delay_alu instid0(VALU_DEP_2) | instskip(NEXT) | instid1(VALU_DEP_1)
	v_ldexp_f64 v[14:15], v[14:15], 32
	v_add_f64_e32 v[12:13], v[14:15], v[12:13]
	s_branch .LBB143_2498
.LBB143_2497:
	s_mov_b32 s10, -1
                                        ; implicit-def: $vgpr12_vgpr13
.LBB143_2498:
	v_mov_b64_e32 v[14:15], 0
.LBB143_2499:
	s_mov_b32 s20, 0
.LBB143_2500:
	s_delay_alu instid0(SALU_CYCLE_1)
	s_and_b32 vcc_lo, exec_lo, s20
	s_cbranch_vccz .LBB143_2516
; %bb.2501:
	s_cmp_lt_i32 s9, 27
	s_cbranch_scc1 .LBB143_2504
; %bb.2502:
	s_cmp_gt_i32 s9, 27
	s_cbranch_scc0 .LBB143_2505
; %bb.2503:
	global_load_b32 v9, v[10:11], off
	s_mov_b32 s19, 0
	s_wait_loadcnt 0x0
	v_cvt_f64_u32_e32 v[12:13], v9
	s_branch .LBB143_2506
.LBB143_2504:
	s_mov_b32 s19, -1
                                        ; implicit-def: $vgpr12_vgpr13
	s_branch .LBB143_2509
.LBB143_2505:
	s_mov_b32 s19, -1
                                        ; implicit-def: $vgpr12_vgpr13
.LBB143_2506:
	s_delay_alu instid0(SALU_CYCLE_1)
	s_and_not1_b32 vcc_lo, exec_lo, s19
	s_cbranch_vccnz .LBB143_2508
; %bb.2507:
	global_load_u16 v9, v[10:11], off
	s_wait_loadcnt 0x0
	v_cvt_f64_u32_e32 v[12:13], v9
.LBB143_2508:
	s_mov_b32 s19, 0
.LBB143_2509:
	s_delay_alu instid0(SALU_CYCLE_1)
	s_and_not1_b32 vcc_lo, exec_lo, s19
	s_cbranch_vccnz .LBB143_2515
; %bb.2510:
	global_load_u8 v9, v[10:11], off
	s_mov_b32 s19, 0
	s_mov_b32 s20, exec_lo
	s_wait_loadcnt 0x0
	v_cmpx_lt_i16_e32 0x7f, v9
	s_xor_b32 s20, exec_lo, s20
	s_cbranch_execnz .LBB143_2540
; %bb.2511:
	s_or_saveexec_b32 s20, s20
	v_mov_b64_e32 v[12:13], 0x7ff8000020000000
	s_xor_b32 exec_lo, exec_lo, s20
	s_cbranch_execnz .LBB143_2543
.LBB143_2512:
	s_or_b32 exec_lo, exec_lo, s20
	s_and_saveexec_b32 s20, s19
	s_cbranch_execz .LBB143_2514
.LBB143_2513:
	v_and_b32_e32 v12, 0xffff, v9
	s_delay_alu instid0(VALU_DEP_1) | instskip(SKIP_1) | instid1(VALU_DEP_2)
	v_and_b32_e32 v13, 7, v12
	v_bfe_u32 v17, v12, 3, 4
	v_clz_i32_u32_e32 v14, v13
	s_delay_alu instid0(VALU_DEP_2) | instskip(NEXT) | instid1(VALU_DEP_2)
	v_cmp_eq_u32_e32 vcc_lo, 0, v17
	v_min_u32_e32 v14, 32, v14
	s_delay_alu instid0(VALU_DEP_1) | instskip(NEXT) | instid1(VALU_DEP_1)
	v_subrev_nc_u32_e32 v15, 28, v14
	v_dual_lshlrev_b32 v12, v15, v12 :: v_dual_sub_nc_u32 v14, 29, v14
	s_delay_alu instid0(VALU_DEP_1) | instskip(NEXT) | instid1(VALU_DEP_2)
	v_dual_lshlrev_b32 v9, 24, v9 :: v_dual_bitop2_b32 v12, 7, v12 bitop3:0x40
	v_cndmask_b32_e32 v14, v17, v14, vcc_lo
	s_delay_alu instid0(VALU_DEP_2) | instskip(NEXT) | instid1(VALU_DEP_3)
	v_cndmask_b32_e32 v12, v13, v12, vcc_lo
	v_and_b32_e32 v9, 0x80000000, v9
	s_delay_alu instid0(VALU_DEP_3) | instskip(NEXT) | instid1(VALU_DEP_3)
	v_lshl_add_u32 v13, v14, 23, 0x3b800000
	v_lshlrev_b32_e32 v12, 20, v12
	s_delay_alu instid0(VALU_DEP_1) | instskip(NEXT) | instid1(VALU_DEP_1)
	v_or3_b32 v9, v9, v13, v12
	v_cvt_f64_f32_e32 v[12:13], v9
.LBB143_2514:
	s_or_b32 exec_lo, exec_lo, s20
.LBB143_2515:
	v_mov_b64_e32 v[14:15], 0
	s_mov_b32 s19, -1
.LBB143_2516:
	s_mov_b32 s20, 0
.LBB143_2517:
	s_delay_alu instid0(SALU_CYCLE_1)
	s_and_b32 vcc_lo, exec_lo, s20
	s_cbranch_vccnz .LBB143_2527
; %bb.2518:
	s_and_b32 vcc_lo, exec_lo, s10
	s_cbranch_vccnz .LBB143_2588
.LBB143_2519:
	s_and_not1_b32 vcc_lo, exec_lo, s11
	s_cbranch_vccnz .LBB143_2521
.LBB143_2520:
	global_load_u8 v9, v[10:11], off
	v_mov_b64_e32 v[14:15], 0
	v_mov_b32_e32 v12, 0
	s_mov_b32 s19, -1
	s_wait_loadcnt 0x0
	v_cmp_ne_u16_e32 vcc_lo, 0, v9
	v_cndmask_b32_e64 v13, 0, 0x3ff00000, vcc_lo
.LBB143_2521:
	s_branch .LBB143_2474
.LBB143_2522:
	s_and_b32 s9, 0xffff, s8
	s_delay_alu instid0(SALU_CYCLE_1)
	s_cmp_lt_i32 s9, 5
	s_cbranch_scc1 .LBB143_2535
; %bb.2523:
	s_cmp_lt_i32 s9, 8
	s_cbranch_scc1 .LBB143_2536
; %bb.2524:
	;; [unrolled: 3-line block ×3, first 2 shown]
	s_cmp_gt_i32 s9, 9
	s_cbranch_scc0 .LBB143_2544
; %bb.2526:
	global_load_b128 v[12:15], v[10:11], off
	s_mov_b32 s10, 0
	s_branch .LBB143_2545
.LBB143_2527:
	s_cmp_gt_i32 s9, 22
	s_cbranch_scc0 .LBB143_2537
; %bb.2528:
	s_cmp_lt_i32 s9, 24
	s_cbranch_scc1 .LBB143_2539
; %bb.2529:
	s_cmp_gt_i32 s9, 24
	s_cbranch_scc0 .LBB143_2556
; %bb.2530:
	global_load_u8 v9, v[10:11], off
	s_mov_b32 s19, exec_lo
	s_wait_loadcnt 0x0
	v_cmpx_lt_i16_e32 0x7f, v9
	s_xor_b32 s19, exec_lo, s19
	s_cbranch_execnz .LBB143_2615
; %bb.2531:
	s_or_saveexec_b32 s19, s19
	v_mov_b64_e32 v[12:13], 0x7ff8000020000000
	s_xor_b32 exec_lo, exec_lo, s19
	s_cbranch_execnz .LBB143_2618
.LBB143_2532:
	s_or_b32 exec_lo, exec_lo, s19
	s_and_saveexec_b32 s19, s11
	s_cbranch_execz .LBB143_2534
.LBB143_2533:
	v_and_b32_e32 v12, 0xffff, v9
	s_delay_alu instid0(VALU_DEP_1) | instskip(SKIP_1) | instid1(VALU_DEP_2)
	v_and_b32_e32 v13, 3, v12
	v_bfe_u32 v17, v12, 2, 5
	v_clz_i32_u32_e32 v14, v13
	s_delay_alu instid0(VALU_DEP_2) | instskip(NEXT) | instid1(VALU_DEP_2)
	v_cmp_eq_u32_e32 vcc_lo, 0, v17
	v_min_u32_e32 v14, 32, v14
	s_delay_alu instid0(VALU_DEP_1) | instskip(NEXT) | instid1(VALU_DEP_1)
	v_subrev_nc_u32_e32 v15, 29, v14
	v_dual_lshlrev_b32 v12, v15, v12 :: v_dual_sub_nc_u32 v14, 30, v14
	s_delay_alu instid0(VALU_DEP_1) | instskip(NEXT) | instid1(VALU_DEP_2)
	v_dual_lshlrev_b32 v9, 24, v9 :: v_dual_bitop2_b32 v12, 3, v12 bitop3:0x40
	v_cndmask_b32_e32 v14, v17, v14, vcc_lo
	s_delay_alu instid0(VALU_DEP_2) | instskip(NEXT) | instid1(VALU_DEP_3)
	v_cndmask_b32_e32 v12, v13, v12, vcc_lo
	v_and_b32_e32 v9, 0x80000000, v9
	s_delay_alu instid0(VALU_DEP_3) | instskip(NEXT) | instid1(VALU_DEP_3)
	v_lshl_add_u32 v13, v14, 23, 0x37800000
	v_lshlrev_b32_e32 v12, 21, v12
	s_delay_alu instid0(VALU_DEP_1) | instskip(NEXT) | instid1(VALU_DEP_1)
	v_or3_b32 v9, v9, v13, v12
	v_cvt_f64_f32_e32 v[12:13], v9
.LBB143_2534:
	s_or_b32 exec_lo, exec_lo, s19
	s_mov_b32 s11, 0
	s_branch .LBB143_2557
.LBB143_2535:
	s_mov_b32 s10, -1
                                        ; implicit-def: $vgpr14_vgpr15
	s_branch .LBB143_2576
.LBB143_2536:
	s_mov_b32 s10, -1
                                        ; implicit-def: $vgpr14_vgpr15
	s_branch .LBB143_2551
.LBB143_2537:
	s_mov_b32 s11, -1
                                        ; implicit-def: $vgpr12_vgpr13
	s_branch .LBB143_2563
.LBB143_2538:
	s_mov_b32 s10, -1
                                        ; implicit-def: $vgpr14_vgpr15
	s_branch .LBB143_2548
.LBB143_2539:
	s_mov_b32 s11, -1
                                        ; implicit-def: $vgpr12_vgpr13
	s_branch .LBB143_2560
.LBB143_2540:
	s_mov_b32 s19, -1
	s_mov_b32 s21, exec_lo
	v_cmpx_eq_u16_e32 0x80, v9
; %bb.2541:
	s_xor_b32 s19, exec_lo, -1
; %bb.2542:
	s_or_b32 exec_lo, exec_lo, s21
	s_delay_alu instid0(SALU_CYCLE_1)
	s_and_b32 s19, s19, exec_lo
	s_or_saveexec_b32 s20, s20
	v_mov_b64_e32 v[12:13], 0x7ff8000020000000
	s_xor_b32 exec_lo, exec_lo, s20
	s_cbranch_execz .LBB143_2512
.LBB143_2543:
	v_cmp_ne_u16_e32 vcc_lo, 0, v9
	v_mov_b64_e32 v[12:13], 0
	s_and_not1_b32 s19, s19, exec_lo
	s_and_b32 s21, vcc_lo, exec_lo
	s_delay_alu instid0(SALU_CYCLE_1)
	s_or_b32 s19, s19, s21
	s_or_b32 exec_lo, exec_lo, s20
	s_and_saveexec_b32 s20, s19
	s_cbranch_execnz .LBB143_2513
	s_branch .LBB143_2514
.LBB143_2544:
	s_mov_b32 s10, -1
                                        ; implicit-def: $vgpr14_vgpr15
.LBB143_2545:
	s_delay_alu instid0(SALU_CYCLE_1)
	s_and_not1_b32 vcc_lo, exec_lo, s10
	s_cbranch_vccnz .LBB143_2547
; %bb.2546:
	s_wait_loadcnt 0x0
	global_load_b64 v[14:15], v[10:11], off
	s_wait_loadcnt 0x0
	v_cvt_f64_f32_e32 v[12:13], v14
	v_cvt_f64_f32_e32 v[14:15], v15
.LBB143_2547:
	s_mov_b32 s10, 0
.LBB143_2548:
	s_delay_alu instid0(SALU_CYCLE_1)
	s_and_not1_b32 vcc_lo, exec_lo, s10
	s_cbranch_vccnz .LBB143_2550
; %bb.2549:
	global_load_b32 v9, v[10:11], off
	s_wait_loadcnt 0x0
	v_lshrrev_b32_e32 v12, 16, v9
	v_cvt_f32_f16_e32 v9, v9
	s_delay_alu instid0(VALU_DEP_2) | instskip(NEXT) | instid1(VALU_DEP_2)
	v_cvt_f32_f16_e32 v14, v12
	v_cvt_f64_f32_e32 v[12:13], v9
	s_delay_alu instid0(VALU_DEP_2)
	v_cvt_f64_f32_e32 v[14:15], v14
.LBB143_2550:
	s_mov_b32 s10, 0
.LBB143_2551:
	s_delay_alu instid0(SALU_CYCLE_1)
	s_and_not1_b32 vcc_lo, exec_lo, s10
	s_cbranch_vccnz .LBB143_2575
; %bb.2552:
	s_cmp_lt_i32 s9, 6
	s_cbranch_scc1 .LBB143_2555
; %bb.2553:
	s_cmp_gt_i32 s9, 6
	s_cbranch_scc0 .LBB143_2568
; %bb.2554:
	s_wait_loadcnt 0x0
	global_load_b64 v[12:13], v[10:11], off
	s_mov_b32 s10, 0
	s_branch .LBB143_2569
.LBB143_2555:
	s_mov_b32 s10, -1
                                        ; implicit-def: $vgpr12_vgpr13
	s_branch .LBB143_2572
.LBB143_2556:
	s_mov_b32 s11, -1
                                        ; implicit-def: $vgpr12_vgpr13
.LBB143_2557:
	s_delay_alu instid0(SALU_CYCLE_1)
	s_and_b32 vcc_lo, exec_lo, s11
	s_cbranch_vccz .LBB143_2559
; %bb.2558:
	global_load_u8 v9, v[10:11], off
	s_wait_loadcnt 0x0
	v_lshlrev_b32_e32 v9, 24, v9
	s_delay_alu instid0(VALU_DEP_1) | instskip(NEXT) | instid1(VALU_DEP_1)
	v_and_b32_e32 v12, 0x7f000000, v9
	v_clz_i32_u32_e32 v13, v12
	v_cmp_ne_u32_e32 vcc_lo, 0, v12
	v_add_nc_u32_e32 v15, 0x1000000, v12
	s_delay_alu instid0(VALU_DEP_3) | instskip(NEXT) | instid1(VALU_DEP_1)
	v_min_u32_e32 v13, 32, v13
	v_sub_nc_u32_e64 v13, v13, 4 clamp
	s_delay_alu instid0(VALU_DEP_1) | instskip(NEXT) | instid1(VALU_DEP_1)
	v_dual_lshlrev_b32 v14, v13, v12 :: v_dual_lshlrev_b32 v13, 23, v13
	v_lshrrev_b32_e32 v14, 4, v14
	s_delay_alu instid0(VALU_DEP_1) | instskip(NEXT) | instid1(VALU_DEP_1)
	v_dual_sub_nc_u32 v13, v14, v13 :: v_dual_ashrrev_i32 v14, 8, v15
	v_add_nc_u32_e32 v13, 0x3c000000, v13
	s_delay_alu instid0(VALU_DEP_1) | instskip(NEXT) | instid1(VALU_DEP_1)
	v_and_or_b32 v13, 0x7f800000, v14, v13
	v_cndmask_b32_e32 v12, 0, v13, vcc_lo
	s_delay_alu instid0(VALU_DEP_1) | instskip(NEXT) | instid1(VALU_DEP_1)
	v_and_or_b32 v9, 0x80000000, v9, v12
	v_cvt_f64_f32_e32 v[12:13], v9
.LBB143_2559:
	s_mov_b32 s11, 0
.LBB143_2560:
	s_delay_alu instid0(SALU_CYCLE_1)
	s_and_not1_b32 vcc_lo, exec_lo, s11
	s_cbranch_vccnz .LBB143_2562
; %bb.2561:
	global_load_u8 v9, v[10:11], off
	s_wait_loadcnt 0x0
	v_lshlrev_b32_e32 v12, 25, v9
	v_lshlrev_b16 v9, 8, v9
	s_delay_alu instid0(VALU_DEP_1) | instskip(SKIP_1) | instid1(VALU_DEP_2)
	v_and_or_b32 v14, 0x7f00, v9, 0.5
	v_bfe_i32 v9, v9, 0, 16
	v_dual_add_f32 v14, -0.5, v14 :: v_dual_lshrrev_b32 v13, 4, v12
	v_cmp_gt_u32_e32 vcc_lo, 0x8000000, v12
	s_delay_alu instid0(VALU_DEP_2) | instskip(NEXT) | instid1(VALU_DEP_1)
	v_or_b32_e32 v13, 0x70000000, v13
	v_mul_f32_e32 v13, 0x7800000, v13
	s_delay_alu instid0(VALU_DEP_1) | instskip(NEXT) | instid1(VALU_DEP_1)
	v_cndmask_b32_e32 v12, v13, v14, vcc_lo
	v_and_or_b32 v9, 0x80000000, v9, v12
	s_delay_alu instid0(VALU_DEP_1)
	v_cvt_f64_f32_e32 v[12:13], v9
.LBB143_2562:
	s_mov_b32 s11, 0
	s_mov_b32 s19, -1
.LBB143_2563:
	s_and_not1_b32 vcc_lo, exec_lo, s11
	s_mov_b32 s11, 0
	s_cbranch_vccnz .LBB143_2587
; %bb.2564:
	s_cmp_gt_i32 s9, 14
	s_cbranch_scc0 .LBB143_2567
; %bb.2565:
	s_cmp_eq_u32 s9, 15
	s_cbranch_scc0 .LBB143_2583
; %bb.2566:
	global_load_u16 v9, v[10:11], off
	s_mov_b32 s10, 0
	s_mov_b32 s19, -1
	s_wait_loadcnt 0x0
	v_lshlrev_b32_e32 v9, 16, v9
	s_delay_alu instid0(VALU_DEP_1)
	v_cvt_f64_f32_e32 v[12:13], v9
	s_branch .LBB143_2585
.LBB143_2567:
	s_mov_b32 s11, -1
	s_branch .LBB143_2584
.LBB143_2568:
	s_mov_b32 s10, -1
                                        ; implicit-def: $vgpr12_vgpr13
.LBB143_2569:
	s_delay_alu instid0(SALU_CYCLE_1)
	s_and_not1_b32 vcc_lo, exec_lo, s10
	s_cbranch_vccnz .LBB143_2571
; %bb.2570:
	global_load_b32 v9, v[10:11], off
	s_wait_loadcnt 0x0
	v_cvt_f64_f32_e32 v[12:13], v9
.LBB143_2571:
	s_mov_b32 s10, 0
.LBB143_2572:
	s_delay_alu instid0(SALU_CYCLE_1)
	s_and_not1_b32 vcc_lo, exec_lo, s10
	s_cbranch_vccnz .LBB143_2574
; %bb.2573:
	global_load_u16 v9, v[10:11], off
	s_wait_loadcnt 0x0
	v_cvt_f32_f16_e32 v9, v9
	s_delay_alu instid0(VALU_DEP_1)
	v_cvt_f64_f32_e32 v[12:13], v9
.LBB143_2574:
	s_wait_loadcnt 0x0
	v_mov_b64_e32 v[14:15], 0
.LBB143_2575:
	s_mov_b32 s10, 0
.LBB143_2576:
	s_delay_alu instid0(SALU_CYCLE_1)
	s_and_not1_b32 vcc_lo, exec_lo, s10
	s_cbranch_vccnz .LBB143_2603
; %bb.2577:
	s_cmp_lt_i32 s9, 2
	s_cbranch_scc1 .LBB143_2581
; %bb.2578:
	s_cmp_lt_i32 s9, 3
	s_cbranch_scc1 .LBB143_2582
; %bb.2579:
	s_cmp_gt_i32 s9, 3
	s_cbranch_scc0 .LBB143_2589
; %bb.2580:
	s_wait_loadcnt 0x0
	global_load_b64 v[12:13], v[10:11], off
	s_mov_b32 s10, 0
	s_wait_loadcnt 0x0
	v_cvt_f64_i32_e32 v[14:15], v13
	v_cvt_f64_u32_e32 v[12:13], v12
	s_delay_alu instid0(VALU_DEP_2) | instskip(NEXT) | instid1(VALU_DEP_1)
	v_ldexp_f64 v[14:15], v[14:15], 32
	v_add_f64_e32 v[12:13], v[14:15], v[12:13]
	s_branch .LBB143_2590
.LBB143_2581:
	s_mov_b32 s10, -1
                                        ; implicit-def: $vgpr12_vgpr13
	s_branch .LBB143_2596
.LBB143_2582:
	s_mov_b32 s10, -1
                                        ; implicit-def: $vgpr12_vgpr13
	s_branch .LBB143_2593
.LBB143_2583:
	s_mov_b32 s10, -1
.LBB143_2584:
                                        ; implicit-def: $vgpr12_vgpr13
.LBB143_2585:
	s_and_b32 vcc_lo, exec_lo, s11
	s_mov_b32 s11, 0
	s_cbranch_vccz .LBB143_2587
; %bb.2586:
	s_cmp_lg_u32 s9, 11
	s_mov_b32 s11, -1
	s_cselect_b32 s10, -1, 0
.LBB143_2587:
	v_mov_b64_e32 v[14:15], 0
	s_and_b32 vcc_lo, exec_lo, s10
	s_cbranch_vccz .LBB143_2519
.LBB143_2588:
	s_or_b32 s18, s18, exec_lo
	s_trap 2
	s_cbranch_execz .LBB143_2520
	s_branch .LBB143_2521
.LBB143_2589:
	s_mov_b32 s10, -1
                                        ; implicit-def: $vgpr12_vgpr13
.LBB143_2590:
	s_delay_alu instid0(SALU_CYCLE_1)
	s_and_not1_b32 vcc_lo, exec_lo, s10
	s_cbranch_vccnz .LBB143_2592
; %bb.2591:
	global_load_b32 v9, v[10:11], off
	s_wait_loadcnt 0x0
	v_cvt_f64_i32_e32 v[12:13], v9
.LBB143_2592:
	s_mov_b32 s10, 0
.LBB143_2593:
	s_delay_alu instid0(SALU_CYCLE_1)
	s_and_not1_b32 vcc_lo, exec_lo, s10
	s_cbranch_vccnz .LBB143_2595
; %bb.2594:
	global_load_i16 v9, v[10:11], off
	s_wait_loadcnt 0x0
	v_cvt_f64_i32_e32 v[12:13], v9
.LBB143_2595:
	s_mov_b32 s10, 0
.LBB143_2596:
	s_delay_alu instid0(SALU_CYCLE_1)
	s_and_not1_b32 vcc_lo, exec_lo, s10
	s_cbranch_vccnz .LBB143_2602
; %bb.2597:
	s_cmp_gt_i32 s9, 0
	s_mov_b32 s9, 0
	s_cbranch_scc0 .LBB143_2599
; %bb.2598:
	global_load_i8 v9, v[10:11], off
	s_wait_loadcnt 0x0
	v_cvt_f64_i32_e32 v[12:13], v9
	s_branch .LBB143_2600
.LBB143_2599:
	s_mov_b32 s9, -1
                                        ; implicit-def: $vgpr12_vgpr13
.LBB143_2600:
	s_delay_alu instid0(SALU_CYCLE_1)
	s_and_not1_b32 vcc_lo, exec_lo, s9
	s_cbranch_vccnz .LBB143_2602
; %bb.2601:
	global_load_u8 v9, v[10:11], off
	s_wait_loadcnt 0x0
	v_cvt_f64_u32_e32 v[12:13], v9
.LBB143_2602:
	s_wait_loadcnt 0x0
	v_mov_b64_e32 v[14:15], 0
.LBB143_2603:
.LBB143_2604:
	v_mov_b32_e32 v9, 0
	s_and_b32 s6, 0xffff, s6
	s_delay_alu instid0(SALU_CYCLE_1) | instskip(NEXT) | instid1(VALU_DEP_1)
	s_cmp_lt_i32 s6, 11
	v_add_nc_u64_e32 v[18:19], s[14:15], v[8:9]
	s_cbranch_scc1 .LBB143_2611
; %bb.2605:
	s_cmp_gt_i32 s6, 25
	s_mov_b32 s10, 0
	s_cbranch_scc0 .LBB143_2612
; %bb.2606:
	s_cmp_gt_i32 s6, 28
	s_cbranch_scc0 .LBB143_2613
; %bb.2607:
	s_cmp_gt_i32 s6, 43
	;; [unrolled: 3-line block ×3, first 2 shown]
	s_cbranch_scc0 .LBB143_2619
; %bb.2609:
	s_cmp_eq_u32 s6, 46
	s_mov_b32 s19, 0
	s_cbranch_scc0 .LBB143_2620
; %bb.2610:
	global_load_b32 v8, v[18:19], off
	s_mov_b32 s9, 0
	s_mov_b32 s11, -1
	s_wait_loadcnt 0x0
	v_lshlrev_b32_e32 v9, 16, v8
	s_wait_xcnt 0x1
	v_and_b32_e32 v10, 0xffff0000, v8
	s_delay_alu instid0(VALU_DEP_2) | instskip(NEXT) | instid1(VALU_DEP_2)
	v_cvt_f64_f32_e32 v[8:9], v9
	v_cvt_f64_f32_e32 v[10:11], v10
	s_branch .LBB143_2622
.LBB143_2611:
	s_mov_b32 s9, -1
	s_mov_b32 s11, 0
                                        ; implicit-def: $vgpr10_vgpr11
	s_branch .LBB143_2656
.LBB143_2612:
	s_mov_b32 s19, -1
	s_mov_b32 s11, 0
	s_mov_b32 s9, 0
                                        ; implicit-def: $vgpr10_vgpr11
	s_branch .LBB143_2651
.LBB143_2613:
	s_mov_b32 s19, -1
	s_mov_b32 s11, 0
	s_mov_b32 s9, 0
                                        ; implicit-def: $vgpr10_vgpr11
	s_branch .LBB143_2634
.LBB143_2614:
	s_mov_b32 s19, -1
	s_mov_b32 s11, 0
	s_mov_b32 s9, 0
                                        ; implicit-def: $vgpr10_vgpr11
	s_branch .LBB143_2628
.LBB143_2615:
	s_mov_b32 s11, -1
	s_mov_b32 s20, exec_lo
	v_cmpx_eq_u16_e32 0x80, v9
; %bb.2616:
	s_xor_b32 s11, exec_lo, -1
; %bb.2617:
	s_or_b32 exec_lo, exec_lo, s20
	s_delay_alu instid0(SALU_CYCLE_1)
	s_and_b32 s11, s11, exec_lo
	s_or_saveexec_b32 s19, s19
	v_mov_b64_e32 v[12:13], 0x7ff8000020000000
	s_xor_b32 exec_lo, exec_lo, s19
	s_cbranch_execz .LBB143_2532
.LBB143_2618:
	v_cmp_ne_u16_e32 vcc_lo, 0, v9
	v_mov_b64_e32 v[12:13], 0
	s_and_not1_b32 s11, s11, exec_lo
	s_and_b32 s20, vcc_lo, exec_lo
	s_delay_alu instid0(SALU_CYCLE_1)
	s_or_b32 s11, s11, s20
	s_or_b32 exec_lo, exec_lo, s19
	s_and_saveexec_b32 s19, s11
	s_cbranch_execnz .LBB143_2533
	s_branch .LBB143_2534
.LBB143_2619:
	s_mov_b32 s19, -1
	s_mov_b32 s11, 0
	s_mov_b32 s9, 0
	s_branch .LBB143_2621
.LBB143_2620:
	s_mov_b32 s9, -1
	s_mov_b32 s11, 0
.LBB143_2621:
                                        ; implicit-def: $vgpr10_vgpr11
.LBB143_2622:
	s_and_b32 vcc_lo, exec_lo, s19
	s_cbranch_vccz .LBB143_2627
; %bb.2623:
	s_cmp_eq_u32 s6, 44
	s_cbranch_scc0 .LBB143_2625
; %bb.2624:
	global_load_u8 v10, v[18:19], off
	s_mov_b32 s9, 0
	s_mov_b32 s11, -1
	s_wait_loadcnt 0x0
	v_cmp_ne_u32_e32 vcc_lo, 0xff, v10
	v_lshlrev_b32_e32 v8, 23, v10
	s_delay_alu instid0(VALU_DEP_1) | instskip(NEXT) | instid1(VALU_DEP_1)
	v_cvt_f64_f32_e32 v[8:9], v8
	v_cndmask_b32_e32 v8, 0x20000000, v8, vcc_lo
	s_delay_alu instid0(VALU_DEP_2) | instskip(SKIP_1) | instid1(VALU_DEP_2)
	v_cndmask_b32_e32 v9, 0x7ff80000, v9, vcc_lo
	v_cmp_ne_u32_e32 vcc_lo, 0, v10
	v_cndmask_b32_e32 v9, 0x38000000, v9, vcc_lo
	s_delay_alu instid0(VALU_DEP_4)
	v_cndmask_b32_e32 v8, 0, v8, vcc_lo
	s_branch .LBB143_2626
.LBB143_2625:
	s_mov_b32 s9, -1
                                        ; implicit-def: $vgpr8_vgpr9
.LBB143_2626:
	s_wait_xcnt 0x0
	v_mov_b64_e32 v[10:11], 0
.LBB143_2627:
	s_mov_b32 s19, 0
.LBB143_2628:
	s_delay_alu instid0(SALU_CYCLE_1)
	s_and_b32 vcc_lo, exec_lo, s19
	s_cbranch_vccz .LBB143_2633
; %bb.2629:
	s_cmp_eq_u32 s6, 29
	s_cbranch_scc0 .LBB143_2631
; %bb.2630:
	global_load_b64 v[8:9], v[18:19], off
	s_mov_b32 s9, 0
	s_mov_b32 s11, -1
	s_wait_loadcnt 0x0
	s_wait_xcnt 0x1
	v_cvt_f64_u32_e32 v[10:11], v9
	v_cvt_f64_u32_e32 v[8:9], v8
	s_delay_alu instid0(VALU_DEP_2) | instskip(NEXT) | instid1(VALU_DEP_1)
	v_ldexp_f64 v[10:11], v[10:11], 32
	v_add_f64_e32 v[8:9], v[10:11], v[8:9]
	s_branch .LBB143_2632
.LBB143_2631:
	s_mov_b32 s9, -1
                                        ; implicit-def: $vgpr8_vgpr9
.LBB143_2632:
	s_wait_xcnt 0x0
	v_mov_b64_e32 v[10:11], 0
.LBB143_2633:
	s_mov_b32 s19, 0
.LBB143_2634:
	s_delay_alu instid0(SALU_CYCLE_1)
	s_and_b32 vcc_lo, exec_lo, s19
	s_cbranch_vccz .LBB143_2650
; %bb.2635:
	s_cmp_lt_i32 s6, 27
	s_cbranch_scc1 .LBB143_2638
; %bb.2636:
	s_cmp_gt_i32 s6, 27
	s_cbranch_scc0 .LBB143_2639
; %bb.2637:
	global_load_b32 v8, v[18:19], off
	s_mov_b32 s11, 0
	s_wait_loadcnt 0x0
	v_cvt_f64_u32_e32 v[8:9], v8
	s_branch .LBB143_2640
.LBB143_2638:
	s_mov_b32 s11, -1
                                        ; implicit-def: $vgpr8_vgpr9
	s_branch .LBB143_2643
.LBB143_2639:
	s_mov_b32 s11, -1
                                        ; implicit-def: $vgpr8_vgpr9
.LBB143_2640:
	s_delay_alu instid0(SALU_CYCLE_1)
	s_and_not1_b32 vcc_lo, exec_lo, s11
	s_cbranch_vccnz .LBB143_2642
; %bb.2641:
	global_load_u16 v8, v[18:19], off
	s_wait_loadcnt 0x0
	v_cvt_f64_u32_e32 v[8:9], v8
.LBB143_2642:
	s_mov_b32 s11, 0
.LBB143_2643:
	s_delay_alu instid0(SALU_CYCLE_1)
	s_and_not1_b32 vcc_lo, exec_lo, s11
	s_cbranch_vccnz .LBB143_2649
; %bb.2644:
	global_load_u8 v10, v[18:19], off
	s_mov_b32 s11, 0
	s_mov_b32 s19, exec_lo
	s_wait_loadcnt 0x0
	v_cmpx_lt_i16_e32 0x7f, v10
	s_xor_b32 s19, exec_lo, s19
	s_cbranch_execnz .LBB143_2675
; %bb.2645:
	s_or_saveexec_b32 s19, s19
	v_mov_b64_e32 v[8:9], 0x7ff8000020000000
	s_xor_b32 exec_lo, exec_lo, s19
	s_cbranch_execnz .LBB143_2678
.LBB143_2646:
	s_or_b32 exec_lo, exec_lo, s19
	s_and_saveexec_b32 s19, s11
	s_cbranch_execz .LBB143_2648
.LBB143_2647:
	v_and_b32_e32 v8, 0xffff, v10
	s_delay_alu instid0(VALU_DEP_1) | instskip(SKIP_1) | instid1(VALU_DEP_2)
	v_and_b32_e32 v9, 7, v8
	v_bfe_u32 v21, v8, 3, 4
	v_clz_i32_u32_e32 v11, v9
	s_delay_alu instid0(VALU_DEP_2) | instskip(NEXT) | instid1(VALU_DEP_2)
	v_cmp_eq_u32_e32 vcc_lo, 0, v21
	v_min_u32_e32 v11, 32, v11
	s_delay_alu instid0(VALU_DEP_1) | instskip(NEXT) | instid1(VALU_DEP_1)
	v_subrev_nc_u32_e32 v17, 28, v11
	v_dual_lshlrev_b32 v8, v17, v8 :: v_dual_sub_nc_u32 v11, 29, v11
	s_delay_alu instid0(VALU_DEP_1) | instskip(NEXT) | instid1(VALU_DEP_2)
	v_dual_lshlrev_b32 v10, 24, v10 :: v_dual_bitop2_b32 v8, 7, v8 bitop3:0x40
	v_cndmask_b32_e32 v11, v21, v11, vcc_lo
	s_delay_alu instid0(VALU_DEP_2) | instskip(NEXT) | instid1(VALU_DEP_3)
	v_cndmask_b32_e32 v8, v9, v8, vcc_lo
	v_and_b32_e32 v9, 0x80000000, v10
	s_delay_alu instid0(VALU_DEP_3) | instskip(NEXT) | instid1(VALU_DEP_3)
	v_lshl_add_u32 v10, v11, 23, 0x3b800000
	v_lshlrev_b32_e32 v8, 20, v8
	s_delay_alu instid0(VALU_DEP_1) | instskip(NEXT) | instid1(VALU_DEP_1)
	v_or3_b32 v8, v9, v10, v8
	v_cvt_f64_f32_e32 v[8:9], v8
.LBB143_2648:
	s_or_b32 exec_lo, exec_lo, s19
.LBB143_2649:
	s_wait_xcnt 0x0
	v_mov_b64_e32 v[10:11], 0
	s_mov_b32 s11, -1
.LBB143_2650:
	s_mov_b32 s19, 0
.LBB143_2651:
	s_delay_alu instid0(SALU_CYCLE_1)
	s_and_b32 vcc_lo, exec_lo, s19
	s_cbranch_vccnz .LBB143_2662
; %bb.2652:
	s_and_b32 vcc_lo, exec_lo, s9
	s_cbranch_vccnz .LBB143_2723
.LBB143_2653:
	s_and_not1_b32 vcc_lo, exec_lo, s10
	s_cbranch_vccnz .LBB143_2655
.LBB143_2654:
	global_load_u8 v8, v[18:19], off
	s_wait_xcnt 0x1
	v_mov_b64_e32 v[10:11], 0
	s_mov_b32 s11, -1
	s_wait_loadcnt 0x0
	v_cmp_ne_u16_e32 vcc_lo, 0, v8
	v_mov_b32_e32 v8, 0
	v_cndmask_b32_e64 v9, 0, 0x3ff00000, vcc_lo
.LBB143_2655:
	s_mov_b32 s9, 0
.LBB143_2656:
	s_delay_alu instid0(SALU_CYCLE_1)
	s_and_b32 vcc_lo, exec_lo, s9
	s_cbranch_vccz .LBB143_2739
; %bb.2657:
	s_cmp_lt_i32 s6, 5
	s_cbranch_scc1 .LBB143_2670
; %bb.2658:
	s_cmp_lt_i32 s6, 8
	s_cbranch_scc1 .LBB143_2671
	;; [unrolled: 3-line block ×3, first 2 shown]
; %bb.2660:
	s_cmp_gt_i32 s6, 9
	s_cbranch_scc0 .LBB143_2679
; %bb.2661:
	global_load_b128 v[8:11], v[18:19], off
	s_mov_b32 s9, 0
	s_branch .LBB143_2680
.LBB143_2662:
	s_cmp_gt_i32 s6, 22
	s_cbranch_scc0 .LBB143_2672
; %bb.2663:
	s_cmp_lt_i32 s6, 24
	s_cbranch_scc1 .LBB143_2674
; %bb.2664:
	s_cmp_gt_i32 s6, 24
	s_cbranch_scc0 .LBB143_2691
; %bb.2665:
	global_load_u8 v10, v[18:19], off
	s_mov_b32 s11, exec_lo
	s_wait_loadcnt 0x0
	v_cmpx_lt_i16_e32 0x7f, v10
	s_xor_b32 s11, exec_lo, s11
	s_cbranch_execnz .LBB143_2751
; %bb.2666:
	s_or_saveexec_b32 s11, s11
	v_mov_b64_e32 v[8:9], 0x7ff8000020000000
	s_xor_b32 exec_lo, exec_lo, s11
	s_cbranch_execnz .LBB143_2754
.LBB143_2667:
	s_or_b32 exec_lo, exec_lo, s11
	s_and_saveexec_b32 s11, s10
	s_cbranch_execz .LBB143_2669
.LBB143_2668:
	v_and_b32_e32 v8, 0xffff, v10
	s_delay_alu instid0(VALU_DEP_1) | instskip(SKIP_1) | instid1(VALU_DEP_2)
	v_and_b32_e32 v9, 3, v8
	v_bfe_u32 v21, v8, 2, 5
	v_clz_i32_u32_e32 v11, v9
	s_delay_alu instid0(VALU_DEP_2) | instskip(NEXT) | instid1(VALU_DEP_2)
	v_cmp_eq_u32_e32 vcc_lo, 0, v21
	v_min_u32_e32 v11, 32, v11
	s_delay_alu instid0(VALU_DEP_1) | instskip(NEXT) | instid1(VALU_DEP_1)
	v_subrev_nc_u32_e32 v17, 29, v11
	v_dual_lshlrev_b32 v8, v17, v8 :: v_dual_sub_nc_u32 v11, 30, v11
	s_delay_alu instid0(VALU_DEP_1) | instskip(NEXT) | instid1(VALU_DEP_2)
	v_dual_lshlrev_b32 v10, 24, v10 :: v_dual_bitop2_b32 v8, 3, v8 bitop3:0x40
	v_cndmask_b32_e32 v11, v21, v11, vcc_lo
	s_delay_alu instid0(VALU_DEP_2) | instskip(NEXT) | instid1(VALU_DEP_3)
	v_cndmask_b32_e32 v8, v9, v8, vcc_lo
	v_and_b32_e32 v9, 0x80000000, v10
	s_delay_alu instid0(VALU_DEP_3) | instskip(NEXT) | instid1(VALU_DEP_3)
	v_lshl_add_u32 v10, v11, 23, 0x37800000
	v_lshlrev_b32_e32 v8, 21, v8
	s_delay_alu instid0(VALU_DEP_1) | instskip(NEXT) | instid1(VALU_DEP_1)
	v_or3_b32 v8, v9, v10, v8
	v_cvt_f64_f32_e32 v[8:9], v8
.LBB143_2669:
	s_or_b32 exec_lo, exec_lo, s11
	s_mov_b32 s10, 0
	s_branch .LBB143_2692
.LBB143_2670:
	s_mov_b32 s9, -1
                                        ; implicit-def: $vgpr10_vgpr11
	s_branch .LBB143_2711
.LBB143_2671:
	s_mov_b32 s9, -1
                                        ; implicit-def: $vgpr10_vgpr11
	s_branch .LBB143_2686
.LBB143_2672:
	s_mov_b32 s10, -1
                                        ; implicit-def: $vgpr8_vgpr9
	s_branch .LBB143_2698
.LBB143_2673:
	s_mov_b32 s9, -1
                                        ; implicit-def: $vgpr10_vgpr11
	s_branch .LBB143_2683
.LBB143_2674:
	s_mov_b32 s10, -1
                                        ; implicit-def: $vgpr8_vgpr9
	s_branch .LBB143_2695
.LBB143_2675:
	s_mov_b32 s11, -1
	s_mov_b32 s20, exec_lo
	v_cmpx_eq_u16_e32 0x80, v10
; %bb.2676:
	s_xor_b32 s11, exec_lo, -1
; %bb.2677:
	s_or_b32 exec_lo, exec_lo, s20
	s_delay_alu instid0(SALU_CYCLE_1)
	s_and_b32 s11, s11, exec_lo
	s_or_saveexec_b32 s19, s19
	v_mov_b64_e32 v[8:9], 0x7ff8000020000000
	s_xor_b32 exec_lo, exec_lo, s19
	s_cbranch_execz .LBB143_2646
.LBB143_2678:
	v_cmp_ne_u16_e32 vcc_lo, 0, v10
	v_mov_b64_e32 v[8:9], 0
	s_and_not1_b32 s11, s11, exec_lo
	s_and_b32 s20, vcc_lo, exec_lo
	s_delay_alu instid0(SALU_CYCLE_1)
	s_or_b32 s11, s11, s20
	s_or_b32 exec_lo, exec_lo, s19
	s_and_saveexec_b32 s19, s11
	s_cbranch_execnz .LBB143_2647
	s_branch .LBB143_2648
.LBB143_2679:
	s_mov_b32 s9, -1
                                        ; implicit-def: $vgpr10_vgpr11
.LBB143_2680:
	s_delay_alu instid0(SALU_CYCLE_1)
	s_and_not1_b32 vcc_lo, exec_lo, s9
	s_cbranch_vccnz .LBB143_2682
; %bb.2681:
	s_wait_loadcnt 0x0
	global_load_b64 v[10:11], v[18:19], off
	s_wait_loadcnt 0x0
	v_cvt_f64_f32_e32 v[8:9], v10
	v_cvt_f64_f32_e32 v[10:11], v11
.LBB143_2682:
	s_mov_b32 s9, 0
.LBB143_2683:
	s_delay_alu instid0(SALU_CYCLE_1)
	s_and_not1_b32 vcc_lo, exec_lo, s9
	s_cbranch_vccnz .LBB143_2685
; %bb.2684:
	s_wait_loadcnt 0x0
	global_load_b32 v8, v[18:19], off
	s_wait_loadcnt 0x0
	v_lshrrev_b32_e32 v9, 16, v8
	v_cvt_f32_f16_e32 v8, v8
	s_wait_xcnt 0x1
	s_delay_alu instid0(VALU_DEP_2) | instskip(NEXT) | instid1(VALU_DEP_2)
	v_cvt_f32_f16_e32 v10, v9
	v_cvt_f64_f32_e32 v[8:9], v8
	s_delay_alu instid0(VALU_DEP_2)
	v_cvt_f64_f32_e32 v[10:11], v10
.LBB143_2685:
	s_mov_b32 s9, 0
.LBB143_2686:
	s_delay_alu instid0(SALU_CYCLE_1)
	s_and_not1_b32 vcc_lo, exec_lo, s9
	s_cbranch_vccnz .LBB143_2710
; %bb.2687:
	s_cmp_lt_i32 s6, 6
	s_cbranch_scc1 .LBB143_2690
; %bb.2688:
	s_cmp_gt_i32 s6, 6
	s_cbranch_scc0 .LBB143_2703
; %bb.2689:
	s_wait_loadcnt 0x0
	global_load_b64 v[8:9], v[18:19], off
	s_mov_b32 s9, 0
	s_branch .LBB143_2704
.LBB143_2690:
	s_mov_b32 s9, -1
                                        ; implicit-def: $vgpr8_vgpr9
	s_branch .LBB143_2707
.LBB143_2691:
	s_mov_b32 s10, -1
                                        ; implicit-def: $vgpr8_vgpr9
.LBB143_2692:
	s_delay_alu instid0(SALU_CYCLE_1)
	s_and_b32 vcc_lo, exec_lo, s10
	s_cbranch_vccz .LBB143_2694
; %bb.2693:
	global_load_u8 v8, v[18:19], off
	s_wait_loadcnt 0x0
	v_lshlrev_b32_e32 v8, 24, v8
	s_delay_alu instid0(VALU_DEP_1) | instskip(SKIP_1) | instid1(VALU_DEP_1)
	v_and_b32_e32 v9, 0x7f000000, v8
	s_wait_xcnt 0x1
	v_clz_i32_u32_e32 v10, v9
	v_add_nc_u32_e32 v17, 0x1000000, v9
	v_cmp_ne_u32_e32 vcc_lo, 0, v9
	s_delay_alu instid0(VALU_DEP_3) | instskip(NEXT) | instid1(VALU_DEP_1)
	v_min_u32_e32 v10, 32, v10
	v_sub_nc_u32_e64 v10, v10, 4 clamp
	s_delay_alu instid0(VALU_DEP_1) | instskip(NEXT) | instid1(VALU_DEP_1)
	v_dual_lshlrev_b32 v11, v10, v9 :: v_dual_lshlrev_b32 v10, 23, v10
	v_lshrrev_b32_e32 v11, 4, v11
	s_delay_alu instid0(VALU_DEP_1) | instskip(NEXT) | instid1(VALU_DEP_1)
	v_dual_sub_nc_u32 v10, v11, v10 :: v_dual_ashrrev_i32 v11, 8, v17
	v_add_nc_u32_e32 v10, 0x3c000000, v10
	s_delay_alu instid0(VALU_DEP_1) | instskip(NEXT) | instid1(VALU_DEP_1)
	v_and_or_b32 v10, 0x7f800000, v11, v10
	v_cndmask_b32_e32 v9, 0, v10, vcc_lo
	s_delay_alu instid0(VALU_DEP_1) | instskip(NEXT) | instid1(VALU_DEP_1)
	v_and_or_b32 v8, 0x80000000, v8, v9
	v_cvt_f64_f32_e32 v[8:9], v8
.LBB143_2694:
	s_mov_b32 s10, 0
.LBB143_2695:
	s_delay_alu instid0(SALU_CYCLE_1)
	s_and_not1_b32 vcc_lo, exec_lo, s10
	s_cbranch_vccnz .LBB143_2697
; %bb.2696:
	global_load_u8 v8, v[18:19], off
	s_wait_loadcnt 0x0
	v_lshlrev_b32_e32 v9, 25, v8
	v_lshlrev_b16 v8, 8, v8
	s_wait_xcnt 0x1
	s_delay_alu instid0(VALU_DEP_1) | instskip(SKIP_1) | instid1(VALU_DEP_2)
	v_and_or_b32 v11, 0x7f00, v8, 0.5
	v_bfe_i32 v8, v8, 0, 16
	v_dual_add_f32 v11, -0.5, v11 :: v_dual_lshrrev_b32 v10, 4, v9
	v_cmp_gt_u32_e32 vcc_lo, 0x8000000, v9
	s_delay_alu instid0(VALU_DEP_2) | instskip(NEXT) | instid1(VALU_DEP_1)
	v_or_b32_e32 v10, 0x70000000, v10
	v_mul_f32_e32 v10, 0x7800000, v10
	s_delay_alu instid0(VALU_DEP_1) | instskip(NEXT) | instid1(VALU_DEP_1)
	v_cndmask_b32_e32 v9, v10, v11, vcc_lo
	v_and_or_b32 v8, 0x80000000, v8, v9
	s_delay_alu instid0(VALU_DEP_1)
	v_cvt_f64_f32_e32 v[8:9], v8
.LBB143_2697:
	s_mov_b32 s10, 0
	s_mov_b32 s11, -1
.LBB143_2698:
	s_and_not1_b32 vcc_lo, exec_lo, s10
	s_mov_b32 s10, 0
	s_cbranch_vccnz .LBB143_2722
; %bb.2699:
	s_cmp_gt_i32 s6, 14
	s_cbranch_scc0 .LBB143_2702
; %bb.2700:
	s_cmp_eq_u32 s6, 15
	s_cbranch_scc0 .LBB143_2718
; %bb.2701:
	global_load_u16 v8, v[18:19], off
	s_mov_b32 s9, 0
	s_mov_b32 s11, -1
	s_wait_loadcnt 0x0
	v_lshlrev_b32_e32 v8, 16, v8
	s_delay_alu instid0(VALU_DEP_1)
	v_cvt_f64_f32_e32 v[8:9], v8
	s_branch .LBB143_2720
.LBB143_2702:
	s_mov_b32 s10, -1
	s_branch .LBB143_2719
.LBB143_2703:
	s_mov_b32 s9, -1
                                        ; implicit-def: $vgpr8_vgpr9
.LBB143_2704:
	s_delay_alu instid0(SALU_CYCLE_1)
	s_and_not1_b32 vcc_lo, exec_lo, s9
	s_cbranch_vccnz .LBB143_2706
; %bb.2705:
	s_wait_loadcnt 0x0
	global_load_b32 v8, v[18:19], off
	s_wait_loadcnt 0x0
	v_cvt_f64_f32_e32 v[8:9], v8
.LBB143_2706:
	s_mov_b32 s9, 0
.LBB143_2707:
	s_delay_alu instid0(SALU_CYCLE_1)
	s_and_not1_b32 vcc_lo, exec_lo, s9
	s_cbranch_vccnz .LBB143_2709
; %bb.2708:
	s_wait_loadcnt 0x0
	global_load_u16 v8, v[18:19], off
	s_wait_loadcnt 0x0
	v_cvt_f32_f16_e32 v8, v8
	s_delay_alu instid0(VALU_DEP_1)
	v_cvt_f64_f32_e32 v[8:9], v8
.LBB143_2709:
	s_wait_loadcnt 0x0
	v_mov_b64_e32 v[10:11], 0
.LBB143_2710:
	s_mov_b32 s9, 0
.LBB143_2711:
	s_delay_alu instid0(SALU_CYCLE_1)
	s_and_not1_b32 vcc_lo, exec_lo, s9
	s_cbranch_vccnz .LBB143_2738
; %bb.2712:
	s_cmp_lt_i32 s6, 2
	s_cbranch_scc1 .LBB143_2716
; %bb.2713:
	s_cmp_lt_i32 s6, 3
	s_cbranch_scc1 .LBB143_2717
; %bb.2714:
	s_cmp_gt_i32 s6, 3
	s_cbranch_scc0 .LBB143_2724
; %bb.2715:
	s_wait_loadcnt 0x0
	global_load_b64 v[8:9], v[18:19], off
	s_mov_b32 s9, 0
	s_wait_loadcnt 0x0
	s_wait_xcnt 0x1
	v_cvt_f64_i32_e32 v[10:11], v9
	v_cvt_f64_u32_e32 v[8:9], v8
	s_delay_alu instid0(VALU_DEP_2) | instskip(NEXT) | instid1(VALU_DEP_1)
	v_ldexp_f64 v[10:11], v[10:11], 32
	v_add_f64_e32 v[8:9], v[10:11], v[8:9]
	s_branch .LBB143_2725
.LBB143_2716:
	s_mov_b32 s9, -1
                                        ; implicit-def: $vgpr8_vgpr9
	s_branch .LBB143_2731
.LBB143_2717:
	s_mov_b32 s9, -1
                                        ; implicit-def: $vgpr8_vgpr9
	s_branch .LBB143_2728
.LBB143_2718:
	s_mov_b32 s9, -1
.LBB143_2719:
                                        ; implicit-def: $vgpr8_vgpr9
.LBB143_2720:
	s_and_b32 vcc_lo, exec_lo, s10
	s_mov_b32 s10, 0
	s_cbranch_vccz .LBB143_2722
; %bb.2721:
	s_cmp_lg_u32 s6, 11
	s_mov_b32 s10, -1
	s_cselect_b32 s9, -1, 0
.LBB143_2722:
	s_wait_xcnt 0x0
	v_mov_b64_e32 v[10:11], 0
	s_and_b32 vcc_lo, exec_lo, s9
	s_cbranch_vccz .LBB143_2653
.LBB143_2723:
	s_or_b32 s18, s18, exec_lo
	s_trap 2
	s_cbranch_execz .LBB143_2654
	s_branch .LBB143_2655
.LBB143_2724:
	s_mov_b32 s9, -1
                                        ; implicit-def: $vgpr8_vgpr9
.LBB143_2725:
	s_delay_alu instid0(SALU_CYCLE_1)
	s_and_not1_b32 vcc_lo, exec_lo, s9
	s_cbranch_vccnz .LBB143_2727
; %bb.2726:
	s_wait_loadcnt 0x0
	global_load_b32 v8, v[18:19], off
	s_wait_loadcnt 0x0
	v_cvt_f64_i32_e32 v[8:9], v8
.LBB143_2727:
	s_mov_b32 s9, 0
.LBB143_2728:
	s_delay_alu instid0(SALU_CYCLE_1)
	s_and_not1_b32 vcc_lo, exec_lo, s9
	s_cbranch_vccnz .LBB143_2730
; %bb.2729:
	s_wait_loadcnt 0x0
	global_load_i16 v8, v[18:19], off
	s_wait_loadcnt 0x0
	v_cvt_f64_i32_e32 v[8:9], v8
.LBB143_2730:
	s_mov_b32 s9, 0
.LBB143_2731:
	s_delay_alu instid0(SALU_CYCLE_1)
	s_and_not1_b32 vcc_lo, exec_lo, s9
	s_cbranch_vccnz .LBB143_2737
; %bb.2732:
	s_cmp_gt_i32 s6, 0
	s_mov_b32 s9, 0
	s_cbranch_scc0 .LBB143_2734
; %bb.2733:
	s_wait_loadcnt 0x0
	global_load_i8 v8, v[18:19], off
	s_wait_loadcnt 0x0
	v_cvt_f64_i32_e32 v[8:9], v8
	s_branch .LBB143_2735
.LBB143_2734:
	s_mov_b32 s9, -1
                                        ; implicit-def: $vgpr8_vgpr9
.LBB143_2735:
	s_delay_alu instid0(SALU_CYCLE_1)
	s_and_not1_b32 vcc_lo, exec_lo, s9
	s_cbranch_vccnz .LBB143_2737
; %bb.2736:
	s_wait_loadcnt 0x0
	global_load_u8 v8, v[18:19], off
	s_wait_loadcnt 0x0
	v_cvt_f64_u32_e32 v[8:9], v8
.LBB143_2737:
	s_wait_loadcnt 0x0
	v_mov_b64_e32 v[10:11], 0
.LBB143_2738:
	s_mov_b32 s11, -1
.LBB143_2739:
	s_delay_alu instid0(SALU_CYCLE_1)
	s_and_not1_b32 vcc_lo, exec_lo, s11
	s_cbranch_vccnz .LBB143_4271
; %bb.2740:
	v_mov_b32_e32 v17, 0
	s_and_b32 s7, 0xffff, s7
	s_delay_alu instid0(SALU_CYCLE_1) | instskip(NEXT) | instid1(VALU_DEP_1)
	s_cmp_lt_i32 s7, 11
	v_add_nc_u64_e32 v[24:25], s[0:1], v[16:17]
	s_cbranch_scc1 .LBB143_2747
; %bb.2741:
	s_cmp_gt_i32 s7, 25
	s_mov_b32 s10, 0
	s_cbranch_scc0 .LBB143_2748
; %bb.2742:
	s_cmp_gt_i32 s7, 28
	s_cbranch_scc0 .LBB143_2749
; %bb.2743:
	s_cmp_gt_i32 s7, 43
	;; [unrolled: 3-line block ×3, first 2 shown]
	s_cbranch_scc0 .LBB143_2755
; %bb.2745:
	s_cmp_eq_u32 s7, 46
	s_mov_b32 s19, 0
	s_cbranch_scc0 .LBB143_2760
; %bb.2746:
	global_load_b32 v16, v[24:25], off
	s_mov_b32 s9, 0
	s_mov_b32 s11, -1
	s_wait_loadcnt 0x0
	v_lshlrev_b32_e32 v17, 16, v16
	s_wait_xcnt 0x1
	v_and_b32_e32 v18, 0xffff0000, v16
	s_delay_alu instid0(VALU_DEP_2) | instskip(NEXT) | instid1(VALU_DEP_2)
	v_cvt_f64_f32_e32 v[16:17], v17
	v_cvt_f64_f32_e32 v[18:19], v18
	s_branch .LBB143_2762
.LBB143_2747:
	s_mov_b32 s9, -1
	s_mov_b32 s11, 0
                                        ; implicit-def: $vgpr18_vgpr19
	s_branch .LBB143_2796
.LBB143_2748:
	s_mov_b32 s19, -1
	s_mov_b32 s11, 0
	s_mov_b32 s9, 0
                                        ; implicit-def: $vgpr18_vgpr19
	s_branch .LBB143_2791
.LBB143_2749:
	s_mov_b32 s19, -1
	s_mov_b32 s11, 0
	s_mov_b32 s9, 0
                                        ; implicit-def: $vgpr18_vgpr19
	s_branch .LBB143_2774
.LBB143_2750:
	s_mov_b32 s19, -1
	s_mov_b32 s11, 0
	s_mov_b32 s9, 0
                                        ; implicit-def: $vgpr18_vgpr19
	s_branch .LBB143_2768
.LBB143_2751:
	s_mov_b32 s10, -1
	s_mov_b32 s19, exec_lo
	v_cmpx_eq_u16_e32 0x80, v10
; %bb.2752:
	s_xor_b32 s10, exec_lo, -1
; %bb.2753:
	s_or_b32 exec_lo, exec_lo, s19
	s_delay_alu instid0(SALU_CYCLE_1)
	s_and_b32 s10, s10, exec_lo
	s_or_saveexec_b32 s11, s11
	v_mov_b64_e32 v[8:9], 0x7ff8000020000000
	s_xor_b32 exec_lo, exec_lo, s11
	s_cbranch_execz .LBB143_2667
.LBB143_2754:
	v_cmp_ne_u16_e32 vcc_lo, 0, v10
	v_mov_b64_e32 v[8:9], 0
	s_and_not1_b32 s10, s10, exec_lo
	s_and_b32 s19, vcc_lo, exec_lo
	s_delay_alu instid0(SALU_CYCLE_1)
	s_or_b32 s10, s10, s19
	s_or_b32 exec_lo, exec_lo, s11
	s_and_saveexec_b32 s11, s10
	s_cbranch_execnz .LBB143_2668
	s_branch .LBB143_2669
.LBB143_2755:
	s_mov_b32 s19, -1
	s_mov_b32 s11, 0
	s_mov_b32 s9, 0
	s_branch .LBB143_2761
.LBB143_2756:
	s_mov_b32 s7, -1
	s_mov_b32 s21, exec_lo
	v_cmpx_eq_u16_e32 0x80, v2
; %bb.2757:
	s_xor_b32 s7, exec_lo, -1
; %bb.2758:
	s_or_b32 exec_lo, exec_lo, s21
	s_delay_alu instid0(SALU_CYCLE_1)
	s_and_b32 s7, s7, exec_lo
	s_or_saveexec_b32 s20, s20
	v_mov_b64_e32 v[0:1], 0x7ff8000020000000
	s_xor_b32 exec_lo, exec_lo, s20
	s_cbranch_execz .LBB143_1695
.LBB143_2759:
	v_cmp_ne_u16_e32 vcc_lo, 0, v2
	v_mov_b64_e32 v[0:1], 0
	s_and_not1_b32 s7, s7, exec_lo
	s_and_b32 s21, vcc_lo, exec_lo
	s_delay_alu instid0(SALU_CYCLE_1)
	s_or_b32 s7, s7, s21
	s_or_b32 exec_lo, exec_lo, s20
	s_and_saveexec_b32 s20, s7
	s_cbranch_execnz .LBB143_1696
	s_branch .LBB143_1697
.LBB143_2760:
	s_mov_b32 s9, -1
	s_mov_b32 s11, 0
.LBB143_2761:
                                        ; implicit-def: $vgpr18_vgpr19
.LBB143_2762:
	s_and_b32 vcc_lo, exec_lo, s19
	s_cbranch_vccz .LBB143_2767
; %bb.2763:
	s_cmp_eq_u32 s7, 44
	s_cbranch_scc0 .LBB143_2765
; %bb.2764:
	global_load_u8 v18, v[24:25], off
	s_mov_b32 s9, 0
	s_mov_b32 s11, -1
	s_wait_loadcnt 0x0
	v_cmp_ne_u32_e32 vcc_lo, 0xff, v18
	v_lshlrev_b32_e32 v16, 23, v18
	s_delay_alu instid0(VALU_DEP_1) | instskip(NEXT) | instid1(VALU_DEP_1)
	v_cvt_f64_f32_e32 v[16:17], v16
	v_cndmask_b32_e32 v16, 0x20000000, v16, vcc_lo
	s_delay_alu instid0(VALU_DEP_2) | instskip(SKIP_1) | instid1(VALU_DEP_2)
	v_cndmask_b32_e32 v17, 0x7ff80000, v17, vcc_lo
	v_cmp_ne_u32_e32 vcc_lo, 0, v18
	v_cndmask_b32_e32 v17, 0x38000000, v17, vcc_lo
	s_delay_alu instid0(VALU_DEP_4)
	v_cndmask_b32_e32 v16, 0, v16, vcc_lo
	s_branch .LBB143_2766
.LBB143_2765:
	s_mov_b32 s9, -1
                                        ; implicit-def: $vgpr16_vgpr17
.LBB143_2766:
	s_wait_xcnt 0x0
	v_mov_b64_e32 v[18:19], 0
.LBB143_2767:
	s_mov_b32 s19, 0
.LBB143_2768:
	s_delay_alu instid0(SALU_CYCLE_1)
	s_and_b32 vcc_lo, exec_lo, s19
	s_cbranch_vccz .LBB143_2773
; %bb.2769:
	s_cmp_eq_u32 s7, 29
	s_cbranch_scc0 .LBB143_2771
; %bb.2770:
	global_load_b64 v[16:17], v[24:25], off
	s_mov_b32 s9, 0
	s_mov_b32 s11, -1
	s_wait_loadcnt 0x0
	s_wait_xcnt 0x1
	v_cvt_f64_u32_e32 v[18:19], v17
	v_cvt_f64_u32_e32 v[16:17], v16
	s_delay_alu instid0(VALU_DEP_2) | instskip(NEXT) | instid1(VALU_DEP_1)
	v_ldexp_f64 v[18:19], v[18:19], 32
	v_add_f64_e32 v[16:17], v[18:19], v[16:17]
	s_branch .LBB143_2772
.LBB143_2771:
	s_mov_b32 s9, -1
                                        ; implicit-def: $vgpr16_vgpr17
.LBB143_2772:
	s_wait_xcnt 0x0
	v_mov_b64_e32 v[18:19], 0
.LBB143_2773:
	s_mov_b32 s19, 0
.LBB143_2774:
	s_delay_alu instid0(SALU_CYCLE_1)
	s_and_b32 vcc_lo, exec_lo, s19
	s_cbranch_vccz .LBB143_2790
; %bb.2775:
	s_cmp_lt_i32 s7, 27
	s_cbranch_scc1 .LBB143_2778
; %bb.2776:
	s_cmp_gt_i32 s7, 27
	s_cbranch_scc0 .LBB143_2779
; %bb.2777:
	global_load_b32 v16, v[24:25], off
	s_mov_b32 s11, 0
	s_wait_loadcnt 0x0
	v_cvt_f64_u32_e32 v[16:17], v16
	s_branch .LBB143_2780
.LBB143_2778:
	s_mov_b32 s11, -1
                                        ; implicit-def: $vgpr16_vgpr17
	s_branch .LBB143_2783
.LBB143_2779:
	s_mov_b32 s11, -1
                                        ; implicit-def: $vgpr16_vgpr17
.LBB143_2780:
	s_delay_alu instid0(SALU_CYCLE_1)
	s_and_not1_b32 vcc_lo, exec_lo, s11
	s_cbranch_vccnz .LBB143_2782
; %bb.2781:
	global_load_u16 v16, v[24:25], off
	s_wait_loadcnt 0x0
	v_cvt_f64_u32_e32 v[16:17], v16
.LBB143_2782:
	s_mov_b32 s11, 0
.LBB143_2783:
	s_delay_alu instid0(SALU_CYCLE_1)
	s_and_not1_b32 vcc_lo, exec_lo, s11
	s_cbranch_vccnz .LBB143_2789
; %bb.2784:
	global_load_u8 v18, v[24:25], off
	s_mov_b32 s11, 0
	s_mov_b32 s19, exec_lo
	s_wait_loadcnt 0x0
	v_cmpx_lt_i16_e32 0x7f, v18
	s_xor_b32 s19, exec_lo, s19
	s_cbranch_execnz .LBB143_2815
; %bb.2785:
	s_or_saveexec_b32 s19, s19
	v_mov_b64_e32 v[16:17], 0x7ff8000020000000
	s_xor_b32 exec_lo, exec_lo, s19
	s_cbranch_execnz .LBB143_2818
.LBB143_2786:
	s_or_b32 exec_lo, exec_lo, s19
	s_and_saveexec_b32 s19, s11
	s_cbranch_execz .LBB143_2788
.LBB143_2787:
	v_and_b32_e32 v16, 0xffff, v18
	s_delay_alu instid0(VALU_DEP_1) | instskip(SKIP_1) | instid1(VALU_DEP_2)
	v_and_b32_e32 v17, 7, v16
	v_bfe_u32 v23, v16, 3, 4
	v_clz_i32_u32_e32 v19, v17
	s_delay_alu instid0(VALU_DEP_2) | instskip(NEXT) | instid1(VALU_DEP_2)
	v_cmp_eq_u32_e32 vcc_lo, 0, v23
	v_min_u32_e32 v19, 32, v19
	s_delay_alu instid0(VALU_DEP_1) | instskip(NEXT) | instid1(VALU_DEP_1)
	v_subrev_nc_u32_e32 v21, 28, v19
	v_dual_lshlrev_b32 v16, v21, v16 :: v_dual_sub_nc_u32 v19, 29, v19
	s_delay_alu instid0(VALU_DEP_1) | instskip(NEXT) | instid1(VALU_DEP_1)
	v_dual_lshlrev_b32 v18, 24, v18 :: v_dual_bitop2_b32 v16, 7, v16 bitop3:0x40
	v_dual_cndmask_b32 v19, v23, v19 :: v_dual_cndmask_b32 v16, v17, v16
	s_delay_alu instid0(VALU_DEP_2) | instskip(NEXT) | instid1(VALU_DEP_2)
	v_and_b32_e32 v17, 0x80000000, v18
	v_lshl_add_u32 v18, v19, 23, 0x3b800000
	s_delay_alu instid0(VALU_DEP_3) | instskip(NEXT) | instid1(VALU_DEP_1)
	v_lshlrev_b32_e32 v16, 20, v16
	v_or3_b32 v16, v17, v18, v16
	s_delay_alu instid0(VALU_DEP_1)
	v_cvt_f64_f32_e32 v[16:17], v16
.LBB143_2788:
	s_or_b32 exec_lo, exec_lo, s19
.LBB143_2789:
	s_wait_xcnt 0x0
	v_mov_b64_e32 v[18:19], 0
	s_mov_b32 s11, -1
.LBB143_2790:
	s_mov_b32 s19, 0
.LBB143_2791:
	s_delay_alu instid0(SALU_CYCLE_1)
	s_and_b32 vcc_lo, exec_lo, s19
	s_cbranch_vccnz .LBB143_2802
; %bb.2792:
	s_and_b32 vcc_lo, exec_lo, s9
	s_cbranch_vccnz .LBB143_2863
.LBB143_2793:
	s_and_not1_b32 vcc_lo, exec_lo, s10
	s_cbranch_vccnz .LBB143_2795
.LBB143_2794:
	global_load_u8 v16, v[24:25], off
	s_wait_xcnt 0x1
	v_mov_b64_e32 v[18:19], 0
	s_mov_b32 s11, -1
	s_wait_loadcnt 0x0
	v_cmp_ne_u16_e32 vcc_lo, 0, v16
	v_mov_b32_e32 v16, 0
	v_cndmask_b32_e64 v17, 0, 0x3ff00000, vcc_lo
.LBB143_2795:
	s_mov_b32 s9, 0
.LBB143_2796:
	s_delay_alu instid0(SALU_CYCLE_1)
	s_and_b32 vcc_lo, exec_lo, s9
	s_cbranch_vccz .LBB143_2879
; %bb.2797:
	s_cmp_lt_i32 s7, 5
	s_cbranch_scc1 .LBB143_2810
; %bb.2798:
	s_cmp_lt_i32 s7, 8
	s_cbranch_scc1 .LBB143_2811
	;; [unrolled: 3-line block ×3, first 2 shown]
; %bb.2800:
	s_cmp_gt_i32 s7, 9
	s_cbranch_scc0 .LBB143_2819
; %bb.2801:
	global_load_b128 v[16:19], v[24:25], off
	s_mov_b32 s9, 0
	s_branch .LBB143_2820
.LBB143_2802:
	s_cmp_gt_i32 s7, 22
	s_cbranch_scc0 .LBB143_2812
; %bb.2803:
	s_cmp_lt_i32 s7, 24
	s_cbranch_scc1 .LBB143_2814
; %bb.2804:
	s_cmp_gt_i32 s7, 24
	s_cbranch_scc0 .LBB143_2831
; %bb.2805:
	global_load_u8 v18, v[24:25], off
	s_mov_b32 s11, exec_lo
	s_wait_loadcnt 0x0
	v_cmpx_lt_i16_e32 0x7f, v18
	s_xor_b32 s11, exec_lo, s11
	s_cbranch_execnz .LBB143_2891
; %bb.2806:
	s_or_saveexec_b32 s11, s11
	v_mov_b64_e32 v[16:17], 0x7ff8000020000000
	s_xor_b32 exec_lo, exec_lo, s11
	s_cbranch_execnz .LBB143_2894
.LBB143_2807:
	s_or_b32 exec_lo, exec_lo, s11
	s_and_saveexec_b32 s11, s10
	s_cbranch_execz .LBB143_2809
.LBB143_2808:
	v_and_b32_e32 v16, 0xffff, v18
	s_delay_alu instid0(VALU_DEP_1) | instskip(SKIP_1) | instid1(VALU_DEP_2)
	v_and_b32_e32 v17, 3, v16
	v_bfe_u32 v23, v16, 2, 5
	v_clz_i32_u32_e32 v19, v17
	s_delay_alu instid0(VALU_DEP_2) | instskip(NEXT) | instid1(VALU_DEP_2)
	v_cmp_eq_u32_e32 vcc_lo, 0, v23
	v_min_u32_e32 v19, 32, v19
	s_delay_alu instid0(VALU_DEP_1) | instskip(NEXT) | instid1(VALU_DEP_1)
	v_subrev_nc_u32_e32 v21, 29, v19
	v_dual_lshlrev_b32 v16, v21, v16 :: v_dual_sub_nc_u32 v19, 30, v19
	s_delay_alu instid0(VALU_DEP_1) | instskip(NEXT) | instid1(VALU_DEP_1)
	v_dual_lshlrev_b32 v18, 24, v18 :: v_dual_bitop2_b32 v16, 3, v16 bitop3:0x40
	v_dual_cndmask_b32 v19, v23, v19 :: v_dual_cndmask_b32 v16, v17, v16
	s_delay_alu instid0(VALU_DEP_2) | instskip(NEXT) | instid1(VALU_DEP_2)
	v_and_b32_e32 v17, 0x80000000, v18
	v_lshl_add_u32 v18, v19, 23, 0x37800000
	s_delay_alu instid0(VALU_DEP_3) | instskip(NEXT) | instid1(VALU_DEP_1)
	v_lshlrev_b32_e32 v16, 21, v16
	v_or3_b32 v16, v17, v18, v16
	s_delay_alu instid0(VALU_DEP_1)
	v_cvt_f64_f32_e32 v[16:17], v16
.LBB143_2809:
	s_or_b32 exec_lo, exec_lo, s11
	s_mov_b32 s10, 0
	s_branch .LBB143_2832
.LBB143_2810:
	s_mov_b32 s9, -1
                                        ; implicit-def: $vgpr18_vgpr19
	s_branch .LBB143_2851
.LBB143_2811:
	s_mov_b32 s9, -1
                                        ; implicit-def: $vgpr18_vgpr19
	s_branch .LBB143_2826
.LBB143_2812:
	s_mov_b32 s10, -1
                                        ; implicit-def: $vgpr16_vgpr17
	s_branch .LBB143_2838
.LBB143_2813:
	s_mov_b32 s9, -1
                                        ; implicit-def: $vgpr18_vgpr19
	s_branch .LBB143_2823
.LBB143_2814:
	s_mov_b32 s10, -1
                                        ; implicit-def: $vgpr16_vgpr17
	s_branch .LBB143_2835
.LBB143_2815:
	s_mov_b32 s11, -1
	s_mov_b32 s20, exec_lo
	v_cmpx_eq_u16_e32 0x80, v18
; %bb.2816:
	s_xor_b32 s11, exec_lo, -1
; %bb.2817:
	s_or_b32 exec_lo, exec_lo, s20
	s_delay_alu instid0(SALU_CYCLE_1)
	s_and_b32 s11, s11, exec_lo
	s_or_saveexec_b32 s19, s19
	v_mov_b64_e32 v[16:17], 0x7ff8000020000000
	s_xor_b32 exec_lo, exec_lo, s19
	s_cbranch_execz .LBB143_2786
.LBB143_2818:
	v_cmp_ne_u16_e32 vcc_lo, 0, v18
	v_mov_b64_e32 v[16:17], 0
	s_and_not1_b32 s11, s11, exec_lo
	s_and_b32 s20, vcc_lo, exec_lo
	s_delay_alu instid0(SALU_CYCLE_1)
	s_or_b32 s11, s11, s20
	s_or_b32 exec_lo, exec_lo, s19
	s_and_saveexec_b32 s19, s11
	s_cbranch_execnz .LBB143_2787
	s_branch .LBB143_2788
.LBB143_2819:
	s_mov_b32 s9, -1
                                        ; implicit-def: $vgpr18_vgpr19
.LBB143_2820:
	s_delay_alu instid0(SALU_CYCLE_1)
	s_and_not1_b32 vcc_lo, exec_lo, s9
	s_cbranch_vccnz .LBB143_2822
; %bb.2821:
	s_wait_loadcnt 0x0
	global_load_b64 v[18:19], v[24:25], off
	s_wait_loadcnt 0x0
	v_cvt_f64_f32_e32 v[16:17], v18
	v_cvt_f64_f32_e32 v[18:19], v19
.LBB143_2822:
	s_mov_b32 s9, 0
.LBB143_2823:
	s_delay_alu instid0(SALU_CYCLE_1)
	s_and_not1_b32 vcc_lo, exec_lo, s9
	s_cbranch_vccnz .LBB143_2825
; %bb.2824:
	s_wait_loadcnt 0x0
	global_load_b32 v16, v[24:25], off
	s_wait_loadcnt 0x0
	v_lshrrev_b32_e32 v17, 16, v16
	v_cvt_f32_f16_e32 v16, v16
	s_wait_xcnt 0x1
	s_delay_alu instid0(VALU_DEP_2) | instskip(NEXT) | instid1(VALU_DEP_2)
	v_cvt_f32_f16_e32 v18, v17
	v_cvt_f64_f32_e32 v[16:17], v16
	s_delay_alu instid0(VALU_DEP_2)
	v_cvt_f64_f32_e32 v[18:19], v18
.LBB143_2825:
	s_mov_b32 s9, 0
.LBB143_2826:
	s_delay_alu instid0(SALU_CYCLE_1)
	s_and_not1_b32 vcc_lo, exec_lo, s9
	s_cbranch_vccnz .LBB143_2850
; %bb.2827:
	s_cmp_lt_i32 s7, 6
	s_cbranch_scc1 .LBB143_2830
; %bb.2828:
	s_cmp_gt_i32 s7, 6
	s_cbranch_scc0 .LBB143_2843
; %bb.2829:
	s_wait_loadcnt 0x0
	global_load_b64 v[16:17], v[24:25], off
	s_mov_b32 s9, 0
	s_branch .LBB143_2844
.LBB143_2830:
	s_mov_b32 s9, -1
                                        ; implicit-def: $vgpr16_vgpr17
	s_branch .LBB143_2847
.LBB143_2831:
	s_mov_b32 s10, -1
                                        ; implicit-def: $vgpr16_vgpr17
.LBB143_2832:
	s_delay_alu instid0(SALU_CYCLE_1)
	s_and_b32 vcc_lo, exec_lo, s10
	s_cbranch_vccz .LBB143_2834
; %bb.2833:
	global_load_u8 v16, v[24:25], off
	s_wait_loadcnt 0x0
	v_lshlrev_b32_e32 v16, 24, v16
	s_delay_alu instid0(VALU_DEP_1) | instskip(SKIP_1) | instid1(VALU_DEP_1)
	v_and_b32_e32 v17, 0x7f000000, v16
	s_wait_xcnt 0x1
	v_clz_i32_u32_e32 v18, v17
	v_add_nc_u32_e32 v21, 0x1000000, v17
	v_cmp_ne_u32_e32 vcc_lo, 0, v17
	s_delay_alu instid0(VALU_DEP_3) | instskip(NEXT) | instid1(VALU_DEP_1)
	v_min_u32_e32 v18, 32, v18
	v_sub_nc_u32_e64 v18, v18, 4 clamp
	s_delay_alu instid0(VALU_DEP_1) | instskip(NEXT) | instid1(VALU_DEP_1)
	v_dual_lshlrev_b32 v19, v18, v17 :: v_dual_lshlrev_b32 v18, 23, v18
	v_lshrrev_b32_e32 v19, 4, v19
	s_delay_alu instid0(VALU_DEP_1) | instskip(NEXT) | instid1(VALU_DEP_1)
	v_dual_sub_nc_u32 v18, v19, v18 :: v_dual_ashrrev_i32 v19, 8, v21
	v_add_nc_u32_e32 v18, 0x3c000000, v18
	s_delay_alu instid0(VALU_DEP_1) | instskip(NEXT) | instid1(VALU_DEP_1)
	v_and_or_b32 v18, 0x7f800000, v19, v18
	v_cndmask_b32_e32 v17, 0, v18, vcc_lo
	s_delay_alu instid0(VALU_DEP_1) | instskip(NEXT) | instid1(VALU_DEP_1)
	v_and_or_b32 v16, 0x80000000, v16, v17
	v_cvt_f64_f32_e32 v[16:17], v16
.LBB143_2834:
	s_mov_b32 s10, 0
.LBB143_2835:
	s_delay_alu instid0(SALU_CYCLE_1)
	s_and_not1_b32 vcc_lo, exec_lo, s10
	s_cbranch_vccnz .LBB143_2837
; %bb.2836:
	global_load_u8 v16, v[24:25], off
	s_wait_loadcnt 0x0
	v_lshlrev_b32_e32 v17, 25, v16
	v_lshlrev_b16 v16, 8, v16
	s_wait_xcnt 0x1
	s_delay_alu instid0(VALU_DEP_1) | instskip(SKIP_1) | instid1(VALU_DEP_2)
	v_and_or_b32 v19, 0x7f00, v16, 0.5
	v_bfe_i32 v16, v16, 0, 16
	v_dual_add_f32 v19, -0.5, v19 :: v_dual_lshrrev_b32 v18, 4, v17
	v_cmp_gt_u32_e32 vcc_lo, 0x8000000, v17
	s_delay_alu instid0(VALU_DEP_2) | instskip(NEXT) | instid1(VALU_DEP_1)
	v_or_b32_e32 v18, 0x70000000, v18
	v_mul_f32_e32 v18, 0x7800000, v18
	s_delay_alu instid0(VALU_DEP_1) | instskip(NEXT) | instid1(VALU_DEP_1)
	v_cndmask_b32_e32 v17, v18, v19, vcc_lo
	v_and_or_b32 v16, 0x80000000, v16, v17
	s_delay_alu instid0(VALU_DEP_1)
	v_cvt_f64_f32_e32 v[16:17], v16
.LBB143_2837:
	s_mov_b32 s10, 0
	s_mov_b32 s11, -1
.LBB143_2838:
	s_and_not1_b32 vcc_lo, exec_lo, s10
	s_mov_b32 s10, 0
	s_cbranch_vccnz .LBB143_2862
; %bb.2839:
	s_cmp_gt_i32 s7, 14
	s_cbranch_scc0 .LBB143_2842
; %bb.2840:
	s_cmp_eq_u32 s7, 15
	s_cbranch_scc0 .LBB143_2858
; %bb.2841:
	global_load_u16 v16, v[24:25], off
	s_mov_b32 s9, 0
	s_mov_b32 s11, -1
	s_wait_loadcnt 0x0
	v_lshlrev_b32_e32 v16, 16, v16
	s_delay_alu instid0(VALU_DEP_1)
	v_cvt_f64_f32_e32 v[16:17], v16
	s_branch .LBB143_2860
.LBB143_2842:
	s_mov_b32 s10, -1
	s_branch .LBB143_2859
.LBB143_2843:
	s_mov_b32 s9, -1
                                        ; implicit-def: $vgpr16_vgpr17
.LBB143_2844:
	s_delay_alu instid0(SALU_CYCLE_1)
	s_and_not1_b32 vcc_lo, exec_lo, s9
	s_cbranch_vccnz .LBB143_2846
; %bb.2845:
	s_wait_loadcnt 0x0
	global_load_b32 v16, v[24:25], off
	s_wait_loadcnt 0x0
	v_cvt_f64_f32_e32 v[16:17], v16
.LBB143_2846:
	s_mov_b32 s9, 0
.LBB143_2847:
	s_delay_alu instid0(SALU_CYCLE_1)
	s_and_not1_b32 vcc_lo, exec_lo, s9
	s_cbranch_vccnz .LBB143_2849
; %bb.2848:
	s_wait_loadcnt 0x0
	global_load_u16 v16, v[24:25], off
	s_wait_loadcnt 0x0
	v_cvt_f32_f16_e32 v16, v16
	s_delay_alu instid0(VALU_DEP_1)
	v_cvt_f64_f32_e32 v[16:17], v16
.LBB143_2849:
	s_wait_loadcnt 0x0
	v_mov_b64_e32 v[18:19], 0
.LBB143_2850:
	s_mov_b32 s9, 0
.LBB143_2851:
	s_delay_alu instid0(SALU_CYCLE_1)
	s_and_not1_b32 vcc_lo, exec_lo, s9
	s_cbranch_vccnz .LBB143_2878
; %bb.2852:
	s_cmp_lt_i32 s7, 2
	s_cbranch_scc1 .LBB143_2856
; %bb.2853:
	s_cmp_lt_i32 s7, 3
	s_cbranch_scc1 .LBB143_2857
; %bb.2854:
	s_cmp_gt_i32 s7, 3
	s_cbranch_scc0 .LBB143_2864
; %bb.2855:
	s_wait_loadcnt 0x0
	global_load_b64 v[16:17], v[24:25], off
	s_mov_b32 s9, 0
	s_wait_loadcnt 0x0
	s_wait_xcnt 0x1
	v_cvt_f64_i32_e32 v[18:19], v17
	v_cvt_f64_u32_e32 v[16:17], v16
	s_delay_alu instid0(VALU_DEP_2) | instskip(NEXT) | instid1(VALU_DEP_1)
	v_ldexp_f64 v[18:19], v[18:19], 32
	v_add_f64_e32 v[16:17], v[18:19], v[16:17]
	s_branch .LBB143_2865
.LBB143_2856:
	s_mov_b32 s9, -1
                                        ; implicit-def: $vgpr16_vgpr17
	s_branch .LBB143_2871
.LBB143_2857:
	s_mov_b32 s9, -1
                                        ; implicit-def: $vgpr16_vgpr17
	s_branch .LBB143_2868
.LBB143_2858:
	s_mov_b32 s9, -1
.LBB143_2859:
                                        ; implicit-def: $vgpr16_vgpr17
.LBB143_2860:
	s_and_b32 vcc_lo, exec_lo, s10
	s_mov_b32 s10, 0
	s_cbranch_vccz .LBB143_2862
; %bb.2861:
	s_cmp_lg_u32 s7, 11
	s_mov_b32 s10, -1
	s_cselect_b32 s9, -1, 0
.LBB143_2862:
	s_wait_xcnt 0x0
	v_mov_b64_e32 v[18:19], 0
	s_and_b32 vcc_lo, exec_lo, s9
	s_cbranch_vccz .LBB143_2793
.LBB143_2863:
	s_or_b32 s18, s18, exec_lo
	s_trap 2
	s_cbranch_execz .LBB143_2794
	s_branch .LBB143_2795
.LBB143_2864:
	s_mov_b32 s9, -1
                                        ; implicit-def: $vgpr16_vgpr17
.LBB143_2865:
	s_delay_alu instid0(SALU_CYCLE_1)
	s_and_not1_b32 vcc_lo, exec_lo, s9
	s_cbranch_vccnz .LBB143_2867
; %bb.2866:
	s_wait_loadcnt 0x0
	global_load_b32 v16, v[24:25], off
	s_wait_loadcnt 0x0
	v_cvt_f64_i32_e32 v[16:17], v16
.LBB143_2867:
	s_mov_b32 s9, 0
.LBB143_2868:
	s_delay_alu instid0(SALU_CYCLE_1)
	s_and_not1_b32 vcc_lo, exec_lo, s9
	s_cbranch_vccnz .LBB143_2870
; %bb.2869:
	s_wait_loadcnt 0x0
	global_load_i16 v16, v[24:25], off
	s_wait_loadcnt 0x0
	v_cvt_f64_i32_e32 v[16:17], v16
.LBB143_2870:
	s_mov_b32 s9, 0
.LBB143_2871:
	s_delay_alu instid0(SALU_CYCLE_1)
	s_and_not1_b32 vcc_lo, exec_lo, s9
	s_cbranch_vccnz .LBB143_2877
; %bb.2872:
	s_cmp_gt_i32 s7, 0
	s_mov_b32 s9, 0
	s_cbranch_scc0 .LBB143_2874
; %bb.2873:
	s_wait_loadcnt 0x0
	global_load_i8 v16, v[24:25], off
	s_wait_loadcnt 0x0
	v_cvt_f64_i32_e32 v[16:17], v16
	s_branch .LBB143_2875
.LBB143_2874:
	s_mov_b32 s9, -1
                                        ; implicit-def: $vgpr16_vgpr17
.LBB143_2875:
	s_delay_alu instid0(SALU_CYCLE_1)
	s_and_not1_b32 vcc_lo, exec_lo, s9
	s_cbranch_vccnz .LBB143_2877
; %bb.2876:
	s_wait_loadcnt 0x0
	global_load_u8 v16, v[24:25], off
	s_wait_loadcnt 0x0
	v_cvt_f64_u32_e32 v[16:17], v16
.LBB143_2877:
	s_wait_loadcnt 0x0
	v_mov_b64_e32 v[18:19], 0
.LBB143_2878:
	s_mov_b32 s11, -1
.LBB143_2879:
	s_delay_alu instid0(SALU_CYCLE_1)
	s_and_not1_b32 vcc_lo, exec_lo, s11
	s_cbranch_vccnz .LBB143_4271
; %bb.2880:
	v_mov_b32_e32 v23, 0
	s_and_b32 s8, 0xffff, s8
	s_delay_alu instid0(SALU_CYCLE_1) | instskip(NEXT) | instid1(VALU_DEP_1)
	s_cmp_lt_i32 s8, 11
	v_add_nc_u64_e32 v[22:23], s[4:5], v[22:23]
	s_cbranch_scc1 .LBB143_2887
; %bb.2881:
	s_cmp_gt_i32 s8, 25
	s_mov_b32 s10, 0
	s_cbranch_scc0 .LBB143_2888
; %bb.2882:
	s_cmp_gt_i32 s8, 28
	s_cbranch_scc0 .LBB143_2889
; %bb.2883:
	s_cmp_gt_i32 s8, 43
	;; [unrolled: 3-line block ×3, first 2 shown]
	s_cbranch_scc0 .LBB143_2895
; %bb.2885:
	s_cmp_eq_u32 s8, 46
	s_mov_b32 s19, 0
	s_cbranch_scc0 .LBB143_2896
; %bb.2886:
	global_load_b32 v21, v[22:23], off
	s_mov_b32 s9, 0
	s_mov_b32 s11, -1
	s_wait_loadcnt 0x0
	s_wait_xcnt 0x1
	v_lshlrev_b32_e32 v24, 16, v21
	v_and_b32_e32 v21, 0xffff0000, v21
	s_delay_alu instid0(VALU_DEP_2) | instskip(NEXT) | instid1(VALU_DEP_2)
	v_cvt_f64_f32_e32 v[24:25], v24
	v_cvt_f64_f32_e32 v[26:27], v21
	s_branch .LBB143_2898
.LBB143_2887:
	s_mov_b32 s9, -1
	s_mov_b32 s11, 0
                                        ; implicit-def: $vgpr26_vgpr27
	s_branch .LBB143_2932
.LBB143_2888:
	s_mov_b32 s19, -1
	s_mov_b32 s11, 0
	s_mov_b32 s9, 0
                                        ; implicit-def: $vgpr26_vgpr27
	s_branch .LBB143_2927
.LBB143_2889:
	s_mov_b32 s19, -1
	s_mov_b32 s11, 0
	s_mov_b32 s9, 0
                                        ; implicit-def: $vgpr26_vgpr27
	s_branch .LBB143_2910
.LBB143_2890:
	s_mov_b32 s19, -1
	s_mov_b32 s11, 0
	s_mov_b32 s9, 0
                                        ; implicit-def: $vgpr26_vgpr27
	s_branch .LBB143_2904
.LBB143_2891:
	s_mov_b32 s10, -1
	s_mov_b32 s19, exec_lo
	v_cmpx_eq_u16_e32 0x80, v18
; %bb.2892:
	s_xor_b32 s10, exec_lo, -1
; %bb.2893:
	s_or_b32 exec_lo, exec_lo, s19
	s_delay_alu instid0(SALU_CYCLE_1)
	s_and_b32 s10, s10, exec_lo
	s_or_saveexec_b32 s11, s11
	v_mov_b64_e32 v[16:17], 0x7ff8000020000000
	s_xor_b32 exec_lo, exec_lo, s11
	s_cbranch_execz .LBB143_2807
.LBB143_2894:
	v_cmp_ne_u16_e32 vcc_lo, 0, v18
	v_mov_b64_e32 v[16:17], 0
	s_and_not1_b32 s10, s10, exec_lo
	s_and_b32 s19, vcc_lo, exec_lo
	s_delay_alu instid0(SALU_CYCLE_1)
	s_or_b32 s10, s10, s19
	s_or_b32 exec_lo, exec_lo, s11
	s_and_saveexec_b32 s11, s10
	s_cbranch_execnz .LBB143_2808
	s_branch .LBB143_2809
.LBB143_2895:
	s_mov_b32 s19, -1
	s_mov_b32 s11, 0
	s_mov_b32 s9, 0
	s_branch .LBB143_2897
.LBB143_2896:
	s_mov_b32 s9, -1
	s_mov_b32 s11, 0
.LBB143_2897:
                                        ; implicit-def: $vgpr26_vgpr27
.LBB143_2898:
	s_and_b32 vcc_lo, exec_lo, s19
	s_cbranch_vccz .LBB143_2903
; %bb.2899:
	s_cmp_eq_u32 s8, 44
	s_cbranch_scc0 .LBB143_2901
; %bb.2900:
	global_load_u8 v21, v[22:23], off
	s_mov_b32 s9, 0
	s_mov_b32 s11, -1
	s_wait_loadcnt 0x0
	s_wait_xcnt 0x1
	v_lshlrev_b32_e32 v24, 23, v21
	v_cmp_ne_u32_e32 vcc_lo, 0xff, v21
	s_delay_alu instid0(VALU_DEP_2) | instskip(NEXT) | instid1(VALU_DEP_1)
	v_cvt_f64_f32_e32 v[24:25], v24
	v_cndmask_b32_e32 v24, 0x20000000, v24, vcc_lo
	s_delay_alu instid0(VALU_DEP_2) | instskip(SKIP_1) | instid1(VALU_DEP_2)
	v_cndmask_b32_e32 v25, 0x7ff80000, v25, vcc_lo
	v_cmp_ne_u32_e32 vcc_lo, 0, v21
	v_cndmask_b32_e32 v25, 0x38000000, v25, vcc_lo
	s_delay_alu instid0(VALU_DEP_4)
	v_cndmask_b32_e32 v24, 0, v24, vcc_lo
	s_branch .LBB143_2902
.LBB143_2901:
	s_mov_b32 s9, -1
                                        ; implicit-def: $vgpr24_vgpr25
.LBB143_2902:
	v_mov_b64_e32 v[26:27], 0
.LBB143_2903:
	s_mov_b32 s19, 0
.LBB143_2904:
	s_delay_alu instid0(SALU_CYCLE_1)
	s_and_b32 vcc_lo, exec_lo, s19
	s_cbranch_vccz .LBB143_2909
; %bb.2905:
	s_cmp_eq_u32 s8, 29
	s_cbranch_scc0 .LBB143_2907
; %bb.2906:
	global_load_b64 v[24:25], v[22:23], off
	s_mov_b32 s9, 0
	s_mov_b32 s11, -1
	s_wait_loadcnt 0x0
	v_cvt_f64_u32_e32 v[26:27], v25
	v_cvt_f64_u32_e32 v[24:25], v24
	s_delay_alu instid0(VALU_DEP_2) | instskip(NEXT) | instid1(VALU_DEP_1)
	v_ldexp_f64 v[26:27], v[26:27], 32
	v_add_f64_e32 v[24:25], v[26:27], v[24:25]
	s_branch .LBB143_2908
.LBB143_2907:
	s_mov_b32 s9, -1
                                        ; implicit-def: $vgpr24_vgpr25
.LBB143_2908:
	v_mov_b64_e32 v[26:27], 0
.LBB143_2909:
	s_mov_b32 s19, 0
.LBB143_2910:
	s_delay_alu instid0(SALU_CYCLE_1)
	s_and_b32 vcc_lo, exec_lo, s19
	s_cbranch_vccz .LBB143_2926
; %bb.2911:
	s_cmp_lt_i32 s8, 27
	s_cbranch_scc1 .LBB143_2914
; %bb.2912:
	s_cmp_gt_i32 s8, 27
	s_cbranch_scc0 .LBB143_2915
; %bb.2913:
	global_load_b32 v21, v[22:23], off
	s_mov_b32 s11, 0
	s_wait_loadcnt 0x0
	s_wait_xcnt 0x1
	v_cvt_f64_u32_e32 v[24:25], v21
	s_branch .LBB143_2916
.LBB143_2914:
	s_mov_b32 s11, -1
                                        ; implicit-def: $vgpr24_vgpr25
	s_branch .LBB143_2919
.LBB143_2915:
	s_mov_b32 s11, -1
                                        ; implicit-def: $vgpr24_vgpr25
.LBB143_2916:
	s_delay_alu instid0(SALU_CYCLE_1)
	s_and_not1_b32 vcc_lo, exec_lo, s11
	s_cbranch_vccnz .LBB143_2918
; %bb.2917:
	global_load_u16 v21, v[22:23], off
	s_wait_loadcnt 0x0
	s_wait_xcnt 0x1
	v_cvt_f64_u32_e32 v[24:25], v21
.LBB143_2918:
	s_mov_b32 s11, 0
.LBB143_2919:
	s_delay_alu instid0(SALU_CYCLE_1)
	s_and_not1_b32 vcc_lo, exec_lo, s11
	s_cbranch_vccnz .LBB143_2925
; %bb.2920:
	global_load_u8 v21, v[22:23], off
	s_mov_b32 s11, 0
	s_mov_b32 s19, exec_lo
	s_wait_loadcnt 0x0
	v_cmpx_lt_i16_e32 0x7f, v21
	s_xor_b32 s19, exec_lo, s19
	s_cbranch_execnz .LBB143_2951
; %bb.2921:
	s_or_saveexec_b32 s19, s19
	v_mov_b64_e32 v[24:25], 0x7ff8000020000000
	s_xor_b32 exec_lo, exec_lo, s19
	s_cbranch_execnz .LBB143_2954
.LBB143_2922:
	s_or_b32 exec_lo, exec_lo, s19
	s_and_saveexec_b32 s19, s11
	s_cbranch_execz .LBB143_2924
.LBB143_2923:
	v_and_b32_e32 v24, 0xffff, v21
	s_delay_alu instid0(VALU_DEP_1) | instskip(SKIP_1) | instid1(VALU_DEP_2)
	v_and_b32_e32 v25, 7, v24
	v_bfe_u32 v29, v24, 3, 4
	v_clz_i32_u32_e32 v26, v25
	s_delay_alu instid0(VALU_DEP_2) | instskip(NEXT) | instid1(VALU_DEP_2)
	v_cmp_eq_u32_e32 vcc_lo, 0, v29
	v_min_u32_e32 v26, 32, v26
	s_delay_alu instid0(VALU_DEP_1) | instskip(NEXT) | instid1(VALU_DEP_1)
	v_subrev_nc_u32_e32 v27, 28, v26
	v_dual_lshlrev_b32 v24, v27, v24 :: v_dual_sub_nc_u32 v26, 29, v26
	s_delay_alu instid0(VALU_DEP_1) | instskip(NEXT) | instid1(VALU_DEP_2)
	v_dual_lshlrev_b32 v21, 24, v21 :: v_dual_bitop2_b32 v24, 7, v24 bitop3:0x40
	v_cndmask_b32_e32 v26, v29, v26, vcc_lo
	s_delay_alu instid0(VALU_DEP_2) | instskip(NEXT) | instid1(VALU_DEP_3)
	v_cndmask_b32_e32 v24, v25, v24, vcc_lo
	v_and_b32_e32 v21, 0x80000000, v21
	s_delay_alu instid0(VALU_DEP_3) | instskip(NEXT) | instid1(VALU_DEP_3)
	v_lshl_add_u32 v25, v26, 23, 0x3b800000
	v_lshlrev_b32_e32 v24, 20, v24
	s_delay_alu instid0(VALU_DEP_1) | instskip(NEXT) | instid1(VALU_DEP_1)
	v_or3_b32 v21, v21, v25, v24
	v_cvt_f64_f32_e32 v[24:25], v21
.LBB143_2924:
	s_or_b32 exec_lo, exec_lo, s19
.LBB143_2925:
	v_mov_b64_e32 v[26:27], 0
	s_mov_b32 s11, -1
.LBB143_2926:
	s_mov_b32 s19, 0
.LBB143_2927:
	s_delay_alu instid0(SALU_CYCLE_1)
	s_and_b32 vcc_lo, exec_lo, s19
	s_cbranch_vccnz .LBB143_2938
; %bb.2928:
	s_and_b32 vcc_lo, exec_lo, s9
	s_cbranch_vccnz .LBB143_2999
.LBB143_2929:
	s_and_not1_b32 vcc_lo, exec_lo, s10
	s_cbranch_vccnz .LBB143_2931
.LBB143_2930:
	global_load_u8 v21, v[22:23], off
	v_mov_b64_e32 v[26:27], 0
	s_wait_xcnt 0x1
	v_mov_b32_e32 v24, 0
	s_mov_b32 s11, -1
	s_wait_loadcnt 0x0
	v_cmp_ne_u16_e32 vcc_lo, 0, v21
	v_cndmask_b32_e64 v25, 0, 0x3ff00000, vcc_lo
.LBB143_2931:
	s_mov_b32 s9, 0
.LBB143_2932:
	s_delay_alu instid0(SALU_CYCLE_1)
	s_and_b32 vcc_lo, exec_lo, s9
	s_cbranch_vccz .LBB143_3015
; %bb.2933:
	s_cmp_lt_i32 s8, 5
	s_cbranch_scc1 .LBB143_2946
; %bb.2934:
	s_cmp_lt_i32 s8, 8
	s_cbranch_scc1 .LBB143_2947
	;; [unrolled: 3-line block ×3, first 2 shown]
; %bb.2936:
	s_cmp_gt_i32 s8, 9
	s_cbranch_scc0 .LBB143_2955
; %bb.2937:
	global_load_b128 v[24:27], v[22:23], off
	s_mov_b32 s9, 0
	s_branch .LBB143_2956
.LBB143_2938:
	s_cmp_gt_i32 s8, 22
	s_cbranch_scc0 .LBB143_2948
; %bb.2939:
	s_cmp_lt_i32 s8, 24
	s_cbranch_scc1 .LBB143_2950
; %bb.2940:
	s_cmp_gt_i32 s8, 24
	s_cbranch_scc0 .LBB143_2967
; %bb.2941:
	global_load_u8 v21, v[22:23], off
	s_mov_b32 s11, exec_lo
	s_wait_loadcnt 0x0
	v_cmpx_lt_i16_e32 0x7f, v21
	s_xor_b32 s11, exec_lo, s11
	s_cbranch_execnz .LBB143_3027
; %bb.2942:
	s_or_saveexec_b32 s11, s11
	v_mov_b64_e32 v[24:25], 0x7ff8000020000000
	s_xor_b32 exec_lo, exec_lo, s11
	s_cbranch_execnz .LBB143_3030
.LBB143_2943:
	s_or_b32 exec_lo, exec_lo, s11
	s_and_saveexec_b32 s11, s10
	s_cbranch_execz .LBB143_2945
.LBB143_2944:
	v_and_b32_e32 v24, 0xffff, v21
	s_delay_alu instid0(VALU_DEP_1) | instskip(SKIP_1) | instid1(VALU_DEP_2)
	v_and_b32_e32 v25, 3, v24
	v_bfe_u32 v29, v24, 2, 5
	v_clz_i32_u32_e32 v26, v25
	s_delay_alu instid0(VALU_DEP_2) | instskip(NEXT) | instid1(VALU_DEP_2)
	v_cmp_eq_u32_e32 vcc_lo, 0, v29
	v_min_u32_e32 v26, 32, v26
	s_delay_alu instid0(VALU_DEP_1) | instskip(NEXT) | instid1(VALU_DEP_1)
	v_subrev_nc_u32_e32 v27, 29, v26
	v_dual_lshlrev_b32 v24, v27, v24 :: v_dual_sub_nc_u32 v26, 30, v26
	s_delay_alu instid0(VALU_DEP_1) | instskip(NEXT) | instid1(VALU_DEP_2)
	v_dual_lshlrev_b32 v21, 24, v21 :: v_dual_bitop2_b32 v24, 3, v24 bitop3:0x40
	v_cndmask_b32_e32 v26, v29, v26, vcc_lo
	s_delay_alu instid0(VALU_DEP_2) | instskip(NEXT) | instid1(VALU_DEP_3)
	v_cndmask_b32_e32 v24, v25, v24, vcc_lo
	v_and_b32_e32 v21, 0x80000000, v21
	s_delay_alu instid0(VALU_DEP_3) | instskip(NEXT) | instid1(VALU_DEP_3)
	v_lshl_add_u32 v25, v26, 23, 0x37800000
	v_lshlrev_b32_e32 v24, 21, v24
	s_delay_alu instid0(VALU_DEP_1) | instskip(NEXT) | instid1(VALU_DEP_1)
	v_or3_b32 v21, v21, v25, v24
	v_cvt_f64_f32_e32 v[24:25], v21
.LBB143_2945:
	s_or_b32 exec_lo, exec_lo, s11
	s_mov_b32 s10, 0
	s_branch .LBB143_2968
.LBB143_2946:
	s_mov_b32 s9, -1
                                        ; implicit-def: $vgpr26_vgpr27
	s_branch .LBB143_2987
.LBB143_2947:
	s_mov_b32 s9, -1
                                        ; implicit-def: $vgpr26_vgpr27
	s_branch .LBB143_2962
.LBB143_2948:
	s_mov_b32 s10, -1
                                        ; implicit-def: $vgpr24_vgpr25
	s_branch .LBB143_2974
.LBB143_2949:
	s_mov_b32 s9, -1
                                        ; implicit-def: $vgpr26_vgpr27
	s_branch .LBB143_2959
.LBB143_2950:
	s_mov_b32 s10, -1
                                        ; implicit-def: $vgpr24_vgpr25
	s_branch .LBB143_2971
.LBB143_2951:
	s_mov_b32 s11, -1
	s_mov_b32 s20, exec_lo
	v_cmpx_eq_u16_e32 0x80, v21
; %bb.2952:
	s_xor_b32 s11, exec_lo, -1
; %bb.2953:
	s_or_b32 exec_lo, exec_lo, s20
	s_delay_alu instid0(SALU_CYCLE_1)
	s_and_b32 s11, s11, exec_lo
	s_or_saveexec_b32 s19, s19
	v_mov_b64_e32 v[24:25], 0x7ff8000020000000
	s_xor_b32 exec_lo, exec_lo, s19
	s_cbranch_execz .LBB143_2922
.LBB143_2954:
	v_cmp_ne_u16_e32 vcc_lo, 0, v21
	v_mov_b64_e32 v[24:25], 0
	s_and_not1_b32 s11, s11, exec_lo
	s_and_b32 s20, vcc_lo, exec_lo
	s_delay_alu instid0(SALU_CYCLE_1)
	s_or_b32 s11, s11, s20
	s_or_b32 exec_lo, exec_lo, s19
	s_and_saveexec_b32 s19, s11
	s_cbranch_execnz .LBB143_2923
	s_branch .LBB143_2924
.LBB143_2955:
	s_mov_b32 s9, -1
                                        ; implicit-def: $vgpr26_vgpr27
.LBB143_2956:
	s_delay_alu instid0(SALU_CYCLE_1)
	s_and_not1_b32 vcc_lo, exec_lo, s9
	s_cbranch_vccnz .LBB143_2958
; %bb.2957:
	s_wait_loadcnt 0x0
	global_load_b64 v[26:27], v[22:23], off
	s_wait_loadcnt 0x0
	s_wait_xcnt 0x1
	v_cvt_f64_f32_e32 v[24:25], v26
	v_cvt_f64_f32_e32 v[26:27], v27
.LBB143_2958:
	s_mov_b32 s9, 0
.LBB143_2959:
	s_delay_alu instid0(SALU_CYCLE_1)
	s_and_not1_b32 vcc_lo, exec_lo, s9
	s_cbranch_vccnz .LBB143_2961
; %bb.2960:
	global_load_b32 v21, v[22:23], off
	s_wait_loadcnt 0x0
	s_wait_xcnt 0x1
	v_lshrrev_b32_e32 v24, 16, v21
	v_cvt_f32_f16_e32 v21, v21
	s_delay_alu instid0(VALU_DEP_2) | instskip(NEXT) | instid1(VALU_DEP_2)
	v_cvt_f32_f16_e32 v26, v24
	v_cvt_f64_f32_e32 v[24:25], v21
	s_delay_alu instid0(VALU_DEP_2)
	v_cvt_f64_f32_e32 v[26:27], v26
.LBB143_2961:
	s_mov_b32 s9, 0
.LBB143_2962:
	s_delay_alu instid0(SALU_CYCLE_1)
	s_and_not1_b32 vcc_lo, exec_lo, s9
	s_cbranch_vccnz .LBB143_2986
; %bb.2963:
	s_cmp_lt_i32 s8, 6
	s_cbranch_scc1 .LBB143_2966
; %bb.2964:
	s_cmp_gt_i32 s8, 6
	s_cbranch_scc0 .LBB143_2979
; %bb.2965:
	s_wait_loadcnt 0x0
	global_load_b64 v[24:25], v[22:23], off
	s_mov_b32 s9, 0
	s_branch .LBB143_2980
.LBB143_2966:
	s_mov_b32 s9, -1
                                        ; implicit-def: $vgpr24_vgpr25
	s_branch .LBB143_2983
.LBB143_2967:
	s_mov_b32 s10, -1
                                        ; implicit-def: $vgpr24_vgpr25
.LBB143_2968:
	s_delay_alu instid0(SALU_CYCLE_1)
	s_and_b32 vcc_lo, exec_lo, s10
	s_cbranch_vccz .LBB143_2970
; %bb.2969:
	global_load_u8 v21, v[22:23], off
	s_wait_loadcnt 0x0
	v_lshlrev_b32_e32 v21, 24, v21
	s_wait_xcnt 0x1
	s_delay_alu instid0(VALU_DEP_1) | instskip(NEXT) | instid1(VALU_DEP_1)
	v_and_b32_e32 v24, 0x7f000000, v21
	v_clz_i32_u32_e32 v25, v24
	v_cmp_ne_u32_e32 vcc_lo, 0, v24
	v_add_nc_u32_e32 v27, 0x1000000, v24
	s_delay_alu instid0(VALU_DEP_3) | instskip(NEXT) | instid1(VALU_DEP_1)
	v_min_u32_e32 v25, 32, v25
	v_sub_nc_u32_e64 v25, v25, 4 clamp
	s_delay_alu instid0(VALU_DEP_1) | instskip(NEXT) | instid1(VALU_DEP_1)
	v_dual_lshlrev_b32 v26, v25, v24 :: v_dual_lshlrev_b32 v25, 23, v25
	v_lshrrev_b32_e32 v26, 4, v26
	s_delay_alu instid0(VALU_DEP_1) | instskip(NEXT) | instid1(VALU_DEP_1)
	v_dual_sub_nc_u32 v25, v26, v25 :: v_dual_ashrrev_i32 v26, 8, v27
	v_add_nc_u32_e32 v25, 0x3c000000, v25
	s_delay_alu instid0(VALU_DEP_1) | instskip(NEXT) | instid1(VALU_DEP_1)
	v_and_or_b32 v25, 0x7f800000, v26, v25
	v_cndmask_b32_e32 v24, 0, v25, vcc_lo
	s_delay_alu instid0(VALU_DEP_1) | instskip(NEXT) | instid1(VALU_DEP_1)
	v_and_or_b32 v21, 0x80000000, v21, v24
	v_cvt_f64_f32_e32 v[24:25], v21
.LBB143_2970:
	s_mov_b32 s10, 0
.LBB143_2971:
	s_delay_alu instid0(SALU_CYCLE_1)
	s_and_not1_b32 vcc_lo, exec_lo, s10
	s_cbranch_vccnz .LBB143_2973
; %bb.2972:
	global_load_u8 v21, v[22:23], off
	s_wait_loadcnt 0x0
	s_wait_xcnt 0x1
	v_lshlrev_b32_e32 v24, 25, v21
	v_lshlrev_b16 v21, 8, v21
	s_delay_alu instid0(VALU_DEP_1) | instskip(SKIP_1) | instid1(VALU_DEP_2)
	v_and_or_b32 v26, 0x7f00, v21, 0.5
	v_bfe_i32 v21, v21, 0, 16
	v_dual_add_f32 v26, -0.5, v26 :: v_dual_lshrrev_b32 v25, 4, v24
	v_cmp_gt_u32_e32 vcc_lo, 0x8000000, v24
	s_delay_alu instid0(VALU_DEP_2) | instskip(NEXT) | instid1(VALU_DEP_1)
	v_or_b32_e32 v25, 0x70000000, v25
	v_mul_f32_e32 v25, 0x7800000, v25
	s_delay_alu instid0(VALU_DEP_1) | instskip(NEXT) | instid1(VALU_DEP_1)
	v_cndmask_b32_e32 v24, v25, v26, vcc_lo
	v_and_or_b32 v21, 0x80000000, v21, v24
	s_delay_alu instid0(VALU_DEP_1)
	v_cvt_f64_f32_e32 v[24:25], v21
.LBB143_2973:
	s_mov_b32 s10, 0
	s_mov_b32 s11, -1
.LBB143_2974:
	s_and_not1_b32 vcc_lo, exec_lo, s10
	s_mov_b32 s10, 0
	s_cbranch_vccnz .LBB143_2998
; %bb.2975:
	s_cmp_gt_i32 s8, 14
	s_cbranch_scc0 .LBB143_2978
; %bb.2976:
	s_cmp_eq_u32 s8, 15
	s_cbranch_scc0 .LBB143_2994
; %bb.2977:
	global_load_u16 v21, v[22:23], off
	s_mov_b32 s9, 0
	s_mov_b32 s11, -1
	s_wait_loadcnt 0x0
	v_lshlrev_b32_e32 v21, 16, v21
	s_wait_xcnt 0x1
	s_delay_alu instid0(VALU_DEP_1)
	v_cvt_f64_f32_e32 v[24:25], v21
	s_branch .LBB143_2996
.LBB143_2978:
	s_mov_b32 s10, -1
	s_branch .LBB143_2995
.LBB143_2979:
	s_mov_b32 s9, -1
                                        ; implicit-def: $vgpr24_vgpr25
.LBB143_2980:
	s_delay_alu instid0(SALU_CYCLE_1)
	s_and_not1_b32 vcc_lo, exec_lo, s9
	s_cbranch_vccnz .LBB143_2982
; %bb.2981:
	global_load_b32 v21, v[22:23], off
	s_wait_loadcnt 0x0
	s_wait_xcnt 0x1
	v_cvt_f64_f32_e32 v[24:25], v21
.LBB143_2982:
	s_mov_b32 s9, 0
.LBB143_2983:
	s_delay_alu instid0(SALU_CYCLE_1)
	s_and_not1_b32 vcc_lo, exec_lo, s9
	s_cbranch_vccnz .LBB143_2985
; %bb.2984:
	global_load_u16 v21, v[22:23], off
	s_wait_loadcnt 0x0
	v_cvt_f32_f16_e32 v21, v21
	s_wait_xcnt 0x1
	s_delay_alu instid0(VALU_DEP_1)
	v_cvt_f64_f32_e32 v[24:25], v21
.LBB143_2985:
	s_wait_loadcnt 0x0
	v_mov_b64_e32 v[26:27], 0
.LBB143_2986:
	s_mov_b32 s9, 0
.LBB143_2987:
	s_delay_alu instid0(SALU_CYCLE_1)
	s_and_not1_b32 vcc_lo, exec_lo, s9
	s_cbranch_vccnz .LBB143_3014
; %bb.2988:
	s_cmp_lt_i32 s8, 2
	s_cbranch_scc1 .LBB143_2992
; %bb.2989:
	s_cmp_lt_i32 s8, 3
	s_cbranch_scc1 .LBB143_2993
; %bb.2990:
	s_cmp_gt_i32 s8, 3
	s_cbranch_scc0 .LBB143_3000
; %bb.2991:
	s_wait_loadcnt 0x0
	global_load_b64 v[24:25], v[22:23], off
	s_mov_b32 s9, 0
	s_wait_loadcnt 0x0
	v_cvt_f64_i32_e32 v[26:27], v25
	v_cvt_f64_u32_e32 v[24:25], v24
	s_delay_alu instid0(VALU_DEP_2) | instskip(NEXT) | instid1(VALU_DEP_1)
	v_ldexp_f64 v[26:27], v[26:27], 32
	v_add_f64_e32 v[24:25], v[26:27], v[24:25]
	s_branch .LBB143_3001
.LBB143_2992:
	s_mov_b32 s9, -1
                                        ; implicit-def: $vgpr24_vgpr25
	s_branch .LBB143_3007
.LBB143_2993:
	s_mov_b32 s9, -1
                                        ; implicit-def: $vgpr24_vgpr25
	s_branch .LBB143_3004
.LBB143_2994:
	s_mov_b32 s9, -1
.LBB143_2995:
                                        ; implicit-def: $vgpr24_vgpr25
.LBB143_2996:
	s_and_b32 vcc_lo, exec_lo, s10
	s_mov_b32 s10, 0
	s_cbranch_vccz .LBB143_2998
; %bb.2997:
	s_cmp_lg_u32 s8, 11
	s_mov_b32 s10, -1
	s_cselect_b32 s9, -1, 0
.LBB143_2998:
	v_mov_b64_e32 v[26:27], 0
	s_and_b32 vcc_lo, exec_lo, s9
	s_cbranch_vccz .LBB143_2929
.LBB143_2999:
	s_or_b32 s18, s18, exec_lo
	s_trap 2
	s_cbranch_execz .LBB143_2930
	s_branch .LBB143_2931
.LBB143_3000:
	s_mov_b32 s9, -1
                                        ; implicit-def: $vgpr24_vgpr25
.LBB143_3001:
	s_delay_alu instid0(SALU_CYCLE_1)
	s_and_not1_b32 vcc_lo, exec_lo, s9
	s_cbranch_vccnz .LBB143_3003
; %bb.3002:
	global_load_b32 v21, v[22:23], off
	s_wait_loadcnt 0x0
	s_wait_xcnt 0x1
	v_cvt_f64_i32_e32 v[24:25], v21
.LBB143_3003:
	s_mov_b32 s9, 0
.LBB143_3004:
	s_delay_alu instid0(SALU_CYCLE_1)
	s_and_not1_b32 vcc_lo, exec_lo, s9
	s_cbranch_vccnz .LBB143_3006
; %bb.3005:
	global_load_i16 v21, v[22:23], off
	s_wait_loadcnt 0x0
	s_wait_xcnt 0x1
	v_cvt_f64_i32_e32 v[24:25], v21
.LBB143_3006:
	s_mov_b32 s9, 0
.LBB143_3007:
	s_delay_alu instid0(SALU_CYCLE_1)
	s_and_not1_b32 vcc_lo, exec_lo, s9
	s_cbranch_vccnz .LBB143_3013
; %bb.3008:
	s_cmp_gt_i32 s8, 0
	s_mov_b32 s9, 0
	s_cbranch_scc0 .LBB143_3010
; %bb.3009:
	global_load_i8 v21, v[22:23], off
	s_wait_loadcnt 0x0
	s_wait_xcnt 0x1
	v_cvt_f64_i32_e32 v[24:25], v21
	s_branch .LBB143_3011
.LBB143_3010:
	s_mov_b32 s9, -1
                                        ; implicit-def: $vgpr24_vgpr25
.LBB143_3011:
	s_delay_alu instid0(SALU_CYCLE_1)
	s_and_not1_b32 vcc_lo, exec_lo, s9
	s_cbranch_vccnz .LBB143_3013
; %bb.3012:
	global_load_u8 v21, v[22:23], off
	s_wait_loadcnt 0x0
	s_wait_xcnt 0x1
	v_cvt_f64_u32_e32 v[24:25], v21
.LBB143_3013:
	s_wait_loadcnt 0x0
	v_mov_b64_e32 v[26:27], 0
.LBB143_3014:
	s_mov_b32 s11, -1
.LBB143_3015:
	s_delay_alu instid0(SALU_CYCLE_1)
	s_and_not1_b32 vcc_lo, exec_lo, s11
	s_cbranch_vccnz .LBB143_4271
; %bb.3016:
	v_mov_b32_e32 v21, 0
	s_cmp_lt_i32 s6, 11
	s_delay_alu instid0(VALU_DEP_1)
	v_add_nc_u64_e32 v[30:31], s[14:15], v[20:21]
	s_cbranch_scc1 .LBB143_3023
; %bb.3017:
	s_cmp_gt_i32 s6, 25
	s_mov_b32 s10, 0
	s_cbranch_scc0 .LBB143_3024
; %bb.3018:
	s_cmp_gt_i32 s6, 28
	s_cbranch_scc0 .LBB143_3025
; %bb.3019:
	s_cmp_gt_i32 s6, 43
	;; [unrolled: 3-line block ×3, first 2 shown]
	s_cbranch_scc0 .LBB143_3031
; %bb.3021:
	s_cmp_eq_u32 s6, 46
	s_mov_b32 s19, 0
	s_cbranch_scc0 .LBB143_3036
; %bb.3022:
	global_load_b32 v20, v[30:31], off
	s_mov_b32 s9, 0
	s_mov_b32 s11, -1
	s_wait_loadcnt 0x0
	v_lshlrev_b32_e32 v21, 16, v20
	s_wait_xcnt 0x1
	v_and_b32_e32 v22, 0xffff0000, v20
	s_delay_alu instid0(VALU_DEP_2) | instskip(NEXT) | instid1(VALU_DEP_2)
	v_cvt_f64_f32_e32 v[20:21], v21
	v_cvt_f64_f32_e32 v[22:23], v22
	s_branch .LBB143_3038
.LBB143_3023:
	s_mov_b32 s9, -1
	s_mov_b32 s11, 0
                                        ; implicit-def: $vgpr22_vgpr23
	s_branch .LBB143_3072
.LBB143_3024:
	s_mov_b32 s19, -1
	s_mov_b32 s11, 0
	s_mov_b32 s9, 0
                                        ; implicit-def: $vgpr22_vgpr23
	s_branch .LBB143_3067
.LBB143_3025:
	s_mov_b32 s19, -1
	s_mov_b32 s11, 0
	s_mov_b32 s9, 0
                                        ; implicit-def: $vgpr22_vgpr23
	s_branch .LBB143_3050
.LBB143_3026:
	s_mov_b32 s19, -1
	s_mov_b32 s11, 0
	s_mov_b32 s9, 0
                                        ; implicit-def: $vgpr22_vgpr23
	s_branch .LBB143_3044
.LBB143_3027:
	s_mov_b32 s10, -1
	s_mov_b32 s19, exec_lo
	v_cmpx_eq_u16_e32 0x80, v21
; %bb.3028:
	s_xor_b32 s10, exec_lo, -1
; %bb.3029:
	s_or_b32 exec_lo, exec_lo, s19
	s_delay_alu instid0(SALU_CYCLE_1)
	s_and_b32 s10, s10, exec_lo
	s_or_saveexec_b32 s11, s11
	v_mov_b64_e32 v[24:25], 0x7ff8000020000000
	s_xor_b32 exec_lo, exec_lo, s11
	s_cbranch_execz .LBB143_2943
.LBB143_3030:
	v_cmp_ne_u16_e32 vcc_lo, 0, v21
	v_mov_b64_e32 v[24:25], 0
	s_and_not1_b32 s10, s10, exec_lo
	s_and_b32 s19, vcc_lo, exec_lo
	s_delay_alu instid0(SALU_CYCLE_1)
	s_or_b32 s10, s10, s19
	s_or_b32 exec_lo, exec_lo, s11
	s_and_saveexec_b32 s11, s10
	s_cbranch_execnz .LBB143_2944
	s_branch .LBB143_2945
.LBB143_3031:
	s_mov_b32 s19, -1
	s_mov_b32 s11, 0
	s_mov_b32 s9, 0
	s_branch .LBB143_3037
.LBB143_3032:
	v_bfe_u32 v7, v6, 21, 1
	s_mov_b32 s60, exec_lo
	s_delay_alu instid0(VALU_DEP_1) | instskip(NEXT) | instid1(VALU_DEP_1)
	v_add3_u32 v7, v6, v7, 0x88fffff
	v_lshrrev_b32_e32 v7, 21, v7
	s_and_not1_saveexec_b32 s61, s61
	s_cbranch_execz .LBB143_1005
.LBB143_3033:
	v_add_f32_e64 v7, 0x42800000, |v6|
	s_and_not1_b32 s60, s60, exec_lo
	s_delay_alu instid0(VALU_DEP_1) | instskip(NEXT) | instid1(VALU_DEP_1)
	v_and_b32_e32 v7, 0xff, v7
	v_cmp_ne_u32_e32 vcc_lo, 0, v7
	s_and_b32 s63, vcc_lo, exec_lo
	s_delay_alu instid0(SALU_CYCLE_1)
	s_or_b32 s60, s60, s63
	s_or_b32 exec_lo, exec_lo, s61
	v_mov_b32_e32 v8, 0
	s_and_saveexec_b32 s61, s60
	s_cbranch_execnz .LBB143_1006
	s_branch .LBB143_1007
.LBB143_3034:
	v_bfe_u32 v7, v6, 20, 1
	s_mov_b32 s66, exec_lo
	s_delay_alu instid0(VALU_DEP_1) | instskip(NEXT) | instid1(VALU_DEP_1)
	v_add3_u32 v7, v6, v7, 0x487ffff
	v_lshrrev_b32_e32 v7, 20, v7
	s_and_not1_saveexec_b32 s67, s67
	s_cbranch_execz .LBB143_1540
.LBB143_3035:
	v_add_f32_e64 v7, 0x46000000, |v6|
	s_and_not1_b32 s66, s66, exec_lo
	s_delay_alu instid0(VALU_DEP_1) | instskip(NEXT) | instid1(VALU_DEP_1)
	v_and_b32_e32 v7, 0xff, v7
	v_cmp_ne_u32_e32 vcc_lo, 0, v7
	s_and_b32 s68, vcc_lo, exec_lo
	s_delay_alu instid0(SALU_CYCLE_1)
	s_or_b32 s66, s66, s68
	s_or_b32 exec_lo, exec_lo, s67
	v_mov_b32_e32 v8, 0
	s_and_saveexec_b32 s67, s66
	s_cbranch_execnz .LBB143_1541
	s_branch .LBB143_1542
.LBB143_3036:
	s_mov_b32 s9, -1
	s_mov_b32 s11, 0
.LBB143_3037:
                                        ; implicit-def: $vgpr22_vgpr23
.LBB143_3038:
	s_and_b32 vcc_lo, exec_lo, s19
	s_cbranch_vccz .LBB143_3043
; %bb.3039:
	s_cmp_eq_u32 s6, 44
	s_cbranch_scc0 .LBB143_3041
; %bb.3040:
	global_load_u8 v22, v[30:31], off
	s_mov_b32 s9, 0
	s_mov_b32 s11, -1
	s_wait_loadcnt 0x0
	v_cmp_ne_u32_e32 vcc_lo, 0xff, v22
	v_lshlrev_b32_e32 v20, 23, v22
	s_delay_alu instid0(VALU_DEP_1) | instskip(NEXT) | instid1(VALU_DEP_1)
	v_cvt_f64_f32_e32 v[20:21], v20
	v_cndmask_b32_e32 v20, 0x20000000, v20, vcc_lo
	s_delay_alu instid0(VALU_DEP_2) | instskip(SKIP_1) | instid1(VALU_DEP_2)
	v_cndmask_b32_e32 v21, 0x7ff80000, v21, vcc_lo
	v_cmp_ne_u32_e32 vcc_lo, 0, v22
	v_cndmask_b32_e32 v21, 0x38000000, v21, vcc_lo
	s_delay_alu instid0(VALU_DEP_4)
	v_cndmask_b32_e32 v20, 0, v20, vcc_lo
	s_branch .LBB143_3042
.LBB143_3041:
	s_mov_b32 s9, -1
                                        ; implicit-def: $vgpr20_vgpr21
.LBB143_3042:
	s_wait_xcnt 0x0
	v_mov_b64_e32 v[22:23], 0
.LBB143_3043:
	s_mov_b32 s19, 0
.LBB143_3044:
	s_delay_alu instid0(SALU_CYCLE_1)
	s_and_b32 vcc_lo, exec_lo, s19
	s_cbranch_vccz .LBB143_3049
; %bb.3045:
	s_cmp_eq_u32 s6, 29
	s_cbranch_scc0 .LBB143_3047
; %bb.3046:
	global_load_b64 v[20:21], v[30:31], off
	s_mov_b32 s9, 0
	s_mov_b32 s11, -1
	s_wait_loadcnt 0x0
	s_wait_xcnt 0x1
	v_cvt_f64_u32_e32 v[22:23], v21
	v_cvt_f64_u32_e32 v[20:21], v20
	s_delay_alu instid0(VALU_DEP_2) | instskip(NEXT) | instid1(VALU_DEP_1)
	v_ldexp_f64 v[22:23], v[22:23], 32
	v_add_f64_e32 v[20:21], v[22:23], v[20:21]
	s_branch .LBB143_3048
.LBB143_3047:
	s_mov_b32 s9, -1
                                        ; implicit-def: $vgpr20_vgpr21
.LBB143_3048:
	s_wait_xcnt 0x0
	v_mov_b64_e32 v[22:23], 0
.LBB143_3049:
	s_mov_b32 s19, 0
.LBB143_3050:
	s_delay_alu instid0(SALU_CYCLE_1)
	s_and_b32 vcc_lo, exec_lo, s19
	s_cbranch_vccz .LBB143_3066
; %bb.3051:
	s_cmp_lt_i32 s6, 27
	s_cbranch_scc1 .LBB143_3054
; %bb.3052:
	s_cmp_gt_i32 s6, 27
	s_cbranch_scc0 .LBB143_3055
; %bb.3053:
	global_load_b32 v20, v[30:31], off
	s_mov_b32 s11, 0
	s_wait_loadcnt 0x0
	v_cvt_f64_u32_e32 v[20:21], v20
	s_branch .LBB143_3056
.LBB143_3054:
	s_mov_b32 s11, -1
                                        ; implicit-def: $vgpr20_vgpr21
	s_branch .LBB143_3059
.LBB143_3055:
	s_mov_b32 s11, -1
                                        ; implicit-def: $vgpr20_vgpr21
.LBB143_3056:
	s_delay_alu instid0(SALU_CYCLE_1)
	s_and_not1_b32 vcc_lo, exec_lo, s11
	s_cbranch_vccnz .LBB143_3058
; %bb.3057:
	global_load_u16 v20, v[30:31], off
	s_wait_loadcnt 0x0
	v_cvt_f64_u32_e32 v[20:21], v20
.LBB143_3058:
	s_mov_b32 s11, 0
.LBB143_3059:
	s_delay_alu instid0(SALU_CYCLE_1)
	s_and_not1_b32 vcc_lo, exec_lo, s11
	s_cbranch_vccnz .LBB143_3065
; %bb.3060:
	global_load_u8 v22, v[30:31], off
	s_mov_b32 s11, 0
	s_mov_b32 s19, exec_lo
	s_wait_loadcnt 0x0
	v_cmpx_lt_i16_e32 0x7f, v22
	s_xor_b32 s19, exec_lo, s19
	s_cbranch_execnz .LBB143_3091
; %bb.3061:
	s_or_saveexec_b32 s19, s19
	v_mov_b64_e32 v[20:21], 0x7ff8000020000000
	s_xor_b32 exec_lo, exec_lo, s19
	s_cbranch_execnz .LBB143_3094
.LBB143_3062:
	s_or_b32 exec_lo, exec_lo, s19
	s_and_saveexec_b32 s19, s11
	s_cbranch_execz .LBB143_3064
.LBB143_3063:
	v_and_b32_e32 v20, 0xffff, v22
	s_delay_alu instid0(VALU_DEP_1) | instskip(SKIP_1) | instid1(VALU_DEP_2)
	v_and_b32_e32 v21, 7, v20
	v_bfe_u32 v33, v20, 3, 4
	v_clz_i32_u32_e32 v23, v21
	s_delay_alu instid0(VALU_DEP_2) | instskip(NEXT) | instid1(VALU_DEP_2)
	v_cmp_eq_u32_e32 vcc_lo, 0, v33
	v_min_u32_e32 v23, 32, v23
	s_delay_alu instid0(VALU_DEP_1) | instskip(NEXT) | instid1(VALU_DEP_1)
	v_subrev_nc_u32_e32 v29, 28, v23
	v_dual_lshlrev_b32 v20, v29, v20 :: v_dual_sub_nc_u32 v23, 29, v23
	s_delay_alu instid0(VALU_DEP_1) | instskip(NEXT) | instid1(VALU_DEP_2)
	v_dual_lshlrev_b32 v22, 24, v22 :: v_dual_bitop2_b32 v20, 7, v20 bitop3:0x40
	v_cndmask_b32_e32 v23, v33, v23, vcc_lo
	s_delay_alu instid0(VALU_DEP_2) | instskip(NEXT) | instid1(VALU_DEP_3)
	v_cndmask_b32_e32 v20, v21, v20, vcc_lo
	v_and_b32_e32 v21, 0x80000000, v22
	s_delay_alu instid0(VALU_DEP_3) | instskip(NEXT) | instid1(VALU_DEP_3)
	v_lshl_add_u32 v22, v23, 23, 0x3b800000
	v_lshlrev_b32_e32 v20, 20, v20
	s_delay_alu instid0(VALU_DEP_1) | instskip(NEXT) | instid1(VALU_DEP_1)
	v_or3_b32 v20, v21, v22, v20
	v_cvt_f64_f32_e32 v[20:21], v20
.LBB143_3064:
	s_or_b32 exec_lo, exec_lo, s19
.LBB143_3065:
	s_wait_xcnt 0x0
	v_mov_b64_e32 v[22:23], 0
	s_mov_b32 s11, -1
.LBB143_3066:
	s_mov_b32 s19, 0
.LBB143_3067:
	s_delay_alu instid0(SALU_CYCLE_1)
	s_and_b32 vcc_lo, exec_lo, s19
	s_cbranch_vccnz .LBB143_3078
; %bb.3068:
	s_and_b32 vcc_lo, exec_lo, s9
	s_cbranch_vccnz .LBB143_3139
.LBB143_3069:
	s_and_not1_b32 vcc_lo, exec_lo, s10
	s_cbranch_vccnz .LBB143_3071
.LBB143_3070:
	global_load_u8 v20, v[30:31], off
	s_wait_xcnt 0x1
	v_mov_b64_e32 v[22:23], 0
	s_mov_b32 s11, -1
	s_wait_loadcnt 0x0
	v_cmp_ne_u16_e32 vcc_lo, 0, v20
	v_mov_b32_e32 v20, 0
	v_cndmask_b32_e64 v21, 0, 0x3ff00000, vcc_lo
.LBB143_3071:
	s_mov_b32 s9, 0
.LBB143_3072:
	s_delay_alu instid0(SALU_CYCLE_1)
	s_and_b32 vcc_lo, exec_lo, s9
	s_cbranch_vccz .LBB143_3155
; %bb.3073:
	s_cmp_lt_i32 s6, 5
	s_cbranch_scc1 .LBB143_3086
; %bb.3074:
	s_cmp_lt_i32 s6, 8
	s_cbranch_scc1 .LBB143_3087
	;; [unrolled: 3-line block ×3, first 2 shown]
; %bb.3076:
	s_cmp_gt_i32 s6, 9
	s_cbranch_scc0 .LBB143_3095
; %bb.3077:
	global_load_b128 v[20:23], v[30:31], off
	s_mov_b32 s9, 0
	s_branch .LBB143_3096
.LBB143_3078:
	s_cmp_gt_i32 s6, 22
	s_cbranch_scc0 .LBB143_3088
; %bb.3079:
	s_cmp_lt_i32 s6, 24
	s_cbranch_scc1 .LBB143_3090
; %bb.3080:
	s_cmp_gt_i32 s6, 24
	s_cbranch_scc0 .LBB143_3107
; %bb.3081:
	global_load_u8 v22, v[30:31], off
	s_mov_b32 s11, exec_lo
	s_wait_loadcnt 0x0
	v_cmpx_lt_i16_e32 0x7f, v22
	s_xor_b32 s11, exec_lo, s11
	s_cbranch_execnz .LBB143_3167
; %bb.3082:
	s_or_saveexec_b32 s11, s11
	v_mov_b64_e32 v[20:21], 0x7ff8000020000000
	s_xor_b32 exec_lo, exec_lo, s11
	s_cbranch_execnz .LBB143_3170
.LBB143_3083:
	s_or_b32 exec_lo, exec_lo, s11
	s_and_saveexec_b32 s11, s10
	s_cbranch_execz .LBB143_3085
.LBB143_3084:
	v_and_b32_e32 v20, 0xffff, v22
	s_delay_alu instid0(VALU_DEP_1) | instskip(SKIP_1) | instid1(VALU_DEP_2)
	v_and_b32_e32 v21, 3, v20
	v_bfe_u32 v33, v20, 2, 5
	v_clz_i32_u32_e32 v23, v21
	s_delay_alu instid0(VALU_DEP_2) | instskip(NEXT) | instid1(VALU_DEP_2)
	v_cmp_eq_u32_e32 vcc_lo, 0, v33
	v_min_u32_e32 v23, 32, v23
	s_delay_alu instid0(VALU_DEP_1) | instskip(NEXT) | instid1(VALU_DEP_1)
	v_subrev_nc_u32_e32 v29, 29, v23
	v_dual_lshlrev_b32 v20, v29, v20 :: v_dual_sub_nc_u32 v23, 30, v23
	s_delay_alu instid0(VALU_DEP_1) | instskip(NEXT) | instid1(VALU_DEP_2)
	v_dual_lshlrev_b32 v22, 24, v22 :: v_dual_bitop2_b32 v20, 3, v20 bitop3:0x40
	v_cndmask_b32_e32 v23, v33, v23, vcc_lo
	s_delay_alu instid0(VALU_DEP_2) | instskip(NEXT) | instid1(VALU_DEP_3)
	v_cndmask_b32_e32 v20, v21, v20, vcc_lo
	v_and_b32_e32 v21, 0x80000000, v22
	s_delay_alu instid0(VALU_DEP_3) | instskip(NEXT) | instid1(VALU_DEP_3)
	v_lshl_add_u32 v22, v23, 23, 0x37800000
	v_lshlrev_b32_e32 v20, 21, v20
	s_delay_alu instid0(VALU_DEP_1) | instskip(NEXT) | instid1(VALU_DEP_1)
	v_or3_b32 v20, v21, v22, v20
	v_cvt_f64_f32_e32 v[20:21], v20
.LBB143_3085:
	s_or_b32 exec_lo, exec_lo, s11
	s_mov_b32 s10, 0
	s_branch .LBB143_3108
.LBB143_3086:
	s_mov_b32 s9, -1
                                        ; implicit-def: $vgpr22_vgpr23
	s_branch .LBB143_3127
.LBB143_3087:
	s_mov_b32 s9, -1
                                        ; implicit-def: $vgpr22_vgpr23
	s_branch .LBB143_3102
.LBB143_3088:
	s_mov_b32 s10, -1
                                        ; implicit-def: $vgpr20_vgpr21
	s_branch .LBB143_3114
.LBB143_3089:
	s_mov_b32 s9, -1
                                        ; implicit-def: $vgpr22_vgpr23
	s_branch .LBB143_3099
.LBB143_3090:
	s_mov_b32 s10, -1
                                        ; implicit-def: $vgpr20_vgpr21
	s_branch .LBB143_3111
.LBB143_3091:
	s_mov_b32 s11, -1
	s_mov_b32 s20, exec_lo
	v_cmpx_eq_u16_e32 0x80, v22
; %bb.3092:
	s_xor_b32 s11, exec_lo, -1
; %bb.3093:
	s_or_b32 exec_lo, exec_lo, s20
	s_delay_alu instid0(SALU_CYCLE_1)
	s_and_b32 s11, s11, exec_lo
	s_or_saveexec_b32 s19, s19
	v_mov_b64_e32 v[20:21], 0x7ff8000020000000
	s_xor_b32 exec_lo, exec_lo, s19
	s_cbranch_execz .LBB143_3062
.LBB143_3094:
	v_cmp_ne_u16_e32 vcc_lo, 0, v22
	v_mov_b64_e32 v[20:21], 0
	s_and_not1_b32 s11, s11, exec_lo
	s_and_b32 s20, vcc_lo, exec_lo
	s_delay_alu instid0(SALU_CYCLE_1)
	s_or_b32 s11, s11, s20
	s_or_b32 exec_lo, exec_lo, s19
	s_and_saveexec_b32 s19, s11
	s_cbranch_execnz .LBB143_3063
	s_branch .LBB143_3064
.LBB143_3095:
	s_mov_b32 s9, -1
                                        ; implicit-def: $vgpr22_vgpr23
.LBB143_3096:
	s_delay_alu instid0(SALU_CYCLE_1)
	s_and_not1_b32 vcc_lo, exec_lo, s9
	s_cbranch_vccnz .LBB143_3098
; %bb.3097:
	s_wait_loadcnt 0x0
	global_load_b64 v[22:23], v[30:31], off
	s_wait_loadcnt 0x0
	v_cvt_f64_f32_e32 v[20:21], v22
	v_cvt_f64_f32_e32 v[22:23], v23
.LBB143_3098:
	s_mov_b32 s9, 0
.LBB143_3099:
	s_delay_alu instid0(SALU_CYCLE_1)
	s_and_not1_b32 vcc_lo, exec_lo, s9
	s_cbranch_vccnz .LBB143_3101
; %bb.3100:
	s_wait_loadcnt 0x0
	global_load_b32 v20, v[30:31], off
	s_wait_loadcnt 0x0
	v_lshrrev_b32_e32 v21, 16, v20
	v_cvt_f32_f16_e32 v20, v20
	s_wait_xcnt 0x1
	s_delay_alu instid0(VALU_DEP_2) | instskip(NEXT) | instid1(VALU_DEP_2)
	v_cvt_f32_f16_e32 v22, v21
	v_cvt_f64_f32_e32 v[20:21], v20
	s_delay_alu instid0(VALU_DEP_2)
	v_cvt_f64_f32_e32 v[22:23], v22
.LBB143_3101:
	s_mov_b32 s9, 0
.LBB143_3102:
	s_delay_alu instid0(SALU_CYCLE_1)
	s_and_not1_b32 vcc_lo, exec_lo, s9
	s_cbranch_vccnz .LBB143_3126
; %bb.3103:
	s_cmp_lt_i32 s6, 6
	s_cbranch_scc1 .LBB143_3106
; %bb.3104:
	s_cmp_gt_i32 s6, 6
	s_cbranch_scc0 .LBB143_3119
; %bb.3105:
	s_wait_loadcnt 0x0
	global_load_b64 v[20:21], v[30:31], off
	s_mov_b32 s9, 0
	s_branch .LBB143_3120
.LBB143_3106:
	s_mov_b32 s9, -1
                                        ; implicit-def: $vgpr20_vgpr21
	s_branch .LBB143_3123
.LBB143_3107:
	s_mov_b32 s10, -1
                                        ; implicit-def: $vgpr20_vgpr21
.LBB143_3108:
	s_delay_alu instid0(SALU_CYCLE_1)
	s_and_b32 vcc_lo, exec_lo, s10
	s_cbranch_vccz .LBB143_3110
; %bb.3109:
	global_load_u8 v20, v[30:31], off
	s_wait_loadcnt 0x0
	v_lshlrev_b32_e32 v20, 24, v20
	s_delay_alu instid0(VALU_DEP_1) | instskip(SKIP_1) | instid1(VALU_DEP_1)
	v_and_b32_e32 v21, 0x7f000000, v20
	s_wait_xcnt 0x1
	v_clz_i32_u32_e32 v22, v21
	v_add_nc_u32_e32 v29, 0x1000000, v21
	v_cmp_ne_u32_e32 vcc_lo, 0, v21
	s_delay_alu instid0(VALU_DEP_3) | instskip(NEXT) | instid1(VALU_DEP_1)
	v_min_u32_e32 v22, 32, v22
	v_sub_nc_u32_e64 v22, v22, 4 clamp
	s_delay_alu instid0(VALU_DEP_1) | instskip(NEXT) | instid1(VALU_DEP_1)
	v_dual_lshlrev_b32 v23, v22, v21 :: v_dual_lshlrev_b32 v22, 23, v22
	v_lshrrev_b32_e32 v23, 4, v23
	s_delay_alu instid0(VALU_DEP_1) | instskip(NEXT) | instid1(VALU_DEP_1)
	v_dual_sub_nc_u32 v22, v23, v22 :: v_dual_ashrrev_i32 v23, 8, v29
	v_add_nc_u32_e32 v22, 0x3c000000, v22
	s_delay_alu instid0(VALU_DEP_1) | instskip(NEXT) | instid1(VALU_DEP_1)
	v_and_or_b32 v22, 0x7f800000, v23, v22
	v_cndmask_b32_e32 v21, 0, v22, vcc_lo
	s_delay_alu instid0(VALU_DEP_1) | instskip(NEXT) | instid1(VALU_DEP_1)
	v_and_or_b32 v20, 0x80000000, v20, v21
	v_cvt_f64_f32_e32 v[20:21], v20
.LBB143_3110:
	s_mov_b32 s10, 0
.LBB143_3111:
	s_delay_alu instid0(SALU_CYCLE_1)
	s_and_not1_b32 vcc_lo, exec_lo, s10
	s_cbranch_vccnz .LBB143_3113
; %bb.3112:
	global_load_u8 v20, v[30:31], off
	s_wait_loadcnt 0x0
	v_lshlrev_b32_e32 v21, 25, v20
	v_lshlrev_b16 v20, 8, v20
	s_wait_xcnt 0x1
	s_delay_alu instid0(VALU_DEP_1) | instskip(SKIP_1) | instid1(VALU_DEP_2)
	v_and_or_b32 v23, 0x7f00, v20, 0.5
	v_bfe_i32 v20, v20, 0, 16
	v_dual_add_f32 v23, -0.5, v23 :: v_dual_lshrrev_b32 v22, 4, v21
	v_cmp_gt_u32_e32 vcc_lo, 0x8000000, v21
	s_delay_alu instid0(VALU_DEP_2) | instskip(NEXT) | instid1(VALU_DEP_1)
	v_or_b32_e32 v22, 0x70000000, v22
	v_mul_f32_e32 v22, 0x7800000, v22
	s_delay_alu instid0(VALU_DEP_1) | instskip(NEXT) | instid1(VALU_DEP_1)
	v_cndmask_b32_e32 v21, v22, v23, vcc_lo
	v_and_or_b32 v20, 0x80000000, v20, v21
	s_delay_alu instid0(VALU_DEP_1)
	v_cvt_f64_f32_e32 v[20:21], v20
.LBB143_3113:
	s_mov_b32 s10, 0
	s_mov_b32 s11, -1
.LBB143_3114:
	s_and_not1_b32 vcc_lo, exec_lo, s10
	s_mov_b32 s10, 0
	s_cbranch_vccnz .LBB143_3138
; %bb.3115:
	s_cmp_gt_i32 s6, 14
	s_cbranch_scc0 .LBB143_3118
; %bb.3116:
	s_cmp_eq_u32 s6, 15
	s_cbranch_scc0 .LBB143_3134
; %bb.3117:
	global_load_u16 v20, v[30:31], off
	s_mov_b32 s9, 0
	s_mov_b32 s11, -1
	s_wait_loadcnt 0x0
	v_lshlrev_b32_e32 v20, 16, v20
	s_delay_alu instid0(VALU_DEP_1)
	v_cvt_f64_f32_e32 v[20:21], v20
	s_branch .LBB143_3136
.LBB143_3118:
	s_mov_b32 s10, -1
	s_branch .LBB143_3135
.LBB143_3119:
	s_mov_b32 s9, -1
                                        ; implicit-def: $vgpr20_vgpr21
.LBB143_3120:
	s_delay_alu instid0(SALU_CYCLE_1)
	s_and_not1_b32 vcc_lo, exec_lo, s9
	s_cbranch_vccnz .LBB143_3122
; %bb.3121:
	s_wait_loadcnt 0x0
	global_load_b32 v20, v[30:31], off
	s_wait_loadcnt 0x0
	v_cvt_f64_f32_e32 v[20:21], v20
.LBB143_3122:
	s_mov_b32 s9, 0
.LBB143_3123:
	s_delay_alu instid0(SALU_CYCLE_1)
	s_and_not1_b32 vcc_lo, exec_lo, s9
	s_cbranch_vccnz .LBB143_3125
; %bb.3124:
	s_wait_loadcnt 0x0
	global_load_u16 v20, v[30:31], off
	s_wait_loadcnt 0x0
	v_cvt_f32_f16_e32 v20, v20
	s_delay_alu instid0(VALU_DEP_1)
	v_cvt_f64_f32_e32 v[20:21], v20
.LBB143_3125:
	s_wait_loadcnt 0x0
	v_mov_b64_e32 v[22:23], 0
.LBB143_3126:
	s_mov_b32 s9, 0
.LBB143_3127:
	s_delay_alu instid0(SALU_CYCLE_1)
	s_and_not1_b32 vcc_lo, exec_lo, s9
	s_cbranch_vccnz .LBB143_3154
; %bb.3128:
	s_cmp_lt_i32 s6, 2
	s_cbranch_scc1 .LBB143_3132
; %bb.3129:
	s_cmp_lt_i32 s6, 3
	s_cbranch_scc1 .LBB143_3133
; %bb.3130:
	s_cmp_gt_i32 s6, 3
	s_cbranch_scc0 .LBB143_3140
; %bb.3131:
	s_wait_loadcnt 0x0
	global_load_b64 v[20:21], v[30:31], off
	s_mov_b32 s9, 0
	s_wait_loadcnt 0x0
	s_wait_xcnt 0x1
	v_cvt_f64_i32_e32 v[22:23], v21
	v_cvt_f64_u32_e32 v[20:21], v20
	s_delay_alu instid0(VALU_DEP_2) | instskip(NEXT) | instid1(VALU_DEP_1)
	v_ldexp_f64 v[22:23], v[22:23], 32
	v_add_f64_e32 v[20:21], v[22:23], v[20:21]
	s_branch .LBB143_3141
.LBB143_3132:
	s_mov_b32 s9, -1
                                        ; implicit-def: $vgpr20_vgpr21
	s_branch .LBB143_3147
.LBB143_3133:
	s_mov_b32 s9, -1
                                        ; implicit-def: $vgpr20_vgpr21
	s_branch .LBB143_3144
.LBB143_3134:
	s_mov_b32 s9, -1
.LBB143_3135:
                                        ; implicit-def: $vgpr20_vgpr21
.LBB143_3136:
	s_and_b32 vcc_lo, exec_lo, s10
	s_mov_b32 s10, 0
	s_cbranch_vccz .LBB143_3138
; %bb.3137:
	s_cmp_lg_u32 s6, 11
	s_mov_b32 s10, -1
	s_cselect_b32 s9, -1, 0
.LBB143_3138:
	s_wait_xcnt 0x0
	v_mov_b64_e32 v[22:23], 0
	s_and_b32 vcc_lo, exec_lo, s9
	s_cbranch_vccz .LBB143_3069
.LBB143_3139:
	s_or_b32 s18, s18, exec_lo
	s_trap 2
	s_cbranch_execz .LBB143_3070
	s_branch .LBB143_3071
.LBB143_3140:
	s_mov_b32 s9, -1
                                        ; implicit-def: $vgpr20_vgpr21
.LBB143_3141:
	s_delay_alu instid0(SALU_CYCLE_1)
	s_and_not1_b32 vcc_lo, exec_lo, s9
	s_cbranch_vccnz .LBB143_3143
; %bb.3142:
	s_wait_loadcnt 0x0
	global_load_b32 v20, v[30:31], off
	s_wait_loadcnt 0x0
	v_cvt_f64_i32_e32 v[20:21], v20
.LBB143_3143:
	s_mov_b32 s9, 0
.LBB143_3144:
	s_delay_alu instid0(SALU_CYCLE_1)
	s_and_not1_b32 vcc_lo, exec_lo, s9
	s_cbranch_vccnz .LBB143_3146
; %bb.3145:
	s_wait_loadcnt 0x0
	global_load_i16 v20, v[30:31], off
	s_wait_loadcnt 0x0
	v_cvt_f64_i32_e32 v[20:21], v20
.LBB143_3146:
	s_mov_b32 s9, 0
.LBB143_3147:
	s_delay_alu instid0(SALU_CYCLE_1)
	s_and_not1_b32 vcc_lo, exec_lo, s9
	s_cbranch_vccnz .LBB143_3153
; %bb.3148:
	s_cmp_gt_i32 s6, 0
	s_mov_b32 s9, 0
	s_cbranch_scc0 .LBB143_3150
; %bb.3149:
	s_wait_loadcnt 0x0
	global_load_i8 v20, v[30:31], off
	s_wait_loadcnt 0x0
	v_cvt_f64_i32_e32 v[20:21], v20
	s_branch .LBB143_3151
.LBB143_3150:
	s_mov_b32 s9, -1
                                        ; implicit-def: $vgpr20_vgpr21
.LBB143_3151:
	s_delay_alu instid0(SALU_CYCLE_1)
	s_and_not1_b32 vcc_lo, exec_lo, s9
	s_cbranch_vccnz .LBB143_3153
; %bb.3152:
	s_wait_loadcnt 0x0
	global_load_u8 v20, v[30:31], off
	s_wait_loadcnt 0x0
	v_cvt_f64_u32_e32 v[20:21], v20
.LBB143_3153:
	s_wait_loadcnt 0x0
	v_mov_b64_e32 v[22:23], 0
.LBB143_3154:
	s_mov_b32 s11, -1
.LBB143_3155:
	s_delay_alu instid0(SALU_CYCLE_1)
	s_and_not1_b32 vcc_lo, exec_lo, s11
	s_cbranch_vccnz .LBB143_4271
; %bb.3156:
	v_mov_b32_e32 v29, 0
	s_cmp_lt_i32 s7, 11
	s_delay_alu instid0(VALU_DEP_1)
	v_add_nc_u64_e32 v[36:37], s[0:1], v[28:29]
	s_cbranch_scc1 .LBB143_3163
; %bb.3157:
	s_cmp_gt_i32 s7, 25
	s_mov_b32 s10, 0
	s_cbranch_scc0 .LBB143_3164
; %bb.3158:
	s_cmp_gt_i32 s7, 28
	s_cbranch_scc0 .LBB143_3165
; %bb.3159:
	s_cmp_gt_i32 s7, 43
	;; [unrolled: 3-line block ×3, first 2 shown]
	s_cbranch_scc0 .LBB143_3171
; %bb.3161:
	s_cmp_eq_u32 s7, 46
	s_mov_b32 s19, 0
	s_cbranch_scc0 .LBB143_3174
; %bb.3162:
	global_load_b32 v28, v[36:37], off
	s_mov_b32 s9, 0
	s_mov_b32 s11, -1
	s_wait_loadcnt 0x0
	v_lshlrev_b32_e32 v29, 16, v28
	s_wait_xcnt 0x1
	v_and_b32_e32 v30, 0xffff0000, v28
	s_delay_alu instid0(VALU_DEP_2) | instskip(NEXT) | instid1(VALU_DEP_2)
	v_cvt_f64_f32_e32 v[28:29], v29
	v_cvt_f64_f32_e32 v[30:31], v30
	s_branch .LBB143_3176
.LBB143_3163:
	s_mov_b32 s9, -1
	s_mov_b32 s11, 0
                                        ; implicit-def: $vgpr30_vgpr31
	s_branch .LBB143_3210
.LBB143_3164:
	s_mov_b32 s19, -1
	s_mov_b32 s11, 0
	s_mov_b32 s9, 0
                                        ; implicit-def: $vgpr30_vgpr31
	s_branch .LBB143_3205
.LBB143_3165:
	s_mov_b32 s19, -1
	s_mov_b32 s11, 0
	s_mov_b32 s9, 0
                                        ; implicit-def: $vgpr30_vgpr31
	s_branch .LBB143_3188
.LBB143_3166:
	s_mov_b32 s19, -1
	s_mov_b32 s11, 0
	s_mov_b32 s9, 0
                                        ; implicit-def: $vgpr30_vgpr31
	s_branch .LBB143_3182
.LBB143_3167:
	s_mov_b32 s10, -1
	s_mov_b32 s19, exec_lo
	v_cmpx_eq_u16_e32 0x80, v22
; %bb.3168:
	s_xor_b32 s10, exec_lo, -1
; %bb.3169:
	s_or_b32 exec_lo, exec_lo, s19
	s_delay_alu instid0(SALU_CYCLE_1)
	s_and_b32 s10, s10, exec_lo
	s_or_saveexec_b32 s11, s11
	v_mov_b64_e32 v[20:21], 0x7ff8000020000000
	s_xor_b32 exec_lo, exec_lo, s11
	s_cbranch_execz .LBB143_3083
.LBB143_3170:
	v_cmp_ne_u16_e32 vcc_lo, 0, v22
	v_mov_b64_e32 v[20:21], 0
	s_and_not1_b32 s10, s10, exec_lo
	s_and_b32 s19, vcc_lo, exec_lo
	s_delay_alu instid0(SALU_CYCLE_1)
	s_or_b32 s10, s10, s19
	s_or_b32 exec_lo, exec_lo, s11
	s_and_saveexec_b32 s11, s10
	s_cbranch_execnz .LBB143_3084
	s_branch .LBB143_3085
.LBB143_3171:
	s_mov_b32 s19, -1
	s_mov_b32 s11, 0
	s_mov_b32 s9, 0
	s_branch .LBB143_3175
.LBB143_3172:
	v_bfe_u32 v7, v6, 21, 1
	s_mov_b32 s66, exec_lo
	s_delay_alu instid0(VALU_DEP_1) | instskip(NEXT) | instid1(VALU_DEP_1)
	v_add3_u32 v7, v6, v7, 0x88fffff
	v_lshrrev_b32_e32 v7, 21, v7
	s_and_not1_saveexec_b32 s67, s67
	s_cbranch_execz .LBB143_1553
.LBB143_3173:
	v_add_f32_e64 v7, 0x42800000, |v6|
	s_and_not1_b32 s66, s66, exec_lo
	s_delay_alu instid0(VALU_DEP_1) | instskip(NEXT) | instid1(VALU_DEP_1)
	v_and_b32_e32 v7, 0xff, v7
	v_cmp_ne_u32_e32 vcc_lo, 0, v7
	s_and_b32 s68, vcc_lo, exec_lo
	s_delay_alu instid0(SALU_CYCLE_1)
	s_or_b32 s66, s66, s68
	s_or_b32 exec_lo, exec_lo, s67
	v_mov_b32_e32 v8, 0
	s_and_saveexec_b32 s67, s66
	s_cbranch_execnz .LBB143_1554
	s_branch .LBB143_1555
.LBB143_3174:
	s_mov_b32 s9, -1
	s_mov_b32 s11, 0
.LBB143_3175:
                                        ; implicit-def: $vgpr30_vgpr31
.LBB143_3176:
	s_and_b32 vcc_lo, exec_lo, s19
	s_cbranch_vccz .LBB143_3181
; %bb.3177:
	s_cmp_eq_u32 s7, 44
	s_cbranch_scc0 .LBB143_3179
; %bb.3178:
	global_load_u8 v30, v[36:37], off
	s_mov_b32 s9, 0
	s_mov_b32 s11, -1
	s_wait_loadcnt 0x0
	v_cmp_ne_u32_e32 vcc_lo, 0xff, v30
	v_lshlrev_b32_e32 v28, 23, v30
	s_delay_alu instid0(VALU_DEP_1) | instskip(NEXT) | instid1(VALU_DEP_1)
	v_cvt_f64_f32_e32 v[28:29], v28
	v_cndmask_b32_e32 v28, 0x20000000, v28, vcc_lo
	s_delay_alu instid0(VALU_DEP_2) | instskip(SKIP_1) | instid1(VALU_DEP_2)
	v_cndmask_b32_e32 v29, 0x7ff80000, v29, vcc_lo
	v_cmp_ne_u32_e32 vcc_lo, 0, v30
	v_cndmask_b32_e32 v29, 0x38000000, v29, vcc_lo
	s_delay_alu instid0(VALU_DEP_4)
	v_cndmask_b32_e32 v28, 0, v28, vcc_lo
	s_branch .LBB143_3180
.LBB143_3179:
	s_mov_b32 s9, -1
                                        ; implicit-def: $vgpr28_vgpr29
.LBB143_3180:
	s_wait_xcnt 0x0
	v_mov_b64_e32 v[30:31], 0
.LBB143_3181:
	s_mov_b32 s19, 0
.LBB143_3182:
	s_delay_alu instid0(SALU_CYCLE_1)
	s_and_b32 vcc_lo, exec_lo, s19
	s_cbranch_vccz .LBB143_3187
; %bb.3183:
	s_cmp_eq_u32 s7, 29
	s_cbranch_scc0 .LBB143_3185
; %bb.3184:
	global_load_b64 v[28:29], v[36:37], off
	s_mov_b32 s9, 0
	s_mov_b32 s11, -1
	s_wait_loadcnt 0x0
	s_wait_xcnt 0x1
	v_cvt_f64_u32_e32 v[30:31], v29
	v_cvt_f64_u32_e32 v[28:29], v28
	s_delay_alu instid0(VALU_DEP_2) | instskip(NEXT) | instid1(VALU_DEP_1)
	v_ldexp_f64 v[30:31], v[30:31], 32
	v_add_f64_e32 v[28:29], v[30:31], v[28:29]
	s_branch .LBB143_3186
.LBB143_3185:
	s_mov_b32 s9, -1
                                        ; implicit-def: $vgpr28_vgpr29
.LBB143_3186:
	s_wait_xcnt 0x0
	v_mov_b64_e32 v[30:31], 0
.LBB143_3187:
	s_mov_b32 s19, 0
.LBB143_3188:
	s_delay_alu instid0(SALU_CYCLE_1)
	s_and_b32 vcc_lo, exec_lo, s19
	s_cbranch_vccz .LBB143_3204
; %bb.3189:
	s_cmp_lt_i32 s7, 27
	s_cbranch_scc1 .LBB143_3192
; %bb.3190:
	s_cmp_gt_i32 s7, 27
	s_cbranch_scc0 .LBB143_3193
; %bb.3191:
	global_load_b32 v28, v[36:37], off
	s_mov_b32 s11, 0
	s_wait_loadcnt 0x0
	v_cvt_f64_u32_e32 v[28:29], v28
	s_branch .LBB143_3194
.LBB143_3192:
	s_mov_b32 s11, -1
                                        ; implicit-def: $vgpr28_vgpr29
	s_branch .LBB143_3197
.LBB143_3193:
	s_mov_b32 s11, -1
                                        ; implicit-def: $vgpr28_vgpr29
.LBB143_3194:
	s_delay_alu instid0(SALU_CYCLE_1)
	s_and_not1_b32 vcc_lo, exec_lo, s11
	s_cbranch_vccnz .LBB143_3196
; %bb.3195:
	global_load_u16 v28, v[36:37], off
	s_wait_loadcnt 0x0
	v_cvt_f64_u32_e32 v[28:29], v28
.LBB143_3196:
	s_mov_b32 s11, 0
.LBB143_3197:
	s_delay_alu instid0(SALU_CYCLE_1)
	s_and_not1_b32 vcc_lo, exec_lo, s11
	s_cbranch_vccnz .LBB143_3203
; %bb.3198:
	global_load_u8 v30, v[36:37], off
	s_mov_b32 s11, 0
	s_mov_b32 s19, exec_lo
	s_wait_loadcnt 0x0
	v_cmpx_lt_i16_e32 0x7f, v30
	s_xor_b32 s19, exec_lo, s19
	s_cbranch_execnz .LBB143_3229
; %bb.3199:
	s_or_saveexec_b32 s19, s19
	v_mov_b64_e32 v[28:29], 0x7ff8000020000000
	s_xor_b32 exec_lo, exec_lo, s19
	s_cbranch_execnz .LBB143_3232
.LBB143_3200:
	s_or_b32 exec_lo, exec_lo, s19
	s_and_saveexec_b32 s19, s11
	s_cbranch_execz .LBB143_3202
.LBB143_3201:
	v_and_b32_e32 v28, 0xffff, v30
	s_delay_alu instid0(VALU_DEP_1) | instskip(SKIP_1) | instid1(VALU_DEP_2)
	v_and_b32_e32 v29, 7, v28
	v_bfe_u32 v35, v28, 3, 4
	v_clz_i32_u32_e32 v31, v29
	s_delay_alu instid0(VALU_DEP_2) | instskip(NEXT) | instid1(VALU_DEP_2)
	v_cmp_eq_u32_e32 vcc_lo, 0, v35
	v_min_u32_e32 v31, 32, v31
	s_delay_alu instid0(VALU_DEP_1) | instskip(NEXT) | instid1(VALU_DEP_1)
	v_subrev_nc_u32_e32 v33, 28, v31
	v_dual_lshlrev_b32 v28, v33, v28 :: v_dual_sub_nc_u32 v31, 29, v31
	s_delay_alu instid0(VALU_DEP_1) | instskip(NEXT) | instid1(VALU_DEP_1)
	v_dual_lshlrev_b32 v30, 24, v30 :: v_dual_bitop2_b32 v28, 7, v28 bitop3:0x40
	v_dual_cndmask_b32 v31, v35, v31 :: v_dual_cndmask_b32 v28, v29, v28
	s_delay_alu instid0(VALU_DEP_2) | instskip(NEXT) | instid1(VALU_DEP_2)
	v_and_b32_e32 v29, 0x80000000, v30
	v_lshl_add_u32 v30, v31, 23, 0x3b800000
	s_delay_alu instid0(VALU_DEP_3) | instskip(NEXT) | instid1(VALU_DEP_1)
	v_lshlrev_b32_e32 v28, 20, v28
	v_or3_b32 v28, v29, v30, v28
	s_delay_alu instid0(VALU_DEP_1)
	v_cvt_f64_f32_e32 v[28:29], v28
.LBB143_3202:
	s_or_b32 exec_lo, exec_lo, s19
.LBB143_3203:
	s_wait_xcnt 0x0
	v_mov_b64_e32 v[30:31], 0
	s_mov_b32 s11, -1
.LBB143_3204:
	s_mov_b32 s19, 0
.LBB143_3205:
	s_delay_alu instid0(SALU_CYCLE_1)
	s_and_b32 vcc_lo, exec_lo, s19
	s_cbranch_vccnz .LBB143_3216
; %bb.3206:
	s_and_b32 vcc_lo, exec_lo, s9
	s_cbranch_vccnz .LBB143_3277
.LBB143_3207:
	s_and_not1_b32 vcc_lo, exec_lo, s10
	s_cbranch_vccnz .LBB143_3209
.LBB143_3208:
	global_load_u8 v28, v[36:37], off
	s_wait_xcnt 0x1
	v_mov_b64_e32 v[30:31], 0
	s_mov_b32 s11, -1
	s_wait_loadcnt 0x0
	v_cmp_ne_u16_e32 vcc_lo, 0, v28
	v_mov_b32_e32 v28, 0
	v_cndmask_b32_e64 v29, 0, 0x3ff00000, vcc_lo
.LBB143_3209:
	s_mov_b32 s9, 0
.LBB143_3210:
	s_delay_alu instid0(SALU_CYCLE_1)
	s_and_b32 vcc_lo, exec_lo, s9
	s_cbranch_vccz .LBB143_3293
; %bb.3211:
	s_cmp_lt_i32 s7, 5
	s_cbranch_scc1 .LBB143_3224
; %bb.3212:
	s_cmp_lt_i32 s7, 8
	s_cbranch_scc1 .LBB143_3225
	;; [unrolled: 3-line block ×3, first 2 shown]
; %bb.3214:
	s_cmp_gt_i32 s7, 9
	s_cbranch_scc0 .LBB143_3233
; %bb.3215:
	global_load_b128 v[28:31], v[36:37], off
	s_mov_b32 s9, 0
	s_branch .LBB143_3234
.LBB143_3216:
	s_cmp_gt_i32 s7, 22
	s_cbranch_scc0 .LBB143_3226
; %bb.3217:
	s_cmp_lt_i32 s7, 24
	s_cbranch_scc1 .LBB143_3228
; %bb.3218:
	s_cmp_gt_i32 s7, 24
	s_cbranch_scc0 .LBB143_3245
; %bb.3219:
	global_load_u8 v30, v[36:37], off
	s_mov_b32 s11, exec_lo
	s_wait_loadcnt 0x0
	v_cmpx_lt_i16_e32 0x7f, v30
	s_xor_b32 s11, exec_lo, s11
	s_cbranch_execnz .LBB143_3305
; %bb.3220:
	s_or_saveexec_b32 s11, s11
	v_mov_b64_e32 v[28:29], 0x7ff8000020000000
	s_xor_b32 exec_lo, exec_lo, s11
	s_cbranch_execnz .LBB143_3308
.LBB143_3221:
	s_or_b32 exec_lo, exec_lo, s11
	s_and_saveexec_b32 s11, s10
	s_cbranch_execz .LBB143_3223
.LBB143_3222:
	v_and_b32_e32 v28, 0xffff, v30
	s_delay_alu instid0(VALU_DEP_1) | instskip(SKIP_1) | instid1(VALU_DEP_2)
	v_and_b32_e32 v29, 3, v28
	v_bfe_u32 v35, v28, 2, 5
	v_clz_i32_u32_e32 v31, v29
	s_delay_alu instid0(VALU_DEP_2) | instskip(NEXT) | instid1(VALU_DEP_2)
	v_cmp_eq_u32_e32 vcc_lo, 0, v35
	v_min_u32_e32 v31, 32, v31
	s_delay_alu instid0(VALU_DEP_1) | instskip(NEXT) | instid1(VALU_DEP_1)
	v_subrev_nc_u32_e32 v33, 29, v31
	v_dual_lshlrev_b32 v28, v33, v28 :: v_dual_sub_nc_u32 v31, 30, v31
	s_delay_alu instid0(VALU_DEP_1) | instskip(NEXT) | instid1(VALU_DEP_1)
	v_dual_lshlrev_b32 v30, 24, v30 :: v_dual_bitop2_b32 v28, 3, v28 bitop3:0x40
	v_dual_cndmask_b32 v31, v35, v31 :: v_dual_cndmask_b32 v28, v29, v28
	s_delay_alu instid0(VALU_DEP_2) | instskip(NEXT) | instid1(VALU_DEP_2)
	v_and_b32_e32 v29, 0x80000000, v30
	v_lshl_add_u32 v30, v31, 23, 0x37800000
	s_delay_alu instid0(VALU_DEP_3) | instskip(NEXT) | instid1(VALU_DEP_1)
	v_lshlrev_b32_e32 v28, 21, v28
	v_or3_b32 v28, v29, v30, v28
	s_delay_alu instid0(VALU_DEP_1)
	v_cvt_f64_f32_e32 v[28:29], v28
.LBB143_3223:
	s_or_b32 exec_lo, exec_lo, s11
	s_mov_b32 s10, 0
	s_branch .LBB143_3246
.LBB143_3224:
	s_mov_b32 s9, -1
                                        ; implicit-def: $vgpr30_vgpr31
	s_branch .LBB143_3265
.LBB143_3225:
	s_mov_b32 s9, -1
                                        ; implicit-def: $vgpr30_vgpr31
	s_branch .LBB143_3240
.LBB143_3226:
	s_mov_b32 s10, -1
                                        ; implicit-def: $vgpr28_vgpr29
	s_branch .LBB143_3252
.LBB143_3227:
	s_mov_b32 s9, -1
                                        ; implicit-def: $vgpr30_vgpr31
	s_branch .LBB143_3237
.LBB143_3228:
	s_mov_b32 s10, -1
                                        ; implicit-def: $vgpr28_vgpr29
	s_branch .LBB143_3249
.LBB143_3229:
	s_mov_b32 s11, -1
	s_mov_b32 s20, exec_lo
	v_cmpx_eq_u16_e32 0x80, v30
; %bb.3230:
	s_xor_b32 s11, exec_lo, -1
; %bb.3231:
	s_or_b32 exec_lo, exec_lo, s20
	s_delay_alu instid0(SALU_CYCLE_1)
	s_and_b32 s11, s11, exec_lo
	s_or_saveexec_b32 s19, s19
	v_mov_b64_e32 v[28:29], 0x7ff8000020000000
	s_xor_b32 exec_lo, exec_lo, s19
	s_cbranch_execz .LBB143_3200
.LBB143_3232:
	v_cmp_ne_u16_e32 vcc_lo, 0, v30
	v_mov_b64_e32 v[28:29], 0
	s_and_not1_b32 s11, s11, exec_lo
	s_and_b32 s20, vcc_lo, exec_lo
	s_delay_alu instid0(SALU_CYCLE_1)
	s_or_b32 s11, s11, s20
	s_or_b32 exec_lo, exec_lo, s19
	s_and_saveexec_b32 s19, s11
	s_cbranch_execnz .LBB143_3201
	s_branch .LBB143_3202
.LBB143_3233:
	s_mov_b32 s9, -1
                                        ; implicit-def: $vgpr30_vgpr31
.LBB143_3234:
	s_delay_alu instid0(SALU_CYCLE_1)
	s_and_not1_b32 vcc_lo, exec_lo, s9
	s_cbranch_vccnz .LBB143_3236
; %bb.3235:
	s_wait_loadcnt 0x0
	global_load_b64 v[30:31], v[36:37], off
	s_wait_loadcnt 0x0
	v_cvt_f64_f32_e32 v[28:29], v30
	v_cvt_f64_f32_e32 v[30:31], v31
.LBB143_3236:
	s_mov_b32 s9, 0
.LBB143_3237:
	s_delay_alu instid0(SALU_CYCLE_1)
	s_and_not1_b32 vcc_lo, exec_lo, s9
	s_cbranch_vccnz .LBB143_3239
; %bb.3238:
	s_wait_loadcnt 0x0
	global_load_b32 v28, v[36:37], off
	s_wait_loadcnt 0x0
	v_lshrrev_b32_e32 v29, 16, v28
	v_cvt_f32_f16_e32 v28, v28
	s_wait_xcnt 0x1
	s_delay_alu instid0(VALU_DEP_2) | instskip(NEXT) | instid1(VALU_DEP_2)
	v_cvt_f32_f16_e32 v30, v29
	v_cvt_f64_f32_e32 v[28:29], v28
	s_delay_alu instid0(VALU_DEP_2)
	v_cvt_f64_f32_e32 v[30:31], v30
.LBB143_3239:
	s_mov_b32 s9, 0
.LBB143_3240:
	s_delay_alu instid0(SALU_CYCLE_1)
	s_and_not1_b32 vcc_lo, exec_lo, s9
	s_cbranch_vccnz .LBB143_3264
; %bb.3241:
	s_cmp_lt_i32 s7, 6
	s_cbranch_scc1 .LBB143_3244
; %bb.3242:
	s_cmp_gt_i32 s7, 6
	s_cbranch_scc0 .LBB143_3257
; %bb.3243:
	s_wait_loadcnt 0x0
	global_load_b64 v[28:29], v[36:37], off
	s_mov_b32 s9, 0
	s_branch .LBB143_3258
.LBB143_3244:
	s_mov_b32 s9, -1
                                        ; implicit-def: $vgpr28_vgpr29
	s_branch .LBB143_3261
.LBB143_3245:
	s_mov_b32 s10, -1
                                        ; implicit-def: $vgpr28_vgpr29
.LBB143_3246:
	s_delay_alu instid0(SALU_CYCLE_1)
	s_and_b32 vcc_lo, exec_lo, s10
	s_cbranch_vccz .LBB143_3248
; %bb.3247:
	global_load_u8 v28, v[36:37], off
	s_wait_loadcnt 0x0
	v_lshlrev_b32_e32 v28, 24, v28
	s_delay_alu instid0(VALU_DEP_1) | instskip(SKIP_1) | instid1(VALU_DEP_1)
	v_and_b32_e32 v29, 0x7f000000, v28
	s_wait_xcnt 0x1
	v_clz_i32_u32_e32 v30, v29
	v_add_nc_u32_e32 v33, 0x1000000, v29
	v_cmp_ne_u32_e32 vcc_lo, 0, v29
	s_delay_alu instid0(VALU_DEP_3) | instskip(NEXT) | instid1(VALU_DEP_1)
	v_min_u32_e32 v30, 32, v30
	v_sub_nc_u32_e64 v30, v30, 4 clamp
	s_delay_alu instid0(VALU_DEP_1) | instskip(NEXT) | instid1(VALU_DEP_1)
	v_dual_lshlrev_b32 v31, v30, v29 :: v_dual_lshlrev_b32 v30, 23, v30
	v_lshrrev_b32_e32 v31, 4, v31
	s_delay_alu instid0(VALU_DEP_1) | instskip(NEXT) | instid1(VALU_DEP_1)
	v_dual_sub_nc_u32 v30, v31, v30 :: v_dual_ashrrev_i32 v31, 8, v33
	v_add_nc_u32_e32 v30, 0x3c000000, v30
	s_delay_alu instid0(VALU_DEP_1) | instskip(NEXT) | instid1(VALU_DEP_1)
	v_and_or_b32 v30, 0x7f800000, v31, v30
	v_cndmask_b32_e32 v29, 0, v30, vcc_lo
	s_delay_alu instid0(VALU_DEP_1) | instskip(NEXT) | instid1(VALU_DEP_1)
	v_and_or_b32 v28, 0x80000000, v28, v29
	v_cvt_f64_f32_e32 v[28:29], v28
.LBB143_3248:
	s_mov_b32 s10, 0
.LBB143_3249:
	s_delay_alu instid0(SALU_CYCLE_1)
	s_and_not1_b32 vcc_lo, exec_lo, s10
	s_cbranch_vccnz .LBB143_3251
; %bb.3250:
	global_load_u8 v28, v[36:37], off
	s_wait_loadcnt 0x0
	v_lshlrev_b32_e32 v29, 25, v28
	v_lshlrev_b16 v28, 8, v28
	s_wait_xcnt 0x1
	s_delay_alu instid0(VALU_DEP_1) | instskip(SKIP_1) | instid1(VALU_DEP_2)
	v_and_or_b32 v31, 0x7f00, v28, 0.5
	v_bfe_i32 v28, v28, 0, 16
	v_dual_add_f32 v31, -0.5, v31 :: v_dual_lshrrev_b32 v30, 4, v29
	v_cmp_gt_u32_e32 vcc_lo, 0x8000000, v29
	s_delay_alu instid0(VALU_DEP_2) | instskip(NEXT) | instid1(VALU_DEP_1)
	v_or_b32_e32 v30, 0x70000000, v30
	v_mul_f32_e32 v30, 0x7800000, v30
	s_delay_alu instid0(VALU_DEP_1) | instskip(NEXT) | instid1(VALU_DEP_1)
	v_cndmask_b32_e32 v29, v30, v31, vcc_lo
	v_and_or_b32 v28, 0x80000000, v28, v29
	s_delay_alu instid0(VALU_DEP_1)
	v_cvt_f64_f32_e32 v[28:29], v28
.LBB143_3251:
	s_mov_b32 s10, 0
	s_mov_b32 s11, -1
.LBB143_3252:
	s_and_not1_b32 vcc_lo, exec_lo, s10
	s_mov_b32 s10, 0
	s_cbranch_vccnz .LBB143_3276
; %bb.3253:
	s_cmp_gt_i32 s7, 14
	s_cbranch_scc0 .LBB143_3256
; %bb.3254:
	s_cmp_eq_u32 s7, 15
	s_cbranch_scc0 .LBB143_3272
; %bb.3255:
	global_load_u16 v28, v[36:37], off
	s_mov_b32 s9, 0
	s_mov_b32 s11, -1
	s_wait_loadcnt 0x0
	v_lshlrev_b32_e32 v28, 16, v28
	s_delay_alu instid0(VALU_DEP_1)
	v_cvt_f64_f32_e32 v[28:29], v28
	s_branch .LBB143_3274
.LBB143_3256:
	s_mov_b32 s10, -1
	s_branch .LBB143_3273
.LBB143_3257:
	s_mov_b32 s9, -1
                                        ; implicit-def: $vgpr28_vgpr29
.LBB143_3258:
	s_delay_alu instid0(SALU_CYCLE_1)
	s_and_not1_b32 vcc_lo, exec_lo, s9
	s_cbranch_vccnz .LBB143_3260
; %bb.3259:
	s_wait_loadcnt 0x0
	global_load_b32 v28, v[36:37], off
	s_wait_loadcnt 0x0
	v_cvt_f64_f32_e32 v[28:29], v28
.LBB143_3260:
	s_mov_b32 s9, 0
.LBB143_3261:
	s_delay_alu instid0(SALU_CYCLE_1)
	s_and_not1_b32 vcc_lo, exec_lo, s9
	s_cbranch_vccnz .LBB143_3263
; %bb.3262:
	s_wait_loadcnt 0x0
	global_load_u16 v28, v[36:37], off
	s_wait_loadcnt 0x0
	v_cvt_f32_f16_e32 v28, v28
	s_delay_alu instid0(VALU_DEP_1)
	v_cvt_f64_f32_e32 v[28:29], v28
.LBB143_3263:
	s_wait_loadcnt 0x0
	v_mov_b64_e32 v[30:31], 0
.LBB143_3264:
	s_mov_b32 s9, 0
.LBB143_3265:
	s_delay_alu instid0(SALU_CYCLE_1)
	s_and_not1_b32 vcc_lo, exec_lo, s9
	s_cbranch_vccnz .LBB143_3292
; %bb.3266:
	s_cmp_lt_i32 s7, 2
	s_cbranch_scc1 .LBB143_3270
; %bb.3267:
	s_cmp_lt_i32 s7, 3
	s_cbranch_scc1 .LBB143_3271
; %bb.3268:
	s_cmp_gt_i32 s7, 3
	s_cbranch_scc0 .LBB143_3278
; %bb.3269:
	s_wait_loadcnt 0x0
	global_load_b64 v[28:29], v[36:37], off
	s_mov_b32 s9, 0
	s_wait_loadcnt 0x0
	s_wait_xcnt 0x1
	v_cvt_f64_i32_e32 v[30:31], v29
	v_cvt_f64_u32_e32 v[28:29], v28
	s_delay_alu instid0(VALU_DEP_2) | instskip(NEXT) | instid1(VALU_DEP_1)
	v_ldexp_f64 v[30:31], v[30:31], 32
	v_add_f64_e32 v[28:29], v[30:31], v[28:29]
	s_branch .LBB143_3279
.LBB143_3270:
	s_mov_b32 s9, -1
                                        ; implicit-def: $vgpr28_vgpr29
	s_branch .LBB143_3285
.LBB143_3271:
	s_mov_b32 s9, -1
                                        ; implicit-def: $vgpr28_vgpr29
	s_branch .LBB143_3282
.LBB143_3272:
	s_mov_b32 s9, -1
.LBB143_3273:
                                        ; implicit-def: $vgpr28_vgpr29
.LBB143_3274:
	s_and_b32 vcc_lo, exec_lo, s10
	s_mov_b32 s10, 0
	s_cbranch_vccz .LBB143_3276
; %bb.3275:
	s_cmp_lg_u32 s7, 11
	s_mov_b32 s10, -1
	s_cselect_b32 s9, -1, 0
.LBB143_3276:
	s_wait_xcnt 0x0
	v_mov_b64_e32 v[30:31], 0
	s_and_b32 vcc_lo, exec_lo, s9
	s_cbranch_vccz .LBB143_3207
.LBB143_3277:
	s_or_b32 s18, s18, exec_lo
	s_trap 2
	s_cbranch_execz .LBB143_3208
	s_branch .LBB143_3209
.LBB143_3278:
	s_mov_b32 s9, -1
                                        ; implicit-def: $vgpr28_vgpr29
.LBB143_3279:
	s_delay_alu instid0(SALU_CYCLE_1)
	s_and_not1_b32 vcc_lo, exec_lo, s9
	s_cbranch_vccnz .LBB143_3281
; %bb.3280:
	s_wait_loadcnt 0x0
	global_load_b32 v28, v[36:37], off
	s_wait_loadcnt 0x0
	v_cvt_f64_i32_e32 v[28:29], v28
.LBB143_3281:
	s_mov_b32 s9, 0
.LBB143_3282:
	s_delay_alu instid0(SALU_CYCLE_1)
	s_and_not1_b32 vcc_lo, exec_lo, s9
	s_cbranch_vccnz .LBB143_3284
; %bb.3283:
	s_wait_loadcnt 0x0
	global_load_i16 v28, v[36:37], off
	s_wait_loadcnt 0x0
	v_cvt_f64_i32_e32 v[28:29], v28
.LBB143_3284:
	s_mov_b32 s9, 0
.LBB143_3285:
	s_delay_alu instid0(SALU_CYCLE_1)
	s_and_not1_b32 vcc_lo, exec_lo, s9
	s_cbranch_vccnz .LBB143_3291
; %bb.3286:
	s_cmp_gt_i32 s7, 0
	s_mov_b32 s9, 0
	s_cbranch_scc0 .LBB143_3288
; %bb.3287:
	s_wait_loadcnt 0x0
	global_load_i8 v28, v[36:37], off
	s_wait_loadcnt 0x0
	v_cvt_f64_i32_e32 v[28:29], v28
	s_branch .LBB143_3289
.LBB143_3288:
	s_mov_b32 s9, -1
                                        ; implicit-def: $vgpr28_vgpr29
.LBB143_3289:
	s_delay_alu instid0(SALU_CYCLE_1)
	s_and_not1_b32 vcc_lo, exec_lo, s9
	s_cbranch_vccnz .LBB143_3291
; %bb.3290:
	s_wait_loadcnt 0x0
	global_load_u8 v28, v[36:37], off
	s_wait_loadcnt 0x0
	v_cvt_f64_u32_e32 v[28:29], v28
.LBB143_3291:
	s_wait_loadcnt 0x0
	v_mov_b64_e32 v[30:31], 0
.LBB143_3292:
	s_mov_b32 s11, -1
.LBB143_3293:
	s_delay_alu instid0(SALU_CYCLE_1)
	s_and_not1_b32 vcc_lo, exec_lo, s11
	s_cbranch_vccnz .LBB143_4271
; %bb.3294:
	v_mov_b32_e32 v35, 0
	s_cmp_lt_i32 s8, 11
	s_delay_alu instid0(VALU_DEP_1)
	v_add_nc_u64_e32 v[34:35], s[4:5], v[34:35]
	s_cbranch_scc1 .LBB143_3301
; %bb.3295:
	s_cmp_gt_i32 s8, 25
	s_mov_b32 s10, 0
	s_cbranch_scc0 .LBB143_3302
; %bb.3296:
	s_cmp_gt_i32 s8, 28
	s_cbranch_scc0 .LBB143_3303
; %bb.3297:
	s_cmp_gt_i32 s8, 43
	;; [unrolled: 3-line block ×3, first 2 shown]
	s_cbranch_scc0 .LBB143_3309
; %bb.3299:
	s_cmp_eq_u32 s8, 46
	s_mov_b32 s19, 0
	s_cbranch_scc0 .LBB143_3310
; %bb.3300:
	global_load_b32 v33, v[34:35], off
	s_mov_b32 s9, 0
	s_mov_b32 s11, -1
	s_wait_loadcnt 0x0
	s_wait_xcnt 0x1
	v_lshlrev_b32_e32 v36, 16, v33
	v_and_b32_e32 v33, 0xffff0000, v33
	s_delay_alu instid0(VALU_DEP_2) | instskip(NEXT) | instid1(VALU_DEP_2)
	v_cvt_f64_f32_e32 v[36:37], v36
	v_cvt_f64_f32_e32 v[38:39], v33
	s_branch .LBB143_3312
.LBB143_3301:
	s_mov_b32 s9, -1
	s_mov_b32 s11, 0
                                        ; implicit-def: $vgpr38_vgpr39
	s_branch .LBB143_3346
.LBB143_3302:
	s_mov_b32 s19, -1
	s_mov_b32 s11, 0
	s_mov_b32 s9, 0
                                        ; implicit-def: $vgpr38_vgpr39
	s_branch .LBB143_3341
.LBB143_3303:
	s_mov_b32 s19, -1
	s_mov_b32 s11, 0
	s_mov_b32 s9, 0
                                        ; implicit-def: $vgpr38_vgpr39
	s_branch .LBB143_3324
.LBB143_3304:
	s_mov_b32 s19, -1
	s_mov_b32 s11, 0
	s_mov_b32 s9, 0
                                        ; implicit-def: $vgpr38_vgpr39
	s_branch .LBB143_3318
.LBB143_3305:
	s_mov_b32 s10, -1
	s_mov_b32 s19, exec_lo
	v_cmpx_eq_u16_e32 0x80, v30
; %bb.3306:
	s_xor_b32 s10, exec_lo, -1
; %bb.3307:
	s_or_b32 exec_lo, exec_lo, s19
	s_delay_alu instid0(SALU_CYCLE_1)
	s_and_b32 s10, s10, exec_lo
	s_or_saveexec_b32 s11, s11
	v_mov_b64_e32 v[28:29], 0x7ff8000020000000
	s_xor_b32 exec_lo, exec_lo, s11
	s_cbranch_execz .LBB143_3221
.LBB143_3308:
	v_cmp_ne_u16_e32 vcc_lo, 0, v30
	v_mov_b64_e32 v[28:29], 0
	s_and_not1_b32 s10, s10, exec_lo
	s_and_b32 s19, vcc_lo, exec_lo
	s_delay_alu instid0(SALU_CYCLE_1)
	s_or_b32 s10, s10, s19
	s_or_b32 exec_lo, exec_lo, s11
	s_and_saveexec_b32 s11, s10
	s_cbranch_execnz .LBB143_3222
	s_branch .LBB143_3223
.LBB143_3309:
	s_mov_b32 s19, -1
	s_mov_b32 s11, 0
	s_mov_b32 s9, 0
	s_branch .LBB143_3311
.LBB143_3310:
	s_mov_b32 s9, -1
	s_mov_b32 s11, 0
.LBB143_3311:
                                        ; implicit-def: $vgpr38_vgpr39
.LBB143_3312:
	s_and_b32 vcc_lo, exec_lo, s19
	s_cbranch_vccz .LBB143_3317
; %bb.3313:
	s_cmp_eq_u32 s8, 44
	s_cbranch_scc0 .LBB143_3315
; %bb.3314:
	global_load_u8 v33, v[34:35], off
	s_mov_b32 s9, 0
	s_mov_b32 s11, -1
	s_wait_loadcnt 0x0
	s_wait_xcnt 0x1
	v_lshlrev_b32_e32 v36, 23, v33
	v_cmp_ne_u32_e32 vcc_lo, 0xff, v33
	s_delay_alu instid0(VALU_DEP_2) | instskip(NEXT) | instid1(VALU_DEP_1)
	v_cvt_f64_f32_e32 v[36:37], v36
	v_cndmask_b32_e32 v36, 0x20000000, v36, vcc_lo
	s_delay_alu instid0(VALU_DEP_2) | instskip(SKIP_1) | instid1(VALU_DEP_2)
	v_cndmask_b32_e32 v37, 0x7ff80000, v37, vcc_lo
	v_cmp_ne_u32_e32 vcc_lo, 0, v33
	v_cndmask_b32_e32 v37, 0x38000000, v37, vcc_lo
	s_delay_alu instid0(VALU_DEP_4)
	v_cndmask_b32_e32 v36, 0, v36, vcc_lo
	s_branch .LBB143_3316
.LBB143_3315:
	s_mov_b32 s9, -1
                                        ; implicit-def: $vgpr36_vgpr37
.LBB143_3316:
	v_mov_b64_e32 v[38:39], 0
.LBB143_3317:
	s_mov_b32 s19, 0
.LBB143_3318:
	s_delay_alu instid0(SALU_CYCLE_1)
	s_and_b32 vcc_lo, exec_lo, s19
	s_cbranch_vccz .LBB143_3323
; %bb.3319:
	s_cmp_eq_u32 s8, 29
	s_cbranch_scc0 .LBB143_3321
; %bb.3320:
	global_load_b64 v[36:37], v[34:35], off
	s_mov_b32 s9, 0
	s_mov_b32 s11, -1
	s_wait_loadcnt 0x0
	v_cvt_f64_u32_e32 v[38:39], v37
	v_cvt_f64_u32_e32 v[36:37], v36
	s_delay_alu instid0(VALU_DEP_2) | instskip(NEXT) | instid1(VALU_DEP_1)
	v_ldexp_f64 v[38:39], v[38:39], 32
	v_add_f64_e32 v[36:37], v[38:39], v[36:37]
	s_branch .LBB143_3322
.LBB143_3321:
	s_mov_b32 s9, -1
                                        ; implicit-def: $vgpr36_vgpr37
.LBB143_3322:
	v_mov_b64_e32 v[38:39], 0
.LBB143_3323:
	s_mov_b32 s19, 0
.LBB143_3324:
	s_delay_alu instid0(SALU_CYCLE_1)
	s_and_b32 vcc_lo, exec_lo, s19
	s_cbranch_vccz .LBB143_3340
; %bb.3325:
	s_cmp_lt_i32 s8, 27
	s_cbranch_scc1 .LBB143_3328
; %bb.3326:
	s_cmp_gt_i32 s8, 27
	s_cbranch_scc0 .LBB143_3329
; %bb.3327:
	global_load_b32 v33, v[34:35], off
	s_mov_b32 s11, 0
	s_wait_loadcnt 0x0
	s_wait_xcnt 0x1
	v_cvt_f64_u32_e32 v[36:37], v33
	s_branch .LBB143_3330
.LBB143_3328:
	s_mov_b32 s11, -1
                                        ; implicit-def: $vgpr36_vgpr37
	s_branch .LBB143_3333
.LBB143_3329:
	s_mov_b32 s11, -1
                                        ; implicit-def: $vgpr36_vgpr37
.LBB143_3330:
	s_delay_alu instid0(SALU_CYCLE_1)
	s_and_not1_b32 vcc_lo, exec_lo, s11
	s_cbranch_vccnz .LBB143_3332
; %bb.3331:
	global_load_u16 v33, v[34:35], off
	s_wait_loadcnt 0x0
	s_wait_xcnt 0x1
	v_cvt_f64_u32_e32 v[36:37], v33
.LBB143_3332:
	s_mov_b32 s11, 0
.LBB143_3333:
	s_delay_alu instid0(SALU_CYCLE_1)
	s_and_not1_b32 vcc_lo, exec_lo, s11
	s_cbranch_vccnz .LBB143_3339
; %bb.3334:
	global_load_u8 v33, v[34:35], off
	s_mov_b32 s11, 0
	s_mov_b32 s19, exec_lo
	s_wait_loadcnt 0x0
	v_cmpx_lt_i16_e32 0x7f, v33
	s_xor_b32 s19, exec_lo, s19
	s_cbranch_execnz .LBB143_3365
; %bb.3335:
	s_or_saveexec_b32 s19, s19
	v_mov_b64_e32 v[36:37], 0x7ff8000020000000
	s_xor_b32 exec_lo, exec_lo, s19
	s_cbranch_execnz .LBB143_3368
.LBB143_3336:
	s_or_b32 exec_lo, exec_lo, s19
	s_and_saveexec_b32 s19, s11
	s_cbranch_execz .LBB143_3338
.LBB143_3337:
	v_and_b32_e32 v36, 0xffff, v33
	s_delay_alu instid0(VALU_DEP_1) | instskip(SKIP_1) | instid1(VALU_DEP_2)
	v_and_b32_e32 v37, 7, v36
	v_bfe_u32 v41, v36, 3, 4
	v_clz_i32_u32_e32 v38, v37
	s_delay_alu instid0(VALU_DEP_2) | instskip(NEXT) | instid1(VALU_DEP_2)
	v_cmp_eq_u32_e32 vcc_lo, 0, v41
	v_min_u32_e32 v38, 32, v38
	s_delay_alu instid0(VALU_DEP_1) | instskip(NEXT) | instid1(VALU_DEP_1)
	v_subrev_nc_u32_e32 v39, 28, v38
	v_dual_lshlrev_b32 v36, v39, v36 :: v_dual_sub_nc_u32 v38, 29, v38
	s_delay_alu instid0(VALU_DEP_1) | instskip(NEXT) | instid1(VALU_DEP_2)
	v_dual_lshlrev_b32 v33, 24, v33 :: v_dual_bitop2_b32 v36, 7, v36 bitop3:0x40
	v_cndmask_b32_e32 v38, v41, v38, vcc_lo
	s_delay_alu instid0(VALU_DEP_2) | instskip(NEXT) | instid1(VALU_DEP_3)
	v_cndmask_b32_e32 v36, v37, v36, vcc_lo
	v_and_b32_e32 v33, 0x80000000, v33
	s_delay_alu instid0(VALU_DEP_3) | instskip(NEXT) | instid1(VALU_DEP_3)
	v_lshl_add_u32 v37, v38, 23, 0x3b800000
	v_lshlrev_b32_e32 v36, 20, v36
	s_delay_alu instid0(VALU_DEP_1) | instskip(NEXT) | instid1(VALU_DEP_1)
	v_or3_b32 v33, v33, v37, v36
	v_cvt_f64_f32_e32 v[36:37], v33
.LBB143_3338:
	s_or_b32 exec_lo, exec_lo, s19
.LBB143_3339:
	v_mov_b64_e32 v[38:39], 0
	s_mov_b32 s11, -1
.LBB143_3340:
	s_mov_b32 s19, 0
.LBB143_3341:
	s_delay_alu instid0(SALU_CYCLE_1)
	s_and_b32 vcc_lo, exec_lo, s19
	s_cbranch_vccnz .LBB143_3352
; %bb.3342:
	s_and_b32 vcc_lo, exec_lo, s9
	s_cbranch_vccnz .LBB143_3413
.LBB143_3343:
	s_and_not1_b32 vcc_lo, exec_lo, s10
	s_cbranch_vccnz .LBB143_3345
.LBB143_3344:
	global_load_u8 v33, v[34:35], off
	v_mov_b64_e32 v[38:39], 0
	s_wait_xcnt 0x1
	v_mov_b32_e32 v36, 0
	s_mov_b32 s11, -1
	s_wait_loadcnt 0x0
	v_cmp_ne_u16_e32 vcc_lo, 0, v33
	v_cndmask_b32_e64 v37, 0, 0x3ff00000, vcc_lo
.LBB143_3345:
	s_mov_b32 s9, 0
.LBB143_3346:
	s_delay_alu instid0(SALU_CYCLE_1)
	s_and_b32 vcc_lo, exec_lo, s9
	s_cbranch_vccz .LBB143_3429
; %bb.3347:
	s_cmp_lt_i32 s8, 5
	s_cbranch_scc1 .LBB143_3360
; %bb.3348:
	s_cmp_lt_i32 s8, 8
	s_cbranch_scc1 .LBB143_3361
	;; [unrolled: 3-line block ×3, first 2 shown]
; %bb.3350:
	s_cmp_gt_i32 s8, 9
	s_cbranch_scc0 .LBB143_3369
; %bb.3351:
	global_load_b128 v[36:39], v[34:35], off
	s_mov_b32 s9, 0
	s_branch .LBB143_3370
.LBB143_3352:
	s_cmp_gt_i32 s8, 22
	s_cbranch_scc0 .LBB143_3362
; %bb.3353:
	s_cmp_lt_i32 s8, 24
	s_cbranch_scc1 .LBB143_3364
; %bb.3354:
	s_cmp_gt_i32 s8, 24
	s_cbranch_scc0 .LBB143_3381
; %bb.3355:
	global_load_u8 v33, v[34:35], off
	s_mov_b32 s11, exec_lo
	s_wait_loadcnt 0x0
	v_cmpx_lt_i16_e32 0x7f, v33
	s_xor_b32 s11, exec_lo, s11
	s_cbranch_execnz .LBB143_3441
; %bb.3356:
	s_or_saveexec_b32 s11, s11
	v_mov_b64_e32 v[36:37], 0x7ff8000020000000
	s_xor_b32 exec_lo, exec_lo, s11
	s_cbranch_execnz .LBB143_3444
.LBB143_3357:
	s_or_b32 exec_lo, exec_lo, s11
	s_and_saveexec_b32 s11, s10
	s_cbranch_execz .LBB143_3359
.LBB143_3358:
	v_and_b32_e32 v36, 0xffff, v33
	s_delay_alu instid0(VALU_DEP_1) | instskip(SKIP_1) | instid1(VALU_DEP_2)
	v_and_b32_e32 v37, 3, v36
	v_bfe_u32 v41, v36, 2, 5
	v_clz_i32_u32_e32 v38, v37
	s_delay_alu instid0(VALU_DEP_2) | instskip(NEXT) | instid1(VALU_DEP_2)
	v_cmp_eq_u32_e32 vcc_lo, 0, v41
	v_min_u32_e32 v38, 32, v38
	s_delay_alu instid0(VALU_DEP_1) | instskip(NEXT) | instid1(VALU_DEP_1)
	v_subrev_nc_u32_e32 v39, 29, v38
	v_dual_lshlrev_b32 v36, v39, v36 :: v_dual_sub_nc_u32 v38, 30, v38
	s_delay_alu instid0(VALU_DEP_1) | instskip(NEXT) | instid1(VALU_DEP_2)
	v_dual_lshlrev_b32 v33, 24, v33 :: v_dual_bitop2_b32 v36, 3, v36 bitop3:0x40
	v_cndmask_b32_e32 v38, v41, v38, vcc_lo
	s_delay_alu instid0(VALU_DEP_2) | instskip(NEXT) | instid1(VALU_DEP_3)
	v_cndmask_b32_e32 v36, v37, v36, vcc_lo
	v_and_b32_e32 v33, 0x80000000, v33
	s_delay_alu instid0(VALU_DEP_3) | instskip(NEXT) | instid1(VALU_DEP_3)
	v_lshl_add_u32 v37, v38, 23, 0x37800000
	v_lshlrev_b32_e32 v36, 21, v36
	s_delay_alu instid0(VALU_DEP_1) | instskip(NEXT) | instid1(VALU_DEP_1)
	v_or3_b32 v33, v33, v37, v36
	v_cvt_f64_f32_e32 v[36:37], v33
.LBB143_3359:
	s_or_b32 exec_lo, exec_lo, s11
	s_mov_b32 s10, 0
	s_branch .LBB143_3382
.LBB143_3360:
	s_mov_b32 s9, -1
                                        ; implicit-def: $vgpr38_vgpr39
	s_branch .LBB143_3401
.LBB143_3361:
	s_mov_b32 s9, -1
                                        ; implicit-def: $vgpr38_vgpr39
	s_branch .LBB143_3376
.LBB143_3362:
	s_mov_b32 s10, -1
                                        ; implicit-def: $vgpr36_vgpr37
	s_branch .LBB143_3388
.LBB143_3363:
	s_mov_b32 s9, -1
                                        ; implicit-def: $vgpr38_vgpr39
	s_branch .LBB143_3373
.LBB143_3364:
	s_mov_b32 s10, -1
                                        ; implicit-def: $vgpr36_vgpr37
	s_branch .LBB143_3385
.LBB143_3365:
	s_mov_b32 s11, -1
	s_mov_b32 s20, exec_lo
	v_cmpx_eq_u16_e32 0x80, v33
; %bb.3366:
	s_xor_b32 s11, exec_lo, -1
; %bb.3367:
	s_or_b32 exec_lo, exec_lo, s20
	s_delay_alu instid0(SALU_CYCLE_1)
	s_and_b32 s11, s11, exec_lo
	s_or_saveexec_b32 s19, s19
	v_mov_b64_e32 v[36:37], 0x7ff8000020000000
	s_xor_b32 exec_lo, exec_lo, s19
	s_cbranch_execz .LBB143_3336
.LBB143_3368:
	v_cmp_ne_u16_e32 vcc_lo, 0, v33
	v_mov_b64_e32 v[36:37], 0
	s_and_not1_b32 s11, s11, exec_lo
	s_and_b32 s20, vcc_lo, exec_lo
	s_delay_alu instid0(SALU_CYCLE_1)
	s_or_b32 s11, s11, s20
	s_or_b32 exec_lo, exec_lo, s19
	s_and_saveexec_b32 s19, s11
	s_cbranch_execnz .LBB143_3337
	s_branch .LBB143_3338
.LBB143_3369:
	s_mov_b32 s9, -1
                                        ; implicit-def: $vgpr38_vgpr39
.LBB143_3370:
	s_delay_alu instid0(SALU_CYCLE_1)
	s_and_not1_b32 vcc_lo, exec_lo, s9
	s_cbranch_vccnz .LBB143_3372
; %bb.3371:
	s_wait_loadcnt 0x0
	global_load_b64 v[38:39], v[34:35], off
	s_wait_loadcnt 0x0
	s_wait_xcnt 0x1
	v_cvt_f64_f32_e32 v[36:37], v38
	v_cvt_f64_f32_e32 v[38:39], v39
.LBB143_3372:
	s_mov_b32 s9, 0
.LBB143_3373:
	s_delay_alu instid0(SALU_CYCLE_1)
	s_and_not1_b32 vcc_lo, exec_lo, s9
	s_cbranch_vccnz .LBB143_3375
; %bb.3374:
	global_load_b32 v33, v[34:35], off
	s_wait_loadcnt 0x0
	s_wait_xcnt 0x1
	v_lshrrev_b32_e32 v36, 16, v33
	v_cvt_f32_f16_e32 v33, v33
	s_delay_alu instid0(VALU_DEP_2) | instskip(NEXT) | instid1(VALU_DEP_2)
	v_cvt_f32_f16_e32 v38, v36
	v_cvt_f64_f32_e32 v[36:37], v33
	s_delay_alu instid0(VALU_DEP_2)
	v_cvt_f64_f32_e32 v[38:39], v38
.LBB143_3375:
	s_mov_b32 s9, 0
.LBB143_3376:
	s_delay_alu instid0(SALU_CYCLE_1)
	s_and_not1_b32 vcc_lo, exec_lo, s9
	s_cbranch_vccnz .LBB143_3400
; %bb.3377:
	s_cmp_lt_i32 s8, 6
	s_cbranch_scc1 .LBB143_3380
; %bb.3378:
	s_cmp_gt_i32 s8, 6
	s_cbranch_scc0 .LBB143_3393
; %bb.3379:
	s_wait_loadcnt 0x0
	global_load_b64 v[36:37], v[34:35], off
	s_mov_b32 s9, 0
	s_branch .LBB143_3394
.LBB143_3380:
	s_mov_b32 s9, -1
                                        ; implicit-def: $vgpr36_vgpr37
	s_branch .LBB143_3397
.LBB143_3381:
	s_mov_b32 s10, -1
                                        ; implicit-def: $vgpr36_vgpr37
.LBB143_3382:
	s_delay_alu instid0(SALU_CYCLE_1)
	s_and_b32 vcc_lo, exec_lo, s10
	s_cbranch_vccz .LBB143_3384
; %bb.3383:
	global_load_u8 v33, v[34:35], off
	s_wait_loadcnt 0x0
	v_lshlrev_b32_e32 v33, 24, v33
	s_wait_xcnt 0x1
	s_delay_alu instid0(VALU_DEP_1) | instskip(NEXT) | instid1(VALU_DEP_1)
	v_and_b32_e32 v36, 0x7f000000, v33
	v_clz_i32_u32_e32 v37, v36
	v_cmp_ne_u32_e32 vcc_lo, 0, v36
	v_add_nc_u32_e32 v39, 0x1000000, v36
	s_delay_alu instid0(VALU_DEP_3) | instskip(NEXT) | instid1(VALU_DEP_1)
	v_min_u32_e32 v37, 32, v37
	v_sub_nc_u32_e64 v37, v37, 4 clamp
	s_delay_alu instid0(VALU_DEP_1) | instskip(NEXT) | instid1(VALU_DEP_1)
	v_dual_lshlrev_b32 v38, v37, v36 :: v_dual_lshlrev_b32 v37, 23, v37
	v_lshrrev_b32_e32 v38, 4, v38
	s_delay_alu instid0(VALU_DEP_1) | instskip(NEXT) | instid1(VALU_DEP_1)
	v_dual_sub_nc_u32 v37, v38, v37 :: v_dual_ashrrev_i32 v38, 8, v39
	v_add_nc_u32_e32 v37, 0x3c000000, v37
	s_delay_alu instid0(VALU_DEP_1) | instskip(NEXT) | instid1(VALU_DEP_1)
	v_and_or_b32 v37, 0x7f800000, v38, v37
	v_cndmask_b32_e32 v36, 0, v37, vcc_lo
	s_delay_alu instid0(VALU_DEP_1) | instskip(NEXT) | instid1(VALU_DEP_1)
	v_and_or_b32 v33, 0x80000000, v33, v36
	v_cvt_f64_f32_e32 v[36:37], v33
.LBB143_3384:
	s_mov_b32 s10, 0
.LBB143_3385:
	s_delay_alu instid0(SALU_CYCLE_1)
	s_and_not1_b32 vcc_lo, exec_lo, s10
	s_cbranch_vccnz .LBB143_3387
; %bb.3386:
	global_load_u8 v33, v[34:35], off
	s_wait_loadcnt 0x0
	s_wait_xcnt 0x1
	v_lshlrev_b32_e32 v36, 25, v33
	v_lshlrev_b16 v33, 8, v33
	s_delay_alu instid0(VALU_DEP_1) | instskip(SKIP_1) | instid1(VALU_DEP_2)
	v_and_or_b32 v38, 0x7f00, v33, 0.5
	v_bfe_i32 v33, v33, 0, 16
	v_dual_add_f32 v38, -0.5, v38 :: v_dual_lshrrev_b32 v37, 4, v36
	v_cmp_gt_u32_e32 vcc_lo, 0x8000000, v36
	s_delay_alu instid0(VALU_DEP_2) | instskip(NEXT) | instid1(VALU_DEP_1)
	v_or_b32_e32 v37, 0x70000000, v37
	v_mul_f32_e32 v37, 0x7800000, v37
	s_delay_alu instid0(VALU_DEP_1) | instskip(NEXT) | instid1(VALU_DEP_1)
	v_cndmask_b32_e32 v36, v37, v38, vcc_lo
	v_and_or_b32 v33, 0x80000000, v33, v36
	s_delay_alu instid0(VALU_DEP_1)
	v_cvt_f64_f32_e32 v[36:37], v33
.LBB143_3387:
	s_mov_b32 s10, 0
	s_mov_b32 s11, -1
.LBB143_3388:
	s_and_not1_b32 vcc_lo, exec_lo, s10
	s_mov_b32 s10, 0
	s_cbranch_vccnz .LBB143_3412
; %bb.3389:
	s_cmp_gt_i32 s8, 14
	s_cbranch_scc0 .LBB143_3392
; %bb.3390:
	s_cmp_eq_u32 s8, 15
	s_cbranch_scc0 .LBB143_3408
; %bb.3391:
	global_load_u16 v33, v[34:35], off
	s_mov_b32 s9, 0
	s_mov_b32 s11, -1
	s_wait_loadcnt 0x0
	v_lshlrev_b32_e32 v33, 16, v33
	s_wait_xcnt 0x1
	s_delay_alu instid0(VALU_DEP_1)
	v_cvt_f64_f32_e32 v[36:37], v33
	s_branch .LBB143_3410
.LBB143_3392:
	s_mov_b32 s10, -1
	s_branch .LBB143_3409
.LBB143_3393:
	s_mov_b32 s9, -1
                                        ; implicit-def: $vgpr36_vgpr37
.LBB143_3394:
	s_delay_alu instid0(SALU_CYCLE_1)
	s_and_not1_b32 vcc_lo, exec_lo, s9
	s_cbranch_vccnz .LBB143_3396
; %bb.3395:
	global_load_b32 v33, v[34:35], off
	s_wait_loadcnt 0x0
	s_wait_xcnt 0x1
	v_cvt_f64_f32_e32 v[36:37], v33
.LBB143_3396:
	s_mov_b32 s9, 0
.LBB143_3397:
	s_delay_alu instid0(SALU_CYCLE_1)
	s_and_not1_b32 vcc_lo, exec_lo, s9
	s_cbranch_vccnz .LBB143_3399
; %bb.3398:
	global_load_u16 v33, v[34:35], off
	s_wait_loadcnt 0x0
	v_cvt_f32_f16_e32 v33, v33
	s_wait_xcnt 0x1
	s_delay_alu instid0(VALU_DEP_1)
	v_cvt_f64_f32_e32 v[36:37], v33
.LBB143_3399:
	s_wait_loadcnt 0x0
	v_mov_b64_e32 v[38:39], 0
.LBB143_3400:
	s_mov_b32 s9, 0
.LBB143_3401:
	s_delay_alu instid0(SALU_CYCLE_1)
	s_and_not1_b32 vcc_lo, exec_lo, s9
	s_cbranch_vccnz .LBB143_3428
; %bb.3402:
	s_cmp_lt_i32 s8, 2
	s_cbranch_scc1 .LBB143_3406
; %bb.3403:
	s_cmp_lt_i32 s8, 3
	s_cbranch_scc1 .LBB143_3407
; %bb.3404:
	s_cmp_gt_i32 s8, 3
	s_cbranch_scc0 .LBB143_3414
; %bb.3405:
	s_wait_loadcnt 0x0
	global_load_b64 v[36:37], v[34:35], off
	s_mov_b32 s9, 0
	s_wait_loadcnt 0x0
	v_cvt_f64_i32_e32 v[38:39], v37
	v_cvt_f64_u32_e32 v[36:37], v36
	s_delay_alu instid0(VALU_DEP_2) | instskip(NEXT) | instid1(VALU_DEP_1)
	v_ldexp_f64 v[38:39], v[38:39], 32
	v_add_f64_e32 v[36:37], v[38:39], v[36:37]
	s_branch .LBB143_3415
.LBB143_3406:
	s_mov_b32 s9, -1
                                        ; implicit-def: $vgpr36_vgpr37
	s_branch .LBB143_3421
.LBB143_3407:
	s_mov_b32 s9, -1
                                        ; implicit-def: $vgpr36_vgpr37
	s_branch .LBB143_3418
.LBB143_3408:
	s_mov_b32 s9, -1
.LBB143_3409:
                                        ; implicit-def: $vgpr36_vgpr37
.LBB143_3410:
	s_and_b32 vcc_lo, exec_lo, s10
	s_mov_b32 s10, 0
	s_cbranch_vccz .LBB143_3412
; %bb.3411:
	s_cmp_lg_u32 s8, 11
	s_mov_b32 s10, -1
	s_cselect_b32 s9, -1, 0
.LBB143_3412:
	v_mov_b64_e32 v[38:39], 0
	s_and_b32 vcc_lo, exec_lo, s9
	s_cbranch_vccz .LBB143_3343
.LBB143_3413:
	s_or_b32 s18, s18, exec_lo
	s_trap 2
	s_cbranch_execz .LBB143_3344
	s_branch .LBB143_3345
.LBB143_3414:
	s_mov_b32 s9, -1
                                        ; implicit-def: $vgpr36_vgpr37
.LBB143_3415:
	s_delay_alu instid0(SALU_CYCLE_1)
	s_and_not1_b32 vcc_lo, exec_lo, s9
	s_cbranch_vccnz .LBB143_3417
; %bb.3416:
	global_load_b32 v33, v[34:35], off
	s_wait_loadcnt 0x0
	s_wait_xcnt 0x1
	v_cvt_f64_i32_e32 v[36:37], v33
.LBB143_3417:
	s_mov_b32 s9, 0
.LBB143_3418:
	s_delay_alu instid0(SALU_CYCLE_1)
	s_and_not1_b32 vcc_lo, exec_lo, s9
	s_cbranch_vccnz .LBB143_3420
; %bb.3419:
	global_load_i16 v33, v[34:35], off
	s_wait_loadcnt 0x0
	s_wait_xcnt 0x1
	v_cvt_f64_i32_e32 v[36:37], v33
.LBB143_3420:
	s_mov_b32 s9, 0
.LBB143_3421:
	s_delay_alu instid0(SALU_CYCLE_1)
	s_and_not1_b32 vcc_lo, exec_lo, s9
	s_cbranch_vccnz .LBB143_3427
; %bb.3422:
	s_cmp_gt_i32 s8, 0
	s_mov_b32 s9, 0
	s_cbranch_scc0 .LBB143_3424
; %bb.3423:
	global_load_i8 v33, v[34:35], off
	s_wait_loadcnt 0x0
	s_wait_xcnt 0x1
	v_cvt_f64_i32_e32 v[36:37], v33
	s_branch .LBB143_3425
.LBB143_3424:
	s_mov_b32 s9, -1
                                        ; implicit-def: $vgpr36_vgpr37
.LBB143_3425:
	s_delay_alu instid0(SALU_CYCLE_1)
	s_and_not1_b32 vcc_lo, exec_lo, s9
	s_cbranch_vccnz .LBB143_3427
; %bb.3426:
	global_load_u8 v33, v[34:35], off
	s_wait_loadcnt 0x0
	s_wait_xcnt 0x1
	v_cvt_f64_u32_e32 v[36:37], v33
.LBB143_3427:
	s_wait_loadcnt 0x0
	v_mov_b64_e32 v[38:39], 0
.LBB143_3428:
	s_mov_b32 s11, -1
.LBB143_3429:
	s_delay_alu instid0(SALU_CYCLE_1)
	s_and_not1_b32 vcc_lo, exec_lo, s11
	s_cbranch_vccnz .LBB143_4271
; %bb.3430:
	v_mov_b32_e32 v33, 0
	s_cmp_lt_i32 s6, 11
	s_delay_alu instid0(VALU_DEP_1)
	v_add_nc_u64_e32 v[42:43], s[14:15], v[32:33]
	s_cbranch_scc1 .LBB143_3437
; %bb.3431:
	s_cmp_gt_i32 s6, 25
	s_mov_b32 s10, 0
	s_cbranch_scc0 .LBB143_3438
; %bb.3432:
	s_cmp_gt_i32 s6, 28
	s_cbranch_scc0 .LBB143_3439
; %bb.3433:
	s_cmp_gt_i32 s6, 43
	;; [unrolled: 3-line block ×3, first 2 shown]
	s_cbranch_scc0 .LBB143_3445
; %bb.3435:
	s_cmp_eq_u32 s6, 46
	s_mov_b32 s14, 0
	s_cbranch_scc0 .LBB143_3446
; %bb.3436:
	global_load_b32 v32, v[42:43], off
	s_mov_b32 s9, 0
	s_mov_b32 s11, -1
	s_wait_loadcnt 0x0
	v_lshlrev_b32_e32 v33, 16, v32
	s_wait_xcnt 0x1
	v_and_b32_e32 v34, 0xffff0000, v32
	s_delay_alu instid0(VALU_DEP_2) | instskip(NEXT) | instid1(VALU_DEP_2)
	v_cvt_f64_f32_e32 v[32:33], v33
	v_cvt_f64_f32_e32 v[34:35], v34
	s_branch .LBB143_3448
.LBB143_3437:
	s_mov_b32 s9, -1
	s_mov_b32 s11, 0
                                        ; implicit-def: $vgpr34_vgpr35
	s_branch .LBB143_3482
.LBB143_3438:
	s_mov_b32 s14, -1
	s_mov_b32 s11, 0
	s_mov_b32 s9, 0
                                        ; implicit-def: $vgpr34_vgpr35
	s_branch .LBB143_3477
.LBB143_3439:
	s_mov_b32 s14, -1
	s_mov_b32 s11, 0
	s_mov_b32 s9, 0
                                        ; implicit-def: $vgpr34_vgpr35
	s_branch .LBB143_3460
.LBB143_3440:
	s_mov_b32 s14, -1
	s_mov_b32 s11, 0
	s_mov_b32 s9, 0
                                        ; implicit-def: $vgpr34_vgpr35
	s_branch .LBB143_3454
.LBB143_3441:
	s_mov_b32 s10, -1
	s_mov_b32 s19, exec_lo
	v_cmpx_eq_u16_e32 0x80, v33
; %bb.3442:
	s_xor_b32 s10, exec_lo, -1
; %bb.3443:
	s_or_b32 exec_lo, exec_lo, s19
	s_delay_alu instid0(SALU_CYCLE_1)
	s_and_b32 s10, s10, exec_lo
	s_or_saveexec_b32 s11, s11
	v_mov_b64_e32 v[36:37], 0x7ff8000020000000
	s_xor_b32 exec_lo, exec_lo, s11
	s_cbranch_execz .LBB143_3357
.LBB143_3444:
	v_cmp_ne_u16_e32 vcc_lo, 0, v33
	v_mov_b64_e32 v[36:37], 0
	s_and_not1_b32 s10, s10, exec_lo
	s_and_b32 s19, vcc_lo, exec_lo
	s_delay_alu instid0(SALU_CYCLE_1)
	s_or_b32 s10, s10, s19
	s_or_b32 exec_lo, exec_lo, s11
	s_and_saveexec_b32 s11, s10
	s_cbranch_execnz .LBB143_3358
	s_branch .LBB143_3359
.LBB143_3445:
	s_mov_b32 s14, -1
	s_mov_b32 s11, 0
	s_mov_b32 s9, 0
	s_branch .LBB143_3447
.LBB143_3446:
	s_mov_b32 s9, -1
	s_mov_b32 s11, 0
.LBB143_3447:
                                        ; implicit-def: $vgpr34_vgpr35
.LBB143_3448:
	s_and_b32 vcc_lo, exec_lo, s14
	s_cbranch_vccz .LBB143_3453
; %bb.3449:
	s_cmp_eq_u32 s6, 44
	s_cbranch_scc0 .LBB143_3451
; %bb.3450:
	global_load_u8 v34, v[42:43], off
	s_mov_b32 s9, 0
	s_mov_b32 s11, -1
	s_wait_loadcnt 0x0
	v_cmp_ne_u32_e32 vcc_lo, 0xff, v34
	v_lshlrev_b32_e32 v32, 23, v34
	s_delay_alu instid0(VALU_DEP_1) | instskip(NEXT) | instid1(VALU_DEP_1)
	v_cvt_f64_f32_e32 v[32:33], v32
	v_cndmask_b32_e32 v32, 0x20000000, v32, vcc_lo
	s_delay_alu instid0(VALU_DEP_2) | instskip(SKIP_1) | instid1(VALU_DEP_2)
	v_cndmask_b32_e32 v33, 0x7ff80000, v33, vcc_lo
	v_cmp_ne_u32_e32 vcc_lo, 0, v34
	v_cndmask_b32_e32 v33, 0x38000000, v33, vcc_lo
	s_delay_alu instid0(VALU_DEP_4)
	v_cndmask_b32_e32 v32, 0, v32, vcc_lo
	s_branch .LBB143_3452
.LBB143_3451:
	s_mov_b32 s9, -1
                                        ; implicit-def: $vgpr32_vgpr33
.LBB143_3452:
	s_wait_xcnt 0x0
	v_mov_b64_e32 v[34:35], 0
.LBB143_3453:
	s_mov_b32 s14, 0
.LBB143_3454:
	s_delay_alu instid0(SALU_CYCLE_1)
	s_and_b32 vcc_lo, exec_lo, s14
	s_cbranch_vccz .LBB143_3459
; %bb.3455:
	s_cmp_eq_u32 s6, 29
	s_cbranch_scc0 .LBB143_3457
; %bb.3456:
	global_load_b64 v[32:33], v[42:43], off
	s_mov_b32 s9, 0
	s_mov_b32 s11, -1
	s_wait_loadcnt 0x0
	s_wait_xcnt 0x1
	v_cvt_f64_u32_e32 v[34:35], v33
	v_cvt_f64_u32_e32 v[32:33], v32
	s_delay_alu instid0(VALU_DEP_2) | instskip(NEXT) | instid1(VALU_DEP_1)
	v_ldexp_f64 v[34:35], v[34:35], 32
	v_add_f64_e32 v[32:33], v[34:35], v[32:33]
	s_branch .LBB143_3458
.LBB143_3457:
	s_mov_b32 s9, -1
                                        ; implicit-def: $vgpr32_vgpr33
.LBB143_3458:
	s_wait_xcnt 0x0
	v_mov_b64_e32 v[34:35], 0
.LBB143_3459:
	s_mov_b32 s14, 0
.LBB143_3460:
	s_delay_alu instid0(SALU_CYCLE_1)
	s_and_b32 vcc_lo, exec_lo, s14
	s_cbranch_vccz .LBB143_3476
; %bb.3461:
	s_cmp_lt_i32 s6, 27
	s_cbranch_scc1 .LBB143_3464
; %bb.3462:
	s_cmp_gt_i32 s6, 27
	s_cbranch_scc0 .LBB143_3465
; %bb.3463:
	global_load_b32 v32, v[42:43], off
	s_mov_b32 s11, 0
	s_wait_loadcnt 0x0
	v_cvt_f64_u32_e32 v[32:33], v32
	s_branch .LBB143_3466
.LBB143_3464:
	s_mov_b32 s11, -1
                                        ; implicit-def: $vgpr32_vgpr33
	s_branch .LBB143_3469
.LBB143_3465:
	s_mov_b32 s11, -1
                                        ; implicit-def: $vgpr32_vgpr33
.LBB143_3466:
	s_delay_alu instid0(SALU_CYCLE_1)
	s_and_not1_b32 vcc_lo, exec_lo, s11
	s_cbranch_vccnz .LBB143_3468
; %bb.3467:
	global_load_u16 v32, v[42:43], off
	s_wait_loadcnt 0x0
	v_cvt_f64_u32_e32 v[32:33], v32
.LBB143_3468:
	s_mov_b32 s11, 0
.LBB143_3469:
	s_delay_alu instid0(SALU_CYCLE_1)
	s_and_not1_b32 vcc_lo, exec_lo, s11
	s_cbranch_vccnz .LBB143_3475
; %bb.3470:
	global_load_u8 v34, v[42:43], off
	s_mov_b32 s11, 0
	s_mov_b32 s14, exec_lo
	s_wait_loadcnt 0x0
	v_cmpx_lt_i16_e32 0x7f, v34
	s_xor_b32 s14, exec_lo, s14
	s_cbranch_execnz .LBB143_3501
; %bb.3471:
	s_or_saveexec_b32 s14, s14
	v_mov_b64_e32 v[32:33], 0x7ff8000020000000
	s_xor_b32 exec_lo, exec_lo, s14
	s_cbranch_execnz .LBB143_3504
.LBB143_3472:
	s_or_b32 exec_lo, exec_lo, s14
	s_and_saveexec_b32 s14, s11
	s_cbranch_execz .LBB143_3474
.LBB143_3473:
	v_and_b32_e32 v32, 0xffff, v34
	s_delay_alu instid0(VALU_DEP_1) | instskip(SKIP_1) | instid1(VALU_DEP_2)
	v_and_b32_e32 v33, 7, v32
	v_bfe_u32 v45, v32, 3, 4
	v_clz_i32_u32_e32 v35, v33
	s_delay_alu instid0(VALU_DEP_2) | instskip(NEXT) | instid1(VALU_DEP_2)
	v_cmp_eq_u32_e32 vcc_lo, 0, v45
	v_min_u32_e32 v35, 32, v35
	s_delay_alu instid0(VALU_DEP_1) | instskip(NEXT) | instid1(VALU_DEP_1)
	v_subrev_nc_u32_e32 v41, 28, v35
	v_dual_lshlrev_b32 v32, v41, v32 :: v_dual_sub_nc_u32 v35, 29, v35
	s_delay_alu instid0(VALU_DEP_1) | instskip(NEXT) | instid1(VALU_DEP_2)
	v_dual_lshlrev_b32 v34, 24, v34 :: v_dual_bitop2_b32 v32, 7, v32 bitop3:0x40
	v_cndmask_b32_e32 v35, v45, v35, vcc_lo
	s_delay_alu instid0(VALU_DEP_2) | instskip(NEXT) | instid1(VALU_DEP_3)
	v_cndmask_b32_e32 v32, v33, v32, vcc_lo
	v_and_b32_e32 v33, 0x80000000, v34
	s_delay_alu instid0(VALU_DEP_3) | instskip(NEXT) | instid1(VALU_DEP_3)
	v_lshl_add_u32 v34, v35, 23, 0x3b800000
	v_lshlrev_b32_e32 v32, 20, v32
	s_delay_alu instid0(VALU_DEP_1) | instskip(NEXT) | instid1(VALU_DEP_1)
	v_or3_b32 v32, v33, v34, v32
	v_cvt_f64_f32_e32 v[32:33], v32
.LBB143_3474:
	s_or_b32 exec_lo, exec_lo, s14
.LBB143_3475:
	s_wait_xcnt 0x0
	v_mov_b64_e32 v[34:35], 0
	s_mov_b32 s11, -1
.LBB143_3476:
	s_mov_b32 s14, 0
.LBB143_3477:
	s_delay_alu instid0(SALU_CYCLE_1)
	s_and_b32 vcc_lo, exec_lo, s14
	s_cbranch_vccnz .LBB143_3488
; %bb.3478:
	s_and_b32 vcc_lo, exec_lo, s9
	s_cbranch_vccnz .LBB143_3549
.LBB143_3479:
	s_and_not1_b32 vcc_lo, exec_lo, s10
	s_cbranch_vccnz .LBB143_3481
.LBB143_3480:
	global_load_u8 v32, v[42:43], off
	s_wait_xcnt 0x1
	v_mov_b64_e32 v[34:35], 0
	s_mov_b32 s11, -1
	s_wait_loadcnt 0x0
	v_cmp_ne_u16_e32 vcc_lo, 0, v32
	v_mov_b32_e32 v32, 0
	v_cndmask_b32_e64 v33, 0, 0x3ff00000, vcc_lo
.LBB143_3481:
	s_mov_b32 s9, 0
.LBB143_3482:
	s_delay_alu instid0(SALU_CYCLE_1)
	s_and_b32 vcc_lo, exec_lo, s9
	s_cbranch_vccz .LBB143_3565
; %bb.3483:
	s_cmp_lt_i32 s6, 5
	s_cbranch_scc1 .LBB143_3496
; %bb.3484:
	s_cmp_lt_i32 s6, 8
	s_cbranch_scc1 .LBB143_3497
	;; [unrolled: 3-line block ×3, first 2 shown]
; %bb.3486:
	s_cmp_gt_i32 s6, 9
	s_cbranch_scc0 .LBB143_3505
; %bb.3487:
	global_load_b128 v[32:35], v[42:43], off
	s_mov_b32 s9, 0
	s_branch .LBB143_3506
.LBB143_3488:
	s_cmp_gt_i32 s6, 22
	s_cbranch_scc0 .LBB143_3498
; %bb.3489:
	s_cmp_lt_i32 s6, 24
	s_cbranch_scc1 .LBB143_3500
; %bb.3490:
	s_cmp_gt_i32 s6, 24
	s_cbranch_scc0 .LBB143_3517
; %bb.3491:
	global_load_u8 v34, v[42:43], off
	s_mov_b32 s11, exec_lo
	s_wait_loadcnt 0x0
	v_cmpx_lt_i16_e32 0x7f, v34
	s_xor_b32 s11, exec_lo, s11
	s_cbranch_execnz .LBB143_3577
; %bb.3492:
	s_or_saveexec_b32 s11, s11
	v_mov_b64_e32 v[32:33], 0x7ff8000020000000
	s_xor_b32 exec_lo, exec_lo, s11
	s_cbranch_execnz .LBB143_3580
.LBB143_3493:
	s_or_b32 exec_lo, exec_lo, s11
	s_and_saveexec_b32 s11, s10
	s_cbranch_execz .LBB143_3495
.LBB143_3494:
	v_and_b32_e32 v32, 0xffff, v34
	s_delay_alu instid0(VALU_DEP_1) | instskip(SKIP_1) | instid1(VALU_DEP_2)
	v_and_b32_e32 v33, 3, v32
	v_bfe_u32 v45, v32, 2, 5
	v_clz_i32_u32_e32 v35, v33
	s_delay_alu instid0(VALU_DEP_2) | instskip(NEXT) | instid1(VALU_DEP_2)
	v_cmp_eq_u32_e32 vcc_lo, 0, v45
	v_min_u32_e32 v35, 32, v35
	s_delay_alu instid0(VALU_DEP_1) | instskip(NEXT) | instid1(VALU_DEP_1)
	v_subrev_nc_u32_e32 v41, 29, v35
	v_dual_lshlrev_b32 v32, v41, v32 :: v_dual_sub_nc_u32 v35, 30, v35
	s_delay_alu instid0(VALU_DEP_1) | instskip(NEXT) | instid1(VALU_DEP_2)
	v_dual_lshlrev_b32 v34, 24, v34 :: v_dual_bitop2_b32 v32, 3, v32 bitop3:0x40
	v_cndmask_b32_e32 v35, v45, v35, vcc_lo
	s_delay_alu instid0(VALU_DEP_2) | instskip(NEXT) | instid1(VALU_DEP_3)
	v_cndmask_b32_e32 v32, v33, v32, vcc_lo
	v_and_b32_e32 v33, 0x80000000, v34
	s_delay_alu instid0(VALU_DEP_3) | instskip(NEXT) | instid1(VALU_DEP_3)
	v_lshl_add_u32 v34, v35, 23, 0x37800000
	v_lshlrev_b32_e32 v32, 21, v32
	s_delay_alu instid0(VALU_DEP_1) | instskip(NEXT) | instid1(VALU_DEP_1)
	v_or3_b32 v32, v33, v34, v32
	v_cvt_f64_f32_e32 v[32:33], v32
.LBB143_3495:
	s_or_b32 exec_lo, exec_lo, s11
	s_mov_b32 s10, 0
	s_branch .LBB143_3518
.LBB143_3496:
	s_mov_b32 s9, -1
                                        ; implicit-def: $vgpr34_vgpr35
	s_branch .LBB143_3537
.LBB143_3497:
	s_mov_b32 s9, -1
                                        ; implicit-def: $vgpr34_vgpr35
	s_branch .LBB143_3512
.LBB143_3498:
	s_mov_b32 s10, -1
                                        ; implicit-def: $vgpr32_vgpr33
	s_branch .LBB143_3524
.LBB143_3499:
	s_mov_b32 s9, -1
                                        ; implicit-def: $vgpr34_vgpr35
	s_branch .LBB143_3509
.LBB143_3500:
	s_mov_b32 s10, -1
                                        ; implicit-def: $vgpr32_vgpr33
	s_branch .LBB143_3521
.LBB143_3501:
	s_mov_b32 s11, -1
	s_mov_b32 s15, exec_lo
	v_cmpx_eq_u16_e32 0x80, v34
; %bb.3502:
	s_xor_b32 s11, exec_lo, -1
; %bb.3503:
	s_or_b32 exec_lo, exec_lo, s15
	s_delay_alu instid0(SALU_CYCLE_1)
	s_and_b32 s11, s11, exec_lo
	s_or_saveexec_b32 s14, s14
	v_mov_b64_e32 v[32:33], 0x7ff8000020000000
	s_xor_b32 exec_lo, exec_lo, s14
	s_cbranch_execz .LBB143_3472
.LBB143_3504:
	v_cmp_ne_u16_e32 vcc_lo, 0, v34
	v_mov_b64_e32 v[32:33], 0
	s_and_not1_b32 s11, s11, exec_lo
	s_and_b32 s15, vcc_lo, exec_lo
	s_delay_alu instid0(SALU_CYCLE_1)
	s_or_b32 s11, s11, s15
	s_or_b32 exec_lo, exec_lo, s14
	s_and_saveexec_b32 s14, s11
	s_cbranch_execnz .LBB143_3473
	s_branch .LBB143_3474
.LBB143_3505:
	s_mov_b32 s9, -1
                                        ; implicit-def: $vgpr34_vgpr35
.LBB143_3506:
	s_delay_alu instid0(SALU_CYCLE_1)
	s_and_not1_b32 vcc_lo, exec_lo, s9
	s_cbranch_vccnz .LBB143_3508
; %bb.3507:
	s_wait_loadcnt 0x0
	global_load_b64 v[34:35], v[42:43], off
	s_wait_loadcnt 0x0
	v_cvt_f64_f32_e32 v[32:33], v34
	v_cvt_f64_f32_e32 v[34:35], v35
.LBB143_3508:
	s_mov_b32 s9, 0
.LBB143_3509:
	s_delay_alu instid0(SALU_CYCLE_1)
	s_and_not1_b32 vcc_lo, exec_lo, s9
	s_cbranch_vccnz .LBB143_3511
; %bb.3510:
	s_wait_loadcnt 0x0
	global_load_b32 v32, v[42:43], off
	s_wait_loadcnt 0x0
	v_lshrrev_b32_e32 v33, 16, v32
	v_cvt_f32_f16_e32 v32, v32
	s_wait_xcnt 0x1
	s_delay_alu instid0(VALU_DEP_2) | instskip(NEXT) | instid1(VALU_DEP_2)
	v_cvt_f32_f16_e32 v34, v33
	v_cvt_f64_f32_e32 v[32:33], v32
	s_delay_alu instid0(VALU_DEP_2)
	v_cvt_f64_f32_e32 v[34:35], v34
.LBB143_3511:
	s_mov_b32 s9, 0
.LBB143_3512:
	s_delay_alu instid0(SALU_CYCLE_1)
	s_and_not1_b32 vcc_lo, exec_lo, s9
	s_cbranch_vccnz .LBB143_3536
; %bb.3513:
	s_cmp_lt_i32 s6, 6
	s_cbranch_scc1 .LBB143_3516
; %bb.3514:
	s_cmp_gt_i32 s6, 6
	s_cbranch_scc0 .LBB143_3529
; %bb.3515:
	s_wait_loadcnt 0x0
	global_load_b64 v[32:33], v[42:43], off
	s_mov_b32 s9, 0
	s_branch .LBB143_3530
.LBB143_3516:
	s_mov_b32 s9, -1
                                        ; implicit-def: $vgpr32_vgpr33
	s_branch .LBB143_3533
.LBB143_3517:
	s_mov_b32 s10, -1
                                        ; implicit-def: $vgpr32_vgpr33
.LBB143_3518:
	s_delay_alu instid0(SALU_CYCLE_1)
	s_and_b32 vcc_lo, exec_lo, s10
	s_cbranch_vccz .LBB143_3520
; %bb.3519:
	global_load_u8 v32, v[42:43], off
	s_wait_loadcnt 0x0
	v_lshlrev_b32_e32 v32, 24, v32
	s_delay_alu instid0(VALU_DEP_1) | instskip(SKIP_1) | instid1(VALU_DEP_1)
	v_and_b32_e32 v33, 0x7f000000, v32
	s_wait_xcnt 0x1
	v_clz_i32_u32_e32 v34, v33
	v_add_nc_u32_e32 v41, 0x1000000, v33
	v_cmp_ne_u32_e32 vcc_lo, 0, v33
	s_delay_alu instid0(VALU_DEP_3) | instskip(NEXT) | instid1(VALU_DEP_1)
	v_min_u32_e32 v34, 32, v34
	v_sub_nc_u32_e64 v34, v34, 4 clamp
	s_delay_alu instid0(VALU_DEP_1) | instskip(NEXT) | instid1(VALU_DEP_1)
	v_dual_lshlrev_b32 v35, v34, v33 :: v_dual_lshlrev_b32 v34, 23, v34
	v_lshrrev_b32_e32 v35, 4, v35
	s_delay_alu instid0(VALU_DEP_1) | instskip(NEXT) | instid1(VALU_DEP_1)
	v_dual_sub_nc_u32 v34, v35, v34 :: v_dual_ashrrev_i32 v35, 8, v41
	v_add_nc_u32_e32 v34, 0x3c000000, v34
	s_delay_alu instid0(VALU_DEP_1) | instskip(NEXT) | instid1(VALU_DEP_1)
	v_and_or_b32 v34, 0x7f800000, v35, v34
	v_cndmask_b32_e32 v33, 0, v34, vcc_lo
	s_delay_alu instid0(VALU_DEP_1) | instskip(NEXT) | instid1(VALU_DEP_1)
	v_and_or_b32 v32, 0x80000000, v32, v33
	v_cvt_f64_f32_e32 v[32:33], v32
.LBB143_3520:
	s_mov_b32 s10, 0
.LBB143_3521:
	s_delay_alu instid0(SALU_CYCLE_1)
	s_and_not1_b32 vcc_lo, exec_lo, s10
	s_cbranch_vccnz .LBB143_3523
; %bb.3522:
	global_load_u8 v32, v[42:43], off
	s_wait_loadcnt 0x0
	v_lshlrev_b32_e32 v33, 25, v32
	v_lshlrev_b16 v32, 8, v32
	s_wait_xcnt 0x1
	s_delay_alu instid0(VALU_DEP_1) | instskip(SKIP_1) | instid1(VALU_DEP_2)
	v_and_or_b32 v35, 0x7f00, v32, 0.5
	v_bfe_i32 v32, v32, 0, 16
	v_dual_add_f32 v35, -0.5, v35 :: v_dual_lshrrev_b32 v34, 4, v33
	v_cmp_gt_u32_e32 vcc_lo, 0x8000000, v33
	s_delay_alu instid0(VALU_DEP_2) | instskip(NEXT) | instid1(VALU_DEP_1)
	v_or_b32_e32 v34, 0x70000000, v34
	v_mul_f32_e32 v34, 0x7800000, v34
	s_delay_alu instid0(VALU_DEP_1) | instskip(NEXT) | instid1(VALU_DEP_1)
	v_cndmask_b32_e32 v33, v34, v35, vcc_lo
	v_and_or_b32 v32, 0x80000000, v32, v33
	s_delay_alu instid0(VALU_DEP_1)
	v_cvt_f64_f32_e32 v[32:33], v32
.LBB143_3523:
	s_mov_b32 s10, 0
	s_mov_b32 s11, -1
.LBB143_3524:
	s_and_not1_b32 vcc_lo, exec_lo, s10
	s_mov_b32 s10, 0
	s_cbranch_vccnz .LBB143_3548
; %bb.3525:
	s_cmp_gt_i32 s6, 14
	s_cbranch_scc0 .LBB143_3528
; %bb.3526:
	s_cmp_eq_u32 s6, 15
	s_cbranch_scc0 .LBB143_3544
; %bb.3527:
	global_load_u16 v32, v[42:43], off
	s_mov_b32 s9, 0
	s_mov_b32 s11, -1
	s_wait_loadcnt 0x0
	v_lshlrev_b32_e32 v32, 16, v32
	s_delay_alu instid0(VALU_DEP_1)
	v_cvt_f64_f32_e32 v[32:33], v32
	s_branch .LBB143_3546
.LBB143_3528:
	s_mov_b32 s10, -1
	s_branch .LBB143_3545
.LBB143_3529:
	s_mov_b32 s9, -1
                                        ; implicit-def: $vgpr32_vgpr33
.LBB143_3530:
	s_delay_alu instid0(SALU_CYCLE_1)
	s_and_not1_b32 vcc_lo, exec_lo, s9
	s_cbranch_vccnz .LBB143_3532
; %bb.3531:
	s_wait_loadcnt 0x0
	global_load_b32 v32, v[42:43], off
	s_wait_loadcnt 0x0
	v_cvt_f64_f32_e32 v[32:33], v32
.LBB143_3532:
	s_mov_b32 s9, 0
.LBB143_3533:
	s_delay_alu instid0(SALU_CYCLE_1)
	s_and_not1_b32 vcc_lo, exec_lo, s9
	s_cbranch_vccnz .LBB143_3535
; %bb.3534:
	s_wait_loadcnt 0x0
	global_load_u16 v32, v[42:43], off
	s_wait_loadcnt 0x0
	v_cvt_f32_f16_e32 v32, v32
	s_delay_alu instid0(VALU_DEP_1)
	v_cvt_f64_f32_e32 v[32:33], v32
.LBB143_3535:
	s_wait_loadcnt 0x0
	v_mov_b64_e32 v[34:35], 0
.LBB143_3536:
	s_mov_b32 s9, 0
.LBB143_3537:
	s_delay_alu instid0(SALU_CYCLE_1)
	s_and_not1_b32 vcc_lo, exec_lo, s9
	s_cbranch_vccnz .LBB143_3564
; %bb.3538:
	s_cmp_lt_i32 s6, 2
	s_cbranch_scc1 .LBB143_3542
; %bb.3539:
	s_cmp_lt_i32 s6, 3
	s_cbranch_scc1 .LBB143_3543
; %bb.3540:
	s_cmp_gt_i32 s6, 3
	s_cbranch_scc0 .LBB143_3550
; %bb.3541:
	s_wait_loadcnt 0x0
	global_load_b64 v[32:33], v[42:43], off
	s_mov_b32 s9, 0
	s_wait_loadcnt 0x0
	s_wait_xcnt 0x1
	v_cvt_f64_i32_e32 v[34:35], v33
	v_cvt_f64_u32_e32 v[32:33], v32
	s_delay_alu instid0(VALU_DEP_2) | instskip(NEXT) | instid1(VALU_DEP_1)
	v_ldexp_f64 v[34:35], v[34:35], 32
	v_add_f64_e32 v[32:33], v[34:35], v[32:33]
	s_branch .LBB143_3551
.LBB143_3542:
	s_mov_b32 s9, -1
                                        ; implicit-def: $vgpr32_vgpr33
	s_branch .LBB143_3557
.LBB143_3543:
	s_mov_b32 s9, -1
                                        ; implicit-def: $vgpr32_vgpr33
	s_branch .LBB143_3554
.LBB143_3544:
	s_mov_b32 s9, -1
.LBB143_3545:
                                        ; implicit-def: $vgpr32_vgpr33
.LBB143_3546:
	s_and_b32 vcc_lo, exec_lo, s10
	s_mov_b32 s10, 0
	s_cbranch_vccz .LBB143_3548
; %bb.3547:
	s_cmp_lg_u32 s6, 11
	s_mov_b32 s10, -1
	s_cselect_b32 s9, -1, 0
.LBB143_3548:
	s_wait_xcnt 0x0
	v_mov_b64_e32 v[34:35], 0
	s_and_b32 vcc_lo, exec_lo, s9
	s_cbranch_vccz .LBB143_3479
.LBB143_3549:
	s_or_b32 s18, s18, exec_lo
	s_trap 2
	s_cbranch_execz .LBB143_3480
	s_branch .LBB143_3481
.LBB143_3550:
	s_mov_b32 s9, -1
                                        ; implicit-def: $vgpr32_vgpr33
.LBB143_3551:
	s_delay_alu instid0(SALU_CYCLE_1)
	s_and_not1_b32 vcc_lo, exec_lo, s9
	s_cbranch_vccnz .LBB143_3553
; %bb.3552:
	s_wait_loadcnt 0x0
	global_load_b32 v32, v[42:43], off
	s_wait_loadcnt 0x0
	v_cvt_f64_i32_e32 v[32:33], v32
.LBB143_3553:
	s_mov_b32 s9, 0
.LBB143_3554:
	s_delay_alu instid0(SALU_CYCLE_1)
	s_and_not1_b32 vcc_lo, exec_lo, s9
	s_cbranch_vccnz .LBB143_3556
; %bb.3555:
	s_wait_loadcnt 0x0
	global_load_i16 v32, v[42:43], off
	s_wait_loadcnt 0x0
	v_cvt_f64_i32_e32 v[32:33], v32
.LBB143_3556:
	s_mov_b32 s9, 0
.LBB143_3557:
	s_delay_alu instid0(SALU_CYCLE_1)
	s_and_not1_b32 vcc_lo, exec_lo, s9
	s_cbranch_vccnz .LBB143_3563
; %bb.3558:
	s_cmp_gt_i32 s6, 0
	s_mov_b32 s6, 0
	s_cbranch_scc0 .LBB143_3560
; %bb.3559:
	s_wait_loadcnt 0x0
	global_load_i8 v32, v[42:43], off
	s_wait_loadcnt 0x0
	v_cvt_f64_i32_e32 v[32:33], v32
	s_branch .LBB143_3561
.LBB143_3560:
	s_mov_b32 s6, -1
                                        ; implicit-def: $vgpr32_vgpr33
.LBB143_3561:
	s_delay_alu instid0(SALU_CYCLE_1)
	s_and_not1_b32 vcc_lo, exec_lo, s6
	s_cbranch_vccnz .LBB143_3563
; %bb.3562:
	s_wait_loadcnt 0x0
	global_load_u8 v32, v[42:43], off
	s_wait_loadcnt 0x0
	v_cvt_f64_u32_e32 v[32:33], v32
.LBB143_3563:
	s_wait_loadcnt 0x0
	v_mov_b64_e32 v[34:35], 0
.LBB143_3564:
	s_mov_b32 s11, -1
.LBB143_3565:
	s_delay_alu instid0(SALU_CYCLE_1)
	s_and_not1_b32 vcc_lo, exec_lo, s11
	s_cbranch_vccnz .LBB143_4271
; %bb.3566:
	v_mov_b32_e32 v41, 0
	s_cmp_lt_i32 s7, 11
	s_delay_alu instid0(VALU_DEP_1)
	v_add_nc_u64_e32 v[46:47], s[0:1], v[40:41]
	s_cbranch_scc1 .LBB143_3573
; %bb.3567:
	s_cmp_gt_i32 s7, 25
	s_mov_b32 s1, 0
	s_cbranch_scc0 .LBB143_3574
; %bb.3568:
	s_cmp_gt_i32 s7, 28
	s_cbranch_scc0 .LBB143_3575
; %bb.3569:
	s_cmp_gt_i32 s7, 43
	;; [unrolled: 3-line block ×3, first 2 shown]
	s_cbranch_scc0 .LBB143_3581
; %bb.3571:
	s_cmp_eq_u32 s7, 46
	s_mov_b32 s9, 0
	s_cbranch_scc0 .LBB143_3582
; %bb.3572:
	global_load_b32 v40, v[46:47], off
	s_mov_b32 s0, 0
	s_mov_b32 s6, -1
	s_wait_loadcnt 0x0
	v_lshlrev_b32_e32 v41, 16, v40
	s_wait_xcnt 0x1
	v_and_b32_e32 v42, 0xffff0000, v40
	s_delay_alu instid0(VALU_DEP_2) | instskip(NEXT) | instid1(VALU_DEP_2)
	v_cvt_f64_f32_e32 v[40:41], v41
	v_cvt_f64_f32_e32 v[42:43], v42
	s_branch .LBB143_3584
.LBB143_3573:
	s_mov_b32 s0, -1
	s_mov_b32 s6, 0
                                        ; implicit-def: $vgpr42_vgpr43
	s_branch .LBB143_3618
.LBB143_3574:
	s_mov_b32 s9, -1
	s_mov_b32 s6, 0
	s_mov_b32 s0, 0
                                        ; implicit-def: $vgpr42_vgpr43
	s_branch .LBB143_3613
.LBB143_3575:
	s_mov_b32 s9, -1
	s_mov_b32 s6, 0
	s_mov_b32 s0, 0
                                        ; implicit-def: $vgpr42_vgpr43
	s_branch .LBB143_3596
.LBB143_3576:
	s_mov_b32 s9, -1
	s_mov_b32 s6, 0
	s_mov_b32 s0, 0
                                        ; implicit-def: $vgpr42_vgpr43
	s_branch .LBB143_3590
.LBB143_3577:
	s_mov_b32 s10, -1
	s_mov_b32 s14, exec_lo
	v_cmpx_eq_u16_e32 0x80, v34
; %bb.3578:
	s_xor_b32 s10, exec_lo, -1
; %bb.3579:
	s_or_b32 exec_lo, exec_lo, s14
	s_delay_alu instid0(SALU_CYCLE_1)
	s_and_b32 s10, s10, exec_lo
	s_or_saveexec_b32 s11, s11
	v_mov_b64_e32 v[32:33], 0x7ff8000020000000
	s_xor_b32 exec_lo, exec_lo, s11
	s_cbranch_execz .LBB143_3493
.LBB143_3580:
	v_cmp_ne_u16_e32 vcc_lo, 0, v34
	v_mov_b64_e32 v[32:33], 0
	s_and_not1_b32 s10, s10, exec_lo
	s_and_b32 s14, vcc_lo, exec_lo
	s_delay_alu instid0(SALU_CYCLE_1)
	s_or_b32 s10, s10, s14
	s_or_b32 exec_lo, exec_lo, s11
	s_and_saveexec_b32 s11, s10
	s_cbranch_execnz .LBB143_3494
	s_branch .LBB143_3495
.LBB143_3581:
	s_mov_b32 s9, -1
	s_mov_b32 s6, 0
	s_mov_b32 s0, 0
	s_branch .LBB143_3583
.LBB143_3582:
	s_mov_b32 s0, -1
	s_mov_b32 s6, 0
.LBB143_3583:
                                        ; implicit-def: $vgpr42_vgpr43
.LBB143_3584:
	s_and_b32 vcc_lo, exec_lo, s9
	s_cbranch_vccz .LBB143_3589
; %bb.3585:
	s_cmp_eq_u32 s7, 44
	s_cbranch_scc0 .LBB143_3587
; %bb.3586:
	global_load_u8 v42, v[46:47], off
	s_mov_b32 s0, 0
	s_mov_b32 s6, -1
	s_wait_loadcnt 0x0
	v_cmp_ne_u32_e32 vcc_lo, 0xff, v42
	v_lshlrev_b32_e32 v40, 23, v42
	s_delay_alu instid0(VALU_DEP_1) | instskip(NEXT) | instid1(VALU_DEP_1)
	v_cvt_f64_f32_e32 v[40:41], v40
	v_cndmask_b32_e32 v40, 0x20000000, v40, vcc_lo
	s_delay_alu instid0(VALU_DEP_2) | instskip(SKIP_1) | instid1(VALU_DEP_2)
	v_cndmask_b32_e32 v41, 0x7ff80000, v41, vcc_lo
	v_cmp_ne_u32_e32 vcc_lo, 0, v42
	v_cndmask_b32_e32 v41, 0x38000000, v41, vcc_lo
	s_delay_alu instid0(VALU_DEP_4)
	v_cndmask_b32_e32 v40, 0, v40, vcc_lo
	s_branch .LBB143_3588
.LBB143_3587:
	s_mov_b32 s0, -1
                                        ; implicit-def: $vgpr40_vgpr41
.LBB143_3588:
	s_wait_xcnt 0x0
	v_mov_b64_e32 v[42:43], 0
.LBB143_3589:
	s_mov_b32 s9, 0
.LBB143_3590:
	s_delay_alu instid0(SALU_CYCLE_1)
	s_and_b32 vcc_lo, exec_lo, s9
	s_cbranch_vccz .LBB143_3595
; %bb.3591:
	s_cmp_eq_u32 s7, 29
	s_cbranch_scc0 .LBB143_3593
; %bb.3592:
	global_load_b64 v[40:41], v[46:47], off
	s_mov_b32 s0, 0
	s_mov_b32 s6, -1
	s_wait_loadcnt 0x0
	s_wait_xcnt 0x1
	v_cvt_f64_u32_e32 v[42:43], v41
	v_cvt_f64_u32_e32 v[40:41], v40
	s_delay_alu instid0(VALU_DEP_2) | instskip(NEXT) | instid1(VALU_DEP_1)
	v_ldexp_f64 v[42:43], v[42:43], 32
	v_add_f64_e32 v[40:41], v[42:43], v[40:41]
	s_branch .LBB143_3594
.LBB143_3593:
	s_mov_b32 s0, -1
                                        ; implicit-def: $vgpr40_vgpr41
.LBB143_3594:
	s_wait_xcnt 0x0
	v_mov_b64_e32 v[42:43], 0
.LBB143_3595:
	s_mov_b32 s9, 0
.LBB143_3596:
	s_delay_alu instid0(SALU_CYCLE_1)
	s_and_b32 vcc_lo, exec_lo, s9
	s_cbranch_vccz .LBB143_3612
; %bb.3597:
	s_cmp_lt_i32 s7, 27
	s_cbranch_scc1 .LBB143_3600
; %bb.3598:
	s_cmp_gt_i32 s7, 27
	s_cbranch_scc0 .LBB143_3601
; %bb.3599:
	global_load_b32 v40, v[46:47], off
	s_mov_b32 s6, 0
	s_wait_loadcnt 0x0
	v_cvt_f64_u32_e32 v[40:41], v40
	s_branch .LBB143_3602
.LBB143_3600:
	s_mov_b32 s6, -1
                                        ; implicit-def: $vgpr40_vgpr41
	s_branch .LBB143_3605
.LBB143_3601:
	s_mov_b32 s6, -1
                                        ; implicit-def: $vgpr40_vgpr41
.LBB143_3602:
	s_delay_alu instid0(SALU_CYCLE_1)
	s_and_not1_b32 vcc_lo, exec_lo, s6
	s_cbranch_vccnz .LBB143_3604
; %bb.3603:
	global_load_u16 v40, v[46:47], off
	s_wait_loadcnt 0x0
	v_cvt_f64_u32_e32 v[40:41], v40
.LBB143_3604:
	s_mov_b32 s6, 0
.LBB143_3605:
	s_delay_alu instid0(SALU_CYCLE_1)
	s_and_not1_b32 vcc_lo, exec_lo, s6
	s_cbranch_vccnz .LBB143_3611
; %bb.3606:
	global_load_u8 v42, v[46:47], off
	s_mov_b32 s6, 0
	s_mov_b32 s9, exec_lo
	s_wait_loadcnt 0x0
	v_cmpx_lt_i16_e32 0x7f, v42
	s_xor_b32 s9, exec_lo, s9
	s_cbranch_execnz .LBB143_3637
; %bb.3607:
	s_or_saveexec_b32 s9, s9
	v_mov_b64_e32 v[40:41], 0x7ff8000020000000
	s_xor_b32 exec_lo, exec_lo, s9
	s_cbranch_execnz .LBB143_3640
.LBB143_3608:
	s_or_b32 exec_lo, exec_lo, s9
	s_and_saveexec_b32 s9, s6
	s_cbranch_execz .LBB143_3610
.LBB143_3609:
	v_and_b32_e32 v40, 0xffff, v42
	s_delay_alu instid0(VALU_DEP_1) | instskip(SKIP_1) | instid1(VALU_DEP_2)
	v_and_b32_e32 v41, 7, v40
	v_bfe_u32 v49, v40, 3, 4
	v_clz_i32_u32_e32 v43, v41
	s_delay_alu instid0(VALU_DEP_2) | instskip(NEXT) | instid1(VALU_DEP_2)
	v_cmp_eq_u32_e32 vcc_lo, 0, v49
	v_min_u32_e32 v43, 32, v43
	s_delay_alu instid0(VALU_DEP_1) | instskip(NEXT) | instid1(VALU_DEP_1)
	v_subrev_nc_u32_e32 v45, 28, v43
	v_dual_lshlrev_b32 v40, v45, v40 :: v_dual_sub_nc_u32 v43, 29, v43
	s_delay_alu instid0(VALU_DEP_1) | instskip(NEXT) | instid1(VALU_DEP_2)
	v_dual_lshlrev_b32 v42, 24, v42 :: v_dual_bitop2_b32 v40, 7, v40 bitop3:0x40
	v_cndmask_b32_e32 v43, v49, v43, vcc_lo
	s_delay_alu instid0(VALU_DEP_2) | instskip(NEXT) | instid1(VALU_DEP_3)
	v_cndmask_b32_e32 v40, v41, v40, vcc_lo
	v_and_b32_e32 v41, 0x80000000, v42
	s_delay_alu instid0(VALU_DEP_3) | instskip(NEXT) | instid1(VALU_DEP_3)
	v_lshl_add_u32 v42, v43, 23, 0x3b800000
	v_lshlrev_b32_e32 v40, 20, v40
	s_delay_alu instid0(VALU_DEP_1) | instskip(NEXT) | instid1(VALU_DEP_1)
	v_or3_b32 v40, v41, v42, v40
	v_cvt_f64_f32_e32 v[40:41], v40
.LBB143_3610:
	s_or_b32 exec_lo, exec_lo, s9
.LBB143_3611:
	s_wait_xcnt 0x0
	v_mov_b64_e32 v[42:43], 0
	s_mov_b32 s6, -1
.LBB143_3612:
	s_mov_b32 s9, 0
.LBB143_3613:
	s_delay_alu instid0(SALU_CYCLE_1)
	s_and_b32 vcc_lo, exec_lo, s9
	s_cbranch_vccnz .LBB143_3624
; %bb.3614:
	s_and_b32 vcc_lo, exec_lo, s0
	s_cbranch_vccnz .LBB143_3685
.LBB143_3615:
	s_and_not1_b32 vcc_lo, exec_lo, s1
	s_cbranch_vccnz .LBB143_3617
.LBB143_3616:
	global_load_u8 v40, v[46:47], off
	s_wait_xcnt 0x1
	v_mov_b64_e32 v[42:43], 0
	s_mov_b32 s6, -1
	s_wait_loadcnt 0x0
	v_cmp_ne_u16_e32 vcc_lo, 0, v40
	v_mov_b32_e32 v40, 0
	v_cndmask_b32_e64 v41, 0, 0x3ff00000, vcc_lo
.LBB143_3617:
	s_mov_b32 s0, 0
.LBB143_3618:
	s_delay_alu instid0(SALU_CYCLE_1)
	s_and_b32 vcc_lo, exec_lo, s0
	s_cbranch_vccz .LBB143_3701
; %bb.3619:
	s_cmp_lt_i32 s7, 5
	s_cbranch_scc1 .LBB143_3632
; %bb.3620:
	s_cmp_lt_i32 s7, 8
	s_cbranch_scc1 .LBB143_3633
	;; [unrolled: 3-line block ×3, first 2 shown]
; %bb.3622:
	s_cmp_gt_i32 s7, 9
	s_cbranch_scc0 .LBB143_3641
; %bb.3623:
	global_load_b128 v[40:43], v[46:47], off
	s_mov_b32 s0, 0
	s_branch .LBB143_3642
.LBB143_3624:
	s_cmp_gt_i32 s7, 22
	s_cbranch_scc0 .LBB143_3634
; %bb.3625:
	s_cmp_lt_i32 s7, 24
	s_cbranch_scc1 .LBB143_3636
; %bb.3626:
	s_cmp_gt_i32 s7, 24
	s_cbranch_scc0 .LBB143_3653
; %bb.3627:
	global_load_u8 v42, v[46:47], off
	s_mov_b32 s6, exec_lo
	s_wait_loadcnt 0x0
	v_cmpx_lt_i16_e32 0x7f, v42
	s_xor_b32 s6, exec_lo, s6
	s_cbranch_execnz .LBB143_3713
; %bb.3628:
	s_or_saveexec_b32 s6, s6
	v_mov_b64_e32 v[40:41], 0x7ff8000020000000
	s_xor_b32 exec_lo, exec_lo, s6
	s_cbranch_execnz .LBB143_3716
.LBB143_3629:
	s_or_b32 exec_lo, exec_lo, s6
	s_and_saveexec_b32 s6, s1
	s_cbranch_execz .LBB143_3631
.LBB143_3630:
	v_and_b32_e32 v40, 0xffff, v42
	s_delay_alu instid0(VALU_DEP_1) | instskip(SKIP_1) | instid1(VALU_DEP_2)
	v_and_b32_e32 v41, 3, v40
	v_bfe_u32 v49, v40, 2, 5
	v_clz_i32_u32_e32 v43, v41
	s_delay_alu instid0(VALU_DEP_2) | instskip(NEXT) | instid1(VALU_DEP_2)
	v_cmp_eq_u32_e32 vcc_lo, 0, v49
	v_min_u32_e32 v43, 32, v43
	s_delay_alu instid0(VALU_DEP_1) | instskip(NEXT) | instid1(VALU_DEP_1)
	v_subrev_nc_u32_e32 v45, 29, v43
	v_dual_lshlrev_b32 v40, v45, v40 :: v_dual_sub_nc_u32 v43, 30, v43
	s_delay_alu instid0(VALU_DEP_1) | instskip(NEXT) | instid1(VALU_DEP_2)
	v_dual_lshlrev_b32 v42, 24, v42 :: v_dual_bitop2_b32 v40, 3, v40 bitop3:0x40
	v_cndmask_b32_e32 v43, v49, v43, vcc_lo
	s_delay_alu instid0(VALU_DEP_2) | instskip(NEXT) | instid1(VALU_DEP_3)
	v_cndmask_b32_e32 v40, v41, v40, vcc_lo
	v_and_b32_e32 v41, 0x80000000, v42
	s_delay_alu instid0(VALU_DEP_3) | instskip(NEXT) | instid1(VALU_DEP_3)
	v_lshl_add_u32 v42, v43, 23, 0x37800000
	v_lshlrev_b32_e32 v40, 21, v40
	s_delay_alu instid0(VALU_DEP_1) | instskip(NEXT) | instid1(VALU_DEP_1)
	v_or3_b32 v40, v41, v42, v40
	v_cvt_f64_f32_e32 v[40:41], v40
.LBB143_3631:
	s_or_b32 exec_lo, exec_lo, s6
	s_mov_b32 s1, 0
	s_branch .LBB143_3654
.LBB143_3632:
	s_mov_b32 s0, -1
                                        ; implicit-def: $vgpr42_vgpr43
	s_branch .LBB143_3673
.LBB143_3633:
	s_mov_b32 s0, -1
                                        ; implicit-def: $vgpr42_vgpr43
	s_branch .LBB143_3648
.LBB143_3634:
	s_mov_b32 s1, -1
                                        ; implicit-def: $vgpr40_vgpr41
	s_branch .LBB143_3660
.LBB143_3635:
	s_mov_b32 s0, -1
                                        ; implicit-def: $vgpr42_vgpr43
	s_branch .LBB143_3645
.LBB143_3636:
	s_mov_b32 s1, -1
                                        ; implicit-def: $vgpr40_vgpr41
	s_branch .LBB143_3657
.LBB143_3637:
	s_mov_b32 s6, -1
	s_mov_b32 s10, exec_lo
	v_cmpx_eq_u16_e32 0x80, v42
; %bb.3638:
	s_xor_b32 s6, exec_lo, -1
; %bb.3639:
	s_or_b32 exec_lo, exec_lo, s10
	s_delay_alu instid0(SALU_CYCLE_1)
	s_and_b32 s6, s6, exec_lo
	s_or_saveexec_b32 s9, s9
	v_mov_b64_e32 v[40:41], 0x7ff8000020000000
	s_xor_b32 exec_lo, exec_lo, s9
	s_cbranch_execz .LBB143_3608
.LBB143_3640:
	v_cmp_ne_u16_e32 vcc_lo, 0, v42
	v_mov_b64_e32 v[40:41], 0
	s_and_not1_b32 s6, s6, exec_lo
	s_and_b32 s10, vcc_lo, exec_lo
	s_delay_alu instid0(SALU_CYCLE_1)
	s_or_b32 s6, s6, s10
	s_or_b32 exec_lo, exec_lo, s9
	s_and_saveexec_b32 s9, s6
	s_cbranch_execnz .LBB143_3609
	s_branch .LBB143_3610
.LBB143_3641:
	s_mov_b32 s0, -1
                                        ; implicit-def: $vgpr42_vgpr43
.LBB143_3642:
	s_delay_alu instid0(SALU_CYCLE_1)
	s_and_not1_b32 vcc_lo, exec_lo, s0
	s_cbranch_vccnz .LBB143_3644
; %bb.3643:
	s_wait_loadcnt 0x0
	global_load_b64 v[42:43], v[46:47], off
	s_wait_loadcnt 0x0
	v_cvt_f64_f32_e32 v[40:41], v42
	v_cvt_f64_f32_e32 v[42:43], v43
.LBB143_3644:
	s_mov_b32 s0, 0
.LBB143_3645:
	s_delay_alu instid0(SALU_CYCLE_1)
	s_and_not1_b32 vcc_lo, exec_lo, s0
	s_cbranch_vccnz .LBB143_3647
; %bb.3646:
	s_wait_loadcnt 0x0
	global_load_b32 v40, v[46:47], off
	s_wait_loadcnt 0x0
	v_lshrrev_b32_e32 v41, 16, v40
	v_cvt_f32_f16_e32 v40, v40
	s_wait_xcnt 0x1
	s_delay_alu instid0(VALU_DEP_2) | instskip(NEXT) | instid1(VALU_DEP_2)
	v_cvt_f32_f16_e32 v42, v41
	v_cvt_f64_f32_e32 v[40:41], v40
	s_delay_alu instid0(VALU_DEP_2)
	v_cvt_f64_f32_e32 v[42:43], v42
.LBB143_3647:
	s_mov_b32 s0, 0
.LBB143_3648:
	s_delay_alu instid0(SALU_CYCLE_1)
	s_and_not1_b32 vcc_lo, exec_lo, s0
	s_cbranch_vccnz .LBB143_3672
; %bb.3649:
	s_cmp_lt_i32 s7, 6
	s_cbranch_scc1 .LBB143_3652
; %bb.3650:
	s_cmp_gt_i32 s7, 6
	s_cbranch_scc0 .LBB143_3665
; %bb.3651:
	s_wait_loadcnt 0x0
	global_load_b64 v[40:41], v[46:47], off
	s_mov_b32 s0, 0
	s_branch .LBB143_3666
.LBB143_3652:
	s_mov_b32 s0, -1
                                        ; implicit-def: $vgpr40_vgpr41
	s_branch .LBB143_3669
.LBB143_3653:
	s_mov_b32 s1, -1
                                        ; implicit-def: $vgpr40_vgpr41
.LBB143_3654:
	s_delay_alu instid0(SALU_CYCLE_1)
	s_and_b32 vcc_lo, exec_lo, s1
	s_cbranch_vccz .LBB143_3656
; %bb.3655:
	global_load_u8 v40, v[46:47], off
	s_wait_loadcnt 0x0
	v_lshlrev_b32_e32 v40, 24, v40
	s_delay_alu instid0(VALU_DEP_1) | instskip(SKIP_1) | instid1(VALU_DEP_1)
	v_and_b32_e32 v41, 0x7f000000, v40
	s_wait_xcnt 0x1
	v_clz_i32_u32_e32 v42, v41
	v_add_nc_u32_e32 v45, 0x1000000, v41
	v_cmp_ne_u32_e32 vcc_lo, 0, v41
	s_delay_alu instid0(VALU_DEP_3) | instskip(NEXT) | instid1(VALU_DEP_1)
	v_min_u32_e32 v42, 32, v42
	v_sub_nc_u32_e64 v42, v42, 4 clamp
	s_delay_alu instid0(VALU_DEP_1) | instskip(NEXT) | instid1(VALU_DEP_1)
	v_dual_lshlrev_b32 v43, v42, v41 :: v_dual_lshlrev_b32 v42, 23, v42
	v_lshrrev_b32_e32 v43, 4, v43
	s_delay_alu instid0(VALU_DEP_1) | instskip(NEXT) | instid1(VALU_DEP_1)
	v_dual_sub_nc_u32 v42, v43, v42 :: v_dual_ashrrev_i32 v43, 8, v45
	v_add_nc_u32_e32 v42, 0x3c000000, v42
	s_delay_alu instid0(VALU_DEP_1) | instskip(NEXT) | instid1(VALU_DEP_1)
	v_and_or_b32 v42, 0x7f800000, v43, v42
	v_cndmask_b32_e32 v41, 0, v42, vcc_lo
	s_delay_alu instid0(VALU_DEP_1) | instskip(NEXT) | instid1(VALU_DEP_1)
	v_and_or_b32 v40, 0x80000000, v40, v41
	v_cvt_f64_f32_e32 v[40:41], v40
.LBB143_3656:
	s_mov_b32 s1, 0
.LBB143_3657:
	s_delay_alu instid0(SALU_CYCLE_1)
	s_and_not1_b32 vcc_lo, exec_lo, s1
	s_cbranch_vccnz .LBB143_3659
; %bb.3658:
	global_load_u8 v40, v[46:47], off
	s_wait_loadcnt 0x0
	v_lshlrev_b32_e32 v41, 25, v40
	v_lshlrev_b16 v40, 8, v40
	s_wait_xcnt 0x1
	s_delay_alu instid0(VALU_DEP_1) | instskip(SKIP_1) | instid1(VALU_DEP_2)
	v_and_or_b32 v43, 0x7f00, v40, 0.5
	v_bfe_i32 v40, v40, 0, 16
	v_dual_add_f32 v43, -0.5, v43 :: v_dual_lshrrev_b32 v42, 4, v41
	v_cmp_gt_u32_e32 vcc_lo, 0x8000000, v41
	s_delay_alu instid0(VALU_DEP_2) | instskip(NEXT) | instid1(VALU_DEP_1)
	v_or_b32_e32 v42, 0x70000000, v42
	v_mul_f32_e32 v42, 0x7800000, v42
	s_delay_alu instid0(VALU_DEP_1) | instskip(NEXT) | instid1(VALU_DEP_1)
	v_cndmask_b32_e32 v41, v42, v43, vcc_lo
	v_and_or_b32 v40, 0x80000000, v40, v41
	s_delay_alu instid0(VALU_DEP_1)
	v_cvt_f64_f32_e32 v[40:41], v40
.LBB143_3659:
	s_mov_b32 s1, 0
	s_mov_b32 s6, -1
.LBB143_3660:
	s_and_not1_b32 vcc_lo, exec_lo, s1
	s_mov_b32 s1, 0
	s_cbranch_vccnz .LBB143_3684
; %bb.3661:
	s_cmp_gt_i32 s7, 14
	s_cbranch_scc0 .LBB143_3664
; %bb.3662:
	s_cmp_eq_u32 s7, 15
	s_cbranch_scc0 .LBB143_3680
; %bb.3663:
	global_load_u16 v40, v[46:47], off
	s_mov_b32 s0, 0
	s_mov_b32 s6, -1
	s_wait_loadcnt 0x0
	v_lshlrev_b32_e32 v40, 16, v40
	s_delay_alu instid0(VALU_DEP_1)
	v_cvt_f64_f32_e32 v[40:41], v40
	s_branch .LBB143_3682
.LBB143_3664:
	s_mov_b32 s1, -1
	s_branch .LBB143_3681
.LBB143_3665:
	s_mov_b32 s0, -1
                                        ; implicit-def: $vgpr40_vgpr41
.LBB143_3666:
	s_delay_alu instid0(SALU_CYCLE_1)
	s_and_not1_b32 vcc_lo, exec_lo, s0
	s_cbranch_vccnz .LBB143_3668
; %bb.3667:
	s_wait_loadcnt 0x0
	global_load_b32 v40, v[46:47], off
	s_wait_loadcnt 0x0
	v_cvt_f64_f32_e32 v[40:41], v40
.LBB143_3668:
	s_mov_b32 s0, 0
.LBB143_3669:
	s_delay_alu instid0(SALU_CYCLE_1)
	s_and_not1_b32 vcc_lo, exec_lo, s0
	s_cbranch_vccnz .LBB143_3671
; %bb.3670:
	s_wait_loadcnt 0x0
	global_load_u16 v40, v[46:47], off
	s_wait_loadcnt 0x0
	v_cvt_f32_f16_e32 v40, v40
	s_delay_alu instid0(VALU_DEP_1)
	v_cvt_f64_f32_e32 v[40:41], v40
.LBB143_3671:
	s_wait_loadcnt 0x0
	v_mov_b64_e32 v[42:43], 0
.LBB143_3672:
	s_mov_b32 s0, 0
.LBB143_3673:
	s_delay_alu instid0(SALU_CYCLE_1)
	s_and_not1_b32 vcc_lo, exec_lo, s0
	s_cbranch_vccnz .LBB143_3700
; %bb.3674:
	s_cmp_lt_i32 s7, 2
	s_cbranch_scc1 .LBB143_3678
; %bb.3675:
	s_cmp_lt_i32 s7, 3
	s_cbranch_scc1 .LBB143_3679
; %bb.3676:
	s_cmp_gt_i32 s7, 3
	s_cbranch_scc0 .LBB143_3686
; %bb.3677:
	s_wait_loadcnt 0x0
	global_load_b64 v[40:41], v[46:47], off
	s_mov_b32 s0, 0
	s_wait_loadcnt 0x0
	s_wait_xcnt 0x1
	v_cvt_f64_i32_e32 v[42:43], v41
	v_cvt_f64_u32_e32 v[40:41], v40
	s_delay_alu instid0(VALU_DEP_2) | instskip(NEXT) | instid1(VALU_DEP_1)
	v_ldexp_f64 v[42:43], v[42:43], 32
	v_add_f64_e32 v[40:41], v[42:43], v[40:41]
	s_branch .LBB143_3687
.LBB143_3678:
	s_mov_b32 s0, -1
                                        ; implicit-def: $vgpr40_vgpr41
	s_branch .LBB143_3693
.LBB143_3679:
	s_mov_b32 s0, -1
                                        ; implicit-def: $vgpr40_vgpr41
	s_branch .LBB143_3690
.LBB143_3680:
	s_mov_b32 s0, -1
.LBB143_3681:
                                        ; implicit-def: $vgpr40_vgpr41
.LBB143_3682:
	s_and_b32 vcc_lo, exec_lo, s1
	s_mov_b32 s1, 0
	s_cbranch_vccz .LBB143_3684
; %bb.3683:
	s_cmp_lg_u32 s7, 11
	s_mov_b32 s1, -1
	s_cselect_b32 s0, -1, 0
.LBB143_3684:
	s_wait_xcnt 0x0
	v_mov_b64_e32 v[42:43], 0
	s_and_b32 vcc_lo, exec_lo, s0
	s_cbranch_vccz .LBB143_3615
.LBB143_3685:
	s_or_b32 s18, s18, exec_lo
	s_trap 2
	s_cbranch_execz .LBB143_3616
	s_branch .LBB143_3617
.LBB143_3686:
	s_mov_b32 s0, -1
                                        ; implicit-def: $vgpr40_vgpr41
.LBB143_3687:
	s_delay_alu instid0(SALU_CYCLE_1)
	s_and_not1_b32 vcc_lo, exec_lo, s0
	s_cbranch_vccnz .LBB143_3689
; %bb.3688:
	s_wait_loadcnt 0x0
	global_load_b32 v40, v[46:47], off
	s_wait_loadcnt 0x0
	v_cvt_f64_i32_e32 v[40:41], v40
.LBB143_3689:
	s_mov_b32 s0, 0
.LBB143_3690:
	s_delay_alu instid0(SALU_CYCLE_1)
	s_and_not1_b32 vcc_lo, exec_lo, s0
	s_cbranch_vccnz .LBB143_3692
; %bb.3691:
	s_wait_loadcnt 0x0
	global_load_i16 v40, v[46:47], off
	s_wait_loadcnt 0x0
	v_cvt_f64_i32_e32 v[40:41], v40
.LBB143_3692:
	s_mov_b32 s0, 0
.LBB143_3693:
	s_delay_alu instid0(SALU_CYCLE_1)
	s_and_not1_b32 vcc_lo, exec_lo, s0
	s_cbranch_vccnz .LBB143_3699
; %bb.3694:
	s_cmp_gt_i32 s7, 0
	s_mov_b32 s0, 0
	s_cbranch_scc0 .LBB143_3696
; %bb.3695:
	s_wait_loadcnt 0x0
	global_load_i8 v40, v[46:47], off
	s_wait_loadcnt 0x0
	v_cvt_f64_i32_e32 v[40:41], v40
	s_branch .LBB143_3697
.LBB143_3696:
	s_mov_b32 s0, -1
                                        ; implicit-def: $vgpr40_vgpr41
.LBB143_3697:
	s_delay_alu instid0(SALU_CYCLE_1)
	s_and_not1_b32 vcc_lo, exec_lo, s0
	s_cbranch_vccnz .LBB143_3699
; %bb.3698:
	s_wait_loadcnt 0x0
	global_load_u8 v40, v[46:47], off
	s_wait_loadcnt 0x0
	v_cvt_f64_u32_e32 v[40:41], v40
.LBB143_3699:
	s_wait_loadcnt 0x0
	v_mov_b64_e32 v[42:43], 0
.LBB143_3700:
	s_mov_b32 s6, -1
.LBB143_3701:
	s_delay_alu instid0(SALU_CYCLE_1)
	s_and_not1_b32 vcc_lo, exec_lo, s6
	s_cbranch_vccnz .LBB143_4271
; %bb.3702:
	v_mov_b32_e32 v45, 0
	s_cmp_lt_i32 s8, 11
	s_delay_alu instid0(VALU_DEP_1)
	v_add_nc_u64_e32 v[56:57], s[4:5], v[44:45]
	s_cbranch_scc1 .LBB143_3709
; %bb.3703:
	s_cmp_gt_i32 s8, 25
	s_mov_b32 s1, 0
	s_cbranch_scc0 .LBB143_3710
; %bb.3704:
	s_cmp_gt_i32 s8, 28
	s_cbranch_scc0 .LBB143_3711
; %bb.3705:
	s_cmp_gt_i32 s8, 43
	;; [unrolled: 3-line block ×3, first 2 shown]
	s_cbranch_scc0 .LBB143_3717
; %bb.3707:
	s_cmp_eq_u32 s8, 46
	s_mov_b32 s5, 0
	s_cbranch_scc0 .LBB143_3718
; %bb.3708:
	global_load_b32 v44, v[56:57], off
	s_mov_b32 s0, 0
	s_mov_b32 s4, -1
	s_wait_loadcnt 0x0
	v_lshlrev_b32_e32 v45, 16, v44
	s_wait_xcnt 0x1
	v_and_b32_e32 v46, 0xffff0000, v44
	s_delay_alu instid0(VALU_DEP_2) | instskip(NEXT) | instid1(VALU_DEP_2)
	v_cvt_f64_f32_e32 v[44:45], v45
	v_cvt_f64_f32_e32 v[46:47], v46
	s_branch .LBB143_3720
.LBB143_3709:
	s_mov_b32 s0, -1
	s_mov_b32 s4, 0
                                        ; implicit-def: $vgpr46_vgpr47
	s_branch .LBB143_3754
.LBB143_3710:
	s_mov_b32 s5, -1
	s_mov_b32 s4, 0
	s_mov_b32 s0, 0
                                        ; implicit-def: $vgpr46_vgpr47
	s_branch .LBB143_3749
.LBB143_3711:
	s_mov_b32 s5, -1
	s_mov_b32 s4, 0
	s_mov_b32 s0, 0
                                        ; implicit-def: $vgpr46_vgpr47
	s_branch .LBB143_3732
.LBB143_3712:
	s_mov_b32 s5, -1
	s_mov_b32 s4, 0
	s_mov_b32 s0, 0
                                        ; implicit-def: $vgpr46_vgpr47
	s_branch .LBB143_3726
.LBB143_3713:
	s_mov_b32 s1, -1
	s_mov_b32 s9, exec_lo
	v_cmpx_eq_u16_e32 0x80, v42
; %bb.3714:
	s_xor_b32 s1, exec_lo, -1
; %bb.3715:
	s_or_b32 exec_lo, exec_lo, s9
	s_delay_alu instid0(SALU_CYCLE_1)
	s_and_b32 s1, s1, exec_lo
	s_or_saveexec_b32 s6, s6
	v_mov_b64_e32 v[40:41], 0x7ff8000020000000
	s_xor_b32 exec_lo, exec_lo, s6
	s_cbranch_execz .LBB143_3629
.LBB143_3716:
	v_cmp_ne_u16_e32 vcc_lo, 0, v42
	v_mov_b64_e32 v[40:41], 0
	s_and_not1_b32 s1, s1, exec_lo
	s_and_b32 s9, vcc_lo, exec_lo
	s_delay_alu instid0(SALU_CYCLE_1)
	s_or_b32 s1, s1, s9
	s_or_b32 exec_lo, exec_lo, s6
	s_and_saveexec_b32 s6, s1
	s_cbranch_execnz .LBB143_3630
	s_branch .LBB143_3631
.LBB143_3717:
	s_mov_b32 s5, -1
	s_mov_b32 s4, 0
	s_mov_b32 s0, 0
	s_branch .LBB143_3719
.LBB143_3718:
	s_mov_b32 s0, -1
	s_mov_b32 s4, 0
.LBB143_3719:
                                        ; implicit-def: $vgpr46_vgpr47
.LBB143_3720:
	s_and_b32 vcc_lo, exec_lo, s5
	s_cbranch_vccz .LBB143_3725
; %bb.3721:
	s_cmp_eq_u32 s8, 44
	s_cbranch_scc0 .LBB143_3723
; %bb.3722:
	global_load_u8 v46, v[56:57], off
	s_mov_b32 s0, 0
	s_mov_b32 s4, -1
	s_wait_loadcnt 0x0
	v_cmp_ne_u32_e32 vcc_lo, 0xff, v46
	v_lshlrev_b32_e32 v44, 23, v46
	s_delay_alu instid0(VALU_DEP_1) | instskip(NEXT) | instid1(VALU_DEP_1)
	v_cvt_f64_f32_e32 v[44:45], v44
	v_cndmask_b32_e32 v44, 0x20000000, v44, vcc_lo
	s_delay_alu instid0(VALU_DEP_2) | instskip(SKIP_1) | instid1(VALU_DEP_2)
	v_cndmask_b32_e32 v45, 0x7ff80000, v45, vcc_lo
	v_cmp_ne_u32_e32 vcc_lo, 0, v46
	v_cndmask_b32_e32 v45, 0x38000000, v45, vcc_lo
	s_delay_alu instid0(VALU_DEP_4)
	v_cndmask_b32_e32 v44, 0, v44, vcc_lo
	s_branch .LBB143_3724
.LBB143_3723:
	s_mov_b32 s0, -1
                                        ; implicit-def: $vgpr44_vgpr45
.LBB143_3724:
	s_wait_xcnt 0x0
	v_mov_b64_e32 v[46:47], 0
.LBB143_3725:
	s_mov_b32 s5, 0
.LBB143_3726:
	s_delay_alu instid0(SALU_CYCLE_1)
	s_and_b32 vcc_lo, exec_lo, s5
	s_cbranch_vccz .LBB143_3731
; %bb.3727:
	s_cmp_eq_u32 s8, 29
	s_cbranch_scc0 .LBB143_3729
; %bb.3728:
	global_load_b64 v[44:45], v[56:57], off
	s_mov_b32 s0, 0
	s_mov_b32 s4, -1
	s_wait_loadcnt 0x0
	s_wait_xcnt 0x1
	v_cvt_f64_u32_e32 v[46:47], v45
	v_cvt_f64_u32_e32 v[44:45], v44
	s_delay_alu instid0(VALU_DEP_2) | instskip(NEXT) | instid1(VALU_DEP_1)
	v_ldexp_f64 v[46:47], v[46:47], 32
	v_add_f64_e32 v[44:45], v[46:47], v[44:45]
	s_branch .LBB143_3730
.LBB143_3729:
	s_mov_b32 s0, -1
                                        ; implicit-def: $vgpr44_vgpr45
.LBB143_3730:
	s_wait_xcnt 0x0
	v_mov_b64_e32 v[46:47], 0
.LBB143_3731:
	s_mov_b32 s5, 0
.LBB143_3732:
	s_delay_alu instid0(SALU_CYCLE_1)
	s_and_b32 vcc_lo, exec_lo, s5
	s_cbranch_vccz .LBB143_3748
; %bb.3733:
	s_cmp_lt_i32 s8, 27
	s_cbranch_scc1 .LBB143_3736
; %bb.3734:
	s_cmp_gt_i32 s8, 27
	s_cbranch_scc0 .LBB143_3737
; %bb.3735:
	global_load_b32 v44, v[56:57], off
	s_mov_b32 s4, 0
	s_wait_loadcnt 0x0
	v_cvt_f64_u32_e32 v[44:45], v44
	s_branch .LBB143_3738
.LBB143_3736:
	s_mov_b32 s4, -1
                                        ; implicit-def: $vgpr44_vgpr45
	s_branch .LBB143_3741
.LBB143_3737:
	s_mov_b32 s4, -1
                                        ; implicit-def: $vgpr44_vgpr45
.LBB143_3738:
	s_delay_alu instid0(SALU_CYCLE_1)
	s_and_not1_b32 vcc_lo, exec_lo, s4
	s_cbranch_vccnz .LBB143_3740
; %bb.3739:
	global_load_u16 v44, v[56:57], off
	s_wait_loadcnt 0x0
	v_cvt_f64_u32_e32 v[44:45], v44
.LBB143_3740:
	s_mov_b32 s4, 0
.LBB143_3741:
	s_delay_alu instid0(SALU_CYCLE_1)
	s_and_not1_b32 vcc_lo, exec_lo, s4
	s_cbranch_vccnz .LBB143_3747
; %bb.3742:
	global_load_u8 v46, v[56:57], off
	s_mov_b32 s4, 0
	s_mov_b32 s5, exec_lo
	s_wait_loadcnt 0x0
	v_cmpx_lt_i16_e32 0x7f, v46
	s_xor_b32 s5, exec_lo, s5
	s_cbranch_execnz .LBB143_3773
; %bb.3743:
	s_or_saveexec_b32 s5, s5
	v_mov_b64_e32 v[44:45], 0x7ff8000020000000
	s_xor_b32 exec_lo, exec_lo, s5
	s_cbranch_execnz .LBB143_3776
.LBB143_3744:
	s_or_b32 exec_lo, exec_lo, s5
	s_and_saveexec_b32 s5, s4
	s_cbranch_execz .LBB143_3746
.LBB143_3745:
	v_and_b32_e32 v44, 0xffff, v46
	s_delay_alu instid0(VALU_DEP_1) | instskip(SKIP_1) | instid1(VALU_DEP_2)
	v_and_b32_e32 v45, 7, v44
	v_bfe_u32 v51, v44, 3, 4
	v_clz_i32_u32_e32 v47, v45
	s_delay_alu instid0(VALU_DEP_2) | instskip(NEXT) | instid1(VALU_DEP_2)
	v_cmp_eq_u32_e32 vcc_lo, 0, v51
	v_min_u32_e32 v47, 32, v47
	s_delay_alu instid0(VALU_DEP_1) | instskip(NEXT) | instid1(VALU_DEP_1)
	v_subrev_nc_u32_e32 v49, 28, v47
	v_dual_lshlrev_b32 v44, v49, v44 :: v_dual_sub_nc_u32 v47, 29, v47
	s_delay_alu instid0(VALU_DEP_1) | instskip(NEXT) | instid1(VALU_DEP_1)
	v_dual_lshlrev_b32 v46, 24, v46 :: v_dual_bitop2_b32 v44, 7, v44 bitop3:0x40
	v_dual_cndmask_b32 v47, v51, v47 :: v_dual_cndmask_b32 v44, v45, v44
	s_delay_alu instid0(VALU_DEP_2) | instskip(NEXT) | instid1(VALU_DEP_2)
	v_and_b32_e32 v45, 0x80000000, v46
	v_lshl_add_u32 v46, v47, 23, 0x3b800000
	s_delay_alu instid0(VALU_DEP_3) | instskip(NEXT) | instid1(VALU_DEP_1)
	v_lshlrev_b32_e32 v44, 20, v44
	v_or3_b32 v44, v45, v46, v44
	s_delay_alu instid0(VALU_DEP_1)
	v_cvt_f64_f32_e32 v[44:45], v44
.LBB143_3746:
	s_or_b32 exec_lo, exec_lo, s5
.LBB143_3747:
	s_wait_xcnt 0x0
	v_mov_b64_e32 v[46:47], 0
	s_mov_b32 s4, -1
.LBB143_3748:
	s_mov_b32 s5, 0
.LBB143_3749:
	s_delay_alu instid0(SALU_CYCLE_1)
	s_and_b32 vcc_lo, exec_lo, s5
	s_cbranch_vccnz .LBB143_3760
; %bb.3750:
	s_and_b32 vcc_lo, exec_lo, s0
	s_cbranch_vccnz .LBB143_3821
.LBB143_3751:
	s_and_not1_b32 vcc_lo, exec_lo, s1
	s_cbranch_vccnz .LBB143_3753
.LBB143_3752:
	global_load_u8 v44, v[56:57], off
	s_wait_xcnt 0x1
	v_mov_b64_e32 v[46:47], 0
	s_mov_b32 s4, -1
	s_wait_loadcnt 0x0
	v_cmp_ne_u16_e32 vcc_lo, 0, v44
	v_mov_b32_e32 v44, 0
	v_cndmask_b32_e64 v45, 0, 0x3ff00000, vcc_lo
.LBB143_3753:
	s_mov_b32 s0, 0
.LBB143_3754:
	s_delay_alu instid0(SALU_CYCLE_1)
	s_and_b32 vcc_lo, exec_lo, s0
	s_cbranch_vccz .LBB143_3837
; %bb.3755:
	s_cmp_lt_i32 s8, 5
	s_cbranch_scc1 .LBB143_3768
; %bb.3756:
	s_cmp_lt_i32 s8, 8
	s_cbranch_scc1 .LBB143_3769
	;; [unrolled: 3-line block ×3, first 2 shown]
; %bb.3758:
	s_cmp_gt_i32 s8, 9
	s_cbranch_scc0 .LBB143_3777
; %bb.3759:
	global_load_b128 v[44:47], v[56:57], off
	s_mov_b32 s0, 0
	s_branch .LBB143_3778
.LBB143_3760:
	s_cmp_gt_i32 s8, 22
	s_cbranch_scc0 .LBB143_3770
; %bb.3761:
	s_cmp_lt_i32 s8, 24
	s_cbranch_scc1 .LBB143_3772
; %bb.3762:
	s_cmp_gt_i32 s8, 24
	s_cbranch_scc0 .LBB143_3789
; %bb.3763:
	global_load_u8 v46, v[56:57], off
	s_mov_b32 s4, exec_lo
	s_wait_loadcnt 0x0
	v_cmpx_lt_i16_e32 0x7f, v46
	s_xor_b32 s4, exec_lo, s4
	s_cbranch_execnz .LBB143_4317
; %bb.3764:
	s_or_saveexec_b32 s4, s4
	v_mov_b64_e32 v[44:45], 0x7ff8000020000000
	s_xor_b32 exec_lo, exec_lo, s4
	s_cbranch_execnz .LBB143_4320
.LBB143_3765:
	s_or_b32 exec_lo, exec_lo, s4
	s_and_saveexec_b32 s4, s1
	s_cbranch_execz .LBB143_3767
.LBB143_3766:
	v_and_b32_e32 v44, 0xffff, v46
	s_delay_alu instid0(VALU_DEP_1) | instskip(SKIP_1) | instid1(VALU_DEP_2)
	v_and_b32_e32 v45, 3, v44
	v_bfe_u32 v51, v44, 2, 5
	v_clz_i32_u32_e32 v47, v45
	s_delay_alu instid0(VALU_DEP_2) | instskip(NEXT) | instid1(VALU_DEP_2)
	v_cmp_eq_u32_e32 vcc_lo, 0, v51
	v_min_u32_e32 v47, 32, v47
	s_delay_alu instid0(VALU_DEP_1) | instskip(NEXT) | instid1(VALU_DEP_1)
	v_subrev_nc_u32_e32 v49, 29, v47
	v_dual_lshlrev_b32 v44, v49, v44 :: v_dual_sub_nc_u32 v47, 30, v47
	s_delay_alu instid0(VALU_DEP_1) | instskip(NEXT) | instid1(VALU_DEP_1)
	v_dual_lshlrev_b32 v46, 24, v46 :: v_dual_bitop2_b32 v44, 3, v44 bitop3:0x40
	v_dual_cndmask_b32 v47, v51, v47 :: v_dual_cndmask_b32 v44, v45, v44
	s_delay_alu instid0(VALU_DEP_2) | instskip(NEXT) | instid1(VALU_DEP_2)
	v_and_b32_e32 v45, 0x80000000, v46
	v_lshl_add_u32 v46, v47, 23, 0x37800000
	s_delay_alu instid0(VALU_DEP_3) | instskip(NEXT) | instid1(VALU_DEP_1)
	v_lshlrev_b32_e32 v44, 21, v44
	v_or3_b32 v44, v45, v46, v44
	s_delay_alu instid0(VALU_DEP_1)
	v_cvt_f64_f32_e32 v[44:45], v44
.LBB143_3767:
	s_or_b32 exec_lo, exec_lo, s4
	s_mov_b32 s1, 0
	s_branch .LBB143_3790
.LBB143_3768:
	s_mov_b32 s0, -1
                                        ; implicit-def: $vgpr46_vgpr47
	s_branch .LBB143_3809
.LBB143_3769:
	s_mov_b32 s0, -1
                                        ; implicit-def: $vgpr46_vgpr47
	s_branch .LBB143_3784
.LBB143_3770:
	s_mov_b32 s1, -1
                                        ; implicit-def: $vgpr44_vgpr45
	s_branch .LBB143_3796
.LBB143_3771:
	s_mov_b32 s0, -1
                                        ; implicit-def: $vgpr46_vgpr47
	s_branch .LBB143_3781
.LBB143_3772:
	s_mov_b32 s1, -1
                                        ; implicit-def: $vgpr44_vgpr45
	s_branch .LBB143_3793
.LBB143_3773:
	s_mov_b32 s4, -1
	s_mov_b32 s6, exec_lo
	v_cmpx_eq_u16_e32 0x80, v46
; %bb.3774:
	s_xor_b32 s4, exec_lo, -1
; %bb.3775:
	s_or_b32 exec_lo, exec_lo, s6
	s_delay_alu instid0(SALU_CYCLE_1)
	s_and_b32 s4, s4, exec_lo
	s_or_saveexec_b32 s5, s5
	v_mov_b64_e32 v[44:45], 0x7ff8000020000000
	s_xor_b32 exec_lo, exec_lo, s5
	s_cbranch_execz .LBB143_3744
.LBB143_3776:
	v_cmp_ne_u16_e32 vcc_lo, 0, v46
	v_mov_b64_e32 v[44:45], 0
	s_and_not1_b32 s4, s4, exec_lo
	s_and_b32 s6, vcc_lo, exec_lo
	s_delay_alu instid0(SALU_CYCLE_1)
	s_or_b32 s4, s4, s6
	s_or_b32 exec_lo, exec_lo, s5
	s_and_saveexec_b32 s5, s4
	s_cbranch_execnz .LBB143_3745
	s_branch .LBB143_3746
.LBB143_3777:
	s_mov_b32 s0, -1
                                        ; implicit-def: $vgpr46_vgpr47
.LBB143_3778:
	s_delay_alu instid0(SALU_CYCLE_1)
	s_and_not1_b32 vcc_lo, exec_lo, s0
	s_cbranch_vccnz .LBB143_3780
; %bb.3779:
	s_wait_loadcnt 0x0
	global_load_b64 v[46:47], v[56:57], off
	s_wait_loadcnt 0x0
	v_cvt_f64_f32_e32 v[44:45], v46
	v_cvt_f64_f32_e32 v[46:47], v47
.LBB143_3780:
	s_mov_b32 s0, 0
.LBB143_3781:
	s_delay_alu instid0(SALU_CYCLE_1)
	s_and_not1_b32 vcc_lo, exec_lo, s0
	s_cbranch_vccnz .LBB143_3783
; %bb.3782:
	s_wait_loadcnt 0x0
	global_load_b32 v44, v[56:57], off
	s_wait_loadcnt 0x0
	v_lshrrev_b32_e32 v45, 16, v44
	v_cvt_f32_f16_e32 v44, v44
	s_wait_xcnt 0x1
	s_delay_alu instid0(VALU_DEP_2) | instskip(NEXT) | instid1(VALU_DEP_2)
	v_cvt_f32_f16_e32 v46, v45
	v_cvt_f64_f32_e32 v[44:45], v44
	s_delay_alu instid0(VALU_DEP_2)
	v_cvt_f64_f32_e32 v[46:47], v46
.LBB143_3783:
	s_mov_b32 s0, 0
.LBB143_3784:
	s_delay_alu instid0(SALU_CYCLE_1)
	s_and_not1_b32 vcc_lo, exec_lo, s0
	s_cbranch_vccnz .LBB143_3808
; %bb.3785:
	s_cmp_lt_i32 s8, 6
	s_cbranch_scc1 .LBB143_3788
; %bb.3786:
	s_cmp_gt_i32 s8, 6
	s_cbranch_scc0 .LBB143_3801
; %bb.3787:
	s_wait_loadcnt 0x0
	global_load_b64 v[44:45], v[56:57], off
	s_mov_b32 s0, 0
	s_branch .LBB143_3802
.LBB143_3788:
	s_mov_b32 s0, -1
                                        ; implicit-def: $vgpr44_vgpr45
	s_branch .LBB143_3805
.LBB143_3789:
	s_mov_b32 s1, -1
                                        ; implicit-def: $vgpr44_vgpr45
.LBB143_3790:
	s_delay_alu instid0(SALU_CYCLE_1)
	s_and_b32 vcc_lo, exec_lo, s1
	s_cbranch_vccz .LBB143_3792
; %bb.3791:
	global_load_u8 v44, v[56:57], off
	s_wait_loadcnt 0x0
	v_lshlrev_b32_e32 v44, 24, v44
	s_delay_alu instid0(VALU_DEP_1) | instskip(SKIP_1) | instid1(VALU_DEP_1)
	v_and_b32_e32 v45, 0x7f000000, v44
	s_wait_xcnt 0x1
	v_clz_i32_u32_e32 v46, v45
	v_add_nc_u32_e32 v49, 0x1000000, v45
	v_cmp_ne_u32_e32 vcc_lo, 0, v45
	s_delay_alu instid0(VALU_DEP_3) | instskip(NEXT) | instid1(VALU_DEP_1)
	v_min_u32_e32 v46, 32, v46
	v_sub_nc_u32_e64 v46, v46, 4 clamp
	s_delay_alu instid0(VALU_DEP_1) | instskip(NEXT) | instid1(VALU_DEP_1)
	v_dual_lshlrev_b32 v47, v46, v45 :: v_dual_lshlrev_b32 v46, 23, v46
	v_lshrrev_b32_e32 v47, 4, v47
	s_delay_alu instid0(VALU_DEP_1) | instskip(NEXT) | instid1(VALU_DEP_1)
	v_dual_sub_nc_u32 v46, v47, v46 :: v_dual_ashrrev_i32 v47, 8, v49
	v_add_nc_u32_e32 v46, 0x3c000000, v46
	s_delay_alu instid0(VALU_DEP_1) | instskip(NEXT) | instid1(VALU_DEP_1)
	v_and_or_b32 v46, 0x7f800000, v47, v46
	v_cndmask_b32_e32 v45, 0, v46, vcc_lo
	s_delay_alu instid0(VALU_DEP_1) | instskip(NEXT) | instid1(VALU_DEP_1)
	v_and_or_b32 v44, 0x80000000, v44, v45
	v_cvt_f64_f32_e32 v[44:45], v44
.LBB143_3792:
	s_mov_b32 s1, 0
.LBB143_3793:
	s_delay_alu instid0(SALU_CYCLE_1)
	s_and_not1_b32 vcc_lo, exec_lo, s1
	s_cbranch_vccnz .LBB143_3795
; %bb.3794:
	global_load_u8 v44, v[56:57], off
	s_wait_loadcnt 0x0
	v_lshlrev_b32_e32 v45, 25, v44
	v_lshlrev_b16 v44, 8, v44
	s_wait_xcnt 0x1
	s_delay_alu instid0(VALU_DEP_1) | instskip(SKIP_1) | instid1(VALU_DEP_2)
	v_and_or_b32 v47, 0x7f00, v44, 0.5
	v_bfe_i32 v44, v44, 0, 16
	v_dual_add_f32 v47, -0.5, v47 :: v_dual_lshrrev_b32 v46, 4, v45
	v_cmp_gt_u32_e32 vcc_lo, 0x8000000, v45
	s_delay_alu instid0(VALU_DEP_2) | instskip(NEXT) | instid1(VALU_DEP_1)
	v_or_b32_e32 v46, 0x70000000, v46
	v_mul_f32_e32 v46, 0x7800000, v46
	s_delay_alu instid0(VALU_DEP_1) | instskip(NEXT) | instid1(VALU_DEP_1)
	v_cndmask_b32_e32 v45, v46, v47, vcc_lo
	v_and_or_b32 v44, 0x80000000, v44, v45
	s_delay_alu instid0(VALU_DEP_1)
	v_cvt_f64_f32_e32 v[44:45], v44
.LBB143_3795:
	s_mov_b32 s1, 0
	s_mov_b32 s4, -1
.LBB143_3796:
	s_and_not1_b32 vcc_lo, exec_lo, s1
	s_mov_b32 s1, 0
	s_cbranch_vccnz .LBB143_3820
; %bb.3797:
	s_cmp_gt_i32 s8, 14
	s_cbranch_scc0 .LBB143_3800
; %bb.3798:
	s_cmp_eq_u32 s8, 15
	s_cbranch_scc0 .LBB143_3816
; %bb.3799:
	global_load_u16 v44, v[56:57], off
	s_mov_b32 s0, 0
	s_mov_b32 s4, -1
	s_wait_loadcnt 0x0
	v_lshlrev_b32_e32 v44, 16, v44
	s_delay_alu instid0(VALU_DEP_1)
	v_cvt_f64_f32_e32 v[44:45], v44
	s_branch .LBB143_3818
.LBB143_3800:
	s_mov_b32 s1, -1
	s_branch .LBB143_3817
.LBB143_3801:
	s_mov_b32 s0, -1
                                        ; implicit-def: $vgpr44_vgpr45
.LBB143_3802:
	s_delay_alu instid0(SALU_CYCLE_1)
	s_and_not1_b32 vcc_lo, exec_lo, s0
	s_cbranch_vccnz .LBB143_3804
; %bb.3803:
	s_wait_loadcnt 0x0
	global_load_b32 v44, v[56:57], off
	s_wait_loadcnt 0x0
	v_cvt_f64_f32_e32 v[44:45], v44
.LBB143_3804:
	s_mov_b32 s0, 0
.LBB143_3805:
	s_delay_alu instid0(SALU_CYCLE_1)
	s_and_not1_b32 vcc_lo, exec_lo, s0
	s_cbranch_vccnz .LBB143_3807
; %bb.3806:
	s_wait_loadcnt 0x0
	global_load_u16 v44, v[56:57], off
	s_wait_loadcnt 0x0
	v_cvt_f32_f16_e32 v44, v44
	s_delay_alu instid0(VALU_DEP_1)
	v_cvt_f64_f32_e32 v[44:45], v44
.LBB143_3807:
	s_wait_loadcnt 0x0
	v_mov_b64_e32 v[46:47], 0
.LBB143_3808:
	s_mov_b32 s0, 0
.LBB143_3809:
	s_delay_alu instid0(SALU_CYCLE_1)
	s_and_not1_b32 vcc_lo, exec_lo, s0
	s_cbranch_vccnz .LBB143_3836
; %bb.3810:
	s_cmp_lt_i32 s8, 2
	s_cbranch_scc1 .LBB143_3814
; %bb.3811:
	s_cmp_lt_i32 s8, 3
	s_cbranch_scc1 .LBB143_3815
; %bb.3812:
	s_cmp_gt_i32 s8, 3
	s_cbranch_scc0 .LBB143_3822
; %bb.3813:
	s_wait_loadcnt 0x0
	global_load_b64 v[44:45], v[56:57], off
	s_mov_b32 s0, 0
	s_wait_loadcnt 0x0
	s_wait_xcnt 0x1
	v_cvt_f64_i32_e32 v[46:47], v45
	v_cvt_f64_u32_e32 v[44:45], v44
	s_delay_alu instid0(VALU_DEP_2) | instskip(NEXT) | instid1(VALU_DEP_1)
	v_ldexp_f64 v[46:47], v[46:47], 32
	v_add_f64_e32 v[44:45], v[46:47], v[44:45]
	s_branch .LBB143_3823
.LBB143_3814:
	s_mov_b32 s0, -1
                                        ; implicit-def: $vgpr44_vgpr45
	s_branch .LBB143_3829
.LBB143_3815:
	s_mov_b32 s0, -1
                                        ; implicit-def: $vgpr44_vgpr45
	s_branch .LBB143_3826
.LBB143_3816:
	s_mov_b32 s0, -1
.LBB143_3817:
                                        ; implicit-def: $vgpr44_vgpr45
.LBB143_3818:
	s_and_b32 vcc_lo, exec_lo, s1
	s_mov_b32 s1, 0
	s_cbranch_vccz .LBB143_3820
; %bb.3819:
	s_cmp_lg_u32 s8, 11
	s_mov_b32 s1, -1
	s_cselect_b32 s0, -1, 0
.LBB143_3820:
	s_wait_xcnt 0x0
	v_mov_b64_e32 v[46:47], 0
	s_and_b32 vcc_lo, exec_lo, s0
	s_cbranch_vccz .LBB143_3751
.LBB143_3821:
	s_or_b32 s18, s18, exec_lo
	s_trap 2
	s_cbranch_execz .LBB143_3752
	s_branch .LBB143_3753
.LBB143_3822:
	s_mov_b32 s0, -1
                                        ; implicit-def: $vgpr44_vgpr45
.LBB143_3823:
	s_delay_alu instid0(SALU_CYCLE_1)
	s_and_not1_b32 vcc_lo, exec_lo, s0
	s_cbranch_vccnz .LBB143_3825
; %bb.3824:
	s_wait_loadcnt 0x0
	global_load_b32 v44, v[56:57], off
	s_wait_loadcnt 0x0
	v_cvt_f64_i32_e32 v[44:45], v44
.LBB143_3825:
	s_mov_b32 s0, 0
.LBB143_3826:
	s_delay_alu instid0(SALU_CYCLE_1)
	s_and_not1_b32 vcc_lo, exec_lo, s0
	s_cbranch_vccnz .LBB143_3828
; %bb.3827:
	s_wait_loadcnt 0x0
	global_load_i16 v44, v[56:57], off
	s_wait_loadcnt 0x0
	v_cvt_f64_i32_e32 v[44:45], v44
.LBB143_3828:
	s_mov_b32 s0, 0
.LBB143_3829:
	s_delay_alu instid0(SALU_CYCLE_1)
	s_and_not1_b32 vcc_lo, exec_lo, s0
	s_cbranch_vccnz .LBB143_3835
; %bb.3830:
	s_cmp_gt_i32 s8, 0
	s_mov_b32 s0, 0
	s_cbranch_scc0 .LBB143_3832
; %bb.3831:
	s_wait_loadcnt 0x0
	global_load_i8 v44, v[56:57], off
	s_wait_loadcnt 0x0
	v_cvt_f64_i32_e32 v[44:45], v44
	s_branch .LBB143_3833
.LBB143_3832:
	s_mov_b32 s0, -1
                                        ; implicit-def: $vgpr44_vgpr45
.LBB143_3833:
	s_delay_alu instid0(SALU_CYCLE_1)
	s_and_not1_b32 vcc_lo, exec_lo, s0
	s_cbranch_vccnz .LBB143_3835
; %bb.3834:
	s_wait_loadcnt 0x0
	global_load_u8 v44, v[56:57], off
	s_wait_loadcnt 0x0
	v_cvt_f64_u32_e32 v[44:45], v44
.LBB143_3835:
	s_wait_loadcnt 0x0
	v_mov_b64_e32 v[46:47], 0
.LBB143_3836:
	s_mov_b32 s4, -1
.LBB143_3837:
	s_delay_alu instid0(SALU_CYCLE_1)
	s_and_not1_b32 vcc_lo, exec_lo, s4
	s_cbranch_vccnz .LBB143_4271
; %bb.3838:
	s_clause 0x1
	s_load_b256 s[4:11], s[2:3], 0x1f0
	s_load_b32 s0, s[2:3], 0x210
	s_wait_kmcnt 0x0
	v_dual_mul_f64 v[56:57], s[10:11], v[4:5] :: v_dual_mov_b32 v55, 0
	v_mul_f64_e32 v[58:59], s[10:11], v[6:7]
	v_mul_f64_e32 v[60:61], s[6:7], v[0:1]
	s_and_b32 s1, s0, 0xff
	s_delay_alu instid0(SALU_CYCLE_1) | instskip(NEXT) | instid1(VALU_DEP_3)
	s_cmp_lt_i32 s1, 11
	v_fmac_f64_e32 v[56:57], s[8:9], v[6:7]
	v_mul_f64_e32 v[6:7], s[6:7], v[2:3]
	s_delay_alu instid0(VALU_DEP_4) | instskip(NEXT) | instid1(VALU_DEP_4)
	v_fma_f64 v[4:5], v[4:5], s[8:9], -v[58:59]
	v_fmac_f64_e32 v[60:61], s[4:5], v[2:3]
	s_wait_loadcnt 0x0
	s_delay_alu instid0(VALU_DEP_4) | instskip(SKIP_2) | instid1(VALU_DEP_3)
	v_mul_f64_e32 v[58:59], v[14:15], v[56:57]
	v_mul_f64_e32 v[56:57], v[12:13], v[56:57]
	v_fma_f64 v[0:1], v[0:1], s[4:5], -v[6:7]
	v_fma_f64 v[2:3], v[12:13], v[4:5], -v[58:59]
	s_delay_alu instid0(VALU_DEP_3) | instskip(SKIP_1) | instid1(VALU_DEP_3)
	v_fmac_f64_e32 v[56:57], v[14:15], v[4:5]
	v_add_nc_u64_e32 v[4:5], s[12:13], v[54:55]
	v_add_f64_e32 v[0:1], v[0:1], v[2:3]
	s_delay_alu instid0(VALU_DEP_3)
	v_add_f64_e32 v[2:3], v[60:61], v[56:57]
	s_cbranch_scc1 .LBB143_3916
; %bb.3839:
	s_and_b32 s2, 0xffff, s1
	s_mov_b32 s15, -1
	s_mov_b32 s3, 0
	s_cmp_gt_i32 s2, 25
	s_mov_b32 s14, 0
	s_mov_b32 s0, 0
	s_cbranch_scc0 .LBB143_3872
; %bb.3840:
	s_cmp_gt_i32 s2, 28
	s_cbranch_scc0 .LBB143_3855
; %bb.3841:
	s_cmp_gt_i32 s2, 43
	;; [unrolled: 3-line block ×3, first 2 shown]
	s_cbranch_scc0 .LBB143_3845
; %bb.3843:
	s_mov_b32 s0, -1
	s_mov_b32 s15, 0
	s_cmp_eq_u32 s2, 46
	s_cbranch_scc0 .LBB143_3845
; %bb.3844:
	s_delay_alu instid0(VALU_DEP_1) | instskip(NEXT) | instid1(VALU_DEP_3)
	v_cvt_f32_f64_e32 v6, v[2:3]
	v_cvt_f32_f64_e32 v7, v[0:1]
	s_mov_b32 s0, 0
	s_mov_b32 s14, -1
	s_delay_alu instid0(VALU_DEP_2) | instskip(NEXT) | instid1(VALU_DEP_2)
	v_bfe_u32 v12, v6, 16, 1
	v_bfe_u32 v13, v7, 16, 1
	v_cmp_o_f32_e32 vcc_lo, v6, v6
	s_delay_alu instid0(VALU_DEP_3) | instskip(NEXT) | instid1(VALU_DEP_3)
	v_add3_u32 v12, v6, v12, 0x7fff
	v_add3_u32 v13, v7, v13, 0x7fff
	s_delay_alu instid0(VALU_DEP_2) | instskip(NEXT) | instid1(VALU_DEP_1)
	v_and_b32_e32 v12, 0xffff0000, v12
	v_dual_cndmask_b32 v6, 0x7fc00000, v12 :: v_dual_lshrrev_b32 v13, 16, v13
	v_cmp_o_f32_e32 vcc_lo, v7, v7
	s_delay_alu instid0(VALU_DEP_2) | instskip(NEXT) | instid1(VALU_DEP_1)
	v_cndmask_b32_e32 v7, 0x7fc0, v13, vcc_lo
	v_or_b32_e32 v6, v6, v7
	global_store_b32 v[4:5], v6, off
.LBB143_3845:
	s_and_b32 vcc_lo, exec_lo, s15
	s_cbranch_vccz .LBB143_3850
; %bb.3846:
	s_cmp_eq_u32 s2, 44
	s_mov_b32 s0, -1
	s_cbranch_scc0 .LBB143_3850
; %bb.3847:
	s_wait_xcnt 0x0
	s_delay_alu instid0(VALU_DEP_2) | instskip(SKIP_2) | instid1(VALU_DEP_2)
	v_cvt_f32_f64_e32 v6, v[0:1]
	v_mov_b32_e32 v7, 0xff
	s_mov_b32 s14, exec_lo
	v_bfe_u32 v12, v6, 23, 8
	s_delay_alu instid0(VALU_DEP_1)
	v_cmpx_ne_u32_e32 0xff, v12
	s_cbranch_execz .LBB143_3849
; %bb.3848:
	v_and_b32_e32 v7, 0x400000, v6
	v_and_or_b32 v12, 0x3fffff, v6, v12
	v_lshrrev_b32_e32 v6, 23, v6
	s_delay_alu instid0(VALU_DEP_3) | instskip(NEXT) | instid1(VALU_DEP_3)
	v_cmp_ne_u32_e32 vcc_lo, 0, v7
	v_cmp_ne_u32_e64 s0, 0, v12
	s_and_b32 s0, vcc_lo, s0
	s_delay_alu instid0(SALU_CYCLE_1) | instskip(NEXT) | instid1(VALU_DEP_1)
	v_cndmask_b32_e64 v7, 0, 1, s0
	v_add_nc_u32_e32 v7, v6, v7
.LBB143_3849:
	s_or_b32 exec_lo, exec_lo, s14
	s_mov_b32 s0, 0
	s_mov_b32 s14, -1
	global_store_b8 v[4:5], v7, off
.LBB143_3850:
	s_mov_b32 s15, 0
.LBB143_3851:
	s_delay_alu instid0(SALU_CYCLE_1)
	s_and_b32 vcc_lo, exec_lo, s15
	s_cbranch_vccz .LBB143_3854
; %bb.3852:
	s_cmp_eq_u32 s2, 29
	s_mov_b32 s0, -1
	s_cbranch_scc0 .LBB143_3854
; %bb.3853:
	s_wait_xcnt 0x0
	s_delay_alu instid0(VALU_DEP_2) | instskip(SKIP_2) | instid1(VALU_DEP_1)
	v_trunc_f64_e32 v[6:7], v[0:1]
	s_mov_b32 s0, 0
	s_mov_b32 s14, -1
	v_ldexp_f64 v[12:13], v[6:7], 0xffffffe0
	s_delay_alu instid0(VALU_DEP_1) | instskip(NEXT) | instid1(VALU_DEP_1)
	v_floor_f64_e32 v[12:13], v[12:13]
	v_fmamk_f64 v[6:7], v[12:13], 0xc1f00000, v[6:7]
	v_cvt_u32_f64_e32 v13, v[12:13]
	s_delay_alu instid0(VALU_DEP_2)
	v_cvt_u32_f64_e32 v12, v[6:7]
	global_store_b64 v[4:5], v[12:13], off
.LBB143_3854:
	s_mov_b32 s15, 0
.LBB143_3855:
	s_delay_alu instid0(SALU_CYCLE_1)
	s_and_b32 vcc_lo, exec_lo, s15
	s_cbranch_vccz .LBB143_3871
; %bb.3856:
	s_cmp_lt_i32 s2, 27
	s_mov_b32 s14, -1
	s_cbranch_scc1 .LBB143_3862
; %bb.3857:
	s_wait_xcnt 0x0
	s_delay_alu instid0(VALU_DEP_2)
	v_cvt_u32_f64_e32 v6, v[0:1]
	s_cmp_gt_i32 s2, 27
	s_cbranch_scc0 .LBB143_3859
; %bb.3858:
	s_mov_b32 s14, 0
	global_store_b32 v[4:5], v6, off
.LBB143_3859:
	s_and_not1_b32 vcc_lo, exec_lo, s14
	s_cbranch_vccnz .LBB143_3861
; %bb.3860:
	global_store_b16 v[4:5], v6, off
.LBB143_3861:
	s_mov_b32 s14, 0
.LBB143_3862:
	s_delay_alu instid0(SALU_CYCLE_1)
	s_and_not1_b32 vcc_lo, exec_lo, s14
	s_cbranch_vccnz .LBB143_3870
; %bb.3863:
	s_wait_xcnt 0x0
	s_delay_alu instid0(VALU_DEP_2) | instskip(SKIP_2) | instid1(VALU_DEP_2)
	v_cvt_f32_f64_e32 v6, v[0:1]
	v_mov_b32_e32 v12, 0x80
	s_mov_b32 s14, exec_lo
	v_and_b32_e32 v7, 0x7fffffff, v6
	s_delay_alu instid0(VALU_DEP_1)
	v_cmpx_gt_u32_e32 0x43800000, v7
	s_cbranch_execz .LBB143_3869
; %bb.3864:
	v_cmp_lt_u32_e32 vcc_lo, 0x3bffffff, v7
	s_mov_b32 s15, 0
                                        ; implicit-def: $vgpr7
	s_and_saveexec_b32 s19, vcc_lo
	s_delay_alu instid0(SALU_CYCLE_1)
	s_xor_b32 s19, exec_lo, s19
	s_cbranch_execnz .LBB143_4322
; %bb.3865:
	s_and_not1_saveexec_b32 s19, s19
	s_cbranch_execnz .LBB143_4323
.LBB143_3866:
	s_or_b32 exec_lo, exec_lo, s19
	v_mov_b32_e32 v12, 0
	s_and_saveexec_b32 s19, s15
.LBB143_3867:
	v_lshrrev_b32_e32 v6, 24, v6
	s_delay_alu instid0(VALU_DEP_1)
	v_and_or_b32 v12, 0x80, v6, v7
.LBB143_3868:
	s_or_b32 exec_lo, exec_lo, s19
.LBB143_3869:
	s_delay_alu instid0(SALU_CYCLE_1)
	s_or_b32 exec_lo, exec_lo, s14
	global_store_b8 v[4:5], v12, off
.LBB143_3870:
	s_mov_b32 s14, -1
.LBB143_3871:
	s_mov_b32 s15, 0
.LBB143_3872:
	s_delay_alu instid0(SALU_CYCLE_1)
	s_and_b32 vcc_lo, exec_lo, s15
	s_cbranch_vccz .LBB143_3912
; %bb.3873:
	s_cmp_gt_i32 s2, 22
	s_mov_b32 s3, -1
	s_cbranch_scc0 .LBB143_3905
; %bb.3874:
	s_cmp_lt_i32 s2, 24
	s_cbranch_scc1 .LBB143_3894
; %bb.3875:
	s_cmp_gt_i32 s2, 24
	s_cbranch_scc0 .LBB143_3883
; %bb.3876:
	s_wait_xcnt 0x0
	s_delay_alu instid0(VALU_DEP_2) | instskip(SKIP_2) | instid1(VALU_DEP_2)
	v_cvt_f32_f64_e32 v6, v[0:1]
	v_mov_b32_e32 v12, 0x80
	s_mov_b32 s3, exec_lo
	v_and_b32_e32 v7, 0x7fffffff, v6
	s_delay_alu instid0(VALU_DEP_1)
	v_cmpx_gt_u32_e32 0x47800000, v7
	s_cbranch_execz .LBB143_3882
; %bb.3877:
	v_cmp_lt_u32_e32 vcc_lo, 0x37ffffff, v7
	s_mov_b32 s14, 0
                                        ; implicit-def: $vgpr7
	s_and_saveexec_b32 s15, vcc_lo
	s_delay_alu instid0(SALU_CYCLE_1)
	s_xor_b32 s15, exec_lo, s15
	s_cbranch_execnz .LBB143_4325
; %bb.3878:
	s_and_not1_saveexec_b32 s15, s15
	s_cbranch_execnz .LBB143_4326
.LBB143_3879:
	s_or_b32 exec_lo, exec_lo, s15
	v_mov_b32_e32 v12, 0
	s_and_saveexec_b32 s15, s14
.LBB143_3880:
	v_lshrrev_b32_e32 v6, 24, v6
	s_delay_alu instid0(VALU_DEP_1)
	v_and_or_b32 v12, 0x80, v6, v7
.LBB143_3881:
	s_or_b32 exec_lo, exec_lo, s15
.LBB143_3882:
	s_delay_alu instid0(SALU_CYCLE_1)
	s_or_b32 exec_lo, exec_lo, s3
	s_mov_b32 s3, 0
	global_store_b8 v[4:5], v12, off
.LBB143_3883:
	s_and_b32 vcc_lo, exec_lo, s3
	s_cbranch_vccz .LBB143_3893
; %bb.3884:
	s_wait_xcnt 0x0
	s_delay_alu instid0(VALU_DEP_2) | instskip(SKIP_1) | instid1(VALU_DEP_1)
	v_cvt_f32_f64_e32 v6, v[0:1]
	s_mov_b32 s3, exec_lo
                                        ; implicit-def: $vgpr7
	v_and_b32_e32 v12, 0x7fffffff, v6
	s_delay_alu instid0(VALU_DEP_1)
	v_cmpx_gt_u32_e32 0x43f00000, v12
	s_xor_b32 s3, exec_lo, s3
	s_cbranch_execz .LBB143_3890
; %bb.3885:
	s_mov_b32 s14, exec_lo
                                        ; implicit-def: $vgpr7
	v_cmpx_lt_u32_e32 0x3c7fffff, v12
	s_xor_b32 s14, exec_lo, s14
; %bb.3886:
	v_bfe_u32 v7, v6, 20, 1
	s_delay_alu instid0(VALU_DEP_1) | instskip(NEXT) | instid1(VALU_DEP_1)
	v_add3_u32 v7, v6, v7, 0x407ffff
	v_and_b32_e32 v12, 0xff00000, v7
	v_lshrrev_b32_e32 v7, 20, v7
	s_delay_alu instid0(VALU_DEP_2) | instskip(NEXT) | instid1(VALU_DEP_2)
	v_cmp_ne_u32_e32 vcc_lo, 0x7f00000, v12
	v_cndmask_b32_e32 v7, 0x7e, v7, vcc_lo
; %bb.3887:
	s_and_not1_saveexec_b32 s14, s14
; %bb.3888:
	v_add_f32_e64 v7, 0x46800000, |v6|
; %bb.3889:
	s_or_b32 exec_lo, exec_lo, s14
                                        ; implicit-def: $vgpr12
.LBB143_3890:
	s_and_not1_saveexec_b32 s3, s3
; %bb.3891:
	v_mov_b32_e32 v7, 0x7f
	v_cmp_lt_u32_e32 vcc_lo, 0x7f800000, v12
	s_delay_alu instid0(VALU_DEP_2)
	v_cndmask_b32_e32 v7, 0x7e, v7, vcc_lo
; %bb.3892:
	s_or_b32 exec_lo, exec_lo, s3
	v_lshrrev_b32_e32 v6, 24, v6
	s_delay_alu instid0(VALU_DEP_1)
	v_and_or_b32 v6, 0x80, v6, v7
	global_store_b8 v[4:5], v6, off
.LBB143_3893:
	s_mov_b32 s3, 0
.LBB143_3894:
	s_delay_alu instid0(SALU_CYCLE_1)
	s_and_not1_b32 vcc_lo, exec_lo, s3
	s_cbranch_vccnz .LBB143_3904
; %bb.3895:
	s_wait_xcnt 0x0
	s_delay_alu instid0(VALU_DEP_2) | instskip(SKIP_1) | instid1(VALU_DEP_1)
	v_cvt_f32_f64_e32 v6, v[0:1]
	s_mov_b32 s3, exec_lo
                                        ; implicit-def: $vgpr7
	v_and_b32_e32 v12, 0x7fffffff, v6
	s_delay_alu instid0(VALU_DEP_1)
	v_cmpx_gt_u32_e32 0x47800000, v12
	s_xor_b32 s3, exec_lo, s3
	s_cbranch_execz .LBB143_3901
; %bb.3896:
	s_mov_b32 s14, exec_lo
                                        ; implicit-def: $vgpr7
	v_cmpx_lt_u32_e32 0x387fffff, v12
	s_xor_b32 s14, exec_lo, s14
; %bb.3897:
	v_bfe_u32 v7, v6, 21, 1
	s_delay_alu instid0(VALU_DEP_1) | instskip(NEXT) | instid1(VALU_DEP_1)
	v_add3_u32 v7, v6, v7, 0x80fffff
	v_lshrrev_b32_e32 v7, 21, v7
; %bb.3898:
	s_and_not1_saveexec_b32 s14, s14
; %bb.3899:
	v_add_f32_e64 v7, 0x43000000, |v6|
; %bb.3900:
	s_or_b32 exec_lo, exec_lo, s14
                                        ; implicit-def: $vgpr12
.LBB143_3901:
	s_and_not1_saveexec_b32 s3, s3
; %bb.3902:
	v_mov_b32_e32 v7, 0x7f
	v_cmp_lt_u32_e32 vcc_lo, 0x7f800000, v12
	s_delay_alu instid0(VALU_DEP_2)
	v_cndmask_b32_e32 v7, 0x7c, v7, vcc_lo
; %bb.3903:
	s_or_b32 exec_lo, exec_lo, s3
	v_lshrrev_b32_e32 v6, 24, v6
	s_delay_alu instid0(VALU_DEP_1)
	v_and_or_b32 v6, 0x80, v6, v7
	global_store_b8 v[4:5], v6, off
.LBB143_3904:
	s_mov_b32 s3, 0
	s_mov_b32 s14, -1
.LBB143_3905:
	s_and_not1_b32 vcc_lo, exec_lo, s3
	s_mov_b32 s3, 0
	s_cbranch_vccnz .LBB143_3912
; %bb.3906:
	s_cmp_gt_i32 s2, 14
	s_mov_b32 s3, -1
	s_cbranch_scc0 .LBB143_3910
; %bb.3907:
	s_cmp_eq_u32 s2, 15
	s_mov_b32 s0, -1
	s_cbranch_scc0 .LBB143_3909
; %bb.3908:
	s_wait_xcnt 0x0
	s_delay_alu instid0(VALU_DEP_2) | instskip(SKIP_2) | instid1(VALU_DEP_1)
	v_cvt_f32_f64_e32 v6, v[0:1]
	s_mov_b32 s0, 0
	s_mov_b32 s14, -1
	v_bfe_u32 v7, v6, 16, 1
	v_cmp_o_f32_e32 vcc_lo, v6, v6
	s_delay_alu instid0(VALU_DEP_2) | instskip(NEXT) | instid1(VALU_DEP_1)
	v_add3_u32 v7, v6, v7, 0x7fff
	v_lshrrev_b32_e32 v7, 16, v7
	s_delay_alu instid0(VALU_DEP_1)
	v_cndmask_b32_e32 v6, 0x7fc0, v7, vcc_lo
	global_store_b16 v[4:5], v6, off
.LBB143_3909:
	s_mov_b32 s3, 0
.LBB143_3910:
	s_delay_alu instid0(SALU_CYCLE_1)
	s_and_b32 vcc_lo, exec_lo, s3
	s_mov_b32 s3, 0
	s_cbranch_vccz .LBB143_3912
; %bb.3911:
	s_cmp_lg_u32 s2, 11
	s_mov_b32 s3, -1
	s_cselect_b32 s0, -1, 0
.LBB143_3912:
	s_delay_alu instid0(SALU_CYCLE_1)
	s_and_b32 vcc_lo, exec_lo, s0
	s_cbranch_vccnz .LBB143_4321
; %bb.3913:
	s_and_not1_b32 vcc_lo, exec_lo, s3
	s_cbranch_vccnz .LBB143_3915
.LBB143_3914:
	s_delay_alu instid0(VALU_DEP_2) | instskip(NEXT) | instid1(VALU_DEP_2)
	v_cmp_neq_f64_e32 vcc_lo, 0, v[0:1]
	v_cmp_neq_f64_e64 s0, 0, v[2:3]
	s_mov_b32 s14, -1
	s_or_b32 s0, vcc_lo, s0
	s_wait_xcnt 0x0
	v_cndmask_b32_e64 v6, 0, 1, s0
	global_store_b8 v[4:5], v6, off
.LBB143_3915:
	s_mov_b32 s0, 0
	s_branch .LBB143_3917
.LBB143_3916:
	s_mov_b32 s0, -1
	s_mov_b32 s14, 0
.LBB143_3917:
	s_and_b32 vcc_lo, exec_lo, s0
	s_cbranch_vccz .LBB143_3956
; %bb.3918:
	s_and_b32 s0, 0xffff, s1
	s_mov_b32 s2, -1
	s_cmp_lt_i32 s0, 5
	s_cbranch_scc1 .LBB143_3939
; %bb.3919:
	s_cmp_lt_i32 s0, 8
	s_cbranch_scc1 .LBB143_3929
; %bb.3920:
	;; [unrolled: 3-line block ×3, first 2 shown]
	s_cmp_gt_i32 s0, 9
	s_cbranch_scc0 .LBB143_3923
; %bb.3922:
	s_mov_b32 s2, 0
	global_store_b128 v[4:5], v[0:3], off
.LBB143_3923:
	s_and_not1_b32 vcc_lo, exec_lo, s2
	s_cbranch_vccnz .LBB143_3925
; %bb.3924:
	s_wait_xcnt 0x0
	s_delay_alu instid0(VALU_DEP_2) | instskip(NEXT) | instid1(VALU_DEP_2)
	v_cvt_f32_f64_e32 v6, v[0:1]
	v_cvt_f32_f64_e32 v7, v[2:3]
	global_store_b64 v[4:5], v[6:7], off
.LBB143_3925:
	s_mov_b32 s2, 0
.LBB143_3926:
	s_delay_alu instid0(SALU_CYCLE_1)
	s_and_not1_b32 vcc_lo, exec_lo, s2
	s_cbranch_vccnz .LBB143_3928
; %bb.3927:
	s_wait_xcnt 0x0
	s_delay_alu instid0(VALU_DEP_2) | instskip(NEXT) | instid1(VALU_DEP_2)
	v_and_or_b32 v6, 0x1ff, v1, v0
	v_and_or_b32 v2, 0x1ff, v3, v2
	v_dual_lshrrev_b32 v7, 8, v1 :: v_dual_lshrrev_b32 v14, 8, v3
	v_bfe_u32 v12, v1, 20, 11
	s_delay_alu instid0(VALU_DEP_4) | instskip(SKIP_2) | instid1(VALU_DEP_4)
	v_cmp_ne_u32_e32 vcc_lo, 0, v6
	v_bfe_u32 v13, v3, 20, 11
	v_dual_lshrrev_b32 v55, 16, v1 :: v_dual_lshrrev_b32 v3, 16, v3
	v_sub_nc_u32_e32 v15, 0x3f1, v12
	v_cndmask_b32_e64 v6, 0, 1, vcc_lo
	v_cmp_ne_u32_e32 vcc_lo, 0, v2
	v_add_nc_u32_e32 v12, 0xfffffc10, v12
	s_delay_alu instid0(VALU_DEP_3) | instskip(SKIP_1) | instid1(VALU_DEP_1)
	v_and_or_b32 v6, 0xffe, v7, v6
	v_cndmask_b32_e64 v2, 0, 1, vcc_lo
	v_and_or_b32 v2, 0xffe, v14, v2
	v_med3_i32 v14, v15, 0, 13
	s_delay_alu instid0(VALU_DEP_4) | instskip(NEXT) | instid1(VALU_DEP_3)
	v_or_b32_e32 v15, 0x1000, v6
	v_or_b32_e32 v49, 0x1000, v2
	s_delay_alu instid0(VALU_DEP_2) | instskip(NEXT) | instid1(VALU_DEP_1)
	v_lshrrev_b32_e32 v51, v14, v15
	v_lshlrev_b32_e32 v14, v14, v51
	s_delay_alu instid0(VALU_DEP_1) | instskip(SKIP_2) | instid1(VALU_DEP_1)
	v_cmp_ne_u32_e32 vcc_lo, v14, v15
	v_lshl_or_b32 v15, v12, 12, v6
	v_cndmask_b32_e64 v14, 0, 1, vcc_lo
	v_or_b32_e32 v14, v51, v14
	v_sub_nc_u32_e32 v7, 0x3f1, v13
	v_add_nc_u32_e32 v13, 0xfffffc10, v13
	s_delay_alu instid0(VALU_DEP_2) | instskip(NEXT) | instid1(VALU_DEP_1)
	v_med3_i32 v7, v7, 0, 13
	v_lshrrev_b32_e32 v53, v7, v49
	s_delay_alu instid0(VALU_DEP_1) | instskip(NEXT) | instid1(VALU_DEP_1)
	v_lshlrev_b32_e32 v7, v7, v53
	v_cmp_ne_u32_e32 vcc_lo, v7, v49
	v_lshl_or_b32 v49, v13, 12, v2
	v_cndmask_b32_e64 v7, 0, 1, vcc_lo
	v_cmp_gt_i32_e32 vcc_lo, 1, v12
	s_delay_alu instid0(VALU_DEP_2) | instskip(SKIP_1) | instid1(VALU_DEP_2)
	v_dual_cndmask_b32 v14, v15, v14, vcc_lo :: v_dual_bitop2_b32 v7, v53, v7 bitop3:0x54
	v_cmp_gt_i32_e32 vcc_lo, 1, v13
	v_dual_lshrrev_b32 v14, 2, v14 :: v_dual_bitop2_b32 v15, 7, v14 bitop3:0x40
	s_delay_alu instid0(VALU_DEP_3) | instskip(NEXT) | instid1(VALU_DEP_1)
	v_cndmask_b32_e32 v7, v49, v7, vcc_lo
	v_dual_lshrrev_b32 v7, 2, v7 :: v_dual_bitop2_b32 v49, 7, v7 bitop3:0x40
	s_delay_alu instid0(VALU_DEP_3) | instskip(SKIP_1) | instid1(VALU_DEP_3)
	v_cmp_lt_i32_e32 vcc_lo, 5, v15
	v_cndmask_b32_e64 v53, 0, 1, vcc_lo
	v_cmp_lt_i32_e32 vcc_lo, 5, v49
	v_cndmask_b32_e64 v54, 0, 1, vcc_lo
	v_cmp_eq_u32_e32 vcc_lo, 3, v49
	v_cndmask_b32_e64 v49, 0, 1, vcc_lo
	v_cmp_eq_u32_e32 vcc_lo, 3, v15
	s_delay_alu instid0(VALU_DEP_2) | instskip(SKIP_2) | instid1(VALU_DEP_3)
	v_or_b32_e32 v49, v49, v54
	v_cndmask_b32_e64 v15, 0, 1, vcc_lo
	v_cmp_ne_u32_e32 vcc_lo, 0, v6
	v_add_nc_u32_e32 v7, v7, v49
	s_delay_alu instid0(VALU_DEP_3) | instskip(NEXT) | instid1(VALU_DEP_1)
	v_or_b32_e32 v15, v15, v53
	v_dual_mov_b32 v51, 0x7e00 :: v_dual_add_nc_u32 v14, v14, v15
	s_delay_alu instid0(VALU_DEP_1)
	v_cndmask_b32_e32 v6, 0x7c00, v51, vcc_lo
	v_cmp_ne_u32_e32 vcc_lo, 0, v2
	v_and_b32_e32 v15, 0x8000, v55
	v_cndmask_b32_e32 v2, 0x7c00, v51, vcc_lo
	v_cmp_gt_i32_e32 vcc_lo, 31, v13
	v_cndmask_b32_e32 v7, 0x7c00, v7, vcc_lo
	v_cmp_gt_i32_e32 vcc_lo, 31, v12
	v_cndmask_b32_e32 v14, 0x7c00, v14, vcc_lo
	v_cmp_eq_u32_e32 vcc_lo, 0x40f, v13
	s_delay_alu instid0(VALU_DEP_4) | instskip(SKIP_1) | instid1(VALU_DEP_2)
	v_cndmask_b32_e32 v2, v7, v2, vcc_lo
	v_cmp_eq_u32_e32 vcc_lo, 0x40f, v12
	v_and_or_b32 v2, 0x8000, v3, v2
	v_cndmask_b32_e32 v6, v14, v6, vcc_lo
	s_delay_alu instid0(VALU_DEP_1) | instskip(NEXT) | instid1(VALU_DEP_1)
	v_bitop3_b32 v3, v15, 0xffff, v6 bitop3:0xc8
	v_lshl_or_b32 v2, v2, 16, v3
	global_store_b32 v[4:5], v2, off
.LBB143_3928:
	s_mov_b32 s2, 0
.LBB143_3929:
	s_delay_alu instid0(SALU_CYCLE_1)
	s_and_not1_b32 vcc_lo, exec_lo, s2
	s_cbranch_vccnz .LBB143_3938
; %bb.3930:
	s_cmp_lt_i32 s0, 6
	s_mov_b32 s2, -1
	s_cbranch_scc1 .LBB143_3936
; %bb.3931:
	s_cmp_gt_i32 s0, 6
	s_cbranch_scc0 .LBB143_3933
; %bb.3932:
	s_mov_b32 s2, 0
	global_store_b64 v[4:5], v[0:1], off
.LBB143_3933:
	s_and_not1_b32 vcc_lo, exec_lo, s2
	s_cbranch_vccnz .LBB143_3935
; %bb.3934:
	s_wait_xcnt 0x0
	s_delay_alu instid0(VALU_DEP_2)
	v_cvt_f32_f64_e32 v2, v[0:1]
	global_store_b32 v[4:5], v2, off
.LBB143_3935:
	s_mov_b32 s2, 0
.LBB143_3936:
	s_delay_alu instid0(SALU_CYCLE_1)
	s_and_not1_b32 vcc_lo, exec_lo, s2
	s_cbranch_vccnz .LBB143_3938
; %bb.3937:
	s_wait_xcnt 0x0
	s_delay_alu instid0(VALU_DEP_2) | instskip(SKIP_2) | instid1(VALU_DEP_3)
	v_and_or_b32 v2, 0x1ff, v1, v0
	v_lshrrev_b32_e32 v3, 8, v1
	v_bfe_u32 v6, v1, 20, 11
	v_cmp_ne_u32_e32 vcc_lo, 0, v2
	s_delay_alu instid0(VALU_DEP_2) | instskip(SKIP_1) | instid1(VALU_DEP_1)
	v_sub_nc_u32_e32 v7, 0x3f1, v6
	v_cndmask_b32_e64 v2, 0, 1, vcc_lo
	v_and_or_b32 v2, 0xffe, v3, v2
	s_delay_alu instid0(VALU_DEP_3) | instskip(NEXT) | instid1(VALU_DEP_2)
	v_med3_i32 v3, v7, 0, 13
	v_or_b32_e32 v7, 0x1000, v2
	s_delay_alu instid0(VALU_DEP_1) | instskip(NEXT) | instid1(VALU_DEP_1)
	v_lshrrev_b32_e32 v12, v3, v7
	v_lshlrev_b32_e32 v3, v3, v12
	s_delay_alu instid0(VALU_DEP_1) | instskip(SKIP_1) | instid1(VALU_DEP_1)
	v_cmp_ne_u32_e32 vcc_lo, v3, v7
	v_cndmask_b32_e64 v3, 0, 1, vcc_lo
	v_or_b32_e32 v3, v12, v3
	v_add_nc_u32_e32 v6, 0xfffffc10, v6
	s_delay_alu instid0(VALU_DEP_1) | instskip(SKIP_1) | instid1(VALU_DEP_2)
	v_lshl_or_b32 v7, v6, 12, v2
	v_cmp_gt_i32_e32 vcc_lo, 1, v6
	v_cndmask_b32_e32 v3, v7, v3, vcc_lo
	s_delay_alu instid0(VALU_DEP_1) | instskip(NEXT) | instid1(VALU_DEP_1)
	v_dual_lshrrev_b32 v3, 2, v3 :: v_dual_bitop2_b32 v7, 7, v3 bitop3:0x40
	v_cmp_lt_i32_e32 vcc_lo, 5, v7
	v_cndmask_b32_e64 v12, 0, 1, vcc_lo
	v_cmp_eq_u32_e32 vcc_lo, 3, v7
	v_cndmask_b32_e64 v7, 0, 1, vcc_lo
	v_cmp_ne_u32_e32 vcc_lo, 0, v2
	s_delay_alu instid0(VALU_DEP_2) | instskip(NEXT) | instid1(VALU_DEP_1)
	v_or_b32_e32 v7, v7, v12
	v_dual_mov_b32 v12, 0x7e00 :: v_dual_add_nc_u32 v3, v3, v7
	s_delay_alu instid0(VALU_DEP_1) | instskip(SKIP_1) | instid1(VALU_DEP_3)
	v_cndmask_b32_e32 v2, 0x7c00, v12, vcc_lo
	v_cmp_gt_i32_e32 vcc_lo, 31, v6
	v_cndmask_b32_e32 v3, 0x7c00, v3, vcc_lo
	v_cmp_eq_u32_e32 vcc_lo, 0x40f, v6
	s_delay_alu instid0(VALU_DEP_2) | instskip(NEXT) | instid1(VALU_DEP_1)
	v_dual_cndmask_b32 v2, v3, v2 :: v_dual_lshrrev_b32 v3, 16, v1
	v_and_or_b32 v2, 0x8000, v3, v2
	global_store_b16 v[4:5], v2, off
.LBB143_3938:
	s_mov_b32 s2, 0
.LBB143_3939:
	s_delay_alu instid0(SALU_CYCLE_1)
	s_and_not1_b32 vcc_lo, exec_lo, s2
	s_cbranch_vccnz .LBB143_3955
; %bb.3940:
	s_cmp_lt_i32 s0, 2
	s_mov_b32 s2, -1
	s_cbranch_scc1 .LBB143_3950
; %bb.3941:
	s_cmp_lt_i32 s0, 3
	s_cbranch_scc1 .LBB143_3947
; %bb.3942:
	s_cmp_gt_i32 s0, 3
	s_cbranch_scc0 .LBB143_3944
; %bb.3943:
	s_wait_xcnt 0x0
	s_delay_alu instid0(VALU_DEP_2) | instskip(SKIP_1) | instid1(VALU_DEP_1)
	v_trunc_f64_e32 v[2:3], v[0:1]
	s_mov_b32 s2, 0
	v_ldexp_f64 v[6:7], v[2:3], 0xffffffe0
	s_delay_alu instid0(VALU_DEP_1) | instskip(NEXT) | instid1(VALU_DEP_1)
	v_floor_f64_e32 v[6:7], v[6:7]
	v_fmamk_f64 v[2:3], v[6:7], 0xc1f00000, v[2:3]
	v_cvt_i32_f64_e32 v7, v[6:7]
	s_delay_alu instid0(VALU_DEP_2)
	v_cvt_u32_f64_e32 v6, v[2:3]
	global_store_b64 v[4:5], v[6:7], off
.LBB143_3944:
	s_and_not1_b32 vcc_lo, exec_lo, s2
	s_cbranch_vccnz .LBB143_3946
; %bb.3945:
	s_wait_xcnt 0x0
	s_delay_alu instid0(VALU_DEP_2)
	v_cvt_i32_f64_e32 v2, v[0:1]
	global_store_b32 v[4:5], v2, off
.LBB143_3946:
	s_mov_b32 s2, 0
.LBB143_3947:
	s_delay_alu instid0(SALU_CYCLE_1)
	s_and_not1_b32 vcc_lo, exec_lo, s2
	s_cbranch_vccnz .LBB143_3949
; %bb.3948:
	s_wait_xcnt 0x0
	s_delay_alu instid0(VALU_DEP_2)
	v_cvt_i32_f64_e32 v2, v[0:1]
	global_store_b16 v[4:5], v2, off
.LBB143_3949:
	s_mov_b32 s2, 0
.LBB143_3950:
	s_delay_alu instid0(SALU_CYCLE_1)
	s_and_not1_b32 vcc_lo, exec_lo, s2
	s_cbranch_vccnz .LBB143_3955
; %bb.3951:
	s_cmp_gt_i32 s0, 0
	s_mov_b32 s0, -1
	s_cbranch_scc0 .LBB143_3953
; %bb.3952:
	s_wait_xcnt 0x0
	s_delay_alu instid0(VALU_DEP_2)
	v_cvt_i32_f64_e32 v2, v[0:1]
	s_mov_b32 s0, 0
	global_store_b8 v[4:5], v2, off
.LBB143_3953:
	s_and_not1_b32 vcc_lo, exec_lo, s0
	s_cbranch_vccnz .LBB143_3955
; %bb.3954:
	s_wait_xcnt 0x0
	s_delay_alu instid0(VALU_DEP_2) | instskip(NEXT) | instid1(VALU_DEP_1)
	v_trunc_f64_e32 v[0:1], v[0:1]
	v_ldexp_f64 v[2:3], v[0:1], 0xffffffe0
	s_delay_alu instid0(VALU_DEP_1) | instskip(NEXT) | instid1(VALU_DEP_1)
	v_floor_f64_e32 v[2:3], v[2:3]
	v_fmamk_f64 v[0:1], v[2:3], 0xc1f00000, v[0:1]
	s_delay_alu instid0(VALU_DEP_1)
	v_cvt_u32_f64_e32 v0, v[0:1]
	global_store_b8 v[4:5], v0, off
.LBB143_3955:
	s_mov_b32 s14, -1
.LBB143_3956:
	s_delay_alu instid0(SALU_CYCLE_1)
	s_and_not1_b32 vcc_lo, exec_lo, s14
	s_cbranch_vccnz .LBB143_4271
; %bb.3957:
	s_wait_xcnt 0x0
	v_dual_mul_f64 v[0:1], s[8:9], v[18:19] :: v_dual_mov_b32 v53, 0
	v_mul_f64_e32 v[2:3], s[10:11], v[18:19]
	v_mul_f64_e32 v[4:5], s[6:7], v[10:11]
	;; [unrolled: 1-line block ×3, first 2 shown]
	s_and_b32 s2, 0xffff, s1
	s_delay_alu instid0(SALU_CYCLE_1) | instskip(NEXT) | instid1(VALU_DEP_4)
	s_cmp_lt_i32 s2, 11
	v_fmac_f64_e32 v[0:1], s[10:11], v[16:17]
	s_delay_alu instid0(VALU_DEP_4) | instskip(NEXT) | instid1(VALU_DEP_4)
	v_fma_f64 v[2:3], s[8:9], v[16:17], -v[2:3]
	v_fma_f64 v[4:5], s[4:5], v[8:9], -v[4:5]
	s_delay_alu instid0(VALU_DEP_4) | instskip(NEXT) | instid1(VALU_DEP_4)
	v_fmac_f64_e32 v[6:7], s[6:7], v[8:9]
	v_mul_f64_e32 v[10:11], v[0:1], v[26:27]
	s_delay_alu instid0(VALU_DEP_4) | instskip(NEXT) | instid1(VALU_DEP_2)
	v_mul_f64_e32 v[12:13], v[2:3], v[26:27]
	v_fma_f64 v[2:3], v[2:3], v[24:25], -v[10:11]
	s_delay_alu instid0(VALU_DEP_2) | instskip(NEXT) | instid1(VALU_DEP_2)
	v_fmac_f64_e32 v[12:13], v[0:1], v[24:25]
	v_add_f64_e32 v[0:1], v[4:5], v[2:3]
	v_add_nc_u64_e32 v[4:5], s[12:13], v[52:53]
	s_delay_alu instid0(VALU_DEP_3)
	v_add_f64_e32 v[2:3], v[6:7], v[12:13]
	s_cbranch_scc1 .LBB143_4035
; %bb.3958:
	s_mov_b32 s15, -1
	s_mov_b32 s3, 0
	s_cmp_gt_i32 s2, 25
	s_mov_b32 s14, 0
	s_mov_b32 s0, 0
	s_cbranch_scc0 .LBB143_3991
; %bb.3959:
	s_cmp_gt_i32 s2, 28
	s_cbranch_scc0 .LBB143_3974
; %bb.3960:
	s_cmp_gt_i32 s2, 43
	;; [unrolled: 3-line block ×3, first 2 shown]
	s_cbranch_scc0 .LBB143_3964
; %bb.3962:
	s_mov_b32 s0, -1
	s_mov_b32 s15, 0
	s_cmp_eq_u32 s2, 46
	s_cbranch_scc0 .LBB143_3964
; %bb.3963:
	s_delay_alu instid0(VALU_DEP_1) | instskip(NEXT) | instid1(VALU_DEP_4)
	v_cvt_f32_f64_e32 v6, v[2:3]
	v_cvt_f32_f64_e32 v7, v[0:1]
	s_mov_b32 s0, 0
	s_mov_b32 s14, -1
	s_delay_alu instid0(VALU_DEP_2) | instskip(NEXT) | instid1(VALU_DEP_2)
	v_bfe_u32 v8, v6, 16, 1
	v_bfe_u32 v9, v7, 16, 1
	v_cmp_o_f32_e32 vcc_lo, v6, v6
	s_delay_alu instid0(VALU_DEP_3) | instskip(NEXT) | instid1(VALU_DEP_3)
	v_add3_u32 v8, v6, v8, 0x7fff
	v_add3_u32 v9, v7, v9, 0x7fff
	s_delay_alu instid0(VALU_DEP_2) | instskip(NEXT) | instid1(VALU_DEP_1)
	v_and_b32_e32 v8, 0xffff0000, v8
	v_dual_cndmask_b32 v6, 0x7fc00000, v8 :: v_dual_lshrrev_b32 v9, 16, v9
	v_cmp_o_f32_e32 vcc_lo, v7, v7
	s_delay_alu instid0(VALU_DEP_2) | instskip(NEXT) | instid1(VALU_DEP_1)
	v_cndmask_b32_e32 v7, 0x7fc0, v9, vcc_lo
	v_or_b32_e32 v6, v6, v7
	global_store_b32 v[4:5], v6, off
.LBB143_3964:
	s_and_b32 vcc_lo, exec_lo, s15
	s_cbranch_vccz .LBB143_3969
; %bb.3965:
	s_cmp_eq_u32 s2, 44
	s_mov_b32 s0, -1
	s_cbranch_scc0 .LBB143_3969
; %bb.3966:
	s_wait_xcnt 0x0
	s_delay_alu instid0(VALU_DEP_3) | instskip(SKIP_2) | instid1(VALU_DEP_2)
	v_cvt_f32_f64_e32 v6, v[0:1]
	v_mov_b32_e32 v7, 0xff
	s_mov_b32 s14, exec_lo
	v_bfe_u32 v8, v6, 23, 8
	s_delay_alu instid0(VALU_DEP_1)
	v_cmpx_ne_u32_e32 0xff, v8
	s_cbranch_execz .LBB143_3968
; %bb.3967:
	v_and_b32_e32 v7, 0x400000, v6
	v_and_or_b32 v8, 0x3fffff, v6, v8
	v_lshrrev_b32_e32 v6, 23, v6
	s_delay_alu instid0(VALU_DEP_3) | instskip(NEXT) | instid1(VALU_DEP_3)
	v_cmp_ne_u32_e32 vcc_lo, 0, v7
	v_cmp_ne_u32_e64 s0, 0, v8
	s_and_b32 s0, vcc_lo, s0
	s_delay_alu instid0(SALU_CYCLE_1) | instskip(NEXT) | instid1(VALU_DEP_1)
	v_cndmask_b32_e64 v7, 0, 1, s0
	v_add_nc_u32_e32 v7, v6, v7
.LBB143_3968:
	s_or_b32 exec_lo, exec_lo, s14
	s_mov_b32 s0, 0
	s_mov_b32 s14, -1
	global_store_b8 v[4:5], v7, off
.LBB143_3969:
	s_mov_b32 s15, 0
.LBB143_3970:
	s_delay_alu instid0(SALU_CYCLE_1)
	s_and_b32 vcc_lo, exec_lo, s15
	s_cbranch_vccz .LBB143_3973
; %bb.3971:
	s_cmp_eq_u32 s2, 29
	s_mov_b32 s0, -1
	s_cbranch_scc0 .LBB143_3973
; %bb.3972:
	s_wait_xcnt 0x0
	s_delay_alu instid0(VALU_DEP_3) | instskip(SKIP_2) | instid1(VALU_DEP_1)
	v_trunc_f64_e32 v[6:7], v[0:1]
	s_mov_b32 s0, 0
	s_mov_b32 s14, -1
	v_ldexp_f64 v[8:9], v[6:7], 0xffffffe0
	s_delay_alu instid0(VALU_DEP_1) | instskip(NEXT) | instid1(VALU_DEP_1)
	v_floor_f64_e32 v[8:9], v[8:9]
	v_fmamk_f64 v[6:7], v[8:9], 0xc1f00000, v[6:7]
	v_cvt_u32_f64_e32 v9, v[8:9]
	s_delay_alu instid0(VALU_DEP_2)
	v_cvt_u32_f64_e32 v8, v[6:7]
	global_store_b64 v[4:5], v[8:9], off
.LBB143_3973:
	s_mov_b32 s15, 0
.LBB143_3974:
	s_delay_alu instid0(SALU_CYCLE_1)
	s_and_b32 vcc_lo, exec_lo, s15
	s_cbranch_vccz .LBB143_3990
; %bb.3975:
	s_cmp_lt_i32 s2, 27
	s_mov_b32 s14, -1
	s_cbranch_scc1 .LBB143_3981
; %bb.3976:
	s_cmp_gt_i32 s2, 27
	s_cbranch_scc0 .LBB143_3978
; %bb.3977:
	s_wait_xcnt 0x0
	s_delay_alu instid0(VALU_DEP_3)
	v_cvt_u32_f64_e32 v6, v[0:1]
	s_mov_b32 s14, 0
	global_store_b32 v[4:5], v6, off
.LBB143_3978:
	s_and_not1_b32 vcc_lo, exec_lo, s14
	s_cbranch_vccnz .LBB143_3980
; %bb.3979:
	s_wait_xcnt 0x0
	s_delay_alu instid0(VALU_DEP_3)
	v_cvt_u32_f64_e32 v6, v[0:1]
	global_store_b16 v[4:5], v6, off
.LBB143_3980:
	s_mov_b32 s14, 0
.LBB143_3981:
	s_delay_alu instid0(SALU_CYCLE_1)
	s_and_not1_b32 vcc_lo, exec_lo, s14
	s_cbranch_vccnz .LBB143_3989
; %bb.3982:
	s_wait_xcnt 0x0
	s_delay_alu instid0(VALU_DEP_3) | instskip(SKIP_2) | instid1(VALU_DEP_2)
	v_cvt_f32_f64_e32 v6, v[0:1]
	v_mov_b32_e32 v8, 0x80
	s_mov_b32 s14, exec_lo
	v_and_b32_e32 v7, 0x7fffffff, v6
	s_delay_alu instid0(VALU_DEP_1)
	v_cmpx_gt_u32_e32 0x43800000, v7
	s_cbranch_execz .LBB143_3988
; %bb.3983:
	v_cmp_lt_u32_e32 vcc_lo, 0x3bffffff, v7
	s_mov_b32 s15, 0
                                        ; implicit-def: $vgpr7
	s_and_saveexec_b32 s19, vcc_lo
	s_delay_alu instid0(SALU_CYCLE_1)
	s_xor_b32 s19, exec_lo, s19
	s_cbranch_execnz .LBB143_4327
; %bb.3984:
	s_and_not1_saveexec_b32 s19, s19
	s_cbranch_execnz .LBB143_4328
.LBB143_3985:
	s_or_b32 exec_lo, exec_lo, s19
	v_mov_b32_e32 v8, 0
	s_and_saveexec_b32 s19, s15
.LBB143_3986:
	v_lshrrev_b32_e32 v6, 24, v6
	s_delay_alu instid0(VALU_DEP_1)
	v_and_or_b32 v8, 0x80, v6, v7
.LBB143_3987:
	s_or_b32 exec_lo, exec_lo, s19
.LBB143_3988:
	s_delay_alu instid0(SALU_CYCLE_1)
	s_or_b32 exec_lo, exec_lo, s14
	global_store_b8 v[4:5], v8, off
.LBB143_3989:
	s_mov_b32 s14, -1
.LBB143_3990:
	s_mov_b32 s15, 0
.LBB143_3991:
	s_delay_alu instid0(SALU_CYCLE_1)
	s_and_b32 vcc_lo, exec_lo, s15
	s_cbranch_vccz .LBB143_4031
; %bb.3992:
	s_cmp_gt_i32 s2, 22
	s_mov_b32 s3, -1
	s_cbranch_scc0 .LBB143_4024
; %bb.3993:
	s_cmp_lt_i32 s2, 24
	s_cbranch_scc1 .LBB143_4013
; %bb.3994:
	s_cmp_gt_i32 s2, 24
	s_cbranch_scc0 .LBB143_4002
; %bb.3995:
	s_wait_xcnt 0x0
	s_delay_alu instid0(VALU_DEP_3) | instskip(SKIP_2) | instid1(VALU_DEP_2)
	v_cvt_f32_f64_e32 v6, v[0:1]
	v_mov_b32_e32 v8, 0x80
	s_mov_b32 s3, exec_lo
	v_and_b32_e32 v7, 0x7fffffff, v6
	s_delay_alu instid0(VALU_DEP_1)
	v_cmpx_gt_u32_e32 0x47800000, v7
	s_cbranch_execz .LBB143_4001
; %bb.3996:
	v_cmp_lt_u32_e32 vcc_lo, 0x37ffffff, v7
	s_mov_b32 s14, 0
                                        ; implicit-def: $vgpr7
	s_and_saveexec_b32 s15, vcc_lo
	s_delay_alu instid0(SALU_CYCLE_1)
	s_xor_b32 s15, exec_lo, s15
	s_cbranch_execnz .LBB143_4330
; %bb.3997:
	s_and_not1_saveexec_b32 s15, s15
	s_cbranch_execnz .LBB143_4331
.LBB143_3998:
	s_or_b32 exec_lo, exec_lo, s15
	v_mov_b32_e32 v8, 0
	s_and_saveexec_b32 s15, s14
.LBB143_3999:
	v_lshrrev_b32_e32 v6, 24, v6
	s_delay_alu instid0(VALU_DEP_1)
	v_and_or_b32 v8, 0x80, v6, v7
.LBB143_4000:
	s_or_b32 exec_lo, exec_lo, s15
.LBB143_4001:
	s_delay_alu instid0(SALU_CYCLE_1)
	s_or_b32 exec_lo, exec_lo, s3
	s_mov_b32 s3, 0
	global_store_b8 v[4:5], v8, off
.LBB143_4002:
	s_and_b32 vcc_lo, exec_lo, s3
	s_cbranch_vccz .LBB143_4012
; %bb.4003:
	s_wait_xcnt 0x0
	s_delay_alu instid0(VALU_DEP_3) | instskip(SKIP_1) | instid1(VALU_DEP_1)
	v_cvt_f32_f64_e32 v6, v[0:1]
	s_mov_b32 s3, exec_lo
                                        ; implicit-def: $vgpr7
	v_and_b32_e32 v8, 0x7fffffff, v6
	s_delay_alu instid0(VALU_DEP_1)
	v_cmpx_gt_u32_e32 0x43f00000, v8
	s_xor_b32 s3, exec_lo, s3
	s_cbranch_execz .LBB143_4009
; %bb.4004:
	s_mov_b32 s14, exec_lo
                                        ; implicit-def: $vgpr7
	v_cmpx_lt_u32_e32 0x3c7fffff, v8
	s_xor_b32 s14, exec_lo, s14
; %bb.4005:
	v_bfe_u32 v7, v6, 20, 1
	s_delay_alu instid0(VALU_DEP_1) | instskip(NEXT) | instid1(VALU_DEP_1)
	v_add3_u32 v7, v6, v7, 0x407ffff
	v_and_b32_e32 v8, 0xff00000, v7
	v_lshrrev_b32_e32 v7, 20, v7
	s_delay_alu instid0(VALU_DEP_2) | instskip(NEXT) | instid1(VALU_DEP_2)
	v_cmp_ne_u32_e32 vcc_lo, 0x7f00000, v8
	v_cndmask_b32_e32 v7, 0x7e, v7, vcc_lo
; %bb.4006:
	s_and_not1_saveexec_b32 s14, s14
; %bb.4007:
	v_add_f32_e64 v7, 0x46800000, |v6|
; %bb.4008:
	s_or_b32 exec_lo, exec_lo, s14
                                        ; implicit-def: $vgpr8
.LBB143_4009:
	s_and_not1_saveexec_b32 s3, s3
; %bb.4010:
	v_mov_b32_e32 v7, 0x7f
	v_cmp_lt_u32_e32 vcc_lo, 0x7f800000, v8
	s_delay_alu instid0(VALU_DEP_2)
	v_cndmask_b32_e32 v7, 0x7e, v7, vcc_lo
; %bb.4011:
	s_or_b32 exec_lo, exec_lo, s3
	v_lshrrev_b32_e32 v6, 24, v6
	s_delay_alu instid0(VALU_DEP_1)
	v_and_or_b32 v6, 0x80, v6, v7
	global_store_b8 v[4:5], v6, off
.LBB143_4012:
	s_mov_b32 s3, 0
.LBB143_4013:
	s_delay_alu instid0(SALU_CYCLE_1)
	s_and_not1_b32 vcc_lo, exec_lo, s3
	s_cbranch_vccnz .LBB143_4023
; %bb.4014:
	s_wait_xcnt 0x0
	s_delay_alu instid0(VALU_DEP_3) | instskip(SKIP_1) | instid1(VALU_DEP_1)
	v_cvt_f32_f64_e32 v6, v[0:1]
	s_mov_b32 s3, exec_lo
                                        ; implicit-def: $vgpr7
	v_and_b32_e32 v8, 0x7fffffff, v6
	s_delay_alu instid0(VALU_DEP_1)
	v_cmpx_gt_u32_e32 0x47800000, v8
	s_xor_b32 s3, exec_lo, s3
	s_cbranch_execz .LBB143_4020
; %bb.4015:
	s_mov_b32 s14, exec_lo
                                        ; implicit-def: $vgpr7
	v_cmpx_lt_u32_e32 0x387fffff, v8
	s_xor_b32 s14, exec_lo, s14
; %bb.4016:
	v_bfe_u32 v7, v6, 21, 1
	s_delay_alu instid0(VALU_DEP_1) | instskip(NEXT) | instid1(VALU_DEP_1)
	v_add3_u32 v7, v6, v7, 0x80fffff
	v_lshrrev_b32_e32 v7, 21, v7
; %bb.4017:
	s_and_not1_saveexec_b32 s14, s14
; %bb.4018:
	v_add_f32_e64 v7, 0x43000000, |v6|
; %bb.4019:
	s_or_b32 exec_lo, exec_lo, s14
                                        ; implicit-def: $vgpr8
.LBB143_4020:
	s_and_not1_saveexec_b32 s3, s3
; %bb.4021:
	v_mov_b32_e32 v7, 0x7f
	v_cmp_lt_u32_e32 vcc_lo, 0x7f800000, v8
	s_delay_alu instid0(VALU_DEP_2)
	v_cndmask_b32_e32 v7, 0x7c, v7, vcc_lo
; %bb.4022:
	s_or_b32 exec_lo, exec_lo, s3
	v_lshrrev_b32_e32 v6, 24, v6
	s_delay_alu instid0(VALU_DEP_1)
	v_and_or_b32 v6, 0x80, v6, v7
	global_store_b8 v[4:5], v6, off
.LBB143_4023:
	s_mov_b32 s3, 0
	s_mov_b32 s14, -1
.LBB143_4024:
	s_and_not1_b32 vcc_lo, exec_lo, s3
	s_mov_b32 s3, 0
	s_cbranch_vccnz .LBB143_4031
; %bb.4025:
	s_cmp_gt_i32 s2, 14
	s_mov_b32 s3, -1
	s_cbranch_scc0 .LBB143_4029
; %bb.4026:
	s_cmp_eq_u32 s2, 15
	s_mov_b32 s0, -1
	s_cbranch_scc0 .LBB143_4028
; %bb.4027:
	s_wait_xcnt 0x0
	s_delay_alu instid0(VALU_DEP_3) | instskip(SKIP_2) | instid1(VALU_DEP_1)
	v_cvt_f32_f64_e32 v6, v[0:1]
	s_mov_b32 s0, 0
	s_mov_b32 s14, -1
	v_bfe_u32 v7, v6, 16, 1
	v_cmp_o_f32_e32 vcc_lo, v6, v6
	s_delay_alu instid0(VALU_DEP_2) | instskip(NEXT) | instid1(VALU_DEP_1)
	v_add3_u32 v7, v6, v7, 0x7fff
	v_lshrrev_b32_e32 v7, 16, v7
	s_delay_alu instid0(VALU_DEP_1)
	v_cndmask_b32_e32 v6, 0x7fc0, v7, vcc_lo
	global_store_b16 v[4:5], v6, off
.LBB143_4028:
	s_mov_b32 s3, 0
.LBB143_4029:
	s_delay_alu instid0(SALU_CYCLE_1)
	s_and_b32 vcc_lo, exec_lo, s3
	s_mov_b32 s3, 0
	s_cbranch_vccz .LBB143_4031
; %bb.4030:
	s_cmp_lg_u32 s2, 11
	s_mov_b32 s3, -1
	s_cselect_b32 s0, -1, 0
.LBB143_4031:
	s_delay_alu instid0(SALU_CYCLE_1)
	s_and_b32 vcc_lo, exec_lo, s0
	s_cbranch_vccnz .LBB143_4324
; %bb.4032:
	s_and_not1_b32 vcc_lo, exec_lo, s3
	s_cbranch_vccnz .LBB143_4034
.LBB143_4033:
	s_delay_alu instid0(VALU_DEP_3) | instskip(NEXT) | instid1(VALU_DEP_2)
	v_cmp_neq_f64_e32 vcc_lo, 0, v[0:1]
	v_cmp_neq_f64_e64 s0, 0, v[2:3]
	s_mov_b32 s14, -1
	s_or_b32 s0, vcc_lo, s0
	s_wait_xcnt 0x0
	v_cndmask_b32_e64 v6, 0, 1, s0
	global_store_b8 v[4:5], v6, off
.LBB143_4034:
	s_mov_b32 s0, 0
	s_branch .LBB143_4036
.LBB143_4035:
	s_mov_b32 s0, -1
	s_mov_b32 s14, 0
.LBB143_4036:
	s_and_b32 vcc_lo, exec_lo, s0
	s_cbranch_vccz .LBB143_4075
; %bb.4037:
	s_cmp_lt_i32 s2, 5
	s_mov_b32 s0, -1
	s_cbranch_scc1 .LBB143_4058
; %bb.4038:
	s_cmp_lt_i32 s2, 8
	s_cbranch_scc1 .LBB143_4048
; %bb.4039:
	s_cmp_lt_i32 s2, 9
	s_cbranch_scc1 .LBB143_4045
; %bb.4040:
	s_cmp_gt_i32 s2, 9
	s_cbranch_scc0 .LBB143_4042
; %bb.4041:
	s_mov_b32 s0, 0
	global_store_b128 v[4:5], v[0:3], off
.LBB143_4042:
	s_and_not1_b32 vcc_lo, exec_lo, s0
	s_cbranch_vccnz .LBB143_4044
; %bb.4043:
	s_wait_xcnt 0x0
	s_delay_alu instid0(VALU_DEP_3) | instskip(NEXT) | instid1(VALU_DEP_2)
	v_cvt_f32_f64_e32 v6, v[0:1]
	v_cvt_f32_f64_e32 v7, v[2:3]
	global_store_b64 v[4:5], v[6:7], off
.LBB143_4044:
	s_mov_b32 s0, 0
.LBB143_4045:
	s_delay_alu instid0(SALU_CYCLE_1)
	s_and_not1_b32 vcc_lo, exec_lo, s0
	s_cbranch_vccnz .LBB143_4047
; %bb.4046:
	s_wait_xcnt 0x0
	s_delay_alu instid0(VALU_DEP_3) | instskip(NEXT) | instid1(VALU_DEP_2)
	v_and_or_b32 v6, 0x1ff, v1, v0
	v_and_or_b32 v2, 0x1ff, v3, v2
	v_dual_lshrrev_b32 v7, 8, v1 :: v_dual_lshrrev_b32 v10, 8, v3
	v_bfe_u32 v8, v1, 20, 11
	s_delay_alu instid0(VALU_DEP_4) | instskip(SKIP_2) | instid1(VALU_DEP_4)
	v_cmp_ne_u32_e32 vcc_lo, 0, v6
	v_bfe_u32 v9, v3, 20, 11
	v_dual_lshrrev_b32 v16, 16, v1 :: v_dual_lshrrev_b32 v3, 16, v3
	v_sub_nc_u32_e32 v11, 0x3f1, v8
	v_cndmask_b32_e64 v6, 0, 1, vcc_lo
	v_cmp_ne_u32_e32 vcc_lo, 0, v2
	v_add_nc_u32_e32 v8, 0xfffffc10, v8
	s_delay_alu instid0(VALU_DEP_3) | instskip(SKIP_1) | instid1(VALU_DEP_1)
	v_and_or_b32 v6, 0xffe, v7, v6
	v_cndmask_b32_e64 v2, 0, 1, vcc_lo
	v_and_or_b32 v2, 0xffe, v10, v2
	v_med3_i32 v10, v11, 0, 13
	s_delay_alu instid0(VALU_DEP_4) | instskip(NEXT) | instid1(VALU_DEP_3)
	v_or_b32_e32 v11, 0x1000, v6
	v_or_b32_e32 v12, 0x1000, v2
	s_delay_alu instid0(VALU_DEP_2) | instskip(NEXT) | instid1(VALU_DEP_1)
	v_lshrrev_b32_e32 v13, v10, v11
	v_lshlrev_b32_e32 v10, v10, v13
	s_delay_alu instid0(VALU_DEP_1) | instskip(SKIP_2) | instid1(VALU_DEP_1)
	v_cmp_ne_u32_e32 vcc_lo, v10, v11
	v_lshl_or_b32 v11, v8, 12, v6
	v_cndmask_b32_e64 v10, 0, 1, vcc_lo
	v_or_b32_e32 v10, v13, v10
	v_sub_nc_u32_e32 v7, 0x3f1, v9
	v_add_nc_u32_e32 v9, 0xfffffc10, v9
	s_delay_alu instid0(VALU_DEP_2) | instskip(NEXT) | instid1(VALU_DEP_1)
	v_med3_i32 v7, v7, 0, 13
	v_lshrrev_b32_e32 v14, v7, v12
	s_delay_alu instid0(VALU_DEP_1) | instskip(NEXT) | instid1(VALU_DEP_1)
	v_lshlrev_b32_e32 v7, v7, v14
	v_cmp_ne_u32_e32 vcc_lo, v7, v12
	v_lshl_or_b32 v12, v9, 12, v2
	v_cndmask_b32_e64 v7, 0, 1, vcc_lo
	v_cmp_gt_i32_e32 vcc_lo, 1, v8
	s_delay_alu instid0(VALU_DEP_2) | instskip(SKIP_1) | instid1(VALU_DEP_2)
	v_dual_cndmask_b32 v10, v11, v10, vcc_lo :: v_dual_bitop2_b32 v7, v14, v7 bitop3:0x54
	v_cmp_gt_i32_e32 vcc_lo, 1, v9
	v_dual_lshrrev_b32 v10, 2, v10 :: v_dual_bitop2_b32 v11, 7, v10 bitop3:0x40
	s_delay_alu instid0(VALU_DEP_3) | instskip(NEXT) | instid1(VALU_DEP_1)
	v_cndmask_b32_e32 v7, v12, v7, vcc_lo
	v_dual_lshrrev_b32 v7, 2, v7 :: v_dual_bitop2_b32 v12, 7, v7 bitop3:0x40
	s_delay_alu instid0(VALU_DEP_3) | instskip(SKIP_1) | instid1(VALU_DEP_3)
	v_cmp_lt_i32_e32 vcc_lo, 5, v11
	v_cndmask_b32_e64 v14, 0, 1, vcc_lo
	v_cmp_lt_i32_e32 vcc_lo, 5, v12
	v_cndmask_b32_e64 v15, 0, 1, vcc_lo
	v_cmp_eq_u32_e32 vcc_lo, 3, v12
	v_cndmask_b32_e64 v12, 0, 1, vcc_lo
	v_cmp_eq_u32_e32 vcc_lo, 3, v11
	s_delay_alu instid0(VALU_DEP_2) | instskip(SKIP_2) | instid1(VALU_DEP_3)
	v_or_b32_e32 v12, v12, v15
	v_cndmask_b32_e64 v11, 0, 1, vcc_lo
	v_cmp_ne_u32_e32 vcc_lo, 0, v6
	v_add_nc_u32_e32 v7, v7, v12
	s_delay_alu instid0(VALU_DEP_3) | instskip(NEXT) | instid1(VALU_DEP_1)
	v_or_b32_e32 v11, v11, v14
	v_dual_mov_b32 v13, 0x7e00 :: v_dual_add_nc_u32 v10, v10, v11
	s_delay_alu instid0(VALU_DEP_1)
	v_cndmask_b32_e32 v6, 0x7c00, v13, vcc_lo
	v_cmp_ne_u32_e32 vcc_lo, 0, v2
	v_and_b32_e32 v11, 0x8000, v16
	v_cndmask_b32_e32 v2, 0x7c00, v13, vcc_lo
	v_cmp_gt_i32_e32 vcc_lo, 31, v9
	v_cndmask_b32_e32 v7, 0x7c00, v7, vcc_lo
	v_cmp_gt_i32_e32 vcc_lo, 31, v8
	v_cndmask_b32_e32 v10, 0x7c00, v10, vcc_lo
	v_cmp_eq_u32_e32 vcc_lo, 0x40f, v9
	s_delay_alu instid0(VALU_DEP_4) | instskip(SKIP_1) | instid1(VALU_DEP_2)
	v_cndmask_b32_e32 v2, v7, v2, vcc_lo
	v_cmp_eq_u32_e32 vcc_lo, 0x40f, v8
	v_and_or_b32 v2, 0x8000, v3, v2
	v_cndmask_b32_e32 v6, v10, v6, vcc_lo
	s_delay_alu instid0(VALU_DEP_1) | instskip(NEXT) | instid1(VALU_DEP_1)
	v_bitop3_b32 v3, v11, 0xffff, v6 bitop3:0xc8
	v_lshl_or_b32 v2, v2, 16, v3
	global_store_b32 v[4:5], v2, off
.LBB143_4047:
	s_mov_b32 s0, 0
.LBB143_4048:
	s_delay_alu instid0(SALU_CYCLE_1)
	s_and_not1_b32 vcc_lo, exec_lo, s0
	s_cbranch_vccnz .LBB143_4057
; %bb.4049:
	s_cmp_lt_i32 s2, 6
	s_mov_b32 s0, -1
	s_cbranch_scc1 .LBB143_4055
; %bb.4050:
	s_cmp_gt_i32 s2, 6
	s_cbranch_scc0 .LBB143_4052
; %bb.4051:
	s_mov_b32 s0, 0
	global_store_b64 v[4:5], v[0:1], off
.LBB143_4052:
	s_and_not1_b32 vcc_lo, exec_lo, s0
	s_cbranch_vccnz .LBB143_4054
; %bb.4053:
	s_wait_xcnt 0x0
	s_delay_alu instid0(VALU_DEP_3)
	v_cvt_f32_f64_e32 v2, v[0:1]
	global_store_b32 v[4:5], v2, off
.LBB143_4054:
	s_mov_b32 s0, 0
.LBB143_4055:
	s_delay_alu instid0(SALU_CYCLE_1)
	s_and_not1_b32 vcc_lo, exec_lo, s0
	s_cbranch_vccnz .LBB143_4057
; %bb.4056:
	s_wait_xcnt 0x0
	s_delay_alu instid0(VALU_DEP_3) | instskip(SKIP_2) | instid1(VALU_DEP_3)
	v_and_or_b32 v2, 0x1ff, v1, v0
	v_lshrrev_b32_e32 v3, 8, v1
	v_bfe_u32 v6, v1, 20, 11
	v_cmp_ne_u32_e32 vcc_lo, 0, v2
	s_delay_alu instid0(VALU_DEP_2) | instskip(SKIP_1) | instid1(VALU_DEP_1)
	v_sub_nc_u32_e32 v7, 0x3f1, v6
	v_cndmask_b32_e64 v2, 0, 1, vcc_lo
	v_and_or_b32 v2, 0xffe, v3, v2
	s_delay_alu instid0(VALU_DEP_3) | instskip(NEXT) | instid1(VALU_DEP_2)
	v_med3_i32 v3, v7, 0, 13
	v_or_b32_e32 v7, 0x1000, v2
	s_delay_alu instid0(VALU_DEP_1) | instskip(NEXT) | instid1(VALU_DEP_1)
	v_lshrrev_b32_e32 v8, v3, v7
	v_lshlrev_b32_e32 v3, v3, v8
	s_delay_alu instid0(VALU_DEP_1) | instskip(SKIP_1) | instid1(VALU_DEP_1)
	v_cmp_ne_u32_e32 vcc_lo, v3, v7
	v_cndmask_b32_e64 v3, 0, 1, vcc_lo
	v_or_b32_e32 v3, v8, v3
	v_add_nc_u32_e32 v6, 0xfffffc10, v6
	s_delay_alu instid0(VALU_DEP_1) | instskip(SKIP_1) | instid1(VALU_DEP_2)
	v_lshl_or_b32 v7, v6, 12, v2
	v_cmp_gt_i32_e32 vcc_lo, 1, v6
	v_cndmask_b32_e32 v3, v7, v3, vcc_lo
	s_delay_alu instid0(VALU_DEP_1) | instskip(NEXT) | instid1(VALU_DEP_1)
	v_dual_lshrrev_b32 v3, 2, v3 :: v_dual_bitop2_b32 v7, 7, v3 bitop3:0x40
	v_cmp_lt_i32_e32 vcc_lo, 5, v7
	v_cndmask_b32_e64 v8, 0, 1, vcc_lo
	v_cmp_eq_u32_e32 vcc_lo, 3, v7
	v_cndmask_b32_e64 v7, 0, 1, vcc_lo
	v_cmp_ne_u32_e32 vcc_lo, 0, v2
	s_delay_alu instid0(VALU_DEP_2) | instskip(NEXT) | instid1(VALU_DEP_1)
	v_or_b32_e32 v7, v7, v8
	v_dual_mov_b32 v8, 0x7e00 :: v_dual_add_nc_u32 v3, v3, v7
	s_delay_alu instid0(VALU_DEP_1) | instskip(SKIP_1) | instid1(VALU_DEP_3)
	v_cndmask_b32_e32 v2, 0x7c00, v8, vcc_lo
	v_cmp_gt_i32_e32 vcc_lo, 31, v6
	v_cndmask_b32_e32 v3, 0x7c00, v3, vcc_lo
	v_cmp_eq_u32_e32 vcc_lo, 0x40f, v6
	s_delay_alu instid0(VALU_DEP_2) | instskip(NEXT) | instid1(VALU_DEP_1)
	v_dual_cndmask_b32 v2, v3, v2 :: v_dual_lshrrev_b32 v3, 16, v1
	v_and_or_b32 v2, 0x8000, v3, v2
	global_store_b16 v[4:5], v2, off
.LBB143_4057:
	s_mov_b32 s0, 0
.LBB143_4058:
	s_delay_alu instid0(SALU_CYCLE_1)
	s_and_not1_b32 vcc_lo, exec_lo, s0
	s_cbranch_vccnz .LBB143_4074
; %bb.4059:
	s_cmp_lt_i32 s2, 2
	s_mov_b32 s0, -1
	s_cbranch_scc1 .LBB143_4069
; %bb.4060:
	s_cmp_lt_i32 s2, 3
	s_cbranch_scc1 .LBB143_4066
; %bb.4061:
	s_cmp_gt_i32 s2, 3
	s_cbranch_scc0 .LBB143_4063
; %bb.4062:
	s_wait_xcnt 0x0
	s_delay_alu instid0(VALU_DEP_3) | instskip(SKIP_1) | instid1(VALU_DEP_1)
	v_trunc_f64_e32 v[2:3], v[0:1]
	s_mov_b32 s0, 0
	v_ldexp_f64 v[6:7], v[2:3], 0xffffffe0
	s_delay_alu instid0(VALU_DEP_1) | instskip(NEXT) | instid1(VALU_DEP_1)
	v_floor_f64_e32 v[6:7], v[6:7]
	v_fmamk_f64 v[2:3], v[6:7], 0xc1f00000, v[2:3]
	v_cvt_i32_f64_e32 v7, v[6:7]
	s_delay_alu instid0(VALU_DEP_2)
	v_cvt_u32_f64_e32 v6, v[2:3]
	global_store_b64 v[4:5], v[6:7], off
.LBB143_4063:
	s_and_not1_b32 vcc_lo, exec_lo, s0
	s_cbranch_vccnz .LBB143_4065
; %bb.4064:
	s_wait_xcnt 0x0
	s_delay_alu instid0(VALU_DEP_3)
	v_cvt_i32_f64_e32 v2, v[0:1]
	global_store_b32 v[4:5], v2, off
.LBB143_4065:
	s_mov_b32 s0, 0
.LBB143_4066:
	s_delay_alu instid0(SALU_CYCLE_1)
	s_and_not1_b32 vcc_lo, exec_lo, s0
	s_cbranch_vccnz .LBB143_4068
; %bb.4067:
	s_wait_xcnt 0x0
	s_delay_alu instid0(VALU_DEP_3)
	v_cvt_i32_f64_e32 v2, v[0:1]
	global_store_b16 v[4:5], v2, off
.LBB143_4068:
	s_mov_b32 s0, 0
.LBB143_4069:
	s_delay_alu instid0(SALU_CYCLE_1)
	s_and_not1_b32 vcc_lo, exec_lo, s0
	s_cbranch_vccnz .LBB143_4074
; %bb.4070:
	s_cmp_gt_i32 s2, 0
	s_mov_b32 s0, -1
	s_cbranch_scc0 .LBB143_4072
; %bb.4071:
	s_wait_xcnt 0x0
	s_delay_alu instid0(VALU_DEP_3)
	v_cvt_i32_f64_e32 v2, v[0:1]
	s_mov_b32 s0, 0
	global_store_b8 v[4:5], v2, off
.LBB143_4072:
	s_and_not1_b32 vcc_lo, exec_lo, s0
	s_cbranch_vccnz .LBB143_4074
; %bb.4073:
	s_wait_xcnt 0x0
	s_delay_alu instid0(VALU_DEP_3) | instskip(NEXT) | instid1(VALU_DEP_1)
	v_trunc_f64_e32 v[0:1], v[0:1]
	v_ldexp_f64 v[2:3], v[0:1], 0xffffffe0
	s_delay_alu instid0(VALU_DEP_1) | instskip(NEXT) | instid1(VALU_DEP_1)
	v_floor_f64_e32 v[2:3], v[2:3]
	v_fmamk_f64 v[0:1], v[2:3], 0xc1f00000, v[0:1]
	s_delay_alu instid0(VALU_DEP_1)
	v_cvt_u32_f64_e32 v0, v[0:1]
	global_store_b8 v[4:5], v0, off
.LBB143_4074:
	s_mov_b32 s14, -1
.LBB143_4075:
	s_delay_alu instid0(SALU_CYCLE_1)
	s_and_not1_b32 vcc_lo, exec_lo, s14
	s_cbranch_vccnz .LBB143_4271
; %bb.4076:
	s_wait_xcnt 0x0
	v_dual_mul_f64 v[0:1], s[8:9], v[30:31] :: v_dual_mov_b32 v51, 0
	v_mul_f64_e32 v[2:3], s[10:11], v[30:31]
	v_mul_f64_e32 v[4:5], s[6:7], v[22:23]
	;; [unrolled: 1-line block ×3, first 2 shown]
	s_cmp_lt_i32 s2, 11
	s_delay_alu instid0(VALU_DEP_4) | instskip(NEXT) | instid1(VALU_DEP_4)
	v_fmac_f64_e32 v[0:1], s[10:11], v[28:29]
	v_fma_f64 v[2:3], s[8:9], v[28:29], -v[2:3]
	s_delay_alu instid0(VALU_DEP_4) | instskip(NEXT) | instid1(VALU_DEP_4)
	v_fma_f64 v[4:5], s[4:5], v[20:21], -v[4:5]
	v_fmac_f64_e32 v[6:7], s[6:7], v[20:21]
	s_delay_alu instid0(VALU_DEP_4) | instskip(NEXT) | instid1(VALU_DEP_4)
	v_mul_f64_e32 v[8:9], v[0:1], v[38:39]
	v_mul_f64_e32 v[10:11], v[2:3], v[38:39]
	s_delay_alu instid0(VALU_DEP_2) | instskip(NEXT) | instid1(VALU_DEP_2)
	v_fma_f64 v[2:3], v[2:3], v[36:37], -v[8:9]
	v_fmac_f64_e32 v[10:11], v[0:1], v[36:37]
	s_delay_alu instid0(VALU_DEP_2) | instskip(SKIP_1) | instid1(VALU_DEP_3)
	v_add_f64_e32 v[0:1], v[4:5], v[2:3]
	v_add_nc_u64_e32 v[4:5], s[12:13], v[50:51]
	v_add_f64_e32 v[2:3], v[6:7], v[10:11]
	s_cbranch_scc1 .LBB143_4154
; %bb.4077:
	s_mov_b32 s15, -1
	s_mov_b32 s3, 0
	s_cmp_gt_i32 s2, 25
	s_mov_b32 s14, 0
	s_mov_b32 s0, 0
	s_cbranch_scc0 .LBB143_4110
; %bb.4078:
	s_cmp_gt_i32 s2, 28
	s_cbranch_scc0 .LBB143_4093
; %bb.4079:
	s_cmp_gt_i32 s2, 43
	;; [unrolled: 3-line block ×3, first 2 shown]
	s_cbranch_scc0 .LBB143_4083
; %bb.4081:
	s_mov_b32 s0, -1
	s_mov_b32 s15, 0
	s_cmp_eq_u32 s2, 46
	s_cbranch_scc0 .LBB143_4083
; %bb.4082:
	s_delay_alu instid0(VALU_DEP_1) | instskip(NEXT) | instid1(VALU_DEP_4)
	v_cvt_f32_f64_e32 v6, v[2:3]
	v_cvt_f32_f64_e32 v7, v[0:1]
	s_mov_b32 s0, 0
	s_mov_b32 s14, -1
	s_delay_alu instid0(VALU_DEP_2) | instskip(NEXT) | instid1(VALU_DEP_2)
	v_bfe_u32 v8, v6, 16, 1
	v_bfe_u32 v9, v7, 16, 1
	v_cmp_o_f32_e32 vcc_lo, v6, v6
	s_delay_alu instid0(VALU_DEP_3) | instskip(NEXT) | instid1(VALU_DEP_3)
	v_add3_u32 v8, v6, v8, 0x7fff
	v_add3_u32 v9, v7, v9, 0x7fff
	s_delay_alu instid0(VALU_DEP_2) | instskip(NEXT) | instid1(VALU_DEP_1)
	v_and_b32_e32 v8, 0xffff0000, v8
	v_dual_cndmask_b32 v6, 0x7fc00000, v8 :: v_dual_lshrrev_b32 v9, 16, v9
	v_cmp_o_f32_e32 vcc_lo, v7, v7
	s_delay_alu instid0(VALU_DEP_2) | instskip(NEXT) | instid1(VALU_DEP_1)
	v_cndmask_b32_e32 v7, 0x7fc0, v9, vcc_lo
	v_or_b32_e32 v6, v6, v7
	global_store_b32 v[4:5], v6, off
.LBB143_4083:
	s_and_b32 vcc_lo, exec_lo, s15
	s_cbranch_vccz .LBB143_4088
; %bb.4084:
	s_cmp_eq_u32 s2, 44
	s_mov_b32 s0, -1
	s_cbranch_scc0 .LBB143_4088
; %bb.4085:
	s_wait_xcnt 0x0
	s_delay_alu instid0(VALU_DEP_3) | instskip(SKIP_2) | instid1(VALU_DEP_2)
	v_cvt_f32_f64_e32 v6, v[0:1]
	v_mov_b32_e32 v7, 0xff
	s_mov_b32 s14, exec_lo
	v_bfe_u32 v8, v6, 23, 8
	s_delay_alu instid0(VALU_DEP_1)
	v_cmpx_ne_u32_e32 0xff, v8
	s_cbranch_execz .LBB143_4087
; %bb.4086:
	v_and_b32_e32 v7, 0x400000, v6
	v_and_or_b32 v8, 0x3fffff, v6, v8
	v_lshrrev_b32_e32 v6, 23, v6
	s_delay_alu instid0(VALU_DEP_3) | instskip(NEXT) | instid1(VALU_DEP_3)
	v_cmp_ne_u32_e32 vcc_lo, 0, v7
	v_cmp_ne_u32_e64 s0, 0, v8
	s_and_b32 s0, vcc_lo, s0
	s_delay_alu instid0(SALU_CYCLE_1) | instskip(NEXT) | instid1(VALU_DEP_1)
	v_cndmask_b32_e64 v7, 0, 1, s0
	v_add_nc_u32_e32 v7, v6, v7
.LBB143_4087:
	s_or_b32 exec_lo, exec_lo, s14
	s_mov_b32 s0, 0
	s_mov_b32 s14, -1
	global_store_b8 v[4:5], v7, off
.LBB143_4088:
	s_mov_b32 s15, 0
.LBB143_4089:
	s_delay_alu instid0(SALU_CYCLE_1)
	s_and_b32 vcc_lo, exec_lo, s15
	s_cbranch_vccz .LBB143_4092
; %bb.4090:
	s_cmp_eq_u32 s2, 29
	s_mov_b32 s0, -1
	s_cbranch_scc0 .LBB143_4092
; %bb.4091:
	s_wait_xcnt 0x0
	s_delay_alu instid0(VALU_DEP_3) | instskip(SKIP_2) | instid1(VALU_DEP_1)
	v_trunc_f64_e32 v[6:7], v[0:1]
	s_mov_b32 s0, 0
	s_mov_b32 s14, -1
	v_ldexp_f64 v[8:9], v[6:7], 0xffffffe0
	s_delay_alu instid0(VALU_DEP_1) | instskip(NEXT) | instid1(VALU_DEP_1)
	v_floor_f64_e32 v[8:9], v[8:9]
	v_fmamk_f64 v[6:7], v[8:9], 0xc1f00000, v[6:7]
	v_cvt_u32_f64_e32 v9, v[8:9]
	s_delay_alu instid0(VALU_DEP_2)
	v_cvt_u32_f64_e32 v8, v[6:7]
	global_store_b64 v[4:5], v[8:9], off
.LBB143_4092:
	s_mov_b32 s15, 0
.LBB143_4093:
	s_delay_alu instid0(SALU_CYCLE_1)
	s_and_b32 vcc_lo, exec_lo, s15
	s_cbranch_vccz .LBB143_4109
; %bb.4094:
	s_cmp_lt_i32 s2, 27
	s_mov_b32 s14, -1
	s_cbranch_scc1 .LBB143_4100
; %bb.4095:
	s_cmp_gt_i32 s2, 27
	s_cbranch_scc0 .LBB143_4097
; %bb.4096:
	s_wait_xcnt 0x0
	s_delay_alu instid0(VALU_DEP_3)
	v_cvt_u32_f64_e32 v6, v[0:1]
	s_mov_b32 s14, 0
	global_store_b32 v[4:5], v6, off
.LBB143_4097:
	s_and_not1_b32 vcc_lo, exec_lo, s14
	s_cbranch_vccnz .LBB143_4099
; %bb.4098:
	s_wait_xcnt 0x0
	s_delay_alu instid0(VALU_DEP_3)
	v_cvt_u32_f64_e32 v6, v[0:1]
	global_store_b16 v[4:5], v6, off
.LBB143_4099:
	s_mov_b32 s14, 0
.LBB143_4100:
	s_delay_alu instid0(SALU_CYCLE_1)
	s_and_not1_b32 vcc_lo, exec_lo, s14
	s_cbranch_vccnz .LBB143_4108
; %bb.4101:
	s_wait_xcnt 0x0
	s_delay_alu instid0(VALU_DEP_3) | instskip(SKIP_2) | instid1(VALU_DEP_2)
	v_cvt_f32_f64_e32 v6, v[0:1]
	v_mov_b32_e32 v8, 0x80
	s_mov_b32 s14, exec_lo
	v_and_b32_e32 v7, 0x7fffffff, v6
	s_delay_alu instid0(VALU_DEP_1)
	v_cmpx_gt_u32_e32 0x43800000, v7
	s_cbranch_execz .LBB143_4107
; %bb.4102:
	v_cmp_lt_u32_e32 vcc_lo, 0x3bffffff, v7
	s_mov_b32 s15, 0
                                        ; implicit-def: $vgpr7
	s_and_saveexec_b32 s19, vcc_lo
	s_delay_alu instid0(SALU_CYCLE_1)
	s_xor_b32 s19, exec_lo, s19
	s_cbranch_execnz .LBB143_4332
; %bb.4103:
	s_and_not1_saveexec_b32 s19, s19
	s_cbranch_execnz .LBB143_4333
.LBB143_4104:
	s_or_b32 exec_lo, exec_lo, s19
	v_mov_b32_e32 v8, 0
	s_and_saveexec_b32 s19, s15
.LBB143_4105:
	v_lshrrev_b32_e32 v6, 24, v6
	s_delay_alu instid0(VALU_DEP_1)
	v_and_or_b32 v8, 0x80, v6, v7
.LBB143_4106:
	s_or_b32 exec_lo, exec_lo, s19
.LBB143_4107:
	s_delay_alu instid0(SALU_CYCLE_1)
	s_or_b32 exec_lo, exec_lo, s14
	global_store_b8 v[4:5], v8, off
.LBB143_4108:
	s_mov_b32 s14, -1
.LBB143_4109:
	s_mov_b32 s15, 0
.LBB143_4110:
	s_delay_alu instid0(SALU_CYCLE_1)
	s_and_b32 vcc_lo, exec_lo, s15
	s_cbranch_vccz .LBB143_4150
; %bb.4111:
	s_cmp_gt_i32 s2, 22
	s_mov_b32 s3, -1
	s_cbranch_scc0 .LBB143_4143
; %bb.4112:
	s_cmp_lt_i32 s2, 24
	s_cbranch_scc1 .LBB143_4132
; %bb.4113:
	s_cmp_gt_i32 s2, 24
	s_cbranch_scc0 .LBB143_4121
; %bb.4114:
	s_wait_xcnt 0x0
	s_delay_alu instid0(VALU_DEP_3) | instskip(SKIP_2) | instid1(VALU_DEP_2)
	v_cvt_f32_f64_e32 v6, v[0:1]
	v_mov_b32_e32 v8, 0x80
	s_mov_b32 s3, exec_lo
	v_and_b32_e32 v7, 0x7fffffff, v6
	s_delay_alu instid0(VALU_DEP_1)
	v_cmpx_gt_u32_e32 0x47800000, v7
	s_cbranch_execz .LBB143_4120
; %bb.4115:
	v_cmp_lt_u32_e32 vcc_lo, 0x37ffffff, v7
	s_mov_b32 s14, 0
                                        ; implicit-def: $vgpr7
	s_and_saveexec_b32 s15, vcc_lo
	s_delay_alu instid0(SALU_CYCLE_1)
	s_xor_b32 s15, exec_lo, s15
	s_cbranch_execnz .LBB143_4335
; %bb.4116:
	s_and_not1_saveexec_b32 s15, s15
	s_cbranch_execnz .LBB143_4336
.LBB143_4117:
	s_or_b32 exec_lo, exec_lo, s15
	v_mov_b32_e32 v8, 0
	s_and_saveexec_b32 s15, s14
.LBB143_4118:
	v_lshrrev_b32_e32 v6, 24, v6
	s_delay_alu instid0(VALU_DEP_1)
	v_and_or_b32 v8, 0x80, v6, v7
.LBB143_4119:
	s_or_b32 exec_lo, exec_lo, s15
.LBB143_4120:
	s_delay_alu instid0(SALU_CYCLE_1)
	s_or_b32 exec_lo, exec_lo, s3
	s_mov_b32 s3, 0
	global_store_b8 v[4:5], v8, off
.LBB143_4121:
	s_and_b32 vcc_lo, exec_lo, s3
	s_cbranch_vccz .LBB143_4131
; %bb.4122:
	s_wait_xcnt 0x0
	s_delay_alu instid0(VALU_DEP_3) | instskip(SKIP_1) | instid1(VALU_DEP_1)
	v_cvt_f32_f64_e32 v6, v[0:1]
	s_mov_b32 s3, exec_lo
                                        ; implicit-def: $vgpr7
	v_and_b32_e32 v8, 0x7fffffff, v6
	s_delay_alu instid0(VALU_DEP_1)
	v_cmpx_gt_u32_e32 0x43f00000, v8
	s_xor_b32 s3, exec_lo, s3
	s_cbranch_execz .LBB143_4128
; %bb.4123:
	s_mov_b32 s14, exec_lo
                                        ; implicit-def: $vgpr7
	v_cmpx_lt_u32_e32 0x3c7fffff, v8
	s_xor_b32 s14, exec_lo, s14
; %bb.4124:
	v_bfe_u32 v7, v6, 20, 1
	s_delay_alu instid0(VALU_DEP_1) | instskip(NEXT) | instid1(VALU_DEP_1)
	v_add3_u32 v7, v6, v7, 0x407ffff
	v_and_b32_e32 v8, 0xff00000, v7
	v_lshrrev_b32_e32 v7, 20, v7
	s_delay_alu instid0(VALU_DEP_2) | instskip(NEXT) | instid1(VALU_DEP_2)
	v_cmp_ne_u32_e32 vcc_lo, 0x7f00000, v8
	v_cndmask_b32_e32 v7, 0x7e, v7, vcc_lo
; %bb.4125:
	s_and_not1_saveexec_b32 s14, s14
; %bb.4126:
	v_add_f32_e64 v7, 0x46800000, |v6|
; %bb.4127:
	s_or_b32 exec_lo, exec_lo, s14
                                        ; implicit-def: $vgpr8
.LBB143_4128:
	s_and_not1_saveexec_b32 s3, s3
; %bb.4129:
	v_mov_b32_e32 v7, 0x7f
	v_cmp_lt_u32_e32 vcc_lo, 0x7f800000, v8
	s_delay_alu instid0(VALU_DEP_2)
	v_cndmask_b32_e32 v7, 0x7e, v7, vcc_lo
; %bb.4130:
	s_or_b32 exec_lo, exec_lo, s3
	v_lshrrev_b32_e32 v6, 24, v6
	s_delay_alu instid0(VALU_DEP_1)
	v_and_or_b32 v6, 0x80, v6, v7
	global_store_b8 v[4:5], v6, off
.LBB143_4131:
	s_mov_b32 s3, 0
.LBB143_4132:
	s_delay_alu instid0(SALU_CYCLE_1)
	s_and_not1_b32 vcc_lo, exec_lo, s3
	s_cbranch_vccnz .LBB143_4142
; %bb.4133:
	s_wait_xcnt 0x0
	s_delay_alu instid0(VALU_DEP_3) | instskip(SKIP_1) | instid1(VALU_DEP_1)
	v_cvt_f32_f64_e32 v6, v[0:1]
	s_mov_b32 s3, exec_lo
                                        ; implicit-def: $vgpr7
	v_and_b32_e32 v8, 0x7fffffff, v6
	s_delay_alu instid0(VALU_DEP_1)
	v_cmpx_gt_u32_e32 0x47800000, v8
	s_xor_b32 s3, exec_lo, s3
	s_cbranch_execz .LBB143_4139
; %bb.4134:
	s_mov_b32 s14, exec_lo
                                        ; implicit-def: $vgpr7
	v_cmpx_lt_u32_e32 0x387fffff, v8
	s_xor_b32 s14, exec_lo, s14
; %bb.4135:
	v_bfe_u32 v7, v6, 21, 1
	s_delay_alu instid0(VALU_DEP_1) | instskip(NEXT) | instid1(VALU_DEP_1)
	v_add3_u32 v7, v6, v7, 0x80fffff
	v_lshrrev_b32_e32 v7, 21, v7
; %bb.4136:
	s_and_not1_saveexec_b32 s14, s14
; %bb.4137:
	v_add_f32_e64 v7, 0x43000000, |v6|
; %bb.4138:
	s_or_b32 exec_lo, exec_lo, s14
                                        ; implicit-def: $vgpr8
.LBB143_4139:
	s_and_not1_saveexec_b32 s3, s3
; %bb.4140:
	v_mov_b32_e32 v7, 0x7f
	v_cmp_lt_u32_e32 vcc_lo, 0x7f800000, v8
	s_delay_alu instid0(VALU_DEP_2)
	v_cndmask_b32_e32 v7, 0x7c, v7, vcc_lo
; %bb.4141:
	s_or_b32 exec_lo, exec_lo, s3
	v_lshrrev_b32_e32 v6, 24, v6
	s_delay_alu instid0(VALU_DEP_1)
	v_and_or_b32 v6, 0x80, v6, v7
	global_store_b8 v[4:5], v6, off
.LBB143_4142:
	s_mov_b32 s3, 0
	s_mov_b32 s14, -1
.LBB143_4143:
	s_and_not1_b32 vcc_lo, exec_lo, s3
	s_mov_b32 s3, 0
	s_cbranch_vccnz .LBB143_4150
; %bb.4144:
	s_cmp_gt_i32 s2, 14
	s_mov_b32 s3, -1
	s_cbranch_scc0 .LBB143_4148
; %bb.4145:
	s_cmp_eq_u32 s2, 15
	s_mov_b32 s0, -1
	s_cbranch_scc0 .LBB143_4147
; %bb.4146:
	s_wait_xcnt 0x0
	s_delay_alu instid0(VALU_DEP_3) | instskip(SKIP_2) | instid1(VALU_DEP_1)
	v_cvt_f32_f64_e32 v6, v[0:1]
	s_mov_b32 s0, 0
	s_mov_b32 s14, -1
	v_bfe_u32 v7, v6, 16, 1
	v_cmp_o_f32_e32 vcc_lo, v6, v6
	s_delay_alu instid0(VALU_DEP_2) | instskip(NEXT) | instid1(VALU_DEP_1)
	v_add3_u32 v7, v6, v7, 0x7fff
	v_lshrrev_b32_e32 v7, 16, v7
	s_delay_alu instid0(VALU_DEP_1)
	v_cndmask_b32_e32 v6, 0x7fc0, v7, vcc_lo
	global_store_b16 v[4:5], v6, off
.LBB143_4147:
	s_mov_b32 s3, 0
.LBB143_4148:
	s_delay_alu instid0(SALU_CYCLE_1)
	s_and_b32 vcc_lo, exec_lo, s3
	s_mov_b32 s3, 0
	s_cbranch_vccz .LBB143_4150
; %bb.4149:
	s_cmp_lg_u32 s2, 11
	s_mov_b32 s3, -1
	s_cselect_b32 s0, -1, 0
.LBB143_4150:
	s_delay_alu instid0(SALU_CYCLE_1)
	s_and_b32 vcc_lo, exec_lo, s0
	s_cbranch_vccnz .LBB143_4329
; %bb.4151:
	s_and_not1_b32 vcc_lo, exec_lo, s3
	s_cbranch_vccnz .LBB143_4153
.LBB143_4152:
	s_delay_alu instid0(VALU_DEP_3) | instskip(NEXT) | instid1(VALU_DEP_2)
	v_cmp_neq_f64_e32 vcc_lo, 0, v[0:1]
	v_cmp_neq_f64_e64 s0, 0, v[2:3]
	s_mov_b32 s14, -1
	s_or_b32 s0, vcc_lo, s0
	s_wait_xcnt 0x0
	v_cndmask_b32_e64 v6, 0, 1, s0
	global_store_b8 v[4:5], v6, off
.LBB143_4153:
	s_mov_b32 s0, 0
	s_branch .LBB143_4155
.LBB143_4154:
	s_mov_b32 s0, -1
	s_mov_b32 s14, 0
.LBB143_4155:
	s_and_b32 vcc_lo, exec_lo, s0
	s_cbranch_vccz .LBB143_4194
; %bb.4156:
	s_cmp_lt_i32 s2, 5
	s_mov_b32 s0, -1
	s_cbranch_scc1 .LBB143_4177
; %bb.4157:
	s_cmp_lt_i32 s2, 8
	s_cbranch_scc1 .LBB143_4167
; %bb.4158:
	s_cmp_lt_i32 s2, 9
	s_cbranch_scc1 .LBB143_4164
; %bb.4159:
	s_cmp_gt_i32 s2, 9
	s_cbranch_scc0 .LBB143_4161
; %bb.4160:
	s_mov_b32 s0, 0
	global_store_b128 v[4:5], v[0:3], off
.LBB143_4161:
	s_and_not1_b32 vcc_lo, exec_lo, s0
	s_cbranch_vccnz .LBB143_4163
; %bb.4162:
	s_wait_xcnt 0x0
	s_delay_alu instid0(VALU_DEP_3) | instskip(NEXT) | instid1(VALU_DEP_2)
	v_cvt_f32_f64_e32 v6, v[0:1]
	v_cvt_f32_f64_e32 v7, v[2:3]
	global_store_b64 v[4:5], v[6:7], off
.LBB143_4163:
	s_mov_b32 s0, 0
.LBB143_4164:
	s_delay_alu instid0(SALU_CYCLE_1)
	s_and_not1_b32 vcc_lo, exec_lo, s0
	s_cbranch_vccnz .LBB143_4166
; %bb.4165:
	s_wait_xcnt 0x0
	s_delay_alu instid0(VALU_DEP_3) | instskip(NEXT) | instid1(VALU_DEP_2)
	v_and_or_b32 v6, 0x1ff, v1, v0
	v_and_or_b32 v2, 0x1ff, v3, v2
	v_dual_lshrrev_b32 v7, 8, v1 :: v_dual_lshrrev_b32 v10, 8, v3
	v_bfe_u32 v8, v1, 20, 11
	s_delay_alu instid0(VALU_DEP_4) | instskip(SKIP_2) | instid1(VALU_DEP_4)
	v_cmp_ne_u32_e32 vcc_lo, 0, v6
	v_bfe_u32 v9, v3, 20, 11
	v_dual_lshrrev_b32 v16, 16, v1 :: v_dual_lshrrev_b32 v3, 16, v3
	v_sub_nc_u32_e32 v11, 0x3f1, v8
	v_cndmask_b32_e64 v6, 0, 1, vcc_lo
	v_cmp_ne_u32_e32 vcc_lo, 0, v2
	v_add_nc_u32_e32 v8, 0xfffffc10, v8
	s_delay_alu instid0(VALU_DEP_3) | instskip(SKIP_1) | instid1(VALU_DEP_1)
	v_and_or_b32 v6, 0xffe, v7, v6
	v_cndmask_b32_e64 v2, 0, 1, vcc_lo
	v_and_or_b32 v2, 0xffe, v10, v2
	v_med3_i32 v10, v11, 0, 13
	s_delay_alu instid0(VALU_DEP_4) | instskip(NEXT) | instid1(VALU_DEP_3)
	v_or_b32_e32 v11, 0x1000, v6
	v_or_b32_e32 v12, 0x1000, v2
	s_delay_alu instid0(VALU_DEP_2) | instskip(NEXT) | instid1(VALU_DEP_1)
	v_lshrrev_b32_e32 v13, v10, v11
	v_lshlrev_b32_e32 v10, v10, v13
	s_delay_alu instid0(VALU_DEP_1) | instskip(SKIP_2) | instid1(VALU_DEP_1)
	v_cmp_ne_u32_e32 vcc_lo, v10, v11
	v_lshl_or_b32 v11, v8, 12, v6
	v_cndmask_b32_e64 v10, 0, 1, vcc_lo
	v_or_b32_e32 v10, v13, v10
	v_sub_nc_u32_e32 v7, 0x3f1, v9
	v_add_nc_u32_e32 v9, 0xfffffc10, v9
	s_delay_alu instid0(VALU_DEP_2) | instskip(NEXT) | instid1(VALU_DEP_1)
	v_med3_i32 v7, v7, 0, 13
	v_lshrrev_b32_e32 v14, v7, v12
	s_delay_alu instid0(VALU_DEP_1) | instskip(NEXT) | instid1(VALU_DEP_1)
	v_lshlrev_b32_e32 v7, v7, v14
	v_cmp_ne_u32_e32 vcc_lo, v7, v12
	v_lshl_or_b32 v12, v9, 12, v2
	v_cndmask_b32_e64 v7, 0, 1, vcc_lo
	v_cmp_gt_i32_e32 vcc_lo, 1, v8
	s_delay_alu instid0(VALU_DEP_2) | instskip(SKIP_1) | instid1(VALU_DEP_2)
	v_dual_cndmask_b32 v10, v11, v10, vcc_lo :: v_dual_bitop2_b32 v7, v14, v7 bitop3:0x54
	v_cmp_gt_i32_e32 vcc_lo, 1, v9
	v_dual_lshrrev_b32 v10, 2, v10 :: v_dual_bitop2_b32 v11, 7, v10 bitop3:0x40
	s_delay_alu instid0(VALU_DEP_3) | instskip(NEXT) | instid1(VALU_DEP_1)
	v_cndmask_b32_e32 v7, v12, v7, vcc_lo
	v_dual_lshrrev_b32 v7, 2, v7 :: v_dual_bitop2_b32 v12, 7, v7 bitop3:0x40
	s_delay_alu instid0(VALU_DEP_3) | instskip(SKIP_1) | instid1(VALU_DEP_3)
	v_cmp_lt_i32_e32 vcc_lo, 5, v11
	v_cndmask_b32_e64 v14, 0, 1, vcc_lo
	v_cmp_lt_i32_e32 vcc_lo, 5, v12
	v_cndmask_b32_e64 v15, 0, 1, vcc_lo
	v_cmp_eq_u32_e32 vcc_lo, 3, v12
	v_cndmask_b32_e64 v12, 0, 1, vcc_lo
	v_cmp_eq_u32_e32 vcc_lo, 3, v11
	s_delay_alu instid0(VALU_DEP_2) | instskip(SKIP_2) | instid1(VALU_DEP_3)
	v_or_b32_e32 v12, v12, v15
	v_cndmask_b32_e64 v11, 0, 1, vcc_lo
	v_cmp_ne_u32_e32 vcc_lo, 0, v6
	v_add_nc_u32_e32 v7, v7, v12
	s_delay_alu instid0(VALU_DEP_3) | instskip(NEXT) | instid1(VALU_DEP_1)
	v_or_b32_e32 v11, v11, v14
	v_dual_mov_b32 v13, 0x7e00 :: v_dual_add_nc_u32 v10, v10, v11
	s_delay_alu instid0(VALU_DEP_1)
	v_cndmask_b32_e32 v6, 0x7c00, v13, vcc_lo
	v_cmp_ne_u32_e32 vcc_lo, 0, v2
	v_and_b32_e32 v11, 0x8000, v16
	v_cndmask_b32_e32 v2, 0x7c00, v13, vcc_lo
	v_cmp_gt_i32_e32 vcc_lo, 31, v9
	v_cndmask_b32_e32 v7, 0x7c00, v7, vcc_lo
	v_cmp_gt_i32_e32 vcc_lo, 31, v8
	v_cndmask_b32_e32 v10, 0x7c00, v10, vcc_lo
	v_cmp_eq_u32_e32 vcc_lo, 0x40f, v9
	s_delay_alu instid0(VALU_DEP_4) | instskip(SKIP_1) | instid1(VALU_DEP_2)
	v_cndmask_b32_e32 v2, v7, v2, vcc_lo
	v_cmp_eq_u32_e32 vcc_lo, 0x40f, v8
	v_and_or_b32 v2, 0x8000, v3, v2
	v_cndmask_b32_e32 v6, v10, v6, vcc_lo
	s_delay_alu instid0(VALU_DEP_1) | instskip(NEXT) | instid1(VALU_DEP_1)
	v_bitop3_b32 v3, v11, 0xffff, v6 bitop3:0xc8
	v_lshl_or_b32 v2, v2, 16, v3
	global_store_b32 v[4:5], v2, off
.LBB143_4166:
	s_mov_b32 s0, 0
.LBB143_4167:
	s_delay_alu instid0(SALU_CYCLE_1)
	s_and_not1_b32 vcc_lo, exec_lo, s0
	s_cbranch_vccnz .LBB143_4176
; %bb.4168:
	s_cmp_lt_i32 s2, 6
	s_mov_b32 s0, -1
	s_cbranch_scc1 .LBB143_4174
; %bb.4169:
	s_cmp_gt_i32 s2, 6
	s_cbranch_scc0 .LBB143_4171
; %bb.4170:
	s_mov_b32 s0, 0
	global_store_b64 v[4:5], v[0:1], off
.LBB143_4171:
	s_and_not1_b32 vcc_lo, exec_lo, s0
	s_cbranch_vccnz .LBB143_4173
; %bb.4172:
	s_wait_xcnt 0x0
	s_delay_alu instid0(VALU_DEP_3)
	v_cvt_f32_f64_e32 v2, v[0:1]
	global_store_b32 v[4:5], v2, off
.LBB143_4173:
	s_mov_b32 s0, 0
.LBB143_4174:
	s_delay_alu instid0(SALU_CYCLE_1)
	s_and_not1_b32 vcc_lo, exec_lo, s0
	s_cbranch_vccnz .LBB143_4176
; %bb.4175:
	s_wait_xcnt 0x0
	s_delay_alu instid0(VALU_DEP_3) | instskip(SKIP_2) | instid1(VALU_DEP_3)
	v_and_or_b32 v2, 0x1ff, v1, v0
	v_lshrrev_b32_e32 v3, 8, v1
	v_bfe_u32 v6, v1, 20, 11
	v_cmp_ne_u32_e32 vcc_lo, 0, v2
	s_delay_alu instid0(VALU_DEP_2) | instskip(SKIP_1) | instid1(VALU_DEP_1)
	v_sub_nc_u32_e32 v7, 0x3f1, v6
	v_cndmask_b32_e64 v2, 0, 1, vcc_lo
	v_and_or_b32 v2, 0xffe, v3, v2
	s_delay_alu instid0(VALU_DEP_3) | instskip(NEXT) | instid1(VALU_DEP_2)
	v_med3_i32 v3, v7, 0, 13
	v_or_b32_e32 v7, 0x1000, v2
	s_delay_alu instid0(VALU_DEP_1) | instskip(NEXT) | instid1(VALU_DEP_1)
	v_lshrrev_b32_e32 v8, v3, v7
	v_lshlrev_b32_e32 v3, v3, v8
	s_delay_alu instid0(VALU_DEP_1) | instskip(SKIP_1) | instid1(VALU_DEP_1)
	v_cmp_ne_u32_e32 vcc_lo, v3, v7
	v_cndmask_b32_e64 v3, 0, 1, vcc_lo
	v_or_b32_e32 v3, v8, v3
	v_add_nc_u32_e32 v6, 0xfffffc10, v6
	s_delay_alu instid0(VALU_DEP_1) | instskip(SKIP_1) | instid1(VALU_DEP_2)
	v_lshl_or_b32 v7, v6, 12, v2
	v_cmp_gt_i32_e32 vcc_lo, 1, v6
	v_cndmask_b32_e32 v3, v7, v3, vcc_lo
	s_delay_alu instid0(VALU_DEP_1) | instskip(NEXT) | instid1(VALU_DEP_1)
	v_dual_lshrrev_b32 v3, 2, v3 :: v_dual_bitop2_b32 v7, 7, v3 bitop3:0x40
	v_cmp_lt_i32_e32 vcc_lo, 5, v7
	v_cndmask_b32_e64 v8, 0, 1, vcc_lo
	v_cmp_eq_u32_e32 vcc_lo, 3, v7
	v_cndmask_b32_e64 v7, 0, 1, vcc_lo
	v_cmp_ne_u32_e32 vcc_lo, 0, v2
	s_delay_alu instid0(VALU_DEP_2) | instskip(NEXT) | instid1(VALU_DEP_1)
	v_or_b32_e32 v7, v7, v8
	v_dual_mov_b32 v8, 0x7e00 :: v_dual_add_nc_u32 v3, v3, v7
	s_delay_alu instid0(VALU_DEP_1) | instskip(SKIP_1) | instid1(VALU_DEP_3)
	v_cndmask_b32_e32 v2, 0x7c00, v8, vcc_lo
	v_cmp_gt_i32_e32 vcc_lo, 31, v6
	v_cndmask_b32_e32 v3, 0x7c00, v3, vcc_lo
	v_cmp_eq_u32_e32 vcc_lo, 0x40f, v6
	s_delay_alu instid0(VALU_DEP_2) | instskip(NEXT) | instid1(VALU_DEP_1)
	v_dual_cndmask_b32 v2, v3, v2 :: v_dual_lshrrev_b32 v3, 16, v1
	v_and_or_b32 v2, 0x8000, v3, v2
	global_store_b16 v[4:5], v2, off
.LBB143_4176:
	s_mov_b32 s0, 0
.LBB143_4177:
	s_delay_alu instid0(SALU_CYCLE_1)
	s_and_not1_b32 vcc_lo, exec_lo, s0
	s_cbranch_vccnz .LBB143_4193
; %bb.4178:
	s_cmp_lt_i32 s2, 2
	s_mov_b32 s0, -1
	s_cbranch_scc1 .LBB143_4188
; %bb.4179:
	s_cmp_lt_i32 s2, 3
	s_cbranch_scc1 .LBB143_4185
; %bb.4180:
	s_cmp_gt_i32 s2, 3
	s_cbranch_scc0 .LBB143_4182
; %bb.4181:
	s_wait_xcnt 0x0
	s_delay_alu instid0(VALU_DEP_3) | instskip(SKIP_1) | instid1(VALU_DEP_1)
	v_trunc_f64_e32 v[2:3], v[0:1]
	s_mov_b32 s0, 0
	v_ldexp_f64 v[6:7], v[2:3], 0xffffffe0
	s_delay_alu instid0(VALU_DEP_1) | instskip(NEXT) | instid1(VALU_DEP_1)
	v_floor_f64_e32 v[6:7], v[6:7]
	v_fmamk_f64 v[2:3], v[6:7], 0xc1f00000, v[2:3]
	v_cvt_i32_f64_e32 v7, v[6:7]
	s_delay_alu instid0(VALU_DEP_2)
	v_cvt_u32_f64_e32 v6, v[2:3]
	global_store_b64 v[4:5], v[6:7], off
.LBB143_4182:
	s_and_not1_b32 vcc_lo, exec_lo, s0
	s_cbranch_vccnz .LBB143_4184
; %bb.4183:
	s_wait_xcnt 0x0
	s_delay_alu instid0(VALU_DEP_3)
	v_cvt_i32_f64_e32 v2, v[0:1]
	global_store_b32 v[4:5], v2, off
.LBB143_4184:
	s_mov_b32 s0, 0
.LBB143_4185:
	s_delay_alu instid0(SALU_CYCLE_1)
	s_and_not1_b32 vcc_lo, exec_lo, s0
	s_cbranch_vccnz .LBB143_4187
; %bb.4186:
	s_wait_xcnt 0x0
	s_delay_alu instid0(VALU_DEP_3)
	v_cvt_i32_f64_e32 v2, v[0:1]
	global_store_b16 v[4:5], v2, off
.LBB143_4187:
	s_mov_b32 s0, 0
.LBB143_4188:
	s_delay_alu instid0(SALU_CYCLE_1)
	s_and_not1_b32 vcc_lo, exec_lo, s0
	s_cbranch_vccnz .LBB143_4193
; %bb.4189:
	s_cmp_gt_i32 s2, 0
	s_mov_b32 s0, -1
	s_cbranch_scc0 .LBB143_4191
; %bb.4190:
	s_wait_xcnt 0x0
	s_delay_alu instid0(VALU_DEP_3)
	v_cvt_i32_f64_e32 v2, v[0:1]
	s_mov_b32 s0, 0
	global_store_b8 v[4:5], v2, off
.LBB143_4191:
	s_and_not1_b32 vcc_lo, exec_lo, s0
	s_cbranch_vccnz .LBB143_4193
; %bb.4192:
	s_wait_xcnt 0x0
	s_delay_alu instid0(VALU_DEP_3) | instskip(NEXT) | instid1(VALU_DEP_1)
	v_trunc_f64_e32 v[0:1], v[0:1]
	v_ldexp_f64 v[2:3], v[0:1], 0xffffffe0
	s_delay_alu instid0(VALU_DEP_1) | instskip(NEXT) | instid1(VALU_DEP_1)
	v_floor_f64_e32 v[2:3], v[2:3]
	v_fmamk_f64 v[0:1], v[2:3], 0xc1f00000, v[0:1]
	s_delay_alu instid0(VALU_DEP_1)
	v_cvt_u32_f64_e32 v0, v[0:1]
	global_store_b8 v[4:5], v0, off
.LBB143_4193:
	s_mov_b32 s14, -1
.LBB143_4194:
	s_delay_alu instid0(SALU_CYCLE_1)
	s_and_not1_b32 vcc_lo, exec_lo, s14
	s_cbranch_vccnz .LBB143_4271
; %bb.4195:
	s_wait_xcnt 0x0
	v_dual_mul_f64 v[0:1], s[8:9], v[42:43] :: v_dual_mov_b32 v49, 0
	v_mul_f64_e32 v[2:3], s[10:11], v[42:43]
	v_mul_f64_e32 v[4:5], s[6:7], v[34:35]
	;; [unrolled: 1-line block ×3, first 2 shown]
	s_cmp_lt_i32 s2, 11
	s_delay_alu instid0(VALU_DEP_4) | instskip(NEXT) | instid1(VALU_DEP_4)
	v_fmac_f64_e32 v[0:1], s[10:11], v[40:41]
	v_fma_f64 v[2:3], s[8:9], v[40:41], -v[2:3]
	s_delay_alu instid0(VALU_DEP_4) | instskip(NEXT) | instid1(VALU_DEP_4)
	v_fma_f64 v[4:5], s[4:5], v[32:33], -v[4:5]
	v_fmac_f64_e32 v[6:7], s[6:7], v[32:33]
	s_delay_alu instid0(VALU_DEP_4) | instskip(NEXT) | instid1(VALU_DEP_4)
	v_mul_f64_e32 v[8:9], v[0:1], v[46:47]
	v_mul_f64_e32 v[10:11], v[2:3], v[46:47]
	s_delay_alu instid0(VALU_DEP_2) | instskip(NEXT) | instid1(VALU_DEP_2)
	v_fma_f64 v[2:3], v[2:3], v[44:45], -v[8:9]
	v_fmac_f64_e32 v[10:11], v[0:1], v[44:45]
	s_delay_alu instid0(VALU_DEP_2) | instskip(SKIP_1) | instid1(VALU_DEP_3)
	v_add_f64_e32 v[0:1], v[4:5], v[2:3]
	v_add_nc_u64_e32 v[4:5], s[12:13], v[48:49]
	v_add_f64_e32 v[2:3], v[6:7], v[10:11]
	s_cbranch_scc1 .LBB143_4316
; %bb.4196:
	s_mov_b32 s4, -1
	s_mov_b32 s3, 0
	s_cmp_gt_i32 s2, 25
	s_mov_b32 s0, 0
	s_cbranch_scc0 .LBB143_4229
; %bb.4197:
	s_cmp_gt_i32 s2, 28
	s_cbranch_scc0 .LBB143_4213
; %bb.4198:
	s_cmp_gt_i32 s2, 43
	s_cbranch_scc0 .LBB143_4209
; %bb.4199:
	s_cmp_gt_i32 s2, 45
	s_cbranch_scc0 .LBB143_4203
; %bb.4200:
	s_cmp_eq_u32 s2, 46
	s_mov_b32 s0, -1
	s_cbranch_scc0 .LBB143_4202
; %bb.4201:
	s_delay_alu instid0(VALU_DEP_1) | instskip(NEXT) | instid1(VALU_DEP_4)
	v_cvt_f32_f64_e32 v6, v[2:3]
	v_cvt_f32_f64_e32 v7, v[0:1]
	s_mov_b32 s0, 0
	s_delay_alu instid0(VALU_DEP_2) | instskip(NEXT) | instid1(VALU_DEP_2)
	v_bfe_u32 v8, v6, 16, 1
	v_bfe_u32 v9, v7, 16, 1
	v_cmp_o_f32_e32 vcc_lo, v6, v6
	s_delay_alu instid0(VALU_DEP_3) | instskip(NEXT) | instid1(VALU_DEP_3)
	v_add3_u32 v8, v6, v8, 0x7fff
	v_add3_u32 v9, v7, v9, 0x7fff
	s_delay_alu instid0(VALU_DEP_2) | instskip(NEXT) | instid1(VALU_DEP_1)
	v_and_b32_e32 v8, 0xffff0000, v8
	v_dual_cndmask_b32 v6, 0x7fc00000, v8 :: v_dual_lshrrev_b32 v9, 16, v9
	v_cmp_o_f32_e32 vcc_lo, v7, v7
	s_delay_alu instid0(VALU_DEP_2) | instskip(NEXT) | instid1(VALU_DEP_1)
	v_cndmask_b32_e32 v7, 0x7fc0, v9, vcc_lo
	v_or_b32_e32 v6, v6, v7
	global_store_b32 v[4:5], v6, off
.LBB143_4202:
	s_mov_b32 s4, 0
.LBB143_4203:
	s_delay_alu instid0(SALU_CYCLE_1)
	s_and_b32 vcc_lo, exec_lo, s4
	s_cbranch_vccz .LBB143_4208
; %bb.4204:
	s_cmp_eq_u32 s2, 44
	s_mov_b32 s0, -1
	s_cbranch_scc0 .LBB143_4208
; %bb.4205:
	s_wait_xcnt 0x0
	s_delay_alu instid0(VALU_DEP_3) | instskip(SKIP_2) | instid1(VALU_DEP_2)
	v_cvt_f32_f64_e32 v6, v[0:1]
	v_mov_b32_e32 v7, 0xff
	s_mov_b32 s4, exec_lo
	v_bfe_u32 v8, v6, 23, 8
	s_delay_alu instid0(VALU_DEP_1)
	v_cmpx_ne_u32_e32 0xff, v8
	s_cbranch_execz .LBB143_4207
; %bb.4206:
	v_and_b32_e32 v7, 0x400000, v6
	v_and_or_b32 v8, 0x3fffff, v6, v8
	v_lshrrev_b32_e32 v6, 23, v6
	s_delay_alu instid0(VALU_DEP_3) | instskip(NEXT) | instid1(VALU_DEP_3)
	v_cmp_ne_u32_e32 vcc_lo, 0, v7
	v_cmp_ne_u32_e64 s0, 0, v8
	s_and_b32 s0, vcc_lo, s0
	s_delay_alu instid0(SALU_CYCLE_1) | instskip(NEXT) | instid1(VALU_DEP_1)
	v_cndmask_b32_e64 v7, 0, 1, s0
	v_add_nc_u32_e32 v7, v6, v7
.LBB143_4207:
	s_or_b32 exec_lo, exec_lo, s4
	s_mov_b32 s0, 0
	global_store_b8 v[4:5], v7, off
.LBB143_4208:
	s_mov_b32 s4, 0
.LBB143_4209:
	s_delay_alu instid0(SALU_CYCLE_1)
	s_and_b32 vcc_lo, exec_lo, s4
	s_cbranch_vccz .LBB143_4212
; %bb.4210:
	s_cmp_eq_u32 s2, 29
	s_mov_b32 s0, -1
	s_cbranch_scc0 .LBB143_4212
; %bb.4211:
	s_wait_xcnt 0x0
	s_delay_alu instid0(VALU_DEP_3) | instskip(SKIP_1) | instid1(VALU_DEP_1)
	v_trunc_f64_e32 v[6:7], v[0:1]
	s_mov_b32 s0, 0
	v_ldexp_f64 v[8:9], v[6:7], 0xffffffe0
	s_delay_alu instid0(VALU_DEP_1) | instskip(NEXT) | instid1(VALU_DEP_1)
	v_floor_f64_e32 v[8:9], v[8:9]
	v_fmamk_f64 v[6:7], v[8:9], 0xc1f00000, v[6:7]
	v_cvt_u32_f64_e32 v9, v[8:9]
	s_delay_alu instid0(VALU_DEP_2)
	v_cvt_u32_f64_e32 v8, v[6:7]
	global_store_b64 v[4:5], v[8:9], off
.LBB143_4212:
	s_mov_b32 s4, 0
.LBB143_4213:
	s_delay_alu instid0(SALU_CYCLE_1)
	s_and_b32 vcc_lo, exec_lo, s4
	s_cbranch_vccz .LBB143_4228
; %bb.4214:
	s_cmp_lt_i32 s2, 27
	s_mov_b32 s4, -1
	s_cbranch_scc1 .LBB143_4220
; %bb.4215:
	s_wait_xcnt 0x0
	s_delay_alu instid0(VALU_DEP_3)
	v_cvt_u32_f64_e32 v6, v[0:1]
	s_cmp_gt_i32 s2, 27
	s_cbranch_scc0 .LBB143_4217
; %bb.4216:
	s_mov_b32 s4, 0
	global_store_b32 v[4:5], v6, off
.LBB143_4217:
	s_and_not1_b32 vcc_lo, exec_lo, s4
	s_cbranch_vccnz .LBB143_4219
; %bb.4218:
	global_store_b16 v[4:5], v6, off
.LBB143_4219:
	s_mov_b32 s4, 0
.LBB143_4220:
	s_delay_alu instid0(SALU_CYCLE_1)
	s_and_not1_b32 vcc_lo, exec_lo, s4
	s_cbranch_vccnz .LBB143_4228
; %bb.4221:
	s_wait_xcnt 0x0
	s_delay_alu instid0(VALU_DEP_3) | instskip(SKIP_2) | instid1(VALU_DEP_2)
	v_cvt_f32_f64_e32 v6, v[0:1]
	v_mov_b32_e32 v8, 0x80
	s_mov_b32 s4, exec_lo
	v_and_b32_e32 v7, 0x7fffffff, v6
	s_delay_alu instid0(VALU_DEP_1)
	v_cmpx_gt_u32_e32 0x43800000, v7
	s_cbranch_execz .LBB143_4227
; %bb.4222:
	v_cmp_lt_u32_e32 vcc_lo, 0x3bffffff, v7
	s_mov_b32 s5, 0
                                        ; implicit-def: $vgpr7
	s_and_saveexec_b32 s6, vcc_lo
	s_delay_alu instid0(SALU_CYCLE_1)
	s_xor_b32 s6, exec_lo, s6
	s_cbranch_execnz .LBB143_4337
; %bb.4223:
	s_and_not1_saveexec_b32 s6, s6
	s_cbranch_execnz .LBB143_4338
.LBB143_4224:
	s_or_b32 exec_lo, exec_lo, s6
	v_mov_b32_e32 v8, 0
	s_and_saveexec_b32 s6, s5
.LBB143_4225:
	v_lshrrev_b32_e32 v6, 24, v6
	s_delay_alu instid0(VALU_DEP_1)
	v_and_or_b32 v8, 0x80, v6, v7
.LBB143_4226:
	s_or_b32 exec_lo, exec_lo, s6
.LBB143_4227:
	s_delay_alu instid0(SALU_CYCLE_1)
	s_or_b32 exec_lo, exec_lo, s4
	global_store_b8 v[4:5], v8, off
.LBB143_4228:
	s_mov_b32 s4, 0
.LBB143_4229:
	s_delay_alu instid0(SALU_CYCLE_1)
	s_and_b32 vcc_lo, exec_lo, s4
	s_cbranch_vccz .LBB143_4269
; %bb.4230:
	s_cmp_gt_i32 s2, 22
	s_mov_b32 s3, -1
	s_cbranch_scc0 .LBB143_4262
; %bb.4231:
	s_cmp_lt_i32 s2, 24
	s_cbranch_scc1 .LBB143_4251
; %bb.4232:
	s_cmp_gt_i32 s2, 24
	s_cbranch_scc0 .LBB143_4240
; %bb.4233:
	s_wait_xcnt 0x0
	s_delay_alu instid0(VALU_DEP_3) | instskip(SKIP_2) | instid1(VALU_DEP_2)
	v_cvt_f32_f64_e32 v6, v[0:1]
	v_mov_b32_e32 v8, 0x80
	s_mov_b32 s3, exec_lo
	v_and_b32_e32 v7, 0x7fffffff, v6
	s_delay_alu instid0(VALU_DEP_1)
	v_cmpx_gt_u32_e32 0x47800000, v7
	s_cbranch_execz .LBB143_4239
; %bb.4234:
	v_cmp_lt_u32_e32 vcc_lo, 0x37ffffff, v7
	s_mov_b32 s4, 0
                                        ; implicit-def: $vgpr7
	s_and_saveexec_b32 s5, vcc_lo
	s_delay_alu instid0(SALU_CYCLE_1)
	s_xor_b32 s5, exec_lo, s5
	s_cbranch_execnz .LBB143_4339
; %bb.4235:
	s_and_not1_saveexec_b32 s5, s5
	s_cbranch_execnz .LBB143_4340
.LBB143_4236:
	s_or_b32 exec_lo, exec_lo, s5
	v_mov_b32_e32 v8, 0
	s_and_saveexec_b32 s5, s4
.LBB143_4237:
	v_lshrrev_b32_e32 v6, 24, v6
	s_delay_alu instid0(VALU_DEP_1)
	v_and_or_b32 v8, 0x80, v6, v7
.LBB143_4238:
	s_or_b32 exec_lo, exec_lo, s5
.LBB143_4239:
	s_delay_alu instid0(SALU_CYCLE_1)
	s_or_b32 exec_lo, exec_lo, s3
	s_mov_b32 s3, 0
	global_store_b8 v[4:5], v8, off
.LBB143_4240:
	s_and_b32 vcc_lo, exec_lo, s3
	s_cbranch_vccz .LBB143_4250
; %bb.4241:
	s_wait_xcnt 0x0
	s_delay_alu instid0(VALU_DEP_3) | instskip(SKIP_1) | instid1(VALU_DEP_1)
	v_cvt_f32_f64_e32 v6, v[0:1]
	s_mov_b32 s3, exec_lo
                                        ; implicit-def: $vgpr7
	v_and_b32_e32 v8, 0x7fffffff, v6
	s_delay_alu instid0(VALU_DEP_1)
	v_cmpx_gt_u32_e32 0x43f00000, v8
	s_xor_b32 s3, exec_lo, s3
	s_cbranch_execz .LBB143_4247
; %bb.4242:
	s_mov_b32 s4, exec_lo
                                        ; implicit-def: $vgpr7
	v_cmpx_lt_u32_e32 0x3c7fffff, v8
	s_xor_b32 s4, exec_lo, s4
; %bb.4243:
	v_bfe_u32 v7, v6, 20, 1
	s_delay_alu instid0(VALU_DEP_1) | instskip(NEXT) | instid1(VALU_DEP_1)
	v_add3_u32 v7, v6, v7, 0x407ffff
	v_and_b32_e32 v8, 0xff00000, v7
	v_lshrrev_b32_e32 v7, 20, v7
	s_delay_alu instid0(VALU_DEP_2) | instskip(NEXT) | instid1(VALU_DEP_2)
	v_cmp_ne_u32_e32 vcc_lo, 0x7f00000, v8
	v_cndmask_b32_e32 v7, 0x7e, v7, vcc_lo
; %bb.4244:
	s_and_not1_saveexec_b32 s4, s4
; %bb.4245:
	v_add_f32_e64 v7, 0x46800000, |v6|
; %bb.4246:
	s_or_b32 exec_lo, exec_lo, s4
                                        ; implicit-def: $vgpr8
.LBB143_4247:
	s_and_not1_saveexec_b32 s3, s3
; %bb.4248:
	v_mov_b32_e32 v7, 0x7f
	v_cmp_lt_u32_e32 vcc_lo, 0x7f800000, v8
	s_delay_alu instid0(VALU_DEP_2)
	v_cndmask_b32_e32 v7, 0x7e, v7, vcc_lo
; %bb.4249:
	s_or_b32 exec_lo, exec_lo, s3
	v_lshrrev_b32_e32 v6, 24, v6
	s_delay_alu instid0(VALU_DEP_1)
	v_and_or_b32 v6, 0x80, v6, v7
	global_store_b8 v[4:5], v6, off
.LBB143_4250:
	s_mov_b32 s3, 0
.LBB143_4251:
	s_delay_alu instid0(SALU_CYCLE_1)
	s_and_not1_b32 vcc_lo, exec_lo, s3
	s_cbranch_vccnz .LBB143_4261
; %bb.4252:
	s_wait_xcnt 0x0
	s_delay_alu instid0(VALU_DEP_3) | instskip(SKIP_1) | instid1(VALU_DEP_1)
	v_cvt_f32_f64_e32 v6, v[0:1]
	s_mov_b32 s3, exec_lo
                                        ; implicit-def: $vgpr7
	v_and_b32_e32 v8, 0x7fffffff, v6
	s_delay_alu instid0(VALU_DEP_1)
	v_cmpx_gt_u32_e32 0x47800000, v8
	s_xor_b32 s3, exec_lo, s3
	s_cbranch_execz .LBB143_4258
; %bb.4253:
	s_mov_b32 s4, exec_lo
                                        ; implicit-def: $vgpr7
	v_cmpx_lt_u32_e32 0x387fffff, v8
	s_xor_b32 s4, exec_lo, s4
; %bb.4254:
	v_bfe_u32 v7, v6, 21, 1
	s_delay_alu instid0(VALU_DEP_1) | instskip(NEXT) | instid1(VALU_DEP_1)
	v_add3_u32 v7, v6, v7, 0x80fffff
	v_lshrrev_b32_e32 v7, 21, v7
; %bb.4255:
	s_and_not1_saveexec_b32 s4, s4
; %bb.4256:
	v_add_f32_e64 v7, 0x43000000, |v6|
; %bb.4257:
	s_or_b32 exec_lo, exec_lo, s4
                                        ; implicit-def: $vgpr8
.LBB143_4258:
	s_and_not1_saveexec_b32 s3, s3
; %bb.4259:
	v_mov_b32_e32 v7, 0x7f
	v_cmp_lt_u32_e32 vcc_lo, 0x7f800000, v8
	s_delay_alu instid0(VALU_DEP_2)
	v_cndmask_b32_e32 v7, 0x7c, v7, vcc_lo
; %bb.4260:
	s_or_b32 exec_lo, exec_lo, s3
	v_lshrrev_b32_e32 v6, 24, v6
	s_delay_alu instid0(VALU_DEP_1)
	v_and_or_b32 v6, 0x80, v6, v7
	global_store_b8 v[4:5], v6, off
.LBB143_4261:
	s_mov_b32 s3, 0
.LBB143_4262:
	s_delay_alu instid0(SALU_CYCLE_1)
	s_and_not1_b32 vcc_lo, exec_lo, s3
	s_mov_b32 s3, 0
	s_cbranch_vccnz .LBB143_4269
; %bb.4263:
	s_cmp_gt_i32 s2, 14
	s_mov_b32 s3, -1
	s_cbranch_scc0 .LBB143_4267
; %bb.4264:
	s_cmp_eq_u32 s2, 15
	s_mov_b32 s0, -1
	s_cbranch_scc0 .LBB143_4266
; %bb.4265:
	s_wait_xcnt 0x0
	s_delay_alu instid0(VALU_DEP_3) | instskip(SKIP_1) | instid1(VALU_DEP_1)
	v_cvt_f32_f64_e32 v6, v[0:1]
	s_mov_b32 s0, 0
	v_bfe_u32 v7, v6, 16, 1
	v_cmp_o_f32_e32 vcc_lo, v6, v6
	s_delay_alu instid0(VALU_DEP_2) | instskip(NEXT) | instid1(VALU_DEP_1)
	v_add3_u32 v7, v6, v7, 0x7fff
	v_lshrrev_b32_e32 v7, 16, v7
	s_delay_alu instid0(VALU_DEP_1)
	v_cndmask_b32_e32 v6, 0x7fc0, v7, vcc_lo
	global_store_b16 v[4:5], v6, off
.LBB143_4266:
	s_mov_b32 s3, 0
.LBB143_4267:
	s_delay_alu instid0(SALU_CYCLE_1)
	s_and_b32 vcc_lo, exec_lo, s3
	s_mov_b32 s3, 0
	s_cbranch_vccz .LBB143_4269
; %bb.4268:
	s_cmp_lg_u32 s2, 11
	s_mov_b32 s3, -1
	s_cselect_b32 s0, -1, 0
.LBB143_4269:
	s_delay_alu instid0(SALU_CYCLE_1)
	s_and_b32 vcc_lo, exec_lo, s0
	s_cbranch_vccnz .LBB143_4334
.LBB143_4270:
	s_mov_b32 s0, 0
	s_branch .LBB143_4272
.LBB143_4271:
	s_mov_b32 s0, 0
	s_wait_xcnt 0x0
	s_mov_b32 s3, 0
                                        ; implicit-def: $vgpr4_vgpr5
                                        ; implicit-def: $sgpr1
                                        ; implicit-def: $vgpr2_vgpr3
.LBB143_4272:
	s_and_b32 s4, s0, exec_lo
	s_and_not1_b32 s0, s16, exec_lo
	s_and_b32 s2, s18, exec_lo
	s_and_b32 s43, s3, exec_lo
	s_or_b32 s16, s0, s2
.LBB143_4273:
	s_wait_xcnt 0x0
	s_or_b32 exec_lo, exec_lo, s17
	s_and_saveexec_b32 s0, s16
	s_cbranch_execnz .LBB143_4277
; %bb.4274:
	s_or_b32 exec_lo, exec_lo, s0
	s_and_saveexec_b32 s0, s43
	s_delay_alu instid0(SALU_CYCLE_1)
	s_xor_b32 s2, exec_lo, s0
	s_cbranch_execnz .LBB143_4278
.LBB143_4275:
	s_or_b32 exec_lo, exec_lo, s2
	s_and_saveexec_b32 s0, s4
	s_cbranch_execnz .LBB143_4279
.LBB143_4276:
	s_endpgm
.LBB143_4277:
	; divergent unreachable
	s_or_b32 exec_lo, exec_lo, s0
	s_and_saveexec_b32 s0, s43
	s_delay_alu instid0(SALU_CYCLE_1)
	s_xor_b32 s2, exec_lo, s0
	s_cbranch_execz .LBB143_4275
.LBB143_4278:
	s_wait_loadcnt 0x0
	s_delay_alu instid0(VALU_DEP_1) | instskip(NEXT) | instid1(VALU_DEP_2)
	v_cmp_neq_f64_e32 vcc_lo, 0, v[0:1]
	v_cmp_neq_f64_e64 s0, 0, v[2:3]
	s_or_b32 s0, vcc_lo, s0
	s_delay_alu instid0(SALU_CYCLE_1)
	v_cndmask_b32_e64 v6, 0, 1, s0
	global_store_b8 v[4:5], v6, off
	s_wait_xcnt 0x0
	s_or_b32 exec_lo, exec_lo, s2
	s_and_saveexec_b32 s0, s4
	s_cbranch_execz .LBB143_4276
.LBB143_4279:
	s_sext_i32_i16 s2, s1
	s_mov_b32 s0, -1
	s_cmp_lt_i32 s2, 5
	s_cbranch_scc1 .LBB143_4300
; %bb.4280:
	s_cmp_lt_i32 s2, 8
	s_cbranch_scc1 .LBB143_4290
; %bb.4281:
	;; [unrolled: 3-line block ×3, first 2 shown]
	s_cmp_gt_i32 s2, 9
	s_cbranch_scc0 .LBB143_4284
; %bb.4283:
	s_mov_b32 s0, 0
	s_wait_loadcnt 0x0
	global_store_b128 v[4:5], v[0:3], off
.LBB143_4284:
	s_and_not1_b32 vcc_lo, exec_lo, s0
	s_cbranch_vccnz .LBB143_4286
; %bb.4285:
	s_wait_loadcnt 0x0
	v_cvt_f32_f64_e32 v6, v[0:1]
	v_cvt_f32_f64_e32 v7, v[2:3]
	global_store_b64 v[4:5], v[6:7], off
.LBB143_4286:
	s_mov_b32 s0, 0
.LBB143_4287:
	s_delay_alu instid0(SALU_CYCLE_1)
	s_and_not1_b32 vcc_lo, exec_lo, s0
	s_cbranch_vccnz .LBB143_4289
; %bb.4288:
	s_wait_loadcnt 0x0
	v_and_or_b32 v6, 0x1ff, v1, v0
	v_and_or_b32 v2, 0x1ff, v3, v2
	v_dual_lshrrev_b32 v7, 8, v1 :: v_dual_lshrrev_b32 v10, 8, v3
	v_bfe_u32 v8, v1, 20, 11
	s_delay_alu instid0(VALU_DEP_4) | instskip(SKIP_2) | instid1(VALU_DEP_4)
	v_cmp_ne_u32_e32 vcc_lo, 0, v6
	v_bfe_u32 v9, v3, 20, 11
	v_dual_lshrrev_b32 v16, 16, v1 :: v_dual_lshrrev_b32 v3, 16, v3
	v_sub_nc_u32_e32 v11, 0x3f1, v8
	v_cndmask_b32_e64 v6, 0, 1, vcc_lo
	v_cmp_ne_u32_e32 vcc_lo, 0, v2
	v_add_nc_u32_e32 v8, 0xfffffc10, v8
	s_delay_alu instid0(VALU_DEP_3) | instskip(SKIP_1) | instid1(VALU_DEP_1)
	v_and_or_b32 v6, 0xffe, v7, v6
	v_cndmask_b32_e64 v2, 0, 1, vcc_lo
	v_and_or_b32 v2, 0xffe, v10, v2
	v_med3_i32 v10, v11, 0, 13
	s_delay_alu instid0(VALU_DEP_4) | instskip(NEXT) | instid1(VALU_DEP_3)
	v_or_b32_e32 v11, 0x1000, v6
	v_or_b32_e32 v12, 0x1000, v2
	s_delay_alu instid0(VALU_DEP_2) | instskip(NEXT) | instid1(VALU_DEP_1)
	v_lshrrev_b32_e32 v13, v10, v11
	v_lshlrev_b32_e32 v10, v10, v13
	s_delay_alu instid0(VALU_DEP_1) | instskip(SKIP_2) | instid1(VALU_DEP_1)
	v_cmp_ne_u32_e32 vcc_lo, v10, v11
	v_lshl_or_b32 v11, v8, 12, v6
	v_cndmask_b32_e64 v10, 0, 1, vcc_lo
	v_or_b32_e32 v10, v13, v10
	v_sub_nc_u32_e32 v7, 0x3f1, v9
	v_add_nc_u32_e32 v9, 0xfffffc10, v9
	s_delay_alu instid0(VALU_DEP_2) | instskip(NEXT) | instid1(VALU_DEP_1)
	v_med3_i32 v7, v7, 0, 13
	v_lshrrev_b32_e32 v14, v7, v12
	s_delay_alu instid0(VALU_DEP_1) | instskip(NEXT) | instid1(VALU_DEP_1)
	v_lshlrev_b32_e32 v7, v7, v14
	v_cmp_ne_u32_e32 vcc_lo, v7, v12
	v_lshl_or_b32 v12, v9, 12, v2
	v_cndmask_b32_e64 v7, 0, 1, vcc_lo
	v_cmp_gt_i32_e32 vcc_lo, 1, v8
	s_delay_alu instid0(VALU_DEP_2) | instskip(SKIP_1) | instid1(VALU_DEP_2)
	v_dual_cndmask_b32 v10, v11, v10, vcc_lo :: v_dual_bitop2_b32 v7, v14, v7 bitop3:0x54
	v_cmp_gt_i32_e32 vcc_lo, 1, v9
	v_dual_lshrrev_b32 v10, 2, v10 :: v_dual_bitop2_b32 v11, 7, v10 bitop3:0x40
	s_delay_alu instid0(VALU_DEP_3) | instskip(NEXT) | instid1(VALU_DEP_1)
	v_cndmask_b32_e32 v7, v12, v7, vcc_lo
	v_dual_lshrrev_b32 v7, 2, v7 :: v_dual_bitop2_b32 v12, 7, v7 bitop3:0x40
	s_delay_alu instid0(VALU_DEP_3) | instskip(SKIP_1) | instid1(VALU_DEP_3)
	v_cmp_lt_i32_e32 vcc_lo, 5, v11
	v_cndmask_b32_e64 v14, 0, 1, vcc_lo
	v_cmp_lt_i32_e32 vcc_lo, 5, v12
	v_cndmask_b32_e64 v15, 0, 1, vcc_lo
	v_cmp_eq_u32_e32 vcc_lo, 3, v12
	v_cndmask_b32_e64 v12, 0, 1, vcc_lo
	v_cmp_eq_u32_e32 vcc_lo, 3, v11
	s_delay_alu instid0(VALU_DEP_2) | instskip(SKIP_2) | instid1(VALU_DEP_3)
	v_or_b32_e32 v12, v12, v15
	v_cndmask_b32_e64 v11, 0, 1, vcc_lo
	v_cmp_ne_u32_e32 vcc_lo, 0, v6
	v_add_nc_u32_e32 v7, v7, v12
	s_delay_alu instid0(VALU_DEP_3) | instskip(NEXT) | instid1(VALU_DEP_1)
	v_or_b32_e32 v11, v11, v14
	v_dual_mov_b32 v13, 0x7e00 :: v_dual_add_nc_u32 v10, v10, v11
	s_delay_alu instid0(VALU_DEP_1)
	v_cndmask_b32_e32 v6, 0x7c00, v13, vcc_lo
	v_cmp_ne_u32_e32 vcc_lo, 0, v2
	v_and_b32_e32 v11, 0x8000, v16
	v_cndmask_b32_e32 v2, 0x7c00, v13, vcc_lo
	v_cmp_gt_i32_e32 vcc_lo, 31, v9
	v_cndmask_b32_e32 v7, 0x7c00, v7, vcc_lo
	v_cmp_gt_i32_e32 vcc_lo, 31, v8
	v_cndmask_b32_e32 v10, 0x7c00, v10, vcc_lo
	v_cmp_eq_u32_e32 vcc_lo, 0x40f, v9
	s_delay_alu instid0(VALU_DEP_4) | instskip(SKIP_1) | instid1(VALU_DEP_2)
	v_cndmask_b32_e32 v2, v7, v2, vcc_lo
	v_cmp_eq_u32_e32 vcc_lo, 0x40f, v8
	v_and_or_b32 v2, 0x8000, v3, v2
	v_cndmask_b32_e32 v6, v10, v6, vcc_lo
	s_delay_alu instid0(VALU_DEP_1) | instskip(NEXT) | instid1(VALU_DEP_1)
	v_bitop3_b32 v3, v11, 0xffff, v6 bitop3:0xc8
	v_lshl_or_b32 v2, v2, 16, v3
	global_store_b32 v[4:5], v2, off
.LBB143_4289:
	s_mov_b32 s0, 0
.LBB143_4290:
	s_delay_alu instid0(SALU_CYCLE_1)
	s_and_not1_b32 vcc_lo, exec_lo, s0
	s_cbranch_vccnz .LBB143_4299
; %bb.4291:
	s_sext_i32_i16 s2, s1
	s_mov_b32 s0, -1
	s_cmp_lt_i32 s2, 6
	s_cbranch_scc1 .LBB143_4297
; %bb.4292:
	s_cmp_gt_i32 s2, 6
	s_cbranch_scc0 .LBB143_4294
; %bb.4293:
	s_mov_b32 s0, 0
	s_wait_loadcnt 0x0
	global_store_b64 v[4:5], v[0:1], off
.LBB143_4294:
	s_and_not1_b32 vcc_lo, exec_lo, s0
	s_cbranch_vccnz .LBB143_4296
; %bb.4295:
	s_wait_loadcnt 0x0
	v_cvt_f32_f64_e32 v2, v[0:1]
	global_store_b32 v[4:5], v2, off
.LBB143_4296:
	s_mov_b32 s0, 0
.LBB143_4297:
	s_delay_alu instid0(SALU_CYCLE_1)
	s_and_not1_b32 vcc_lo, exec_lo, s0
	s_cbranch_vccnz .LBB143_4299
; %bb.4298:
	s_wait_loadcnt 0x0
	v_and_or_b32 v2, 0x1ff, v1, v0
	v_lshrrev_b32_e32 v3, 8, v1
	v_bfe_u32 v6, v1, 20, 11
	s_delay_alu instid0(VALU_DEP_3) | instskip(NEXT) | instid1(VALU_DEP_2)
	v_cmp_ne_u32_e32 vcc_lo, 0, v2
	v_sub_nc_u32_e32 v7, 0x3f1, v6
	v_cndmask_b32_e64 v2, 0, 1, vcc_lo
	s_delay_alu instid0(VALU_DEP_1) | instskip(NEXT) | instid1(VALU_DEP_3)
	v_and_or_b32 v2, 0xffe, v3, v2
	v_med3_i32 v3, v7, 0, 13
	s_delay_alu instid0(VALU_DEP_2) | instskip(NEXT) | instid1(VALU_DEP_1)
	v_or_b32_e32 v7, 0x1000, v2
	v_lshrrev_b32_e32 v8, v3, v7
	s_delay_alu instid0(VALU_DEP_1) | instskip(NEXT) | instid1(VALU_DEP_1)
	v_lshlrev_b32_e32 v3, v3, v8
	v_cmp_ne_u32_e32 vcc_lo, v3, v7
	v_cndmask_b32_e64 v3, 0, 1, vcc_lo
	s_delay_alu instid0(VALU_DEP_1) | instskip(SKIP_1) | instid1(VALU_DEP_1)
	v_or_b32_e32 v3, v8, v3
	v_add_nc_u32_e32 v6, 0xfffffc10, v6
	v_lshl_or_b32 v7, v6, 12, v2
	v_cmp_gt_i32_e32 vcc_lo, 1, v6
	s_delay_alu instid0(VALU_DEP_2) | instskip(NEXT) | instid1(VALU_DEP_1)
	v_cndmask_b32_e32 v3, v7, v3, vcc_lo
	v_dual_lshrrev_b32 v3, 2, v3 :: v_dual_bitop2_b32 v7, 7, v3 bitop3:0x40
	s_delay_alu instid0(VALU_DEP_1) | instskip(SKIP_4) | instid1(VALU_DEP_2)
	v_cmp_lt_i32_e32 vcc_lo, 5, v7
	v_cndmask_b32_e64 v8, 0, 1, vcc_lo
	v_cmp_eq_u32_e32 vcc_lo, 3, v7
	v_cndmask_b32_e64 v7, 0, 1, vcc_lo
	v_cmp_ne_u32_e32 vcc_lo, 0, v2
	v_or_b32_e32 v7, v7, v8
	s_delay_alu instid0(VALU_DEP_1) | instskip(NEXT) | instid1(VALU_DEP_1)
	v_dual_mov_b32 v8, 0x7e00 :: v_dual_add_nc_u32 v3, v3, v7
	v_cndmask_b32_e32 v2, 0x7c00, v8, vcc_lo
	v_cmp_gt_i32_e32 vcc_lo, 31, v6
	s_delay_alu instid0(VALU_DEP_3) | instskip(SKIP_1) | instid1(VALU_DEP_2)
	v_cndmask_b32_e32 v3, 0x7c00, v3, vcc_lo
	v_cmp_eq_u32_e32 vcc_lo, 0x40f, v6
	v_dual_cndmask_b32 v2, v3, v2 :: v_dual_lshrrev_b32 v3, 16, v1
	s_delay_alu instid0(VALU_DEP_1)
	v_and_or_b32 v2, 0x8000, v3, v2
	global_store_b16 v[4:5], v2, off
.LBB143_4299:
	s_mov_b32 s0, 0
.LBB143_4300:
	s_delay_alu instid0(SALU_CYCLE_1)
	s_and_not1_b32 vcc_lo, exec_lo, s0
	s_cbranch_vccnz .LBB143_4276
; %bb.4301:
	s_sext_i32_i16 s2, s1
	s_mov_b32 s0, -1
	s_cmp_lt_i32 s2, 2
	s_cbranch_scc1 .LBB143_4311
; %bb.4302:
	s_cmp_lt_i32 s2, 3
	s_cbranch_scc1 .LBB143_4308
; %bb.4303:
	s_cmp_gt_i32 s2, 3
	s_cbranch_scc0 .LBB143_4305
; %bb.4304:
	s_wait_loadcnt 0x0
	v_trunc_f64_e32 v[2:3], v[0:1]
	s_mov_b32 s0, 0
	s_delay_alu instid0(VALU_DEP_1) | instskip(NEXT) | instid1(VALU_DEP_1)
	v_ldexp_f64 v[6:7], v[2:3], 0xffffffe0
	v_floor_f64_e32 v[6:7], v[6:7]
	s_delay_alu instid0(VALU_DEP_1) | instskip(SKIP_1) | instid1(VALU_DEP_2)
	v_fmamk_f64 v[2:3], v[6:7], 0xc1f00000, v[2:3]
	v_cvt_i32_f64_e32 v7, v[6:7]
	v_cvt_u32_f64_e32 v6, v[2:3]
	global_store_b64 v[4:5], v[6:7], off
.LBB143_4305:
	s_and_not1_b32 vcc_lo, exec_lo, s0
	s_cbranch_vccnz .LBB143_4307
; %bb.4306:
	s_wait_loadcnt 0x0
	v_cvt_i32_f64_e32 v2, v[0:1]
	global_store_b32 v[4:5], v2, off
.LBB143_4307:
	s_mov_b32 s0, 0
.LBB143_4308:
	s_delay_alu instid0(SALU_CYCLE_1)
	s_and_not1_b32 vcc_lo, exec_lo, s0
	s_cbranch_vccnz .LBB143_4310
; %bb.4309:
	s_wait_loadcnt 0x0
	v_cvt_i32_f64_e32 v2, v[0:1]
	global_store_b16 v[4:5], v2, off
.LBB143_4310:
	s_mov_b32 s0, 0
.LBB143_4311:
	s_delay_alu instid0(SALU_CYCLE_1)
	s_and_not1_b32 vcc_lo, exec_lo, s0
	s_cbranch_vccnz .LBB143_4276
; %bb.4312:
	s_sext_i32_i16 s0, s1
	s_delay_alu instid0(SALU_CYCLE_1)
	s_cmp_gt_i32 s0, 0
	s_mov_b32 s0, -1
	s_cbranch_scc0 .LBB143_4314
; %bb.4313:
	s_wait_loadcnt 0x0
	v_cvt_i32_f64_e32 v2, v[0:1]
	s_mov_b32 s0, 0
	global_store_b8 v[4:5], v2, off
.LBB143_4314:
	s_and_not1_b32 vcc_lo, exec_lo, s0
	s_cbranch_vccnz .LBB143_4276
; %bb.4315:
	s_wait_loadcnt 0x0
	v_trunc_f64_e32 v[0:1], v[0:1]
	s_delay_alu instid0(VALU_DEP_1) | instskip(NEXT) | instid1(VALU_DEP_1)
	v_ldexp_f64 v[2:3], v[0:1], 0xffffffe0
	v_floor_f64_e32 v[2:3], v[2:3]
	s_delay_alu instid0(VALU_DEP_1) | instskip(NEXT) | instid1(VALU_DEP_1)
	v_fmamk_f64 v[0:1], v[2:3], 0xc1f00000, v[0:1]
	v_cvt_u32_f64_e32 v0, v[0:1]
	global_store_b8 v[4:5], v0, off
	s_endpgm
.LBB143_4316:
	s_mov_b32 s3, 0
	s_mov_b32 s0, -1
	s_branch .LBB143_4272
.LBB143_4317:
	s_mov_b32 s1, -1
	s_mov_b32 s5, exec_lo
	v_cmpx_eq_u16_e32 0x80, v46
; %bb.4318:
	s_xor_b32 s1, exec_lo, -1
; %bb.4319:
	s_or_b32 exec_lo, exec_lo, s5
	s_delay_alu instid0(SALU_CYCLE_1)
	s_and_b32 s1, s1, exec_lo
	s_or_saveexec_b32 s4, s4
	v_mov_b64_e32 v[44:45], 0x7ff8000020000000
	s_xor_b32 exec_lo, exec_lo, s4
	s_cbranch_execz .LBB143_3765
.LBB143_4320:
	v_cmp_ne_u16_e32 vcc_lo, 0, v46
	v_mov_b64_e32 v[44:45], 0
	s_and_not1_b32 s1, s1, exec_lo
	s_and_b32 s5, vcc_lo, exec_lo
	s_delay_alu instid0(SALU_CYCLE_1)
	s_or_b32 s1, s1, s5
	s_or_b32 exec_lo, exec_lo, s4
	s_and_saveexec_b32 s4, s1
	s_cbranch_execnz .LBB143_3766
	s_branch .LBB143_3767
.LBB143_4321:
	s_or_b32 s18, s18, exec_lo
	s_trap 2
	s_cbranch_execz .LBB143_3914
	s_branch .LBB143_3915
.LBB143_4322:
	v_bfe_u32 v7, v6, 20, 1
	s_mov_b32 s15, exec_lo
	s_delay_alu instid0(VALU_DEP_1) | instskip(NEXT) | instid1(VALU_DEP_1)
	v_add3_u32 v7, v6, v7, 0x487ffff
	v_lshrrev_b32_e32 v7, 20, v7
	s_and_not1_saveexec_b32 s19, s19
	s_cbranch_execz .LBB143_3866
.LBB143_4323:
	v_add_f32_e64 v7, 0x46000000, |v6|
	s_and_not1_b32 s15, s15, exec_lo
	s_delay_alu instid0(VALU_DEP_1) | instskip(NEXT) | instid1(VALU_DEP_1)
	v_and_b32_e32 v7, 0xff, v7
	v_cmp_ne_u32_e32 vcc_lo, 0, v7
	s_and_b32 s20, vcc_lo, exec_lo
	s_delay_alu instid0(SALU_CYCLE_1)
	s_or_b32 s15, s15, s20
	s_or_b32 exec_lo, exec_lo, s19
	v_mov_b32_e32 v12, 0
	s_and_saveexec_b32 s19, s15
	s_cbranch_execnz .LBB143_3867
	s_branch .LBB143_3868
.LBB143_4324:
	s_or_b32 s18, s18, exec_lo
	s_trap 2
	s_cbranch_execz .LBB143_4033
	s_branch .LBB143_4034
.LBB143_4325:
	v_bfe_u32 v7, v6, 21, 1
	s_mov_b32 s14, exec_lo
	s_delay_alu instid0(VALU_DEP_1) | instskip(NEXT) | instid1(VALU_DEP_1)
	v_add3_u32 v7, v6, v7, 0x88fffff
	v_lshrrev_b32_e32 v7, 21, v7
	s_and_not1_saveexec_b32 s15, s15
	s_cbranch_execz .LBB143_3879
.LBB143_4326:
	v_add_f32_e64 v7, 0x42800000, |v6|
	s_and_not1_b32 s14, s14, exec_lo
	s_delay_alu instid0(VALU_DEP_1) | instskip(NEXT) | instid1(VALU_DEP_1)
	v_and_b32_e32 v7, 0xff, v7
	v_cmp_ne_u32_e32 vcc_lo, 0, v7
	s_and_b32 s19, vcc_lo, exec_lo
	s_delay_alu instid0(SALU_CYCLE_1)
	s_or_b32 s14, s14, s19
	s_or_b32 exec_lo, exec_lo, s15
	v_mov_b32_e32 v12, 0
	s_and_saveexec_b32 s15, s14
	s_cbranch_execnz .LBB143_3880
	s_branch .LBB143_3881
.LBB143_4327:
	v_bfe_u32 v7, v6, 20, 1
	s_mov_b32 s15, exec_lo
	s_delay_alu instid0(VALU_DEP_1) | instskip(NEXT) | instid1(VALU_DEP_1)
	v_add3_u32 v7, v6, v7, 0x487ffff
	v_lshrrev_b32_e32 v7, 20, v7
	s_and_not1_saveexec_b32 s19, s19
	s_cbranch_execz .LBB143_3985
.LBB143_4328:
	v_add_f32_e64 v7, 0x46000000, |v6|
	s_and_not1_b32 s15, s15, exec_lo
	s_delay_alu instid0(VALU_DEP_1) | instskip(NEXT) | instid1(VALU_DEP_1)
	v_and_b32_e32 v7, 0xff, v7
	v_cmp_ne_u32_e32 vcc_lo, 0, v7
	s_and_b32 s20, vcc_lo, exec_lo
	s_delay_alu instid0(SALU_CYCLE_1)
	s_or_b32 s15, s15, s20
	s_or_b32 exec_lo, exec_lo, s19
	v_mov_b32_e32 v8, 0
	s_and_saveexec_b32 s19, s15
	s_cbranch_execnz .LBB143_3986
	s_branch .LBB143_3987
.LBB143_4329:
	s_or_b32 s18, s18, exec_lo
	s_trap 2
	s_cbranch_execz .LBB143_4152
	s_branch .LBB143_4153
.LBB143_4330:
	v_bfe_u32 v7, v6, 21, 1
	s_mov_b32 s14, exec_lo
	s_delay_alu instid0(VALU_DEP_1) | instskip(NEXT) | instid1(VALU_DEP_1)
	v_add3_u32 v7, v6, v7, 0x88fffff
	v_lshrrev_b32_e32 v7, 21, v7
	s_and_not1_saveexec_b32 s15, s15
	s_cbranch_execz .LBB143_3998
.LBB143_4331:
	v_add_f32_e64 v7, 0x42800000, |v6|
	s_and_not1_b32 s14, s14, exec_lo
	s_delay_alu instid0(VALU_DEP_1) | instskip(NEXT) | instid1(VALU_DEP_1)
	v_and_b32_e32 v7, 0xff, v7
	v_cmp_ne_u32_e32 vcc_lo, 0, v7
	s_and_b32 s19, vcc_lo, exec_lo
	s_delay_alu instid0(SALU_CYCLE_1)
	s_or_b32 s14, s14, s19
	s_or_b32 exec_lo, exec_lo, s15
	v_mov_b32_e32 v8, 0
	s_and_saveexec_b32 s15, s14
	s_cbranch_execnz .LBB143_3999
	s_branch .LBB143_4000
.LBB143_4332:
	v_bfe_u32 v7, v6, 20, 1
	s_mov_b32 s15, exec_lo
	s_delay_alu instid0(VALU_DEP_1) | instskip(NEXT) | instid1(VALU_DEP_1)
	v_add3_u32 v7, v6, v7, 0x487ffff
	v_lshrrev_b32_e32 v7, 20, v7
	s_and_not1_saveexec_b32 s19, s19
	s_cbranch_execz .LBB143_4104
.LBB143_4333:
	v_add_f32_e64 v7, 0x46000000, |v6|
	s_and_not1_b32 s15, s15, exec_lo
	s_delay_alu instid0(VALU_DEP_1) | instskip(NEXT) | instid1(VALU_DEP_1)
	v_and_b32_e32 v7, 0xff, v7
	v_cmp_ne_u32_e32 vcc_lo, 0, v7
	s_and_b32 s20, vcc_lo, exec_lo
	s_delay_alu instid0(SALU_CYCLE_1)
	s_or_b32 s15, s15, s20
	s_or_b32 exec_lo, exec_lo, s19
	v_mov_b32_e32 v8, 0
	s_and_saveexec_b32 s19, s15
	s_cbranch_execnz .LBB143_4105
	s_branch .LBB143_4106
.LBB143_4334:
	s_mov_b32 s3, 0
	s_or_b32 s18, s18, exec_lo
	s_trap 2
	s_branch .LBB143_4270
.LBB143_4335:
	v_bfe_u32 v7, v6, 21, 1
	s_mov_b32 s14, exec_lo
	s_delay_alu instid0(VALU_DEP_1) | instskip(NEXT) | instid1(VALU_DEP_1)
	v_add3_u32 v7, v6, v7, 0x88fffff
	v_lshrrev_b32_e32 v7, 21, v7
	s_and_not1_saveexec_b32 s15, s15
	s_cbranch_execz .LBB143_4117
.LBB143_4336:
	v_add_f32_e64 v7, 0x42800000, |v6|
	s_and_not1_b32 s14, s14, exec_lo
	s_delay_alu instid0(VALU_DEP_1) | instskip(NEXT) | instid1(VALU_DEP_1)
	v_and_b32_e32 v7, 0xff, v7
	v_cmp_ne_u32_e32 vcc_lo, 0, v7
	s_and_b32 s19, vcc_lo, exec_lo
	s_delay_alu instid0(SALU_CYCLE_1)
	s_or_b32 s14, s14, s19
	s_or_b32 exec_lo, exec_lo, s15
	v_mov_b32_e32 v8, 0
	s_and_saveexec_b32 s15, s14
	s_cbranch_execnz .LBB143_4118
	s_branch .LBB143_4119
.LBB143_4337:
	v_bfe_u32 v7, v6, 20, 1
	s_mov_b32 s5, exec_lo
	s_delay_alu instid0(VALU_DEP_1) | instskip(NEXT) | instid1(VALU_DEP_1)
	v_add3_u32 v7, v6, v7, 0x487ffff
	v_lshrrev_b32_e32 v7, 20, v7
	s_and_not1_saveexec_b32 s6, s6
	s_cbranch_execz .LBB143_4224
.LBB143_4338:
	v_add_f32_e64 v7, 0x46000000, |v6|
	s_and_not1_b32 s5, s5, exec_lo
	s_delay_alu instid0(VALU_DEP_1) | instskip(NEXT) | instid1(VALU_DEP_1)
	v_and_b32_e32 v7, 0xff, v7
	v_cmp_ne_u32_e32 vcc_lo, 0, v7
	s_and_b32 s7, vcc_lo, exec_lo
	s_delay_alu instid0(SALU_CYCLE_1)
	s_or_b32 s5, s5, s7
	s_or_b32 exec_lo, exec_lo, s6
	v_mov_b32_e32 v8, 0
	s_and_saveexec_b32 s6, s5
	s_cbranch_execnz .LBB143_4225
	s_branch .LBB143_4226
.LBB143_4339:
	v_bfe_u32 v7, v6, 21, 1
	s_mov_b32 s4, exec_lo
	s_delay_alu instid0(VALU_DEP_1) | instskip(NEXT) | instid1(VALU_DEP_1)
	v_add3_u32 v7, v6, v7, 0x88fffff
	v_lshrrev_b32_e32 v7, 21, v7
	s_and_not1_saveexec_b32 s5, s5
	s_cbranch_execz .LBB143_4236
.LBB143_4340:
	v_add_f32_e64 v7, 0x42800000, |v6|
	s_and_not1_b32 s4, s4, exec_lo
	s_delay_alu instid0(VALU_DEP_1) | instskip(NEXT) | instid1(VALU_DEP_1)
	v_and_b32_e32 v7, 0xff, v7
	v_cmp_ne_u32_e32 vcc_lo, 0, v7
	s_and_b32 s6, vcc_lo, exec_lo
	s_delay_alu instid0(SALU_CYCLE_1)
	s_or_b32 s4, s4, s6
	s_or_b32 exec_lo, exec_lo, s5
	v_mov_b32_e32 v8, 0
	s_and_saveexec_b32 s5, s4
	s_cbranch_execnz .LBB143_4237
	s_branch .LBB143_4238
	.section	.rodata,"a",@progbits
	.p2align	6, 0x0
	.amdhsa_kernel _ZN2at6native32elementwise_kernel_manual_unrollILi128ELi4EZNS0_15gpu_kernel_implIZZZNS0_12_GLOBAL__N_116addr_kernel_cudaERNS_14TensorIteratorERKN3c106ScalarES9_ENKUlvE_clEvENKUlvE6_clEvEUlNS6_7complexIdEESD_SD_E0_EEvRNS_18TensorIteratorBaseERKT_EUlibE0_EEviT1_
		.amdhsa_group_segment_fixed_size 0
		.amdhsa_private_segment_fixed_size 0
		.amdhsa_kernarg_size 560
		.amdhsa_user_sgpr_count 2
		.amdhsa_user_sgpr_dispatch_ptr 0
		.amdhsa_user_sgpr_queue_ptr 0
		.amdhsa_user_sgpr_kernarg_segment_ptr 1
		.amdhsa_user_sgpr_dispatch_id 0
		.amdhsa_user_sgpr_kernarg_preload_length 0
		.amdhsa_user_sgpr_kernarg_preload_offset 0
		.amdhsa_user_sgpr_private_segment_size 0
		.amdhsa_wavefront_size32 1
		.amdhsa_uses_dynamic_stack 0
		.amdhsa_enable_private_segment 0
		.amdhsa_system_sgpr_workgroup_id_x 1
		.amdhsa_system_sgpr_workgroup_id_y 0
		.amdhsa_system_sgpr_workgroup_id_z 0
		.amdhsa_system_sgpr_workgroup_info 0
		.amdhsa_system_vgpr_workitem_id 0
		.amdhsa_next_free_vgpr 62
		.amdhsa_next_free_sgpr 82
		.amdhsa_named_barrier_count 0
		.amdhsa_reserve_vcc 1
		.amdhsa_float_round_mode_32 0
		.amdhsa_float_round_mode_16_64 0
		.amdhsa_float_denorm_mode_32 3
		.amdhsa_float_denorm_mode_16_64 3
		.amdhsa_fp16_overflow 0
		.amdhsa_memory_ordered 1
		.amdhsa_forward_progress 1
		.amdhsa_inst_pref_size 255
		.amdhsa_round_robin_scheduling 0
		.amdhsa_exception_fp_ieee_invalid_op 0
		.amdhsa_exception_fp_denorm_src 0
		.amdhsa_exception_fp_ieee_div_zero 0
		.amdhsa_exception_fp_ieee_overflow 0
		.amdhsa_exception_fp_ieee_underflow 0
		.amdhsa_exception_fp_ieee_inexact 0
		.amdhsa_exception_int_div_zero 0
	.end_amdhsa_kernel
	.section	.text._ZN2at6native32elementwise_kernel_manual_unrollILi128ELi4EZNS0_15gpu_kernel_implIZZZNS0_12_GLOBAL__N_116addr_kernel_cudaERNS_14TensorIteratorERKN3c106ScalarES9_ENKUlvE_clEvENKUlvE6_clEvEUlNS6_7complexIdEESD_SD_E0_EEvRNS_18TensorIteratorBaseERKT_EUlibE0_EEviT1_,"axG",@progbits,_ZN2at6native32elementwise_kernel_manual_unrollILi128ELi4EZNS0_15gpu_kernel_implIZZZNS0_12_GLOBAL__N_116addr_kernel_cudaERNS_14TensorIteratorERKN3c106ScalarES9_ENKUlvE_clEvENKUlvE6_clEvEUlNS6_7complexIdEESD_SD_E0_EEvRNS_18TensorIteratorBaseERKT_EUlibE0_EEviT1_,comdat
.Lfunc_end143:
	.size	_ZN2at6native32elementwise_kernel_manual_unrollILi128ELi4EZNS0_15gpu_kernel_implIZZZNS0_12_GLOBAL__N_116addr_kernel_cudaERNS_14TensorIteratorERKN3c106ScalarES9_ENKUlvE_clEvENKUlvE6_clEvEUlNS6_7complexIdEESD_SD_E0_EEvRNS_18TensorIteratorBaseERKT_EUlibE0_EEviT1_, .Lfunc_end143-_ZN2at6native32elementwise_kernel_manual_unrollILi128ELi4EZNS0_15gpu_kernel_implIZZZNS0_12_GLOBAL__N_116addr_kernel_cudaERNS_14TensorIteratorERKN3c106ScalarES9_ENKUlvE_clEvENKUlvE6_clEvEUlNS6_7complexIdEESD_SD_E0_EEvRNS_18TensorIteratorBaseERKT_EUlibE0_EEviT1_
                                        ; -- End function
	.set _ZN2at6native32elementwise_kernel_manual_unrollILi128ELi4EZNS0_15gpu_kernel_implIZZZNS0_12_GLOBAL__N_116addr_kernel_cudaERNS_14TensorIteratorERKN3c106ScalarES9_ENKUlvE_clEvENKUlvE6_clEvEUlNS6_7complexIdEESD_SD_E0_EEvRNS_18TensorIteratorBaseERKT_EUlibE0_EEviT1_.num_vgpr, 62
	.set _ZN2at6native32elementwise_kernel_manual_unrollILi128ELi4EZNS0_15gpu_kernel_implIZZZNS0_12_GLOBAL__N_116addr_kernel_cudaERNS_14TensorIteratorERKN3c106ScalarES9_ENKUlvE_clEvENKUlvE6_clEvEUlNS6_7complexIdEESD_SD_E0_EEvRNS_18TensorIteratorBaseERKT_EUlibE0_EEviT1_.num_agpr, 0
	.set _ZN2at6native32elementwise_kernel_manual_unrollILi128ELi4EZNS0_15gpu_kernel_implIZZZNS0_12_GLOBAL__N_116addr_kernel_cudaERNS_14TensorIteratorERKN3c106ScalarES9_ENKUlvE_clEvENKUlvE6_clEvEUlNS6_7complexIdEESD_SD_E0_EEvRNS_18TensorIteratorBaseERKT_EUlibE0_EEviT1_.numbered_sgpr, 82
	.set _ZN2at6native32elementwise_kernel_manual_unrollILi128ELi4EZNS0_15gpu_kernel_implIZZZNS0_12_GLOBAL__N_116addr_kernel_cudaERNS_14TensorIteratorERKN3c106ScalarES9_ENKUlvE_clEvENKUlvE6_clEvEUlNS6_7complexIdEESD_SD_E0_EEvRNS_18TensorIteratorBaseERKT_EUlibE0_EEviT1_.num_named_barrier, 0
	.set _ZN2at6native32elementwise_kernel_manual_unrollILi128ELi4EZNS0_15gpu_kernel_implIZZZNS0_12_GLOBAL__N_116addr_kernel_cudaERNS_14TensorIteratorERKN3c106ScalarES9_ENKUlvE_clEvENKUlvE6_clEvEUlNS6_7complexIdEESD_SD_E0_EEvRNS_18TensorIteratorBaseERKT_EUlibE0_EEviT1_.private_seg_size, 0
	.set _ZN2at6native32elementwise_kernel_manual_unrollILi128ELi4EZNS0_15gpu_kernel_implIZZZNS0_12_GLOBAL__N_116addr_kernel_cudaERNS_14TensorIteratorERKN3c106ScalarES9_ENKUlvE_clEvENKUlvE6_clEvEUlNS6_7complexIdEESD_SD_E0_EEvRNS_18TensorIteratorBaseERKT_EUlibE0_EEviT1_.uses_vcc, 1
	.set _ZN2at6native32elementwise_kernel_manual_unrollILi128ELi4EZNS0_15gpu_kernel_implIZZZNS0_12_GLOBAL__N_116addr_kernel_cudaERNS_14TensorIteratorERKN3c106ScalarES9_ENKUlvE_clEvENKUlvE6_clEvEUlNS6_7complexIdEESD_SD_E0_EEvRNS_18TensorIteratorBaseERKT_EUlibE0_EEviT1_.uses_flat_scratch, 0
	.set _ZN2at6native32elementwise_kernel_manual_unrollILi128ELi4EZNS0_15gpu_kernel_implIZZZNS0_12_GLOBAL__N_116addr_kernel_cudaERNS_14TensorIteratorERKN3c106ScalarES9_ENKUlvE_clEvENKUlvE6_clEvEUlNS6_7complexIdEESD_SD_E0_EEvRNS_18TensorIteratorBaseERKT_EUlibE0_EEviT1_.has_dyn_sized_stack, 0
	.set _ZN2at6native32elementwise_kernel_manual_unrollILi128ELi4EZNS0_15gpu_kernel_implIZZZNS0_12_GLOBAL__N_116addr_kernel_cudaERNS_14TensorIteratorERKN3c106ScalarES9_ENKUlvE_clEvENKUlvE6_clEvEUlNS6_7complexIdEESD_SD_E0_EEvRNS_18TensorIteratorBaseERKT_EUlibE0_EEviT1_.has_recursion, 0
	.set _ZN2at6native32elementwise_kernel_manual_unrollILi128ELi4EZNS0_15gpu_kernel_implIZZZNS0_12_GLOBAL__N_116addr_kernel_cudaERNS_14TensorIteratorERKN3c106ScalarES9_ENKUlvE_clEvENKUlvE6_clEvEUlNS6_7complexIdEESD_SD_E0_EEvRNS_18TensorIteratorBaseERKT_EUlibE0_EEviT1_.has_indirect_call, 0
	.section	.AMDGPU.csdata,"",@progbits
; Kernel info:
; codeLenInByte = 89940
; TotalNumSgprs: 84
; NumVgprs: 62
; ScratchSize: 0
; MemoryBound: 1
; FloatMode: 240
; IeeeMode: 1
; LDSByteSize: 0 bytes/workgroup (compile time only)
; SGPRBlocks: 0
; VGPRBlocks: 3
; NumSGPRsForWavesPerEU: 84
; NumVGPRsForWavesPerEU: 62
; NamedBarCnt: 0
; Occupancy: 16
; WaveLimiterHint : 1
; COMPUTE_PGM_RSRC2:SCRATCH_EN: 0
; COMPUTE_PGM_RSRC2:USER_SGPR: 2
; COMPUTE_PGM_RSRC2:TRAP_HANDLER: 0
; COMPUTE_PGM_RSRC2:TGID_X_EN: 1
; COMPUTE_PGM_RSRC2:TGID_Y_EN: 0
; COMPUTE_PGM_RSRC2:TGID_Z_EN: 0
; COMPUTE_PGM_RSRC2:TIDIG_COMP_CNT: 0
	.section	.text._ZN2at6native29vectorized_elementwise_kernelILi16EZZZNS0_12_GLOBAL__N_116addr_kernel_cudaERNS_14TensorIteratorERKN3c106ScalarES8_ENKUlvE_clEvENKUlvE7_clEvEUlNS5_7complexIfEESC_SC_E_St5arrayIPcLm4EEEEviT0_T1_,"axG",@progbits,_ZN2at6native29vectorized_elementwise_kernelILi16EZZZNS0_12_GLOBAL__N_116addr_kernel_cudaERNS_14TensorIteratorERKN3c106ScalarES8_ENKUlvE_clEvENKUlvE7_clEvEUlNS5_7complexIfEESC_SC_E_St5arrayIPcLm4EEEEviT0_T1_,comdat
	.globl	_ZN2at6native29vectorized_elementwise_kernelILi16EZZZNS0_12_GLOBAL__N_116addr_kernel_cudaERNS_14TensorIteratorERKN3c106ScalarES8_ENKUlvE_clEvENKUlvE7_clEvEUlNS5_7complexIfEESC_SC_E_St5arrayIPcLm4EEEEviT0_T1_ ; -- Begin function _ZN2at6native29vectorized_elementwise_kernelILi16EZZZNS0_12_GLOBAL__N_116addr_kernel_cudaERNS_14TensorIteratorERKN3c106ScalarES8_ENKUlvE_clEvENKUlvE7_clEvEUlNS5_7complexIfEESC_SC_E_St5arrayIPcLm4EEEEviT0_T1_
	.p2align	8
	.type	_ZN2at6native29vectorized_elementwise_kernelILi16EZZZNS0_12_GLOBAL__N_116addr_kernel_cudaERNS_14TensorIteratorERKN3c106ScalarES8_ENKUlvE_clEvENKUlvE7_clEvEUlNS5_7complexIfEESC_SC_E_St5arrayIPcLm4EEEEviT0_T1_,@function
_ZN2at6native29vectorized_elementwise_kernelILi16EZZZNS0_12_GLOBAL__N_116addr_kernel_cudaERNS_14TensorIteratorERKN3c106ScalarES8_ENKUlvE_clEvENKUlvE7_clEvEUlNS5_7complexIfEESC_SC_E_St5arrayIPcLm4EEEEviT0_T1_: ; @_ZN2at6native29vectorized_elementwise_kernelILi16EZZZNS0_12_GLOBAL__N_116addr_kernel_cudaERNS_14TensorIteratorERKN3c106ScalarES8_ENKUlvE_clEvENKUlvE7_clEvEUlNS5_7complexIfEESC_SC_E_St5arrayIPcLm4EEEEviT0_T1_
; %bb.0:
	s_clause 0x2
	s_load_b32 s3, s[0:1], 0x0
	s_load_b128 s[4:7], s[0:1], 0x8
	s_load_b128 s[8:11], s[0:1], 0x20
	s_wait_xcnt 0x0
	s_bfe_u32 s0, ttmp6, 0x4000c
	s_and_b32 s1, ttmp6, 15
	s_add_co_i32 s0, s0, 1
	s_getreg_b32 s2, hwreg(HW_REG_IB_STS2, 6, 4)
	s_mul_i32 s0, ttmp9, s0
	s_delay_alu instid0(SALU_CYCLE_1) | instskip(SKIP_2) | instid1(SALU_CYCLE_1)
	s_add_co_i32 s1, s1, s0
	s_cmp_eq_u32 s2, 0
	s_cselect_b32 s0, ttmp9, s1
	s_lshl_b32 s2, s0, 10
	s_mov_b32 s0, -1
	s_wait_kmcnt 0x0
	s_sub_co_i32 s1, s3, s2
	s_delay_alu instid0(SALU_CYCLE_1)
	s_cmp_gt_i32 s1, 0x3ff
	s_cbranch_scc0 .LBB144_2
; %bb.1:
	s_ashr_i32 s3, s2, 31
	v_lshlrev_b32_e32 v1, 5, v0
	s_lshl_b64 s[12:13], s[2:3], 3
	v_mov_b64_e32 v[18:19], s[4:5]
	s_add_nc_u64 s[14:15], s[8:9], s[12:13]
	s_mov_b32 s0, 0
	s_clause 0x1
	global_load_b128 v[2:5], v1, s[14:15]
	global_load_b128 v[6:9], v1, s[14:15] offset:16
	s_wait_xcnt 0x0
	s_add_nc_u64 s[14:15], s[10:11], s[12:13]
	s_clause 0x1
	global_load_b128 v[10:13], v1, s[14:15]
	global_load_b128 v[14:17], v1, s[14:15] offset:16
	s_add_nc_u64 s[12:13], s[6:7], s[12:13]
	s_wait_loadcnt 0x3
	v_pk_mul_f32 v[20:21], v[2:3], v[18:19]
	v_pk_mul_f32 v[2:3], v[2:3], v[18:19] op_sel:[0,1] op_sel_hi:[1,0]
	v_pk_mul_f32 v[22:23], v[4:5], v[18:19]
	v_pk_mul_f32 v[4:5], v[4:5], v[18:19] op_sel:[0,1] op_sel_hi:[1,0]
	s_wait_loadcnt 0x0
	v_mov_b32_e32 v29, v16
	v_pk_mul_f32 v[24:25], v[6:7], v[18:19]
	v_add_f32_e32 v2, v2, v3
	v_pk_mul_f32 v[6:7], v[6:7], v[18:19] op_sel:[0,1] op_sel_hi:[1,0]
	v_pk_mul_f32 v[26:27], v[8:9], v[18:19]
	v_pk_mul_f32 v[8:9], v[8:9], v[18:19] op_sel:[0,1] op_sel_hi:[1,0]
	v_pk_add_f32 v[20:21], v[20:21], v[20:21] op_sel:[0,1] op_sel_hi:[0,1] neg_lo:[0,1] neg_hi:[0,1]
	v_pk_mul_f32 v[30:31], v[2:3], v[10:11] op_sel:[0,1] op_sel_hi:[0,0]
	v_dual_mov_b32 v18, v13 :: v_dual_mov_b32 v19, v12
	v_dual_mov_b32 v28, v17 :: v_dual_add_f32 v4, v4, v5
	v_add_f32_e32 v6, v6, v7
	s_delay_alu instid0(VALU_DEP_4)
	v_pk_fma_f32 v[2:3], v[20:21], v[10:11], v[30:31] neg_lo:[0,0,1] neg_hi:[0,0,1]
	v_pk_fma_f32 v[10:11], v[20:21], v[10:11], v[30:31]
	v_add_f32_e32 v8, v8, v9
	v_pk_add_f32 v[22:23], v[22:23], v[22:23] op_sel:[0,1] op_sel_hi:[0,1] neg_lo:[0,1] neg_hi:[0,1]
	v_pk_mul_f32 v[18:19], v[4:5], v[18:19] op_sel_hi:[0,1]
	v_pk_add_f32 v[24:25], v[24:25], v[24:25] op_sel:[0,1] op_sel_hi:[0,1] neg_lo:[0,1] neg_hi:[0,1]
	v_pk_add_f32 v[26:27], v[26:27], v[26:27] op_sel:[0,1] op_sel_hi:[0,1] neg_lo:[0,1] neg_hi:[0,1]
	v_pk_mul_f32 v[32:33], v[6:7], v[14:15] op_sel:[0,1] op_sel_hi:[0,0]
	v_mov_b32_e32 v3, v11
	v_pk_mul_f32 v[8:9], v[8:9], v[28:29] op_sel_hi:[0,1]
	v_pk_fma_f32 v[4:5], v[22:23], v[12:13], v[18:19] neg_lo:[0,0,1] neg_hi:[0,0,1]
	v_pk_fma_f32 v[12:13], v[22:23], v[12:13], v[18:19]
	v_pk_fma_f32 v[6:7], v[24:25], v[14:15], v[32:33] neg_lo:[0,0,1] neg_hi:[0,0,1]
	v_pk_fma_f32 v[14:15], v[24:25], v[14:15], v[32:33]
	v_pk_fma_f32 v[18:19], v[26:27], v[16:17], v[8:9]
	v_pk_fma_f32 v[8:9], v[26:27], v[16:17], v[8:9] neg_lo:[0,0,1] neg_hi:[0,0,1]
	s_delay_alu instid0(VALU_DEP_3) | instskip(NEXT) | instid1(VALU_DEP_3)
	v_dual_mov_b32 v5, v13 :: v_dual_mov_b32 v7, v15
	v_mov_b32_e32 v9, v19
	s_clause 0x1
	global_store_b128 v1, v[2:5], s[12:13]
	global_store_b128 v1, v[6:9], s[12:13] offset:16
.LBB144_2:
	s_and_not1_b32 vcc_lo, exec_lo, s0
	s_cbranch_vccnz .LBB144_15
; %bb.3:
	s_wait_xcnt 0x0
	v_dual_mov_b32 v1, v0 :: v_dual_mov_b32 v4, 0
	v_cmp_gt_i32_e32 vcc_lo, s1, v0
	v_dual_mov_b32 v20, v0 :: v_dual_bitop2_b32 v19, s2, v0 bitop3:0x54
	v_or_b32_e32 v18, 0x100, v0
	v_dual_mov_b32 v12, 0 :: v_dual_mov_b32 v13, 0
	v_dual_mov_b32 v16, 0 :: v_dual_mov_b32 v17, 0
	s_and_saveexec_b32 s0, vcc_lo
	s_cbranch_execz .LBB144_5
; %bb.4:
	s_clause 0x1
	global_load_b64 v[16:17], v19, s[8:9] scale_offset
	global_load_b64 v[12:13], v19, s[10:11] scale_offset
	v_or_b32_e32 v20, 0x100, v0
.LBB144_5:
	s_wait_xcnt 0x0
	s_or_b32 exec_lo, exec_lo, s0
	v_dual_mov_b32 v5, 0 :: v_dual_mov_b32 v14, 0
	v_mov_b32_e32 v15, 0
	s_mov_b32 s3, exec_lo
	v_cmpx_gt_i32_e64 s1, v20
	s_cbranch_execz .LBB144_7
; %bb.6:
	v_add_nc_u32_e32 v2, s2, v20
	v_add_nc_u32_e32 v20, 0x100, v20
	s_clause 0x1
	global_load_b64 v[14:15], v2, s[8:9] scale_offset
	global_load_b64 v[4:5], v2, s[10:11] scale_offset
.LBB144_7:
	s_wait_xcnt 0x0
	s_or_b32 exec_lo, exec_lo, s3
	v_dual_mov_b32 v2, 0 :: v_dual_mov_b32 v8, 0
	v_dual_mov_b32 v9, 0 :: v_dual_mov_b32 v10, 0
	v_mov_b32_e32 v11, 0
	s_mov_b32 s3, exec_lo
	v_cmpx_gt_i32_e64 s1, v20
	s_cbranch_execz .LBB144_9
; %bb.8:
	v_add_nc_u32_e32 v3, s2, v20
	v_add_nc_u32_e32 v20, 0x100, v20
	s_clause 0x1
	global_load_b64 v[10:11], v3, s[8:9] scale_offset
	global_load_b64 v[8:9], v3, s[10:11] scale_offset
.LBB144_9:
	s_wait_xcnt 0x0
	s_or_b32 exec_lo, exec_lo, s3
	v_dual_mov_b32 v3, 0 :: v_dual_mov_b32 v6, 0
	v_mov_b32_e32 v7, 0
	s_mov_b32 s3, exec_lo
	v_cmpx_gt_i32_e64 s1, v20
	s_cbranch_execnz .LBB144_16
; %bb.10:
	s_or_b32 exec_lo, exec_lo, s3
	s_and_saveexec_b32 s0, vcc_lo
	s_cbranch_execnz .LBB144_17
.LBB144_11:
	s_or_b32 exec_lo, exec_lo, s0
	s_delay_alu instid0(SALU_CYCLE_1)
	s_mov_b32 s0, exec_lo
	v_cmpx_gt_i32_e64 s1, v1
	s_cbranch_execnz .LBB144_18
.LBB144_12:
	s_or_b32 exec_lo, exec_lo, s0
	s_delay_alu instid0(SALU_CYCLE_1)
	s_mov_b32 s0, exec_lo
	v_cmpx_gt_i32_e64 s1, v1
	s_cbranch_execnz .LBB144_19
.LBB144_13:
	s_or_b32 exec_lo, exec_lo, s0
	s_delay_alu instid0(SALU_CYCLE_1)
	s_mov_b32 s0, exec_lo
	v_cmpx_gt_i32_e64 s1, v1
	s_cbranch_execz .LBB144_15
.LBB144_14:
	s_wait_loadcnt 0x0
	v_mov_b64_e32 v[8:9], s[4:5]
	v_dual_mov_b32 v4, v7 :: v_dual_mov_b32 v5, v6
	v_or_b32_e32 v0, 0x300, v0
	v_dual_mov_b32 v10, v3 :: v_dual_mov_b32 v11, v2
	s_delay_alu instid0(VALU_DEP_3) | instskip(SKIP_1) | instid1(VALU_DEP_4)
	v_pk_mul_f32 v[4:5], v[4:5], v[8:9]
	v_pk_mul_f32 v[6:7], v[6:7], v[8:9]
	v_cmp_gt_i32_e32 vcc_lo, s1, v0
	v_add_nc_u32_e32 v0, s2, v1
	s_delay_alu instid0(VALU_DEP_4) | instskip(NEXT) | instid1(VALU_DEP_4)
	v_add_f32_e32 v4, v4, v5
	v_pk_add_f32 v[6:7], v[6:7], v[6:7] op_sel:[0,1] op_sel_hi:[0,1] neg_lo:[0,1] neg_hi:[0,1]
	s_delay_alu instid0(VALU_DEP_2) | instskip(NEXT) | instid1(VALU_DEP_1)
	v_pk_mul_f32 v[4:5], v[10:11], v[4:5] op_sel_hi:[1,0]
	v_pk_fma_f32 v[8:9], v[2:3], v[6:7], v[4:5] neg_lo:[0,0,1] neg_hi:[0,0,1]
	v_pk_fma_f32 v[2:3], v[2:3], v[6:7], v[4:5]
	s_delay_alu instid0(VALU_DEP_1)
	v_dual_cndmask_b32 v2, 0, v8 :: v_dual_cndmask_b32 v3, 0, v3
	global_store_b64 v0, v[2:3], s[6:7] scale_offset
.LBB144_15:
	s_endpgm
.LBB144_16:
	v_add_nc_u32_e32 v20, s2, v20
	s_clause 0x1
	global_load_b64 v[6:7], v20, s[8:9] scale_offset
	global_load_b64 v[2:3], v20, s[10:11] scale_offset
	s_wait_xcnt 0x0
	s_or_b32 exec_lo, exec_lo, s3
	s_and_saveexec_b32 s0, vcc_lo
	s_cbranch_execz .LBB144_11
.LBB144_17:
	v_mov_b64_e32 v[22:23], s[4:5]
	s_wait_loadcnt 0x1
	v_dual_mov_b32 v20, v17 :: v_dual_mov_b32 v21, v16
	v_mov_b32_e32 v1, v18
	s_delay_alu instid0(VALU_DEP_2) | instskip(SKIP_3) | instid1(VALU_DEP_3)
	v_pk_mul_f32 v[20:21], v[20:21], v[22:23]
	v_pk_mul_f32 v[16:17], v[16:17], v[22:23]
	s_wait_loadcnt 0x0
	v_dual_mov_b32 v22, v13 :: v_dual_mov_b32 v23, v12
	v_add_f32_e32 v20, v20, v21
	s_delay_alu instid0(VALU_DEP_3) | instskip(NEXT) | instid1(VALU_DEP_2)
	v_pk_add_f32 v[16:17], v[16:17], v[16:17] op_sel:[0,1] op_sel_hi:[0,1] neg_lo:[0,1] neg_hi:[0,1]
	v_pk_mul_f32 v[20:21], v[22:23], v[20:21] op_sel_hi:[1,0]
	s_delay_alu instid0(VALU_DEP_1) | instskip(SKIP_1) | instid1(VALU_DEP_2)
	v_pk_fma_f32 v[22:23], v[12:13], v[16:17], v[20:21]
	v_pk_fma_f32 v[12:13], v[12:13], v[16:17], v[20:21] neg_lo:[0,0,1] neg_hi:[0,0,1]
	v_mov_b32_e32 v13, v23
	global_store_b64 v19, v[12:13], s[6:7] scale_offset
	s_wait_xcnt 0x0
	s_or_b32 exec_lo, exec_lo, s0
	s_delay_alu instid0(SALU_CYCLE_1)
	s_mov_b32 s0, exec_lo
	v_cmpx_gt_i32_e64 s1, v1
	s_cbranch_execz .LBB144_12
.LBB144_18:
	s_wait_loadcnt 0x1
	v_mov_b64_e32 v[16:17], s[4:5]
	s_wait_loadcnt 0x0
	v_dual_mov_b32 v12, v15 :: v_dual_mov_b32 v13, v14
	v_dual_mov_b32 v20, v5 :: v_dual_mov_b32 v21, v4
	v_cmp_gt_i32_e32 vcc_lo, s1, v18
	s_delay_alu instid0(VALU_DEP_3) | instskip(SKIP_1) | instid1(VALU_DEP_2)
	v_pk_mul_f32 v[12:13], v[12:13], v[16:17]
	v_pk_mul_f32 v[14:15], v[14:15], v[16:17]
	v_add_f32_e32 v12, v12, v13
	s_delay_alu instid0(VALU_DEP_2) | instskip(NEXT) | instid1(VALU_DEP_2)
	v_pk_add_f32 v[14:15], v[14:15], v[14:15] op_sel:[0,1] op_sel_hi:[0,1] neg_lo:[0,1] neg_hi:[0,1]
	v_pk_mul_f32 v[12:13], v[20:21], v[12:13] op_sel_hi:[1,0]
	s_delay_alu instid0(VALU_DEP_1) | instskip(SKIP_3) | instid1(VALU_DEP_3)
	v_pk_fma_f32 v[16:17], v[4:5], v[14:15], v[12:13]
	v_pk_fma_f32 v[4:5], v[4:5], v[14:15], v[12:13] neg_lo:[0,0,1] neg_hi:[0,0,1]
	v_add_nc_u32_e32 v12, 0x100, v1
	v_add_nc_u32_e32 v13, s2, v1
	v_dual_cndmask_b32 v5, 0, v17 :: v_dual_cndmask_b32 v4, 0, v4
	s_delay_alu instid0(VALU_DEP_3) | instskip(SKIP_3) | instid1(SALU_CYCLE_1)
	v_mov_b32_e32 v1, v12
	global_store_b64 v13, v[4:5], s[6:7] scale_offset
	s_wait_xcnt 0x0
	s_or_b32 exec_lo, exec_lo, s0
	s_mov_b32 s0, exec_lo
	v_cmpx_gt_i32_e64 s1, v1
	s_cbranch_execz .LBB144_13
.LBB144_19:
	s_wait_loadcnt 0x0
	v_mov_b64_e32 v[12:13], s[4:5]
	v_dual_mov_b32 v4, v11 :: v_dual_mov_b32 v5, v10
	v_dual_mov_b32 v14, v9 :: v_dual_mov_b32 v15, v8
	s_delay_alu instid0(VALU_DEP_2) | instskip(SKIP_1) | instid1(VALU_DEP_2)
	v_pk_mul_f32 v[4:5], v[4:5], v[12:13]
	v_pk_mul_f32 v[10:11], v[10:11], v[12:13]
	v_add_f32_e32 v4, v4, v5
	s_delay_alu instid0(VALU_DEP_2) | instskip(NEXT) | instid1(VALU_DEP_2)
	v_pk_add_f32 v[10:11], v[10:11], v[10:11] op_sel:[0,1] op_sel_hi:[0,1] neg_lo:[0,1] neg_hi:[0,1]
	v_pk_mul_f32 v[4:5], v[14:15], v[4:5] op_sel_hi:[1,0]
	v_or_b32_e32 v14, 0x200, v0
	s_delay_alu instid0(VALU_DEP_2) | instskip(NEXT) | instid1(VALU_DEP_2)
	v_pk_fma_f32 v[12:13], v[8:9], v[10:11], v[4:5]
	v_cmp_gt_i32_e32 vcc_lo, s1, v14
	v_pk_fma_f32 v[4:5], v[8:9], v[10:11], v[4:5] neg_lo:[0,0,1] neg_hi:[0,0,1]
	v_add_nc_u32_e32 v8, 0x100, v1
	v_add_nc_u32_e32 v9, s2, v1
	s_delay_alu instid0(VALU_DEP_3) | instskip(NEXT) | instid1(VALU_DEP_3)
	v_dual_cndmask_b32 v5, 0, v13 :: v_dual_cndmask_b32 v4, 0, v4
	v_mov_b32_e32 v1, v8
	global_store_b64 v9, v[4:5], s[6:7] scale_offset
	s_wait_xcnt 0x0
	s_or_b32 exec_lo, exec_lo, s0
	s_delay_alu instid0(SALU_CYCLE_1)
	s_mov_b32 s0, exec_lo
	v_cmpx_gt_i32_e64 s1, v1
	s_cbranch_execnz .LBB144_14
	s_branch .LBB144_15
	.section	.rodata,"a",@progbits
	.p2align	6, 0x0
	.amdhsa_kernel _ZN2at6native29vectorized_elementwise_kernelILi16EZZZNS0_12_GLOBAL__N_116addr_kernel_cudaERNS_14TensorIteratorERKN3c106ScalarES8_ENKUlvE_clEvENKUlvE7_clEvEUlNS5_7complexIfEESC_SC_E_St5arrayIPcLm4EEEEviT0_T1_
		.amdhsa_group_segment_fixed_size 0
		.amdhsa_private_segment_fixed_size 0
		.amdhsa_kernarg_size 48
		.amdhsa_user_sgpr_count 2
		.amdhsa_user_sgpr_dispatch_ptr 0
		.amdhsa_user_sgpr_queue_ptr 0
		.amdhsa_user_sgpr_kernarg_segment_ptr 1
		.amdhsa_user_sgpr_dispatch_id 0
		.amdhsa_user_sgpr_kernarg_preload_length 0
		.amdhsa_user_sgpr_kernarg_preload_offset 0
		.amdhsa_user_sgpr_private_segment_size 0
		.amdhsa_wavefront_size32 1
		.amdhsa_uses_dynamic_stack 0
		.amdhsa_enable_private_segment 0
		.amdhsa_system_sgpr_workgroup_id_x 1
		.amdhsa_system_sgpr_workgroup_id_y 0
		.amdhsa_system_sgpr_workgroup_id_z 0
		.amdhsa_system_sgpr_workgroup_info 0
		.amdhsa_system_vgpr_workitem_id 0
		.amdhsa_next_free_vgpr 34
		.amdhsa_next_free_sgpr 16
		.amdhsa_named_barrier_count 0
		.amdhsa_reserve_vcc 1
		.amdhsa_float_round_mode_32 0
		.amdhsa_float_round_mode_16_64 0
		.amdhsa_float_denorm_mode_32 3
		.amdhsa_float_denorm_mode_16_64 3
		.amdhsa_fp16_overflow 0
		.amdhsa_memory_ordered 1
		.amdhsa_forward_progress 1
		.amdhsa_inst_pref_size 12
		.amdhsa_round_robin_scheduling 0
		.amdhsa_exception_fp_ieee_invalid_op 0
		.amdhsa_exception_fp_denorm_src 0
		.amdhsa_exception_fp_ieee_div_zero 0
		.amdhsa_exception_fp_ieee_overflow 0
		.amdhsa_exception_fp_ieee_underflow 0
		.amdhsa_exception_fp_ieee_inexact 0
		.amdhsa_exception_int_div_zero 0
	.end_amdhsa_kernel
	.section	.text._ZN2at6native29vectorized_elementwise_kernelILi16EZZZNS0_12_GLOBAL__N_116addr_kernel_cudaERNS_14TensorIteratorERKN3c106ScalarES8_ENKUlvE_clEvENKUlvE7_clEvEUlNS5_7complexIfEESC_SC_E_St5arrayIPcLm4EEEEviT0_T1_,"axG",@progbits,_ZN2at6native29vectorized_elementwise_kernelILi16EZZZNS0_12_GLOBAL__N_116addr_kernel_cudaERNS_14TensorIteratorERKN3c106ScalarES8_ENKUlvE_clEvENKUlvE7_clEvEUlNS5_7complexIfEESC_SC_E_St5arrayIPcLm4EEEEviT0_T1_,comdat
.Lfunc_end144:
	.size	_ZN2at6native29vectorized_elementwise_kernelILi16EZZZNS0_12_GLOBAL__N_116addr_kernel_cudaERNS_14TensorIteratorERKN3c106ScalarES8_ENKUlvE_clEvENKUlvE7_clEvEUlNS5_7complexIfEESC_SC_E_St5arrayIPcLm4EEEEviT0_T1_, .Lfunc_end144-_ZN2at6native29vectorized_elementwise_kernelILi16EZZZNS0_12_GLOBAL__N_116addr_kernel_cudaERNS_14TensorIteratorERKN3c106ScalarES8_ENKUlvE_clEvENKUlvE7_clEvEUlNS5_7complexIfEESC_SC_E_St5arrayIPcLm4EEEEviT0_T1_
                                        ; -- End function
	.set _ZN2at6native29vectorized_elementwise_kernelILi16EZZZNS0_12_GLOBAL__N_116addr_kernel_cudaERNS_14TensorIteratorERKN3c106ScalarES8_ENKUlvE_clEvENKUlvE7_clEvEUlNS5_7complexIfEESC_SC_E_St5arrayIPcLm4EEEEviT0_T1_.num_vgpr, 34
	.set _ZN2at6native29vectorized_elementwise_kernelILi16EZZZNS0_12_GLOBAL__N_116addr_kernel_cudaERNS_14TensorIteratorERKN3c106ScalarES8_ENKUlvE_clEvENKUlvE7_clEvEUlNS5_7complexIfEESC_SC_E_St5arrayIPcLm4EEEEviT0_T1_.num_agpr, 0
	.set _ZN2at6native29vectorized_elementwise_kernelILi16EZZZNS0_12_GLOBAL__N_116addr_kernel_cudaERNS_14TensorIteratorERKN3c106ScalarES8_ENKUlvE_clEvENKUlvE7_clEvEUlNS5_7complexIfEESC_SC_E_St5arrayIPcLm4EEEEviT0_T1_.numbered_sgpr, 16
	.set _ZN2at6native29vectorized_elementwise_kernelILi16EZZZNS0_12_GLOBAL__N_116addr_kernel_cudaERNS_14TensorIteratorERKN3c106ScalarES8_ENKUlvE_clEvENKUlvE7_clEvEUlNS5_7complexIfEESC_SC_E_St5arrayIPcLm4EEEEviT0_T1_.num_named_barrier, 0
	.set _ZN2at6native29vectorized_elementwise_kernelILi16EZZZNS0_12_GLOBAL__N_116addr_kernel_cudaERNS_14TensorIteratorERKN3c106ScalarES8_ENKUlvE_clEvENKUlvE7_clEvEUlNS5_7complexIfEESC_SC_E_St5arrayIPcLm4EEEEviT0_T1_.private_seg_size, 0
	.set _ZN2at6native29vectorized_elementwise_kernelILi16EZZZNS0_12_GLOBAL__N_116addr_kernel_cudaERNS_14TensorIteratorERKN3c106ScalarES8_ENKUlvE_clEvENKUlvE7_clEvEUlNS5_7complexIfEESC_SC_E_St5arrayIPcLm4EEEEviT0_T1_.uses_vcc, 1
	.set _ZN2at6native29vectorized_elementwise_kernelILi16EZZZNS0_12_GLOBAL__N_116addr_kernel_cudaERNS_14TensorIteratorERKN3c106ScalarES8_ENKUlvE_clEvENKUlvE7_clEvEUlNS5_7complexIfEESC_SC_E_St5arrayIPcLm4EEEEviT0_T1_.uses_flat_scratch, 0
	.set _ZN2at6native29vectorized_elementwise_kernelILi16EZZZNS0_12_GLOBAL__N_116addr_kernel_cudaERNS_14TensorIteratorERKN3c106ScalarES8_ENKUlvE_clEvENKUlvE7_clEvEUlNS5_7complexIfEESC_SC_E_St5arrayIPcLm4EEEEviT0_T1_.has_dyn_sized_stack, 0
	.set _ZN2at6native29vectorized_elementwise_kernelILi16EZZZNS0_12_GLOBAL__N_116addr_kernel_cudaERNS_14TensorIteratorERKN3c106ScalarES8_ENKUlvE_clEvENKUlvE7_clEvEUlNS5_7complexIfEESC_SC_E_St5arrayIPcLm4EEEEviT0_T1_.has_recursion, 0
	.set _ZN2at6native29vectorized_elementwise_kernelILi16EZZZNS0_12_GLOBAL__N_116addr_kernel_cudaERNS_14TensorIteratorERKN3c106ScalarES8_ENKUlvE_clEvENKUlvE7_clEvEUlNS5_7complexIfEESC_SC_E_St5arrayIPcLm4EEEEviT0_T1_.has_indirect_call, 0
	.section	.AMDGPU.csdata,"",@progbits
; Kernel info:
; codeLenInByte = 1528
; TotalNumSgprs: 18
; NumVgprs: 34
; ScratchSize: 0
; MemoryBound: 0
; FloatMode: 240
; IeeeMode: 1
; LDSByteSize: 0 bytes/workgroup (compile time only)
; SGPRBlocks: 0
; VGPRBlocks: 2
; NumSGPRsForWavesPerEU: 18
; NumVGPRsForWavesPerEU: 34
; NamedBarCnt: 0
; Occupancy: 16
; WaveLimiterHint : 0
; COMPUTE_PGM_RSRC2:SCRATCH_EN: 0
; COMPUTE_PGM_RSRC2:USER_SGPR: 2
; COMPUTE_PGM_RSRC2:TRAP_HANDLER: 0
; COMPUTE_PGM_RSRC2:TGID_X_EN: 1
; COMPUTE_PGM_RSRC2:TGID_Y_EN: 0
; COMPUTE_PGM_RSRC2:TGID_Z_EN: 0
; COMPUTE_PGM_RSRC2:TIDIG_COMP_CNT: 0
	.section	.text._ZN2at6native29vectorized_elementwise_kernelILi8EZZZNS0_12_GLOBAL__N_116addr_kernel_cudaERNS_14TensorIteratorERKN3c106ScalarES8_ENKUlvE_clEvENKUlvE7_clEvEUlNS5_7complexIfEESC_SC_E_St5arrayIPcLm4EEEEviT0_T1_,"axG",@progbits,_ZN2at6native29vectorized_elementwise_kernelILi8EZZZNS0_12_GLOBAL__N_116addr_kernel_cudaERNS_14TensorIteratorERKN3c106ScalarES8_ENKUlvE_clEvENKUlvE7_clEvEUlNS5_7complexIfEESC_SC_E_St5arrayIPcLm4EEEEviT0_T1_,comdat
	.globl	_ZN2at6native29vectorized_elementwise_kernelILi8EZZZNS0_12_GLOBAL__N_116addr_kernel_cudaERNS_14TensorIteratorERKN3c106ScalarES8_ENKUlvE_clEvENKUlvE7_clEvEUlNS5_7complexIfEESC_SC_E_St5arrayIPcLm4EEEEviT0_T1_ ; -- Begin function _ZN2at6native29vectorized_elementwise_kernelILi8EZZZNS0_12_GLOBAL__N_116addr_kernel_cudaERNS_14TensorIteratorERKN3c106ScalarES8_ENKUlvE_clEvENKUlvE7_clEvEUlNS5_7complexIfEESC_SC_E_St5arrayIPcLm4EEEEviT0_T1_
	.p2align	8
	.type	_ZN2at6native29vectorized_elementwise_kernelILi8EZZZNS0_12_GLOBAL__N_116addr_kernel_cudaERNS_14TensorIteratorERKN3c106ScalarES8_ENKUlvE_clEvENKUlvE7_clEvEUlNS5_7complexIfEESC_SC_E_St5arrayIPcLm4EEEEviT0_T1_,@function
_ZN2at6native29vectorized_elementwise_kernelILi8EZZZNS0_12_GLOBAL__N_116addr_kernel_cudaERNS_14TensorIteratorERKN3c106ScalarES8_ENKUlvE_clEvENKUlvE7_clEvEUlNS5_7complexIfEESC_SC_E_St5arrayIPcLm4EEEEviT0_T1_: ; @_ZN2at6native29vectorized_elementwise_kernelILi8EZZZNS0_12_GLOBAL__N_116addr_kernel_cudaERNS_14TensorIteratorERKN3c106ScalarES8_ENKUlvE_clEvENKUlvE7_clEvEUlNS5_7complexIfEESC_SC_E_St5arrayIPcLm4EEEEviT0_T1_
; %bb.0:
	s_clause 0x2
	s_load_b32 s3, s[0:1], 0x0
	s_load_b128 s[4:7], s[0:1], 0x8
	s_load_b128 s[8:11], s[0:1], 0x20
	s_wait_xcnt 0x0
	s_bfe_u32 s0, ttmp6, 0x4000c
	s_and_b32 s1, ttmp6, 15
	s_add_co_i32 s0, s0, 1
	s_getreg_b32 s2, hwreg(HW_REG_IB_STS2, 6, 4)
	s_mul_i32 s0, ttmp9, s0
	s_delay_alu instid0(SALU_CYCLE_1) | instskip(SKIP_2) | instid1(SALU_CYCLE_1)
	s_add_co_i32 s1, s1, s0
	s_cmp_eq_u32 s2, 0
	s_cselect_b32 s0, ttmp9, s1
	s_lshl_b32 s2, s0, 10
	s_mov_b32 s0, -1
	s_wait_kmcnt 0x0
	s_sub_co_i32 s1, s3, s2
	s_delay_alu instid0(SALU_CYCLE_1)
	s_cmp_gt_i32 s1, 0x3ff
	s_cbranch_scc0 .LBB145_2
; %bb.1:
	s_ashr_i32 s3, s2, 31
	v_lshlrev_b32_e32 v1, 5, v0
	s_lshl_b64 s[12:13], s[2:3], 3
	v_mov_b64_e32 v[18:19], s[4:5]
	s_add_nc_u64 s[14:15], s[8:9], s[12:13]
	s_mov_b32 s0, 0
	s_clause 0x1
	global_load_b128 v[2:5], v1, s[14:15]
	global_load_b128 v[6:9], v1, s[14:15] offset:16
	s_wait_xcnt 0x0
	s_add_nc_u64 s[14:15], s[10:11], s[12:13]
	s_clause 0x1
	global_load_b128 v[10:13], v1, s[14:15]
	global_load_b128 v[14:17], v1, s[14:15] offset:16
	s_add_nc_u64 s[12:13], s[6:7], s[12:13]
	s_wait_loadcnt 0x3
	v_pk_mul_f32 v[20:21], v[2:3], v[18:19]
	v_pk_mul_f32 v[2:3], v[2:3], v[18:19] op_sel:[0,1] op_sel_hi:[1,0]
	v_pk_mul_f32 v[22:23], v[4:5], v[18:19]
	v_pk_mul_f32 v[4:5], v[4:5], v[18:19] op_sel:[0,1] op_sel_hi:[1,0]
	s_wait_loadcnt 0x0
	v_mov_b32_e32 v29, v16
	v_pk_mul_f32 v[24:25], v[6:7], v[18:19]
	v_add_f32_e32 v2, v2, v3
	v_pk_mul_f32 v[6:7], v[6:7], v[18:19] op_sel:[0,1] op_sel_hi:[1,0]
	v_pk_mul_f32 v[26:27], v[8:9], v[18:19]
	v_pk_mul_f32 v[8:9], v[8:9], v[18:19] op_sel:[0,1] op_sel_hi:[1,0]
	v_pk_add_f32 v[20:21], v[20:21], v[20:21] op_sel:[0,1] op_sel_hi:[0,1] neg_lo:[0,1] neg_hi:[0,1]
	v_pk_mul_f32 v[30:31], v[2:3], v[10:11] op_sel:[0,1] op_sel_hi:[0,0]
	v_dual_mov_b32 v18, v13 :: v_dual_mov_b32 v19, v12
	v_dual_mov_b32 v28, v17 :: v_dual_add_f32 v4, v4, v5
	v_add_f32_e32 v6, v6, v7
	s_delay_alu instid0(VALU_DEP_4)
	v_pk_fma_f32 v[2:3], v[20:21], v[10:11], v[30:31] neg_lo:[0,0,1] neg_hi:[0,0,1]
	v_pk_fma_f32 v[10:11], v[20:21], v[10:11], v[30:31]
	v_add_f32_e32 v8, v8, v9
	v_pk_add_f32 v[22:23], v[22:23], v[22:23] op_sel:[0,1] op_sel_hi:[0,1] neg_lo:[0,1] neg_hi:[0,1]
	v_pk_mul_f32 v[18:19], v[4:5], v[18:19] op_sel_hi:[0,1]
	v_pk_add_f32 v[24:25], v[24:25], v[24:25] op_sel:[0,1] op_sel_hi:[0,1] neg_lo:[0,1] neg_hi:[0,1]
	v_pk_add_f32 v[26:27], v[26:27], v[26:27] op_sel:[0,1] op_sel_hi:[0,1] neg_lo:[0,1] neg_hi:[0,1]
	v_pk_mul_f32 v[32:33], v[6:7], v[14:15] op_sel:[0,1] op_sel_hi:[0,0]
	v_mov_b32_e32 v3, v11
	v_pk_mul_f32 v[8:9], v[8:9], v[28:29] op_sel_hi:[0,1]
	v_pk_fma_f32 v[4:5], v[22:23], v[12:13], v[18:19] neg_lo:[0,0,1] neg_hi:[0,0,1]
	v_pk_fma_f32 v[12:13], v[22:23], v[12:13], v[18:19]
	v_pk_fma_f32 v[6:7], v[24:25], v[14:15], v[32:33] neg_lo:[0,0,1] neg_hi:[0,0,1]
	v_pk_fma_f32 v[14:15], v[24:25], v[14:15], v[32:33]
	v_pk_fma_f32 v[18:19], v[26:27], v[16:17], v[8:9]
	v_pk_fma_f32 v[8:9], v[26:27], v[16:17], v[8:9] neg_lo:[0,0,1] neg_hi:[0,0,1]
	s_delay_alu instid0(VALU_DEP_3) | instskip(NEXT) | instid1(VALU_DEP_3)
	v_dual_mov_b32 v5, v13 :: v_dual_mov_b32 v7, v15
	v_mov_b32_e32 v9, v19
	s_clause 0x1
	global_store_b128 v1, v[2:5], s[12:13]
	global_store_b128 v1, v[6:9], s[12:13] offset:16
.LBB145_2:
	s_and_not1_b32 vcc_lo, exec_lo, s0
	s_cbranch_vccnz .LBB145_15
; %bb.3:
	s_wait_xcnt 0x0
	v_dual_mov_b32 v1, v0 :: v_dual_mov_b32 v4, 0
	v_cmp_gt_i32_e32 vcc_lo, s1, v0
	v_dual_mov_b32 v20, v0 :: v_dual_bitop2_b32 v19, s2, v0 bitop3:0x54
	v_or_b32_e32 v18, 0x100, v0
	v_dual_mov_b32 v12, 0 :: v_dual_mov_b32 v13, 0
	v_dual_mov_b32 v16, 0 :: v_dual_mov_b32 v17, 0
	s_and_saveexec_b32 s0, vcc_lo
	s_cbranch_execz .LBB145_5
; %bb.4:
	s_clause 0x1
	global_load_b64 v[16:17], v19, s[8:9] scale_offset
	global_load_b64 v[12:13], v19, s[10:11] scale_offset
	v_or_b32_e32 v20, 0x100, v0
.LBB145_5:
	s_wait_xcnt 0x0
	s_or_b32 exec_lo, exec_lo, s0
	v_dual_mov_b32 v5, 0 :: v_dual_mov_b32 v14, 0
	v_mov_b32_e32 v15, 0
	s_mov_b32 s3, exec_lo
	v_cmpx_gt_i32_e64 s1, v20
	s_cbranch_execz .LBB145_7
; %bb.6:
	v_add_nc_u32_e32 v2, s2, v20
	v_add_nc_u32_e32 v20, 0x100, v20
	s_clause 0x1
	global_load_b64 v[14:15], v2, s[8:9] scale_offset
	global_load_b64 v[4:5], v2, s[10:11] scale_offset
.LBB145_7:
	s_wait_xcnt 0x0
	s_or_b32 exec_lo, exec_lo, s3
	v_dual_mov_b32 v2, 0 :: v_dual_mov_b32 v8, 0
	v_dual_mov_b32 v9, 0 :: v_dual_mov_b32 v10, 0
	v_mov_b32_e32 v11, 0
	s_mov_b32 s3, exec_lo
	v_cmpx_gt_i32_e64 s1, v20
	s_cbranch_execz .LBB145_9
; %bb.8:
	v_add_nc_u32_e32 v3, s2, v20
	v_add_nc_u32_e32 v20, 0x100, v20
	s_clause 0x1
	global_load_b64 v[10:11], v3, s[8:9] scale_offset
	global_load_b64 v[8:9], v3, s[10:11] scale_offset
.LBB145_9:
	s_wait_xcnt 0x0
	s_or_b32 exec_lo, exec_lo, s3
	v_dual_mov_b32 v3, 0 :: v_dual_mov_b32 v6, 0
	v_mov_b32_e32 v7, 0
	s_mov_b32 s3, exec_lo
	v_cmpx_gt_i32_e64 s1, v20
	s_cbranch_execnz .LBB145_16
; %bb.10:
	s_or_b32 exec_lo, exec_lo, s3
	s_and_saveexec_b32 s0, vcc_lo
	s_cbranch_execnz .LBB145_17
.LBB145_11:
	s_or_b32 exec_lo, exec_lo, s0
	s_delay_alu instid0(SALU_CYCLE_1)
	s_mov_b32 s0, exec_lo
	v_cmpx_gt_i32_e64 s1, v1
	s_cbranch_execnz .LBB145_18
.LBB145_12:
	s_or_b32 exec_lo, exec_lo, s0
	s_delay_alu instid0(SALU_CYCLE_1)
	s_mov_b32 s0, exec_lo
	v_cmpx_gt_i32_e64 s1, v1
	s_cbranch_execnz .LBB145_19
.LBB145_13:
	s_or_b32 exec_lo, exec_lo, s0
	s_delay_alu instid0(SALU_CYCLE_1)
	s_mov_b32 s0, exec_lo
	v_cmpx_gt_i32_e64 s1, v1
	s_cbranch_execz .LBB145_15
.LBB145_14:
	s_wait_loadcnt 0x0
	v_mov_b64_e32 v[8:9], s[4:5]
	v_dual_mov_b32 v4, v7 :: v_dual_mov_b32 v5, v6
	v_or_b32_e32 v0, 0x300, v0
	v_dual_mov_b32 v10, v3 :: v_dual_mov_b32 v11, v2
	s_delay_alu instid0(VALU_DEP_3) | instskip(SKIP_1) | instid1(VALU_DEP_4)
	v_pk_mul_f32 v[4:5], v[4:5], v[8:9]
	v_pk_mul_f32 v[6:7], v[6:7], v[8:9]
	v_cmp_gt_i32_e32 vcc_lo, s1, v0
	v_add_nc_u32_e32 v0, s2, v1
	s_delay_alu instid0(VALU_DEP_4) | instskip(NEXT) | instid1(VALU_DEP_4)
	v_add_f32_e32 v4, v4, v5
	v_pk_add_f32 v[6:7], v[6:7], v[6:7] op_sel:[0,1] op_sel_hi:[0,1] neg_lo:[0,1] neg_hi:[0,1]
	s_delay_alu instid0(VALU_DEP_2) | instskip(NEXT) | instid1(VALU_DEP_1)
	v_pk_mul_f32 v[4:5], v[10:11], v[4:5] op_sel_hi:[1,0]
	v_pk_fma_f32 v[8:9], v[2:3], v[6:7], v[4:5] neg_lo:[0,0,1] neg_hi:[0,0,1]
	v_pk_fma_f32 v[2:3], v[2:3], v[6:7], v[4:5]
	s_delay_alu instid0(VALU_DEP_1)
	v_dual_cndmask_b32 v2, 0, v8 :: v_dual_cndmask_b32 v3, 0, v3
	global_store_b64 v0, v[2:3], s[6:7] scale_offset
.LBB145_15:
	s_endpgm
.LBB145_16:
	v_add_nc_u32_e32 v20, s2, v20
	s_clause 0x1
	global_load_b64 v[6:7], v20, s[8:9] scale_offset
	global_load_b64 v[2:3], v20, s[10:11] scale_offset
	s_wait_xcnt 0x0
	s_or_b32 exec_lo, exec_lo, s3
	s_and_saveexec_b32 s0, vcc_lo
	s_cbranch_execz .LBB145_11
.LBB145_17:
	v_mov_b64_e32 v[22:23], s[4:5]
	s_wait_loadcnt 0x1
	v_dual_mov_b32 v20, v17 :: v_dual_mov_b32 v21, v16
	v_mov_b32_e32 v1, v18
	s_delay_alu instid0(VALU_DEP_2) | instskip(SKIP_3) | instid1(VALU_DEP_3)
	v_pk_mul_f32 v[20:21], v[20:21], v[22:23]
	v_pk_mul_f32 v[16:17], v[16:17], v[22:23]
	s_wait_loadcnt 0x0
	v_dual_mov_b32 v22, v13 :: v_dual_mov_b32 v23, v12
	v_add_f32_e32 v20, v20, v21
	s_delay_alu instid0(VALU_DEP_3) | instskip(NEXT) | instid1(VALU_DEP_2)
	v_pk_add_f32 v[16:17], v[16:17], v[16:17] op_sel:[0,1] op_sel_hi:[0,1] neg_lo:[0,1] neg_hi:[0,1]
	v_pk_mul_f32 v[20:21], v[22:23], v[20:21] op_sel_hi:[1,0]
	s_delay_alu instid0(VALU_DEP_1) | instskip(SKIP_1) | instid1(VALU_DEP_2)
	v_pk_fma_f32 v[22:23], v[12:13], v[16:17], v[20:21]
	v_pk_fma_f32 v[12:13], v[12:13], v[16:17], v[20:21] neg_lo:[0,0,1] neg_hi:[0,0,1]
	v_mov_b32_e32 v13, v23
	global_store_b64 v19, v[12:13], s[6:7] scale_offset
	s_wait_xcnt 0x0
	s_or_b32 exec_lo, exec_lo, s0
	s_delay_alu instid0(SALU_CYCLE_1)
	s_mov_b32 s0, exec_lo
	v_cmpx_gt_i32_e64 s1, v1
	s_cbranch_execz .LBB145_12
.LBB145_18:
	s_wait_loadcnt 0x1
	v_mov_b64_e32 v[16:17], s[4:5]
	s_wait_loadcnt 0x0
	v_dual_mov_b32 v12, v15 :: v_dual_mov_b32 v13, v14
	v_dual_mov_b32 v20, v5 :: v_dual_mov_b32 v21, v4
	v_cmp_gt_i32_e32 vcc_lo, s1, v18
	s_delay_alu instid0(VALU_DEP_3) | instskip(SKIP_1) | instid1(VALU_DEP_2)
	v_pk_mul_f32 v[12:13], v[12:13], v[16:17]
	v_pk_mul_f32 v[14:15], v[14:15], v[16:17]
	v_add_f32_e32 v12, v12, v13
	s_delay_alu instid0(VALU_DEP_2) | instskip(NEXT) | instid1(VALU_DEP_2)
	v_pk_add_f32 v[14:15], v[14:15], v[14:15] op_sel:[0,1] op_sel_hi:[0,1] neg_lo:[0,1] neg_hi:[0,1]
	v_pk_mul_f32 v[12:13], v[20:21], v[12:13] op_sel_hi:[1,0]
	s_delay_alu instid0(VALU_DEP_1) | instskip(SKIP_3) | instid1(VALU_DEP_3)
	v_pk_fma_f32 v[16:17], v[4:5], v[14:15], v[12:13]
	v_pk_fma_f32 v[4:5], v[4:5], v[14:15], v[12:13] neg_lo:[0,0,1] neg_hi:[0,0,1]
	v_add_nc_u32_e32 v12, 0x100, v1
	v_add_nc_u32_e32 v13, s2, v1
	v_dual_cndmask_b32 v5, 0, v17 :: v_dual_cndmask_b32 v4, 0, v4
	s_delay_alu instid0(VALU_DEP_3) | instskip(SKIP_3) | instid1(SALU_CYCLE_1)
	v_mov_b32_e32 v1, v12
	global_store_b64 v13, v[4:5], s[6:7] scale_offset
	s_wait_xcnt 0x0
	s_or_b32 exec_lo, exec_lo, s0
	s_mov_b32 s0, exec_lo
	v_cmpx_gt_i32_e64 s1, v1
	s_cbranch_execz .LBB145_13
.LBB145_19:
	s_wait_loadcnt 0x0
	v_mov_b64_e32 v[12:13], s[4:5]
	v_dual_mov_b32 v4, v11 :: v_dual_mov_b32 v5, v10
	v_dual_mov_b32 v14, v9 :: v_dual_mov_b32 v15, v8
	s_delay_alu instid0(VALU_DEP_2) | instskip(SKIP_1) | instid1(VALU_DEP_2)
	v_pk_mul_f32 v[4:5], v[4:5], v[12:13]
	v_pk_mul_f32 v[10:11], v[10:11], v[12:13]
	v_add_f32_e32 v4, v4, v5
	s_delay_alu instid0(VALU_DEP_2) | instskip(NEXT) | instid1(VALU_DEP_2)
	v_pk_add_f32 v[10:11], v[10:11], v[10:11] op_sel:[0,1] op_sel_hi:[0,1] neg_lo:[0,1] neg_hi:[0,1]
	v_pk_mul_f32 v[4:5], v[14:15], v[4:5] op_sel_hi:[1,0]
	v_or_b32_e32 v14, 0x200, v0
	s_delay_alu instid0(VALU_DEP_2) | instskip(NEXT) | instid1(VALU_DEP_2)
	v_pk_fma_f32 v[12:13], v[8:9], v[10:11], v[4:5]
	v_cmp_gt_i32_e32 vcc_lo, s1, v14
	v_pk_fma_f32 v[4:5], v[8:9], v[10:11], v[4:5] neg_lo:[0,0,1] neg_hi:[0,0,1]
	v_add_nc_u32_e32 v8, 0x100, v1
	v_add_nc_u32_e32 v9, s2, v1
	s_delay_alu instid0(VALU_DEP_3) | instskip(NEXT) | instid1(VALU_DEP_3)
	v_dual_cndmask_b32 v5, 0, v13 :: v_dual_cndmask_b32 v4, 0, v4
	v_mov_b32_e32 v1, v8
	global_store_b64 v9, v[4:5], s[6:7] scale_offset
	s_wait_xcnt 0x0
	s_or_b32 exec_lo, exec_lo, s0
	s_delay_alu instid0(SALU_CYCLE_1)
	s_mov_b32 s0, exec_lo
	v_cmpx_gt_i32_e64 s1, v1
	s_cbranch_execnz .LBB145_14
	s_branch .LBB145_15
	.section	.rodata,"a",@progbits
	.p2align	6, 0x0
	.amdhsa_kernel _ZN2at6native29vectorized_elementwise_kernelILi8EZZZNS0_12_GLOBAL__N_116addr_kernel_cudaERNS_14TensorIteratorERKN3c106ScalarES8_ENKUlvE_clEvENKUlvE7_clEvEUlNS5_7complexIfEESC_SC_E_St5arrayIPcLm4EEEEviT0_T1_
		.amdhsa_group_segment_fixed_size 0
		.amdhsa_private_segment_fixed_size 0
		.amdhsa_kernarg_size 48
		.amdhsa_user_sgpr_count 2
		.amdhsa_user_sgpr_dispatch_ptr 0
		.amdhsa_user_sgpr_queue_ptr 0
		.amdhsa_user_sgpr_kernarg_segment_ptr 1
		.amdhsa_user_sgpr_dispatch_id 0
		.amdhsa_user_sgpr_kernarg_preload_length 0
		.amdhsa_user_sgpr_kernarg_preload_offset 0
		.amdhsa_user_sgpr_private_segment_size 0
		.amdhsa_wavefront_size32 1
		.amdhsa_uses_dynamic_stack 0
		.amdhsa_enable_private_segment 0
		.amdhsa_system_sgpr_workgroup_id_x 1
		.amdhsa_system_sgpr_workgroup_id_y 0
		.amdhsa_system_sgpr_workgroup_id_z 0
		.amdhsa_system_sgpr_workgroup_info 0
		.amdhsa_system_vgpr_workitem_id 0
		.amdhsa_next_free_vgpr 34
		.amdhsa_next_free_sgpr 16
		.amdhsa_named_barrier_count 0
		.amdhsa_reserve_vcc 1
		.amdhsa_float_round_mode_32 0
		.amdhsa_float_round_mode_16_64 0
		.amdhsa_float_denorm_mode_32 3
		.amdhsa_float_denorm_mode_16_64 3
		.amdhsa_fp16_overflow 0
		.amdhsa_memory_ordered 1
		.amdhsa_forward_progress 1
		.amdhsa_inst_pref_size 12
		.amdhsa_round_robin_scheduling 0
		.amdhsa_exception_fp_ieee_invalid_op 0
		.amdhsa_exception_fp_denorm_src 0
		.amdhsa_exception_fp_ieee_div_zero 0
		.amdhsa_exception_fp_ieee_overflow 0
		.amdhsa_exception_fp_ieee_underflow 0
		.amdhsa_exception_fp_ieee_inexact 0
		.amdhsa_exception_int_div_zero 0
	.end_amdhsa_kernel
	.section	.text._ZN2at6native29vectorized_elementwise_kernelILi8EZZZNS0_12_GLOBAL__N_116addr_kernel_cudaERNS_14TensorIteratorERKN3c106ScalarES8_ENKUlvE_clEvENKUlvE7_clEvEUlNS5_7complexIfEESC_SC_E_St5arrayIPcLm4EEEEviT0_T1_,"axG",@progbits,_ZN2at6native29vectorized_elementwise_kernelILi8EZZZNS0_12_GLOBAL__N_116addr_kernel_cudaERNS_14TensorIteratorERKN3c106ScalarES8_ENKUlvE_clEvENKUlvE7_clEvEUlNS5_7complexIfEESC_SC_E_St5arrayIPcLm4EEEEviT0_T1_,comdat
.Lfunc_end145:
	.size	_ZN2at6native29vectorized_elementwise_kernelILi8EZZZNS0_12_GLOBAL__N_116addr_kernel_cudaERNS_14TensorIteratorERKN3c106ScalarES8_ENKUlvE_clEvENKUlvE7_clEvEUlNS5_7complexIfEESC_SC_E_St5arrayIPcLm4EEEEviT0_T1_, .Lfunc_end145-_ZN2at6native29vectorized_elementwise_kernelILi8EZZZNS0_12_GLOBAL__N_116addr_kernel_cudaERNS_14TensorIteratorERKN3c106ScalarES8_ENKUlvE_clEvENKUlvE7_clEvEUlNS5_7complexIfEESC_SC_E_St5arrayIPcLm4EEEEviT0_T1_
                                        ; -- End function
	.set _ZN2at6native29vectorized_elementwise_kernelILi8EZZZNS0_12_GLOBAL__N_116addr_kernel_cudaERNS_14TensorIteratorERKN3c106ScalarES8_ENKUlvE_clEvENKUlvE7_clEvEUlNS5_7complexIfEESC_SC_E_St5arrayIPcLm4EEEEviT0_T1_.num_vgpr, 34
	.set _ZN2at6native29vectorized_elementwise_kernelILi8EZZZNS0_12_GLOBAL__N_116addr_kernel_cudaERNS_14TensorIteratorERKN3c106ScalarES8_ENKUlvE_clEvENKUlvE7_clEvEUlNS5_7complexIfEESC_SC_E_St5arrayIPcLm4EEEEviT0_T1_.num_agpr, 0
	.set _ZN2at6native29vectorized_elementwise_kernelILi8EZZZNS0_12_GLOBAL__N_116addr_kernel_cudaERNS_14TensorIteratorERKN3c106ScalarES8_ENKUlvE_clEvENKUlvE7_clEvEUlNS5_7complexIfEESC_SC_E_St5arrayIPcLm4EEEEviT0_T1_.numbered_sgpr, 16
	.set _ZN2at6native29vectorized_elementwise_kernelILi8EZZZNS0_12_GLOBAL__N_116addr_kernel_cudaERNS_14TensorIteratorERKN3c106ScalarES8_ENKUlvE_clEvENKUlvE7_clEvEUlNS5_7complexIfEESC_SC_E_St5arrayIPcLm4EEEEviT0_T1_.num_named_barrier, 0
	.set _ZN2at6native29vectorized_elementwise_kernelILi8EZZZNS0_12_GLOBAL__N_116addr_kernel_cudaERNS_14TensorIteratorERKN3c106ScalarES8_ENKUlvE_clEvENKUlvE7_clEvEUlNS5_7complexIfEESC_SC_E_St5arrayIPcLm4EEEEviT0_T1_.private_seg_size, 0
	.set _ZN2at6native29vectorized_elementwise_kernelILi8EZZZNS0_12_GLOBAL__N_116addr_kernel_cudaERNS_14TensorIteratorERKN3c106ScalarES8_ENKUlvE_clEvENKUlvE7_clEvEUlNS5_7complexIfEESC_SC_E_St5arrayIPcLm4EEEEviT0_T1_.uses_vcc, 1
	.set _ZN2at6native29vectorized_elementwise_kernelILi8EZZZNS0_12_GLOBAL__N_116addr_kernel_cudaERNS_14TensorIteratorERKN3c106ScalarES8_ENKUlvE_clEvENKUlvE7_clEvEUlNS5_7complexIfEESC_SC_E_St5arrayIPcLm4EEEEviT0_T1_.uses_flat_scratch, 0
	.set _ZN2at6native29vectorized_elementwise_kernelILi8EZZZNS0_12_GLOBAL__N_116addr_kernel_cudaERNS_14TensorIteratorERKN3c106ScalarES8_ENKUlvE_clEvENKUlvE7_clEvEUlNS5_7complexIfEESC_SC_E_St5arrayIPcLm4EEEEviT0_T1_.has_dyn_sized_stack, 0
	.set _ZN2at6native29vectorized_elementwise_kernelILi8EZZZNS0_12_GLOBAL__N_116addr_kernel_cudaERNS_14TensorIteratorERKN3c106ScalarES8_ENKUlvE_clEvENKUlvE7_clEvEUlNS5_7complexIfEESC_SC_E_St5arrayIPcLm4EEEEviT0_T1_.has_recursion, 0
	.set _ZN2at6native29vectorized_elementwise_kernelILi8EZZZNS0_12_GLOBAL__N_116addr_kernel_cudaERNS_14TensorIteratorERKN3c106ScalarES8_ENKUlvE_clEvENKUlvE7_clEvEUlNS5_7complexIfEESC_SC_E_St5arrayIPcLm4EEEEviT0_T1_.has_indirect_call, 0
	.section	.AMDGPU.csdata,"",@progbits
; Kernel info:
; codeLenInByte = 1528
; TotalNumSgprs: 18
; NumVgprs: 34
; ScratchSize: 0
; MemoryBound: 0
; FloatMode: 240
; IeeeMode: 1
; LDSByteSize: 0 bytes/workgroup (compile time only)
; SGPRBlocks: 0
; VGPRBlocks: 2
; NumSGPRsForWavesPerEU: 18
; NumVGPRsForWavesPerEU: 34
; NamedBarCnt: 0
; Occupancy: 16
; WaveLimiterHint : 0
; COMPUTE_PGM_RSRC2:SCRATCH_EN: 0
; COMPUTE_PGM_RSRC2:USER_SGPR: 2
; COMPUTE_PGM_RSRC2:TRAP_HANDLER: 0
; COMPUTE_PGM_RSRC2:TGID_X_EN: 1
; COMPUTE_PGM_RSRC2:TGID_Y_EN: 0
; COMPUTE_PGM_RSRC2:TGID_Z_EN: 0
; COMPUTE_PGM_RSRC2:TIDIG_COMP_CNT: 0
	.section	.text._ZN2at6native29vectorized_elementwise_kernelILi4EZZZNS0_12_GLOBAL__N_116addr_kernel_cudaERNS_14TensorIteratorERKN3c106ScalarES8_ENKUlvE_clEvENKUlvE7_clEvEUlNS5_7complexIfEESC_SC_E_St5arrayIPcLm4EEEEviT0_T1_,"axG",@progbits,_ZN2at6native29vectorized_elementwise_kernelILi4EZZZNS0_12_GLOBAL__N_116addr_kernel_cudaERNS_14TensorIteratorERKN3c106ScalarES8_ENKUlvE_clEvENKUlvE7_clEvEUlNS5_7complexIfEESC_SC_E_St5arrayIPcLm4EEEEviT0_T1_,comdat
	.globl	_ZN2at6native29vectorized_elementwise_kernelILi4EZZZNS0_12_GLOBAL__N_116addr_kernel_cudaERNS_14TensorIteratorERKN3c106ScalarES8_ENKUlvE_clEvENKUlvE7_clEvEUlNS5_7complexIfEESC_SC_E_St5arrayIPcLm4EEEEviT0_T1_ ; -- Begin function _ZN2at6native29vectorized_elementwise_kernelILi4EZZZNS0_12_GLOBAL__N_116addr_kernel_cudaERNS_14TensorIteratorERKN3c106ScalarES8_ENKUlvE_clEvENKUlvE7_clEvEUlNS5_7complexIfEESC_SC_E_St5arrayIPcLm4EEEEviT0_T1_
	.p2align	8
	.type	_ZN2at6native29vectorized_elementwise_kernelILi4EZZZNS0_12_GLOBAL__N_116addr_kernel_cudaERNS_14TensorIteratorERKN3c106ScalarES8_ENKUlvE_clEvENKUlvE7_clEvEUlNS5_7complexIfEESC_SC_E_St5arrayIPcLm4EEEEviT0_T1_,@function
_ZN2at6native29vectorized_elementwise_kernelILi4EZZZNS0_12_GLOBAL__N_116addr_kernel_cudaERNS_14TensorIteratorERKN3c106ScalarES8_ENKUlvE_clEvENKUlvE7_clEvEUlNS5_7complexIfEESC_SC_E_St5arrayIPcLm4EEEEviT0_T1_: ; @_ZN2at6native29vectorized_elementwise_kernelILi4EZZZNS0_12_GLOBAL__N_116addr_kernel_cudaERNS_14TensorIteratorERKN3c106ScalarES8_ENKUlvE_clEvENKUlvE7_clEvEUlNS5_7complexIfEESC_SC_E_St5arrayIPcLm4EEEEviT0_T1_
; %bb.0:
	s_clause 0x2
	s_load_b32 s3, s[0:1], 0x0
	s_load_b128 s[4:7], s[0:1], 0x8
	s_load_b128 s[8:11], s[0:1], 0x20
	s_wait_xcnt 0x0
	s_bfe_u32 s0, ttmp6, 0x4000c
	s_and_b32 s1, ttmp6, 15
	s_add_co_i32 s0, s0, 1
	s_getreg_b32 s2, hwreg(HW_REG_IB_STS2, 6, 4)
	s_mul_i32 s0, ttmp9, s0
	s_delay_alu instid0(SALU_CYCLE_1) | instskip(SKIP_2) | instid1(SALU_CYCLE_1)
	s_add_co_i32 s1, s1, s0
	s_cmp_eq_u32 s2, 0
	s_cselect_b32 s0, ttmp9, s1
	s_lshl_b32 s2, s0, 10
	s_mov_b32 s0, -1
	s_wait_kmcnt 0x0
	s_sub_co_i32 s1, s3, s2
	s_delay_alu instid0(SALU_CYCLE_1)
	s_cmp_gt_i32 s1, 0x3ff
	s_cbranch_scc0 .LBB146_2
; %bb.1:
	s_ashr_i32 s3, s2, 31
	v_lshlrev_b32_e32 v1, 5, v0
	s_lshl_b64 s[12:13], s[2:3], 3
	v_mov_b64_e32 v[18:19], s[4:5]
	s_add_nc_u64 s[14:15], s[8:9], s[12:13]
	s_mov_b32 s0, 0
	s_clause 0x1
	global_load_b128 v[2:5], v1, s[14:15]
	global_load_b128 v[6:9], v1, s[14:15] offset:16
	s_wait_xcnt 0x0
	s_add_nc_u64 s[14:15], s[10:11], s[12:13]
	s_clause 0x1
	global_load_b128 v[10:13], v1, s[14:15]
	global_load_b128 v[14:17], v1, s[14:15] offset:16
	s_add_nc_u64 s[12:13], s[6:7], s[12:13]
	s_wait_loadcnt 0x3
	v_pk_mul_f32 v[20:21], v[2:3], v[18:19]
	v_pk_mul_f32 v[2:3], v[2:3], v[18:19] op_sel:[0,1] op_sel_hi:[1,0]
	v_pk_mul_f32 v[22:23], v[4:5], v[18:19]
	v_pk_mul_f32 v[4:5], v[4:5], v[18:19] op_sel:[0,1] op_sel_hi:[1,0]
	s_wait_loadcnt 0x0
	v_mov_b32_e32 v29, v16
	v_pk_mul_f32 v[24:25], v[6:7], v[18:19]
	v_add_f32_e32 v2, v2, v3
	v_pk_mul_f32 v[6:7], v[6:7], v[18:19] op_sel:[0,1] op_sel_hi:[1,0]
	v_pk_mul_f32 v[26:27], v[8:9], v[18:19]
	v_pk_mul_f32 v[8:9], v[8:9], v[18:19] op_sel:[0,1] op_sel_hi:[1,0]
	v_pk_add_f32 v[20:21], v[20:21], v[20:21] op_sel:[0,1] op_sel_hi:[0,1] neg_lo:[0,1] neg_hi:[0,1]
	v_pk_mul_f32 v[30:31], v[2:3], v[10:11] op_sel:[0,1] op_sel_hi:[0,0]
	v_dual_mov_b32 v18, v13 :: v_dual_mov_b32 v19, v12
	v_dual_mov_b32 v28, v17 :: v_dual_add_f32 v4, v4, v5
	v_add_f32_e32 v6, v6, v7
	s_delay_alu instid0(VALU_DEP_4)
	v_pk_fma_f32 v[2:3], v[20:21], v[10:11], v[30:31] neg_lo:[0,0,1] neg_hi:[0,0,1]
	v_pk_fma_f32 v[10:11], v[20:21], v[10:11], v[30:31]
	v_add_f32_e32 v8, v8, v9
	v_pk_add_f32 v[22:23], v[22:23], v[22:23] op_sel:[0,1] op_sel_hi:[0,1] neg_lo:[0,1] neg_hi:[0,1]
	v_pk_mul_f32 v[18:19], v[4:5], v[18:19] op_sel_hi:[0,1]
	v_pk_add_f32 v[24:25], v[24:25], v[24:25] op_sel:[0,1] op_sel_hi:[0,1] neg_lo:[0,1] neg_hi:[0,1]
	v_pk_add_f32 v[26:27], v[26:27], v[26:27] op_sel:[0,1] op_sel_hi:[0,1] neg_lo:[0,1] neg_hi:[0,1]
	v_pk_mul_f32 v[32:33], v[6:7], v[14:15] op_sel:[0,1] op_sel_hi:[0,0]
	v_mov_b32_e32 v3, v11
	v_pk_mul_f32 v[8:9], v[8:9], v[28:29] op_sel_hi:[0,1]
	v_pk_fma_f32 v[4:5], v[22:23], v[12:13], v[18:19] neg_lo:[0,0,1] neg_hi:[0,0,1]
	v_pk_fma_f32 v[12:13], v[22:23], v[12:13], v[18:19]
	v_pk_fma_f32 v[6:7], v[24:25], v[14:15], v[32:33] neg_lo:[0,0,1] neg_hi:[0,0,1]
	v_pk_fma_f32 v[14:15], v[24:25], v[14:15], v[32:33]
	v_pk_fma_f32 v[18:19], v[26:27], v[16:17], v[8:9]
	v_pk_fma_f32 v[8:9], v[26:27], v[16:17], v[8:9] neg_lo:[0,0,1] neg_hi:[0,0,1]
	s_delay_alu instid0(VALU_DEP_3) | instskip(NEXT) | instid1(VALU_DEP_3)
	v_dual_mov_b32 v5, v13 :: v_dual_mov_b32 v7, v15
	v_mov_b32_e32 v9, v19
	s_clause 0x1
	global_store_b128 v1, v[2:5], s[12:13]
	global_store_b128 v1, v[6:9], s[12:13] offset:16
.LBB146_2:
	s_and_not1_b32 vcc_lo, exec_lo, s0
	s_cbranch_vccnz .LBB146_15
; %bb.3:
	s_wait_xcnt 0x0
	v_dual_mov_b32 v1, v0 :: v_dual_mov_b32 v4, 0
	v_cmp_gt_i32_e32 vcc_lo, s1, v0
	v_dual_mov_b32 v20, v0 :: v_dual_bitop2_b32 v19, s2, v0 bitop3:0x54
	v_or_b32_e32 v18, 0x100, v0
	v_dual_mov_b32 v12, 0 :: v_dual_mov_b32 v13, 0
	v_dual_mov_b32 v16, 0 :: v_dual_mov_b32 v17, 0
	s_and_saveexec_b32 s0, vcc_lo
	s_cbranch_execz .LBB146_5
; %bb.4:
	s_clause 0x1
	global_load_b64 v[16:17], v19, s[8:9] scale_offset
	global_load_b64 v[12:13], v19, s[10:11] scale_offset
	v_or_b32_e32 v20, 0x100, v0
.LBB146_5:
	s_wait_xcnt 0x0
	s_or_b32 exec_lo, exec_lo, s0
	v_dual_mov_b32 v5, 0 :: v_dual_mov_b32 v14, 0
	v_mov_b32_e32 v15, 0
	s_mov_b32 s3, exec_lo
	v_cmpx_gt_i32_e64 s1, v20
	s_cbranch_execz .LBB146_7
; %bb.6:
	v_add_nc_u32_e32 v2, s2, v20
	v_add_nc_u32_e32 v20, 0x100, v20
	s_clause 0x1
	global_load_b64 v[14:15], v2, s[8:9] scale_offset
	global_load_b64 v[4:5], v2, s[10:11] scale_offset
.LBB146_7:
	s_wait_xcnt 0x0
	s_or_b32 exec_lo, exec_lo, s3
	v_dual_mov_b32 v2, 0 :: v_dual_mov_b32 v8, 0
	v_dual_mov_b32 v9, 0 :: v_dual_mov_b32 v10, 0
	v_mov_b32_e32 v11, 0
	s_mov_b32 s3, exec_lo
	v_cmpx_gt_i32_e64 s1, v20
	s_cbranch_execz .LBB146_9
; %bb.8:
	v_add_nc_u32_e32 v3, s2, v20
	v_add_nc_u32_e32 v20, 0x100, v20
	s_clause 0x1
	global_load_b64 v[10:11], v3, s[8:9] scale_offset
	global_load_b64 v[8:9], v3, s[10:11] scale_offset
.LBB146_9:
	s_wait_xcnt 0x0
	s_or_b32 exec_lo, exec_lo, s3
	v_dual_mov_b32 v3, 0 :: v_dual_mov_b32 v6, 0
	v_mov_b32_e32 v7, 0
	s_mov_b32 s3, exec_lo
	v_cmpx_gt_i32_e64 s1, v20
	s_cbranch_execnz .LBB146_16
; %bb.10:
	s_or_b32 exec_lo, exec_lo, s3
	s_and_saveexec_b32 s0, vcc_lo
	s_cbranch_execnz .LBB146_17
.LBB146_11:
	s_or_b32 exec_lo, exec_lo, s0
	s_delay_alu instid0(SALU_CYCLE_1)
	s_mov_b32 s0, exec_lo
	v_cmpx_gt_i32_e64 s1, v1
	s_cbranch_execnz .LBB146_18
.LBB146_12:
	s_or_b32 exec_lo, exec_lo, s0
	s_delay_alu instid0(SALU_CYCLE_1)
	s_mov_b32 s0, exec_lo
	v_cmpx_gt_i32_e64 s1, v1
	s_cbranch_execnz .LBB146_19
.LBB146_13:
	s_or_b32 exec_lo, exec_lo, s0
	s_delay_alu instid0(SALU_CYCLE_1)
	s_mov_b32 s0, exec_lo
	v_cmpx_gt_i32_e64 s1, v1
	s_cbranch_execz .LBB146_15
.LBB146_14:
	s_wait_loadcnt 0x0
	v_mov_b64_e32 v[8:9], s[4:5]
	v_dual_mov_b32 v4, v7 :: v_dual_mov_b32 v5, v6
	v_or_b32_e32 v0, 0x300, v0
	v_dual_mov_b32 v10, v3 :: v_dual_mov_b32 v11, v2
	s_delay_alu instid0(VALU_DEP_3) | instskip(SKIP_1) | instid1(VALU_DEP_4)
	v_pk_mul_f32 v[4:5], v[4:5], v[8:9]
	v_pk_mul_f32 v[6:7], v[6:7], v[8:9]
	v_cmp_gt_i32_e32 vcc_lo, s1, v0
	v_add_nc_u32_e32 v0, s2, v1
	s_delay_alu instid0(VALU_DEP_4) | instskip(NEXT) | instid1(VALU_DEP_4)
	v_add_f32_e32 v4, v4, v5
	v_pk_add_f32 v[6:7], v[6:7], v[6:7] op_sel:[0,1] op_sel_hi:[0,1] neg_lo:[0,1] neg_hi:[0,1]
	s_delay_alu instid0(VALU_DEP_2) | instskip(NEXT) | instid1(VALU_DEP_1)
	v_pk_mul_f32 v[4:5], v[10:11], v[4:5] op_sel_hi:[1,0]
	v_pk_fma_f32 v[8:9], v[2:3], v[6:7], v[4:5] neg_lo:[0,0,1] neg_hi:[0,0,1]
	v_pk_fma_f32 v[2:3], v[2:3], v[6:7], v[4:5]
	s_delay_alu instid0(VALU_DEP_1)
	v_dual_cndmask_b32 v2, 0, v8 :: v_dual_cndmask_b32 v3, 0, v3
	global_store_b64 v0, v[2:3], s[6:7] scale_offset
.LBB146_15:
	s_endpgm
.LBB146_16:
	v_add_nc_u32_e32 v20, s2, v20
	s_clause 0x1
	global_load_b64 v[6:7], v20, s[8:9] scale_offset
	global_load_b64 v[2:3], v20, s[10:11] scale_offset
	s_wait_xcnt 0x0
	s_or_b32 exec_lo, exec_lo, s3
	s_and_saveexec_b32 s0, vcc_lo
	s_cbranch_execz .LBB146_11
.LBB146_17:
	v_mov_b64_e32 v[22:23], s[4:5]
	s_wait_loadcnt 0x1
	v_dual_mov_b32 v20, v17 :: v_dual_mov_b32 v21, v16
	v_mov_b32_e32 v1, v18
	s_delay_alu instid0(VALU_DEP_2) | instskip(SKIP_3) | instid1(VALU_DEP_3)
	v_pk_mul_f32 v[20:21], v[20:21], v[22:23]
	v_pk_mul_f32 v[16:17], v[16:17], v[22:23]
	s_wait_loadcnt 0x0
	v_dual_mov_b32 v22, v13 :: v_dual_mov_b32 v23, v12
	v_add_f32_e32 v20, v20, v21
	s_delay_alu instid0(VALU_DEP_3) | instskip(NEXT) | instid1(VALU_DEP_2)
	v_pk_add_f32 v[16:17], v[16:17], v[16:17] op_sel:[0,1] op_sel_hi:[0,1] neg_lo:[0,1] neg_hi:[0,1]
	v_pk_mul_f32 v[20:21], v[22:23], v[20:21] op_sel_hi:[1,0]
	s_delay_alu instid0(VALU_DEP_1) | instskip(SKIP_1) | instid1(VALU_DEP_2)
	v_pk_fma_f32 v[22:23], v[12:13], v[16:17], v[20:21]
	v_pk_fma_f32 v[12:13], v[12:13], v[16:17], v[20:21] neg_lo:[0,0,1] neg_hi:[0,0,1]
	v_mov_b32_e32 v13, v23
	global_store_b64 v19, v[12:13], s[6:7] scale_offset
	s_wait_xcnt 0x0
	s_or_b32 exec_lo, exec_lo, s0
	s_delay_alu instid0(SALU_CYCLE_1)
	s_mov_b32 s0, exec_lo
	v_cmpx_gt_i32_e64 s1, v1
	s_cbranch_execz .LBB146_12
.LBB146_18:
	s_wait_loadcnt 0x1
	v_mov_b64_e32 v[16:17], s[4:5]
	s_wait_loadcnt 0x0
	v_dual_mov_b32 v12, v15 :: v_dual_mov_b32 v13, v14
	v_dual_mov_b32 v20, v5 :: v_dual_mov_b32 v21, v4
	v_cmp_gt_i32_e32 vcc_lo, s1, v18
	s_delay_alu instid0(VALU_DEP_3) | instskip(SKIP_1) | instid1(VALU_DEP_2)
	v_pk_mul_f32 v[12:13], v[12:13], v[16:17]
	v_pk_mul_f32 v[14:15], v[14:15], v[16:17]
	v_add_f32_e32 v12, v12, v13
	s_delay_alu instid0(VALU_DEP_2) | instskip(NEXT) | instid1(VALU_DEP_2)
	v_pk_add_f32 v[14:15], v[14:15], v[14:15] op_sel:[0,1] op_sel_hi:[0,1] neg_lo:[0,1] neg_hi:[0,1]
	v_pk_mul_f32 v[12:13], v[20:21], v[12:13] op_sel_hi:[1,0]
	s_delay_alu instid0(VALU_DEP_1) | instskip(SKIP_3) | instid1(VALU_DEP_3)
	v_pk_fma_f32 v[16:17], v[4:5], v[14:15], v[12:13]
	v_pk_fma_f32 v[4:5], v[4:5], v[14:15], v[12:13] neg_lo:[0,0,1] neg_hi:[0,0,1]
	v_add_nc_u32_e32 v12, 0x100, v1
	v_add_nc_u32_e32 v13, s2, v1
	v_dual_cndmask_b32 v5, 0, v17 :: v_dual_cndmask_b32 v4, 0, v4
	s_delay_alu instid0(VALU_DEP_3) | instskip(SKIP_3) | instid1(SALU_CYCLE_1)
	v_mov_b32_e32 v1, v12
	global_store_b64 v13, v[4:5], s[6:7] scale_offset
	s_wait_xcnt 0x0
	s_or_b32 exec_lo, exec_lo, s0
	s_mov_b32 s0, exec_lo
	v_cmpx_gt_i32_e64 s1, v1
	s_cbranch_execz .LBB146_13
.LBB146_19:
	s_wait_loadcnt 0x0
	v_mov_b64_e32 v[12:13], s[4:5]
	v_dual_mov_b32 v4, v11 :: v_dual_mov_b32 v5, v10
	v_dual_mov_b32 v14, v9 :: v_dual_mov_b32 v15, v8
	s_delay_alu instid0(VALU_DEP_2) | instskip(SKIP_1) | instid1(VALU_DEP_2)
	v_pk_mul_f32 v[4:5], v[4:5], v[12:13]
	v_pk_mul_f32 v[10:11], v[10:11], v[12:13]
	v_add_f32_e32 v4, v4, v5
	s_delay_alu instid0(VALU_DEP_2) | instskip(NEXT) | instid1(VALU_DEP_2)
	v_pk_add_f32 v[10:11], v[10:11], v[10:11] op_sel:[0,1] op_sel_hi:[0,1] neg_lo:[0,1] neg_hi:[0,1]
	v_pk_mul_f32 v[4:5], v[14:15], v[4:5] op_sel_hi:[1,0]
	v_or_b32_e32 v14, 0x200, v0
	s_delay_alu instid0(VALU_DEP_2) | instskip(NEXT) | instid1(VALU_DEP_2)
	v_pk_fma_f32 v[12:13], v[8:9], v[10:11], v[4:5]
	v_cmp_gt_i32_e32 vcc_lo, s1, v14
	v_pk_fma_f32 v[4:5], v[8:9], v[10:11], v[4:5] neg_lo:[0,0,1] neg_hi:[0,0,1]
	v_add_nc_u32_e32 v8, 0x100, v1
	v_add_nc_u32_e32 v9, s2, v1
	s_delay_alu instid0(VALU_DEP_3) | instskip(NEXT) | instid1(VALU_DEP_3)
	v_dual_cndmask_b32 v5, 0, v13 :: v_dual_cndmask_b32 v4, 0, v4
	v_mov_b32_e32 v1, v8
	global_store_b64 v9, v[4:5], s[6:7] scale_offset
	s_wait_xcnt 0x0
	s_or_b32 exec_lo, exec_lo, s0
	s_delay_alu instid0(SALU_CYCLE_1)
	s_mov_b32 s0, exec_lo
	v_cmpx_gt_i32_e64 s1, v1
	s_cbranch_execnz .LBB146_14
	s_branch .LBB146_15
	.section	.rodata,"a",@progbits
	.p2align	6, 0x0
	.amdhsa_kernel _ZN2at6native29vectorized_elementwise_kernelILi4EZZZNS0_12_GLOBAL__N_116addr_kernel_cudaERNS_14TensorIteratorERKN3c106ScalarES8_ENKUlvE_clEvENKUlvE7_clEvEUlNS5_7complexIfEESC_SC_E_St5arrayIPcLm4EEEEviT0_T1_
		.amdhsa_group_segment_fixed_size 0
		.amdhsa_private_segment_fixed_size 0
		.amdhsa_kernarg_size 48
		.amdhsa_user_sgpr_count 2
		.amdhsa_user_sgpr_dispatch_ptr 0
		.amdhsa_user_sgpr_queue_ptr 0
		.amdhsa_user_sgpr_kernarg_segment_ptr 1
		.amdhsa_user_sgpr_dispatch_id 0
		.amdhsa_user_sgpr_kernarg_preload_length 0
		.amdhsa_user_sgpr_kernarg_preload_offset 0
		.amdhsa_user_sgpr_private_segment_size 0
		.amdhsa_wavefront_size32 1
		.amdhsa_uses_dynamic_stack 0
		.amdhsa_enable_private_segment 0
		.amdhsa_system_sgpr_workgroup_id_x 1
		.amdhsa_system_sgpr_workgroup_id_y 0
		.amdhsa_system_sgpr_workgroup_id_z 0
		.amdhsa_system_sgpr_workgroup_info 0
		.amdhsa_system_vgpr_workitem_id 0
		.amdhsa_next_free_vgpr 34
		.amdhsa_next_free_sgpr 16
		.amdhsa_named_barrier_count 0
		.amdhsa_reserve_vcc 1
		.amdhsa_float_round_mode_32 0
		.amdhsa_float_round_mode_16_64 0
		.amdhsa_float_denorm_mode_32 3
		.amdhsa_float_denorm_mode_16_64 3
		.amdhsa_fp16_overflow 0
		.amdhsa_memory_ordered 1
		.amdhsa_forward_progress 1
		.amdhsa_inst_pref_size 12
		.amdhsa_round_robin_scheduling 0
		.amdhsa_exception_fp_ieee_invalid_op 0
		.amdhsa_exception_fp_denorm_src 0
		.amdhsa_exception_fp_ieee_div_zero 0
		.amdhsa_exception_fp_ieee_overflow 0
		.amdhsa_exception_fp_ieee_underflow 0
		.amdhsa_exception_fp_ieee_inexact 0
		.amdhsa_exception_int_div_zero 0
	.end_amdhsa_kernel
	.section	.text._ZN2at6native29vectorized_elementwise_kernelILi4EZZZNS0_12_GLOBAL__N_116addr_kernel_cudaERNS_14TensorIteratorERKN3c106ScalarES8_ENKUlvE_clEvENKUlvE7_clEvEUlNS5_7complexIfEESC_SC_E_St5arrayIPcLm4EEEEviT0_T1_,"axG",@progbits,_ZN2at6native29vectorized_elementwise_kernelILi4EZZZNS0_12_GLOBAL__N_116addr_kernel_cudaERNS_14TensorIteratorERKN3c106ScalarES8_ENKUlvE_clEvENKUlvE7_clEvEUlNS5_7complexIfEESC_SC_E_St5arrayIPcLm4EEEEviT0_T1_,comdat
.Lfunc_end146:
	.size	_ZN2at6native29vectorized_elementwise_kernelILi4EZZZNS0_12_GLOBAL__N_116addr_kernel_cudaERNS_14TensorIteratorERKN3c106ScalarES8_ENKUlvE_clEvENKUlvE7_clEvEUlNS5_7complexIfEESC_SC_E_St5arrayIPcLm4EEEEviT0_T1_, .Lfunc_end146-_ZN2at6native29vectorized_elementwise_kernelILi4EZZZNS0_12_GLOBAL__N_116addr_kernel_cudaERNS_14TensorIteratorERKN3c106ScalarES8_ENKUlvE_clEvENKUlvE7_clEvEUlNS5_7complexIfEESC_SC_E_St5arrayIPcLm4EEEEviT0_T1_
                                        ; -- End function
	.set _ZN2at6native29vectorized_elementwise_kernelILi4EZZZNS0_12_GLOBAL__N_116addr_kernel_cudaERNS_14TensorIteratorERKN3c106ScalarES8_ENKUlvE_clEvENKUlvE7_clEvEUlNS5_7complexIfEESC_SC_E_St5arrayIPcLm4EEEEviT0_T1_.num_vgpr, 34
	.set _ZN2at6native29vectorized_elementwise_kernelILi4EZZZNS0_12_GLOBAL__N_116addr_kernel_cudaERNS_14TensorIteratorERKN3c106ScalarES8_ENKUlvE_clEvENKUlvE7_clEvEUlNS5_7complexIfEESC_SC_E_St5arrayIPcLm4EEEEviT0_T1_.num_agpr, 0
	.set _ZN2at6native29vectorized_elementwise_kernelILi4EZZZNS0_12_GLOBAL__N_116addr_kernel_cudaERNS_14TensorIteratorERKN3c106ScalarES8_ENKUlvE_clEvENKUlvE7_clEvEUlNS5_7complexIfEESC_SC_E_St5arrayIPcLm4EEEEviT0_T1_.numbered_sgpr, 16
	.set _ZN2at6native29vectorized_elementwise_kernelILi4EZZZNS0_12_GLOBAL__N_116addr_kernel_cudaERNS_14TensorIteratorERKN3c106ScalarES8_ENKUlvE_clEvENKUlvE7_clEvEUlNS5_7complexIfEESC_SC_E_St5arrayIPcLm4EEEEviT0_T1_.num_named_barrier, 0
	.set _ZN2at6native29vectorized_elementwise_kernelILi4EZZZNS0_12_GLOBAL__N_116addr_kernel_cudaERNS_14TensorIteratorERKN3c106ScalarES8_ENKUlvE_clEvENKUlvE7_clEvEUlNS5_7complexIfEESC_SC_E_St5arrayIPcLm4EEEEviT0_T1_.private_seg_size, 0
	.set _ZN2at6native29vectorized_elementwise_kernelILi4EZZZNS0_12_GLOBAL__N_116addr_kernel_cudaERNS_14TensorIteratorERKN3c106ScalarES8_ENKUlvE_clEvENKUlvE7_clEvEUlNS5_7complexIfEESC_SC_E_St5arrayIPcLm4EEEEviT0_T1_.uses_vcc, 1
	.set _ZN2at6native29vectorized_elementwise_kernelILi4EZZZNS0_12_GLOBAL__N_116addr_kernel_cudaERNS_14TensorIteratorERKN3c106ScalarES8_ENKUlvE_clEvENKUlvE7_clEvEUlNS5_7complexIfEESC_SC_E_St5arrayIPcLm4EEEEviT0_T1_.uses_flat_scratch, 0
	.set _ZN2at6native29vectorized_elementwise_kernelILi4EZZZNS0_12_GLOBAL__N_116addr_kernel_cudaERNS_14TensorIteratorERKN3c106ScalarES8_ENKUlvE_clEvENKUlvE7_clEvEUlNS5_7complexIfEESC_SC_E_St5arrayIPcLm4EEEEviT0_T1_.has_dyn_sized_stack, 0
	.set _ZN2at6native29vectorized_elementwise_kernelILi4EZZZNS0_12_GLOBAL__N_116addr_kernel_cudaERNS_14TensorIteratorERKN3c106ScalarES8_ENKUlvE_clEvENKUlvE7_clEvEUlNS5_7complexIfEESC_SC_E_St5arrayIPcLm4EEEEviT0_T1_.has_recursion, 0
	.set _ZN2at6native29vectorized_elementwise_kernelILi4EZZZNS0_12_GLOBAL__N_116addr_kernel_cudaERNS_14TensorIteratorERKN3c106ScalarES8_ENKUlvE_clEvENKUlvE7_clEvEUlNS5_7complexIfEESC_SC_E_St5arrayIPcLm4EEEEviT0_T1_.has_indirect_call, 0
	.section	.AMDGPU.csdata,"",@progbits
; Kernel info:
; codeLenInByte = 1528
; TotalNumSgprs: 18
; NumVgprs: 34
; ScratchSize: 0
; MemoryBound: 0
; FloatMode: 240
; IeeeMode: 1
; LDSByteSize: 0 bytes/workgroup (compile time only)
; SGPRBlocks: 0
; VGPRBlocks: 2
; NumSGPRsForWavesPerEU: 18
; NumVGPRsForWavesPerEU: 34
; NamedBarCnt: 0
; Occupancy: 16
; WaveLimiterHint : 0
; COMPUTE_PGM_RSRC2:SCRATCH_EN: 0
; COMPUTE_PGM_RSRC2:USER_SGPR: 2
; COMPUTE_PGM_RSRC2:TRAP_HANDLER: 0
; COMPUTE_PGM_RSRC2:TGID_X_EN: 1
; COMPUTE_PGM_RSRC2:TGID_Y_EN: 0
; COMPUTE_PGM_RSRC2:TGID_Z_EN: 0
; COMPUTE_PGM_RSRC2:TIDIG_COMP_CNT: 0
	.section	.text._ZN2at6native29vectorized_elementwise_kernelILi2EZZZNS0_12_GLOBAL__N_116addr_kernel_cudaERNS_14TensorIteratorERKN3c106ScalarES8_ENKUlvE_clEvENKUlvE7_clEvEUlNS5_7complexIfEESC_SC_E_St5arrayIPcLm4EEEEviT0_T1_,"axG",@progbits,_ZN2at6native29vectorized_elementwise_kernelILi2EZZZNS0_12_GLOBAL__N_116addr_kernel_cudaERNS_14TensorIteratorERKN3c106ScalarES8_ENKUlvE_clEvENKUlvE7_clEvEUlNS5_7complexIfEESC_SC_E_St5arrayIPcLm4EEEEviT0_T1_,comdat
	.globl	_ZN2at6native29vectorized_elementwise_kernelILi2EZZZNS0_12_GLOBAL__N_116addr_kernel_cudaERNS_14TensorIteratorERKN3c106ScalarES8_ENKUlvE_clEvENKUlvE7_clEvEUlNS5_7complexIfEESC_SC_E_St5arrayIPcLm4EEEEviT0_T1_ ; -- Begin function _ZN2at6native29vectorized_elementwise_kernelILi2EZZZNS0_12_GLOBAL__N_116addr_kernel_cudaERNS_14TensorIteratorERKN3c106ScalarES8_ENKUlvE_clEvENKUlvE7_clEvEUlNS5_7complexIfEESC_SC_E_St5arrayIPcLm4EEEEviT0_T1_
	.p2align	8
	.type	_ZN2at6native29vectorized_elementwise_kernelILi2EZZZNS0_12_GLOBAL__N_116addr_kernel_cudaERNS_14TensorIteratorERKN3c106ScalarES8_ENKUlvE_clEvENKUlvE7_clEvEUlNS5_7complexIfEESC_SC_E_St5arrayIPcLm4EEEEviT0_T1_,@function
_ZN2at6native29vectorized_elementwise_kernelILi2EZZZNS0_12_GLOBAL__N_116addr_kernel_cudaERNS_14TensorIteratorERKN3c106ScalarES8_ENKUlvE_clEvENKUlvE7_clEvEUlNS5_7complexIfEESC_SC_E_St5arrayIPcLm4EEEEviT0_T1_: ; @_ZN2at6native29vectorized_elementwise_kernelILi2EZZZNS0_12_GLOBAL__N_116addr_kernel_cudaERNS_14TensorIteratorERKN3c106ScalarES8_ENKUlvE_clEvENKUlvE7_clEvEUlNS5_7complexIfEESC_SC_E_St5arrayIPcLm4EEEEviT0_T1_
; %bb.0:
	s_clause 0x2
	s_load_b32 s3, s[0:1], 0x0
	s_load_b128 s[4:7], s[0:1], 0x8
	s_load_b128 s[8:11], s[0:1], 0x20
	s_wait_xcnt 0x0
	s_bfe_u32 s0, ttmp6, 0x4000c
	s_and_b32 s1, ttmp6, 15
	s_add_co_i32 s0, s0, 1
	s_getreg_b32 s2, hwreg(HW_REG_IB_STS2, 6, 4)
	s_mul_i32 s0, ttmp9, s0
	v_mov_b32_e32 v1, v0
	s_add_co_i32 s1, s1, s0
	s_cmp_eq_u32 s2, 0
	s_cselect_b32 s0, ttmp9, s1
	s_delay_alu instid0(SALU_CYCLE_1) | instskip(SKIP_3) | instid1(SALU_CYCLE_1)
	s_lshl_b32 s2, s0, 10
	s_mov_b32 s0, -1
	s_wait_kmcnt 0x0
	s_sub_co_i32 s1, s3, s2
	s_cmp_gt_i32 s1, 0x3ff
	s_cbranch_scc0 .LBB147_2
; %bb.1:
	s_ashr_i32 s3, s2, 31
	v_mov_b64_e32 v[18:19], s[4:5]
	s_lshl_b64 s[12:13], s[2:3], 3
	s_mov_b32 s0, 0
	s_add_nc_u64 s[14:15], s[8:9], s[12:13]
	s_clause 0x1
	global_load_b128 v[2:5], v0, s[14:15] scale_offset
	global_load_b128 v[6:9], v0, s[14:15] offset:4096 scale_offset
	s_wait_xcnt 0x0
	s_add_nc_u64 s[14:15], s[10:11], s[12:13]
	s_clause 0x1
	global_load_b128 v[10:13], v0, s[14:15] scale_offset
	global_load_b128 v[14:17], v0, s[14:15] offset:4096 scale_offset
	s_add_nc_u64 s[12:13], s[6:7], s[12:13]
	s_wait_loadcnt 0x3
	v_pk_mul_f32 v[20:21], v[2:3], v[18:19]
	v_pk_mul_f32 v[2:3], v[2:3], v[18:19] op_sel:[0,1] op_sel_hi:[1,0]
	v_pk_mul_f32 v[22:23], v[4:5], v[18:19]
	v_pk_mul_f32 v[4:5], v[4:5], v[18:19] op_sel:[0,1] op_sel_hi:[1,0]
	s_wait_loadcnt 0x2
	v_pk_mul_f32 v[24:25], v[6:7], v[18:19]
	v_pk_mul_f32 v[6:7], v[6:7], v[18:19] op_sel:[0,1] op_sel_hi:[1,0]
	v_pk_mul_f32 v[26:27], v[8:9], v[18:19]
	v_pk_mul_f32 v[8:9], v[8:9], v[18:19] op_sel:[0,1] op_sel_hi:[1,0]
	s_wait_loadcnt 0x1
	v_dual_mov_b32 v18, v13 :: v_dual_mov_b32 v19, v12
	v_dual_add_f32 v2, v2, v3 :: v_dual_add_f32 v4, v4, v5
	s_wait_loadcnt 0x0
	v_dual_mov_b32 v28, v17 :: v_dual_mov_b32 v29, v16
	v_dual_add_f32 v6, v6, v7 :: v_dual_add_f32 v8, v8, v9
	v_pk_add_f32 v[20:21], v[20:21], v[20:21] op_sel:[0,1] op_sel_hi:[0,1] neg_lo:[0,1] neg_hi:[0,1]
	v_pk_add_f32 v[22:23], v[22:23], v[22:23] op_sel:[0,1] op_sel_hi:[0,1] neg_lo:[0,1] neg_hi:[0,1]
	v_pk_mul_f32 v[30:31], v[2:3], v[10:11] op_sel:[0,1] op_sel_hi:[0,0]
	v_pk_mul_f32 v[18:19], v[4:5], v[18:19] op_sel_hi:[0,1]
	v_pk_add_f32 v[24:25], v[24:25], v[24:25] op_sel:[0,1] op_sel_hi:[0,1] neg_lo:[0,1] neg_hi:[0,1]
	v_pk_add_f32 v[26:27], v[26:27], v[26:27] op_sel:[0,1] op_sel_hi:[0,1] neg_lo:[0,1] neg_hi:[0,1]
	v_pk_mul_f32 v[32:33], v[6:7], v[14:15] op_sel:[0,1] op_sel_hi:[0,0]
	v_pk_mul_f32 v[8:9], v[8:9], v[28:29] op_sel_hi:[0,1]
	v_pk_fma_f32 v[2:3], v[20:21], v[10:11], v[30:31] neg_lo:[0,0,1] neg_hi:[0,0,1]
	v_pk_fma_f32 v[10:11], v[20:21], v[10:11], v[30:31]
	v_pk_fma_f32 v[4:5], v[22:23], v[12:13], v[18:19] neg_lo:[0,0,1] neg_hi:[0,0,1]
	v_pk_fma_f32 v[12:13], v[22:23], v[12:13], v[18:19]
	;; [unrolled: 2-line block ×3, first 2 shown]
	v_pk_fma_f32 v[18:19], v[26:27], v[16:17], v[8:9]
	v_pk_fma_f32 v[8:9], v[26:27], v[16:17], v[8:9] neg_lo:[0,0,1] neg_hi:[0,0,1]
	v_dual_mov_b32 v3, v11 :: v_dual_mov_b32 v5, v13
	s_delay_alu instid0(VALU_DEP_3)
	v_dual_mov_b32 v7, v15 :: v_dual_mov_b32 v9, v19
	s_clause 0x1
	global_store_b128 v0, v[2:5], s[12:13] scale_offset
	global_store_b128 v0, v[6:9], s[12:13] offset:4096 scale_offset
.LBB147_2:
	s_and_not1_b32 vcc_lo, exec_lo, s0
	s_cbranch_vccnz .LBB147_15
; %bb.3:
	v_cmp_gt_i32_e32 vcc_lo, s1, v0
	s_wait_xcnt 0x1
	v_dual_mov_b32 v4, 0 :: v_dual_bitop2_b32 v19, s2, v0 bitop3:0x54
	v_or_b32_e32 v18, 0x100, v0
	v_dual_mov_b32 v20, v1 :: v_dual_mov_b32 v12, 0
	v_dual_mov_b32 v13, 0 :: v_dual_mov_b32 v16, 0
	v_mov_b32_e32 v17, 0
	s_wait_xcnt 0x0
	s_and_saveexec_b32 s0, vcc_lo
	s_cbranch_execz .LBB147_5
; %bb.4:
	s_clause 0x1
	global_load_b64 v[16:17], v19, s[8:9] scale_offset
	global_load_b64 v[12:13], v19, s[10:11] scale_offset
	v_or_b32_e32 v20, 0x100, v0
.LBB147_5:
	s_wait_xcnt 0x0
	s_or_b32 exec_lo, exec_lo, s0
	v_dual_mov_b32 v5, 0 :: v_dual_mov_b32 v14, 0
	v_mov_b32_e32 v15, 0
	s_mov_b32 s3, exec_lo
	v_cmpx_gt_i32_e64 s1, v20
	s_cbranch_execz .LBB147_7
; %bb.6:
	v_add_nc_u32_e32 v2, s2, v20
	v_add_nc_u32_e32 v20, 0x100, v20
	s_clause 0x1
	global_load_b64 v[14:15], v2, s[8:9] scale_offset
	global_load_b64 v[4:5], v2, s[10:11] scale_offset
.LBB147_7:
	s_wait_xcnt 0x0
	s_or_b32 exec_lo, exec_lo, s3
	v_dual_mov_b32 v2, 0 :: v_dual_mov_b32 v8, 0
	v_dual_mov_b32 v9, 0 :: v_dual_mov_b32 v10, 0
	v_mov_b32_e32 v11, 0
	s_mov_b32 s3, exec_lo
	v_cmpx_gt_i32_e64 s1, v20
	s_cbranch_execz .LBB147_9
; %bb.8:
	v_add_nc_u32_e32 v3, s2, v20
	v_add_nc_u32_e32 v20, 0x100, v20
	s_clause 0x1
	global_load_b64 v[10:11], v3, s[8:9] scale_offset
	global_load_b64 v[8:9], v3, s[10:11] scale_offset
.LBB147_9:
	s_wait_xcnt 0x0
	s_or_b32 exec_lo, exec_lo, s3
	v_dual_mov_b32 v3, 0 :: v_dual_mov_b32 v6, 0
	v_mov_b32_e32 v7, 0
	s_mov_b32 s3, exec_lo
	v_cmpx_gt_i32_e64 s1, v20
	s_cbranch_execnz .LBB147_16
; %bb.10:
	s_or_b32 exec_lo, exec_lo, s3
	s_and_saveexec_b32 s0, vcc_lo
	s_cbranch_execnz .LBB147_17
.LBB147_11:
	s_or_b32 exec_lo, exec_lo, s0
	s_delay_alu instid0(SALU_CYCLE_1)
	s_mov_b32 s0, exec_lo
	v_cmpx_gt_i32_e64 s1, v1
	s_cbranch_execnz .LBB147_18
.LBB147_12:
	s_or_b32 exec_lo, exec_lo, s0
	s_delay_alu instid0(SALU_CYCLE_1)
	s_mov_b32 s0, exec_lo
	v_cmpx_gt_i32_e64 s1, v1
	s_cbranch_execnz .LBB147_19
.LBB147_13:
	s_or_b32 exec_lo, exec_lo, s0
	s_delay_alu instid0(SALU_CYCLE_1)
	s_mov_b32 s0, exec_lo
	v_cmpx_gt_i32_e64 s1, v1
	s_cbranch_execz .LBB147_15
.LBB147_14:
	s_wait_loadcnt 0x0
	v_mov_b64_e32 v[8:9], s[4:5]
	v_dual_mov_b32 v4, v7 :: v_dual_mov_b32 v5, v6
	v_or_b32_e32 v0, 0x300, v0
	v_dual_mov_b32 v10, v3 :: v_dual_mov_b32 v11, v2
	s_delay_alu instid0(VALU_DEP_3) | instskip(SKIP_1) | instid1(VALU_DEP_4)
	v_pk_mul_f32 v[4:5], v[4:5], v[8:9]
	v_pk_mul_f32 v[6:7], v[6:7], v[8:9]
	v_cmp_gt_i32_e32 vcc_lo, s1, v0
	v_add_nc_u32_e32 v0, s2, v1
	s_delay_alu instid0(VALU_DEP_4) | instskip(NEXT) | instid1(VALU_DEP_4)
	v_add_f32_e32 v4, v4, v5
	v_pk_add_f32 v[6:7], v[6:7], v[6:7] op_sel:[0,1] op_sel_hi:[0,1] neg_lo:[0,1] neg_hi:[0,1]
	s_delay_alu instid0(VALU_DEP_2) | instskip(NEXT) | instid1(VALU_DEP_1)
	v_pk_mul_f32 v[4:5], v[10:11], v[4:5] op_sel_hi:[1,0]
	v_pk_fma_f32 v[8:9], v[2:3], v[6:7], v[4:5] neg_lo:[0,0,1] neg_hi:[0,0,1]
	v_pk_fma_f32 v[2:3], v[2:3], v[6:7], v[4:5]
	s_delay_alu instid0(VALU_DEP_1)
	v_dual_cndmask_b32 v2, 0, v8 :: v_dual_cndmask_b32 v3, 0, v3
	global_store_b64 v0, v[2:3], s[6:7] scale_offset
.LBB147_15:
	s_endpgm
.LBB147_16:
	v_add_nc_u32_e32 v20, s2, v20
	s_clause 0x1
	global_load_b64 v[6:7], v20, s[8:9] scale_offset
	global_load_b64 v[2:3], v20, s[10:11] scale_offset
	s_wait_xcnt 0x0
	s_or_b32 exec_lo, exec_lo, s3
	s_and_saveexec_b32 s0, vcc_lo
	s_cbranch_execz .LBB147_11
.LBB147_17:
	v_mov_b64_e32 v[22:23], s[4:5]
	s_wait_loadcnt 0x1
	v_dual_mov_b32 v20, v17 :: v_dual_mov_b32 v21, v16
	v_mov_b32_e32 v1, v18
	s_delay_alu instid0(VALU_DEP_2) | instskip(SKIP_3) | instid1(VALU_DEP_3)
	v_pk_mul_f32 v[20:21], v[20:21], v[22:23]
	v_pk_mul_f32 v[16:17], v[16:17], v[22:23]
	s_wait_loadcnt 0x0
	v_dual_mov_b32 v22, v13 :: v_dual_mov_b32 v23, v12
	v_add_f32_e32 v20, v20, v21
	s_delay_alu instid0(VALU_DEP_3) | instskip(NEXT) | instid1(VALU_DEP_2)
	v_pk_add_f32 v[16:17], v[16:17], v[16:17] op_sel:[0,1] op_sel_hi:[0,1] neg_lo:[0,1] neg_hi:[0,1]
	v_pk_mul_f32 v[20:21], v[22:23], v[20:21] op_sel_hi:[1,0]
	s_delay_alu instid0(VALU_DEP_1) | instskip(SKIP_1) | instid1(VALU_DEP_2)
	v_pk_fma_f32 v[22:23], v[12:13], v[16:17], v[20:21]
	v_pk_fma_f32 v[12:13], v[12:13], v[16:17], v[20:21] neg_lo:[0,0,1] neg_hi:[0,0,1]
	v_mov_b32_e32 v13, v23
	global_store_b64 v19, v[12:13], s[6:7] scale_offset
	s_wait_xcnt 0x0
	s_or_b32 exec_lo, exec_lo, s0
	s_delay_alu instid0(SALU_CYCLE_1)
	s_mov_b32 s0, exec_lo
	v_cmpx_gt_i32_e64 s1, v1
	s_cbranch_execz .LBB147_12
.LBB147_18:
	s_wait_loadcnt 0x1
	v_mov_b64_e32 v[16:17], s[4:5]
	s_wait_loadcnt 0x0
	v_dual_mov_b32 v12, v15 :: v_dual_mov_b32 v13, v14
	v_dual_mov_b32 v20, v5 :: v_dual_mov_b32 v21, v4
	v_cmp_gt_i32_e32 vcc_lo, s1, v18
	s_delay_alu instid0(VALU_DEP_3) | instskip(SKIP_1) | instid1(VALU_DEP_2)
	v_pk_mul_f32 v[12:13], v[12:13], v[16:17]
	v_pk_mul_f32 v[14:15], v[14:15], v[16:17]
	v_add_f32_e32 v12, v12, v13
	s_delay_alu instid0(VALU_DEP_2) | instskip(NEXT) | instid1(VALU_DEP_2)
	v_pk_add_f32 v[14:15], v[14:15], v[14:15] op_sel:[0,1] op_sel_hi:[0,1] neg_lo:[0,1] neg_hi:[0,1]
	v_pk_mul_f32 v[12:13], v[20:21], v[12:13] op_sel_hi:[1,0]
	s_delay_alu instid0(VALU_DEP_1) | instskip(SKIP_3) | instid1(VALU_DEP_3)
	v_pk_fma_f32 v[16:17], v[4:5], v[14:15], v[12:13]
	v_pk_fma_f32 v[4:5], v[4:5], v[14:15], v[12:13] neg_lo:[0,0,1] neg_hi:[0,0,1]
	v_add_nc_u32_e32 v12, 0x100, v1
	v_add_nc_u32_e32 v13, s2, v1
	v_dual_cndmask_b32 v5, 0, v17 :: v_dual_cndmask_b32 v4, 0, v4
	s_delay_alu instid0(VALU_DEP_3) | instskip(SKIP_3) | instid1(SALU_CYCLE_1)
	v_mov_b32_e32 v1, v12
	global_store_b64 v13, v[4:5], s[6:7] scale_offset
	s_wait_xcnt 0x0
	s_or_b32 exec_lo, exec_lo, s0
	s_mov_b32 s0, exec_lo
	v_cmpx_gt_i32_e64 s1, v1
	s_cbranch_execz .LBB147_13
.LBB147_19:
	s_wait_loadcnt 0x0
	v_mov_b64_e32 v[12:13], s[4:5]
	v_dual_mov_b32 v4, v11 :: v_dual_mov_b32 v5, v10
	v_dual_mov_b32 v14, v9 :: v_dual_mov_b32 v15, v8
	s_delay_alu instid0(VALU_DEP_2) | instskip(SKIP_1) | instid1(VALU_DEP_2)
	v_pk_mul_f32 v[4:5], v[4:5], v[12:13]
	v_pk_mul_f32 v[10:11], v[10:11], v[12:13]
	v_add_f32_e32 v4, v4, v5
	s_delay_alu instid0(VALU_DEP_2) | instskip(NEXT) | instid1(VALU_DEP_2)
	v_pk_add_f32 v[10:11], v[10:11], v[10:11] op_sel:[0,1] op_sel_hi:[0,1] neg_lo:[0,1] neg_hi:[0,1]
	v_pk_mul_f32 v[4:5], v[14:15], v[4:5] op_sel_hi:[1,0]
	v_or_b32_e32 v14, 0x200, v0
	s_delay_alu instid0(VALU_DEP_2) | instskip(NEXT) | instid1(VALU_DEP_2)
	v_pk_fma_f32 v[12:13], v[8:9], v[10:11], v[4:5]
	v_cmp_gt_i32_e32 vcc_lo, s1, v14
	v_pk_fma_f32 v[4:5], v[8:9], v[10:11], v[4:5] neg_lo:[0,0,1] neg_hi:[0,0,1]
	v_add_nc_u32_e32 v8, 0x100, v1
	v_add_nc_u32_e32 v9, s2, v1
	s_delay_alu instid0(VALU_DEP_3) | instskip(NEXT) | instid1(VALU_DEP_3)
	v_dual_cndmask_b32 v5, 0, v13 :: v_dual_cndmask_b32 v4, 0, v4
	v_mov_b32_e32 v1, v8
	global_store_b64 v9, v[4:5], s[6:7] scale_offset
	s_wait_xcnt 0x0
	s_or_b32 exec_lo, exec_lo, s0
	s_delay_alu instid0(SALU_CYCLE_1)
	s_mov_b32 s0, exec_lo
	v_cmpx_gt_i32_e64 s1, v1
	s_cbranch_execnz .LBB147_14
	s_branch .LBB147_15
	.section	.rodata,"a",@progbits
	.p2align	6, 0x0
	.amdhsa_kernel _ZN2at6native29vectorized_elementwise_kernelILi2EZZZNS0_12_GLOBAL__N_116addr_kernel_cudaERNS_14TensorIteratorERKN3c106ScalarES8_ENKUlvE_clEvENKUlvE7_clEvEUlNS5_7complexIfEESC_SC_E_St5arrayIPcLm4EEEEviT0_T1_
		.amdhsa_group_segment_fixed_size 0
		.amdhsa_private_segment_fixed_size 0
		.amdhsa_kernarg_size 48
		.amdhsa_user_sgpr_count 2
		.amdhsa_user_sgpr_dispatch_ptr 0
		.amdhsa_user_sgpr_queue_ptr 0
		.amdhsa_user_sgpr_kernarg_segment_ptr 1
		.amdhsa_user_sgpr_dispatch_id 0
		.amdhsa_user_sgpr_kernarg_preload_length 0
		.amdhsa_user_sgpr_kernarg_preload_offset 0
		.amdhsa_user_sgpr_private_segment_size 0
		.amdhsa_wavefront_size32 1
		.amdhsa_uses_dynamic_stack 0
		.amdhsa_enable_private_segment 0
		.amdhsa_system_sgpr_workgroup_id_x 1
		.amdhsa_system_sgpr_workgroup_id_y 0
		.amdhsa_system_sgpr_workgroup_id_z 0
		.amdhsa_system_sgpr_workgroup_info 0
		.amdhsa_system_vgpr_workitem_id 0
		.amdhsa_next_free_vgpr 34
		.amdhsa_next_free_sgpr 16
		.amdhsa_named_barrier_count 0
		.amdhsa_reserve_vcc 1
		.amdhsa_float_round_mode_32 0
		.amdhsa_float_round_mode_16_64 0
		.amdhsa_float_denorm_mode_32 3
		.amdhsa_float_denorm_mode_16_64 3
		.amdhsa_fp16_overflow 0
		.amdhsa_memory_ordered 1
		.amdhsa_forward_progress 1
		.amdhsa_inst_pref_size 13
		.amdhsa_round_robin_scheduling 0
		.amdhsa_exception_fp_ieee_invalid_op 0
		.amdhsa_exception_fp_denorm_src 0
		.amdhsa_exception_fp_ieee_div_zero 0
		.amdhsa_exception_fp_ieee_overflow 0
		.amdhsa_exception_fp_ieee_underflow 0
		.amdhsa_exception_fp_ieee_inexact 0
		.amdhsa_exception_int_div_zero 0
	.end_amdhsa_kernel
	.section	.text._ZN2at6native29vectorized_elementwise_kernelILi2EZZZNS0_12_GLOBAL__N_116addr_kernel_cudaERNS_14TensorIteratorERKN3c106ScalarES8_ENKUlvE_clEvENKUlvE7_clEvEUlNS5_7complexIfEESC_SC_E_St5arrayIPcLm4EEEEviT0_T1_,"axG",@progbits,_ZN2at6native29vectorized_elementwise_kernelILi2EZZZNS0_12_GLOBAL__N_116addr_kernel_cudaERNS_14TensorIteratorERKN3c106ScalarES8_ENKUlvE_clEvENKUlvE7_clEvEUlNS5_7complexIfEESC_SC_E_St5arrayIPcLm4EEEEviT0_T1_,comdat
.Lfunc_end147:
	.size	_ZN2at6native29vectorized_elementwise_kernelILi2EZZZNS0_12_GLOBAL__N_116addr_kernel_cudaERNS_14TensorIteratorERKN3c106ScalarES8_ENKUlvE_clEvENKUlvE7_clEvEUlNS5_7complexIfEESC_SC_E_St5arrayIPcLm4EEEEviT0_T1_, .Lfunc_end147-_ZN2at6native29vectorized_elementwise_kernelILi2EZZZNS0_12_GLOBAL__N_116addr_kernel_cudaERNS_14TensorIteratorERKN3c106ScalarES8_ENKUlvE_clEvENKUlvE7_clEvEUlNS5_7complexIfEESC_SC_E_St5arrayIPcLm4EEEEviT0_T1_
                                        ; -- End function
	.set _ZN2at6native29vectorized_elementwise_kernelILi2EZZZNS0_12_GLOBAL__N_116addr_kernel_cudaERNS_14TensorIteratorERKN3c106ScalarES8_ENKUlvE_clEvENKUlvE7_clEvEUlNS5_7complexIfEESC_SC_E_St5arrayIPcLm4EEEEviT0_T1_.num_vgpr, 34
	.set _ZN2at6native29vectorized_elementwise_kernelILi2EZZZNS0_12_GLOBAL__N_116addr_kernel_cudaERNS_14TensorIteratorERKN3c106ScalarES8_ENKUlvE_clEvENKUlvE7_clEvEUlNS5_7complexIfEESC_SC_E_St5arrayIPcLm4EEEEviT0_T1_.num_agpr, 0
	.set _ZN2at6native29vectorized_elementwise_kernelILi2EZZZNS0_12_GLOBAL__N_116addr_kernel_cudaERNS_14TensorIteratorERKN3c106ScalarES8_ENKUlvE_clEvENKUlvE7_clEvEUlNS5_7complexIfEESC_SC_E_St5arrayIPcLm4EEEEviT0_T1_.numbered_sgpr, 16
	.set _ZN2at6native29vectorized_elementwise_kernelILi2EZZZNS0_12_GLOBAL__N_116addr_kernel_cudaERNS_14TensorIteratorERKN3c106ScalarES8_ENKUlvE_clEvENKUlvE7_clEvEUlNS5_7complexIfEESC_SC_E_St5arrayIPcLm4EEEEviT0_T1_.num_named_barrier, 0
	.set _ZN2at6native29vectorized_elementwise_kernelILi2EZZZNS0_12_GLOBAL__N_116addr_kernel_cudaERNS_14TensorIteratorERKN3c106ScalarES8_ENKUlvE_clEvENKUlvE7_clEvEUlNS5_7complexIfEESC_SC_E_St5arrayIPcLm4EEEEviT0_T1_.private_seg_size, 0
	.set _ZN2at6native29vectorized_elementwise_kernelILi2EZZZNS0_12_GLOBAL__N_116addr_kernel_cudaERNS_14TensorIteratorERKN3c106ScalarES8_ENKUlvE_clEvENKUlvE7_clEvEUlNS5_7complexIfEESC_SC_E_St5arrayIPcLm4EEEEviT0_T1_.uses_vcc, 1
	.set _ZN2at6native29vectorized_elementwise_kernelILi2EZZZNS0_12_GLOBAL__N_116addr_kernel_cudaERNS_14TensorIteratorERKN3c106ScalarES8_ENKUlvE_clEvENKUlvE7_clEvEUlNS5_7complexIfEESC_SC_E_St5arrayIPcLm4EEEEviT0_T1_.uses_flat_scratch, 0
	.set _ZN2at6native29vectorized_elementwise_kernelILi2EZZZNS0_12_GLOBAL__N_116addr_kernel_cudaERNS_14TensorIteratorERKN3c106ScalarES8_ENKUlvE_clEvENKUlvE7_clEvEUlNS5_7complexIfEESC_SC_E_St5arrayIPcLm4EEEEviT0_T1_.has_dyn_sized_stack, 0
	.set _ZN2at6native29vectorized_elementwise_kernelILi2EZZZNS0_12_GLOBAL__N_116addr_kernel_cudaERNS_14TensorIteratorERKN3c106ScalarES8_ENKUlvE_clEvENKUlvE7_clEvEUlNS5_7complexIfEESC_SC_E_St5arrayIPcLm4EEEEviT0_T1_.has_recursion, 0
	.set _ZN2at6native29vectorized_elementwise_kernelILi2EZZZNS0_12_GLOBAL__N_116addr_kernel_cudaERNS_14TensorIteratorERKN3c106ScalarES8_ENKUlvE_clEvENKUlvE7_clEvEUlNS5_7complexIfEESC_SC_E_St5arrayIPcLm4EEEEviT0_T1_.has_indirect_call, 0
	.section	.AMDGPU.csdata,"",@progbits
; Kernel info:
; codeLenInByte = 1540
; TotalNumSgprs: 18
; NumVgprs: 34
; ScratchSize: 0
; MemoryBound: 0
; FloatMode: 240
; IeeeMode: 1
; LDSByteSize: 0 bytes/workgroup (compile time only)
; SGPRBlocks: 0
; VGPRBlocks: 2
; NumSGPRsForWavesPerEU: 18
; NumVGPRsForWavesPerEU: 34
; NamedBarCnt: 0
; Occupancy: 16
; WaveLimiterHint : 1
; COMPUTE_PGM_RSRC2:SCRATCH_EN: 0
; COMPUTE_PGM_RSRC2:USER_SGPR: 2
; COMPUTE_PGM_RSRC2:TRAP_HANDLER: 0
; COMPUTE_PGM_RSRC2:TGID_X_EN: 1
; COMPUTE_PGM_RSRC2:TGID_Y_EN: 0
; COMPUTE_PGM_RSRC2:TGID_Z_EN: 0
; COMPUTE_PGM_RSRC2:TIDIG_COMP_CNT: 0
	.section	.text._ZN2at6native27unrolled_elementwise_kernelIZZZNS0_12_GLOBAL__N_116addr_kernel_cudaERNS_14TensorIteratorERKN3c106ScalarES8_ENKUlvE_clEvENKUlvE7_clEvEUlNS5_7complexIfEESC_SC_E_St5arrayIPcLm4EELi4E23TrivialOffsetCalculatorILi3EjESH_ILi1EjENS0_6memory15LoadWithoutCastENSK_16StoreWithoutCastEEEviT_T0_T2_T3_T4_T5_,"axG",@progbits,_ZN2at6native27unrolled_elementwise_kernelIZZZNS0_12_GLOBAL__N_116addr_kernel_cudaERNS_14TensorIteratorERKN3c106ScalarES8_ENKUlvE_clEvENKUlvE7_clEvEUlNS5_7complexIfEESC_SC_E_St5arrayIPcLm4EELi4E23TrivialOffsetCalculatorILi3EjESH_ILi1EjENS0_6memory15LoadWithoutCastENSK_16StoreWithoutCastEEEviT_T0_T2_T3_T4_T5_,comdat
	.globl	_ZN2at6native27unrolled_elementwise_kernelIZZZNS0_12_GLOBAL__N_116addr_kernel_cudaERNS_14TensorIteratorERKN3c106ScalarES8_ENKUlvE_clEvENKUlvE7_clEvEUlNS5_7complexIfEESC_SC_E_St5arrayIPcLm4EELi4E23TrivialOffsetCalculatorILi3EjESH_ILi1EjENS0_6memory15LoadWithoutCastENSK_16StoreWithoutCastEEEviT_T0_T2_T3_T4_T5_ ; -- Begin function _ZN2at6native27unrolled_elementwise_kernelIZZZNS0_12_GLOBAL__N_116addr_kernel_cudaERNS_14TensorIteratorERKN3c106ScalarES8_ENKUlvE_clEvENKUlvE7_clEvEUlNS5_7complexIfEESC_SC_E_St5arrayIPcLm4EELi4E23TrivialOffsetCalculatorILi3EjESH_ILi1EjENS0_6memory15LoadWithoutCastENSK_16StoreWithoutCastEEEviT_T0_T2_T3_T4_T5_
	.p2align	8
	.type	_ZN2at6native27unrolled_elementwise_kernelIZZZNS0_12_GLOBAL__N_116addr_kernel_cudaERNS_14TensorIteratorERKN3c106ScalarES8_ENKUlvE_clEvENKUlvE7_clEvEUlNS5_7complexIfEESC_SC_E_St5arrayIPcLm4EELi4E23TrivialOffsetCalculatorILi3EjESH_ILi1EjENS0_6memory15LoadWithoutCastENSK_16StoreWithoutCastEEEviT_T0_T2_T3_T4_T5_,@function
_ZN2at6native27unrolled_elementwise_kernelIZZZNS0_12_GLOBAL__N_116addr_kernel_cudaERNS_14TensorIteratorERKN3c106ScalarES8_ENKUlvE_clEvENKUlvE7_clEvEUlNS5_7complexIfEESC_SC_E_St5arrayIPcLm4EELi4E23TrivialOffsetCalculatorILi3EjESH_ILi1EjENS0_6memory15LoadWithoutCastENSK_16StoreWithoutCastEEEviT_T0_T2_T3_T4_T5_: ; @_ZN2at6native27unrolled_elementwise_kernelIZZZNS0_12_GLOBAL__N_116addr_kernel_cudaERNS_14TensorIteratorERKN3c106ScalarES8_ENKUlvE_clEvENKUlvE7_clEvEUlNS5_7complexIfEESC_SC_E_St5arrayIPcLm4EELi4E23TrivialOffsetCalculatorILi3EjESH_ILi1EjENS0_6memory15LoadWithoutCastENSK_16StoreWithoutCastEEEviT_T0_T2_T3_T4_T5_
; %bb.0:
	s_clause 0x1
	s_load_b32 s2, s[0:1], 0x0
	s_load_b128 s[8:11], s[0:1], 0x20
	s_bfe_u32 s4, ttmp6, 0x4000c
	s_and_b32 s3, ttmp6, 15
	s_add_co_i32 s4, s4, 1
	s_getreg_b32 s5, hwreg(HW_REG_IB_STS2, 6, 4)
	s_mul_i32 s4, ttmp9, s4
	v_dual_mov_b32 v4, 0 :: v_dual_mov_b32 v8, 0
	s_add_co_i32 s3, s3, s4
	s_cmp_eq_u32 s5, 0
	v_dual_mov_b32 v9, 0 :: v_dual_mov_b32 v1, v0
	s_cselect_b32 s3, ttmp9, s3
	v_dual_mov_b32 v16, 0 :: v_dual_mov_b32 v20, v0
	s_lshl_b32 s3, s3, 10
	v_or_b32_e32 v18, 0x100, v0
	v_dual_mov_b32 v17, 0 :: v_dual_bitop2_b32 v19, s3, v0 bitop3:0x54
	s_wait_kmcnt 0x0
	s_sub_co_i32 s12, s2, s3
	s_delay_alu instid0(SALU_CYCLE_1)
	v_cmp_gt_i32_e32 vcc_lo, s12, v0
	s_and_saveexec_b32 s2, vcc_lo
	s_cbranch_execz .LBB148_2
; %bb.1:
	s_clause 0x1
	global_load_b64 v[16:17], v19, s[8:9] scale_offset
	global_load_b64 v[8:9], v19, s[10:11] scale_offset
	v_or_b32_e32 v20, 0x100, v0
.LBB148_2:
	s_wait_xcnt 0x0
	s_or_b32 exec_lo, exec_lo, s2
	v_dual_mov_b32 v5, 0 :: v_dual_mov_b32 v14, 0
	v_mov_b32_e32 v15, 0
	s_mov_b32 s4, exec_lo
	v_cmpx_gt_i32_e64 s12, v20
	s_cbranch_execz .LBB148_4
; %bb.3:
	v_add_nc_u32_e32 v2, s3, v20
	v_add_nc_u32_e32 v20, 0x100, v20
	s_clause 0x1
	global_load_b64 v[14:15], v2, s[8:9] scale_offset
	global_load_b64 v[4:5], v2, s[10:11] scale_offset
.LBB148_4:
	s_wait_xcnt 0x0
	s_or_b32 exec_lo, exec_lo, s4
	v_dual_mov_b32 v2, 0 :: v_dual_mov_b32 v10, 0
	v_dual_mov_b32 v11, 0 :: v_dual_mov_b32 v12, 0
	v_mov_b32_e32 v13, 0
	s_mov_b32 s4, exec_lo
	v_cmpx_gt_i32_e64 s12, v20
	s_cbranch_execz .LBB148_6
; %bb.5:
	v_add_nc_u32_e32 v3, s3, v20
	v_add_nc_u32_e32 v20, 0x100, v20
	s_clause 0x1
	global_load_b64 v[12:13], v3, s[8:9] scale_offset
	global_load_b64 v[10:11], v3, s[10:11] scale_offset
.LBB148_6:
	s_wait_xcnt 0x0
	s_or_b32 exec_lo, exec_lo, s4
	s_load_b128 s[4:7], s[0:1], 0x8
	v_dual_mov_b32 v3, 0 :: v_dual_mov_b32 v6, 0
	v_mov_b32_e32 v7, 0
	s_wait_xcnt 0x0
	s_mov_b32 s1, exec_lo
	v_cmpx_gt_i32_e64 s12, v20
	s_cbranch_execnz .LBB148_12
; %bb.7:
	s_or_b32 exec_lo, exec_lo, s1
	s_and_saveexec_b32 s0, vcc_lo
	s_cbranch_execnz .LBB148_13
.LBB148_8:
	s_or_b32 exec_lo, exec_lo, s0
	s_delay_alu instid0(SALU_CYCLE_1)
	s_mov_b32 s0, exec_lo
	v_cmpx_gt_i32_e64 s12, v1
	s_cbranch_execnz .LBB148_14
.LBB148_9:
	s_or_b32 exec_lo, exec_lo, s0
	s_delay_alu instid0(SALU_CYCLE_1)
	s_mov_b32 s0, exec_lo
	v_cmpx_gt_i32_e64 s12, v1
	s_cbranch_execnz .LBB148_15
.LBB148_10:
	s_or_b32 exec_lo, exec_lo, s0
	s_delay_alu instid0(SALU_CYCLE_1)
	s_mov_b32 s0, exec_lo
	v_cmpx_gt_i32_e64 s12, v1
	s_cbranch_execnz .LBB148_16
.LBB148_11:
	s_endpgm
.LBB148_12:
	v_add_nc_u32_e32 v20, s3, v20
	s_clause 0x1
	global_load_b64 v[6:7], v20, s[8:9] scale_offset
	global_load_b64 v[2:3], v20, s[10:11] scale_offset
	s_wait_xcnt 0x0
	s_or_b32 exec_lo, exec_lo, s1
	s_and_saveexec_b32 s0, vcc_lo
	s_cbranch_execz .LBB148_8
.LBB148_13:
	s_wait_kmcnt 0x0
	v_mov_b64_e32 v[22:23], s[4:5]
	s_wait_loadcnt 0x1
	v_dual_mov_b32 v20, v17 :: v_dual_mov_b32 v21, v16
	v_mov_b32_e32 v1, v18
	s_delay_alu instid0(VALU_DEP_2) | instskip(SKIP_3) | instid1(VALU_DEP_3)
	v_pk_mul_f32 v[20:21], v[22:23], v[20:21]
	v_pk_mul_f32 v[16:17], v[22:23], v[16:17]
	s_wait_loadcnt 0x0
	v_dual_mov_b32 v22, v9 :: v_dual_mov_b32 v23, v8
	v_add_f32_e32 v20, v20, v21
	s_delay_alu instid0(VALU_DEP_3) | instskip(NEXT) | instid1(VALU_DEP_2)
	v_pk_add_f32 v[16:17], v[16:17], v[16:17] op_sel:[0,1] op_sel_hi:[0,1] neg_lo:[0,1] neg_hi:[0,1]
	v_pk_mul_f32 v[20:21], v[22:23], v[20:21] op_sel_hi:[1,0]
	s_delay_alu instid0(VALU_DEP_1) | instskip(SKIP_1) | instid1(VALU_DEP_2)
	v_pk_fma_f32 v[22:23], v[8:9], v[16:17], v[20:21]
	v_pk_fma_f32 v[8:9], v[8:9], v[16:17], v[20:21] neg_lo:[0,0,1] neg_hi:[0,0,1]
	v_mov_b32_e32 v9, v23
	global_store_b64 v19, v[8:9], s[6:7] scale_offset
	s_wait_xcnt 0x0
	s_or_b32 exec_lo, exec_lo, s0
	s_delay_alu instid0(SALU_CYCLE_1)
	s_mov_b32 s0, exec_lo
	v_cmpx_gt_i32_e64 s12, v1
	s_cbranch_execz .LBB148_9
.LBB148_14:
	s_wait_loadcnt 0x1
	s_wait_kmcnt 0x0
	v_mov_b64_e32 v[16:17], s[4:5]
	s_wait_loadcnt 0x0
	v_dual_mov_b32 v8, v15 :: v_dual_mov_b32 v9, v14
	v_dual_mov_b32 v20, v5 :: v_dual_mov_b32 v21, v4
	v_cmp_gt_i32_e32 vcc_lo, s12, v18
	s_delay_alu instid0(VALU_DEP_3) | instskip(SKIP_1) | instid1(VALU_DEP_2)
	v_pk_mul_f32 v[8:9], v[16:17], v[8:9]
	v_pk_mul_f32 v[14:15], v[16:17], v[14:15]
	v_add_f32_e32 v8, v8, v9
	s_delay_alu instid0(VALU_DEP_2) | instskip(NEXT) | instid1(VALU_DEP_2)
	v_pk_add_f32 v[14:15], v[14:15], v[14:15] op_sel:[0,1] op_sel_hi:[0,1] neg_lo:[0,1] neg_hi:[0,1]
	v_pk_mul_f32 v[8:9], v[20:21], v[8:9] op_sel_hi:[1,0]
	s_delay_alu instid0(VALU_DEP_1) | instskip(SKIP_2) | instid1(VALU_DEP_3)
	v_pk_fma_f32 v[16:17], v[4:5], v[14:15], v[8:9] neg_lo:[0,0,1] neg_hi:[0,0,1]
	v_pk_fma_f32 v[4:5], v[4:5], v[14:15], v[8:9]
	v_add_nc_u32_e32 v8, s3, v1
	v_dual_cndmask_b32 v4, 0, v16 :: v_dual_add_nc_u32 v1, 0x100, v1
	s_delay_alu instid0(VALU_DEP_3) | instskip(SKIP_3) | instid1(SALU_CYCLE_1)
	v_cndmask_b32_e32 v5, 0, v5, vcc_lo
	global_store_b64 v8, v[4:5], s[6:7] scale_offset
	s_wait_xcnt 0x0
	s_or_b32 exec_lo, exec_lo, s0
	s_mov_b32 s0, exec_lo
	v_cmpx_gt_i32_e64 s12, v1
	s_cbranch_execz .LBB148_10
.LBB148_15:
	s_wait_loadcnt 0x0
	s_wait_kmcnt 0x0
	v_mov_b64_e32 v[8:9], s[4:5]
	v_dual_mov_b32 v4, v13 :: v_dual_mov_b32 v5, v12
	v_dual_mov_b32 v14, v11 :: v_dual_mov_b32 v15, v10
	s_delay_alu instid0(VALU_DEP_2) | instskip(SKIP_1) | instid1(VALU_DEP_2)
	v_pk_mul_f32 v[4:5], v[8:9], v[4:5]
	v_pk_mul_f32 v[8:9], v[8:9], v[12:13]
	v_add_f32_e32 v4, v4, v5
	s_delay_alu instid0(VALU_DEP_2) | instskip(NEXT) | instid1(VALU_DEP_2)
	v_pk_add_f32 v[8:9], v[8:9], v[8:9] op_sel:[0,1] op_sel_hi:[0,1] neg_lo:[0,1] neg_hi:[0,1]
	v_pk_mul_f32 v[4:5], v[14:15], v[4:5] op_sel_hi:[1,0]
	v_or_b32_e32 v14, 0x200, v0
	s_delay_alu instid0(VALU_DEP_2) | instskip(SKIP_1) | instid1(VALU_DEP_3)
	v_pk_fma_f32 v[12:13], v[10:11], v[8:9], v[4:5] neg_lo:[0,0,1] neg_hi:[0,0,1]
	v_pk_fma_f32 v[4:5], v[10:11], v[8:9], v[4:5]
	v_cmp_gt_i32_e32 vcc_lo, s12, v14
	v_add_nc_u32_e32 v8, s3, v1
	v_add_nc_u32_e32 v1, 0x100, v1
	s_delay_alu instid0(VALU_DEP_4) | instskip(SKIP_3) | instid1(SALU_CYCLE_1)
	v_dual_cndmask_b32 v5, 0, v5 :: v_dual_cndmask_b32 v4, 0, v12
	global_store_b64 v8, v[4:5], s[6:7] scale_offset
	s_wait_xcnt 0x0
	s_or_b32 exec_lo, exec_lo, s0
	s_mov_b32 s0, exec_lo
	v_cmpx_gt_i32_e64 s12, v1
	s_cbranch_execz .LBB148_11
.LBB148_16:
	s_wait_loadcnt 0x0
	s_wait_kmcnt 0x0
	v_mov_b64_e32 v[8:9], s[4:5]
	v_dual_mov_b32 v4, v7 :: v_dual_mov_b32 v5, v6
	v_or_b32_e32 v0, 0x300, v0
	v_dual_mov_b32 v10, v3 :: v_dual_mov_b32 v11, v2
	s_delay_alu instid0(VALU_DEP_3) | instskip(SKIP_1) | instid1(VALU_DEP_4)
	v_pk_mul_f32 v[4:5], v[8:9], v[4:5]
	v_pk_mul_f32 v[6:7], v[8:9], v[6:7]
	v_cmp_gt_i32_e32 vcc_lo, s12, v0
	v_add_nc_u32_e32 v0, s3, v1
	s_delay_alu instid0(VALU_DEP_4) | instskip(NEXT) | instid1(VALU_DEP_4)
	v_add_f32_e32 v4, v4, v5
	v_pk_add_f32 v[6:7], v[6:7], v[6:7] op_sel:[0,1] op_sel_hi:[0,1] neg_lo:[0,1] neg_hi:[0,1]
	s_delay_alu instid0(VALU_DEP_2) | instskip(NEXT) | instid1(VALU_DEP_1)
	v_pk_mul_f32 v[4:5], v[10:11], v[4:5] op_sel_hi:[1,0]
	v_pk_fma_f32 v[8:9], v[2:3], v[6:7], v[4:5] neg_lo:[0,0,1] neg_hi:[0,0,1]
	v_pk_fma_f32 v[2:3], v[2:3], v[6:7], v[4:5]
	s_delay_alu instid0(VALU_DEP_1)
	v_dual_cndmask_b32 v2, 0, v8 :: v_dual_cndmask_b32 v3, 0, v3
	global_store_b64 v0, v[2:3], s[6:7] scale_offset
	s_endpgm
	.section	.rodata,"a",@progbits
	.p2align	6, 0x0
	.amdhsa_kernel _ZN2at6native27unrolled_elementwise_kernelIZZZNS0_12_GLOBAL__N_116addr_kernel_cudaERNS_14TensorIteratorERKN3c106ScalarES8_ENKUlvE_clEvENKUlvE7_clEvEUlNS5_7complexIfEESC_SC_E_St5arrayIPcLm4EELi4E23TrivialOffsetCalculatorILi3EjESH_ILi1EjENS0_6memory15LoadWithoutCastENSK_16StoreWithoutCastEEEviT_T0_T2_T3_T4_T5_
		.amdhsa_group_segment_fixed_size 0
		.amdhsa_private_segment_fixed_size 0
		.amdhsa_kernarg_size 52
		.amdhsa_user_sgpr_count 2
		.amdhsa_user_sgpr_dispatch_ptr 0
		.amdhsa_user_sgpr_queue_ptr 0
		.amdhsa_user_sgpr_kernarg_segment_ptr 1
		.amdhsa_user_sgpr_dispatch_id 0
		.amdhsa_user_sgpr_kernarg_preload_length 0
		.amdhsa_user_sgpr_kernarg_preload_offset 0
		.amdhsa_user_sgpr_private_segment_size 0
		.amdhsa_wavefront_size32 1
		.amdhsa_uses_dynamic_stack 0
		.amdhsa_enable_private_segment 0
		.amdhsa_system_sgpr_workgroup_id_x 1
		.amdhsa_system_sgpr_workgroup_id_y 0
		.amdhsa_system_sgpr_workgroup_id_z 0
		.amdhsa_system_sgpr_workgroup_info 0
		.amdhsa_system_vgpr_workitem_id 0
		.amdhsa_next_free_vgpr 24
		.amdhsa_next_free_sgpr 13
		.amdhsa_named_barrier_count 0
		.amdhsa_reserve_vcc 1
		.amdhsa_float_round_mode_32 0
		.amdhsa_float_round_mode_16_64 0
		.amdhsa_float_denorm_mode_32 3
		.amdhsa_float_denorm_mode_16_64 3
		.amdhsa_fp16_overflow 0
		.amdhsa_memory_ordered 1
		.amdhsa_forward_progress 1
		.amdhsa_inst_pref_size 9
		.amdhsa_round_robin_scheduling 0
		.amdhsa_exception_fp_ieee_invalid_op 0
		.amdhsa_exception_fp_denorm_src 0
		.amdhsa_exception_fp_ieee_div_zero 0
		.amdhsa_exception_fp_ieee_overflow 0
		.amdhsa_exception_fp_ieee_underflow 0
		.amdhsa_exception_fp_ieee_inexact 0
		.amdhsa_exception_int_div_zero 0
	.end_amdhsa_kernel
	.section	.text._ZN2at6native27unrolled_elementwise_kernelIZZZNS0_12_GLOBAL__N_116addr_kernel_cudaERNS_14TensorIteratorERKN3c106ScalarES8_ENKUlvE_clEvENKUlvE7_clEvEUlNS5_7complexIfEESC_SC_E_St5arrayIPcLm4EELi4E23TrivialOffsetCalculatorILi3EjESH_ILi1EjENS0_6memory15LoadWithoutCastENSK_16StoreWithoutCastEEEviT_T0_T2_T3_T4_T5_,"axG",@progbits,_ZN2at6native27unrolled_elementwise_kernelIZZZNS0_12_GLOBAL__N_116addr_kernel_cudaERNS_14TensorIteratorERKN3c106ScalarES8_ENKUlvE_clEvENKUlvE7_clEvEUlNS5_7complexIfEESC_SC_E_St5arrayIPcLm4EELi4E23TrivialOffsetCalculatorILi3EjESH_ILi1EjENS0_6memory15LoadWithoutCastENSK_16StoreWithoutCastEEEviT_T0_T2_T3_T4_T5_,comdat
.Lfunc_end148:
	.size	_ZN2at6native27unrolled_elementwise_kernelIZZZNS0_12_GLOBAL__N_116addr_kernel_cudaERNS_14TensorIteratorERKN3c106ScalarES8_ENKUlvE_clEvENKUlvE7_clEvEUlNS5_7complexIfEESC_SC_E_St5arrayIPcLm4EELi4E23TrivialOffsetCalculatorILi3EjESH_ILi1EjENS0_6memory15LoadWithoutCastENSK_16StoreWithoutCastEEEviT_T0_T2_T3_T4_T5_, .Lfunc_end148-_ZN2at6native27unrolled_elementwise_kernelIZZZNS0_12_GLOBAL__N_116addr_kernel_cudaERNS_14TensorIteratorERKN3c106ScalarES8_ENKUlvE_clEvENKUlvE7_clEvEUlNS5_7complexIfEESC_SC_E_St5arrayIPcLm4EELi4E23TrivialOffsetCalculatorILi3EjESH_ILi1EjENS0_6memory15LoadWithoutCastENSK_16StoreWithoutCastEEEviT_T0_T2_T3_T4_T5_
                                        ; -- End function
	.set _ZN2at6native27unrolled_elementwise_kernelIZZZNS0_12_GLOBAL__N_116addr_kernel_cudaERNS_14TensorIteratorERKN3c106ScalarES8_ENKUlvE_clEvENKUlvE7_clEvEUlNS5_7complexIfEESC_SC_E_St5arrayIPcLm4EELi4E23TrivialOffsetCalculatorILi3EjESH_ILi1EjENS0_6memory15LoadWithoutCastENSK_16StoreWithoutCastEEEviT_T0_T2_T3_T4_T5_.num_vgpr, 24
	.set _ZN2at6native27unrolled_elementwise_kernelIZZZNS0_12_GLOBAL__N_116addr_kernel_cudaERNS_14TensorIteratorERKN3c106ScalarES8_ENKUlvE_clEvENKUlvE7_clEvEUlNS5_7complexIfEESC_SC_E_St5arrayIPcLm4EELi4E23TrivialOffsetCalculatorILi3EjESH_ILi1EjENS0_6memory15LoadWithoutCastENSK_16StoreWithoutCastEEEviT_T0_T2_T3_T4_T5_.num_agpr, 0
	.set _ZN2at6native27unrolled_elementwise_kernelIZZZNS0_12_GLOBAL__N_116addr_kernel_cudaERNS_14TensorIteratorERKN3c106ScalarES8_ENKUlvE_clEvENKUlvE7_clEvEUlNS5_7complexIfEESC_SC_E_St5arrayIPcLm4EELi4E23TrivialOffsetCalculatorILi3EjESH_ILi1EjENS0_6memory15LoadWithoutCastENSK_16StoreWithoutCastEEEviT_T0_T2_T3_T4_T5_.numbered_sgpr, 13
	.set _ZN2at6native27unrolled_elementwise_kernelIZZZNS0_12_GLOBAL__N_116addr_kernel_cudaERNS_14TensorIteratorERKN3c106ScalarES8_ENKUlvE_clEvENKUlvE7_clEvEUlNS5_7complexIfEESC_SC_E_St5arrayIPcLm4EELi4E23TrivialOffsetCalculatorILi3EjESH_ILi1EjENS0_6memory15LoadWithoutCastENSK_16StoreWithoutCastEEEviT_T0_T2_T3_T4_T5_.num_named_barrier, 0
	.set _ZN2at6native27unrolled_elementwise_kernelIZZZNS0_12_GLOBAL__N_116addr_kernel_cudaERNS_14TensorIteratorERKN3c106ScalarES8_ENKUlvE_clEvENKUlvE7_clEvEUlNS5_7complexIfEESC_SC_E_St5arrayIPcLm4EELi4E23TrivialOffsetCalculatorILi3EjESH_ILi1EjENS0_6memory15LoadWithoutCastENSK_16StoreWithoutCastEEEviT_T0_T2_T3_T4_T5_.private_seg_size, 0
	.set _ZN2at6native27unrolled_elementwise_kernelIZZZNS0_12_GLOBAL__N_116addr_kernel_cudaERNS_14TensorIteratorERKN3c106ScalarES8_ENKUlvE_clEvENKUlvE7_clEvEUlNS5_7complexIfEESC_SC_E_St5arrayIPcLm4EELi4E23TrivialOffsetCalculatorILi3EjESH_ILi1EjENS0_6memory15LoadWithoutCastENSK_16StoreWithoutCastEEEviT_T0_T2_T3_T4_T5_.uses_vcc, 1
	.set _ZN2at6native27unrolled_elementwise_kernelIZZZNS0_12_GLOBAL__N_116addr_kernel_cudaERNS_14TensorIteratorERKN3c106ScalarES8_ENKUlvE_clEvENKUlvE7_clEvEUlNS5_7complexIfEESC_SC_E_St5arrayIPcLm4EELi4E23TrivialOffsetCalculatorILi3EjESH_ILi1EjENS0_6memory15LoadWithoutCastENSK_16StoreWithoutCastEEEviT_T0_T2_T3_T4_T5_.uses_flat_scratch, 0
	.set _ZN2at6native27unrolled_elementwise_kernelIZZZNS0_12_GLOBAL__N_116addr_kernel_cudaERNS_14TensorIteratorERKN3c106ScalarES8_ENKUlvE_clEvENKUlvE7_clEvEUlNS5_7complexIfEESC_SC_E_St5arrayIPcLm4EELi4E23TrivialOffsetCalculatorILi3EjESH_ILi1EjENS0_6memory15LoadWithoutCastENSK_16StoreWithoutCastEEEviT_T0_T2_T3_T4_T5_.has_dyn_sized_stack, 0
	.set _ZN2at6native27unrolled_elementwise_kernelIZZZNS0_12_GLOBAL__N_116addr_kernel_cudaERNS_14TensorIteratorERKN3c106ScalarES8_ENKUlvE_clEvENKUlvE7_clEvEUlNS5_7complexIfEESC_SC_E_St5arrayIPcLm4EELi4E23TrivialOffsetCalculatorILi3EjESH_ILi1EjENS0_6memory15LoadWithoutCastENSK_16StoreWithoutCastEEEviT_T0_T2_T3_T4_T5_.has_recursion, 0
	.set _ZN2at6native27unrolled_elementwise_kernelIZZZNS0_12_GLOBAL__N_116addr_kernel_cudaERNS_14TensorIteratorERKN3c106ScalarES8_ENKUlvE_clEvENKUlvE7_clEvEUlNS5_7complexIfEESC_SC_E_St5arrayIPcLm4EELi4E23TrivialOffsetCalculatorILi3EjESH_ILi1EjENS0_6memory15LoadWithoutCastENSK_16StoreWithoutCastEEEviT_T0_T2_T3_T4_T5_.has_indirect_call, 0
	.section	.AMDGPU.csdata,"",@progbits
; Kernel info:
; codeLenInByte = 1128
; TotalNumSgprs: 15
; NumVgprs: 24
; ScratchSize: 0
; MemoryBound: 0
; FloatMode: 240
; IeeeMode: 1
; LDSByteSize: 0 bytes/workgroup (compile time only)
; SGPRBlocks: 0
; VGPRBlocks: 1
; NumSGPRsForWavesPerEU: 15
; NumVGPRsForWavesPerEU: 24
; NamedBarCnt: 0
; Occupancy: 16
; WaveLimiterHint : 0
; COMPUTE_PGM_RSRC2:SCRATCH_EN: 0
; COMPUTE_PGM_RSRC2:USER_SGPR: 2
; COMPUTE_PGM_RSRC2:TRAP_HANDLER: 0
; COMPUTE_PGM_RSRC2:TGID_X_EN: 1
; COMPUTE_PGM_RSRC2:TGID_Y_EN: 0
; COMPUTE_PGM_RSRC2:TGID_Z_EN: 0
; COMPUTE_PGM_RSRC2:TIDIG_COMP_CNT: 0
	.section	.text._ZN2at6native32elementwise_kernel_manual_unrollILi128ELi4EZNS0_22gpu_kernel_impl_nocastIZZZNS0_12_GLOBAL__N_116addr_kernel_cudaERNS_14TensorIteratorERKN3c106ScalarES9_ENKUlvE_clEvENKUlvE7_clEvEUlNS6_7complexIfEESD_SD_E_EEvRNS_18TensorIteratorBaseERKT_EUlibE_EEviT1_,"axG",@progbits,_ZN2at6native32elementwise_kernel_manual_unrollILi128ELi4EZNS0_22gpu_kernel_impl_nocastIZZZNS0_12_GLOBAL__N_116addr_kernel_cudaERNS_14TensorIteratorERKN3c106ScalarES9_ENKUlvE_clEvENKUlvE7_clEvEUlNS6_7complexIfEESD_SD_E_EEvRNS_18TensorIteratorBaseERKT_EUlibE_EEviT1_,comdat
	.globl	_ZN2at6native32elementwise_kernel_manual_unrollILi128ELi4EZNS0_22gpu_kernel_impl_nocastIZZZNS0_12_GLOBAL__N_116addr_kernel_cudaERNS_14TensorIteratorERKN3c106ScalarES9_ENKUlvE_clEvENKUlvE7_clEvEUlNS6_7complexIfEESD_SD_E_EEvRNS_18TensorIteratorBaseERKT_EUlibE_EEviT1_ ; -- Begin function _ZN2at6native32elementwise_kernel_manual_unrollILi128ELi4EZNS0_22gpu_kernel_impl_nocastIZZZNS0_12_GLOBAL__N_116addr_kernel_cudaERNS_14TensorIteratorERKN3c106ScalarES9_ENKUlvE_clEvENKUlvE7_clEvEUlNS6_7complexIfEESD_SD_E_EEvRNS_18TensorIteratorBaseERKT_EUlibE_EEviT1_
	.p2align	8
	.type	_ZN2at6native32elementwise_kernel_manual_unrollILi128ELi4EZNS0_22gpu_kernel_impl_nocastIZZZNS0_12_GLOBAL__N_116addr_kernel_cudaERNS_14TensorIteratorERKN3c106ScalarES9_ENKUlvE_clEvENKUlvE7_clEvEUlNS6_7complexIfEESD_SD_E_EEvRNS_18TensorIteratorBaseERKT_EUlibE_EEviT1_,@function
_ZN2at6native32elementwise_kernel_manual_unrollILi128ELi4EZNS0_22gpu_kernel_impl_nocastIZZZNS0_12_GLOBAL__N_116addr_kernel_cudaERNS_14TensorIteratorERKN3c106ScalarES9_ENKUlvE_clEvENKUlvE7_clEvEUlNS6_7complexIfEESD_SD_E_EEvRNS_18TensorIteratorBaseERKT_EUlibE_EEviT1_: ; @_ZN2at6native32elementwise_kernel_manual_unrollILi128ELi4EZNS0_22gpu_kernel_impl_nocastIZZZNS0_12_GLOBAL__N_116addr_kernel_cudaERNS_14TensorIteratorERKN3c106ScalarES9_ENKUlvE_clEvENKUlvE7_clEvEUlNS6_7complexIfEESD_SD_E_EEvRNS_18TensorIteratorBaseERKT_EUlibE_EEviT1_
; %bb.0:
	s_clause 0x1
	s_load_b32 s11, s[0:1], 0x8
	s_load_b32 s37, s[0:1], 0x0
	s_bfe_u32 s2, ttmp6, 0x4000c
	s_and_b32 s3, ttmp6, 15
	s_add_co_i32 s2, s2, 1
	s_getreg_b32 s4, hwreg(HW_REG_IB_STS2, 6, 4)
	s_mul_i32 s2, ttmp9, s2
	s_add_nc_u64 s[12:13], s[0:1], 8
	s_add_co_i32 s3, s3, s2
	s_cmp_eq_u32 s4, 0
	s_mov_b32 s4, 0
	s_cselect_b32 s2, ttmp9, s3
                                        ; implicit-def: $vgpr1
                                        ; implicit-def: $vgpr4_vgpr5
	s_wait_xcnt 0x0
	s_mov_b32 s0, exec_lo
	v_lshl_or_b32 v0, s2, 9, v0
	s_delay_alu instid0(VALU_DEP_1) | instskip(SKIP_2) | instid1(SALU_CYCLE_1)
	v_or_b32_e32 v6, 0x180, v0
	s_wait_kmcnt 0x0
	s_add_co_i32 s30, s11, -1
	s_cmp_gt_u32 s30, 1
	s_cselect_b32 s31, -1, 0
	v_cmpx_le_i32_e64 s37, v6
	s_xor_b32 s33, exec_lo, s0
	s_cbranch_execnz .LBB149_4
; %bb.1:
	s_and_not1_saveexec_b32 s5, s33
	s_cbranch_execnz .LBB149_57
.LBB149_2:
	s_or_b32 exec_lo, exec_lo, s5
	s_and_saveexec_b32 s0, s4
	s_cbranch_execnz .LBB149_102
.LBB149_3:
	s_endpgm
.LBB149_4:
	s_clause 0x7
	s_load_b128 s[4:7], s[12:13], 0x4
	s_load_b64 s[18:19], s[12:13], 0x14
	s_load_b64 s[26:27], s[12:13], 0x1e8
	s_load_b32 s34, s[12:13], 0xc4
	s_load_b96 s[8:10], s[12:13], 0xcc
	s_load_b64 s[20:21], s[12:13], 0xdc
	s_load_b64 s[14:15], s[12:13], 0x1c8
	s_load_b128 s[0:3], s[12:13], 0x1d8
	s_cmp_lg_u32 s11, 0
	s_mov_b32 s25, 0
	s_cselect_b32 s38, -1, 0
	s_min_u32 s36, s30, 15
	s_cmp_gt_u32 s11, 1
	s_mov_b32 s23, s25
	s_cselect_b32 s35, -1, 0
	s_wait_kmcnt 0x0
	s_mov_b32 s24, s5
	s_mov_b32 s22, s18
	;; [unrolled: 1-line block ×4, first 2 shown]
	s_mov_b32 s5, exec_lo
	v_cmpx_gt_i32_e64 s37, v0
	s_cbranch_execnz .LBB149_7
; %bb.5:
	s_or_b32 exec_lo, exec_lo, s5
	s_delay_alu instid0(SALU_CYCLE_1)
	s_mov_b32 s5, exec_lo
	v_cmpx_gt_i32_e64 s37, v0
	s_cbranch_execnz .LBB149_19
.LBB149_6:
	s_or_b32 exec_lo, exec_lo, s5
	s_delay_alu instid0(SALU_CYCLE_1)
	s_mov_b32 s5, exec_lo
	v_cmpx_gt_i32_e64 s37, v0
	s_cbranch_execnz .LBB149_31
	s_branch .LBB149_43
.LBB149_7:
	s_and_not1_b32 vcc_lo, exec_lo, s31
	s_cbranch_vccnz .LBB149_13
; %bb.8:
	s_and_not1_b32 vcc_lo, exec_lo, s38
	s_cbranch_vccnz .LBB149_14
; %bb.9:
	v_dual_mov_b32 v4, 0 :: v_dual_mov_b32 v1, v0
	v_dual_mov_b32 v6, 0 :: v_dual_mov_b32 v5, 0
	s_add_co_i32 s18, s36, 1
	s_mov_b64 s[26:27], 0xffffffffffffffe0
	s_and_b32 s18, s18, 30
	s_add_nc_u64 s[26:27], s[12:13], s[26:27]
	s_mov_b64 s[28:29], s[12:13]
.LBB149_10:                             ; =>This Inner Loop Header: Depth=1
	s_clause 0x1
	s_load_b128 s[40:43], s[28:29], 0x4
	s_load_b64 s[44:45], s[28:29], 0x14
	s_load_b32 s39, s[26:27], 0xe4
	s_add_co_i32 s18, s18, -2
	s_wait_xcnt 0x0
	s_add_nc_u64 s[28:29], s[28:29], 24
	s_cmp_lg_u32 s18, 0
	s_wait_kmcnt 0x0
	v_mul_hi_u32 v2, s41, v1
	s_delay_alu instid0(VALU_DEP_1) | instskip(NEXT) | instid1(VALU_DEP_1)
	v_add_nc_u32_e32 v2, v1, v2
	v_lshrrev_b32_e32 v2, s42, v2
	s_delay_alu instid0(VALU_DEP_1) | instskip(SKIP_2) | instid1(VALU_DEP_2)
	v_mul_hi_u32 v3, s44, v2
	v_mul_lo_u32 v7, v2, s40
	s_load_b96 s[40:42], s[26:27], 0xec
	v_add_nc_u32_e32 v3, v2, v3
	s_delay_alu instid0(VALU_DEP_2) | instskip(NEXT) | instid1(VALU_DEP_2)
	v_sub_nc_u32_e32 v7, v1, v7
	v_lshrrev_b32_e32 v1, s45, v3
	s_load_b64 s[44:45], s[26:27], 0xfc
	s_delay_alu instid0(VALU_DEP_2)
	v_mad_u32 v4, v7, s39, v4
	s_wait_xcnt 0x0
	s_add_nc_u64 s[26:27], s[26:27], 32
	v_mul_lo_u32 v3, v1, s43
	s_wait_kmcnt 0x0
	v_mad_u32 v5, v7, s41, v5
	v_mad_u32 v6, v7, s40, v6
	s_delay_alu instid0(VALU_DEP_3) | instskip(NEXT) | instid1(VALU_DEP_1)
	v_sub_nc_u32_e32 v2, v2, v3
	v_mad_u32 v4, v2, s42, v4
	s_delay_alu instid0(VALU_DEP_4) | instskip(NEXT) | instid1(VALU_DEP_4)
	v_mad_u32 v5, v2, s45, v5
	v_mad_u32 v6, v2, s44, v6
	s_cbranch_scc1 .LBB149_10
; %bb.11:
	s_bitcmp1_b32 s36, 0
	s_cselect_b32 s18, -1, 0
	s_delay_alu instid0(SALU_CYCLE_1)
	s_and_b32 vcc_lo, exec_lo, s18
	s_cbranch_vccnz .LBB149_15
; %bb.12:
	s_load_b96 s[40:42], s[28:29], 0x4
	s_load_b32 s18, s[26:27], 0xe4
	s_wait_xcnt 0x0
	s_load_b64 s[28:29], s[26:27], 0xec
	s_wait_kmcnt 0x0
	v_mul_hi_u32 v2, s41, v1
	s_delay_alu instid0(VALU_DEP_1) | instskip(NEXT) | instid1(VALU_DEP_1)
	v_add_nc_u32_e32 v2, v1, v2
	v_lshrrev_b32_e32 v2, s42, v2
	s_delay_alu instid0(VALU_DEP_1) | instskip(NEXT) | instid1(VALU_DEP_1)
	v_mul_lo_u32 v2, v2, s40
	v_sub_nc_u32_e32 v1, v1, v2
	s_delay_alu instid0(VALU_DEP_1)
	v_mad_u32 v4, v1, s18, v4
	v_mad_u32 v6, v1, s28, v6
	v_mad_u32 v5, v1, s29, v5
	s_cbranch_execz .LBB149_16
	s_branch .LBB149_18
.LBB149_13:
                                        ; implicit-def: $vgpr5
                                        ; implicit-def: $vgpr6
                                        ; implicit-def: $vgpr4
	s_branch .LBB149_16
.LBB149_14:
	v_dual_mov_b32 v5, 0 :: v_dual_mov_b32 v6, 0
	v_mov_b32_e32 v4, 0
.LBB149_15:
	s_cbranch_execnz .LBB149_18
.LBB149_16:
	v_mov_b32_e32 v1, 0
	s_and_not1_b32 vcc_lo, exec_lo, s35
	s_delay_alu instid0(VALU_DEP_1) | instskip(NEXT) | instid1(VALU_DEP_1)
	v_mul_u64_e32 v[2:3], s[24:25], v[0:1]
	v_add_nc_u32_e32 v2, v0, v3
	s_delay_alu instid0(VALU_DEP_1) | instskip(NEXT) | instid1(VALU_DEP_1)
	v_lshrrev_b32_e32 v2, s6, v2
	v_mul_lo_u32 v3, v2, s4
	s_delay_alu instid0(VALU_DEP_1) | instskip(NEXT) | instid1(VALU_DEP_1)
	v_sub_nc_u32_e32 v3, v0, v3
	v_mul_lo_u32 v4, v3, s34
	v_mul_lo_u32 v5, v3, s9
	;; [unrolled: 1-line block ×3, first 2 shown]
	s_cbranch_vccnz .LBB149_18
; %bb.17:
	v_mov_b32_e32 v3, v1
	s_delay_alu instid0(VALU_DEP_1) | instskip(NEXT) | instid1(VALU_DEP_1)
	v_mul_u64_e32 v[8:9], s[22:23], v[2:3]
	v_add_nc_u32_e32 v1, v2, v9
	s_delay_alu instid0(VALU_DEP_1) | instskip(NEXT) | instid1(VALU_DEP_1)
	v_lshrrev_b32_e32 v1, s19, v1
	v_mul_lo_u32 v1, v1, s7
	s_delay_alu instid0(VALU_DEP_1) | instskip(NEXT) | instid1(VALU_DEP_1)
	v_sub_nc_u32_e32 v1, v2, v1
	v_mad_u32 v4, v1, s10, v4
	v_mad_u32 v6, v1, s20, v6
	;; [unrolled: 1-line block ×3, first 2 shown]
.LBB149_18:
	global_load_b64 v[2:3], v6, s[0:1]
	global_load_b64 v[8:9], v5, s[2:3]
	s_wait_xcnt 0x1
	v_mov_b64_e32 v[6:7], s[16:17]
	v_add_nc_u32_e32 v0, 0x80, v0
	s_wait_loadcnt 0x1
	s_delay_alu instid0(VALU_DEP_2) | instskip(SKIP_1) | instid1(VALU_DEP_2)
	v_pk_mul_f32 v[10:11], v[2:3], v[6:7]
	v_pk_mul_f32 v[2:3], v[2:3], v[6:7] op_sel:[0,1] op_sel_hi:[1,0]
	v_add_f32_e32 v6, v10, v11
	s_delay_alu instid0(VALU_DEP_2) | instskip(SKIP_1) | instid1(VALU_DEP_2)
	v_pk_add_f32 v[2:3], v[2:3], v[2:3] op_sel:[0,1] op_sel_hi:[0,1] neg_lo:[0,1] neg_hi:[0,1]
	s_wait_loadcnt 0x0
	v_pk_mul_f32 v[6:7], v[6:7], v[8:9] op_sel:[0,1] op_sel_hi:[0,0]
	s_delay_alu instid0(VALU_DEP_1) | instskip(SKIP_1) | instid1(VALU_DEP_2)
	v_pk_fma_f32 v[10:11], v[8:9], v[2:3], v[6:7]
	v_pk_fma_f32 v[2:3], v[8:9], v[2:3], v[6:7] neg_lo:[0,0,1] neg_hi:[0,0,1]
	v_mov_b32_e32 v3, v11
	global_store_b64 v4, v[2:3], s[14:15]
	s_wait_xcnt 0x0
	s_or_b32 exec_lo, exec_lo, s5
	s_delay_alu instid0(SALU_CYCLE_1)
	s_mov_b32 s5, exec_lo
	v_cmpx_gt_i32_e64 s37, v0
	s_cbranch_execz .LBB149_6
.LBB149_19:
	s_and_not1_b32 vcc_lo, exec_lo, s31
	s_cbranch_vccnz .LBB149_25
; %bb.20:
	s_and_not1_b32 vcc_lo, exec_lo, s38
	s_cbranch_vccnz .LBB149_26
; %bb.21:
	v_dual_mov_b32 v4, 0 :: v_dual_mov_b32 v1, v0
	v_dual_mov_b32 v6, 0 :: v_dual_mov_b32 v5, 0
	s_add_co_i32 s18, s36, 1
	s_mov_b64 s[26:27], 0xffffffffffffffe0
	s_and_b32 s18, s18, 30
	s_add_nc_u64 s[26:27], s[12:13], s[26:27]
	s_mov_b64 s[28:29], s[12:13]
.LBB149_22:                             ; =>This Inner Loop Header: Depth=1
	s_clause 0x1
	s_load_b128 s[40:43], s[28:29], 0x4
	s_load_b64 s[44:45], s[28:29], 0x14
	s_load_b32 s39, s[26:27], 0xe4
	s_add_co_i32 s18, s18, -2
	s_wait_xcnt 0x0
	s_add_nc_u64 s[28:29], s[28:29], 24
	s_cmp_eq_u32 s18, 0
	s_wait_kmcnt 0x0
	v_mul_hi_u32 v2, s41, v1
	s_delay_alu instid0(VALU_DEP_1) | instskip(NEXT) | instid1(VALU_DEP_1)
	v_add_nc_u32_e32 v2, v1, v2
	v_lshrrev_b32_e32 v2, s42, v2
	s_delay_alu instid0(VALU_DEP_1) | instskip(SKIP_2) | instid1(VALU_DEP_2)
	v_mul_hi_u32 v3, s44, v2
	v_mul_lo_u32 v7, v2, s40
	s_load_b96 s[40:42], s[26:27], 0xec
	v_add_nc_u32_e32 v3, v2, v3
	s_delay_alu instid0(VALU_DEP_2) | instskip(NEXT) | instid1(VALU_DEP_2)
	v_sub_nc_u32_e32 v7, v1, v7
	v_lshrrev_b32_e32 v1, s45, v3
	s_load_b64 s[44:45], s[26:27], 0xfc
	s_delay_alu instid0(VALU_DEP_2)
	v_mad_u32 v4, v7, s39, v4
	s_wait_xcnt 0x0
	s_add_nc_u64 s[26:27], s[26:27], 32
	v_mul_lo_u32 v3, v1, s43
	s_wait_kmcnt 0x0
	v_mad_u32 v5, v7, s41, v5
	v_mad_u32 v6, v7, s40, v6
	s_delay_alu instid0(VALU_DEP_3) | instskip(NEXT) | instid1(VALU_DEP_1)
	v_sub_nc_u32_e32 v2, v2, v3
	v_mad_u32 v4, v2, s42, v4
	s_delay_alu instid0(VALU_DEP_4) | instskip(NEXT) | instid1(VALU_DEP_4)
	v_mad_u32 v5, v2, s45, v5
	v_mad_u32 v6, v2, s44, v6
	s_cbranch_scc0 .LBB149_22
; %bb.23:
	s_bitcmp1_b32 s36, 0
	s_cselect_b32 s18, -1, 0
	s_delay_alu instid0(SALU_CYCLE_1)
	s_and_b32 vcc_lo, exec_lo, s18
	s_cbranch_vccnz .LBB149_27
; %bb.24:
	s_load_b96 s[40:42], s[28:29], 0x4
	s_load_b32 s18, s[26:27], 0xe4
	s_wait_xcnt 0x0
	s_load_b64 s[28:29], s[26:27], 0xec
	s_wait_kmcnt 0x0
	v_mul_hi_u32 v2, s41, v1
	s_delay_alu instid0(VALU_DEP_1) | instskip(NEXT) | instid1(VALU_DEP_1)
	v_add_nc_u32_e32 v2, v1, v2
	v_lshrrev_b32_e32 v2, s42, v2
	s_delay_alu instid0(VALU_DEP_1) | instskip(NEXT) | instid1(VALU_DEP_1)
	v_mul_lo_u32 v2, v2, s40
	v_sub_nc_u32_e32 v1, v1, v2
	s_delay_alu instid0(VALU_DEP_1)
	v_mad_u32 v4, v1, s18, v4
	v_mad_u32 v6, v1, s28, v6
	;; [unrolled: 1-line block ×3, first 2 shown]
	s_branch .LBB149_27
.LBB149_25:
                                        ; implicit-def: $vgpr5
                                        ; implicit-def: $vgpr6
                                        ; implicit-def: $vgpr4
	s_branch .LBB149_28
.LBB149_26:
	v_dual_mov_b32 v5, 0 :: v_dual_mov_b32 v6, 0
	v_mov_b32_e32 v4, 0
.LBB149_27:
	s_cbranch_execnz .LBB149_30
.LBB149_28:
	v_mov_b32_e32 v1, 0
	s_and_not1_b32 vcc_lo, exec_lo, s35
	s_delay_alu instid0(VALU_DEP_1) | instskip(NEXT) | instid1(VALU_DEP_1)
	v_mul_u64_e32 v[2:3], s[24:25], v[0:1]
	v_add_nc_u32_e32 v2, v0, v3
	s_delay_alu instid0(VALU_DEP_1) | instskip(NEXT) | instid1(VALU_DEP_1)
	v_lshrrev_b32_e32 v2, s6, v2
	v_mul_lo_u32 v3, v2, s4
	s_delay_alu instid0(VALU_DEP_1) | instskip(NEXT) | instid1(VALU_DEP_1)
	v_sub_nc_u32_e32 v3, v0, v3
	v_mul_lo_u32 v4, v3, s34
	v_mul_lo_u32 v5, v3, s9
	v_mul_lo_u32 v6, v3, s8
	s_cbranch_vccnz .LBB149_30
; %bb.29:
	v_mov_b32_e32 v3, v1
	s_delay_alu instid0(VALU_DEP_1) | instskip(NEXT) | instid1(VALU_DEP_1)
	v_mul_u64_e32 v[8:9], s[22:23], v[2:3]
	v_add_nc_u32_e32 v1, v2, v9
	s_delay_alu instid0(VALU_DEP_1) | instskip(NEXT) | instid1(VALU_DEP_1)
	v_lshrrev_b32_e32 v1, s19, v1
	v_mul_lo_u32 v1, v1, s7
	s_delay_alu instid0(VALU_DEP_1) | instskip(NEXT) | instid1(VALU_DEP_1)
	v_sub_nc_u32_e32 v1, v2, v1
	v_mad_u32 v4, v1, s10, v4
	v_mad_u32 v6, v1, s20, v6
	;; [unrolled: 1-line block ×3, first 2 shown]
.LBB149_30:
	global_load_b64 v[2:3], v6, s[0:1]
	global_load_b64 v[8:9], v5, s[2:3]
	s_wait_xcnt 0x1
	v_mov_b64_e32 v[6:7], s[16:17]
	v_add_nc_u32_e32 v0, 0x80, v0
	s_wait_loadcnt 0x1
	s_delay_alu instid0(VALU_DEP_2) | instskip(SKIP_1) | instid1(VALU_DEP_2)
	v_pk_mul_f32 v[10:11], v[2:3], v[6:7]
	v_pk_mul_f32 v[2:3], v[2:3], v[6:7] op_sel:[0,1] op_sel_hi:[1,0]
	v_add_f32_e32 v6, v10, v11
	s_delay_alu instid0(VALU_DEP_2) | instskip(SKIP_1) | instid1(VALU_DEP_2)
	v_pk_add_f32 v[2:3], v[2:3], v[2:3] op_sel:[0,1] op_sel_hi:[0,1] neg_lo:[0,1] neg_hi:[0,1]
	s_wait_loadcnt 0x0
	v_pk_mul_f32 v[6:7], v[6:7], v[8:9] op_sel:[0,1] op_sel_hi:[0,0]
	s_delay_alu instid0(VALU_DEP_1) | instskip(SKIP_1) | instid1(VALU_DEP_2)
	v_pk_fma_f32 v[10:11], v[8:9], v[2:3], v[6:7]
	v_pk_fma_f32 v[2:3], v[8:9], v[2:3], v[6:7] neg_lo:[0,0,1] neg_hi:[0,0,1]
	v_mov_b32_e32 v3, v11
	global_store_b64 v4, v[2:3], s[14:15]
	s_wait_xcnt 0x0
	s_or_b32 exec_lo, exec_lo, s5
	s_delay_alu instid0(SALU_CYCLE_1)
	s_mov_b32 s5, exec_lo
	v_cmpx_gt_i32_e64 s37, v0
	s_cbranch_execz .LBB149_43
.LBB149_31:
	s_and_not1_b32 vcc_lo, exec_lo, s31
	s_cbranch_vccnz .LBB149_37
; %bb.32:
	s_and_not1_b32 vcc_lo, exec_lo, s38
	s_cbranch_vccnz .LBB149_38
; %bb.33:
	v_dual_mov_b32 v4, 0 :: v_dual_mov_b32 v1, v0
	v_dual_mov_b32 v6, 0 :: v_dual_mov_b32 v5, 0
	s_add_co_i32 s18, s36, 1
	s_mov_b64 s[26:27], 0xffffffffffffffe0
	s_and_b32 s18, s18, 30
	s_add_nc_u64 s[26:27], s[12:13], s[26:27]
	s_mov_b64 s[28:29], s[12:13]
.LBB149_34:                             ; =>This Inner Loop Header: Depth=1
	s_clause 0x1
	s_load_b128 s[40:43], s[28:29], 0x4
	s_load_b64 s[44:45], s[28:29], 0x14
	s_load_b32 s39, s[26:27], 0xe4
	s_add_co_i32 s18, s18, -2
	s_wait_xcnt 0x0
	s_add_nc_u64 s[28:29], s[28:29], 24
	s_cmp_eq_u32 s18, 0
	s_wait_kmcnt 0x0
	v_mul_hi_u32 v2, s41, v1
	s_delay_alu instid0(VALU_DEP_1) | instskip(NEXT) | instid1(VALU_DEP_1)
	v_add_nc_u32_e32 v2, v1, v2
	v_lshrrev_b32_e32 v2, s42, v2
	s_delay_alu instid0(VALU_DEP_1) | instskip(SKIP_2) | instid1(VALU_DEP_2)
	v_mul_hi_u32 v3, s44, v2
	v_mul_lo_u32 v7, v2, s40
	s_load_b96 s[40:42], s[26:27], 0xec
	v_add_nc_u32_e32 v3, v2, v3
	s_delay_alu instid0(VALU_DEP_2) | instskip(NEXT) | instid1(VALU_DEP_2)
	v_sub_nc_u32_e32 v7, v1, v7
	v_lshrrev_b32_e32 v1, s45, v3
	s_load_b64 s[44:45], s[26:27], 0xfc
	s_delay_alu instid0(VALU_DEP_2)
	v_mad_u32 v4, v7, s39, v4
	s_wait_xcnt 0x0
	s_add_nc_u64 s[26:27], s[26:27], 32
	v_mul_lo_u32 v3, v1, s43
	s_wait_kmcnt 0x0
	v_mad_u32 v5, v7, s41, v5
	v_mad_u32 v6, v7, s40, v6
	s_delay_alu instid0(VALU_DEP_3) | instskip(NEXT) | instid1(VALU_DEP_1)
	v_sub_nc_u32_e32 v2, v2, v3
	v_mad_u32 v4, v2, s42, v4
	s_delay_alu instid0(VALU_DEP_4) | instskip(NEXT) | instid1(VALU_DEP_4)
	v_mad_u32 v5, v2, s45, v5
	v_mad_u32 v6, v2, s44, v6
	s_cbranch_scc0 .LBB149_34
; %bb.35:
	s_bitcmp1_b32 s36, 0
	s_cselect_b32 s18, -1, 0
	s_delay_alu instid0(SALU_CYCLE_1)
	s_and_b32 vcc_lo, exec_lo, s18
	s_cbranch_vccnz .LBB149_39
; %bb.36:
	s_load_b96 s[40:42], s[28:29], 0x4
	s_load_b32 s18, s[26:27], 0xe4
	s_wait_xcnt 0x0
	s_load_b64 s[28:29], s[26:27], 0xec
	s_wait_kmcnt 0x0
	v_mul_hi_u32 v2, s41, v1
	s_delay_alu instid0(VALU_DEP_1) | instskip(NEXT) | instid1(VALU_DEP_1)
	v_add_nc_u32_e32 v2, v1, v2
	v_lshrrev_b32_e32 v2, s42, v2
	s_delay_alu instid0(VALU_DEP_1) | instskip(NEXT) | instid1(VALU_DEP_1)
	v_mul_lo_u32 v2, v2, s40
	v_sub_nc_u32_e32 v1, v1, v2
	s_delay_alu instid0(VALU_DEP_1)
	v_mad_u32 v4, v1, s18, v4
	v_mad_u32 v6, v1, s28, v6
	;; [unrolled: 1-line block ×3, first 2 shown]
	s_branch .LBB149_39
.LBB149_37:
                                        ; implicit-def: $vgpr5
                                        ; implicit-def: $vgpr6
                                        ; implicit-def: $vgpr4
	s_branch .LBB149_40
.LBB149_38:
	v_dual_mov_b32 v5, 0 :: v_dual_mov_b32 v6, 0
	v_mov_b32_e32 v4, 0
.LBB149_39:
	s_cbranch_execnz .LBB149_42
.LBB149_40:
	v_mov_b32_e32 v1, 0
	s_and_not1_b32 vcc_lo, exec_lo, s35
	s_delay_alu instid0(VALU_DEP_1) | instskip(NEXT) | instid1(VALU_DEP_1)
	v_mul_u64_e32 v[2:3], s[24:25], v[0:1]
	v_add_nc_u32_e32 v2, v0, v3
	s_delay_alu instid0(VALU_DEP_1) | instskip(NEXT) | instid1(VALU_DEP_1)
	v_lshrrev_b32_e32 v2, s6, v2
	v_mul_lo_u32 v3, v2, s4
	s_delay_alu instid0(VALU_DEP_1) | instskip(NEXT) | instid1(VALU_DEP_1)
	v_sub_nc_u32_e32 v3, v0, v3
	v_mul_lo_u32 v4, v3, s34
	v_mul_lo_u32 v5, v3, s9
	;; [unrolled: 1-line block ×3, first 2 shown]
	s_cbranch_vccnz .LBB149_42
; %bb.41:
	v_mov_b32_e32 v3, v1
	s_delay_alu instid0(VALU_DEP_1) | instskip(NEXT) | instid1(VALU_DEP_1)
	v_mul_u64_e32 v[8:9], s[22:23], v[2:3]
	v_add_nc_u32_e32 v1, v2, v9
	s_delay_alu instid0(VALU_DEP_1) | instskip(NEXT) | instid1(VALU_DEP_1)
	v_lshrrev_b32_e32 v1, s19, v1
	v_mul_lo_u32 v1, v1, s7
	s_delay_alu instid0(VALU_DEP_1) | instskip(NEXT) | instid1(VALU_DEP_1)
	v_sub_nc_u32_e32 v1, v2, v1
	v_mad_u32 v4, v1, s10, v4
	v_mad_u32 v6, v1, s20, v6
	;; [unrolled: 1-line block ×3, first 2 shown]
.LBB149_42:
	global_load_b64 v[2:3], v6, s[0:1]
	global_load_b64 v[8:9], v5, s[2:3]
	s_wait_xcnt 0x1
	v_mov_b64_e32 v[6:7], s[16:17]
	v_add_nc_u32_e32 v0, 0x80, v0
	s_wait_loadcnt 0x1
	s_delay_alu instid0(VALU_DEP_2) | instskip(SKIP_1) | instid1(VALU_DEP_2)
	v_pk_mul_f32 v[10:11], v[2:3], v[6:7]
	v_pk_mul_f32 v[2:3], v[2:3], v[6:7] op_sel:[0,1] op_sel_hi:[1,0]
	v_add_f32_e32 v6, v10, v11
	s_delay_alu instid0(VALU_DEP_2) | instskip(SKIP_1) | instid1(VALU_DEP_2)
	v_pk_add_f32 v[2:3], v[2:3], v[2:3] op_sel:[0,1] op_sel_hi:[0,1] neg_lo:[0,1] neg_hi:[0,1]
	s_wait_loadcnt 0x0
	v_pk_mul_f32 v[6:7], v[6:7], v[8:9] op_sel:[0,1] op_sel_hi:[0,0]
	s_delay_alu instid0(VALU_DEP_1) | instskip(SKIP_1) | instid1(VALU_DEP_2)
	v_pk_fma_f32 v[10:11], v[8:9], v[2:3], v[6:7]
	v_pk_fma_f32 v[2:3], v[8:9], v[2:3], v[6:7] neg_lo:[0,0,1] neg_hi:[0,0,1]
	v_mov_b32_e32 v3, v11
	global_store_b64 v4, v[2:3], s[14:15]
.LBB149_43:
	s_wait_xcnt 0x0
	s_or_b32 exec_lo, exec_lo, s5
	s_mov_b32 s18, 0
	s_mov_b32 s5, exec_lo
                                        ; implicit-def: $vgpr1
                                        ; implicit-def: $vgpr4_vgpr5
	v_cmpx_gt_i32_e64 s37, v0
	s_cbranch_execz .LBB149_56
; %bb.44:
	s_and_not1_b32 vcc_lo, exec_lo, s31
	s_cbranch_vccnz .LBB149_50
; %bb.45:
	s_and_not1_b32 vcc_lo, exec_lo, s38
	s_cbranch_vccnz .LBB149_51
; %bb.46:
	v_dual_mov_b32 v2, 0 :: v_dual_mov_b32 v1, v0
	v_dual_mov_b32 v6, 0 :: v_dual_mov_b32 v3, 0
	s_add_co_i32 s18, s36, 1
	s_mov_b64 s[26:27], 0xffffffffffffffe0
	s_and_b32 s18, s18, 30
	s_add_nc_u64 s[26:27], s[12:13], s[26:27]
	s_mov_b64 s[28:29], s[12:13]
.LBB149_47:                             ; =>This Inner Loop Header: Depth=1
	s_clause 0x1
	s_load_b128 s[40:43], s[28:29], 0x4
	s_load_b64 s[38:39], s[28:29], 0x14
	s_load_b32 s37, s[26:27], 0xe4
	s_add_co_i32 s18, s18, -2
	s_wait_xcnt 0x0
	s_add_nc_u64 s[28:29], s[28:29], 24
	s_cmp_eq_u32 s18, 0
	s_wait_kmcnt 0x0
	v_mul_hi_u32 v4, s41, v1
	s_delay_alu instid0(VALU_DEP_1) | instskip(NEXT) | instid1(VALU_DEP_1)
	v_add_nc_u32_e32 v4, v1, v4
	v_lshrrev_b32_e32 v4, s42, v4
	s_delay_alu instid0(VALU_DEP_1) | instskip(SKIP_2) | instid1(VALU_DEP_1)
	v_mul_hi_u32 v5, s38, v4
	v_mul_lo_u32 v7, v4, s40
	s_load_b96 s[40:42], s[26:27], 0xec
	v_dual_add_nc_u32 v5, v4, v5 :: v_dual_sub_nc_u32 v7, v1, v7
	s_delay_alu instid0(VALU_DEP_1) | instskip(SKIP_1) | instid1(VALU_DEP_2)
	v_lshrrev_b32_e32 v1, s39, v5
	s_load_b64 s[38:39], s[26:27], 0xfc
	v_mad_u32 v2, v7, s37, v2
	s_wait_xcnt 0x0
	s_add_nc_u64 s[26:27], s[26:27], 32
	v_mul_lo_u32 v5, v1, s43
	s_wait_kmcnt 0x0
	v_mad_u32 v3, v7, s41, v3
	v_mad_u32 v6, v7, s40, v6
	s_delay_alu instid0(VALU_DEP_3) | instskip(NEXT) | instid1(VALU_DEP_1)
	v_sub_nc_u32_e32 v4, v4, v5
	v_mad_u32 v2, v4, s42, v2
	s_delay_alu instid0(VALU_DEP_4) | instskip(NEXT) | instid1(VALU_DEP_4)
	v_mad_u32 v3, v4, s39, v3
	v_mad_u32 v6, v4, s38, v6
	s_cbranch_scc0 .LBB149_47
; %bb.48:
	s_bitcmp1_b32 s36, 0
	s_cselect_b32 s18, -1, 0
	s_delay_alu instid0(SALU_CYCLE_1)
	s_and_b32 vcc_lo, exec_lo, s18
	s_cbranch_vccnz .LBB149_52
; %bb.49:
	s_load_b96 s[36:38], s[28:29], 0x4
	s_load_b32 s18, s[26:27], 0xe4
	s_wait_xcnt 0x0
	s_load_b64 s[28:29], s[26:27], 0xec
	s_wait_kmcnt 0x0
	v_mul_hi_u32 v4, s37, v1
	s_delay_alu instid0(VALU_DEP_1) | instskip(NEXT) | instid1(VALU_DEP_1)
	v_add_nc_u32_e32 v4, v1, v4
	v_lshrrev_b32_e32 v4, s38, v4
	s_delay_alu instid0(VALU_DEP_1) | instskip(NEXT) | instid1(VALU_DEP_1)
	v_mul_lo_u32 v4, v4, s36
	v_sub_nc_u32_e32 v1, v1, v4
	s_delay_alu instid0(VALU_DEP_1)
	v_mad_u32 v2, v1, s18, v2
	v_mad_u32 v6, v1, s28, v6
	;; [unrolled: 1-line block ×3, first 2 shown]
	s_branch .LBB149_52
.LBB149_50:
                                        ; implicit-def: $vgpr3
                                        ; implicit-def: $vgpr6
                                        ; implicit-def: $vgpr2
	s_branch .LBB149_53
.LBB149_51:
	v_dual_mov_b32 v3, 0 :: v_dual_mov_b32 v6, 0
	v_mov_b32_e32 v2, 0
.LBB149_52:
	s_cbranch_execnz .LBB149_55
.LBB149_53:
	v_mov_b32_e32 v1, 0
	s_and_not1_b32 vcc_lo, exec_lo, s35
	s_delay_alu instid0(VALU_DEP_1) | instskip(NEXT) | instid1(VALU_DEP_1)
	v_mul_u64_e32 v[2:3], s[24:25], v[0:1]
	v_add_nc_u32_e32 v2, v0, v3
	s_delay_alu instid0(VALU_DEP_1) | instskip(NEXT) | instid1(VALU_DEP_1)
	v_lshrrev_b32_e32 v4, s6, v2
	v_mul_lo_u32 v2, v4, s4
	s_delay_alu instid0(VALU_DEP_1) | instskip(NEXT) | instid1(VALU_DEP_1)
	v_sub_nc_u32_e32 v0, v0, v2
	v_mul_lo_u32 v2, v0, s34
	v_mul_lo_u32 v3, v0, s9
	;; [unrolled: 1-line block ×3, first 2 shown]
	s_cbranch_vccnz .LBB149_55
; %bb.54:
	v_mov_b32_e32 v5, v1
	s_delay_alu instid0(VALU_DEP_1) | instskip(NEXT) | instid1(VALU_DEP_1)
	v_mul_u64_e32 v[0:1], s[22:23], v[4:5]
	v_add_nc_u32_e32 v0, v4, v1
	s_delay_alu instid0(VALU_DEP_1) | instskip(NEXT) | instid1(VALU_DEP_1)
	v_lshrrev_b32_e32 v0, s19, v0
	v_mul_lo_u32 v0, v0, s7
	s_delay_alu instid0(VALU_DEP_1) | instskip(NEXT) | instid1(VALU_DEP_1)
	v_sub_nc_u32_e32 v0, v4, v0
	v_mad_u32 v2, v0, s10, v2
	v_mad_u32 v6, v0, s20, v6
	;; [unrolled: 1-line block ×3, first 2 shown]
.LBB149_55:
	global_load_b64 v[0:1], v6, s[0:1]
	global_load_b64 v[8:9], v3, s[2:3]
	s_wait_xcnt 0x1
	v_mov_b64_e32 v[6:7], s[16:17]
	s_mov_b32 s18, exec_lo
	s_wait_xcnt 0x0
	v_mov_b32_e32 v3, 0
	s_wait_loadcnt 0x1
	v_pk_mul_f32 v[4:5], v[0:1], s[16:17] op_sel:[1,0] op_sel_hi:[0,0]
	s_delay_alu instid0(VALU_DEP_1) | instskip(SKIP_2) | instid1(VALU_DEP_3)
	v_pk_fma_f32 v[10:11], v[0:1], v[6:7], v[4:5] op_sel:[0,1,0]
	v_pk_fma_f32 v[0:1], v[0:1], v[6:7], v[4:5] op_sel:[0,1,0] neg_lo:[0,0,1] neg_hi:[0,0,1]
	v_add_nc_u64_e32 v[4:5], s[14:15], v[2:3]
	v_mov_b32_e32 v1, v11
	s_wait_loadcnt 0x0
	s_delay_alu instid0(VALU_DEP_1) | instskip(SKIP_1) | instid1(VALU_DEP_1)
	v_pk_mul_f32 v[6:7], v[8:9], v[0:1]
	v_mul_f32_e32 v1, v8, v11
	v_dual_sub_f32 v3, v6, v7 :: v_dual_fmac_f32 v1, v0, v9
	global_store_b32 v2, v3, s[14:15]
.LBB149_56:
	s_wait_xcnt 0x0
	s_or_b32 exec_lo, exec_lo, s5
	s_delay_alu instid0(SALU_CYCLE_1)
	s_and_b32 s4, s18, exec_lo
                                        ; implicit-def: $vgpr6
                                        ; implicit-def: $vgpr0
	s_and_not1_saveexec_b32 s5, s33
	s_cbranch_execz .LBB149_2
.LBB149_57:
	v_cndmask_b32_e64 v8, 0, 1, s31
	s_and_not1_b32 vcc_lo, exec_lo, s31
	s_cbranch_vccnz .LBB149_63
; %bb.58:
	s_cmp_lg_u32 s11, 0
	s_mov_b32 s6, 0
	s_cbranch_scc0 .LBB149_67
; %bb.59:
	s_min_u32 s7, s30, 15
	v_dual_mov_b32 v2, 0 :: v_dual_mov_b32 v4, v0
	v_dual_mov_b32 v1, 0 :: v_dual_mov_b32 v3, 0
	s_add_co_i32 s2, s7, 1
	s_mov_b64 s[0:1], 0xffffffffffffffe0
	s_and_b32 s8, s2, 30
	s_add_nc_u64 s[0:1], s[12:13], s[0:1]
	s_mov_b64 s[2:3], s[12:13]
.LBB149_60:                             ; =>This Inner Loop Header: Depth=1
	s_clause 0x1
	s_load_b128 s[16:19], s[2:3], 0x4
	s_load_b64 s[14:15], s[2:3], 0x14
	s_load_b32 s9, s[0:1], 0xe4
	s_add_co_i32 s8, s8, -2
	s_wait_xcnt 0x0
	s_add_nc_u64 s[2:3], s[2:3], 24
	s_cmp_lg_u32 s8, 0
	s_wait_kmcnt 0x0
	v_mul_hi_u32 v5, s17, v4
	s_delay_alu instid0(VALU_DEP_1) | instskip(NEXT) | instid1(VALU_DEP_1)
	v_add_nc_u32_e32 v5, v4, v5
	v_lshrrev_b32_e32 v5, s18, v5
	s_delay_alu instid0(VALU_DEP_1) | instskip(SKIP_2) | instid1(VALU_DEP_1)
	v_mul_hi_u32 v7, s14, v5
	v_mul_lo_u32 v9, v5, s16
	s_load_b96 s[16:18], s[0:1], 0xec
	v_dual_add_nc_u32 v7, v5, v7 :: v_dual_sub_nc_u32 v9, v4, v9
	s_delay_alu instid0(VALU_DEP_1) | instskip(SKIP_1) | instid1(VALU_DEP_2)
	v_lshrrev_b32_e32 v4, s15, v7
	s_load_b64 s[14:15], s[0:1], 0xfc
	v_mad_u32 v2, v9, s9, v2
	s_wait_xcnt 0x0
	s_add_nc_u64 s[0:1], s[0:1], 32
	v_mul_lo_u32 v7, v4, s19
	s_wait_kmcnt 0x0
	v_mad_u32 v3, v9, s17, v3
	v_mad_u32 v1, v9, s16, v1
	s_delay_alu instid0(VALU_DEP_3) | instskip(NEXT) | instid1(VALU_DEP_1)
	v_sub_nc_u32_e32 v5, v5, v7
	v_mad_u32 v2, v5, s18, v2
	s_delay_alu instid0(VALU_DEP_4) | instskip(NEXT) | instid1(VALU_DEP_4)
	v_mad_u32 v3, v5, s15, v3
	v_mad_u32 v1, v5, s14, v1
	s_cbranch_scc1 .LBB149_60
; %bb.61:
	s_bitcmp1_b32 s7, 0
	s_cselect_b32 s7, -1, 0
	s_delay_alu instid0(SALU_CYCLE_1)
	s_and_b32 vcc_lo, exec_lo, s7
	s_cbranch_vccnz .LBB149_64
; %bb.62:
	s_load_b96 s[8:10], s[2:3], 0x4
	s_load_b32 s7, s[0:1], 0xe4
	s_wait_xcnt 0x0
	s_load_b64 s[2:3], s[0:1], 0xec
	s_wait_kmcnt 0x0
	v_mul_hi_u32 v5, s9, v4
	s_delay_alu instid0(VALU_DEP_1) | instskip(NEXT) | instid1(VALU_DEP_1)
	v_add_nc_u32_e32 v5, v4, v5
	v_lshrrev_b32_e32 v5, s10, v5
	s_delay_alu instid0(VALU_DEP_1) | instskip(NEXT) | instid1(VALU_DEP_1)
	v_mul_lo_u32 v5, v5, s8
	v_sub_nc_u32_e32 v4, v4, v5
	s_delay_alu instid0(VALU_DEP_1)
	v_mad_u32 v2, v4, s7, v2
	v_mad_u32 v1, v4, s2, v1
	;; [unrolled: 1-line block ×3, first 2 shown]
	s_and_not1_b32 vcc_lo, exec_lo, s6
	s_cbranch_vccz .LBB149_65
	s_branch .LBB149_68
.LBB149_63:
	s_mov_b32 s6, -1
                                        ; implicit-def: $vgpr3
                                        ; implicit-def: $vgpr1
                                        ; implicit-def: $vgpr2
.LBB149_64:
	s_delay_alu instid0(SALU_CYCLE_1)
	s_and_not1_b32 vcc_lo, exec_lo, s6
	s_cbranch_vccnz .LBB149_68
.LBB149_65:
	s_clause 0x2
	s_load_b96 s[0:2], s[12:13], 0x4
	s_load_b32 s3, s[12:13], 0xc4
	s_load_b64 s[6:7], s[12:13], 0xcc
	s_cmp_lt_u32 s11, 2
	s_wait_kmcnt 0x0
	v_mul_hi_u32 v1, s1, v0
	s_delay_alu instid0(VALU_DEP_1) | instskip(NEXT) | instid1(VALU_DEP_1)
	v_add_nc_u32_e32 v1, v0, v1
	v_lshrrev_b32_e32 v4, s2, v1
	s_delay_alu instid0(VALU_DEP_1) | instskip(NEXT) | instid1(VALU_DEP_1)
	v_mul_lo_u32 v1, v4, s0
	v_sub_nc_u32_e32 v1, v0, v1
	s_delay_alu instid0(VALU_DEP_1)
	v_mul_lo_u32 v2, v1, s3
	v_mul_lo_u32 v3, v1, s7
	v_mul_lo_u32 v1, v1, s6
	s_cbranch_scc1 .LBB149_68
; %bb.66:
	s_clause 0x2
	s_load_b96 s[0:2], s[12:13], 0x10
	s_load_b32 s3, s[12:13], 0xd4
	s_load_b64 s[6:7], s[12:13], 0xdc
	s_wait_kmcnt 0x0
	v_mul_hi_u32 v5, s1, v4
	s_delay_alu instid0(VALU_DEP_1) | instskip(NEXT) | instid1(VALU_DEP_1)
	v_add_nc_u32_e32 v5, v4, v5
	v_lshrrev_b32_e32 v5, s2, v5
	s_delay_alu instid0(VALU_DEP_1) | instskip(NEXT) | instid1(VALU_DEP_1)
	v_mul_lo_u32 v5, v5, s0
	v_sub_nc_u32_e32 v4, v4, v5
	s_delay_alu instid0(VALU_DEP_1)
	v_mad_u32 v2, v4, s3, v2
	v_mad_u32 v1, v4, s6, v1
	;; [unrolled: 1-line block ×3, first 2 shown]
	s_branch .LBB149_68
.LBB149_67:
	v_dual_mov_b32 v3, 0 :: v_dual_mov_b32 v1, 0
	v_mov_b32_e32 v2, 0
	s_and_not1_b32 vcc_lo, exec_lo, s6
	s_cbranch_vccz .LBB149_65
.LBB149_68:
	v_cmp_ne_u32_e32 vcc_lo, 1, v8
	v_add_nc_u32_e32 v9, 0x80, v0
	s_cbranch_vccnz .LBB149_74
; %bb.69:
	s_cmp_lg_u32 s11, 0
	s_mov_b32 s6, 0
	s_cbranch_scc0 .LBB149_78
; %bb.70:
	s_min_u32 s7, s30, 15
	v_dual_mov_b32 v7, 0 :: v_dual_mov_b32 v10, v9
	v_dual_mov_b32 v5, 0 :: v_dual_mov_b32 v4, 0
	s_add_co_i32 s2, s7, 1
	s_mov_b64 s[0:1], 0xffffffffffffffe0
	s_and_b32 s8, s2, 30
	s_add_nc_u64 s[0:1], s[12:13], s[0:1]
	s_mov_b64 s[2:3], s[12:13]
.LBB149_71:                             ; =>This Inner Loop Header: Depth=1
	s_clause 0x1
	s_load_b128 s[16:19], s[2:3], 0x4
	s_load_b64 s[14:15], s[2:3], 0x14
	s_load_b32 s9, s[0:1], 0xe4
	s_add_co_i32 s8, s8, -2
	s_wait_xcnt 0x0
	s_add_nc_u64 s[2:3], s[2:3], 24
	s_cmp_lg_u32 s8, 0
	s_wait_kmcnt 0x0
	v_mul_hi_u32 v11, s17, v10
	s_delay_alu instid0(VALU_DEP_1) | instskip(NEXT) | instid1(VALU_DEP_1)
	v_add_nc_u32_e32 v11, v10, v11
	v_lshrrev_b32_e32 v11, s18, v11
	s_delay_alu instid0(VALU_DEP_1) | instskip(SKIP_2) | instid1(VALU_DEP_1)
	v_mul_hi_u32 v12, s14, v11
	v_mul_lo_u32 v13, v11, s16
	s_load_b96 s[16:18], s[0:1], 0xec
	v_dual_add_nc_u32 v12, v11, v12 :: v_dual_sub_nc_u32 v13, v10, v13
	s_delay_alu instid0(VALU_DEP_1) | instskip(SKIP_1) | instid1(VALU_DEP_2)
	v_lshrrev_b32_e32 v10, s15, v12
	s_load_b64 s[14:15], s[0:1], 0xfc
	v_mad_u32 v7, v13, s9, v7
	s_wait_xcnt 0x0
	s_add_nc_u64 s[0:1], s[0:1], 32
	v_mul_lo_u32 v12, v10, s19
	s_wait_kmcnt 0x0
	v_mad_u32 v4, v13, s17, v4
	v_mad_u32 v5, v13, s16, v5
	s_delay_alu instid0(VALU_DEP_3) | instskip(NEXT) | instid1(VALU_DEP_1)
	v_sub_nc_u32_e32 v11, v11, v12
	v_mad_u32 v7, v11, s18, v7
	s_delay_alu instid0(VALU_DEP_4) | instskip(NEXT) | instid1(VALU_DEP_4)
	v_mad_u32 v4, v11, s15, v4
	v_mad_u32 v5, v11, s14, v5
	s_cbranch_scc1 .LBB149_71
; %bb.72:
	s_bitcmp1_b32 s7, 0
	s_cselect_b32 s7, -1, 0
	s_delay_alu instid0(SALU_CYCLE_1)
	s_and_b32 vcc_lo, exec_lo, s7
	s_cbranch_vccnz .LBB149_75
; %bb.73:
	s_load_b96 s[8:10], s[2:3], 0x4
	s_load_b32 s7, s[0:1], 0xe4
	s_wait_xcnt 0x0
	s_load_b64 s[2:3], s[0:1], 0xec
	s_wait_kmcnt 0x0
	v_mul_hi_u32 v11, s9, v10
	s_delay_alu instid0(VALU_DEP_1) | instskip(NEXT) | instid1(VALU_DEP_1)
	v_add_nc_u32_e32 v11, v10, v11
	v_lshrrev_b32_e32 v11, s10, v11
	s_delay_alu instid0(VALU_DEP_1) | instskip(NEXT) | instid1(VALU_DEP_1)
	v_mul_lo_u32 v11, v11, s8
	v_sub_nc_u32_e32 v10, v10, v11
	s_delay_alu instid0(VALU_DEP_1)
	v_mad_u32 v7, v10, s7, v7
	v_mad_u32 v5, v10, s2, v5
	;; [unrolled: 1-line block ×3, first 2 shown]
	s_and_not1_b32 vcc_lo, exec_lo, s6
	s_cbranch_vccz .LBB149_76
	s_branch .LBB149_79
.LBB149_74:
	s_mov_b32 s6, -1
                                        ; implicit-def: $vgpr4
                                        ; implicit-def: $vgpr5
                                        ; implicit-def: $vgpr7
.LBB149_75:
	s_delay_alu instid0(SALU_CYCLE_1)
	s_and_not1_b32 vcc_lo, exec_lo, s6
	s_cbranch_vccnz .LBB149_79
.LBB149_76:
	s_clause 0x2
	s_load_b96 s[0:2], s[12:13], 0x4
	s_load_b32 s3, s[12:13], 0xc4
	s_load_b64 s[6:7], s[12:13], 0xcc
	s_cmp_lt_u32 s11, 2
	s_wait_kmcnt 0x0
	v_mul_hi_u32 v4, s1, v9
	s_delay_alu instid0(VALU_DEP_1) | instskip(NEXT) | instid1(VALU_DEP_1)
	v_add_nc_u32_e32 v4, v9, v4
	v_lshrrev_b32_e32 v10, s2, v4
	s_delay_alu instid0(VALU_DEP_1) | instskip(NEXT) | instid1(VALU_DEP_1)
	v_mul_lo_u32 v4, v10, s0
	v_sub_nc_u32_e32 v5, v9, v4
	s_delay_alu instid0(VALU_DEP_1)
	v_mul_lo_u32 v7, v5, s3
	v_mul_lo_u32 v4, v5, s7
	;; [unrolled: 1-line block ×3, first 2 shown]
	s_cbranch_scc1 .LBB149_79
; %bb.77:
	s_clause 0x2
	s_load_b96 s[0:2], s[12:13], 0x10
	s_load_b32 s3, s[12:13], 0xd4
	s_load_b64 s[6:7], s[12:13], 0xdc
	s_wait_kmcnt 0x0
	v_mul_hi_u32 v9, s1, v10
	s_delay_alu instid0(VALU_DEP_1) | instskip(NEXT) | instid1(VALU_DEP_1)
	v_add_nc_u32_e32 v9, v10, v9
	v_lshrrev_b32_e32 v9, s2, v9
	s_delay_alu instid0(VALU_DEP_1) | instskip(NEXT) | instid1(VALU_DEP_1)
	v_mul_lo_u32 v9, v9, s0
	v_sub_nc_u32_e32 v9, v10, v9
	s_delay_alu instid0(VALU_DEP_1)
	v_mad_u32 v7, v9, s3, v7
	v_mad_u32 v5, v9, s6, v5
	;; [unrolled: 1-line block ×3, first 2 shown]
	s_branch .LBB149_79
.LBB149_78:
	v_dual_mov_b32 v4, 0 :: v_dual_mov_b32 v5, 0
	v_mov_b32_e32 v7, 0
	s_and_not1_b32 vcc_lo, exec_lo, s6
	s_cbranch_vccz .LBB149_76
.LBB149_79:
	v_cmp_ne_u32_e32 vcc_lo, 1, v8
	v_add_nc_u32_e32 v0, 0x100, v0
	s_cbranch_vccnz .LBB149_85
; %bb.80:
	s_cmp_lg_u32 s11, 0
	s_mov_b32 s6, 0
	s_cbranch_scc0 .LBB149_89
; %bb.81:
	s_min_u32 s7, s30, 15
	v_dual_mov_b32 v9, 0 :: v_dual_mov_b32 v12, v0
	v_dual_mov_b32 v11, 0 :: v_dual_mov_b32 v10, 0
	s_add_co_i32 s2, s7, 1
	s_mov_b64 s[0:1], 0xffffffffffffffe0
	s_and_b32 s8, s2, 30
	s_add_nc_u64 s[0:1], s[12:13], s[0:1]
	s_mov_b64 s[2:3], s[12:13]
.LBB149_82:                             ; =>This Inner Loop Header: Depth=1
	s_clause 0x1
	s_load_b128 s[16:19], s[2:3], 0x4
	s_load_b64 s[14:15], s[2:3], 0x14
	s_load_b32 s9, s[0:1], 0xe4
	s_add_co_i32 s8, s8, -2
	s_wait_xcnt 0x0
	s_add_nc_u64 s[2:3], s[2:3], 24
	s_cmp_lg_u32 s8, 0
	s_wait_kmcnt 0x0
	v_mul_hi_u32 v13, s17, v12
	s_delay_alu instid0(VALU_DEP_1) | instskip(NEXT) | instid1(VALU_DEP_1)
	v_add_nc_u32_e32 v13, v12, v13
	v_lshrrev_b32_e32 v13, s18, v13
	s_delay_alu instid0(VALU_DEP_1) | instskip(SKIP_2) | instid1(VALU_DEP_1)
	v_mul_hi_u32 v14, s14, v13
	v_mul_lo_u32 v15, v13, s16
	s_load_b96 s[16:18], s[0:1], 0xec
	v_dual_add_nc_u32 v14, v13, v14 :: v_dual_sub_nc_u32 v15, v12, v15
	s_delay_alu instid0(VALU_DEP_1) | instskip(SKIP_1) | instid1(VALU_DEP_2)
	v_lshrrev_b32_e32 v12, s15, v14
	s_load_b64 s[14:15], s[0:1], 0xfc
	v_mad_u32 v9, v15, s9, v9
	s_wait_xcnt 0x0
	s_add_nc_u64 s[0:1], s[0:1], 32
	v_mul_lo_u32 v14, v12, s19
	s_wait_kmcnt 0x0
	v_mad_u32 v10, v15, s17, v10
	v_mad_u32 v11, v15, s16, v11
	s_delay_alu instid0(VALU_DEP_3) | instskip(NEXT) | instid1(VALU_DEP_1)
	v_sub_nc_u32_e32 v13, v13, v14
	v_mad_u32 v9, v13, s18, v9
	s_delay_alu instid0(VALU_DEP_4) | instskip(NEXT) | instid1(VALU_DEP_4)
	v_mad_u32 v10, v13, s15, v10
	v_mad_u32 v11, v13, s14, v11
	s_cbranch_scc1 .LBB149_82
; %bb.83:
	s_bitcmp1_b32 s7, 0
	s_cselect_b32 s7, -1, 0
	s_delay_alu instid0(SALU_CYCLE_1)
	s_and_b32 vcc_lo, exec_lo, s7
	s_cbranch_vccnz .LBB149_86
; %bb.84:
	s_load_b96 s[8:10], s[2:3], 0x4
	s_load_b32 s7, s[0:1], 0xe4
	s_wait_xcnt 0x0
	s_load_b64 s[2:3], s[0:1], 0xec
	s_wait_kmcnt 0x0
	v_mul_hi_u32 v13, s9, v12
	s_delay_alu instid0(VALU_DEP_1) | instskip(NEXT) | instid1(VALU_DEP_1)
	v_add_nc_u32_e32 v13, v12, v13
	v_lshrrev_b32_e32 v13, s10, v13
	s_delay_alu instid0(VALU_DEP_1) | instskip(NEXT) | instid1(VALU_DEP_1)
	v_mul_lo_u32 v13, v13, s8
	v_sub_nc_u32_e32 v12, v12, v13
	s_delay_alu instid0(VALU_DEP_1)
	v_mad_u32 v9, v12, s7, v9
	v_mad_u32 v11, v12, s2, v11
	v_mad_u32 v10, v12, s3, v10
	s_and_not1_b32 vcc_lo, exec_lo, s6
	s_cbranch_vccz .LBB149_87
	s_branch .LBB149_90
.LBB149_85:
	s_mov_b32 s6, -1
                                        ; implicit-def: $vgpr10
                                        ; implicit-def: $vgpr11
                                        ; implicit-def: $vgpr9
.LBB149_86:
	s_delay_alu instid0(SALU_CYCLE_1)
	s_and_not1_b32 vcc_lo, exec_lo, s6
	s_cbranch_vccnz .LBB149_90
.LBB149_87:
	s_clause 0x2
	s_load_b96 s[0:2], s[12:13], 0x4
	s_load_b32 s3, s[12:13], 0xc4
	s_load_b64 s[6:7], s[12:13], 0xcc
	s_cmp_lt_u32 s11, 2
	s_wait_kmcnt 0x0
	v_mul_hi_u32 v9, s1, v0
	s_delay_alu instid0(VALU_DEP_1) | instskip(NEXT) | instid1(VALU_DEP_1)
	v_add_nc_u32_e32 v9, v0, v9
	v_lshrrev_b32_e32 v12, s2, v9
	s_delay_alu instid0(VALU_DEP_1) | instskip(NEXT) | instid1(VALU_DEP_1)
	v_mul_lo_u32 v9, v12, s0
	v_sub_nc_u32_e32 v0, v0, v9
	s_delay_alu instid0(VALU_DEP_1)
	v_mul_lo_u32 v9, v0, s3
	v_mul_lo_u32 v10, v0, s7
	;; [unrolled: 1-line block ×3, first 2 shown]
	s_cbranch_scc1 .LBB149_90
; %bb.88:
	s_clause 0x2
	s_load_b96 s[0:2], s[12:13], 0x10
	s_load_b32 s3, s[12:13], 0xd4
	s_load_b64 s[6:7], s[12:13], 0xdc
	s_wait_kmcnt 0x0
	v_mul_hi_u32 v0, s1, v12
	s_delay_alu instid0(VALU_DEP_1) | instskip(NEXT) | instid1(VALU_DEP_1)
	v_add_nc_u32_e32 v0, v12, v0
	v_lshrrev_b32_e32 v0, s2, v0
	s_delay_alu instid0(VALU_DEP_1) | instskip(NEXT) | instid1(VALU_DEP_1)
	v_mul_lo_u32 v0, v0, s0
	v_sub_nc_u32_e32 v0, v12, v0
	s_delay_alu instid0(VALU_DEP_1)
	v_mad_u32 v9, v0, s3, v9
	v_mad_u32 v11, v0, s6, v11
	;; [unrolled: 1-line block ×3, first 2 shown]
	s_branch .LBB149_90
.LBB149_89:
	v_dual_mov_b32 v10, 0 :: v_dual_mov_b32 v11, 0
	v_mov_b32_e32 v9, 0
	s_and_not1_b32 vcc_lo, exec_lo, s6
	s_cbranch_vccz .LBB149_87
.LBB149_90:
	v_cmp_ne_u32_e32 vcc_lo, 1, v8
	s_cbranch_vccnz .LBB149_96
; %bb.91:
	s_cmp_lg_u32 s11, 0
	s_mov_b32 s6, 0
	s_cbranch_scc0 .LBB149_100
; %bb.92:
	s_min_u32 s7, s30, 15
	v_dual_mov_b32 v0, 0 :: v_dual_mov_b32 v13, v6
	v_dual_mov_b32 v8, 0 :: v_dual_mov_b32 v12, 0
	s_add_co_i32 s2, s7, 1
	s_mov_b64 s[0:1], 0xffffffffffffffe0
	s_and_b32 s8, s2, 30
	s_add_nc_u64 s[0:1], s[12:13], s[0:1]
	s_mov_b64 s[2:3], s[12:13]
.LBB149_93:                             ; =>This Inner Loop Header: Depth=1
	s_clause 0x1
	s_load_b128 s[16:19], s[2:3], 0x4
	s_load_b64 s[14:15], s[2:3], 0x14
	s_load_b32 s9, s[0:1], 0xe4
	s_add_co_i32 s8, s8, -2
	s_wait_xcnt 0x0
	s_add_nc_u64 s[2:3], s[2:3], 24
	s_cmp_lg_u32 s8, 0
	s_wait_kmcnt 0x0
	v_mul_hi_u32 v14, s17, v13
	s_delay_alu instid0(VALU_DEP_1) | instskip(NEXT) | instid1(VALU_DEP_1)
	v_add_nc_u32_e32 v14, v13, v14
	v_lshrrev_b32_e32 v14, s18, v14
	s_delay_alu instid0(VALU_DEP_1) | instskip(SKIP_2) | instid1(VALU_DEP_1)
	v_mul_hi_u32 v15, s14, v14
	v_mul_lo_u32 v16, v14, s16
	s_load_b96 s[16:18], s[0:1], 0xec
	v_dual_add_nc_u32 v15, v14, v15 :: v_dual_sub_nc_u32 v16, v13, v16
	s_delay_alu instid0(VALU_DEP_1) | instskip(SKIP_1) | instid1(VALU_DEP_2)
	v_lshrrev_b32_e32 v13, s15, v15
	s_load_b64 s[14:15], s[0:1], 0xfc
	v_mad_u32 v0, v16, s9, v0
	s_wait_xcnt 0x0
	s_add_nc_u64 s[0:1], s[0:1], 32
	v_mul_lo_u32 v15, v13, s19
	s_wait_kmcnt 0x0
	v_mad_u32 v12, v16, s17, v12
	v_mad_u32 v8, v16, s16, v8
	s_delay_alu instid0(VALU_DEP_3) | instskip(NEXT) | instid1(VALU_DEP_1)
	v_sub_nc_u32_e32 v14, v14, v15
	v_mad_u32 v0, v14, s18, v0
	s_delay_alu instid0(VALU_DEP_4) | instskip(NEXT) | instid1(VALU_DEP_4)
	v_mad_u32 v12, v14, s15, v12
	v_mad_u32 v8, v14, s14, v8
	s_cbranch_scc1 .LBB149_93
; %bb.94:
	s_bitcmp1_b32 s7, 0
	s_cselect_b32 s7, -1, 0
	s_delay_alu instid0(SALU_CYCLE_1)
	s_and_b32 vcc_lo, exec_lo, s7
	s_cbranch_vccnz .LBB149_97
; %bb.95:
	s_load_b96 s[8:10], s[2:3], 0x4
	s_load_b32 s7, s[0:1], 0xe4
	s_wait_xcnt 0x0
	s_load_b64 s[2:3], s[0:1], 0xec
	s_wait_kmcnt 0x0
	v_mul_hi_u32 v14, s9, v13
	s_delay_alu instid0(VALU_DEP_1) | instskip(NEXT) | instid1(VALU_DEP_1)
	v_add_nc_u32_e32 v14, v13, v14
	v_lshrrev_b32_e32 v14, s10, v14
	s_delay_alu instid0(VALU_DEP_1) | instskip(NEXT) | instid1(VALU_DEP_1)
	v_mul_lo_u32 v14, v14, s8
	v_sub_nc_u32_e32 v13, v13, v14
	s_delay_alu instid0(VALU_DEP_1)
	v_mad_u32 v0, v13, s7, v0
	v_mad_u32 v8, v13, s2, v8
	;; [unrolled: 1-line block ×3, first 2 shown]
	s_and_not1_b32 vcc_lo, exec_lo, s6
	s_cbranch_vccz .LBB149_98
	s_branch .LBB149_101
.LBB149_96:
	s_mov_b32 s6, -1
                                        ; implicit-def: $vgpr12
                                        ; implicit-def: $vgpr8
                                        ; implicit-def: $vgpr0
.LBB149_97:
	s_delay_alu instid0(SALU_CYCLE_1)
	s_and_not1_b32 vcc_lo, exec_lo, s6
	s_cbranch_vccnz .LBB149_101
.LBB149_98:
	s_clause 0x2
	s_load_b96 s[0:2], s[12:13], 0x4
	s_load_b32 s3, s[12:13], 0xc4
	s_load_b64 s[6:7], s[12:13], 0xcc
	s_cmp_lt_u32 s11, 2
	s_wait_kmcnt 0x0
	v_mul_hi_u32 v0, s1, v6
	s_delay_alu instid0(VALU_DEP_1) | instskip(NEXT) | instid1(VALU_DEP_1)
	v_add_nc_u32_e32 v0, v6, v0
	v_lshrrev_b32_e32 v13, s2, v0
	s_delay_alu instid0(VALU_DEP_1) | instskip(NEXT) | instid1(VALU_DEP_1)
	v_mul_lo_u32 v0, v13, s0
	v_sub_nc_u32_e32 v6, v6, v0
	s_delay_alu instid0(VALU_DEP_1)
	v_mul_lo_u32 v0, v6, s3
	v_mul_lo_u32 v12, v6, s7
	;; [unrolled: 1-line block ×3, first 2 shown]
	s_cbranch_scc1 .LBB149_101
; %bb.99:
	s_clause 0x2
	s_load_b96 s[0:2], s[12:13], 0x10
	s_load_b32 s3, s[12:13], 0xd4
	s_load_b64 s[6:7], s[12:13], 0xdc
	s_wait_kmcnt 0x0
	v_mul_hi_u32 v6, s1, v13
	s_delay_alu instid0(VALU_DEP_1) | instskip(NEXT) | instid1(VALU_DEP_1)
	v_add_nc_u32_e32 v6, v13, v6
	v_lshrrev_b32_e32 v6, s2, v6
	s_delay_alu instid0(VALU_DEP_1) | instskip(NEXT) | instid1(VALU_DEP_1)
	v_mul_lo_u32 v6, v6, s0
	v_sub_nc_u32_e32 v6, v13, v6
	s_delay_alu instid0(VALU_DEP_1)
	v_mad_u32 v0, v6, s3, v0
	v_mad_u32 v8, v6, s6, v8
	;; [unrolled: 1-line block ×3, first 2 shown]
	s_branch .LBB149_101
.LBB149_100:
	v_dual_mov_b32 v12, 0 :: v_dual_mov_b32 v8, 0
	v_mov_b32_e32 v0, 0
	s_and_not1_b32 vcc_lo, exec_lo, s6
	s_cbranch_vccz .LBB149_98
.LBB149_101:
	s_load_b128 s[0:3], s[12:13], 0x1d8
	s_or_b32 s4, s4, exec_lo
	s_wait_kmcnt 0x0
	s_clause 0x3
	global_load_b64 v[14:15], v1, s[0:1]
	global_load_b64 v[16:17], v5, s[0:1]
	;; [unrolled: 1-line block ×4, first 2 shown]
	s_clause 0x3
	global_load_b64 v[22:23], v10, s[2:3]
	global_load_b64 v[24:25], v3, s[2:3]
	;; [unrolled: 1-line block ×4, first 2 shown]
	s_wait_xcnt 0x4
	s_clause 0x1
	s_load_b64 s[0:1], s[12:13], 0x1c8
	s_load_b64 s[2:3], s[12:13], 0x1e8
	s_wait_loadcnt 0x7
	s_wait_kmcnt 0x0
	v_dual_mov_b32 v1, 0 :: v_dual_mul_f32 v6, s2, v15
	s_wait_loadcnt 0x5
	v_dual_mul_f32 v8, s2, v17 :: v_dual_mul_f32 v11, s3, v19
	s_wait_loadcnt 0x4
	v_dual_mul_f32 v10, s2, v19 :: v_dual_mul_f32 v13, s3, v21
	v_add_nc_u64_e32 v[4:5], s[0:1], v[0:1]
	v_dual_mul_f32 v1, s3, v15 :: v_dual_mul_f32 v3, s3, v17
	v_dual_mul_f32 v17, s2, v21 :: v_dual_fmac_f32 v6, s3, v14
	s_delay_alu instid0(VALU_DEP_4) | instskip(NEXT) | instid1(VALU_DEP_3)
	v_dual_fmac_f32 v10, s3, v18 :: v_dual_fmac_f32 v8, s3, v16
	v_fma_f32 v12, v14, s2, -v1
	s_delay_alu instid0(VALU_DEP_4)
	v_fma_f32 v14, v16, s2, -v3
	v_fma_f32 v16, v18, s2, -v11
	s_wait_loadcnt 0x2
	v_pk_mul_f32 v[18:19], v[6:7], v[24:25] op_sel:[0,1] op_sel_hi:[0,0]
	v_fma_f32 v3, v20, s2, -v13
	v_fmac_f32_e32 v17, s3, v20
	s_wait_loadcnt 0x1
	v_pk_mul_f32 v[20:21], v[8:9], v[26:27] op_sel:[0,1] op_sel_hi:[0,0]
	v_pk_mul_f32 v[10:11], v[10:11], v[22:23] op_sel:[0,1] op_sel_hi:[0,0]
	v_pk_fma_f32 v[32:33], v[24:25], v[12:13], v[18:19] op_sel_hi:[1,0,1]
	s_wait_loadcnt 0x0
	v_mul_f32_e32 v1, v3, v29
	v_pk_fma_f32 v[12:13], v[24:25], v[12:13], v[18:19] neg_lo:[0,0,1] neg_hi:[0,0,1]
	v_pk_fma_f32 v[34:35], v[26:27], v[14:15], v[20:21] op_sel_hi:[1,0,1]
	v_pk_fma_f32 v[30:31], v[22:23], v[16:17], v[10:11] neg_lo:[0,0,1] neg_hi:[0,0,1]
	v_pk_fma_f32 v[10:11], v[22:23], v[16:17], v[10:11] op_sel_hi:[1,0,1]
	v_mul_f32_e32 v6, v17, v29
	v_pk_fma_f32 v[14:15], v[26:27], v[14:15], v[20:21] neg_lo:[0,0,1] neg_hi:[0,0,1]
	v_dual_mov_b32 v13, v33 :: v_dual_mov_b32 v15, v35
	s_delay_alu instid0(VALU_DEP_3)
	v_dual_mov_b32 v31, v11 :: v_dual_fma_f32 v3, v28, v3, -v6
	v_fmac_f32_e32 v1, v28, v17
	s_clause 0x3
	global_store_b64 v2, v[12:13], s[0:1]
	global_store_b64 v7, v[14:15], s[0:1]
	;; [unrolled: 1-line block ×3, first 2 shown]
	global_store_b32 v0, v3, s[0:1]
	s_wait_xcnt 0x0
	s_or_b32 exec_lo, exec_lo, s5
	s_and_saveexec_b32 s0, s4
	s_cbranch_execz .LBB149_3
.LBB149_102:
	global_store_b32 v[4:5], v1, off offset:4
	s_endpgm
	.section	.rodata,"a",@progbits
	.p2align	6, 0x0
	.amdhsa_kernel _ZN2at6native32elementwise_kernel_manual_unrollILi128ELi4EZNS0_22gpu_kernel_impl_nocastIZZZNS0_12_GLOBAL__N_116addr_kernel_cudaERNS_14TensorIteratorERKN3c106ScalarES9_ENKUlvE_clEvENKUlvE7_clEvEUlNS6_7complexIfEESD_SD_E_EEvRNS_18TensorIteratorBaseERKT_EUlibE_EEviT1_
		.amdhsa_group_segment_fixed_size 0
		.amdhsa_private_segment_fixed_size 0
		.amdhsa_kernarg_size 504
		.amdhsa_user_sgpr_count 2
		.amdhsa_user_sgpr_dispatch_ptr 0
		.amdhsa_user_sgpr_queue_ptr 0
		.amdhsa_user_sgpr_kernarg_segment_ptr 1
		.amdhsa_user_sgpr_dispatch_id 0
		.amdhsa_user_sgpr_kernarg_preload_length 0
		.amdhsa_user_sgpr_kernarg_preload_offset 0
		.amdhsa_user_sgpr_private_segment_size 0
		.amdhsa_wavefront_size32 1
		.amdhsa_uses_dynamic_stack 0
		.amdhsa_enable_private_segment 0
		.amdhsa_system_sgpr_workgroup_id_x 1
		.amdhsa_system_sgpr_workgroup_id_y 0
		.amdhsa_system_sgpr_workgroup_id_z 0
		.amdhsa_system_sgpr_workgroup_info 0
		.amdhsa_system_vgpr_workitem_id 0
		.amdhsa_next_free_vgpr 36
		.amdhsa_next_free_sgpr 46
		.amdhsa_named_barrier_count 0
		.amdhsa_reserve_vcc 1
		.amdhsa_float_round_mode_32 0
		.amdhsa_float_round_mode_16_64 0
		.amdhsa_float_denorm_mode_32 3
		.amdhsa_float_denorm_mode_16_64 3
		.amdhsa_fp16_overflow 0
		.amdhsa_memory_ordered 1
		.amdhsa_forward_progress 1
		.amdhsa_inst_pref_size 49
		.amdhsa_round_robin_scheduling 0
		.amdhsa_exception_fp_ieee_invalid_op 0
		.amdhsa_exception_fp_denorm_src 0
		.amdhsa_exception_fp_ieee_div_zero 0
		.amdhsa_exception_fp_ieee_overflow 0
		.amdhsa_exception_fp_ieee_underflow 0
		.amdhsa_exception_fp_ieee_inexact 0
		.amdhsa_exception_int_div_zero 0
	.end_amdhsa_kernel
	.section	.text._ZN2at6native32elementwise_kernel_manual_unrollILi128ELi4EZNS0_22gpu_kernel_impl_nocastIZZZNS0_12_GLOBAL__N_116addr_kernel_cudaERNS_14TensorIteratorERKN3c106ScalarES9_ENKUlvE_clEvENKUlvE7_clEvEUlNS6_7complexIfEESD_SD_E_EEvRNS_18TensorIteratorBaseERKT_EUlibE_EEviT1_,"axG",@progbits,_ZN2at6native32elementwise_kernel_manual_unrollILi128ELi4EZNS0_22gpu_kernel_impl_nocastIZZZNS0_12_GLOBAL__N_116addr_kernel_cudaERNS_14TensorIteratorERKN3c106ScalarES9_ENKUlvE_clEvENKUlvE7_clEvEUlNS6_7complexIfEESD_SD_E_EEvRNS_18TensorIteratorBaseERKT_EUlibE_EEviT1_,comdat
.Lfunc_end149:
	.size	_ZN2at6native32elementwise_kernel_manual_unrollILi128ELi4EZNS0_22gpu_kernel_impl_nocastIZZZNS0_12_GLOBAL__N_116addr_kernel_cudaERNS_14TensorIteratorERKN3c106ScalarES9_ENKUlvE_clEvENKUlvE7_clEvEUlNS6_7complexIfEESD_SD_E_EEvRNS_18TensorIteratorBaseERKT_EUlibE_EEviT1_, .Lfunc_end149-_ZN2at6native32elementwise_kernel_manual_unrollILi128ELi4EZNS0_22gpu_kernel_impl_nocastIZZZNS0_12_GLOBAL__N_116addr_kernel_cudaERNS_14TensorIteratorERKN3c106ScalarES9_ENKUlvE_clEvENKUlvE7_clEvEUlNS6_7complexIfEESD_SD_E_EEvRNS_18TensorIteratorBaseERKT_EUlibE_EEviT1_
                                        ; -- End function
	.set _ZN2at6native32elementwise_kernel_manual_unrollILi128ELi4EZNS0_22gpu_kernel_impl_nocastIZZZNS0_12_GLOBAL__N_116addr_kernel_cudaERNS_14TensorIteratorERKN3c106ScalarES9_ENKUlvE_clEvENKUlvE7_clEvEUlNS6_7complexIfEESD_SD_E_EEvRNS_18TensorIteratorBaseERKT_EUlibE_EEviT1_.num_vgpr, 36
	.set _ZN2at6native32elementwise_kernel_manual_unrollILi128ELi4EZNS0_22gpu_kernel_impl_nocastIZZZNS0_12_GLOBAL__N_116addr_kernel_cudaERNS_14TensorIteratorERKN3c106ScalarES9_ENKUlvE_clEvENKUlvE7_clEvEUlNS6_7complexIfEESD_SD_E_EEvRNS_18TensorIteratorBaseERKT_EUlibE_EEviT1_.num_agpr, 0
	.set _ZN2at6native32elementwise_kernel_manual_unrollILi128ELi4EZNS0_22gpu_kernel_impl_nocastIZZZNS0_12_GLOBAL__N_116addr_kernel_cudaERNS_14TensorIteratorERKN3c106ScalarES9_ENKUlvE_clEvENKUlvE7_clEvEUlNS6_7complexIfEESD_SD_E_EEvRNS_18TensorIteratorBaseERKT_EUlibE_EEviT1_.numbered_sgpr, 46
	.set _ZN2at6native32elementwise_kernel_manual_unrollILi128ELi4EZNS0_22gpu_kernel_impl_nocastIZZZNS0_12_GLOBAL__N_116addr_kernel_cudaERNS_14TensorIteratorERKN3c106ScalarES9_ENKUlvE_clEvENKUlvE7_clEvEUlNS6_7complexIfEESD_SD_E_EEvRNS_18TensorIteratorBaseERKT_EUlibE_EEviT1_.num_named_barrier, 0
	.set _ZN2at6native32elementwise_kernel_manual_unrollILi128ELi4EZNS0_22gpu_kernel_impl_nocastIZZZNS0_12_GLOBAL__N_116addr_kernel_cudaERNS_14TensorIteratorERKN3c106ScalarES9_ENKUlvE_clEvENKUlvE7_clEvEUlNS6_7complexIfEESD_SD_E_EEvRNS_18TensorIteratorBaseERKT_EUlibE_EEviT1_.private_seg_size, 0
	.set _ZN2at6native32elementwise_kernel_manual_unrollILi128ELi4EZNS0_22gpu_kernel_impl_nocastIZZZNS0_12_GLOBAL__N_116addr_kernel_cudaERNS_14TensorIteratorERKN3c106ScalarES9_ENKUlvE_clEvENKUlvE7_clEvEUlNS6_7complexIfEESD_SD_E_EEvRNS_18TensorIteratorBaseERKT_EUlibE_EEviT1_.uses_vcc, 1
	.set _ZN2at6native32elementwise_kernel_manual_unrollILi128ELi4EZNS0_22gpu_kernel_impl_nocastIZZZNS0_12_GLOBAL__N_116addr_kernel_cudaERNS_14TensorIteratorERKN3c106ScalarES9_ENKUlvE_clEvENKUlvE7_clEvEUlNS6_7complexIfEESD_SD_E_EEvRNS_18TensorIteratorBaseERKT_EUlibE_EEviT1_.uses_flat_scratch, 0
	.set _ZN2at6native32elementwise_kernel_manual_unrollILi128ELi4EZNS0_22gpu_kernel_impl_nocastIZZZNS0_12_GLOBAL__N_116addr_kernel_cudaERNS_14TensorIteratorERKN3c106ScalarES9_ENKUlvE_clEvENKUlvE7_clEvEUlNS6_7complexIfEESD_SD_E_EEvRNS_18TensorIteratorBaseERKT_EUlibE_EEviT1_.has_dyn_sized_stack, 0
	.set _ZN2at6native32elementwise_kernel_manual_unrollILi128ELi4EZNS0_22gpu_kernel_impl_nocastIZZZNS0_12_GLOBAL__N_116addr_kernel_cudaERNS_14TensorIteratorERKN3c106ScalarES9_ENKUlvE_clEvENKUlvE7_clEvEUlNS6_7complexIfEESD_SD_E_EEvRNS_18TensorIteratorBaseERKT_EUlibE_EEviT1_.has_recursion, 0
	.set _ZN2at6native32elementwise_kernel_manual_unrollILi128ELi4EZNS0_22gpu_kernel_impl_nocastIZZZNS0_12_GLOBAL__N_116addr_kernel_cudaERNS_14TensorIteratorERKN3c106ScalarES9_ENKUlvE_clEvENKUlvE7_clEvEUlNS6_7complexIfEESD_SD_E_EEvRNS_18TensorIteratorBaseERKT_EUlibE_EEviT1_.has_indirect_call, 0
	.section	.AMDGPU.csdata,"",@progbits
; Kernel info:
; codeLenInByte = 6192
; TotalNumSgprs: 48
; NumVgprs: 36
; ScratchSize: 0
; MemoryBound: 0
; FloatMode: 240
; IeeeMode: 1
; LDSByteSize: 0 bytes/workgroup (compile time only)
; SGPRBlocks: 0
; VGPRBlocks: 2
; NumSGPRsForWavesPerEU: 48
; NumVGPRsForWavesPerEU: 36
; NamedBarCnt: 0
; Occupancy: 16
; WaveLimiterHint : 1
; COMPUTE_PGM_RSRC2:SCRATCH_EN: 0
; COMPUTE_PGM_RSRC2:USER_SGPR: 2
; COMPUTE_PGM_RSRC2:TRAP_HANDLER: 0
; COMPUTE_PGM_RSRC2:TGID_X_EN: 1
; COMPUTE_PGM_RSRC2:TGID_Y_EN: 0
; COMPUTE_PGM_RSRC2:TGID_Z_EN: 0
; COMPUTE_PGM_RSRC2:TIDIG_COMP_CNT: 0
	.section	.text._ZN2at6native32elementwise_kernel_manual_unrollILi128ELi4EZNS0_15gpu_kernel_implIZZZNS0_12_GLOBAL__N_116addr_kernel_cudaERNS_14TensorIteratorERKN3c106ScalarES9_ENKUlvE_clEvENKUlvE7_clEvEUlNS6_7complexIfEESD_SD_E_EEvRNS_18TensorIteratorBaseERKT_EUlibE_EEviT1_,"axG",@progbits,_ZN2at6native32elementwise_kernel_manual_unrollILi128ELi4EZNS0_15gpu_kernel_implIZZZNS0_12_GLOBAL__N_116addr_kernel_cudaERNS_14TensorIteratorERKN3c106ScalarES9_ENKUlvE_clEvENKUlvE7_clEvEUlNS6_7complexIfEESD_SD_E_EEvRNS_18TensorIteratorBaseERKT_EUlibE_EEviT1_,comdat
	.globl	_ZN2at6native32elementwise_kernel_manual_unrollILi128ELi4EZNS0_15gpu_kernel_implIZZZNS0_12_GLOBAL__N_116addr_kernel_cudaERNS_14TensorIteratorERKN3c106ScalarES9_ENKUlvE_clEvENKUlvE7_clEvEUlNS6_7complexIfEESD_SD_E_EEvRNS_18TensorIteratorBaseERKT_EUlibE_EEviT1_ ; -- Begin function _ZN2at6native32elementwise_kernel_manual_unrollILi128ELi4EZNS0_15gpu_kernel_implIZZZNS0_12_GLOBAL__N_116addr_kernel_cudaERNS_14TensorIteratorERKN3c106ScalarES9_ENKUlvE_clEvENKUlvE7_clEvEUlNS6_7complexIfEESD_SD_E_EEvRNS_18TensorIteratorBaseERKT_EUlibE_EEviT1_
	.p2align	8
	.type	_ZN2at6native32elementwise_kernel_manual_unrollILi128ELi4EZNS0_15gpu_kernel_implIZZZNS0_12_GLOBAL__N_116addr_kernel_cudaERNS_14TensorIteratorERKN3c106ScalarES9_ENKUlvE_clEvENKUlvE7_clEvEUlNS6_7complexIfEESD_SD_E_EEvRNS_18TensorIteratorBaseERKT_EUlibE_EEviT1_,@function
_ZN2at6native32elementwise_kernel_manual_unrollILi128ELi4EZNS0_15gpu_kernel_implIZZZNS0_12_GLOBAL__N_116addr_kernel_cudaERNS_14TensorIteratorERKN3c106ScalarES9_ENKUlvE_clEvENKUlvE7_clEvEUlNS6_7complexIfEESD_SD_E_EEvRNS_18TensorIteratorBaseERKT_EUlibE_EEviT1_: ; @_ZN2at6native32elementwise_kernel_manual_unrollILi128ELi4EZNS0_15gpu_kernel_implIZZZNS0_12_GLOBAL__N_116addr_kernel_cudaERNS_14TensorIteratorERKN3c106ScalarES9_ENKUlvE_clEvENKUlvE7_clEvEUlNS6_7complexIfEESD_SD_E_EEvRNS_18TensorIteratorBaseERKT_EUlibE_EEviT1_
; %bb.0:
	s_clause 0x1
	s_load_b32 s15, s[0:1], 0x40
	s_load_b128 s[4:7], s[0:1], 0x30
	s_bfe_u32 s8, ttmp6, 0x4000c
	s_clause 0x1
	s_load_b32 s20, s[0:1], 0x0
	s_load_b64 s[2:3], s[0:1], 0x8
	s_add_co_i32 s16, s8, 1
	s_clause 0x1
	s_load_b128 s[8:11], s[0:1], 0x18
	s_load_b32 s14, s[0:1], 0x28
	s_and_b32 s12, ttmp6, 15
	s_wait_xcnt 0x0
	s_mul_i32 s0, ttmp9, s16
	s_getreg_b32 s13, hwreg(HW_REG_IB_STS2, 6, 4)
	s_add_co_i32 s12, s12, s0
	s_mov_b32 s17, 0
	s_wait_kmcnt 0x0
	s_lshr_b32 s16, s15, 16
	s_lshr_b32 s18, s15, 8
	;; [unrolled: 1-line block ×3, first 2 shown]
	s_cmp_eq_u32 s13, 0
	s_cselect_b32 s0, ttmp9, s12
	s_mov_b32 s12, 0
	v_lshl_or_b32 v18, s0, 9, v0
	s_mov_b32 s0, exec_lo
	s_delay_alu instid0(VALU_DEP_1) | instskip(NEXT) | instid1(VALU_DEP_1)
	v_or_b32_e32 v0, 0x180, v18
	v_cmpx_le_i32_e64 s20, v0
	s_xor_b32 s19, exec_lo, s0
	s_cbranch_execz .LBB150_1664
; %bb.1:
	s_mov_b32 s12, s7
	s_mov_b32 s13, s6
	s_mov_b32 s0, -1
	s_mov_b32 s26, 0
	s_mov_b32 s24, 0
	;; [unrolled: 1-line block ×5, first 2 shown]
	s_mov_b32 s25, exec_lo
	v_cmpx_gt_i32_e64 s20, v18
	s_cbranch_execz .LBB150_412
; %bb.2:
	s_and_b32 s21, s18, 0xff
	s_delay_alu instid0(SALU_CYCLE_1)
	s_cmp_lt_i32 s21, 23
	s_cbranch_scc1 .LBB150_6
; %bb.3:
	s_and_b32 s22, 0xffff, s21
	s_delay_alu instid0(SALU_CYCLE_1)
	s_cmp_gt_i32 s22, 43
	s_cbranch_scc0 .LBB150_7
; %bb.4:
	s_cmp_gt_i32 s22, 45
	s_cbranch_scc0 .LBB150_8
; %bb.5:
	s_cmp_eq_u32 s22, 46
	s_mov_b32 s24, -1
	s_cselect_b32 s0, -1, 0
	s_branch .LBB150_9
.LBB150_6:
	s_mov_b32 s0, 0
	s_cbranch_execnz .LBB150_14
	s_branch .LBB150_18
.LBB150_7:
	s_mov_b32 s0, 0
	s_cbranch_execnz .LBB150_12
	s_branch .LBB150_13
.LBB150_8:
	s_mov_b32 s23, -1
	s_mov_b32 s0, 0
.LBB150_9:
	s_and_not1_b32 vcc_lo, exec_lo, s23
	s_cbranch_vccnz .LBB150_11
; %bb.10:
	s_cmp_eq_u32 s22, 44
	s_cselect_b32 s0, -1, 0
	s_cmp_lg_u32 s22, 44
	s_cselect_b32 s24, -1, 0
.LBB150_11:
	s_branch .LBB150_13
.LBB150_12:
	s_cmp_lt_i32 s22, 30
	s_cselect_b32 s0, -1, 0
	s_cmp_gt_i32 s22, 29
	s_cselect_b32 s24, -1, 0
.LBB150_13:
	s_branch .LBB150_18
.LBB150_14:
	s_and_b32 s21, 0xffff, s21
	s_mov_b32 s22, -1
	s_cmp_gt_i32 s21, 14
	s_cbranch_scc0 .LBB150_16
; %bb.15:
	s_cmp_eq_u32 s21, 15
	s_mov_b32 s22, 0
	s_cselect_b32 s0, -1, 0
	s_cmp_lg_u32 s21, 15
	s_cselect_b32 s24, -1, 0
.LBB150_16:
	s_and_not1_b32 vcc_lo, exec_lo, s22
	s_cbranch_vccnz .LBB150_18
; %bb.17:
	s_cmp_lt_i32 s21, 12
	s_cselect_b32 s0, -1, 0
	s_cmp_gt_i32 s21, 11
	s_cselect_b32 s24, -1, 0
.LBB150_18:
	s_and_b32 vcc_lo, exec_lo, s0
	s_cbranch_vccz .LBB150_26
; %bb.19:
	v_mul_lo_u32 v0, v18, s4
	s_and_b32 s0, s16, 0xff
	s_delay_alu instid0(SALU_CYCLE_1) | instskip(NEXT) | instid1(VALU_DEP_1)
	s_cmp_lt_i32 s0, 11
	v_ashrrev_i32_e32 v1, 31, v0
	s_delay_alu instid0(VALU_DEP_1)
	v_add_nc_u64_e32 v[2:3], s[8:9], v[0:1]
	s_cbranch_scc1 .LBB150_28
; %bb.20:
	s_and_b32 s21, 0xffff, s0
	s_delay_alu instid0(SALU_CYCLE_1)
	s_cmp_gt_i32 s21, 25
	s_cbranch_scc0 .LBB150_29
; %bb.21:
	s_cmp_gt_i32 s21, 28
	s_cbranch_scc0 .LBB150_30
; %bb.22:
	;; [unrolled: 3-line block ×4, first 2 shown]
	s_cmp_eq_u32 s21, 46
	s_mov_b32 s24, 0
	s_cbranch_scc0 .LBB150_33
; %bb.25:
	global_load_b32 v0, v[2:3], off
	s_mov_b32 s22, -1
	s_mov_b32 s23, 0
	s_wait_loadcnt 0x0
	v_and_b32_e32 v1, 0xffff0000, v0
	v_lshlrev_b32_e32 v0, 16, v0
	s_branch .LBB150_35
.LBB150_26:
	s_mov_b32 s0, 0
	s_mov_b32 s22, 0
	;; [unrolled: 1-line block ×3, first 2 shown]
.LBB150_27:
	s_mov_b32 s27, 0
                                        ; implicit-def: $vgpr18
	s_branch .LBB150_411
.LBB150_28:
	s_mov_b32 s23, 0
	s_mov_b32 s22, 0
                                        ; implicit-def: $vgpr1
	s_cbranch_execnz .LBB150_103
	s_branch .LBB150_153
.LBB150_29:
	s_mov_b32 s24, -1
	s_mov_b32 s23, 0
	s_mov_b32 s22, 0
                                        ; implicit-def: $vgpr1
	s_branch .LBB150_66
.LBB150_30:
	s_mov_b32 s24, -1
	s_mov_b32 s23, 0
	s_mov_b32 s22, 0
                                        ; implicit-def: $vgpr1
	s_branch .LBB150_47
.LBB150_31:
	s_mov_b32 s24, -1
	s_mov_b32 s23, 0
	s_mov_b32 s22, 0
                                        ; implicit-def: $vgpr1
	s_branch .LBB150_41
.LBB150_32:
	s_mov_b32 s24, -1
	s_mov_b32 s23, 0
	s_branch .LBB150_34
.LBB150_33:
	s_mov_b32 s23, -1
.LBB150_34:
	s_mov_b32 s22, 0
                                        ; implicit-def: $vgpr1
.LBB150_35:
	s_and_b32 vcc_lo, exec_lo, s24
	s_cbranch_vccz .LBB150_40
; %bb.36:
	s_cmp_eq_u32 s21, 44
	s_cbranch_scc0 .LBB150_38
; %bb.37:
	global_load_u8 v0, v[2:3], off
	s_mov_b32 s23, 0
	s_mov_b32 s22, -1
	s_wait_loadcnt 0x0
	v_lshlrev_b32_e32 v1, 23, v0
	v_cmp_ne_u32_e32 vcc_lo, 0xff, v0
	s_delay_alu instid0(VALU_DEP_2) | instskip(SKIP_1) | instid1(VALU_DEP_2)
	v_cndmask_b32_e32 v1, 0x7f800001, v1, vcc_lo
	v_cmp_ne_u32_e32 vcc_lo, 0, v0
	v_cndmask_b32_e32 v0, 0x400000, v1, vcc_lo
	s_branch .LBB150_39
.LBB150_38:
	s_mov_b32 s23, -1
                                        ; implicit-def: $vgpr0
.LBB150_39:
	v_mov_b32_e32 v1, 0
.LBB150_40:
	s_mov_b32 s24, 0
.LBB150_41:
	s_delay_alu instid0(SALU_CYCLE_1)
	s_and_b32 vcc_lo, exec_lo, s24
	s_cbranch_vccz .LBB150_46
; %bb.42:
	s_cmp_eq_u32 s21, 29
	s_cbranch_scc0 .LBB150_44
; %bb.43:
	global_load_b64 v[0:1], v[2:3], off
	s_mov_b32 s22, -1
	s_mov_b32 s23, 0
	s_wait_loadcnt 0x0
	v_clz_i32_u32_e32 v4, v1
	s_delay_alu instid0(VALU_DEP_1) | instskip(NEXT) | instid1(VALU_DEP_1)
	v_min_u32_e32 v4, 32, v4
	v_lshlrev_b64_e32 v[0:1], v4, v[0:1]
	s_delay_alu instid0(VALU_DEP_1) | instskip(NEXT) | instid1(VALU_DEP_1)
	v_min_u32_e32 v0, 1, v0
	v_or_b32_e32 v0, v1, v0
	v_sub_nc_u32_e32 v1, 32, v4
	s_delay_alu instid0(VALU_DEP_2) | instskip(NEXT) | instid1(VALU_DEP_1)
	v_cvt_f32_u32_e32 v0, v0
	v_ldexp_f32 v0, v0, v1
	s_branch .LBB150_45
.LBB150_44:
	s_mov_b32 s23, -1
                                        ; implicit-def: $vgpr0
.LBB150_45:
	v_mov_b32_e32 v1, 0
.LBB150_46:
	s_mov_b32 s24, 0
.LBB150_47:
	s_delay_alu instid0(SALU_CYCLE_1)
	s_and_b32 vcc_lo, exec_lo, s24
	s_cbranch_vccz .LBB150_65
; %bb.48:
	s_cmp_lt_i32 s21, 27
	s_cbranch_scc1 .LBB150_51
; %bb.49:
	s_cmp_gt_i32 s21, 27
	s_cbranch_scc0 .LBB150_52
; %bb.50:
	global_load_b32 v0, v[2:3], off
	s_mov_b32 s22, 0
	s_wait_loadcnt 0x0
	v_cvt_f32_u32_e32 v0, v0
	s_branch .LBB150_53
.LBB150_51:
	s_mov_b32 s22, -1
                                        ; implicit-def: $vgpr0
	s_branch .LBB150_56
.LBB150_52:
	s_mov_b32 s22, -1
                                        ; implicit-def: $vgpr0
.LBB150_53:
	s_delay_alu instid0(SALU_CYCLE_1)
	s_and_not1_b32 vcc_lo, exec_lo, s22
	s_cbranch_vccnz .LBB150_55
; %bb.54:
	global_load_u16 v0, v[2:3], off
	s_wait_loadcnt 0x0
	v_cvt_f32_u32_e32 v0, v0
.LBB150_55:
	s_mov_b32 s22, 0
.LBB150_56:
	s_delay_alu instid0(SALU_CYCLE_1)
	s_and_not1_b32 vcc_lo, exec_lo, s22
	s_cbranch_vccnz .LBB150_64
; %bb.57:
	global_load_u8 v1, v[2:3], off
	s_mov_b32 s22, 0
	s_mov_b32 s24, exec_lo
	s_wait_loadcnt 0x0
	v_cmpx_lt_i16_e32 0x7f, v1
	s_xor_b32 s24, exec_lo, s24
	s_cbranch_execz .LBB150_78
; %bb.58:
	s_mov_b32 s22, -1
	s_mov_b32 s27, exec_lo
	v_cmpx_eq_u16_e32 0x80, v1
; %bb.59:
	s_xor_b32 s22, exec_lo, -1
; %bb.60:
	s_or_b32 exec_lo, exec_lo, s27
	s_delay_alu instid0(SALU_CYCLE_1)
	s_and_b32 s22, s22, exec_lo
	s_or_saveexec_b32 s24, s24
	v_mov_b32_e32 v0, 0x7f800001
	s_xor_b32 exec_lo, exec_lo, s24
	s_cbranch_execnz .LBB150_79
.LBB150_61:
	s_or_b32 exec_lo, exec_lo, s24
	s_and_saveexec_b32 s24, s22
	s_cbranch_execz .LBB150_63
.LBB150_62:
	v_and_b32_e32 v0, 0xffff, v1
	s_delay_alu instid0(VALU_DEP_1) | instskip(SKIP_1) | instid1(VALU_DEP_2)
	v_and_b32_e32 v4, 7, v0
	v_bfe_u32 v7, v0, 3, 4
	v_clz_i32_u32_e32 v5, v4
	s_delay_alu instid0(VALU_DEP_2) | instskip(NEXT) | instid1(VALU_DEP_2)
	v_cmp_eq_u32_e32 vcc_lo, 0, v7
	v_min_u32_e32 v5, 32, v5
	s_delay_alu instid0(VALU_DEP_1) | instskip(NEXT) | instid1(VALU_DEP_1)
	v_subrev_nc_u32_e32 v6, 28, v5
	v_dual_lshlrev_b32 v0, v6, v0 :: v_dual_sub_nc_u32 v5, 29, v5
	s_delay_alu instid0(VALU_DEP_1) | instskip(NEXT) | instid1(VALU_DEP_1)
	v_dual_lshlrev_b32 v1, 24, v1 :: v_dual_bitop2_b32 v0, 7, v0 bitop3:0x40
	v_dual_cndmask_b32 v0, v4, v0 :: v_dual_cndmask_b32 v5, v7, v5
	s_delay_alu instid0(VALU_DEP_2) | instskip(NEXT) | instid1(VALU_DEP_2)
	v_and_b32_e32 v1, 0x80000000, v1
	v_lshlrev_b32_e32 v0, 20, v0
	s_delay_alu instid0(VALU_DEP_3) | instskip(NEXT) | instid1(VALU_DEP_1)
	v_lshl_add_u32 v4, v5, 23, 0x3b800000
	v_or3_b32 v0, v1, v4, v0
.LBB150_63:
	s_or_b32 exec_lo, exec_lo, s24
.LBB150_64:
	v_mov_b32_e32 v1, 0
	s_mov_b32 s22, -1
.LBB150_65:
	s_mov_b32 s24, 0
.LBB150_66:
	s_delay_alu instid0(SALU_CYCLE_1)
	s_and_b32 vcc_lo, exec_lo, s24
	s_cbranch_vccz .LBB150_102
; %bb.67:
	s_cmp_gt_i32 s21, 22
	s_cbranch_scc0 .LBB150_77
; %bb.68:
	s_cmp_lt_i32 s21, 24
	s_cbranch_scc1 .LBB150_80
; %bb.69:
	s_cmp_gt_i32 s21, 24
	s_cbranch_scc0 .LBB150_81
; %bb.70:
	global_load_u8 v1, v[2:3], off
	s_mov_b32 s22, 0
	s_mov_b32 s24, exec_lo
	s_wait_loadcnt 0x0
	v_cmpx_lt_i16_e32 0x7f, v1
	s_xor_b32 s24, exec_lo, s24
	s_cbranch_execz .LBB150_93
; %bb.71:
	s_mov_b32 s22, -1
	s_mov_b32 s27, exec_lo
	v_cmpx_eq_u16_e32 0x80, v1
; %bb.72:
	s_xor_b32 s22, exec_lo, -1
; %bb.73:
	s_or_b32 exec_lo, exec_lo, s27
	s_delay_alu instid0(SALU_CYCLE_1)
	s_and_b32 s22, s22, exec_lo
	s_or_saveexec_b32 s24, s24
	v_mov_b32_e32 v0, 0x7f800001
	s_xor_b32 exec_lo, exec_lo, s24
	s_cbranch_execnz .LBB150_94
.LBB150_74:
	s_or_b32 exec_lo, exec_lo, s24
	s_and_saveexec_b32 s24, s22
	s_cbranch_execz .LBB150_76
.LBB150_75:
	v_and_b32_e32 v0, 0xffff, v1
	s_delay_alu instid0(VALU_DEP_1) | instskip(SKIP_1) | instid1(VALU_DEP_2)
	v_and_b32_e32 v4, 3, v0
	v_bfe_u32 v7, v0, 2, 5
	v_clz_i32_u32_e32 v5, v4
	s_delay_alu instid0(VALU_DEP_2) | instskip(NEXT) | instid1(VALU_DEP_2)
	v_cmp_eq_u32_e32 vcc_lo, 0, v7
	v_min_u32_e32 v5, 32, v5
	s_delay_alu instid0(VALU_DEP_1) | instskip(NEXT) | instid1(VALU_DEP_1)
	v_subrev_nc_u32_e32 v6, 29, v5
	v_dual_lshlrev_b32 v0, v6, v0 :: v_dual_sub_nc_u32 v5, 30, v5
	s_delay_alu instid0(VALU_DEP_1) | instskip(NEXT) | instid1(VALU_DEP_1)
	v_dual_lshlrev_b32 v1, 24, v1 :: v_dual_bitop2_b32 v0, 3, v0 bitop3:0x40
	v_dual_cndmask_b32 v0, v4, v0 :: v_dual_cndmask_b32 v5, v7, v5
	s_delay_alu instid0(VALU_DEP_2) | instskip(NEXT) | instid1(VALU_DEP_2)
	v_and_b32_e32 v1, 0x80000000, v1
	v_lshlrev_b32_e32 v0, 21, v0
	s_delay_alu instid0(VALU_DEP_3) | instskip(NEXT) | instid1(VALU_DEP_1)
	v_lshl_add_u32 v4, v5, 23, 0x37800000
	v_or3_b32 v0, v1, v4, v0
.LBB150_76:
	s_or_b32 exec_lo, exec_lo, s24
	s_mov_b32 s22, 0
	s_branch .LBB150_82
.LBB150_77:
	s_mov_b32 s24, -1
                                        ; implicit-def: $vgpr0
	s_branch .LBB150_88
.LBB150_78:
	s_or_saveexec_b32 s24, s24
	v_mov_b32_e32 v0, 0x7f800001
	s_xor_b32 exec_lo, exec_lo, s24
	s_cbranch_execz .LBB150_61
.LBB150_79:
	v_cmp_ne_u16_e32 vcc_lo, 0, v1
	v_mov_b32_e32 v0, 0
	s_and_not1_b32 s22, s22, exec_lo
	s_and_b32 s27, vcc_lo, exec_lo
	s_delay_alu instid0(SALU_CYCLE_1)
	s_or_b32 s22, s22, s27
	s_or_b32 exec_lo, exec_lo, s24
	s_and_saveexec_b32 s24, s22
	s_cbranch_execnz .LBB150_62
	s_branch .LBB150_63
.LBB150_80:
	s_mov_b32 s22, -1
                                        ; implicit-def: $vgpr0
	s_branch .LBB150_85
.LBB150_81:
	s_mov_b32 s22, -1
                                        ; implicit-def: $vgpr0
.LBB150_82:
	s_delay_alu instid0(SALU_CYCLE_1)
	s_and_b32 vcc_lo, exec_lo, s22
	s_cbranch_vccz .LBB150_84
; %bb.83:
	global_load_u8 v0, v[2:3], off
	s_wait_loadcnt 0x0
	v_lshlrev_b32_e32 v0, 24, v0
	s_delay_alu instid0(VALU_DEP_1) | instskip(NEXT) | instid1(VALU_DEP_1)
	v_and_b32_e32 v1, 0x7f000000, v0
	v_clz_i32_u32_e32 v4, v1
	v_cmp_ne_u32_e32 vcc_lo, 0, v1
	v_add_nc_u32_e32 v6, 0x1000000, v1
	s_delay_alu instid0(VALU_DEP_3) | instskip(NEXT) | instid1(VALU_DEP_1)
	v_min_u32_e32 v4, 32, v4
	v_sub_nc_u32_e64 v4, v4, 4 clamp
	s_delay_alu instid0(VALU_DEP_1) | instskip(NEXT) | instid1(VALU_DEP_1)
	v_dual_lshlrev_b32 v5, v4, v1 :: v_dual_lshlrev_b32 v4, 23, v4
	v_lshrrev_b32_e32 v5, 4, v5
	s_delay_alu instid0(VALU_DEP_1) | instskip(NEXT) | instid1(VALU_DEP_1)
	v_dual_sub_nc_u32 v4, v5, v4 :: v_dual_ashrrev_i32 v5, 8, v6
	v_add_nc_u32_e32 v4, 0x3c000000, v4
	s_delay_alu instid0(VALU_DEP_1) | instskip(NEXT) | instid1(VALU_DEP_1)
	v_and_or_b32 v4, 0x7f800000, v5, v4
	v_cndmask_b32_e32 v1, 0, v4, vcc_lo
	s_delay_alu instid0(VALU_DEP_1)
	v_and_or_b32 v0, 0x80000000, v0, v1
.LBB150_84:
	s_mov_b32 s22, 0
.LBB150_85:
	s_delay_alu instid0(SALU_CYCLE_1)
	s_and_not1_b32 vcc_lo, exec_lo, s22
	s_cbranch_vccnz .LBB150_87
; %bb.86:
	global_load_u8 v0, v[2:3], off
	s_wait_loadcnt 0x0
	v_lshlrev_b32_e32 v1, 25, v0
	v_lshlrev_b16 v0, 8, v0
	s_delay_alu instid0(VALU_DEP_1) | instskip(SKIP_1) | instid1(VALU_DEP_2)
	v_and_or_b32 v5, 0x7f00, v0, 0.5
	v_bfe_i32 v0, v0, 0, 16
	v_add_f32_e32 v5, -0.5, v5
	v_lshrrev_b32_e32 v4, 4, v1
	v_cmp_gt_u32_e32 vcc_lo, 0x8000000, v1
	s_delay_alu instid0(VALU_DEP_2) | instskip(NEXT) | instid1(VALU_DEP_1)
	v_or_b32_e32 v4, 0x70000000, v4
	v_mul_f32_e32 v4, 0x7800000, v4
	s_delay_alu instid0(VALU_DEP_1) | instskip(NEXT) | instid1(VALU_DEP_1)
	v_cndmask_b32_e32 v1, v4, v5, vcc_lo
	v_and_or_b32 v0, 0x80000000, v0, v1
.LBB150_87:
	s_mov_b32 s24, 0
	s_mov_b32 s22, -1
.LBB150_88:
	s_and_not1_b32 vcc_lo, exec_lo, s24
	s_cbranch_vccnz .LBB150_101
; %bb.89:
	s_cmp_gt_i32 s21, 14
	s_cbranch_scc0 .LBB150_92
; %bb.90:
	s_cmp_eq_u32 s21, 15
	s_cbranch_scc0 .LBB150_95
; %bb.91:
	global_load_u16 v0, v[2:3], off
	s_mov_b32 s22, -1
	s_mov_b32 s23, 0
	s_wait_loadcnt 0x0
	v_lshlrev_b32_e32 v0, 16, v0
	s_branch .LBB150_96
.LBB150_92:
	s_mov_b32 s24, -1
                                        ; implicit-def: $vgpr0
	s_branch .LBB150_97
.LBB150_93:
	s_or_saveexec_b32 s24, s24
	v_mov_b32_e32 v0, 0x7f800001
	s_xor_b32 exec_lo, exec_lo, s24
	s_cbranch_execz .LBB150_74
.LBB150_94:
	v_cmp_ne_u16_e32 vcc_lo, 0, v1
	v_mov_b32_e32 v0, 0
	s_and_not1_b32 s22, s22, exec_lo
	s_and_b32 s27, vcc_lo, exec_lo
	s_delay_alu instid0(SALU_CYCLE_1)
	s_or_b32 s22, s22, s27
	s_or_b32 exec_lo, exec_lo, s24
	s_and_saveexec_b32 s24, s22
	s_cbranch_execnz .LBB150_75
	s_branch .LBB150_76
.LBB150_95:
	s_mov_b32 s23, -1
                                        ; implicit-def: $vgpr0
.LBB150_96:
	s_mov_b32 s24, 0
.LBB150_97:
	s_delay_alu instid0(SALU_CYCLE_1)
	s_and_b32 vcc_lo, exec_lo, s24
	s_cbranch_vccz .LBB150_101
; %bb.98:
	s_cmp_eq_u32 s21, 11
	s_cbranch_scc0 .LBB150_100
; %bb.99:
	global_load_u8 v0, v[2:3], off
	s_mov_b32 s23, 0
	s_mov_b32 s22, -1
	v_mov_b32_e32 v1, 0
	s_wait_loadcnt 0x0
	v_cmp_ne_u16_e32 vcc_lo, 0, v0
	v_cndmask_b32_e64 v0, 0, 1.0, vcc_lo
	s_branch .LBB150_102
.LBB150_100:
	s_mov_b32 s23, -1
                                        ; implicit-def: $vgpr0
.LBB150_101:
	v_mov_b32_e32 v1, 0
.LBB150_102:
	s_branch .LBB150_153
.LBB150_103:
	s_and_b32 s0, 0xffff, s0
	s_delay_alu instid0(SALU_CYCLE_1)
	s_cmp_lt_i32 s0, 5
	s_cbranch_scc1 .LBB150_108
; %bb.104:
	s_cmp_lt_i32 s0, 8
	s_cbranch_scc1 .LBB150_109
; %bb.105:
	;; [unrolled: 3-line block ×3, first 2 shown]
	s_cmp_gt_i32 s0, 9
	s_cbranch_scc0 .LBB150_111
; %bb.107:
	global_load_b128 v[4:7], v[2:3], off
	s_mov_b32 s21, 0
	s_wait_loadcnt 0x0
	v_cvt_f32_f64_e32 v0, v[4:5]
	v_cvt_f32_f64_e32 v1, v[6:7]
	s_branch .LBB150_112
.LBB150_108:
	s_mov_b32 s21, -1
                                        ; implicit-def: $vgpr1
	s_branch .LBB150_131
.LBB150_109:
	s_mov_b32 s21, -1
                                        ; implicit-def: $vgpr1
	s_branch .LBB150_118
.LBB150_110:
	s_mov_b32 s21, -1
                                        ; implicit-def: $vgpr1
	s_branch .LBB150_115
.LBB150_111:
	s_mov_b32 s21, -1
                                        ; implicit-def: $vgpr1
.LBB150_112:
	s_delay_alu instid0(SALU_CYCLE_1)
	s_and_not1_b32 vcc_lo, exec_lo, s21
	s_cbranch_vccnz .LBB150_114
; %bb.113:
	global_load_b64 v[0:1], v[2:3], off
.LBB150_114:
	s_mov_b32 s21, 0
.LBB150_115:
	s_delay_alu instid0(SALU_CYCLE_1)
	s_and_not1_b32 vcc_lo, exec_lo, s21
	s_cbranch_vccnz .LBB150_117
; %bb.116:
	s_wait_loadcnt 0x0
	global_load_b32 v0, v[2:3], off
	s_wait_loadcnt 0x0
	v_lshrrev_b32_e32 v1, 16, v0
	v_cvt_f32_f16_e32 v0, v0
	s_delay_alu instid0(VALU_DEP_2)
	v_cvt_f32_f16_e32 v1, v1
.LBB150_117:
	s_mov_b32 s21, 0
.LBB150_118:
	s_delay_alu instid0(SALU_CYCLE_1)
	s_and_not1_b32 vcc_lo, exec_lo, s21
	s_cbranch_vccnz .LBB150_130
; %bb.119:
	s_cmp_lt_i32 s0, 6
	s_cbranch_scc1 .LBB150_122
; %bb.120:
	s_cmp_gt_i32 s0, 6
	s_cbranch_scc0 .LBB150_123
; %bb.121:
	s_wait_loadcnt 0x0
	global_load_b64 v[0:1], v[2:3], off
	s_mov_b32 s21, 0
	s_wait_loadcnt 0x0
	v_cvt_f32_f64_e32 v0, v[0:1]
	s_branch .LBB150_124
.LBB150_122:
	s_mov_b32 s21, -1
                                        ; implicit-def: $vgpr0
	s_branch .LBB150_127
.LBB150_123:
	s_mov_b32 s21, -1
                                        ; implicit-def: $vgpr0
.LBB150_124:
	s_delay_alu instid0(SALU_CYCLE_1)
	s_and_not1_b32 vcc_lo, exec_lo, s21
	s_cbranch_vccnz .LBB150_126
; %bb.125:
	s_wait_loadcnt 0x0
	global_load_b32 v0, v[2:3], off
.LBB150_126:
	s_mov_b32 s21, 0
.LBB150_127:
	s_delay_alu instid0(SALU_CYCLE_1)
	s_and_not1_b32 vcc_lo, exec_lo, s21
	s_cbranch_vccnz .LBB150_129
; %bb.128:
	s_wait_loadcnt 0x0
	global_load_u16 v0, v[2:3], off
	s_wait_loadcnt 0x0
	v_cvt_f32_f16_e32 v0, v0
.LBB150_129:
	s_wait_loadcnt 0x0
	v_mov_b32_e32 v1, 0
.LBB150_130:
	s_mov_b32 s21, 0
.LBB150_131:
	s_delay_alu instid0(SALU_CYCLE_1)
	s_and_not1_b32 vcc_lo, exec_lo, s21
	s_cbranch_vccnz .LBB150_152
; %bb.132:
	s_cmp_lt_i32 s0, 2
	s_cbranch_scc1 .LBB150_136
; %bb.133:
	s_cmp_lt_i32 s0, 3
	s_cbranch_scc1 .LBB150_137
; %bb.134:
	s_cmp_gt_i32 s0, 3
	s_cbranch_scc0 .LBB150_138
; %bb.135:
	s_wait_loadcnt 0x0
	global_load_b64 v[0:1], v[2:3], off
	s_mov_b32 s21, 0
	s_wait_loadcnt 0x0
	v_xor_b32_e32 v4, v0, v1
	v_cls_i32_e32 v5, v1
	s_delay_alu instid0(VALU_DEP_2) | instskip(NEXT) | instid1(VALU_DEP_1)
	v_ashrrev_i32_e32 v4, 31, v4
	v_add_nc_u32_e32 v4, 32, v4
	s_delay_alu instid0(VALU_DEP_1) | instskip(NEXT) | instid1(VALU_DEP_1)
	v_add_min_u32_e64 v4, v5, -1, v4
	v_lshlrev_b64_e32 v[0:1], v4, v[0:1]
	s_delay_alu instid0(VALU_DEP_1) | instskip(NEXT) | instid1(VALU_DEP_1)
	v_min_u32_e32 v0, 1, v0
	v_or_b32_e32 v0, v1, v0
	v_sub_nc_u32_e32 v1, 32, v4
	s_delay_alu instid0(VALU_DEP_2) | instskip(NEXT) | instid1(VALU_DEP_1)
	v_cvt_f32_i32_e32 v0, v0
	v_ldexp_f32 v0, v0, v1
	s_branch .LBB150_139
.LBB150_136:
	s_mov_b32 s21, -1
                                        ; implicit-def: $vgpr0
	s_branch .LBB150_145
.LBB150_137:
	s_mov_b32 s21, -1
                                        ; implicit-def: $vgpr0
	s_branch .LBB150_142
.LBB150_138:
	s_mov_b32 s21, -1
                                        ; implicit-def: $vgpr0
.LBB150_139:
	s_delay_alu instid0(SALU_CYCLE_1)
	s_and_not1_b32 vcc_lo, exec_lo, s21
	s_cbranch_vccnz .LBB150_141
; %bb.140:
	s_wait_loadcnt 0x0
	global_load_b32 v0, v[2:3], off
	s_wait_loadcnt 0x0
	v_cvt_f32_i32_e32 v0, v0
.LBB150_141:
	s_mov_b32 s21, 0
.LBB150_142:
	s_delay_alu instid0(SALU_CYCLE_1)
	s_and_not1_b32 vcc_lo, exec_lo, s21
	s_cbranch_vccnz .LBB150_144
; %bb.143:
	s_wait_loadcnt 0x0
	global_load_i16 v0, v[2:3], off
	s_wait_loadcnt 0x0
	v_cvt_f32_i32_e32 v0, v0
.LBB150_144:
	s_mov_b32 s21, 0
.LBB150_145:
	s_delay_alu instid0(SALU_CYCLE_1)
	s_and_not1_b32 vcc_lo, exec_lo, s21
	s_cbranch_vccnz .LBB150_151
; %bb.146:
	s_cmp_gt_i32 s0, 0
	s_mov_b32 s0, 0
	s_cbranch_scc0 .LBB150_148
; %bb.147:
	s_wait_loadcnt 0x0
	global_load_i8 v0, v[2:3], off
	s_wait_loadcnt 0x0
	v_cvt_f32_i32_e32 v0, v0
	s_branch .LBB150_149
.LBB150_148:
	s_mov_b32 s0, -1
                                        ; implicit-def: $vgpr0
.LBB150_149:
	s_delay_alu instid0(SALU_CYCLE_1)
	s_and_not1_b32 vcc_lo, exec_lo, s0
	s_cbranch_vccnz .LBB150_151
; %bb.150:
	s_wait_loadcnt 0x0
	global_load_u8 v0, v[2:3], off
	s_wait_loadcnt 0x0
	v_cvt_f32_ubyte0_e32 v0, v0
.LBB150_151:
	s_wait_loadcnt 0x0
	v_mov_b32_e32 v1, 0
.LBB150_152:
	s_mov_b32 s22, -1
.LBB150_153:
	s_mov_b32 s24, 0
	s_mov_b32 s0, 0
	s_and_not1_b32 vcc_lo, exec_lo, s22
	s_mov_b32 s22, 0
	s_mov_b32 s27, 0
	s_cbranch_vccnz .LBB150_411
; %bb.154:
	s_wait_xcnt 0x0
	v_mul_lo_u32 v2, v18, s5
	s_and_b32 s0, 0xffff, s1
	s_delay_alu instid0(SALU_CYCLE_1) | instskip(NEXT) | instid1(VALU_DEP_1)
	s_cmp_lt_i32 s0, 11
	v_ashrrev_i32_e32 v3, 31, v2
	s_delay_alu instid0(VALU_DEP_1)
	v_add_nc_u64_e32 v[2:3], s[10:11], v[2:3]
	s_cbranch_scc1 .LBB150_161
; %bb.155:
	s_cmp_gt_i32 s0, 25
	s_cbranch_scc0 .LBB150_162
; %bb.156:
	s_cmp_gt_i32 s0, 28
	s_cbranch_scc0 .LBB150_163
	;; [unrolled: 3-line block ×4, first 2 shown]
; %bb.159:
	s_cmp_eq_u32 s0, 46
	s_cbranch_scc0 .LBB150_166
; %bb.160:
	global_load_b32 v4, v[2:3], off
	s_mov_b32 s21, -1
	s_wait_loadcnt 0x0
	v_and_b32_e32 v7, 0xffff0000, v4
	v_lshlrev_b32_e32 v6, 16, v4
	s_branch .LBB150_168
.LBB150_161:
	s_mov_b32 s27, -1
	s_mov_b32 s21, 0
                                        ; implicit-def: $vgpr7
	s_branch .LBB150_236
.LBB150_162:
	s_mov_b32 s27, -1
	s_mov_b32 s21, 0
                                        ; implicit-def: $vgpr7
	s_branch .LBB150_199
.LBB150_163:
	s_mov_b32 s27, -1
	s_mov_b32 s21, 0
                                        ; implicit-def: $vgpr7
	s_branch .LBB150_180
.LBB150_164:
	s_mov_b32 s27, -1
	s_mov_b32 s21, 0
                                        ; implicit-def: $vgpr7
	s_branch .LBB150_174
.LBB150_165:
	s_mov_b32 s27, -1
	s_branch .LBB150_167
.LBB150_166:
	s_mov_b32 s22, -1
.LBB150_167:
	s_mov_b32 s21, 0
                                        ; implicit-def: $vgpr7
.LBB150_168:
	s_and_b32 vcc_lo, exec_lo, s27
	s_cbranch_vccz .LBB150_173
; %bb.169:
	s_cmp_eq_u32 s0, 44
	s_cbranch_scc0 .LBB150_171
; %bb.170:
	global_load_u8 v4, v[2:3], off
	s_mov_b32 s22, 0
	s_mov_b32 s21, -1
	s_wait_loadcnt 0x0
	v_lshlrev_b32_e32 v5, 23, v4
	v_cmp_ne_u32_e32 vcc_lo, 0xff, v4
	s_delay_alu instid0(VALU_DEP_2) | instskip(SKIP_1) | instid1(VALU_DEP_2)
	v_cndmask_b32_e32 v5, 0x7f800001, v5, vcc_lo
	v_cmp_ne_u32_e32 vcc_lo, 0, v4
	v_cndmask_b32_e32 v6, 0x400000, v5, vcc_lo
	s_branch .LBB150_172
.LBB150_171:
	s_mov_b32 s22, -1
                                        ; implicit-def: $vgpr6
.LBB150_172:
	v_mov_b32_e32 v7, 0
.LBB150_173:
	s_mov_b32 s27, 0
.LBB150_174:
	s_delay_alu instid0(SALU_CYCLE_1)
	s_and_b32 vcc_lo, exec_lo, s27
	s_cbranch_vccz .LBB150_179
; %bb.175:
	s_cmp_eq_u32 s0, 29
	s_cbranch_scc0 .LBB150_177
; %bb.176:
	global_load_b64 v[4:5], v[2:3], off
	s_mov_b32 s21, -1
	s_mov_b32 s22, 0
	s_wait_loadcnt 0x0
	v_clz_i32_u32_e32 v6, v5
	s_delay_alu instid0(VALU_DEP_1) | instskip(NEXT) | instid1(VALU_DEP_1)
	v_min_u32_e32 v6, 32, v6
	v_lshlrev_b64_e32 v[4:5], v6, v[4:5]
	s_delay_alu instid0(VALU_DEP_1) | instskip(NEXT) | instid1(VALU_DEP_1)
	v_min_u32_e32 v4, 1, v4
	v_dual_sub_nc_u32 v5, 32, v6 :: v_dual_bitop2_b32 v4, v5, v4 bitop3:0x54
	s_delay_alu instid0(VALU_DEP_1) | instskip(NEXT) | instid1(VALU_DEP_1)
	v_cvt_f32_u32_e32 v4, v4
	v_ldexp_f32 v6, v4, v5
	s_branch .LBB150_178
.LBB150_177:
	s_mov_b32 s22, -1
                                        ; implicit-def: $vgpr6
.LBB150_178:
	v_mov_b32_e32 v7, 0
.LBB150_179:
	s_mov_b32 s27, 0
.LBB150_180:
	s_delay_alu instid0(SALU_CYCLE_1)
	s_and_b32 vcc_lo, exec_lo, s27
	s_cbranch_vccz .LBB150_198
; %bb.181:
	s_cmp_lt_i32 s0, 27
	s_cbranch_scc1 .LBB150_184
; %bb.182:
	s_cmp_gt_i32 s0, 27
	s_cbranch_scc0 .LBB150_185
; %bb.183:
	global_load_b32 v4, v[2:3], off
	s_mov_b32 s21, 0
	s_wait_loadcnt 0x0
	v_cvt_f32_u32_e32 v6, v4
	s_branch .LBB150_186
.LBB150_184:
	s_mov_b32 s21, -1
                                        ; implicit-def: $vgpr6
	s_branch .LBB150_189
.LBB150_185:
	s_mov_b32 s21, -1
                                        ; implicit-def: $vgpr6
.LBB150_186:
	s_delay_alu instid0(SALU_CYCLE_1)
	s_and_not1_b32 vcc_lo, exec_lo, s21
	s_cbranch_vccnz .LBB150_188
; %bb.187:
	global_load_u16 v4, v[2:3], off
	s_wait_loadcnt 0x0
	v_cvt_f32_u32_e32 v6, v4
.LBB150_188:
	s_mov_b32 s21, 0
.LBB150_189:
	s_delay_alu instid0(SALU_CYCLE_1)
	s_and_not1_b32 vcc_lo, exec_lo, s21
	s_cbranch_vccnz .LBB150_197
; %bb.190:
	global_load_u8 v4, v[2:3], off
	s_mov_b32 s21, 0
	s_mov_b32 s27, exec_lo
	s_wait_loadcnt 0x0
	v_cmpx_lt_i16_e32 0x7f, v4
	s_xor_b32 s27, exec_lo, s27
	s_cbranch_execz .LBB150_211
; %bb.191:
	s_mov_b32 s21, -1
	s_mov_b32 s28, exec_lo
	v_cmpx_eq_u16_e32 0x80, v4
; %bb.192:
	s_xor_b32 s21, exec_lo, -1
; %bb.193:
	s_or_b32 exec_lo, exec_lo, s28
	s_delay_alu instid0(SALU_CYCLE_1)
	s_and_b32 s21, s21, exec_lo
	s_or_saveexec_b32 s27, s27
	v_mov_b32_e32 v6, 0x7f800001
	s_xor_b32 exec_lo, exec_lo, s27
	s_cbranch_execnz .LBB150_212
.LBB150_194:
	s_or_b32 exec_lo, exec_lo, s27
	s_and_saveexec_b32 s27, s21
	s_cbranch_execz .LBB150_196
.LBB150_195:
	v_and_b32_e32 v5, 0xffff, v4
	s_delay_alu instid0(VALU_DEP_1) | instskip(SKIP_1) | instid1(VALU_DEP_2)
	v_and_b32_e32 v6, 7, v5
	v_bfe_u32 v9, v5, 3, 4
	v_clz_i32_u32_e32 v7, v6
	s_delay_alu instid0(VALU_DEP_2) | instskip(NEXT) | instid1(VALU_DEP_2)
	v_cmp_eq_u32_e32 vcc_lo, 0, v9
	v_min_u32_e32 v7, 32, v7
	s_delay_alu instid0(VALU_DEP_1) | instskip(NEXT) | instid1(VALU_DEP_1)
	v_subrev_nc_u32_e32 v8, 28, v7
	v_dual_lshlrev_b32 v5, v8, v5 :: v_dual_sub_nc_u32 v7, 29, v7
	s_delay_alu instid0(VALU_DEP_1) | instskip(NEXT) | instid1(VALU_DEP_1)
	v_dual_lshlrev_b32 v4, 24, v4 :: v_dual_bitop2_b32 v5, 7, v5 bitop3:0x40
	v_dual_cndmask_b32 v7, v9, v7, vcc_lo :: v_dual_cndmask_b32 v5, v6, v5, vcc_lo
	s_delay_alu instid0(VALU_DEP_2) | instskip(NEXT) | instid1(VALU_DEP_2)
	v_and_b32_e32 v4, 0x80000000, v4
	v_lshl_add_u32 v6, v7, 23, 0x3b800000
	s_delay_alu instid0(VALU_DEP_3) | instskip(NEXT) | instid1(VALU_DEP_1)
	v_lshlrev_b32_e32 v5, 20, v5
	v_or3_b32 v6, v4, v6, v5
.LBB150_196:
	s_or_b32 exec_lo, exec_lo, s27
.LBB150_197:
	v_mov_b32_e32 v7, 0
	s_mov_b32 s21, -1
.LBB150_198:
	s_mov_b32 s27, 0
.LBB150_199:
	s_delay_alu instid0(SALU_CYCLE_1)
	s_and_b32 vcc_lo, exec_lo, s27
	s_cbranch_vccz .LBB150_235
; %bb.200:
	s_cmp_gt_i32 s0, 22
	s_cbranch_scc0 .LBB150_210
; %bb.201:
	s_cmp_lt_i32 s0, 24
	s_cbranch_scc1 .LBB150_213
; %bb.202:
	s_cmp_gt_i32 s0, 24
	s_cbranch_scc0 .LBB150_214
; %bb.203:
	global_load_u8 v4, v[2:3], off
	s_mov_b32 s21, 0
	s_mov_b32 s27, exec_lo
	s_wait_loadcnt 0x0
	v_cmpx_lt_i16_e32 0x7f, v4
	s_xor_b32 s27, exec_lo, s27
	s_cbranch_execz .LBB150_226
; %bb.204:
	s_mov_b32 s21, -1
	s_mov_b32 s28, exec_lo
	v_cmpx_eq_u16_e32 0x80, v4
; %bb.205:
	s_xor_b32 s21, exec_lo, -1
; %bb.206:
	s_or_b32 exec_lo, exec_lo, s28
	s_delay_alu instid0(SALU_CYCLE_1)
	s_and_b32 s21, s21, exec_lo
	s_or_saveexec_b32 s27, s27
	v_mov_b32_e32 v6, 0x7f800001
	s_xor_b32 exec_lo, exec_lo, s27
	s_cbranch_execnz .LBB150_227
.LBB150_207:
	s_or_b32 exec_lo, exec_lo, s27
	s_and_saveexec_b32 s27, s21
	s_cbranch_execz .LBB150_209
.LBB150_208:
	v_and_b32_e32 v5, 0xffff, v4
	s_delay_alu instid0(VALU_DEP_1) | instskip(SKIP_1) | instid1(VALU_DEP_2)
	v_and_b32_e32 v6, 3, v5
	v_bfe_u32 v9, v5, 2, 5
	v_clz_i32_u32_e32 v7, v6
	s_delay_alu instid0(VALU_DEP_2) | instskip(NEXT) | instid1(VALU_DEP_2)
	v_cmp_eq_u32_e32 vcc_lo, 0, v9
	v_min_u32_e32 v7, 32, v7
	s_delay_alu instid0(VALU_DEP_1) | instskip(NEXT) | instid1(VALU_DEP_1)
	v_subrev_nc_u32_e32 v8, 29, v7
	v_dual_lshlrev_b32 v5, v8, v5 :: v_dual_sub_nc_u32 v7, 30, v7
	s_delay_alu instid0(VALU_DEP_1) | instskip(NEXT) | instid1(VALU_DEP_1)
	v_dual_lshlrev_b32 v4, 24, v4 :: v_dual_bitop2_b32 v5, 3, v5 bitop3:0x40
	v_dual_cndmask_b32 v7, v9, v7, vcc_lo :: v_dual_cndmask_b32 v5, v6, v5, vcc_lo
	s_delay_alu instid0(VALU_DEP_2) | instskip(NEXT) | instid1(VALU_DEP_2)
	v_and_b32_e32 v4, 0x80000000, v4
	v_lshl_add_u32 v6, v7, 23, 0x37800000
	s_delay_alu instid0(VALU_DEP_3) | instskip(NEXT) | instid1(VALU_DEP_1)
	v_lshlrev_b32_e32 v5, 21, v5
	v_or3_b32 v6, v4, v6, v5
.LBB150_209:
	s_or_b32 exec_lo, exec_lo, s27
	s_mov_b32 s21, 0
	s_branch .LBB150_215
.LBB150_210:
	s_mov_b32 s27, -1
                                        ; implicit-def: $vgpr6
	s_branch .LBB150_221
.LBB150_211:
	s_or_saveexec_b32 s27, s27
	v_mov_b32_e32 v6, 0x7f800001
	s_xor_b32 exec_lo, exec_lo, s27
	s_cbranch_execz .LBB150_194
.LBB150_212:
	v_cmp_ne_u16_e32 vcc_lo, 0, v4
	v_mov_b32_e32 v6, 0
	s_and_not1_b32 s21, s21, exec_lo
	s_and_b32 s28, vcc_lo, exec_lo
	s_delay_alu instid0(SALU_CYCLE_1)
	s_or_b32 s21, s21, s28
	s_or_b32 exec_lo, exec_lo, s27
	s_and_saveexec_b32 s27, s21
	s_cbranch_execnz .LBB150_195
	s_branch .LBB150_196
.LBB150_213:
	s_mov_b32 s21, -1
                                        ; implicit-def: $vgpr6
	s_branch .LBB150_218
.LBB150_214:
	s_mov_b32 s21, -1
                                        ; implicit-def: $vgpr6
.LBB150_215:
	s_delay_alu instid0(SALU_CYCLE_1)
	s_and_b32 vcc_lo, exec_lo, s21
	s_cbranch_vccz .LBB150_217
; %bb.216:
	global_load_u8 v4, v[2:3], off
	s_wait_loadcnt 0x0
	v_lshlrev_b32_e32 v4, 24, v4
	s_delay_alu instid0(VALU_DEP_1) | instskip(NEXT) | instid1(VALU_DEP_1)
	v_and_b32_e32 v5, 0x7f000000, v4
	v_clz_i32_u32_e32 v6, v5
	v_cmp_ne_u32_e32 vcc_lo, 0, v5
	v_add_nc_u32_e32 v8, 0x1000000, v5
	s_delay_alu instid0(VALU_DEP_3) | instskip(NEXT) | instid1(VALU_DEP_1)
	v_min_u32_e32 v6, 32, v6
	v_sub_nc_u32_e64 v6, v6, 4 clamp
	s_delay_alu instid0(VALU_DEP_1) | instskip(NEXT) | instid1(VALU_DEP_1)
	v_dual_lshlrev_b32 v7, v6, v5 :: v_dual_lshlrev_b32 v6, 23, v6
	v_lshrrev_b32_e32 v7, 4, v7
	s_delay_alu instid0(VALU_DEP_1) | instskip(NEXT) | instid1(VALU_DEP_1)
	v_dual_sub_nc_u32 v6, v7, v6 :: v_dual_ashrrev_i32 v7, 8, v8
	v_add_nc_u32_e32 v6, 0x3c000000, v6
	s_delay_alu instid0(VALU_DEP_1) | instskip(NEXT) | instid1(VALU_DEP_1)
	v_and_or_b32 v6, 0x7f800000, v7, v6
	v_cndmask_b32_e32 v5, 0, v6, vcc_lo
	s_delay_alu instid0(VALU_DEP_1)
	v_and_or_b32 v6, 0x80000000, v4, v5
.LBB150_217:
	s_mov_b32 s21, 0
.LBB150_218:
	s_delay_alu instid0(SALU_CYCLE_1)
	s_and_not1_b32 vcc_lo, exec_lo, s21
	s_cbranch_vccnz .LBB150_220
; %bb.219:
	global_load_u8 v4, v[2:3], off
	s_wait_loadcnt 0x0
	v_lshlrev_b32_e32 v5, 25, v4
	v_lshlrev_b16 v4, 8, v4
	s_delay_alu instid0(VALU_DEP_1) | instskip(SKIP_1) | instid1(VALU_DEP_2)
	v_and_or_b32 v7, 0x7f00, v4, 0.5
	v_bfe_i32 v4, v4, 0, 16
	v_dual_add_f32 v7, -0.5, v7 :: v_dual_lshrrev_b32 v6, 4, v5
	v_cmp_gt_u32_e32 vcc_lo, 0x8000000, v5
	s_delay_alu instid0(VALU_DEP_2) | instskip(NEXT) | instid1(VALU_DEP_1)
	v_or_b32_e32 v6, 0x70000000, v6
	v_mul_f32_e32 v6, 0x7800000, v6
	s_delay_alu instid0(VALU_DEP_1) | instskip(NEXT) | instid1(VALU_DEP_1)
	v_cndmask_b32_e32 v5, v6, v7, vcc_lo
	v_and_or_b32 v6, 0x80000000, v4, v5
.LBB150_220:
	s_mov_b32 s27, 0
	s_mov_b32 s21, -1
.LBB150_221:
	s_and_not1_b32 vcc_lo, exec_lo, s27
	s_cbranch_vccnz .LBB150_234
; %bb.222:
	s_cmp_gt_i32 s0, 14
	s_cbranch_scc0 .LBB150_225
; %bb.223:
	s_cmp_eq_u32 s0, 15
	s_cbranch_scc0 .LBB150_228
; %bb.224:
	global_load_u16 v4, v[2:3], off
	s_mov_b32 s21, -1
	s_mov_b32 s22, 0
	s_wait_loadcnt 0x0
	v_lshlrev_b32_e32 v6, 16, v4
	s_branch .LBB150_229
.LBB150_225:
	s_mov_b32 s27, -1
                                        ; implicit-def: $vgpr6
	s_branch .LBB150_230
.LBB150_226:
	s_or_saveexec_b32 s27, s27
	v_mov_b32_e32 v6, 0x7f800001
	s_xor_b32 exec_lo, exec_lo, s27
	s_cbranch_execz .LBB150_207
.LBB150_227:
	v_cmp_ne_u16_e32 vcc_lo, 0, v4
	v_mov_b32_e32 v6, 0
	s_and_not1_b32 s21, s21, exec_lo
	s_and_b32 s28, vcc_lo, exec_lo
	s_delay_alu instid0(SALU_CYCLE_1)
	s_or_b32 s21, s21, s28
	s_or_b32 exec_lo, exec_lo, s27
	s_and_saveexec_b32 s27, s21
	s_cbranch_execnz .LBB150_208
	s_branch .LBB150_209
.LBB150_228:
	s_mov_b32 s22, -1
                                        ; implicit-def: $vgpr6
.LBB150_229:
	s_mov_b32 s27, 0
.LBB150_230:
	s_delay_alu instid0(SALU_CYCLE_1)
	s_and_b32 vcc_lo, exec_lo, s27
	s_cbranch_vccz .LBB150_234
; %bb.231:
	s_cmp_eq_u32 s0, 11
	s_cbranch_scc0 .LBB150_233
; %bb.232:
	global_load_u8 v4, v[2:3], off
	s_mov_b32 s22, 0
	s_mov_b32 s21, -1
	v_mov_b32_e32 v7, 0
	s_wait_loadcnt 0x0
	v_cmp_ne_u16_e32 vcc_lo, 0, v4
	v_cndmask_b32_e64 v6, 0, 1.0, vcc_lo
	s_branch .LBB150_235
.LBB150_233:
	s_mov_b32 s22, -1
                                        ; implicit-def: $vgpr6
.LBB150_234:
	v_mov_b32_e32 v7, 0
.LBB150_235:
	s_mov_b32 s27, 0
.LBB150_236:
	s_delay_alu instid0(SALU_CYCLE_1)
	s_and_b32 vcc_lo, exec_lo, s27
	s_cbranch_vccz .LBB150_287
; %bb.237:
	s_cmp_lt_i32 s0, 5
	s_cbranch_scc1 .LBB150_242
; %bb.238:
	s_cmp_lt_i32 s0, 8
	s_cbranch_scc1 .LBB150_243
	;; [unrolled: 3-line block ×3, first 2 shown]
; %bb.240:
	s_cmp_gt_i32 s0, 9
	s_cbranch_scc0 .LBB150_245
; %bb.241:
	global_load_b128 v[6:9], v[2:3], off
	s_mov_b32 s21, 0
	s_wait_loadcnt 0x0
	v_cvt_f32_f64_e32 v6, v[6:7]
	v_cvt_f32_f64_e32 v7, v[8:9]
	s_branch .LBB150_246
.LBB150_242:
	s_mov_b32 s21, -1
                                        ; implicit-def: $vgpr7
	s_branch .LBB150_265
.LBB150_243:
	s_mov_b32 s21, -1
                                        ; implicit-def: $vgpr7
	s_branch .LBB150_252
.LBB150_244:
	s_mov_b32 s21, -1
                                        ; implicit-def: $vgpr7
	s_branch .LBB150_249
.LBB150_245:
	s_mov_b32 s21, -1
                                        ; implicit-def: $vgpr7
.LBB150_246:
	s_delay_alu instid0(SALU_CYCLE_1)
	s_and_not1_b32 vcc_lo, exec_lo, s21
	s_cbranch_vccnz .LBB150_248
; %bb.247:
	global_load_b64 v[6:7], v[2:3], off
.LBB150_248:
	s_mov_b32 s21, 0
.LBB150_249:
	s_delay_alu instid0(SALU_CYCLE_1)
	s_and_not1_b32 vcc_lo, exec_lo, s21
	s_cbranch_vccnz .LBB150_251
; %bb.250:
	global_load_b32 v4, v[2:3], off
	s_wait_loadcnt 0x0
	v_lshrrev_b32_e32 v5, 16, v4
	v_cvt_f32_f16_e32 v6, v4
	s_delay_alu instid0(VALU_DEP_2)
	v_cvt_f32_f16_e32 v7, v5
.LBB150_251:
	s_mov_b32 s21, 0
.LBB150_252:
	s_delay_alu instid0(SALU_CYCLE_1)
	s_and_not1_b32 vcc_lo, exec_lo, s21
	s_cbranch_vccnz .LBB150_264
; %bb.253:
	s_cmp_lt_i32 s0, 6
	s_cbranch_scc1 .LBB150_256
; %bb.254:
	s_cmp_gt_i32 s0, 6
	s_cbranch_scc0 .LBB150_257
; %bb.255:
	global_load_b64 v[4:5], v[2:3], off
	s_mov_b32 s21, 0
	s_wait_loadcnt 0x0
	v_cvt_f32_f64_e32 v6, v[4:5]
	s_branch .LBB150_258
.LBB150_256:
	s_mov_b32 s21, -1
                                        ; implicit-def: $vgpr6
	s_branch .LBB150_261
.LBB150_257:
	s_mov_b32 s21, -1
                                        ; implicit-def: $vgpr6
.LBB150_258:
	s_delay_alu instid0(SALU_CYCLE_1)
	s_and_not1_b32 vcc_lo, exec_lo, s21
	s_cbranch_vccnz .LBB150_260
; %bb.259:
	s_wait_loadcnt 0x0
	global_load_b32 v6, v[2:3], off
.LBB150_260:
	s_mov_b32 s21, 0
.LBB150_261:
	s_delay_alu instid0(SALU_CYCLE_1)
	s_and_not1_b32 vcc_lo, exec_lo, s21
	s_cbranch_vccnz .LBB150_263
; %bb.262:
	global_load_u16 v4, v[2:3], off
	s_wait_loadcnt 0x0
	v_cvt_f32_f16_e32 v6, v4
.LBB150_263:
	s_wait_loadcnt 0x0
	v_mov_b32_e32 v7, 0
.LBB150_264:
	s_mov_b32 s21, 0
.LBB150_265:
	s_delay_alu instid0(SALU_CYCLE_1)
	s_and_not1_b32 vcc_lo, exec_lo, s21
	s_cbranch_vccnz .LBB150_286
; %bb.266:
	s_cmp_lt_i32 s0, 2
	s_cbranch_scc1 .LBB150_270
; %bb.267:
	s_cmp_lt_i32 s0, 3
	s_cbranch_scc1 .LBB150_271
; %bb.268:
	s_cmp_gt_i32 s0, 3
	s_cbranch_scc0 .LBB150_272
; %bb.269:
	global_load_b64 v[4:5], v[2:3], off
	s_mov_b32 s21, 0
	s_wait_loadcnt 0x0
	v_xor_b32_e32 v6, v4, v5
	v_cls_i32_e32 v7, v5
	s_delay_alu instid0(VALU_DEP_2) | instskip(NEXT) | instid1(VALU_DEP_1)
	v_ashrrev_i32_e32 v6, 31, v6
	v_add_nc_u32_e32 v6, 32, v6
	s_delay_alu instid0(VALU_DEP_1) | instskip(NEXT) | instid1(VALU_DEP_1)
	v_add_min_u32_e64 v6, v7, -1, v6
	v_lshlrev_b64_e32 v[4:5], v6, v[4:5]
	s_delay_alu instid0(VALU_DEP_1) | instskip(NEXT) | instid1(VALU_DEP_1)
	v_min_u32_e32 v4, 1, v4
	v_dual_sub_nc_u32 v5, 32, v6 :: v_dual_bitop2_b32 v4, v5, v4 bitop3:0x54
	s_delay_alu instid0(VALU_DEP_1) | instskip(NEXT) | instid1(VALU_DEP_1)
	v_cvt_f32_i32_e32 v4, v4
	v_ldexp_f32 v6, v4, v5
	s_branch .LBB150_273
.LBB150_270:
	s_mov_b32 s21, -1
                                        ; implicit-def: $vgpr6
	s_branch .LBB150_279
.LBB150_271:
	s_mov_b32 s21, -1
                                        ; implicit-def: $vgpr6
	s_branch .LBB150_276
.LBB150_272:
	s_mov_b32 s21, -1
                                        ; implicit-def: $vgpr6
.LBB150_273:
	s_delay_alu instid0(SALU_CYCLE_1)
	s_and_not1_b32 vcc_lo, exec_lo, s21
	s_cbranch_vccnz .LBB150_275
; %bb.274:
	global_load_b32 v4, v[2:3], off
	s_wait_loadcnt 0x0
	v_cvt_f32_i32_e32 v6, v4
.LBB150_275:
	s_mov_b32 s21, 0
.LBB150_276:
	s_delay_alu instid0(SALU_CYCLE_1)
	s_and_not1_b32 vcc_lo, exec_lo, s21
	s_cbranch_vccnz .LBB150_278
; %bb.277:
	global_load_i16 v4, v[2:3], off
	s_wait_loadcnt 0x0
	v_cvt_f32_i32_e32 v6, v4
.LBB150_278:
	s_mov_b32 s21, 0
.LBB150_279:
	s_delay_alu instid0(SALU_CYCLE_1)
	s_and_not1_b32 vcc_lo, exec_lo, s21
	s_cbranch_vccnz .LBB150_285
; %bb.280:
	s_cmp_gt_i32 s0, 0
	s_mov_b32 s0, 0
	s_cbranch_scc0 .LBB150_282
; %bb.281:
	global_load_i8 v4, v[2:3], off
	s_wait_loadcnt 0x0
	v_cvt_f32_i32_e32 v6, v4
	s_branch .LBB150_283
.LBB150_282:
	s_mov_b32 s0, -1
                                        ; implicit-def: $vgpr6
.LBB150_283:
	s_delay_alu instid0(SALU_CYCLE_1)
	s_and_not1_b32 vcc_lo, exec_lo, s0
	s_cbranch_vccnz .LBB150_285
; %bb.284:
	global_load_u8 v2, v[2:3], off
	s_wait_loadcnt 0x0
	v_cvt_f32_ubyte0_e32 v6, v2
.LBB150_285:
	s_wait_loadcnt 0x0
	v_mov_b32_e32 v7, 0
.LBB150_286:
	s_mov_b32 s21, -1
.LBB150_287:
	s_delay_alu instid0(SALU_CYCLE_1)
	s_and_not1_b32 vcc_lo, exec_lo, s21
	s_cbranch_vccnz .LBB150_295
; %bb.288:
	s_wait_xcnt 0x0
	v_mov_b64_e32 v[2:3], s[12:13]
	v_mul_lo_u32 v10, v18, s14
	s_wait_loadcnt 0x0
	s_delay_alu instid0(VALU_DEP_3) | instskip(SKIP_1) | instid1(SALU_CYCLE_1)
	v_dual_mov_b32 v8, v7 :: v_dual_mov_b32 v9, v6
	s_and_b32 s21, s15, 0xff
	s_cmp_lt_i32 s21, 11
	s_delay_alu instid0(VALU_DEP_3) | instskip(SKIP_1) | instid1(VALU_DEP_2)
	v_pk_mul_f32 v[4:5], v[0:1], v[2:3]
	v_pk_mul_f32 v[0:1], v[0:1], v[2:3] op_sel:[0,1] op_sel_hi:[1,0]
	v_dual_add_f32 v2, v4, v5 :: v_dual_ashrrev_i32 v11, 31, v10
	s_delay_alu instid0(VALU_DEP_2) | instskip(NEXT) | instid1(VALU_DEP_2)
	v_pk_add_f32 v[12:13], v[0:1], v[0:1] op_sel:[0,1] op_sel_hi:[0,1] neg_lo:[0,1] neg_hi:[0,1]
	v_pk_mul_f32 v[2:3], v[2:3], v[8:9] op_sel_hi:[0,1]
	s_delay_alu instid0(VALU_DEP_3) | instskip(NEXT) | instid1(VALU_DEP_2)
	v_add_nc_u64_e32 v[0:1], s[2:3], v[10:11]
	v_pk_fma_f32 v[4:5], v[12:13], v[6:7], v[2:3]
	v_pk_fma_f32 v[2:3], v[12:13], v[6:7], v[2:3] neg_lo:[0,0,1] neg_hi:[0,0,1]
	s_delay_alu instid0(VALU_DEP_2)
	v_mov_b32_e32 v3, v5
	s_cbranch_scc1 .LBB150_296
; %bb.289:
	s_and_b32 s27, 0xffff, s21
	s_delay_alu instid0(SALU_CYCLE_1)
	s_cmp_gt_i32 s27, 25
	s_cbranch_scc0 .LBB150_297
; %bb.290:
	s_cmp_gt_i32 s27, 28
	s_cbranch_scc0 .LBB150_298
; %bb.291:
	;; [unrolled: 3-line block ×4, first 2 shown]
	s_mov_b32 s29, 0
	s_mov_b32 s0, -1
	s_cmp_eq_u32 s27, 46
	s_mov_b32 s28, 0
	s_cbranch_scc0 .LBB150_301
; %bb.294:
	v_dual_lshrrev_b32 v4, 16, v2 :: v_dual_lshrrev_b32 v6, 16, v5
	v_cmp_o_f32_e32 vcc_lo, v2, v2
	s_mov_b32 s28, -1
	s_mov_b32 s0, 0
	s_delay_alu instid0(VALU_DEP_2) | instskip(NEXT) | instid1(VALU_DEP_1)
	v_and_b32_e32 v4, 1, v4
	v_add3_u32 v4, v2, v4, 0x7fff
	s_delay_alu instid0(VALU_DEP_1) | instskip(NEXT) | instid1(VALU_DEP_1)
	v_dual_lshrrev_b32 v4, 16, v4 :: v_dual_bitop2_b32 v6, 1, v6 bitop3:0x40
	v_add3_u32 v6, v5, v6, 0x7fff
	s_delay_alu instid0(VALU_DEP_2) | instskip(NEXT) | instid1(VALU_DEP_2)
	v_cndmask_b32_e32 v4, 0x7fc0, v4, vcc_lo
	v_and_b32_e32 v6, 0xffff0000, v6
	v_cmp_o_f32_e32 vcc_lo, v5, v5
	s_delay_alu instid0(VALU_DEP_2) | instskip(NEXT) | instid1(VALU_DEP_1)
	v_cndmask_b32_e32 v6, 0x7fc00000, v6, vcc_lo
	v_or_b32_e32 v4, v6, v4
	global_store_b32 v[0:1], v4, off
	s_branch .LBB150_301
.LBB150_295:
	s_mov_b32 s0, 0
	s_mov_b32 s27, 0
                                        ; implicit-def: $vgpr18
	s_branch .LBB150_411
.LBB150_296:
	s_mov_b32 s27, -1
	s_mov_b32 s0, 0
	s_mov_b32 s28, 0
	s_branch .LBB150_370
.LBB150_297:
	s_mov_b32 s29, -1
	s_mov_b32 s0, 0
	s_mov_b32 s28, 0
	s_branch .LBB150_328
.LBB150_298:
	s_mov_b32 s29, -1
	s_mov_b32 s0, 0
	s_mov_b32 s28, 0
	s_branch .LBB150_311
.LBB150_299:
	s_mov_b32 s29, -1
	s_mov_b32 s0, 0
	s_mov_b32 s28, 0
	s_branch .LBB150_307
.LBB150_300:
	s_mov_b32 s29, -1
	s_mov_b32 s0, 0
	s_mov_b32 s28, 0
.LBB150_301:
	s_and_b32 vcc_lo, exec_lo, s29
	s_cbranch_vccz .LBB150_306
; %bb.302:
	s_cmp_eq_u32 s27, 44
	s_mov_b32 s0, -1
	s_cbranch_scc0 .LBB150_306
; %bb.303:
	v_bfe_u32 v6, v2, 23, 8
	s_wait_xcnt 0x0
	v_mov_b32_e32 v4, 0xff
	s_mov_b32 s28, exec_lo
	s_delay_alu instid0(VALU_DEP_2)
	v_cmpx_ne_u32_e32 0xff, v6
	s_cbranch_execz .LBB150_305
; %bb.304:
	v_and_b32_e32 v4, 0x400000, v2
	v_and_or_b32 v6, 0x3fffff, v2, v6
	s_delay_alu instid0(VALU_DEP_2) | instskip(NEXT) | instid1(VALU_DEP_2)
	v_cmp_ne_u32_e32 vcc_lo, 0, v4
	v_cmp_ne_u32_e64 s0, 0, v6
	v_lshrrev_b32_e32 v4, 23, v2
	s_and_b32 s0, vcc_lo, s0
	s_delay_alu instid0(SALU_CYCLE_1) | instskip(NEXT) | instid1(VALU_DEP_1)
	v_cndmask_b32_e64 v6, 0, 1, s0
	v_add_nc_u32_e32 v4, v4, v6
.LBB150_305:
	s_or_b32 exec_lo, exec_lo, s28
	s_mov_b32 s28, -1
	s_mov_b32 s0, 0
	global_store_b8 v[0:1], v4, off
.LBB150_306:
	s_mov_b32 s29, 0
.LBB150_307:
	s_delay_alu instid0(SALU_CYCLE_1)
	s_and_b32 vcc_lo, exec_lo, s29
	s_cbranch_vccz .LBB150_310
; %bb.308:
	s_cmp_eq_u32 s27, 29
	s_mov_b32 s0, -1
	s_cbranch_scc0 .LBB150_310
; %bb.309:
	s_wait_xcnt 0x0
	v_trunc_f32_e32 v4, v2
	s_mov_b32 s28, -1
	s_mov_b32 s0, 0
	s_mov_b32 s29, 0
	s_delay_alu instid0(VALU_DEP_1) | instskip(NEXT) | instid1(VALU_DEP_1)
	v_mul_f32_e32 v6, 0x2f800000, v4
	v_floor_f32_e32 v6, v6
	s_delay_alu instid0(VALU_DEP_1) | instskip(SKIP_1) | instid1(VALU_DEP_2)
	v_fmamk_f32 v4, v6, 0xcf800000, v4
	v_cvt_u32_f32_e32 v7, v6
	v_cvt_u32_f32_e32 v6, v4
	global_store_b64 v[0:1], v[6:7], off
	s_branch .LBB150_311
.LBB150_310:
	s_mov_b32 s29, 0
.LBB150_311:
	s_delay_alu instid0(SALU_CYCLE_1)
	s_and_b32 vcc_lo, exec_lo, s29
	s_cbranch_vccz .LBB150_327
; %bb.312:
	s_cmp_lt_i32 s27, 27
	s_mov_b32 s28, -1
	s_cbranch_scc1 .LBB150_318
; %bb.313:
	s_wait_xcnt 0x0
	v_cvt_u32_f32_e32 v4, v2
	s_cmp_gt_i32 s27, 27
	s_cbranch_scc0 .LBB150_315
; %bb.314:
	s_mov_b32 s28, 0
	global_store_b32 v[0:1], v4, off
.LBB150_315:
	s_and_not1_b32 vcc_lo, exec_lo, s28
	s_cbranch_vccnz .LBB150_317
; %bb.316:
	global_store_b16 v[0:1], v4, off
.LBB150_317:
	s_mov_b32 s28, 0
.LBB150_318:
	s_delay_alu instid0(SALU_CYCLE_1)
	s_and_not1_b32 vcc_lo, exec_lo, s28
	s_cbranch_vccnz .LBB150_326
; %bb.319:
	s_wait_xcnt 0x0
	v_and_b32_e32 v4, 0x7fffffff, v2
	v_mov_b32_e32 v6, 0x80
	s_mov_b32 s28, exec_lo
	s_delay_alu instid0(VALU_DEP_2)
	v_cmpx_gt_u32_e32 0x43800000, v4
	s_cbranch_execz .LBB150_325
; %bb.320:
	v_cmp_lt_u32_e32 vcc_lo, 0x3bffffff, v4
	s_mov_b32 s29, 0
                                        ; implicit-def: $vgpr4
	s_and_saveexec_b32 s30, vcc_lo
	s_delay_alu instid0(SALU_CYCLE_1)
	s_xor_b32 s30, exec_lo, s30
	s_cbranch_execz .LBB150_446
; %bb.321:
	v_bfe_u32 v4, v2, 20, 1
	s_mov_b32 s29, exec_lo
	s_delay_alu instid0(VALU_DEP_1) | instskip(NEXT) | instid1(VALU_DEP_1)
	v_add3_u32 v4, v2, v4, 0x487ffff
	v_lshrrev_b32_e32 v4, 20, v4
	s_and_not1_saveexec_b32 s30, s30
	s_cbranch_execnz .LBB150_447
.LBB150_322:
	s_or_b32 exec_lo, exec_lo, s30
	v_mov_b32_e32 v6, 0
	s_and_saveexec_b32 s30, s29
.LBB150_323:
	v_lshrrev_b32_e32 v6, 24, v2
	s_delay_alu instid0(VALU_DEP_1)
	v_and_or_b32 v6, 0x80, v6, v4
.LBB150_324:
	s_or_b32 exec_lo, exec_lo, s30
.LBB150_325:
	s_delay_alu instid0(SALU_CYCLE_1)
	s_or_b32 exec_lo, exec_lo, s28
	global_store_b8 v[0:1], v6, off
.LBB150_326:
	s_mov_b32 s28, -1
.LBB150_327:
	s_mov_b32 s29, 0
.LBB150_328:
	s_delay_alu instid0(SALU_CYCLE_1)
	s_and_b32 vcc_lo, exec_lo, s29
	s_cbranch_vccz .LBB150_369
; %bb.329:
	s_cmp_gt_i32 s27, 22
	s_mov_b32 s29, -1
	s_cbranch_scc0 .LBB150_361
; %bb.330:
	s_cmp_lt_i32 s27, 24
	s_mov_b32 s28, -1
	s_cbranch_scc1 .LBB150_350
; %bb.331:
	s_cmp_gt_i32 s27, 24
	s_cbranch_scc0 .LBB150_339
; %bb.332:
	s_wait_xcnt 0x0
	v_and_b32_e32 v4, 0x7fffffff, v2
	v_mov_b32_e32 v6, 0x80
	s_mov_b32 s28, exec_lo
	s_delay_alu instid0(VALU_DEP_2)
	v_cmpx_gt_u32_e32 0x47800000, v4
	s_cbranch_execz .LBB150_338
; %bb.333:
	v_cmp_lt_u32_e32 vcc_lo, 0x37ffffff, v4
	s_mov_b32 s29, 0
                                        ; implicit-def: $vgpr4
	s_and_saveexec_b32 s30, vcc_lo
	s_delay_alu instid0(SALU_CYCLE_1)
	s_xor_b32 s30, exec_lo, s30
	s_cbranch_execz .LBB150_582
; %bb.334:
	v_bfe_u32 v4, v2, 21, 1
	s_mov_b32 s29, exec_lo
	s_delay_alu instid0(VALU_DEP_1) | instskip(NEXT) | instid1(VALU_DEP_1)
	v_add3_u32 v4, v2, v4, 0x88fffff
	v_lshrrev_b32_e32 v4, 21, v4
	s_and_not1_saveexec_b32 s30, s30
	s_cbranch_execnz .LBB150_583
.LBB150_335:
	s_or_b32 exec_lo, exec_lo, s30
	v_mov_b32_e32 v6, 0
	s_and_saveexec_b32 s30, s29
.LBB150_336:
	v_lshrrev_b32_e32 v6, 24, v2
	s_delay_alu instid0(VALU_DEP_1)
	v_and_or_b32 v6, 0x80, v6, v4
.LBB150_337:
	s_or_b32 exec_lo, exec_lo, s30
.LBB150_338:
	s_delay_alu instid0(SALU_CYCLE_1)
	s_or_b32 exec_lo, exec_lo, s28
	s_mov_b32 s28, 0
	global_store_b8 v[0:1], v6, off
.LBB150_339:
	s_and_b32 vcc_lo, exec_lo, s28
	s_cbranch_vccz .LBB150_349
; %bb.340:
	s_wait_xcnt 0x0
	v_and_b32_e32 v6, 0x7fffffff, v2
	s_mov_b32 s28, exec_lo
                                        ; implicit-def: $vgpr4
	s_delay_alu instid0(VALU_DEP_1)
	v_cmpx_gt_u32_e32 0x43f00000, v6
	s_xor_b32 s28, exec_lo, s28
	s_cbranch_execz .LBB150_346
; %bb.341:
	s_mov_b32 s29, exec_lo
                                        ; implicit-def: $vgpr4
	v_cmpx_lt_u32_e32 0x3c7fffff, v6
	s_xor_b32 s29, exec_lo, s29
; %bb.342:
	v_bfe_u32 v4, v2, 20, 1
	s_delay_alu instid0(VALU_DEP_1) | instskip(NEXT) | instid1(VALU_DEP_1)
	v_add3_u32 v4, v2, v4, 0x407ffff
	v_and_b32_e32 v6, 0xff00000, v4
	v_lshrrev_b32_e32 v4, 20, v4
	s_delay_alu instid0(VALU_DEP_2) | instskip(NEXT) | instid1(VALU_DEP_2)
	v_cmp_ne_u32_e32 vcc_lo, 0x7f00000, v6
	v_cndmask_b32_e32 v4, 0x7e, v4, vcc_lo
; %bb.343:
	s_and_not1_saveexec_b32 s29, s29
; %bb.344:
	v_add_f32_e64 v4, 0x46800000, |v2|
; %bb.345:
	s_or_b32 exec_lo, exec_lo, s29
                                        ; implicit-def: $vgpr6
.LBB150_346:
	s_and_not1_saveexec_b32 s28, s28
; %bb.347:
	v_mov_b32_e32 v4, 0x7f
	v_cmp_lt_u32_e32 vcc_lo, 0x7f800000, v6
	s_delay_alu instid0(VALU_DEP_2)
	v_cndmask_b32_e32 v4, 0x7e, v4, vcc_lo
; %bb.348:
	s_or_b32 exec_lo, exec_lo, s28
	v_lshrrev_b32_e32 v6, 24, v2
	s_delay_alu instid0(VALU_DEP_1)
	v_and_or_b32 v4, 0x80, v6, v4
	global_store_b8 v[0:1], v4, off
.LBB150_349:
	s_mov_b32 s28, 0
.LBB150_350:
	s_delay_alu instid0(SALU_CYCLE_1)
	s_and_not1_b32 vcc_lo, exec_lo, s28
	s_cbranch_vccnz .LBB150_360
; %bb.351:
	s_wait_xcnt 0x0
	v_and_b32_e32 v6, 0x7fffffff, v2
	s_mov_b32 s28, exec_lo
                                        ; implicit-def: $vgpr4
	s_delay_alu instid0(VALU_DEP_1)
	v_cmpx_gt_u32_e32 0x47800000, v6
	s_xor_b32 s28, exec_lo, s28
	s_cbranch_execz .LBB150_357
; %bb.352:
	s_mov_b32 s29, exec_lo
                                        ; implicit-def: $vgpr4
	v_cmpx_lt_u32_e32 0x387fffff, v6
	s_xor_b32 s29, exec_lo, s29
; %bb.353:
	v_bfe_u32 v4, v2, 21, 1
	s_delay_alu instid0(VALU_DEP_1) | instskip(NEXT) | instid1(VALU_DEP_1)
	v_add3_u32 v4, v2, v4, 0x80fffff
	v_lshrrev_b32_e32 v4, 21, v4
; %bb.354:
	s_and_not1_saveexec_b32 s29, s29
; %bb.355:
	v_add_f32_e64 v4, 0x43000000, |v2|
; %bb.356:
	s_or_b32 exec_lo, exec_lo, s29
                                        ; implicit-def: $vgpr6
.LBB150_357:
	s_and_not1_saveexec_b32 s28, s28
; %bb.358:
	v_mov_b32_e32 v4, 0x7f
	v_cmp_lt_u32_e32 vcc_lo, 0x7f800000, v6
	s_delay_alu instid0(VALU_DEP_2)
	v_cndmask_b32_e32 v4, 0x7c, v4, vcc_lo
; %bb.359:
	s_or_b32 exec_lo, exec_lo, s28
	v_lshrrev_b32_e32 v6, 24, v2
	s_delay_alu instid0(VALU_DEP_1)
	v_and_or_b32 v4, 0x80, v6, v4
	global_store_b8 v[0:1], v4, off
.LBB150_360:
	s_mov_b32 s29, 0
	s_mov_b32 s28, -1
.LBB150_361:
	s_and_not1_b32 vcc_lo, exec_lo, s29
	s_cbranch_vccnz .LBB150_369
; %bb.362:
	s_cmp_gt_i32 s27, 14
	s_mov_b32 s29, -1
	s_cbranch_scc0 .LBB150_366
; %bb.363:
	s_cmp_eq_u32 s27, 15
	s_mov_b32 s0, -1
	s_cbranch_scc0 .LBB150_365
; %bb.364:
	s_wait_xcnt 0x0
	v_bfe_u32 v4, v2, 16, 1
	v_cmp_o_f32_e32 vcc_lo, v2, v2
	s_mov_b32 s28, -1
	s_mov_b32 s0, 0
	s_delay_alu instid0(VALU_DEP_2) | instskip(NEXT) | instid1(VALU_DEP_1)
	v_add3_u32 v4, v2, v4, 0x7fff
	v_lshrrev_b32_e32 v4, 16, v4
	s_delay_alu instid0(VALU_DEP_1)
	v_cndmask_b32_e32 v4, 0x7fc0, v4, vcc_lo
	global_store_b16 v[0:1], v4, off
.LBB150_365:
	s_mov_b32 s29, 0
.LBB150_366:
	s_delay_alu instid0(SALU_CYCLE_1)
	s_and_b32 vcc_lo, exec_lo, s29
	s_cbranch_vccz .LBB150_369
; %bb.367:
	s_cmp_eq_u32 s27, 11
	s_mov_b32 s0, -1
	s_cbranch_scc0 .LBB150_369
; %bb.368:
	v_cmp_neq_f32_e32 vcc_lo, 0, v2
	v_cmp_neq_f32_e64 s0, 0, v5
	s_mov_b32 s28, -1
	s_or_b32 s0, vcc_lo, s0
	s_wait_xcnt 0x0
	v_cndmask_b32_e64 v4, 0, 1, s0
	s_mov_b32 s0, 0
	global_store_b8 v[0:1], v4, off
.LBB150_369:
	s_mov_b32 s27, 0
.LBB150_370:
	s_delay_alu instid0(SALU_CYCLE_1)
	s_and_b32 vcc_lo, exec_lo, s27
	s_cbranch_vccz .LBB150_409
; %bb.371:
	s_and_b32 s21, 0xffff, s21
	s_mov_b32 s27, -1
	s_cmp_lt_i32 s21, 5
	s_cbranch_scc1 .LBB150_392
; %bb.372:
	s_cmp_lt_i32 s21, 8
	s_cbranch_scc1 .LBB150_382
; %bb.373:
	;; [unrolled: 3-line block ×3, first 2 shown]
	s_cmp_gt_i32 s21, 9
	s_cbranch_scc0 .LBB150_376
; %bb.375:
	s_wait_xcnt 0x0
	v_cvt_f64_f32_e32 v[6:7], v2
	v_cvt_f64_f32_e32 v[8:9], v5
	s_mov_b32 s27, 0
	global_store_b128 v[0:1], v[6:9], off
.LBB150_376:
	s_and_not1_b32 vcc_lo, exec_lo, s27
	s_cbranch_vccnz .LBB150_378
; %bb.377:
	global_store_b64 v[0:1], v[2:3], off
.LBB150_378:
	s_mov_b32 s27, 0
.LBB150_379:
	s_delay_alu instid0(SALU_CYCLE_1)
	s_and_not1_b32 vcc_lo, exec_lo, s27
	s_cbranch_vccnz .LBB150_381
; %bb.380:
	s_wait_xcnt 0x0
	v_cvt_f16_f32_e32 v3, v5
	v_cvt_f16_f32_e32 v4, v2
	s_delay_alu instid0(VALU_DEP_2) | instskip(NEXT) | instid1(VALU_DEP_2)
	v_lshlrev_b32_e32 v3, 16, v3
	v_and_b32_e32 v4, 0xffff, v4
	s_delay_alu instid0(VALU_DEP_1)
	v_or_b32_e32 v3, v3, v4
	global_store_b32 v[0:1], v3, off
.LBB150_381:
	s_mov_b32 s27, 0
.LBB150_382:
	s_delay_alu instid0(SALU_CYCLE_1)
	s_and_not1_b32 vcc_lo, exec_lo, s27
	s_cbranch_vccnz .LBB150_391
; %bb.383:
	s_cmp_lt_i32 s21, 6
	s_mov_b32 s27, -1
	s_cbranch_scc1 .LBB150_389
; %bb.384:
	s_cmp_gt_i32 s21, 6
	s_cbranch_scc0 .LBB150_386
; %bb.385:
	s_wait_xcnt 0x0
	v_cvt_f64_f32_e32 v[4:5], v2
	s_mov_b32 s27, 0
	global_store_b64 v[0:1], v[4:5], off
.LBB150_386:
	s_and_not1_b32 vcc_lo, exec_lo, s27
	s_cbranch_vccnz .LBB150_388
; %bb.387:
	global_store_b32 v[0:1], v2, off
.LBB150_388:
	s_mov_b32 s27, 0
.LBB150_389:
	s_delay_alu instid0(SALU_CYCLE_1)
	s_and_not1_b32 vcc_lo, exec_lo, s27
	s_cbranch_vccnz .LBB150_391
; %bb.390:
	s_wait_xcnt 0x0
	v_cvt_f16_f32_e32 v3, v2
	global_store_b16 v[0:1], v3, off
.LBB150_391:
	s_mov_b32 s27, 0
.LBB150_392:
	s_delay_alu instid0(SALU_CYCLE_1)
	s_and_not1_b32 vcc_lo, exec_lo, s27
	s_cbranch_vccnz .LBB150_408
; %bb.393:
	s_cmp_lt_i32 s21, 2
	s_mov_b32 s27, -1
	s_cbranch_scc1 .LBB150_403
; %bb.394:
	s_cmp_lt_i32 s21, 3
	s_cbranch_scc1 .LBB150_400
; %bb.395:
	s_cmp_gt_i32 s21, 3
	s_cbranch_scc0 .LBB150_397
; %bb.396:
	s_wait_xcnt 0x0
	v_trunc_f32_e32 v3, v2
	s_mov_b32 s27, 0
	s_delay_alu instid0(VALU_DEP_1) | instskip(NEXT) | instid1(VALU_DEP_1)
	v_mul_f32_e64 v4, 0x2f800000, |v3|
	v_floor_f32_e32 v5, v4
	v_ashrrev_i32_e32 v4, 31, v3
	s_delay_alu instid0(VALU_DEP_2) | instskip(SKIP_1) | instid1(VALU_DEP_3)
	v_fma_f32 v6, 0xcf800000, v5, |v3|
	v_cvt_u32_f32_e32 v3, v5
	v_mov_b32_e32 v5, v4
	s_delay_alu instid0(VALU_DEP_3) | instskip(NEXT) | instid1(VALU_DEP_3)
	v_cvt_u32_f32_e32 v6, v6
	v_xor_b32_e32 v7, v3, v4
	s_delay_alu instid0(VALU_DEP_2) | instskip(NEXT) | instid1(VALU_DEP_1)
	v_xor_b32_e32 v6, v6, v4
	v_sub_nc_u64_e32 v[4:5], v[6:7], v[4:5]
	global_store_b64 v[0:1], v[4:5], off
.LBB150_397:
	s_and_not1_b32 vcc_lo, exec_lo, s27
	s_cbranch_vccnz .LBB150_399
; %bb.398:
	s_wait_xcnt 0x0
	v_cvt_i32_f32_e32 v3, v2
	global_store_b32 v[0:1], v3, off
.LBB150_399:
	s_mov_b32 s27, 0
.LBB150_400:
	s_delay_alu instid0(SALU_CYCLE_1)
	s_and_not1_b32 vcc_lo, exec_lo, s27
	s_cbranch_vccnz .LBB150_402
; %bb.401:
	s_wait_xcnt 0x0
	v_cvt_i32_f32_e32 v3, v2
	global_store_b16 v[0:1], v3, off
.LBB150_402:
	s_mov_b32 s27, 0
.LBB150_403:
	s_delay_alu instid0(SALU_CYCLE_1)
	s_and_not1_b32 vcc_lo, exec_lo, s27
	s_cbranch_vccnz .LBB150_408
; %bb.404:
	s_cmp_gt_i32 s21, 0
	s_mov_b32 s21, -1
	s_cbranch_scc0 .LBB150_406
; %bb.405:
	s_wait_xcnt 0x0
	v_cvt_i32_f32_e32 v3, v2
	s_mov_b32 s21, 0
	global_store_b8 v[0:1], v3, off
.LBB150_406:
	s_and_not1_b32 vcc_lo, exec_lo, s21
	s_cbranch_vccnz .LBB150_408
; %bb.407:
	s_wait_xcnt 0x0
	v_trunc_f32_e32 v2, v2
	s_delay_alu instid0(VALU_DEP_1) | instskip(NEXT) | instid1(VALU_DEP_1)
	v_mul_f32_e64 v3, 0x2f800000, |v2|
	v_floor_f32_e32 v3, v3
	s_delay_alu instid0(VALU_DEP_1) | instskip(SKIP_1) | instid1(VALU_DEP_2)
	v_fma_f32 v3, 0xcf800000, v3, |v2|
	v_ashrrev_i32_e32 v2, 31, v2
	v_cvt_u32_f32_e32 v3, v3
	s_delay_alu instid0(VALU_DEP_1) | instskip(NEXT) | instid1(VALU_DEP_1)
	v_xor_b32_e32 v3, v3, v2
	v_sub_nc_u32_e32 v2, v3, v2
	global_store_b8 v[0:1], v2, off
.LBB150_408:
	s_mov_b32 s28, -1
.LBB150_409:
	s_delay_alu instid0(SALU_CYCLE_1)
	s_and_not1_b32 vcc_lo, exec_lo, s28
	s_cbranch_vccnz .LBB150_27
; %bb.410:
	v_add_nc_u32_e32 v18, 0x80, v18
	s_mov_b32 s27, -1
.LBB150_411:
	s_and_b32 s21, s0, exec_lo
	s_and_b32 s22, s22, exec_lo
	;; [unrolled: 1-line block ×4, first 2 shown]
	s_or_not1_b32 s0, s27, exec_lo
.LBB150_412:
	s_wait_xcnt 0x0
	s_or_b32 exec_lo, exec_lo, s25
	s_and_saveexec_b32 s25, s0
	s_cbranch_execz .LBB150_1275
; %bb.413:
	s_mov_b32 s31, -1
	s_mov_b32 s26, s24
	s_mov_b32 s29, s23
	;; [unrolled: 1-line block ×4, first 2 shown]
	s_mov_b32 s30, exec_lo
	v_cmpx_gt_i32_e64 s20, v18
	s_cbranch_execz .LBB150_830
; %bb.414:
	s_and_b32 s26, s18, 0xff
	s_delay_alu instid0(SALU_CYCLE_1)
	s_cmp_lt_i32 s26, 23
	s_cbranch_scc1 .LBB150_418
; %bb.415:
	s_and_b32 s27, 0xffff, s26
	s_delay_alu instid0(SALU_CYCLE_1)
	s_cmp_gt_i32 s27, 43
	s_cbranch_scc0 .LBB150_419
; %bb.416:
	s_cmp_gt_i32 s27, 45
	s_cbranch_scc0 .LBB150_420
; %bb.417:
	s_cmp_eq_u32 s27, 46
	s_mov_b32 s28, 0
	s_cselect_b32 s0, -1, 0
	s_or_b32 s29, s24, exec_lo
	s_branch .LBB150_421
.LBB150_418:
	s_mov_b32 s0, 0
	s_mov_b32 s29, s24
	s_cbranch_execnz .LBB150_427
	s_branch .LBB150_431
.LBB150_419:
	s_mov_b32 s28, -1
	s_mov_b32 s0, 0
	s_mov_b32 s29, s24
	s_branch .LBB150_424
.LBB150_420:
	s_mov_b32 s28, -1
	s_mov_b32 s0, 0
	s_mov_b32 s29, s24
.LBB150_421:
	s_and_not1_b32 vcc_lo, exec_lo, s28
	s_cbranch_vccnz .LBB150_423
; %bb.422:
	s_cmp_eq_u32 s27, 44
	s_cselect_b32 s0, -1, 0
	s_cmp_lg_u32 s27, 44
	s_cselect_b32 s28, -1, 0
	s_and_not1_b32 s29, s29, exec_lo
	s_and_b32 s28, s28, exec_lo
	s_delay_alu instid0(SALU_CYCLE_1)
	s_or_b32 s29, s29, s28
.LBB150_423:
	s_mov_b32 s28, 0
.LBB150_424:
	s_delay_alu instid0(SALU_CYCLE_1)
	s_and_b32 vcc_lo, exec_lo, s28
	s_cbranch_vccz .LBB150_426
; %bb.425:
	s_cmp_lt_i32 s27, 30
	s_cselect_b32 s0, -1, 0
	s_cmp_gt_i32 s27, 29
	s_cselect_b32 s27, -1, 0
	s_and_not1_b32 s28, s29, exec_lo
	s_and_b32 s27, s27, exec_lo
	s_delay_alu instid0(SALU_CYCLE_1)
	s_or_b32 s29, s28, s27
.LBB150_426:
	s_branch .LBB150_431
.LBB150_427:
	s_and_b32 s26, 0xffff, s26
	s_mov_b32 s27, -1
	s_cmp_gt_i32 s26, 14
	s_cbranch_scc0 .LBB150_429
; %bb.428:
	s_cmp_eq_u32 s26, 15
	s_cselect_b32 s0, -1, 0
	s_cmp_lg_u32 s26, 15
	s_cselect_b32 s27, -1, 0
	s_and_not1_b32 s28, s29, exec_lo
	s_and_b32 s29, s27, exec_lo
	s_mov_b32 s27, 0
	s_or_b32 s29, s28, s29
.LBB150_429:
	s_and_not1_b32 vcc_lo, exec_lo, s27
	s_cbranch_vccnz .LBB150_431
; %bb.430:
	s_cmp_lt_i32 s26, 12
	s_cselect_b32 s0, -1, 0
	s_cmp_gt_i32 s26, 11
	s_cselect_b32 s26, -1, 0
	s_and_not1_b32 s27, s29, exec_lo
	s_and_b32 s26, s26, exec_lo
	s_delay_alu instid0(SALU_CYCLE_1)
	s_or_b32 s29, s27, s26
.LBB150_431:
	s_and_b32 vcc_lo, exec_lo, s0
	s_cbranch_vccz .LBB150_439
; %bb.432:
	s_wait_loadcnt 0x0
	v_mul_lo_u32 v0, v18, s4
	s_and_b32 s0, s16, 0xff
	s_delay_alu instid0(SALU_CYCLE_1) | instskip(NEXT) | instid1(VALU_DEP_1)
	s_cmp_lt_i32 s0, 11
	v_ashrrev_i32_e32 v1, 31, v0
	s_delay_alu instid0(VALU_DEP_1)
	v_add_nc_u64_e32 v[2:3], s[8:9], v[0:1]
	s_cbranch_scc1 .LBB150_441
; %bb.433:
	s_and_b32 s27, 0xffff, s0
	s_delay_alu instid0(SALU_CYCLE_1)
	s_cmp_gt_i32 s27, 25
	s_cbranch_scc0 .LBB150_442
; %bb.434:
	s_cmp_gt_i32 s27, 28
	s_cbranch_scc0 .LBB150_443
; %bb.435:
	;; [unrolled: 3-line block ×4, first 2 shown]
	s_cmp_eq_u32 s27, 46
	s_mov_b32 s29, 0
	s_cbranch_scc0 .LBB150_448
; %bb.438:
	global_load_b32 v0, v[2:3], off
	s_mov_b32 s28, -1
	s_mov_b32 s26, 0
	s_wait_loadcnt 0x0
	v_and_b32_e32 v1, 0xffff0000, v0
	v_lshlrev_b32_e32 v0, 16, v0
	s_branch .LBB150_450
.LBB150_439:
	s_mov_b32 s31, 0
	s_mov_b32 s0, s21
	;; [unrolled: 1-line block ×4, first 2 shown]
.LBB150_440:
                                        ; implicit-def: $vgpr18
	s_branch .LBB150_829
.LBB150_441:
	s_mov_b32 s27, -1
	s_mov_b32 s28, 0
	s_mov_b32 s26, s23
                                        ; implicit-def: $vgpr1
	s_branch .LBB150_518
.LBB150_442:
	s_mov_b32 s29, -1
	s_mov_b32 s28, 0
	s_mov_b32 s26, s23
                                        ; implicit-def: $vgpr1
	s_branch .LBB150_481
.LBB150_443:
	s_mov_b32 s29, -1
	s_mov_b32 s28, 0
	s_mov_b32 s26, s23
                                        ; implicit-def: $vgpr1
	s_branch .LBB150_462
.LBB150_444:
	s_mov_b32 s29, -1
	s_mov_b32 s28, 0
	s_mov_b32 s26, s23
                                        ; implicit-def: $vgpr1
	s_branch .LBB150_456
.LBB150_445:
	s_mov_b32 s29, -1
	s_mov_b32 s28, 0
	s_mov_b32 s26, s23
	s_branch .LBB150_449
.LBB150_446:
	s_and_not1_saveexec_b32 s30, s30
	s_cbranch_execz .LBB150_322
.LBB150_447:
	v_add_f32_e64 v4, 0x46000000, |v2|
	s_and_not1_b32 s29, s29, exec_lo
	s_delay_alu instid0(VALU_DEP_1) | instskip(NEXT) | instid1(VALU_DEP_1)
	v_and_b32_e32 v4, 0xff, v4
	v_cmp_ne_u32_e32 vcc_lo, 0, v4
	s_and_b32 s31, vcc_lo, exec_lo
	s_delay_alu instid0(SALU_CYCLE_1)
	s_or_b32 s29, s29, s31
	s_or_b32 exec_lo, exec_lo, s30
	v_mov_b32_e32 v6, 0
	s_and_saveexec_b32 s30, s29
	s_cbranch_execnz .LBB150_323
	s_branch .LBB150_324
.LBB150_448:
	s_mov_b32 s26, -1
	s_mov_b32 s28, 0
.LBB150_449:
                                        ; implicit-def: $vgpr1
.LBB150_450:
	s_and_b32 vcc_lo, exec_lo, s29
	s_cbranch_vccz .LBB150_455
; %bb.451:
	s_cmp_eq_u32 s27, 44
	s_cbranch_scc0 .LBB150_453
; %bb.452:
	global_load_u8 v0, v[2:3], off
	s_mov_b32 s26, 0
	s_mov_b32 s28, -1
	s_wait_loadcnt 0x0
	v_lshlrev_b32_e32 v1, 23, v0
	v_cmp_ne_u32_e32 vcc_lo, 0xff, v0
	s_delay_alu instid0(VALU_DEP_2) | instskip(SKIP_1) | instid1(VALU_DEP_2)
	v_cndmask_b32_e32 v1, 0x7f800001, v1, vcc_lo
	v_cmp_ne_u32_e32 vcc_lo, 0, v0
	v_cndmask_b32_e32 v0, 0x400000, v1, vcc_lo
	s_branch .LBB150_454
.LBB150_453:
	s_mov_b32 s26, -1
                                        ; implicit-def: $vgpr0
.LBB150_454:
	v_mov_b32_e32 v1, 0
.LBB150_455:
	s_mov_b32 s29, 0
.LBB150_456:
	s_delay_alu instid0(SALU_CYCLE_1)
	s_and_b32 vcc_lo, exec_lo, s29
	s_cbranch_vccz .LBB150_461
; %bb.457:
	s_cmp_eq_u32 s27, 29
	s_cbranch_scc0 .LBB150_459
; %bb.458:
	global_load_b64 v[0:1], v[2:3], off
	s_mov_b32 s28, -1
	s_mov_b32 s26, 0
	s_wait_loadcnt 0x0
	v_clz_i32_u32_e32 v4, v1
	s_delay_alu instid0(VALU_DEP_1) | instskip(NEXT) | instid1(VALU_DEP_1)
	v_min_u32_e32 v4, 32, v4
	v_lshlrev_b64_e32 v[0:1], v4, v[0:1]
	s_delay_alu instid0(VALU_DEP_1) | instskip(NEXT) | instid1(VALU_DEP_1)
	v_min_u32_e32 v0, 1, v0
	v_or_b32_e32 v0, v1, v0
	v_sub_nc_u32_e32 v1, 32, v4
	s_delay_alu instid0(VALU_DEP_2) | instskip(NEXT) | instid1(VALU_DEP_1)
	v_cvt_f32_u32_e32 v0, v0
	v_ldexp_f32 v0, v0, v1
	s_branch .LBB150_460
.LBB150_459:
	s_mov_b32 s26, -1
                                        ; implicit-def: $vgpr0
.LBB150_460:
	v_mov_b32_e32 v1, 0
.LBB150_461:
	s_mov_b32 s29, 0
.LBB150_462:
	s_delay_alu instid0(SALU_CYCLE_1)
	s_and_b32 vcc_lo, exec_lo, s29
	s_cbranch_vccz .LBB150_480
; %bb.463:
	s_cmp_lt_i32 s27, 27
	s_cbranch_scc1 .LBB150_466
; %bb.464:
	s_cmp_gt_i32 s27, 27
	s_cbranch_scc0 .LBB150_467
; %bb.465:
	global_load_b32 v0, v[2:3], off
	s_mov_b32 s28, 0
	s_wait_loadcnt 0x0
	v_cvt_f32_u32_e32 v0, v0
	s_branch .LBB150_468
.LBB150_466:
	s_mov_b32 s28, -1
                                        ; implicit-def: $vgpr0
	s_branch .LBB150_471
.LBB150_467:
	s_mov_b32 s28, -1
                                        ; implicit-def: $vgpr0
.LBB150_468:
	s_delay_alu instid0(SALU_CYCLE_1)
	s_and_not1_b32 vcc_lo, exec_lo, s28
	s_cbranch_vccnz .LBB150_470
; %bb.469:
	global_load_u16 v0, v[2:3], off
	s_wait_loadcnt 0x0
	v_cvt_f32_u32_e32 v0, v0
.LBB150_470:
	s_mov_b32 s28, 0
.LBB150_471:
	s_delay_alu instid0(SALU_CYCLE_1)
	s_and_not1_b32 vcc_lo, exec_lo, s28
	s_cbranch_vccnz .LBB150_479
; %bb.472:
	global_load_u8 v1, v[2:3], off
	s_mov_b32 s28, 0
	s_mov_b32 s29, exec_lo
	s_wait_loadcnt 0x0
	v_cmpx_lt_i16_e32 0x7f, v1
	s_xor_b32 s29, exec_lo, s29
	s_cbranch_execz .LBB150_493
; %bb.473:
	s_mov_b32 s28, -1
	s_mov_b32 s31, exec_lo
	v_cmpx_eq_u16_e32 0x80, v1
; %bb.474:
	s_xor_b32 s28, exec_lo, -1
; %bb.475:
	s_or_b32 exec_lo, exec_lo, s31
	s_delay_alu instid0(SALU_CYCLE_1)
	s_and_b32 s28, s28, exec_lo
	s_or_saveexec_b32 s29, s29
	v_mov_b32_e32 v0, 0x7f800001
	s_xor_b32 exec_lo, exec_lo, s29
	s_cbranch_execnz .LBB150_494
.LBB150_476:
	s_or_b32 exec_lo, exec_lo, s29
	s_and_saveexec_b32 s29, s28
	s_cbranch_execz .LBB150_478
.LBB150_477:
	v_and_b32_e32 v0, 0xffff, v1
	s_delay_alu instid0(VALU_DEP_1) | instskip(SKIP_1) | instid1(VALU_DEP_2)
	v_and_b32_e32 v4, 7, v0
	v_bfe_u32 v7, v0, 3, 4
	v_clz_i32_u32_e32 v5, v4
	s_delay_alu instid0(VALU_DEP_2) | instskip(NEXT) | instid1(VALU_DEP_2)
	v_cmp_eq_u32_e32 vcc_lo, 0, v7
	v_min_u32_e32 v5, 32, v5
	s_delay_alu instid0(VALU_DEP_1) | instskip(NEXT) | instid1(VALU_DEP_1)
	v_subrev_nc_u32_e32 v6, 28, v5
	v_dual_lshlrev_b32 v0, v6, v0 :: v_dual_sub_nc_u32 v5, 29, v5
	s_delay_alu instid0(VALU_DEP_1) | instskip(NEXT) | instid1(VALU_DEP_1)
	v_dual_lshlrev_b32 v1, 24, v1 :: v_dual_bitop2_b32 v0, 7, v0 bitop3:0x40
	v_dual_cndmask_b32 v0, v4, v0 :: v_dual_cndmask_b32 v5, v7, v5
	s_delay_alu instid0(VALU_DEP_2) | instskip(NEXT) | instid1(VALU_DEP_2)
	v_and_b32_e32 v1, 0x80000000, v1
	v_lshlrev_b32_e32 v0, 20, v0
	s_delay_alu instid0(VALU_DEP_3) | instskip(NEXT) | instid1(VALU_DEP_1)
	v_lshl_add_u32 v4, v5, 23, 0x3b800000
	v_or3_b32 v0, v1, v4, v0
.LBB150_478:
	s_or_b32 exec_lo, exec_lo, s29
.LBB150_479:
	v_mov_b32_e32 v1, 0
	s_mov_b32 s28, -1
.LBB150_480:
	s_mov_b32 s29, 0
.LBB150_481:
	s_delay_alu instid0(SALU_CYCLE_1)
	s_and_b32 vcc_lo, exec_lo, s29
	s_cbranch_vccz .LBB150_517
; %bb.482:
	s_cmp_gt_i32 s27, 22
	s_cbranch_scc0 .LBB150_492
; %bb.483:
	s_cmp_lt_i32 s27, 24
	s_cbranch_scc1 .LBB150_495
; %bb.484:
	s_cmp_gt_i32 s27, 24
	s_cbranch_scc0 .LBB150_496
; %bb.485:
	global_load_u8 v1, v[2:3], off
	s_mov_b32 s28, 0
	s_mov_b32 s29, exec_lo
	s_wait_loadcnt 0x0
	v_cmpx_lt_i16_e32 0x7f, v1
	s_xor_b32 s29, exec_lo, s29
	s_cbranch_execz .LBB150_508
; %bb.486:
	s_mov_b32 s28, -1
	s_mov_b32 s31, exec_lo
	v_cmpx_eq_u16_e32 0x80, v1
; %bb.487:
	s_xor_b32 s28, exec_lo, -1
; %bb.488:
	s_or_b32 exec_lo, exec_lo, s31
	s_delay_alu instid0(SALU_CYCLE_1)
	s_and_b32 s28, s28, exec_lo
	s_or_saveexec_b32 s29, s29
	v_mov_b32_e32 v0, 0x7f800001
	s_xor_b32 exec_lo, exec_lo, s29
	s_cbranch_execnz .LBB150_509
.LBB150_489:
	s_or_b32 exec_lo, exec_lo, s29
	s_and_saveexec_b32 s29, s28
	s_cbranch_execz .LBB150_491
.LBB150_490:
	v_and_b32_e32 v0, 0xffff, v1
	s_delay_alu instid0(VALU_DEP_1) | instskip(SKIP_1) | instid1(VALU_DEP_2)
	v_and_b32_e32 v4, 3, v0
	v_bfe_u32 v7, v0, 2, 5
	v_clz_i32_u32_e32 v5, v4
	s_delay_alu instid0(VALU_DEP_2) | instskip(NEXT) | instid1(VALU_DEP_2)
	v_cmp_eq_u32_e32 vcc_lo, 0, v7
	v_min_u32_e32 v5, 32, v5
	s_delay_alu instid0(VALU_DEP_1) | instskip(NEXT) | instid1(VALU_DEP_1)
	v_subrev_nc_u32_e32 v6, 29, v5
	v_dual_lshlrev_b32 v0, v6, v0 :: v_dual_sub_nc_u32 v5, 30, v5
	s_delay_alu instid0(VALU_DEP_1) | instskip(NEXT) | instid1(VALU_DEP_1)
	v_dual_lshlrev_b32 v1, 24, v1 :: v_dual_bitop2_b32 v0, 3, v0 bitop3:0x40
	v_dual_cndmask_b32 v0, v4, v0 :: v_dual_cndmask_b32 v5, v7, v5
	s_delay_alu instid0(VALU_DEP_2) | instskip(NEXT) | instid1(VALU_DEP_2)
	v_and_b32_e32 v1, 0x80000000, v1
	v_lshlrev_b32_e32 v0, 21, v0
	s_delay_alu instid0(VALU_DEP_3) | instskip(NEXT) | instid1(VALU_DEP_1)
	v_lshl_add_u32 v4, v5, 23, 0x37800000
	v_or3_b32 v0, v1, v4, v0
.LBB150_491:
	s_or_b32 exec_lo, exec_lo, s29
	s_mov_b32 s28, 0
	s_branch .LBB150_497
.LBB150_492:
	s_mov_b32 s29, -1
                                        ; implicit-def: $vgpr0
	s_branch .LBB150_503
.LBB150_493:
	s_or_saveexec_b32 s29, s29
	v_mov_b32_e32 v0, 0x7f800001
	s_xor_b32 exec_lo, exec_lo, s29
	s_cbranch_execz .LBB150_476
.LBB150_494:
	v_cmp_ne_u16_e32 vcc_lo, 0, v1
	v_mov_b32_e32 v0, 0
	s_and_not1_b32 s28, s28, exec_lo
	s_and_b32 s31, vcc_lo, exec_lo
	s_delay_alu instid0(SALU_CYCLE_1)
	s_or_b32 s28, s28, s31
	s_or_b32 exec_lo, exec_lo, s29
	s_and_saveexec_b32 s29, s28
	s_cbranch_execnz .LBB150_477
	s_branch .LBB150_478
.LBB150_495:
	s_mov_b32 s28, -1
                                        ; implicit-def: $vgpr0
	s_branch .LBB150_500
.LBB150_496:
	s_mov_b32 s28, -1
                                        ; implicit-def: $vgpr0
.LBB150_497:
	s_delay_alu instid0(SALU_CYCLE_1)
	s_and_b32 vcc_lo, exec_lo, s28
	s_cbranch_vccz .LBB150_499
; %bb.498:
	global_load_u8 v0, v[2:3], off
	s_wait_loadcnt 0x0
	v_lshlrev_b32_e32 v0, 24, v0
	s_delay_alu instid0(VALU_DEP_1) | instskip(NEXT) | instid1(VALU_DEP_1)
	v_and_b32_e32 v1, 0x7f000000, v0
	v_clz_i32_u32_e32 v4, v1
	v_cmp_ne_u32_e32 vcc_lo, 0, v1
	v_add_nc_u32_e32 v6, 0x1000000, v1
	s_delay_alu instid0(VALU_DEP_3) | instskip(NEXT) | instid1(VALU_DEP_1)
	v_min_u32_e32 v4, 32, v4
	v_sub_nc_u32_e64 v4, v4, 4 clamp
	s_delay_alu instid0(VALU_DEP_1) | instskip(NEXT) | instid1(VALU_DEP_1)
	v_dual_lshlrev_b32 v5, v4, v1 :: v_dual_lshlrev_b32 v4, 23, v4
	v_lshrrev_b32_e32 v5, 4, v5
	s_delay_alu instid0(VALU_DEP_1) | instskip(NEXT) | instid1(VALU_DEP_1)
	v_dual_sub_nc_u32 v4, v5, v4 :: v_dual_ashrrev_i32 v5, 8, v6
	v_add_nc_u32_e32 v4, 0x3c000000, v4
	s_delay_alu instid0(VALU_DEP_1) | instskip(NEXT) | instid1(VALU_DEP_1)
	v_and_or_b32 v4, 0x7f800000, v5, v4
	v_cndmask_b32_e32 v1, 0, v4, vcc_lo
	s_delay_alu instid0(VALU_DEP_1)
	v_and_or_b32 v0, 0x80000000, v0, v1
.LBB150_499:
	s_mov_b32 s28, 0
.LBB150_500:
	s_delay_alu instid0(SALU_CYCLE_1)
	s_and_not1_b32 vcc_lo, exec_lo, s28
	s_cbranch_vccnz .LBB150_502
; %bb.501:
	global_load_u8 v0, v[2:3], off
	s_wait_loadcnt 0x0
	v_lshlrev_b32_e32 v1, 25, v0
	v_lshlrev_b16 v0, 8, v0
	s_delay_alu instid0(VALU_DEP_1) | instskip(SKIP_1) | instid1(VALU_DEP_2)
	v_and_or_b32 v5, 0x7f00, v0, 0.5
	v_bfe_i32 v0, v0, 0, 16
	v_add_f32_e32 v5, -0.5, v5
	v_lshrrev_b32_e32 v4, 4, v1
	v_cmp_gt_u32_e32 vcc_lo, 0x8000000, v1
	s_delay_alu instid0(VALU_DEP_2) | instskip(NEXT) | instid1(VALU_DEP_1)
	v_or_b32_e32 v4, 0x70000000, v4
	v_mul_f32_e32 v4, 0x7800000, v4
	s_delay_alu instid0(VALU_DEP_1) | instskip(NEXT) | instid1(VALU_DEP_1)
	v_cndmask_b32_e32 v1, v4, v5, vcc_lo
	v_and_or_b32 v0, 0x80000000, v0, v1
.LBB150_502:
	s_mov_b32 s29, 0
	s_mov_b32 s28, -1
.LBB150_503:
	s_and_not1_b32 vcc_lo, exec_lo, s29
	s_cbranch_vccnz .LBB150_516
; %bb.504:
	s_cmp_gt_i32 s27, 14
	s_cbranch_scc0 .LBB150_507
; %bb.505:
	s_cmp_eq_u32 s27, 15
	s_cbranch_scc0 .LBB150_510
; %bb.506:
	global_load_u16 v0, v[2:3], off
	s_mov_b32 s28, -1
	s_mov_b32 s26, 0
	s_wait_loadcnt 0x0
	v_lshlrev_b32_e32 v0, 16, v0
	s_branch .LBB150_511
.LBB150_507:
	s_mov_b32 s29, -1
                                        ; implicit-def: $vgpr0
	s_branch .LBB150_512
.LBB150_508:
	s_or_saveexec_b32 s29, s29
	v_mov_b32_e32 v0, 0x7f800001
	s_xor_b32 exec_lo, exec_lo, s29
	s_cbranch_execz .LBB150_489
.LBB150_509:
	v_cmp_ne_u16_e32 vcc_lo, 0, v1
	v_mov_b32_e32 v0, 0
	s_and_not1_b32 s28, s28, exec_lo
	s_and_b32 s31, vcc_lo, exec_lo
	s_delay_alu instid0(SALU_CYCLE_1)
	s_or_b32 s28, s28, s31
	s_or_b32 exec_lo, exec_lo, s29
	s_and_saveexec_b32 s29, s28
	s_cbranch_execnz .LBB150_490
	s_branch .LBB150_491
.LBB150_510:
	s_mov_b32 s26, -1
                                        ; implicit-def: $vgpr0
.LBB150_511:
	s_mov_b32 s29, 0
.LBB150_512:
	s_delay_alu instid0(SALU_CYCLE_1)
	s_and_b32 vcc_lo, exec_lo, s29
	s_cbranch_vccz .LBB150_516
; %bb.513:
	s_cmp_eq_u32 s27, 11
	s_cbranch_scc0 .LBB150_515
; %bb.514:
	global_load_u8 v0, v[2:3], off
	s_mov_b32 s26, 0
	s_mov_b32 s28, -1
	v_mov_b32_e32 v1, 0
	s_wait_loadcnt 0x0
	v_cmp_ne_u16_e32 vcc_lo, 0, v0
	v_cndmask_b32_e64 v0, 0, 1.0, vcc_lo
	s_branch .LBB150_517
.LBB150_515:
	s_mov_b32 s26, -1
                                        ; implicit-def: $vgpr0
.LBB150_516:
	v_mov_b32_e32 v1, 0
.LBB150_517:
	s_mov_b32 s27, 0
.LBB150_518:
	s_delay_alu instid0(SALU_CYCLE_1)
	s_and_b32 vcc_lo, exec_lo, s27
	s_cbranch_vccz .LBB150_569
; %bb.519:
	s_and_b32 s0, 0xffff, s0
	s_delay_alu instid0(SALU_CYCLE_1)
	s_cmp_lt_i32 s0, 5
	s_cbranch_scc1 .LBB150_524
; %bb.520:
	s_cmp_lt_i32 s0, 8
	s_cbranch_scc1 .LBB150_525
; %bb.521:
	;; [unrolled: 3-line block ×3, first 2 shown]
	s_cmp_gt_i32 s0, 9
	s_cbranch_scc0 .LBB150_527
; %bb.523:
	global_load_b128 v[4:7], v[2:3], off
	s_mov_b32 s27, 0
	s_wait_loadcnt 0x0
	v_cvt_f32_f64_e32 v0, v[4:5]
	v_cvt_f32_f64_e32 v1, v[6:7]
	s_branch .LBB150_528
.LBB150_524:
	s_mov_b32 s27, -1
                                        ; implicit-def: $vgpr1
	s_branch .LBB150_547
.LBB150_525:
	s_mov_b32 s27, -1
                                        ; implicit-def: $vgpr1
	s_branch .LBB150_534
.LBB150_526:
	s_mov_b32 s27, -1
                                        ; implicit-def: $vgpr1
	s_branch .LBB150_531
.LBB150_527:
	s_mov_b32 s27, -1
                                        ; implicit-def: $vgpr1
.LBB150_528:
	s_delay_alu instid0(SALU_CYCLE_1)
	s_and_not1_b32 vcc_lo, exec_lo, s27
	s_cbranch_vccnz .LBB150_530
; %bb.529:
	global_load_b64 v[0:1], v[2:3], off
.LBB150_530:
	s_mov_b32 s27, 0
.LBB150_531:
	s_delay_alu instid0(SALU_CYCLE_1)
	s_and_not1_b32 vcc_lo, exec_lo, s27
	s_cbranch_vccnz .LBB150_533
; %bb.532:
	s_wait_loadcnt 0x0
	global_load_b32 v0, v[2:3], off
	s_wait_loadcnt 0x0
	v_lshrrev_b32_e32 v1, 16, v0
	v_cvt_f32_f16_e32 v0, v0
	s_delay_alu instid0(VALU_DEP_2)
	v_cvt_f32_f16_e32 v1, v1
.LBB150_533:
	s_mov_b32 s27, 0
.LBB150_534:
	s_delay_alu instid0(SALU_CYCLE_1)
	s_and_not1_b32 vcc_lo, exec_lo, s27
	s_cbranch_vccnz .LBB150_546
; %bb.535:
	s_cmp_lt_i32 s0, 6
	s_cbranch_scc1 .LBB150_538
; %bb.536:
	s_cmp_gt_i32 s0, 6
	s_cbranch_scc0 .LBB150_539
; %bb.537:
	s_wait_loadcnt 0x0
	global_load_b64 v[0:1], v[2:3], off
	s_mov_b32 s27, 0
	s_wait_loadcnt 0x0
	v_cvt_f32_f64_e32 v0, v[0:1]
	s_branch .LBB150_540
.LBB150_538:
	s_mov_b32 s27, -1
                                        ; implicit-def: $vgpr0
	s_branch .LBB150_543
.LBB150_539:
	s_mov_b32 s27, -1
                                        ; implicit-def: $vgpr0
.LBB150_540:
	s_delay_alu instid0(SALU_CYCLE_1)
	s_and_not1_b32 vcc_lo, exec_lo, s27
	s_cbranch_vccnz .LBB150_542
; %bb.541:
	s_wait_loadcnt 0x0
	global_load_b32 v0, v[2:3], off
.LBB150_542:
	s_mov_b32 s27, 0
.LBB150_543:
	s_delay_alu instid0(SALU_CYCLE_1)
	s_and_not1_b32 vcc_lo, exec_lo, s27
	s_cbranch_vccnz .LBB150_545
; %bb.544:
	s_wait_loadcnt 0x0
	global_load_u16 v0, v[2:3], off
	s_wait_loadcnt 0x0
	v_cvt_f32_f16_e32 v0, v0
.LBB150_545:
	s_wait_loadcnt 0x0
	v_mov_b32_e32 v1, 0
.LBB150_546:
	s_mov_b32 s27, 0
.LBB150_547:
	s_delay_alu instid0(SALU_CYCLE_1)
	s_and_not1_b32 vcc_lo, exec_lo, s27
	s_cbranch_vccnz .LBB150_568
; %bb.548:
	s_cmp_lt_i32 s0, 2
	s_cbranch_scc1 .LBB150_552
; %bb.549:
	s_cmp_lt_i32 s0, 3
	s_cbranch_scc1 .LBB150_553
; %bb.550:
	s_cmp_gt_i32 s0, 3
	s_cbranch_scc0 .LBB150_554
; %bb.551:
	s_wait_loadcnt 0x0
	global_load_b64 v[0:1], v[2:3], off
	s_mov_b32 s27, 0
	s_wait_loadcnt 0x0
	v_xor_b32_e32 v4, v0, v1
	v_cls_i32_e32 v5, v1
	s_delay_alu instid0(VALU_DEP_2) | instskip(NEXT) | instid1(VALU_DEP_1)
	v_ashrrev_i32_e32 v4, 31, v4
	v_add_nc_u32_e32 v4, 32, v4
	s_delay_alu instid0(VALU_DEP_1) | instskip(NEXT) | instid1(VALU_DEP_1)
	v_add_min_u32_e64 v4, v5, -1, v4
	v_lshlrev_b64_e32 v[0:1], v4, v[0:1]
	s_delay_alu instid0(VALU_DEP_1) | instskip(NEXT) | instid1(VALU_DEP_1)
	v_min_u32_e32 v0, 1, v0
	v_or_b32_e32 v0, v1, v0
	v_sub_nc_u32_e32 v1, 32, v4
	s_delay_alu instid0(VALU_DEP_2) | instskip(NEXT) | instid1(VALU_DEP_1)
	v_cvt_f32_i32_e32 v0, v0
	v_ldexp_f32 v0, v0, v1
	s_branch .LBB150_555
.LBB150_552:
	s_mov_b32 s27, -1
                                        ; implicit-def: $vgpr0
	s_branch .LBB150_561
.LBB150_553:
	s_mov_b32 s27, -1
                                        ; implicit-def: $vgpr0
	s_branch .LBB150_558
.LBB150_554:
	s_mov_b32 s27, -1
                                        ; implicit-def: $vgpr0
.LBB150_555:
	s_delay_alu instid0(SALU_CYCLE_1)
	s_and_not1_b32 vcc_lo, exec_lo, s27
	s_cbranch_vccnz .LBB150_557
; %bb.556:
	s_wait_loadcnt 0x0
	global_load_b32 v0, v[2:3], off
	s_wait_loadcnt 0x0
	v_cvt_f32_i32_e32 v0, v0
.LBB150_557:
	s_mov_b32 s27, 0
.LBB150_558:
	s_delay_alu instid0(SALU_CYCLE_1)
	s_and_not1_b32 vcc_lo, exec_lo, s27
	s_cbranch_vccnz .LBB150_560
; %bb.559:
	s_wait_loadcnt 0x0
	global_load_i16 v0, v[2:3], off
	s_wait_loadcnt 0x0
	v_cvt_f32_i32_e32 v0, v0
.LBB150_560:
	s_mov_b32 s27, 0
.LBB150_561:
	s_delay_alu instid0(SALU_CYCLE_1)
	s_and_not1_b32 vcc_lo, exec_lo, s27
	s_cbranch_vccnz .LBB150_567
; %bb.562:
	s_cmp_gt_i32 s0, 0
	s_mov_b32 s0, 0
	s_cbranch_scc0 .LBB150_564
; %bb.563:
	s_wait_loadcnt 0x0
	global_load_i8 v0, v[2:3], off
	s_wait_loadcnt 0x0
	v_cvt_f32_i32_e32 v0, v0
	s_branch .LBB150_565
.LBB150_564:
	s_mov_b32 s0, -1
                                        ; implicit-def: $vgpr0
.LBB150_565:
	s_delay_alu instid0(SALU_CYCLE_1)
	s_and_not1_b32 vcc_lo, exec_lo, s0
	s_cbranch_vccnz .LBB150_567
; %bb.566:
	s_wait_loadcnt 0x0
	global_load_u8 v0, v[2:3], off
	s_wait_loadcnt 0x0
	v_cvt_f32_ubyte0_e32 v0, v0
.LBB150_567:
	s_wait_loadcnt 0x0
	v_mov_b32_e32 v1, 0
.LBB150_568:
	s_mov_b32 s28, -1
.LBB150_569:
	s_mov_b32 s29, 0
	s_mov_b32 s0, s21
	s_and_not1_b32 vcc_lo, exec_lo, s28
	s_mov_b32 s27, s22
	s_mov_b32 s31, 0
	s_cbranch_vccnz .LBB150_829
; %bb.570:
	s_wait_xcnt 0x0
	v_mul_lo_u32 v2, v18, s5
	s_and_b32 s0, 0xffff, s1
	s_delay_alu instid0(SALU_CYCLE_1) | instskip(NEXT) | instid1(VALU_DEP_1)
	s_cmp_lt_i32 s0, 11
	v_ashrrev_i32_e32 v3, 31, v2
	s_delay_alu instid0(VALU_DEP_1)
	v_add_nc_u64_e32 v[2:3], s[10:11], v[2:3]
	s_cbranch_scc1 .LBB150_577
; %bb.571:
	s_cmp_gt_i32 s0, 25
	s_cbranch_scc0 .LBB150_578
; %bb.572:
	s_cmp_gt_i32 s0, 28
	s_cbranch_scc0 .LBB150_579
	;; [unrolled: 3-line block ×4, first 2 shown]
; %bb.575:
	s_cmp_eq_u32 s0, 46
	s_cbranch_scc0 .LBB150_584
; %bb.576:
	global_load_b32 v4, v[2:3], off
	s_mov_b32 s28, -1
	s_mov_b32 s27, 0
	s_wait_loadcnt 0x0
	v_and_b32_e32 v7, 0xffff0000, v4
	v_lshlrev_b32_e32 v6, 16, v4
	s_branch .LBB150_586
.LBB150_577:
	s_mov_b32 s31, -1
	s_mov_b32 s28, 0
	s_mov_b32 s27, s22
                                        ; implicit-def: $vgpr7
	s_branch .LBB150_654
.LBB150_578:
	s_mov_b32 s31, -1
	s_mov_b32 s28, 0
	s_mov_b32 s27, s22
                                        ; implicit-def: $vgpr7
	s_branch .LBB150_617
.LBB150_579:
	s_mov_b32 s31, -1
	s_mov_b32 s28, 0
	s_mov_b32 s27, s22
                                        ; implicit-def: $vgpr7
	s_branch .LBB150_598
.LBB150_580:
	s_mov_b32 s31, -1
	s_mov_b32 s28, 0
	s_mov_b32 s27, s22
                                        ; implicit-def: $vgpr7
	s_branch .LBB150_592
.LBB150_581:
	s_mov_b32 s31, -1
	s_mov_b32 s28, 0
	s_mov_b32 s27, s22
	s_branch .LBB150_585
.LBB150_582:
	s_and_not1_saveexec_b32 s30, s30
	s_cbranch_execz .LBB150_335
.LBB150_583:
	v_add_f32_e64 v4, 0x42800000, |v2|
	s_and_not1_b32 s29, s29, exec_lo
	s_delay_alu instid0(VALU_DEP_1) | instskip(NEXT) | instid1(VALU_DEP_1)
	v_and_b32_e32 v4, 0xff, v4
	v_cmp_ne_u32_e32 vcc_lo, 0, v4
	s_and_b32 s31, vcc_lo, exec_lo
	s_delay_alu instid0(SALU_CYCLE_1)
	s_or_b32 s29, s29, s31
	s_or_b32 exec_lo, exec_lo, s30
	v_mov_b32_e32 v6, 0
	s_and_saveexec_b32 s30, s29
	s_cbranch_execnz .LBB150_336
	s_branch .LBB150_337
.LBB150_584:
	s_mov_b32 s27, -1
	s_mov_b32 s28, 0
.LBB150_585:
                                        ; implicit-def: $vgpr7
.LBB150_586:
	s_and_b32 vcc_lo, exec_lo, s31
	s_cbranch_vccz .LBB150_591
; %bb.587:
	s_cmp_eq_u32 s0, 44
	s_cbranch_scc0 .LBB150_589
; %bb.588:
	global_load_u8 v4, v[2:3], off
	s_mov_b32 s27, 0
	s_mov_b32 s28, -1
	s_wait_loadcnt 0x0
	v_lshlrev_b32_e32 v5, 23, v4
	v_cmp_ne_u32_e32 vcc_lo, 0xff, v4
	s_delay_alu instid0(VALU_DEP_2) | instskip(SKIP_1) | instid1(VALU_DEP_2)
	v_cndmask_b32_e32 v5, 0x7f800001, v5, vcc_lo
	v_cmp_ne_u32_e32 vcc_lo, 0, v4
	v_cndmask_b32_e32 v6, 0x400000, v5, vcc_lo
	s_branch .LBB150_590
.LBB150_589:
	s_mov_b32 s27, -1
                                        ; implicit-def: $vgpr6
.LBB150_590:
	v_mov_b32_e32 v7, 0
.LBB150_591:
	s_mov_b32 s31, 0
.LBB150_592:
	s_delay_alu instid0(SALU_CYCLE_1)
	s_and_b32 vcc_lo, exec_lo, s31
	s_cbranch_vccz .LBB150_597
; %bb.593:
	s_cmp_eq_u32 s0, 29
	s_cbranch_scc0 .LBB150_595
; %bb.594:
	global_load_b64 v[4:5], v[2:3], off
	s_mov_b32 s28, -1
	s_mov_b32 s27, 0
	s_wait_loadcnt 0x0
	v_clz_i32_u32_e32 v6, v5
	s_delay_alu instid0(VALU_DEP_1) | instskip(NEXT) | instid1(VALU_DEP_1)
	v_min_u32_e32 v6, 32, v6
	v_lshlrev_b64_e32 v[4:5], v6, v[4:5]
	s_delay_alu instid0(VALU_DEP_1) | instskip(NEXT) | instid1(VALU_DEP_1)
	v_min_u32_e32 v4, 1, v4
	v_dual_sub_nc_u32 v5, 32, v6 :: v_dual_bitop2_b32 v4, v5, v4 bitop3:0x54
	s_delay_alu instid0(VALU_DEP_1) | instskip(NEXT) | instid1(VALU_DEP_1)
	v_cvt_f32_u32_e32 v4, v4
	v_ldexp_f32 v6, v4, v5
	s_branch .LBB150_596
.LBB150_595:
	s_mov_b32 s27, -1
                                        ; implicit-def: $vgpr6
.LBB150_596:
	v_mov_b32_e32 v7, 0
.LBB150_597:
	s_mov_b32 s31, 0
.LBB150_598:
	s_delay_alu instid0(SALU_CYCLE_1)
	s_and_b32 vcc_lo, exec_lo, s31
	s_cbranch_vccz .LBB150_616
; %bb.599:
	s_cmp_lt_i32 s0, 27
	s_cbranch_scc1 .LBB150_602
; %bb.600:
	s_cmp_gt_i32 s0, 27
	s_cbranch_scc0 .LBB150_603
; %bb.601:
	global_load_b32 v4, v[2:3], off
	s_mov_b32 s28, 0
	s_wait_loadcnt 0x0
	v_cvt_f32_u32_e32 v6, v4
	s_branch .LBB150_604
.LBB150_602:
	s_mov_b32 s28, -1
                                        ; implicit-def: $vgpr6
	s_branch .LBB150_607
.LBB150_603:
	s_mov_b32 s28, -1
                                        ; implicit-def: $vgpr6
.LBB150_604:
	s_delay_alu instid0(SALU_CYCLE_1)
	s_and_not1_b32 vcc_lo, exec_lo, s28
	s_cbranch_vccnz .LBB150_606
; %bb.605:
	global_load_u16 v4, v[2:3], off
	s_wait_loadcnt 0x0
	v_cvt_f32_u32_e32 v6, v4
.LBB150_606:
	s_mov_b32 s28, 0
.LBB150_607:
	s_delay_alu instid0(SALU_CYCLE_1)
	s_and_not1_b32 vcc_lo, exec_lo, s28
	s_cbranch_vccnz .LBB150_615
; %bb.608:
	global_load_u8 v4, v[2:3], off
	s_mov_b32 s28, 0
	s_mov_b32 s31, exec_lo
	s_wait_loadcnt 0x0
	v_cmpx_lt_i16_e32 0x7f, v4
	s_xor_b32 s31, exec_lo, s31
	s_cbranch_execz .LBB150_629
; %bb.609:
	s_mov_b32 s28, -1
	s_mov_b32 s33, exec_lo
	v_cmpx_eq_u16_e32 0x80, v4
; %bb.610:
	s_xor_b32 s28, exec_lo, -1
; %bb.611:
	s_or_b32 exec_lo, exec_lo, s33
	s_delay_alu instid0(SALU_CYCLE_1)
	s_and_b32 s28, s28, exec_lo
	s_or_saveexec_b32 s31, s31
	v_mov_b32_e32 v6, 0x7f800001
	s_xor_b32 exec_lo, exec_lo, s31
	s_cbranch_execnz .LBB150_630
.LBB150_612:
	s_or_b32 exec_lo, exec_lo, s31
	s_and_saveexec_b32 s31, s28
	s_cbranch_execz .LBB150_614
.LBB150_613:
	v_and_b32_e32 v5, 0xffff, v4
	s_delay_alu instid0(VALU_DEP_1) | instskip(SKIP_1) | instid1(VALU_DEP_2)
	v_and_b32_e32 v6, 7, v5
	v_bfe_u32 v9, v5, 3, 4
	v_clz_i32_u32_e32 v7, v6
	s_delay_alu instid0(VALU_DEP_2) | instskip(NEXT) | instid1(VALU_DEP_2)
	v_cmp_eq_u32_e32 vcc_lo, 0, v9
	v_min_u32_e32 v7, 32, v7
	s_delay_alu instid0(VALU_DEP_1) | instskip(NEXT) | instid1(VALU_DEP_1)
	v_subrev_nc_u32_e32 v8, 28, v7
	v_dual_lshlrev_b32 v5, v8, v5 :: v_dual_sub_nc_u32 v7, 29, v7
	s_delay_alu instid0(VALU_DEP_1) | instskip(NEXT) | instid1(VALU_DEP_1)
	v_dual_lshlrev_b32 v4, 24, v4 :: v_dual_bitop2_b32 v5, 7, v5 bitop3:0x40
	v_dual_cndmask_b32 v7, v9, v7, vcc_lo :: v_dual_cndmask_b32 v5, v6, v5, vcc_lo
	s_delay_alu instid0(VALU_DEP_2) | instskip(NEXT) | instid1(VALU_DEP_2)
	v_and_b32_e32 v4, 0x80000000, v4
	v_lshl_add_u32 v6, v7, 23, 0x3b800000
	s_delay_alu instid0(VALU_DEP_3) | instskip(NEXT) | instid1(VALU_DEP_1)
	v_lshlrev_b32_e32 v5, 20, v5
	v_or3_b32 v6, v4, v6, v5
.LBB150_614:
	s_or_b32 exec_lo, exec_lo, s31
.LBB150_615:
	v_mov_b32_e32 v7, 0
	s_mov_b32 s28, -1
.LBB150_616:
	s_mov_b32 s31, 0
.LBB150_617:
	s_delay_alu instid0(SALU_CYCLE_1)
	s_and_b32 vcc_lo, exec_lo, s31
	s_cbranch_vccz .LBB150_653
; %bb.618:
	s_cmp_gt_i32 s0, 22
	s_cbranch_scc0 .LBB150_628
; %bb.619:
	s_cmp_lt_i32 s0, 24
	s_cbranch_scc1 .LBB150_631
; %bb.620:
	s_cmp_gt_i32 s0, 24
	s_cbranch_scc0 .LBB150_632
; %bb.621:
	global_load_u8 v4, v[2:3], off
	s_mov_b32 s28, 0
	s_mov_b32 s31, exec_lo
	s_wait_loadcnt 0x0
	v_cmpx_lt_i16_e32 0x7f, v4
	s_xor_b32 s31, exec_lo, s31
	s_cbranch_execz .LBB150_644
; %bb.622:
	s_mov_b32 s28, -1
	s_mov_b32 s33, exec_lo
	v_cmpx_eq_u16_e32 0x80, v4
; %bb.623:
	s_xor_b32 s28, exec_lo, -1
; %bb.624:
	s_or_b32 exec_lo, exec_lo, s33
	s_delay_alu instid0(SALU_CYCLE_1)
	s_and_b32 s28, s28, exec_lo
	s_or_saveexec_b32 s31, s31
	v_mov_b32_e32 v6, 0x7f800001
	s_xor_b32 exec_lo, exec_lo, s31
	s_cbranch_execnz .LBB150_645
.LBB150_625:
	s_or_b32 exec_lo, exec_lo, s31
	s_and_saveexec_b32 s31, s28
	s_cbranch_execz .LBB150_627
.LBB150_626:
	v_and_b32_e32 v5, 0xffff, v4
	s_delay_alu instid0(VALU_DEP_1) | instskip(SKIP_1) | instid1(VALU_DEP_2)
	v_and_b32_e32 v6, 3, v5
	v_bfe_u32 v9, v5, 2, 5
	v_clz_i32_u32_e32 v7, v6
	s_delay_alu instid0(VALU_DEP_2) | instskip(NEXT) | instid1(VALU_DEP_2)
	v_cmp_eq_u32_e32 vcc_lo, 0, v9
	v_min_u32_e32 v7, 32, v7
	s_delay_alu instid0(VALU_DEP_1) | instskip(NEXT) | instid1(VALU_DEP_1)
	v_subrev_nc_u32_e32 v8, 29, v7
	v_dual_lshlrev_b32 v5, v8, v5 :: v_dual_sub_nc_u32 v7, 30, v7
	s_delay_alu instid0(VALU_DEP_1) | instskip(NEXT) | instid1(VALU_DEP_1)
	v_dual_lshlrev_b32 v4, 24, v4 :: v_dual_bitop2_b32 v5, 3, v5 bitop3:0x40
	v_dual_cndmask_b32 v7, v9, v7, vcc_lo :: v_dual_cndmask_b32 v5, v6, v5, vcc_lo
	s_delay_alu instid0(VALU_DEP_2) | instskip(NEXT) | instid1(VALU_DEP_2)
	v_and_b32_e32 v4, 0x80000000, v4
	v_lshl_add_u32 v6, v7, 23, 0x37800000
	s_delay_alu instid0(VALU_DEP_3) | instskip(NEXT) | instid1(VALU_DEP_1)
	v_lshlrev_b32_e32 v5, 21, v5
	v_or3_b32 v6, v4, v6, v5
.LBB150_627:
	s_or_b32 exec_lo, exec_lo, s31
	s_mov_b32 s28, 0
	s_branch .LBB150_633
.LBB150_628:
	s_mov_b32 s31, -1
                                        ; implicit-def: $vgpr6
	s_branch .LBB150_639
.LBB150_629:
	s_or_saveexec_b32 s31, s31
	v_mov_b32_e32 v6, 0x7f800001
	s_xor_b32 exec_lo, exec_lo, s31
	s_cbranch_execz .LBB150_612
.LBB150_630:
	v_cmp_ne_u16_e32 vcc_lo, 0, v4
	v_mov_b32_e32 v6, 0
	s_and_not1_b32 s28, s28, exec_lo
	s_and_b32 s33, vcc_lo, exec_lo
	s_delay_alu instid0(SALU_CYCLE_1)
	s_or_b32 s28, s28, s33
	s_or_b32 exec_lo, exec_lo, s31
	s_and_saveexec_b32 s31, s28
	s_cbranch_execnz .LBB150_613
	s_branch .LBB150_614
.LBB150_631:
	s_mov_b32 s28, -1
                                        ; implicit-def: $vgpr6
	s_branch .LBB150_636
.LBB150_632:
	s_mov_b32 s28, -1
                                        ; implicit-def: $vgpr6
.LBB150_633:
	s_delay_alu instid0(SALU_CYCLE_1)
	s_and_b32 vcc_lo, exec_lo, s28
	s_cbranch_vccz .LBB150_635
; %bb.634:
	global_load_u8 v4, v[2:3], off
	s_wait_loadcnt 0x0
	v_lshlrev_b32_e32 v4, 24, v4
	s_delay_alu instid0(VALU_DEP_1) | instskip(NEXT) | instid1(VALU_DEP_1)
	v_and_b32_e32 v5, 0x7f000000, v4
	v_clz_i32_u32_e32 v6, v5
	v_cmp_ne_u32_e32 vcc_lo, 0, v5
	v_add_nc_u32_e32 v8, 0x1000000, v5
	s_delay_alu instid0(VALU_DEP_3) | instskip(NEXT) | instid1(VALU_DEP_1)
	v_min_u32_e32 v6, 32, v6
	v_sub_nc_u32_e64 v6, v6, 4 clamp
	s_delay_alu instid0(VALU_DEP_1) | instskip(NEXT) | instid1(VALU_DEP_1)
	v_dual_lshlrev_b32 v7, v6, v5 :: v_dual_lshlrev_b32 v6, 23, v6
	v_lshrrev_b32_e32 v7, 4, v7
	s_delay_alu instid0(VALU_DEP_1) | instskip(NEXT) | instid1(VALU_DEP_1)
	v_dual_sub_nc_u32 v6, v7, v6 :: v_dual_ashrrev_i32 v7, 8, v8
	v_add_nc_u32_e32 v6, 0x3c000000, v6
	s_delay_alu instid0(VALU_DEP_1) | instskip(NEXT) | instid1(VALU_DEP_1)
	v_and_or_b32 v6, 0x7f800000, v7, v6
	v_cndmask_b32_e32 v5, 0, v6, vcc_lo
	s_delay_alu instid0(VALU_DEP_1)
	v_and_or_b32 v6, 0x80000000, v4, v5
.LBB150_635:
	s_mov_b32 s28, 0
.LBB150_636:
	s_delay_alu instid0(SALU_CYCLE_1)
	s_and_not1_b32 vcc_lo, exec_lo, s28
	s_cbranch_vccnz .LBB150_638
; %bb.637:
	global_load_u8 v4, v[2:3], off
	s_wait_loadcnt 0x0
	v_lshlrev_b32_e32 v5, 25, v4
	v_lshlrev_b16 v4, 8, v4
	s_delay_alu instid0(VALU_DEP_1) | instskip(SKIP_1) | instid1(VALU_DEP_2)
	v_and_or_b32 v7, 0x7f00, v4, 0.5
	v_bfe_i32 v4, v4, 0, 16
	v_dual_add_f32 v7, -0.5, v7 :: v_dual_lshrrev_b32 v6, 4, v5
	v_cmp_gt_u32_e32 vcc_lo, 0x8000000, v5
	s_delay_alu instid0(VALU_DEP_2) | instskip(NEXT) | instid1(VALU_DEP_1)
	v_or_b32_e32 v6, 0x70000000, v6
	v_mul_f32_e32 v6, 0x7800000, v6
	s_delay_alu instid0(VALU_DEP_1) | instskip(NEXT) | instid1(VALU_DEP_1)
	v_cndmask_b32_e32 v5, v6, v7, vcc_lo
	v_and_or_b32 v6, 0x80000000, v4, v5
.LBB150_638:
	s_mov_b32 s31, 0
	s_mov_b32 s28, -1
.LBB150_639:
	s_and_not1_b32 vcc_lo, exec_lo, s31
	s_cbranch_vccnz .LBB150_652
; %bb.640:
	s_cmp_gt_i32 s0, 14
	s_cbranch_scc0 .LBB150_643
; %bb.641:
	s_cmp_eq_u32 s0, 15
	s_cbranch_scc0 .LBB150_646
; %bb.642:
	global_load_u16 v4, v[2:3], off
	s_mov_b32 s28, -1
	s_mov_b32 s27, 0
	s_wait_loadcnt 0x0
	v_lshlrev_b32_e32 v6, 16, v4
	s_branch .LBB150_647
.LBB150_643:
	s_mov_b32 s31, -1
                                        ; implicit-def: $vgpr6
	s_branch .LBB150_648
.LBB150_644:
	s_or_saveexec_b32 s31, s31
	v_mov_b32_e32 v6, 0x7f800001
	s_xor_b32 exec_lo, exec_lo, s31
	s_cbranch_execz .LBB150_625
.LBB150_645:
	v_cmp_ne_u16_e32 vcc_lo, 0, v4
	v_mov_b32_e32 v6, 0
	s_and_not1_b32 s28, s28, exec_lo
	s_and_b32 s33, vcc_lo, exec_lo
	s_delay_alu instid0(SALU_CYCLE_1)
	s_or_b32 s28, s28, s33
	s_or_b32 exec_lo, exec_lo, s31
	s_and_saveexec_b32 s31, s28
	s_cbranch_execnz .LBB150_626
	s_branch .LBB150_627
.LBB150_646:
	s_mov_b32 s27, -1
                                        ; implicit-def: $vgpr6
.LBB150_647:
	s_mov_b32 s31, 0
.LBB150_648:
	s_delay_alu instid0(SALU_CYCLE_1)
	s_and_b32 vcc_lo, exec_lo, s31
	s_cbranch_vccz .LBB150_652
; %bb.649:
	s_cmp_eq_u32 s0, 11
	s_cbranch_scc0 .LBB150_651
; %bb.650:
	global_load_u8 v4, v[2:3], off
	s_mov_b32 s27, 0
	s_mov_b32 s28, -1
	v_mov_b32_e32 v7, 0
	s_wait_loadcnt 0x0
	v_cmp_ne_u16_e32 vcc_lo, 0, v4
	v_cndmask_b32_e64 v6, 0, 1.0, vcc_lo
	s_branch .LBB150_653
.LBB150_651:
	s_mov_b32 s27, -1
                                        ; implicit-def: $vgpr6
.LBB150_652:
	v_mov_b32_e32 v7, 0
.LBB150_653:
	s_mov_b32 s31, 0
.LBB150_654:
	s_delay_alu instid0(SALU_CYCLE_1)
	s_and_b32 vcc_lo, exec_lo, s31
	s_cbranch_vccz .LBB150_705
; %bb.655:
	s_cmp_lt_i32 s0, 5
	s_cbranch_scc1 .LBB150_660
; %bb.656:
	s_cmp_lt_i32 s0, 8
	s_cbranch_scc1 .LBB150_661
	;; [unrolled: 3-line block ×3, first 2 shown]
; %bb.658:
	s_cmp_gt_i32 s0, 9
	s_cbranch_scc0 .LBB150_663
; %bb.659:
	global_load_b128 v[6:9], v[2:3], off
	s_mov_b32 s28, 0
	s_wait_loadcnt 0x0
	v_cvt_f32_f64_e32 v6, v[6:7]
	v_cvt_f32_f64_e32 v7, v[8:9]
	s_branch .LBB150_664
.LBB150_660:
	s_mov_b32 s28, -1
                                        ; implicit-def: $vgpr7
	s_branch .LBB150_683
.LBB150_661:
	s_mov_b32 s28, -1
                                        ; implicit-def: $vgpr7
	s_branch .LBB150_670
.LBB150_662:
	s_mov_b32 s28, -1
                                        ; implicit-def: $vgpr7
	s_branch .LBB150_667
.LBB150_663:
	s_mov_b32 s28, -1
                                        ; implicit-def: $vgpr7
.LBB150_664:
	s_delay_alu instid0(SALU_CYCLE_1)
	s_and_not1_b32 vcc_lo, exec_lo, s28
	s_cbranch_vccnz .LBB150_666
; %bb.665:
	global_load_b64 v[6:7], v[2:3], off
.LBB150_666:
	s_mov_b32 s28, 0
.LBB150_667:
	s_delay_alu instid0(SALU_CYCLE_1)
	s_and_not1_b32 vcc_lo, exec_lo, s28
	s_cbranch_vccnz .LBB150_669
; %bb.668:
	global_load_b32 v4, v[2:3], off
	s_wait_loadcnt 0x0
	v_lshrrev_b32_e32 v5, 16, v4
	v_cvt_f32_f16_e32 v6, v4
	s_delay_alu instid0(VALU_DEP_2)
	v_cvt_f32_f16_e32 v7, v5
.LBB150_669:
	s_mov_b32 s28, 0
.LBB150_670:
	s_delay_alu instid0(SALU_CYCLE_1)
	s_and_not1_b32 vcc_lo, exec_lo, s28
	s_cbranch_vccnz .LBB150_682
; %bb.671:
	s_cmp_lt_i32 s0, 6
	s_cbranch_scc1 .LBB150_674
; %bb.672:
	s_cmp_gt_i32 s0, 6
	s_cbranch_scc0 .LBB150_675
; %bb.673:
	global_load_b64 v[4:5], v[2:3], off
	s_mov_b32 s28, 0
	s_wait_loadcnt 0x0
	v_cvt_f32_f64_e32 v6, v[4:5]
	s_branch .LBB150_676
.LBB150_674:
	s_mov_b32 s28, -1
                                        ; implicit-def: $vgpr6
	s_branch .LBB150_679
.LBB150_675:
	s_mov_b32 s28, -1
                                        ; implicit-def: $vgpr6
.LBB150_676:
	s_delay_alu instid0(SALU_CYCLE_1)
	s_and_not1_b32 vcc_lo, exec_lo, s28
	s_cbranch_vccnz .LBB150_678
; %bb.677:
	s_wait_loadcnt 0x0
	global_load_b32 v6, v[2:3], off
.LBB150_678:
	s_mov_b32 s28, 0
.LBB150_679:
	s_delay_alu instid0(SALU_CYCLE_1)
	s_and_not1_b32 vcc_lo, exec_lo, s28
	s_cbranch_vccnz .LBB150_681
; %bb.680:
	global_load_u16 v4, v[2:3], off
	s_wait_loadcnt 0x0
	v_cvt_f32_f16_e32 v6, v4
.LBB150_681:
	s_wait_loadcnt 0x0
	v_mov_b32_e32 v7, 0
.LBB150_682:
	s_mov_b32 s28, 0
.LBB150_683:
	s_delay_alu instid0(SALU_CYCLE_1)
	s_and_not1_b32 vcc_lo, exec_lo, s28
	s_cbranch_vccnz .LBB150_704
; %bb.684:
	s_cmp_lt_i32 s0, 2
	s_cbranch_scc1 .LBB150_688
; %bb.685:
	s_cmp_lt_i32 s0, 3
	s_cbranch_scc1 .LBB150_689
; %bb.686:
	s_cmp_gt_i32 s0, 3
	s_cbranch_scc0 .LBB150_690
; %bb.687:
	global_load_b64 v[4:5], v[2:3], off
	s_mov_b32 s28, 0
	s_wait_loadcnt 0x0
	v_xor_b32_e32 v6, v4, v5
	v_cls_i32_e32 v7, v5
	s_delay_alu instid0(VALU_DEP_2) | instskip(NEXT) | instid1(VALU_DEP_1)
	v_ashrrev_i32_e32 v6, 31, v6
	v_add_nc_u32_e32 v6, 32, v6
	s_delay_alu instid0(VALU_DEP_1) | instskip(NEXT) | instid1(VALU_DEP_1)
	v_add_min_u32_e64 v6, v7, -1, v6
	v_lshlrev_b64_e32 v[4:5], v6, v[4:5]
	s_delay_alu instid0(VALU_DEP_1) | instskip(NEXT) | instid1(VALU_DEP_1)
	v_min_u32_e32 v4, 1, v4
	v_dual_sub_nc_u32 v5, 32, v6 :: v_dual_bitop2_b32 v4, v5, v4 bitop3:0x54
	s_delay_alu instid0(VALU_DEP_1) | instskip(NEXT) | instid1(VALU_DEP_1)
	v_cvt_f32_i32_e32 v4, v4
	v_ldexp_f32 v6, v4, v5
	s_branch .LBB150_691
.LBB150_688:
	s_mov_b32 s28, -1
                                        ; implicit-def: $vgpr6
	s_branch .LBB150_697
.LBB150_689:
	s_mov_b32 s28, -1
                                        ; implicit-def: $vgpr6
	s_branch .LBB150_694
.LBB150_690:
	s_mov_b32 s28, -1
                                        ; implicit-def: $vgpr6
.LBB150_691:
	s_delay_alu instid0(SALU_CYCLE_1)
	s_and_not1_b32 vcc_lo, exec_lo, s28
	s_cbranch_vccnz .LBB150_693
; %bb.692:
	global_load_b32 v4, v[2:3], off
	s_wait_loadcnt 0x0
	v_cvt_f32_i32_e32 v6, v4
.LBB150_693:
	s_mov_b32 s28, 0
.LBB150_694:
	s_delay_alu instid0(SALU_CYCLE_1)
	s_and_not1_b32 vcc_lo, exec_lo, s28
	s_cbranch_vccnz .LBB150_696
; %bb.695:
	global_load_i16 v4, v[2:3], off
	s_wait_loadcnt 0x0
	v_cvt_f32_i32_e32 v6, v4
.LBB150_696:
	s_mov_b32 s28, 0
.LBB150_697:
	s_delay_alu instid0(SALU_CYCLE_1)
	s_and_not1_b32 vcc_lo, exec_lo, s28
	s_cbranch_vccnz .LBB150_703
; %bb.698:
	s_cmp_gt_i32 s0, 0
	s_mov_b32 s0, 0
	s_cbranch_scc0 .LBB150_700
; %bb.699:
	global_load_i8 v4, v[2:3], off
	s_wait_loadcnt 0x0
	v_cvt_f32_i32_e32 v6, v4
	s_branch .LBB150_701
.LBB150_700:
	s_mov_b32 s0, -1
                                        ; implicit-def: $vgpr6
.LBB150_701:
	s_delay_alu instid0(SALU_CYCLE_1)
	s_and_not1_b32 vcc_lo, exec_lo, s0
	s_cbranch_vccnz .LBB150_703
; %bb.702:
	global_load_u8 v2, v[2:3], off
	s_wait_loadcnt 0x0
	v_cvt_f32_ubyte0_e32 v6, v2
.LBB150_703:
	s_wait_loadcnt 0x0
	v_mov_b32_e32 v7, 0
.LBB150_704:
	s_mov_b32 s28, -1
.LBB150_705:
	s_delay_alu instid0(SALU_CYCLE_1)
	s_and_not1_b32 vcc_lo, exec_lo, s28
	s_cbranch_vccnz .LBB150_713
; %bb.706:
	s_wait_xcnt 0x0
	v_mov_b64_e32 v[2:3], s[12:13]
	v_mul_lo_u32 v10, v18, s14
	s_wait_loadcnt 0x0
	s_delay_alu instid0(VALU_DEP_3) | instskip(SKIP_1) | instid1(SALU_CYCLE_1)
	v_dual_mov_b32 v8, v7 :: v_dual_mov_b32 v9, v6
	s_and_b32 s28, s15, 0xff
	s_cmp_lt_i32 s28, 11
	s_delay_alu instid0(VALU_DEP_3) | instskip(SKIP_1) | instid1(VALU_DEP_2)
	v_pk_mul_f32 v[4:5], v[0:1], v[2:3]
	v_pk_mul_f32 v[0:1], v[0:1], v[2:3] op_sel:[0,1] op_sel_hi:[1,0]
	v_dual_add_f32 v2, v4, v5 :: v_dual_ashrrev_i32 v11, 31, v10
	s_delay_alu instid0(VALU_DEP_2) | instskip(NEXT) | instid1(VALU_DEP_2)
	v_pk_add_f32 v[12:13], v[0:1], v[0:1] op_sel:[0,1] op_sel_hi:[0,1] neg_lo:[0,1] neg_hi:[0,1]
	v_pk_mul_f32 v[2:3], v[2:3], v[8:9] op_sel_hi:[0,1]
	s_delay_alu instid0(VALU_DEP_3) | instskip(NEXT) | instid1(VALU_DEP_2)
	v_add_nc_u64_e32 v[0:1], s[2:3], v[10:11]
	v_pk_fma_f32 v[4:5], v[12:13], v[6:7], v[2:3]
	v_pk_fma_f32 v[2:3], v[12:13], v[6:7], v[2:3] neg_lo:[0,0,1] neg_hi:[0,0,1]
	s_delay_alu instid0(VALU_DEP_2)
	v_mov_b32_e32 v3, v5
	s_cbranch_scc1 .LBB150_714
; %bb.707:
	s_and_b32 s31, 0xffff, s28
	s_delay_alu instid0(SALU_CYCLE_1)
	s_cmp_gt_i32 s31, 25
	s_cbranch_scc0 .LBB150_715
; %bb.708:
	s_cmp_gt_i32 s31, 28
	s_cbranch_scc0 .LBB150_716
; %bb.709:
	;; [unrolled: 3-line block ×4, first 2 shown]
	s_mov_b32 s34, 0
	s_mov_b32 s0, -1
	s_cmp_eq_u32 s31, 46
	s_mov_b32 s33, 0
	s_cbranch_scc0 .LBB150_719
; %bb.712:
	v_dual_lshrrev_b32 v4, 16, v2 :: v_dual_lshrrev_b32 v6, 16, v5
	v_cmp_o_f32_e32 vcc_lo, v2, v2
	s_mov_b32 s33, -1
	s_mov_b32 s0, 0
	s_delay_alu instid0(VALU_DEP_2) | instskip(NEXT) | instid1(VALU_DEP_1)
	v_and_b32_e32 v4, 1, v4
	v_add3_u32 v4, v2, v4, 0x7fff
	s_delay_alu instid0(VALU_DEP_1) | instskip(NEXT) | instid1(VALU_DEP_1)
	v_dual_lshrrev_b32 v4, 16, v4 :: v_dual_bitop2_b32 v6, 1, v6 bitop3:0x40
	v_add3_u32 v6, v5, v6, 0x7fff
	s_delay_alu instid0(VALU_DEP_2) | instskip(NEXT) | instid1(VALU_DEP_2)
	v_cndmask_b32_e32 v4, 0x7fc0, v4, vcc_lo
	v_and_b32_e32 v6, 0xffff0000, v6
	v_cmp_o_f32_e32 vcc_lo, v5, v5
	s_delay_alu instid0(VALU_DEP_2) | instskip(NEXT) | instid1(VALU_DEP_1)
	v_cndmask_b32_e32 v6, 0x7fc00000, v6, vcc_lo
	v_or_b32_e32 v4, v6, v4
	global_store_b32 v[0:1], v4, off
	s_branch .LBB150_719
.LBB150_713:
	s_mov_b32 s31, 0
	s_mov_b32 s0, s21
	s_branch .LBB150_440
.LBB150_714:
	s_mov_b32 s31, -1
	s_mov_b32 s33, 0
	s_mov_b32 s0, s21
	s_branch .LBB150_788
.LBB150_715:
	s_mov_b32 s34, -1
	s_mov_b32 s33, 0
	s_mov_b32 s0, s21
	s_branch .LBB150_746
.LBB150_716:
	s_mov_b32 s34, -1
	s_mov_b32 s33, 0
	s_mov_b32 s0, s21
	s_branch .LBB150_729
.LBB150_717:
	s_mov_b32 s34, -1
	s_mov_b32 s33, 0
	s_mov_b32 s0, s21
	s_branch .LBB150_725
.LBB150_718:
	s_mov_b32 s34, -1
	s_mov_b32 s33, 0
	s_mov_b32 s0, s21
.LBB150_719:
	s_and_b32 vcc_lo, exec_lo, s34
	s_cbranch_vccz .LBB150_724
; %bb.720:
	s_cmp_eq_u32 s31, 44
	s_mov_b32 s0, -1
	s_cbranch_scc0 .LBB150_724
; %bb.721:
	v_bfe_u32 v6, v2, 23, 8
	s_wait_xcnt 0x0
	v_mov_b32_e32 v4, 0xff
	s_mov_b32 s33, exec_lo
	s_delay_alu instid0(VALU_DEP_2)
	v_cmpx_ne_u32_e32 0xff, v6
	s_cbranch_execz .LBB150_723
; %bb.722:
	v_and_b32_e32 v4, 0x400000, v2
	v_and_or_b32 v6, 0x3fffff, v2, v6
	s_delay_alu instid0(VALU_DEP_2) | instskip(NEXT) | instid1(VALU_DEP_2)
	v_cmp_ne_u32_e32 vcc_lo, 0, v4
	v_cmp_ne_u32_e64 s0, 0, v6
	v_lshrrev_b32_e32 v4, 23, v2
	s_and_b32 s0, vcc_lo, s0
	s_delay_alu instid0(SALU_CYCLE_1) | instskip(NEXT) | instid1(VALU_DEP_1)
	v_cndmask_b32_e64 v6, 0, 1, s0
	v_add_nc_u32_e32 v4, v4, v6
.LBB150_723:
	s_or_b32 exec_lo, exec_lo, s33
	s_mov_b32 s33, -1
	s_mov_b32 s0, 0
	global_store_b8 v[0:1], v4, off
.LBB150_724:
	s_mov_b32 s34, 0
.LBB150_725:
	s_delay_alu instid0(SALU_CYCLE_1)
	s_and_b32 vcc_lo, exec_lo, s34
	s_cbranch_vccz .LBB150_728
; %bb.726:
	s_cmp_eq_u32 s31, 29
	s_mov_b32 s0, -1
	s_cbranch_scc0 .LBB150_728
; %bb.727:
	s_wait_xcnt 0x0
	v_trunc_f32_e32 v4, v2
	s_mov_b32 s33, -1
	s_mov_b32 s0, 0
	s_mov_b32 s34, 0
	s_delay_alu instid0(VALU_DEP_1) | instskip(NEXT) | instid1(VALU_DEP_1)
	v_mul_f32_e32 v6, 0x2f800000, v4
	v_floor_f32_e32 v6, v6
	s_delay_alu instid0(VALU_DEP_1) | instskip(SKIP_1) | instid1(VALU_DEP_2)
	v_fmamk_f32 v4, v6, 0xcf800000, v4
	v_cvt_u32_f32_e32 v7, v6
	v_cvt_u32_f32_e32 v6, v4
	global_store_b64 v[0:1], v[6:7], off
	s_branch .LBB150_729
.LBB150_728:
	s_mov_b32 s34, 0
.LBB150_729:
	s_delay_alu instid0(SALU_CYCLE_1)
	s_and_b32 vcc_lo, exec_lo, s34
	s_cbranch_vccz .LBB150_745
; %bb.730:
	s_cmp_lt_i32 s31, 27
	s_mov_b32 s33, -1
	s_cbranch_scc1 .LBB150_736
; %bb.731:
	s_wait_xcnt 0x0
	v_cvt_u32_f32_e32 v4, v2
	s_cmp_gt_i32 s31, 27
	s_cbranch_scc0 .LBB150_733
; %bb.732:
	s_mov_b32 s33, 0
	global_store_b32 v[0:1], v4, off
.LBB150_733:
	s_and_not1_b32 vcc_lo, exec_lo, s33
	s_cbranch_vccnz .LBB150_735
; %bb.734:
	global_store_b16 v[0:1], v4, off
.LBB150_735:
	s_mov_b32 s33, 0
.LBB150_736:
	s_delay_alu instid0(SALU_CYCLE_1)
	s_and_not1_b32 vcc_lo, exec_lo, s33
	s_cbranch_vccnz .LBB150_744
; %bb.737:
	s_wait_xcnt 0x0
	v_and_b32_e32 v4, 0x7fffffff, v2
	v_mov_b32_e32 v6, 0x80
	s_mov_b32 s33, exec_lo
	s_delay_alu instid0(VALU_DEP_2)
	v_cmpx_gt_u32_e32 0x43800000, v4
	s_cbranch_execz .LBB150_743
; %bb.738:
	v_cmp_lt_u32_e32 vcc_lo, 0x3bffffff, v4
	s_mov_b32 s34, 0
                                        ; implicit-def: $vgpr4
	s_and_saveexec_b32 s35, vcc_lo
	s_delay_alu instid0(SALU_CYCLE_1)
	s_xor_b32 s35, exec_lo, s35
	s_cbranch_execz .LBB150_866
; %bb.739:
	v_bfe_u32 v4, v2, 20, 1
	s_mov_b32 s34, exec_lo
	s_delay_alu instid0(VALU_DEP_1) | instskip(NEXT) | instid1(VALU_DEP_1)
	v_add3_u32 v4, v2, v4, 0x487ffff
	v_lshrrev_b32_e32 v4, 20, v4
	s_and_not1_saveexec_b32 s35, s35
	s_cbranch_execnz .LBB150_867
.LBB150_740:
	s_or_b32 exec_lo, exec_lo, s35
	v_mov_b32_e32 v6, 0
	s_and_saveexec_b32 s35, s34
.LBB150_741:
	v_lshrrev_b32_e32 v6, 24, v2
	s_delay_alu instid0(VALU_DEP_1)
	v_and_or_b32 v6, 0x80, v6, v4
.LBB150_742:
	s_or_b32 exec_lo, exec_lo, s35
.LBB150_743:
	s_delay_alu instid0(SALU_CYCLE_1)
	s_or_b32 exec_lo, exec_lo, s33
	global_store_b8 v[0:1], v6, off
.LBB150_744:
	s_mov_b32 s33, -1
.LBB150_745:
	s_mov_b32 s34, 0
.LBB150_746:
	s_delay_alu instid0(SALU_CYCLE_1)
	s_and_b32 vcc_lo, exec_lo, s34
	s_cbranch_vccz .LBB150_787
; %bb.747:
	s_cmp_gt_i32 s31, 22
	s_mov_b32 s34, -1
	s_cbranch_scc0 .LBB150_779
; %bb.748:
	s_cmp_lt_i32 s31, 24
	s_mov_b32 s33, -1
	s_cbranch_scc1 .LBB150_768
; %bb.749:
	s_cmp_gt_i32 s31, 24
	s_cbranch_scc0 .LBB150_757
; %bb.750:
	s_wait_xcnt 0x0
	v_and_b32_e32 v4, 0x7fffffff, v2
	v_mov_b32_e32 v6, 0x80
	s_mov_b32 s33, exec_lo
	s_delay_alu instid0(VALU_DEP_2)
	v_cmpx_gt_u32_e32 0x47800000, v4
	s_cbranch_execz .LBB150_756
; %bb.751:
	v_cmp_lt_u32_e32 vcc_lo, 0x37ffffff, v4
	s_mov_b32 s34, 0
                                        ; implicit-def: $vgpr4
	s_and_saveexec_b32 s35, vcc_lo
	s_delay_alu instid0(SALU_CYCLE_1)
	s_xor_b32 s35, exec_lo, s35
	s_cbranch_execz .LBB150_1002
; %bb.752:
	v_bfe_u32 v4, v2, 21, 1
	s_mov_b32 s34, exec_lo
	s_delay_alu instid0(VALU_DEP_1) | instskip(NEXT) | instid1(VALU_DEP_1)
	v_add3_u32 v4, v2, v4, 0x88fffff
	v_lshrrev_b32_e32 v4, 21, v4
	s_and_not1_saveexec_b32 s35, s35
	s_cbranch_execnz .LBB150_1003
.LBB150_753:
	s_or_b32 exec_lo, exec_lo, s35
	v_mov_b32_e32 v6, 0
	s_and_saveexec_b32 s35, s34
.LBB150_754:
	v_lshrrev_b32_e32 v6, 24, v2
	s_delay_alu instid0(VALU_DEP_1)
	v_and_or_b32 v6, 0x80, v6, v4
.LBB150_755:
	s_or_b32 exec_lo, exec_lo, s35
.LBB150_756:
	s_delay_alu instid0(SALU_CYCLE_1)
	s_or_b32 exec_lo, exec_lo, s33
	s_mov_b32 s33, 0
	global_store_b8 v[0:1], v6, off
.LBB150_757:
	s_and_b32 vcc_lo, exec_lo, s33
	s_cbranch_vccz .LBB150_767
; %bb.758:
	s_wait_xcnt 0x0
	v_and_b32_e32 v6, 0x7fffffff, v2
	s_mov_b32 s33, exec_lo
                                        ; implicit-def: $vgpr4
	s_delay_alu instid0(VALU_DEP_1)
	v_cmpx_gt_u32_e32 0x43f00000, v6
	s_xor_b32 s33, exec_lo, s33
	s_cbranch_execz .LBB150_764
; %bb.759:
	s_mov_b32 s34, exec_lo
                                        ; implicit-def: $vgpr4
	v_cmpx_lt_u32_e32 0x3c7fffff, v6
	s_xor_b32 s34, exec_lo, s34
; %bb.760:
	v_bfe_u32 v4, v2, 20, 1
	s_delay_alu instid0(VALU_DEP_1) | instskip(NEXT) | instid1(VALU_DEP_1)
	v_add3_u32 v4, v2, v4, 0x407ffff
	v_and_b32_e32 v6, 0xff00000, v4
	v_lshrrev_b32_e32 v4, 20, v4
	s_delay_alu instid0(VALU_DEP_2) | instskip(NEXT) | instid1(VALU_DEP_2)
	v_cmp_ne_u32_e32 vcc_lo, 0x7f00000, v6
	v_cndmask_b32_e32 v4, 0x7e, v4, vcc_lo
; %bb.761:
	s_and_not1_saveexec_b32 s34, s34
; %bb.762:
	v_add_f32_e64 v4, 0x46800000, |v2|
; %bb.763:
	s_or_b32 exec_lo, exec_lo, s34
                                        ; implicit-def: $vgpr6
.LBB150_764:
	s_and_not1_saveexec_b32 s33, s33
; %bb.765:
	v_mov_b32_e32 v4, 0x7f
	v_cmp_lt_u32_e32 vcc_lo, 0x7f800000, v6
	s_delay_alu instid0(VALU_DEP_2)
	v_cndmask_b32_e32 v4, 0x7e, v4, vcc_lo
; %bb.766:
	s_or_b32 exec_lo, exec_lo, s33
	v_lshrrev_b32_e32 v6, 24, v2
	s_delay_alu instid0(VALU_DEP_1)
	v_and_or_b32 v4, 0x80, v6, v4
	global_store_b8 v[0:1], v4, off
.LBB150_767:
	s_mov_b32 s33, 0
.LBB150_768:
	s_delay_alu instid0(SALU_CYCLE_1)
	s_and_not1_b32 vcc_lo, exec_lo, s33
	s_cbranch_vccnz .LBB150_778
; %bb.769:
	s_wait_xcnt 0x0
	v_and_b32_e32 v6, 0x7fffffff, v2
	s_mov_b32 s33, exec_lo
                                        ; implicit-def: $vgpr4
	s_delay_alu instid0(VALU_DEP_1)
	v_cmpx_gt_u32_e32 0x47800000, v6
	s_xor_b32 s33, exec_lo, s33
	s_cbranch_execz .LBB150_775
; %bb.770:
	s_mov_b32 s34, exec_lo
                                        ; implicit-def: $vgpr4
	v_cmpx_lt_u32_e32 0x387fffff, v6
	s_xor_b32 s34, exec_lo, s34
; %bb.771:
	v_bfe_u32 v4, v2, 21, 1
	s_delay_alu instid0(VALU_DEP_1) | instskip(NEXT) | instid1(VALU_DEP_1)
	v_add3_u32 v4, v2, v4, 0x80fffff
	v_lshrrev_b32_e32 v4, 21, v4
; %bb.772:
	s_and_not1_saveexec_b32 s34, s34
; %bb.773:
	v_add_f32_e64 v4, 0x43000000, |v2|
; %bb.774:
	s_or_b32 exec_lo, exec_lo, s34
                                        ; implicit-def: $vgpr6
.LBB150_775:
	s_and_not1_saveexec_b32 s33, s33
; %bb.776:
	v_mov_b32_e32 v4, 0x7f
	v_cmp_lt_u32_e32 vcc_lo, 0x7f800000, v6
	s_delay_alu instid0(VALU_DEP_2)
	v_cndmask_b32_e32 v4, 0x7c, v4, vcc_lo
; %bb.777:
	s_or_b32 exec_lo, exec_lo, s33
	v_lshrrev_b32_e32 v6, 24, v2
	s_delay_alu instid0(VALU_DEP_1)
	v_and_or_b32 v4, 0x80, v6, v4
	global_store_b8 v[0:1], v4, off
.LBB150_778:
	s_mov_b32 s34, 0
	s_mov_b32 s33, -1
.LBB150_779:
	s_and_not1_b32 vcc_lo, exec_lo, s34
	s_cbranch_vccnz .LBB150_787
; %bb.780:
	s_cmp_gt_i32 s31, 14
	s_mov_b32 s34, -1
	s_cbranch_scc0 .LBB150_784
; %bb.781:
	s_cmp_eq_u32 s31, 15
	s_mov_b32 s0, -1
	s_cbranch_scc0 .LBB150_783
; %bb.782:
	s_wait_xcnt 0x0
	v_bfe_u32 v4, v2, 16, 1
	v_cmp_o_f32_e32 vcc_lo, v2, v2
	s_mov_b32 s33, -1
	s_mov_b32 s0, 0
	s_delay_alu instid0(VALU_DEP_2) | instskip(NEXT) | instid1(VALU_DEP_1)
	v_add3_u32 v4, v2, v4, 0x7fff
	v_lshrrev_b32_e32 v4, 16, v4
	s_delay_alu instid0(VALU_DEP_1)
	v_cndmask_b32_e32 v4, 0x7fc0, v4, vcc_lo
	global_store_b16 v[0:1], v4, off
.LBB150_783:
	s_mov_b32 s34, 0
.LBB150_784:
	s_delay_alu instid0(SALU_CYCLE_1)
	s_and_b32 vcc_lo, exec_lo, s34
	s_cbranch_vccz .LBB150_787
; %bb.785:
	s_cmp_eq_u32 s31, 11
	s_mov_b32 s0, -1
	s_cbranch_scc0 .LBB150_787
; %bb.786:
	v_cmp_neq_f32_e32 vcc_lo, 0, v2
	v_cmp_neq_f32_e64 s0, 0, v5
	s_mov_b32 s33, -1
	s_or_b32 s0, vcc_lo, s0
	s_wait_xcnt 0x0
	v_cndmask_b32_e64 v4, 0, 1, s0
	s_mov_b32 s0, 0
	global_store_b8 v[0:1], v4, off
.LBB150_787:
	s_mov_b32 s31, 0
.LBB150_788:
	s_delay_alu instid0(SALU_CYCLE_1)
	s_and_b32 vcc_lo, exec_lo, s31
	s_cbranch_vccz .LBB150_827
; %bb.789:
	s_and_b32 s28, 0xffff, s28
	s_mov_b32 s31, -1
	s_cmp_lt_i32 s28, 5
	s_cbranch_scc1 .LBB150_810
; %bb.790:
	s_cmp_lt_i32 s28, 8
	s_cbranch_scc1 .LBB150_800
; %bb.791:
	;; [unrolled: 3-line block ×3, first 2 shown]
	s_cmp_gt_i32 s28, 9
	s_cbranch_scc0 .LBB150_794
; %bb.793:
	s_wait_xcnt 0x0
	v_cvt_f64_f32_e32 v[6:7], v2
	v_cvt_f64_f32_e32 v[8:9], v5
	s_mov_b32 s31, 0
	global_store_b128 v[0:1], v[6:9], off
.LBB150_794:
	s_and_not1_b32 vcc_lo, exec_lo, s31
	s_cbranch_vccnz .LBB150_796
; %bb.795:
	global_store_b64 v[0:1], v[2:3], off
.LBB150_796:
	s_mov_b32 s31, 0
.LBB150_797:
	s_delay_alu instid0(SALU_CYCLE_1)
	s_and_not1_b32 vcc_lo, exec_lo, s31
	s_cbranch_vccnz .LBB150_799
; %bb.798:
	s_wait_xcnt 0x0
	v_cvt_f16_f32_e32 v3, v5
	v_cvt_f16_f32_e32 v4, v2
	s_delay_alu instid0(VALU_DEP_2) | instskip(NEXT) | instid1(VALU_DEP_2)
	v_lshlrev_b32_e32 v3, 16, v3
	v_and_b32_e32 v4, 0xffff, v4
	s_delay_alu instid0(VALU_DEP_1)
	v_or_b32_e32 v3, v3, v4
	global_store_b32 v[0:1], v3, off
.LBB150_799:
	s_mov_b32 s31, 0
.LBB150_800:
	s_delay_alu instid0(SALU_CYCLE_1)
	s_and_not1_b32 vcc_lo, exec_lo, s31
	s_cbranch_vccnz .LBB150_809
; %bb.801:
	s_cmp_lt_i32 s28, 6
	s_mov_b32 s31, -1
	s_cbranch_scc1 .LBB150_807
; %bb.802:
	s_cmp_gt_i32 s28, 6
	s_cbranch_scc0 .LBB150_804
; %bb.803:
	s_wait_xcnt 0x0
	v_cvt_f64_f32_e32 v[4:5], v2
	s_mov_b32 s31, 0
	global_store_b64 v[0:1], v[4:5], off
.LBB150_804:
	s_and_not1_b32 vcc_lo, exec_lo, s31
	s_cbranch_vccnz .LBB150_806
; %bb.805:
	global_store_b32 v[0:1], v2, off
.LBB150_806:
	s_mov_b32 s31, 0
.LBB150_807:
	s_delay_alu instid0(SALU_CYCLE_1)
	s_and_not1_b32 vcc_lo, exec_lo, s31
	s_cbranch_vccnz .LBB150_809
; %bb.808:
	s_wait_xcnt 0x0
	v_cvt_f16_f32_e32 v3, v2
	global_store_b16 v[0:1], v3, off
.LBB150_809:
	s_mov_b32 s31, 0
.LBB150_810:
	s_delay_alu instid0(SALU_CYCLE_1)
	s_and_not1_b32 vcc_lo, exec_lo, s31
	s_cbranch_vccnz .LBB150_826
; %bb.811:
	s_cmp_lt_i32 s28, 2
	s_mov_b32 s31, -1
	s_cbranch_scc1 .LBB150_821
; %bb.812:
	s_cmp_lt_i32 s28, 3
	s_cbranch_scc1 .LBB150_818
; %bb.813:
	s_cmp_gt_i32 s28, 3
	s_cbranch_scc0 .LBB150_815
; %bb.814:
	s_wait_xcnt 0x0
	v_trunc_f32_e32 v3, v2
	s_mov_b32 s31, 0
	s_delay_alu instid0(VALU_DEP_1) | instskip(NEXT) | instid1(VALU_DEP_1)
	v_mul_f32_e64 v4, 0x2f800000, |v3|
	v_floor_f32_e32 v5, v4
	v_ashrrev_i32_e32 v4, 31, v3
	s_delay_alu instid0(VALU_DEP_2) | instskip(SKIP_1) | instid1(VALU_DEP_3)
	v_fma_f32 v6, 0xcf800000, v5, |v3|
	v_cvt_u32_f32_e32 v3, v5
	v_mov_b32_e32 v5, v4
	s_delay_alu instid0(VALU_DEP_3) | instskip(NEXT) | instid1(VALU_DEP_3)
	v_cvt_u32_f32_e32 v6, v6
	v_xor_b32_e32 v7, v3, v4
	s_delay_alu instid0(VALU_DEP_2) | instskip(NEXT) | instid1(VALU_DEP_1)
	v_xor_b32_e32 v6, v6, v4
	v_sub_nc_u64_e32 v[4:5], v[6:7], v[4:5]
	global_store_b64 v[0:1], v[4:5], off
.LBB150_815:
	s_and_not1_b32 vcc_lo, exec_lo, s31
	s_cbranch_vccnz .LBB150_817
; %bb.816:
	s_wait_xcnt 0x0
	v_cvt_i32_f32_e32 v3, v2
	global_store_b32 v[0:1], v3, off
.LBB150_817:
	s_mov_b32 s31, 0
.LBB150_818:
	s_delay_alu instid0(SALU_CYCLE_1)
	s_and_not1_b32 vcc_lo, exec_lo, s31
	s_cbranch_vccnz .LBB150_820
; %bb.819:
	s_wait_xcnt 0x0
	v_cvt_i32_f32_e32 v3, v2
	global_store_b16 v[0:1], v3, off
.LBB150_820:
	s_mov_b32 s31, 0
.LBB150_821:
	s_delay_alu instid0(SALU_CYCLE_1)
	s_and_not1_b32 vcc_lo, exec_lo, s31
	s_cbranch_vccnz .LBB150_826
; %bb.822:
	s_cmp_gt_i32 s28, 0
	s_mov_b32 s28, -1
	s_cbranch_scc0 .LBB150_824
; %bb.823:
	s_wait_xcnt 0x0
	v_cvt_i32_f32_e32 v3, v2
	s_mov_b32 s28, 0
	global_store_b8 v[0:1], v3, off
.LBB150_824:
	s_and_not1_b32 vcc_lo, exec_lo, s28
	s_cbranch_vccnz .LBB150_826
; %bb.825:
	s_wait_xcnt 0x0
	v_trunc_f32_e32 v2, v2
	s_delay_alu instid0(VALU_DEP_1) | instskip(NEXT) | instid1(VALU_DEP_1)
	v_mul_f32_e64 v3, 0x2f800000, |v2|
	v_floor_f32_e32 v3, v3
	s_delay_alu instid0(VALU_DEP_1) | instskip(SKIP_1) | instid1(VALU_DEP_2)
	v_fma_f32 v3, 0xcf800000, v3, |v2|
	v_ashrrev_i32_e32 v2, 31, v2
	v_cvt_u32_f32_e32 v3, v3
	s_delay_alu instid0(VALU_DEP_1) | instskip(NEXT) | instid1(VALU_DEP_1)
	v_xor_b32_e32 v3, v3, v2
	v_sub_nc_u32_e32 v2, v3, v2
	global_store_b8 v[0:1], v2, off
.LBB150_826:
	s_mov_b32 s33, -1
.LBB150_827:
	s_delay_alu instid0(SALU_CYCLE_1)
	s_and_not1_b32 vcc_lo, exec_lo, s33
	s_cbranch_vccnz .LBB150_838
; %bb.828:
	v_add_nc_u32_e32 v18, 0x80, v18
	s_mov_b32 s31, -1
.LBB150_829:
	s_and_not1_b32 s28, s21, exec_lo
	s_and_b32 s0, s0, exec_lo
	s_and_not1_b32 s33, s22, exec_lo
	s_and_b32 s34, s27, exec_lo
	s_or_b32 s27, s28, s0
	s_or_b32 s28, s33, s34
	s_and_not1_b32 s0, s23, exec_lo
	s_and_b32 s26, s26, exec_lo
	s_and_not1_b32 s33, s24, exec_lo
	s_and_b32 s34, s29, exec_lo
	s_or_b32 s29, s0, s26
	s_or_b32 s26, s33, s34
	s_or_not1_b32 s31, s31, exec_lo
.LBB150_830:
	s_wait_xcnt 0x0
	s_or_b32 exec_lo, exec_lo, s30
	s_mov_b32 s0, 0
	s_and_saveexec_b32 s30, s31
	s_cbranch_execz .LBB150_1274
; %bb.831:
	s_mov_b32 s34, -1
	s_mov_b32 s0, s26
	s_mov_b32 s33, s29
	;; [unrolled: 1-line block ×4, first 2 shown]
	s_mov_b32 s31, exec_lo
	v_cmpx_gt_i32_e64 s20, v18
	s_cbranch_execz .LBB150_1250
; %bb.832:
	s_and_b32 s33, s18, 0xff
	s_delay_alu instid0(SALU_CYCLE_1)
	s_cmp_lt_i32 s33, 23
	s_cbranch_scc1 .LBB150_836
; %bb.833:
	s_and_b32 s35, 0xffff, s33
	s_delay_alu instid0(SALU_CYCLE_1)
	s_cmp_gt_i32 s35, 43
	s_cbranch_scc0 .LBB150_837
; %bb.834:
	s_cmp_gt_i32 s35, 45
	s_cbranch_scc0 .LBB150_839
; %bb.835:
	s_cmp_eq_u32 s35, 46
	s_mov_b32 s36, 0
	s_cselect_b32 s0, -1, 0
	s_or_b32 s34, s26, exec_lo
	s_branch .LBB150_840
.LBB150_836:
	s_mov_b32 s35, -1
	s_mov_b32 s0, 0
	s_mov_b32 s34, s26
	s_branch .LBB150_846
.LBB150_837:
	s_mov_b32 s36, -1
	s_mov_b32 s0, 0
	s_mov_b32 s34, s26
	s_branch .LBB150_843
.LBB150_838:
	s_mov_b32 s31, 0
	s_branch .LBB150_440
.LBB150_839:
	s_mov_b32 s36, -1
	s_mov_b32 s0, 0
	s_mov_b32 s34, s26
.LBB150_840:
	s_and_not1_b32 vcc_lo, exec_lo, s36
	s_cbranch_vccnz .LBB150_842
; %bb.841:
	s_cmp_eq_u32 s35, 44
	s_cselect_b32 s0, -1, 0
	s_cmp_lg_u32 s35, 44
	s_cselect_b32 s36, -1, 0
	s_and_not1_b32 s34, s34, exec_lo
	s_and_b32 s36, s36, exec_lo
	s_delay_alu instid0(SALU_CYCLE_1)
	s_or_b32 s34, s34, s36
.LBB150_842:
	s_mov_b32 s36, 0
.LBB150_843:
	s_delay_alu instid0(SALU_CYCLE_1)
	s_and_b32 vcc_lo, exec_lo, s36
	s_cbranch_vccz .LBB150_845
; %bb.844:
	s_cmp_lt_i32 s35, 30
	s_cselect_b32 s0, -1, 0
	s_cmp_gt_i32 s35, 29
	s_cselect_b32 s35, -1, 0
	s_and_not1_b32 s34, s34, exec_lo
	s_and_b32 s35, s35, exec_lo
	s_delay_alu instid0(SALU_CYCLE_1)
	s_or_b32 s34, s34, s35
.LBB150_845:
	s_mov_b32 s35, 0
.LBB150_846:
	s_delay_alu instid0(SALU_CYCLE_1)
	s_and_b32 vcc_lo, exec_lo, s35
	s_cbranch_vccz .LBB150_851
; %bb.847:
	s_and_b32 s33, 0xffff, s33
	s_mov_b32 s35, -1
	s_cmp_gt_i32 s33, 14
	s_cbranch_scc0 .LBB150_849
; %bb.848:
	s_cmp_eq_u32 s33, 15
	s_cselect_b32 s0, -1, 0
	s_cmp_lg_u32 s33, 15
	s_cselect_b32 s35, -1, 0
	s_and_not1_b32 s34, s34, exec_lo
	s_and_b32 s36, s35, exec_lo
	s_mov_b32 s35, 0
	s_or_b32 s34, s34, s36
.LBB150_849:
	s_and_not1_b32 vcc_lo, exec_lo, s35
	s_cbranch_vccnz .LBB150_851
; %bb.850:
	s_cmp_lt_i32 s33, 12
	s_cselect_b32 s0, -1, 0
	s_cmp_gt_i32 s33, 11
	s_cselect_b32 s33, -1, 0
	s_and_not1_b32 s34, s34, exec_lo
	s_and_b32 s33, s33, exec_lo
	s_delay_alu instid0(SALU_CYCLE_1)
	s_or_b32 s34, s34, s33
.LBB150_851:
	s_and_b32 vcc_lo, exec_lo, s0
	s_cbranch_vccz .LBB150_859
; %bb.852:
	s_wait_loadcnt 0x0
	v_mul_lo_u32 v0, v18, s4
	s_and_b32 s0, s16, 0xff
	s_delay_alu instid0(SALU_CYCLE_1) | instskip(NEXT) | instid1(VALU_DEP_1)
	s_cmp_lt_i32 s0, 11
	v_ashrrev_i32_e32 v1, 31, v0
	s_delay_alu instid0(VALU_DEP_1)
	v_add_nc_u64_e32 v[2:3], s[8:9], v[0:1]
	s_cbranch_scc1 .LBB150_861
; %bb.853:
	s_and_b32 s34, 0xffff, s0
	s_delay_alu instid0(SALU_CYCLE_1)
	s_cmp_gt_i32 s34, 25
	s_cbranch_scc0 .LBB150_862
; %bb.854:
	s_cmp_gt_i32 s34, 28
	s_cbranch_scc0 .LBB150_863
; %bb.855:
	;; [unrolled: 3-line block ×4, first 2 shown]
	s_cmp_eq_u32 s34, 46
	s_mov_b32 s36, 0
	s_cbranch_scc0 .LBB150_868
; %bb.858:
	global_load_b32 v0, v[2:3], off
	s_mov_b32 s35, -1
	s_mov_b32 s33, 0
	s_wait_loadcnt 0x0
	v_and_b32_e32 v1, 0xffff0000, v0
	v_lshlrev_b32_e32 v0, 16, v0
	s_branch .LBB150_870
.LBB150_859:
	s_mov_b32 s37, 0
	s_mov_b32 s0, s27
	;; [unrolled: 1-line block ×4, first 2 shown]
.LBB150_860:
                                        ; implicit-def: $vgpr18
	s_branch .LBB150_1249
.LBB150_861:
	s_mov_b32 s34, -1
	s_mov_b32 s35, 0
	s_mov_b32 s33, s29
                                        ; implicit-def: $vgpr1
	s_branch .LBB150_938
.LBB150_862:
	s_mov_b32 s36, -1
	s_mov_b32 s35, 0
	s_mov_b32 s33, s29
                                        ; implicit-def: $vgpr1
	s_branch .LBB150_901
.LBB150_863:
	s_mov_b32 s36, -1
	s_mov_b32 s35, 0
	s_mov_b32 s33, s29
                                        ; implicit-def: $vgpr1
	s_branch .LBB150_882
.LBB150_864:
	s_mov_b32 s36, -1
	s_mov_b32 s35, 0
	s_mov_b32 s33, s29
                                        ; implicit-def: $vgpr1
	s_branch .LBB150_876
.LBB150_865:
	s_mov_b32 s36, -1
	s_mov_b32 s35, 0
	s_mov_b32 s33, s29
	s_branch .LBB150_869
.LBB150_866:
	s_and_not1_saveexec_b32 s35, s35
	s_cbranch_execz .LBB150_740
.LBB150_867:
	v_add_f32_e64 v4, 0x46000000, |v2|
	s_and_not1_b32 s34, s34, exec_lo
	s_delay_alu instid0(VALU_DEP_1) | instskip(NEXT) | instid1(VALU_DEP_1)
	v_and_b32_e32 v4, 0xff, v4
	v_cmp_ne_u32_e32 vcc_lo, 0, v4
	s_and_b32 s36, vcc_lo, exec_lo
	s_delay_alu instid0(SALU_CYCLE_1)
	s_or_b32 s34, s34, s36
	s_or_b32 exec_lo, exec_lo, s35
	v_mov_b32_e32 v6, 0
	s_and_saveexec_b32 s35, s34
	s_cbranch_execnz .LBB150_741
	s_branch .LBB150_742
.LBB150_868:
	s_mov_b32 s33, -1
	s_mov_b32 s35, 0
.LBB150_869:
                                        ; implicit-def: $vgpr1
.LBB150_870:
	s_and_b32 vcc_lo, exec_lo, s36
	s_cbranch_vccz .LBB150_875
; %bb.871:
	s_cmp_eq_u32 s34, 44
	s_cbranch_scc0 .LBB150_873
; %bb.872:
	global_load_u8 v0, v[2:3], off
	s_mov_b32 s33, 0
	s_mov_b32 s35, -1
	s_wait_loadcnt 0x0
	v_lshlrev_b32_e32 v1, 23, v0
	v_cmp_ne_u32_e32 vcc_lo, 0xff, v0
	s_delay_alu instid0(VALU_DEP_2) | instskip(SKIP_1) | instid1(VALU_DEP_2)
	v_cndmask_b32_e32 v1, 0x7f800001, v1, vcc_lo
	v_cmp_ne_u32_e32 vcc_lo, 0, v0
	v_cndmask_b32_e32 v0, 0x400000, v1, vcc_lo
	s_branch .LBB150_874
.LBB150_873:
	s_mov_b32 s33, -1
                                        ; implicit-def: $vgpr0
.LBB150_874:
	v_mov_b32_e32 v1, 0
.LBB150_875:
	s_mov_b32 s36, 0
.LBB150_876:
	s_delay_alu instid0(SALU_CYCLE_1)
	s_and_b32 vcc_lo, exec_lo, s36
	s_cbranch_vccz .LBB150_881
; %bb.877:
	s_cmp_eq_u32 s34, 29
	s_cbranch_scc0 .LBB150_879
; %bb.878:
	global_load_b64 v[0:1], v[2:3], off
	s_mov_b32 s35, -1
	s_mov_b32 s33, 0
	s_wait_loadcnt 0x0
	v_clz_i32_u32_e32 v4, v1
	s_delay_alu instid0(VALU_DEP_1) | instskip(NEXT) | instid1(VALU_DEP_1)
	v_min_u32_e32 v4, 32, v4
	v_lshlrev_b64_e32 v[0:1], v4, v[0:1]
	s_delay_alu instid0(VALU_DEP_1) | instskip(NEXT) | instid1(VALU_DEP_1)
	v_min_u32_e32 v0, 1, v0
	v_or_b32_e32 v0, v1, v0
	v_sub_nc_u32_e32 v1, 32, v4
	s_delay_alu instid0(VALU_DEP_2) | instskip(NEXT) | instid1(VALU_DEP_1)
	v_cvt_f32_u32_e32 v0, v0
	v_ldexp_f32 v0, v0, v1
	s_branch .LBB150_880
.LBB150_879:
	s_mov_b32 s33, -1
                                        ; implicit-def: $vgpr0
.LBB150_880:
	v_mov_b32_e32 v1, 0
.LBB150_881:
	s_mov_b32 s36, 0
.LBB150_882:
	s_delay_alu instid0(SALU_CYCLE_1)
	s_and_b32 vcc_lo, exec_lo, s36
	s_cbranch_vccz .LBB150_900
; %bb.883:
	s_cmp_lt_i32 s34, 27
	s_cbranch_scc1 .LBB150_886
; %bb.884:
	s_cmp_gt_i32 s34, 27
	s_cbranch_scc0 .LBB150_887
; %bb.885:
	global_load_b32 v0, v[2:3], off
	s_mov_b32 s35, 0
	s_wait_loadcnt 0x0
	v_cvt_f32_u32_e32 v0, v0
	s_branch .LBB150_888
.LBB150_886:
	s_mov_b32 s35, -1
                                        ; implicit-def: $vgpr0
	s_branch .LBB150_891
.LBB150_887:
	s_mov_b32 s35, -1
                                        ; implicit-def: $vgpr0
.LBB150_888:
	s_delay_alu instid0(SALU_CYCLE_1)
	s_and_not1_b32 vcc_lo, exec_lo, s35
	s_cbranch_vccnz .LBB150_890
; %bb.889:
	global_load_u16 v0, v[2:3], off
	s_wait_loadcnt 0x0
	v_cvt_f32_u32_e32 v0, v0
.LBB150_890:
	s_mov_b32 s35, 0
.LBB150_891:
	s_delay_alu instid0(SALU_CYCLE_1)
	s_and_not1_b32 vcc_lo, exec_lo, s35
	s_cbranch_vccnz .LBB150_899
; %bb.892:
	global_load_u8 v1, v[2:3], off
	s_mov_b32 s35, 0
	s_mov_b32 s36, exec_lo
	s_wait_loadcnt 0x0
	v_cmpx_lt_i16_e32 0x7f, v1
	s_xor_b32 s36, exec_lo, s36
	s_cbranch_execz .LBB150_913
; %bb.893:
	s_mov_b32 s35, -1
	s_mov_b32 s37, exec_lo
	v_cmpx_eq_u16_e32 0x80, v1
; %bb.894:
	s_xor_b32 s35, exec_lo, -1
; %bb.895:
	s_or_b32 exec_lo, exec_lo, s37
	s_delay_alu instid0(SALU_CYCLE_1)
	s_and_b32 s35, s35, exec_lo
	s_or_saveexec_b32 s36, s36
	v_mov_b32_e32 v0, 0x7f800001
	s_xor_b32 exec_lo, exec_lo, s36
	s_cbranch_execnz .LBB150_914
.LBB150_896:
	s_or_b32 exec_lo, exec_lo, s36
	s_and_saveexec_b32 s36, s35
	s_cbranch_execz .LBB150_898
.LBB150_897:
	v_and_b32_e32 v0, 0xffff, v1
	s_delay_alu instid0(VALU_DEP_1) | instskip(SKIP_1) | instid1(VALU_DEP_2)
	v_and_b32_e32 v4, 7, v0
	v_bfe_u32 v7, v0, 3, 4
	v_clz_i32_u32_e32 v5, v4
	s_delay_alu instid0(VALU_DEP_2) | instskip(NEXT) | instid1(VALU_DEP_2)
	v_cmp_eq_u32_e32 vcc_lo, 0, v7
	v_min_u32_e32 v5, 32, v5
	s_delay_alu instid0(VALU_DEP_1) | instskip(NEXT) | instid1(VALU_DEP_1)
	v_subrev_nc_u32_e32 v6, 28, v5
	v_dual_lshlrev_b32 v0, v6, v0 :: v_dual_sub_nc_u32 v5, 29, v5
	s_delay_alu instid0(VALU_DEP_1) | instskip(NEXT) | instid1(VALU_DEP_1)
	v_dual_lshlrev_b32 v1, 24, v1 :: v_dual_bitop2_b32 v0, 7, v0 bitop3:0x40
	v_dual_cndmask_b32 v0, v4, v0 :: v_dual_cndmask_b32 v5, v7, v5
	s_delay_alu instid0(VALU_DEP_2) | instskip(NEXT) | instid1(VALU_DEP_2)
	v_and_b32_e32 v1, 0x80000000, v1
	v_lshlrev_b32_e32 v0, 20, v0
	s_delay_alu instid0(VALU_DEP_3) | instskip(NEXT) | instid1(VALU_DEP_1)
	v_lshl_add_u32 v4, v5, 23, 0x3b800000
	v_or3_b32 v0, v1, v4, v0
.LBB150_898:
	s_or_b32 exec_lo, exec_lo, s36
.LBB150_899:
	v_mov_b32_e32 v1, 0
	s_mov_b32 s35, -1
.LBB150_900:
	s_mov_b32 s36, 0
.LBB150_901:
	s_delay_alu instid0(SALU_CYCLE_1)
	s_and_b32 vcc_lo, exec_lo, s36
	s_cbranch_vccz .LBB150_937
; %bb.902:
	s_cmp_gt_i32 s34, 22
	s_cbranch_scc0 .LBB150_912
; %bb.903:
	s_cmp_lt_i32 s34, 24
	s_cbranch_scc1 .LBB150_915
; %bb.904:
	s_cmp_gt_i32 s34, 24
	s_cbranch_scc0 .LBB150_916
; %bb.905:
	global_load_u8 v1, v[2:3], off
	s_mov_b32 s35, 0
	s_mov_b32 s36, exec_lo
	s_wait_loadcnt 0x0
	v_cmpx_lt_i16_e32 0x7f, v1
	s_xor_b32 s36, exec_lo, s36
	s_cbranch_execz .LBB150_928
; %bb.906:
	s_mov_b32 s35, -1
	s_mov_b32 s37, exec_lo
	v_cmpx_eq_u16_e32 0x80, v1
; %bb.907:
	s_xor_b32 s35, exec_lo, -1
; %bb.908:
	s_or_b32 exec_lo, exec_lo, s37
	s_delay_alu instid0(SALU_CYCLE_1)
	s_and_b32 s35, s35, exec_lo
	s_or_saveexec_b32 s36, s36
	v_mov_b32_e32 v0, 0x7f800001
	s_xor_b32 exec_lo, exec_lo, s36
	s_cbranch_execnz .LBB150_929
.LBB150_909:
	s_or_b32 exec_lo, exec_lo, s36
	s_and_saveexec_b32 s36, s35
	s_cbranch_execz .LBB150_911
.LBB150_910:
	v_and_b32_e32 v0, 0xffff, v1
	s_delay_alu instid0(VALU_DEP_1) | instskip(SKIP_1) | instid1(VALU_DEP_2)
	v_and_b32_e32 v4, 3, v0
	v_bfe_u32 v7, v0, 2, 5
	v_clz_i32_u32_e32 v5, v4
	s_delay_alu instid0(VALU_DEP_2) | instskip(NEXT) | instid1(VALU_DEP_2)
	v_cmp_eq_u32_e32 vcc_lo, 0, v7
	v_min_u32_e32 v5, 32, v5
	s_delay_alu instid0(VALU_DEP_1) | instskip(NEXT) | instid1(VALU_DEP_1)
	v_subrev_nc_u32_e32 v6, 29, v5
	v_dual_lshlrev_b32 v0, v6, v0 :: v_dual_sub_nc_u32 v5, 30, v5
	s_delay_alu instid0(VALU_DEP_1) | instskip(NEXT) | instid1(VALU_DEP_1)
	v_dual_lshlrev_b32 v1, 24, v1 :: v_dual_bitop2_b32 v0, 3, v0 bitop3:0x40
	v_dual_cndmask_b32 v0, v4, v0 :: v_dual_cndmask_b32 v5, v7, v5
	s_delay_alu instid0(VALU_DEP_2) | instskip(NEXT) | instid1(VALU_DEP_2)
	v_and_b32_e32 v1, 0x80000000, v1
	v_lshlrev_b32_e32 v0, 21, v0
	s_delay_alu instid0(VALU_DEP_3) | instskip(NEXT) | instid1(VALU_DEP_1)
	v_lshl_add_u32 v4, v5, 23, 0x37800000
	v_or3_b32 v0, v1, v4, v0
.LBB150_911:
	s_or_b32 exec_lo, exec_lo, s36
	s_mov_b32 s35, 0
	s_branch .LBB150_917
.LBB150_912:
	s_mov_b32 s36, -1
                                        ; implicit-def: $vgpr0
	s_branch .LBB150_923
.LBB150_913:
	s_or_saveexec_b32 s36, s36
	v_mov_b32_e32 v0, 0x7f800001
	s_xor_b32 exec_lo, exec_lo, s36
	s_cbranch_execz .LBB150_896
.LBB150_914:
	v_cmp_ne_u16_e32 vcc_lo, 0, v1
	v_mov_b32_e32 v0, 0
	s_and_not1_b32 s35, s35, exec_lo
	s_and_b32 s37, vcc_lo, exec_lo
	s_delay_alu instid0(SALU_CYCLE_1)
	s_or_b32 s35, s35, s37
	s_or_b32 exec_lo, exec_lo, s36
	s_and_saveexec_b32 s36, s35
	s_cbranch_execnz .LBB150_897
	s_branch .LBB150_898
.LBB150_915:
	s_mov_b32 s35, -1
                                        ; implicit-def: $vgpr0
	s_branch .LBB150_920
.LBB150_916:
	s_mov_b32 s35, -1
                                        ; implicit-def: $vgpr0
.LBB150_917:
	s_delay_alu instid0(SALU_CYCLE_1)
	s_and_b32 vcc_lo, exec_lo, s35
	s_cbranch_vccz .LBB150_919
; %bb.918:
	global_load_u8 v0, v[2:3], off
	s_wait_loadcnt 0x0
	v_lshlrev_b32_e32 v0, 24, v0
	s_delay_alu instid0(VALU_DEP_1) | instskip(NEXT) | instid1(VALU_DEP_1)
	v_and_b32_e32 v1, 0x7f000000, v0
	v_clz_i32_u32_e32 v4, v1
	v_cmp_ne_u32_e32 vcc_lo, 0, v1
	v_add_nc_u32_e32 v6, 0x1000000, v1
	s_delay_alu instid0(VALU_DEP_3) | instskip(NEXT) | instid1(VALU_DEP_1)
	v_min_u32_e32 v4, 32, v4
	v_sub_nc_u32_e64 v4, v4, 4 clamp
	s_delay_alu instid0(VALU_DEP_1) | instskip(NEXT) | instid1(VALU_DEP_1)
	v_dual_lshlrev_b32 v5, v4, v1 :: v_dual_lshlrev_b32 v4, 23, v4
	v_lshrrev_b32_e32 v5, 4, v5
	s_delay_alu instid0(VALU_DEP_1) | instskip(NEXT) | instid1(VALU_DEP_1)
	v_dual_sub_nc_u32 v4, v5, v4 :: v_dual_ashrrev_i32 v5, 8, v6
	v_add_nc_u32_e32 v4, 0x3c000000, v4
	s_delay_alu instid0(VALU_DEP_1) | instskip(NEXT) | instid1(VALU_DEP_1)
	v_and_or_b32 v4, 0x7f800000, v5, v4
	v_cndmask_b32_e32 v1, 0, v4, vcc_lo
	s_delay_alu instid0(VALU_DEP_1)
	v_and_or_b32 v0, 0x80000000, v0, v1
.LBB150_919:
	s_mov_b32 s35, 0
.LBB150_920:
	s_delay_alu instid0(SALU_CYCLE_1)
	s_and_not1_b32 vcc_lo, exec_lo, s35
	s_cbranch_vccnz .LBB150_922
; %bb.921:
	global_load_u8 v0, v[2:3], off
	s_wait_loadcnt 0x0
	v_lshlrev_b32_e32 v1, 25, v0
	v_lshlrev_b16 v0, 8, v0
	s_delay_alu instid0(VALU_DEP_1) | instskip(SKIP_1) | instid1(VALU_DEP_2)
	v_and_or_b32 v5, 0x7f00, v0, 0.5
	v_bfe_i32 v0, v0, 0, 16
	v_add_f32_e32 v5, -0.5, v5
	v_lshrrev_b32_e32 v4, 4, v1
	v_cmp_gt_u32_e32 vcc_lo, 0x8000000, v1
	s_delay_alu instid0(VALU_DEP_2) | instskip(NEXT) | instid1(VALU_DEP_1)
	v_or_b32_e32 v4, 0x70000000, v4
	v_mul_f32_e32 v4, 0x7800000, v4
	s_delay_alu instid0(VALU_DEP_1) | instskip(NEXT) | instid1(VALU_DEP_1)
	v_cndmask_b32_e32 v1, v4, v5, vcc_lo
	v_and_or_b32 v0, 0x80000000, v0, v1
.LBB150_922:
	s_mov_b32 s36, 0
	s_mov_b32 s35, -1
.LBB150_923:
	s_and_not1_b32 vcc_lo, exec_lo, s36
	s_cbranch_vccnz .LBB150_936
; %bb.924:
	s_cmp_gt_i32 s34, 14
	s_cbranch_scc0 .LBB150_927
; %bb.925:
	s_cmp_eq_u32 s34, 15
	s_cbranch_scc0 .LBB150_930
; %bb.926:
	global_load_u16 v0, v[2:3], off
	s_mov_b32 s35, -1
	s_mov_b32 s33, 0
	s_wait_loadcnt 0x0
	v_lshlrev_b32_e32 v0, 16, v0
	s_branch .LBB150_931
.LBB150_927:
	s_mov_b32 s36, -1
                                        ; implicit-def: $vgpr0
	s_branch .LBB150_932
.LBB150_928:
	s_or_saveexec_b32 s36, s36
	v_mov_b32_e32 v0, 0x7f800001
	s_xor_b32 exec_lo, exec_lo, s36
	s_cbranch_execz .LBB150_909
.LBB150_929:
	v_cmp_ne_u16_e32 vcc_lo, 0, v1
	v_mov_b32_e32 v0, 0
	s_and_not1_b32 s35, s35, exec_lo
	s_and_b32 s37, vcc_lo, exec_lo
	s_delay_alu instid0(SALU_CYCLE_1)
	s_or_b32 s35, s35, s37
	s_or_b32 exec_lo, exec_lo, s36
	s_and_saveexec_b32 s36, s35
	s_cbranch_execnz .LBB150_910
	s_branch .LBB150_911
.LBB150_930:
	s_mov_b32 s33, -1
                                        ; implicit-def: $vgpr0
.LBB150_931:
	s_mov_b32 s36, 0
.LBB150_932:
	s_delay_alu instid0(SALU_CYCLE_1)
	s_and_b32 vcc_lo, exec_lo, s36
	s_cbranch_vccz .LBB150_936
; %bb.933:
	s_cmp_eq_u32 s34, 11
	s_cbranch_scc0 .LBB150_935
; %bb.934:
	global_load_u8 v0, v[2:3], off
	s_mov_b32 s33, 0
	s_mov_b32 s35, -1
	v_mov_b32_e32 v1, 0
	s_wait_loadcnt 0x0
	v_cmp_ne_u16_e32 vcc_lo, 0, v0
	v_cndmask_b32_e64 v0, 0, 1.0, vcc_lo
	s_branch .LBB150_937
.LBB150_935:
	s_mov_b32 s33, -1
                                        ; implicit-def: $vgpr0
.LBB150_936:
	v_mov_b32_e32 v1, 0
.LBB150_937:
	s_mov_b32 s34, 0
.LBB150_938:
	s_delay_alu instid0(SALU_CYCLE_1)
	s_and_b32 vcc_lo, exec_lo, s34
	s_cbranch_vccz .LBB150_989
; %bb.939:
	s_and_b32 s0, 0xffff, s0
	s_delay_alu instid0(SALU_CYCLE_1)
	s_cmp_lt_i32 s0, 5
	s_cbranch_scc1 .LBB150_944
; %bb.940:
	s_cmp_lt_i32 s0, 8
	s_cbranch_scc1 .LBB150_945
; %bb.941:
	;; [unrolled: 3-line block ×3, first 2 shown]
	s_cmp_gt_i32 s0, 9
	s_cbranch_scc0 .LBB150_947
; %bb.943:
	global_load_b128 v[4:7], v[2:3], off
	s_mov_b32 s34, 0
	s_wait_loadcnt 0x0
	v_cvt_f32_f64_e32 v0, v[4:5]
	v_cvt_f32_f64_e32 v1, v[6:7]
	s_branch .LBB150_948
.LBB150_944:
	s_mov_b32 s34, -1
                                        ; implicit-def: $vgpr1
	s_branch .LBB150_967
.LBB150_945:
	s_mov_b32 s34, -1
                                        ; implicit-def: $vgpr1
	s_branch .LBB150_954
.LBB150_946:
	s_mov_b32 s34, -1
                                        ; implicit-def: $vgpr1
	s_branch .LBB150_951
.LBB150_947:
	s_mov_b32 s34, -1
                                        ; implicit-def: $vgpr1
.LBB150_948:
	s_delay_alu instid0(SALU_CYCLE_1)
	s_and_not1_b32 vcc_lo, exec_lo, s34
	s_cbranch_vccnz .LBB150_950
; %bb.949:
	global_load_b64 v[0:1], v[2:3], off
.LBB150_950:
	s_mov_b32 s34, 0
.LBB150_951:
	s_delay_alu instid0(SALU_CYCLE_1)
	s_and_not1_b32 vcc_lo, exec_lo, s34
	s_cbranch_vccnz .LBB150_953
; %bb.952:
	s_wait_loadcnt 0x0
	global_load_b32 v0, v[2:3], off
	s_wait_loadcnt 0x0
	v_lshrrev_b32_e32 v1, 16, v0
	v_cvt_f32_f16_e32 v0, v0
	s_delay_alu instid0(VALU_DEP_2)
	v_cvt_f32_f16_e32 v1, v1
.LBB150_953:
	s_mov_b32 s34, 0
.LBB150_954:
	s_delay_alu instid0(SALU_CYCLE_1)
	s_and_not1_b32 vcc_lo, exec_lo, s34
	s_cbranch_vccnz .LBB150_966
; %bb.955:
	s_cmp_lt_i32 s0, 6
	s_cbranch_scc1 .LBB150_958
; %bb.956:
	s_cmp_gt_i32 s0, 6
	s_cbranch_scc0 .LBB150_959
; %bb.957:
	s_wait_loadcnt 0x0
	global_load_b64 v[0:1], v[2:3], off
	s_mov_b32 s34, 0
	s_wait_loadcnt 0x0
	v_cvt_f32_f64_e32 v0, v[0:1]
	s_branch .LBB150_960
.LBB150_958:
	s_mov_b32 s34, -1
                                        ; implicit-def: $vgpr0
	s_branch .LBB150_963
.LBB150_959:
	s_mov_b32 s34, -1
                                        ; implicit-def: $vgpr0
.LBB150_960:
	s_delay_alu instid0(SALU_CYCLE_1)
	s_and_not1_b32 vcc_lo, exec_lo, s34
	s_cbranch_vccnz .LBB150_962
; %bb.961:
	s_wait_loadcnt 0x0
	global_load_b32 v0, v[2:3], off
.LBB150_962:
	s_mov_b32 s34, 0
.LBB150_963:
	s_delay_alu instid0(SALU_CYCLE_1)
	s_and_not1_b32 vcc_lo, exec_lo, s34
	s_cbranch_vccnz .LBB150_965
; %bb.964:
	s_wait_loadcnt 0x0
	global_load_u16 v0, v[2:3], off
	s_wait_loadcnt 0x0
	v_cvt_f32_f16_e32 v0, v0
.LBB150_965:
	s_wait_loadcnt 0x0
	v_mov_b32_e32 v1, 0
.LBB150_966:
	s_mov_b32 s34, 0
.LBB150_967:
	s_delay_alu instid0(SALU_CYCLE_1)
	s_and_not1_b32 vcc_lo, exec_lo, s34
	s_cbranch_vccnz .LBB150_988
; %bb.968:
	s_cmp_lt_i32 s0, 2
	s_cbranch_scc1 .LBB150_972
; %bb.969:
	s_cmp_lt_i32 s0, 3
	s_cbranch_scc1 .LBB150_973
; %bb.970:
	s_cmp_gt_i32 s0, 3
	s_cbranch_scc0 .LBB150_974
; %bb.971:
	s_wait_loadcnt 0x0
	global_load_b64 v[0:1], v[2:3], off
	s_mov_b32 s34, 0
	s_wait_loadcnt 0x0
	v_xor_b32_e32 v4, v0, v1
	v_cls_i32_e32 v5, v1
	s_delay_alu instid0(VALU_DEP_2) | instskip(NEXT) | instid1(VALU_DEP_1)
	v_ashrrev_i32_e32 v4, 31, v4
	v_add_nc_u32_e32 v4, 32, v4
	s_delay_alu instid0(VALU_DEP_1) | instskip(NEXT) | instid1(VALU_DEP_1)
	v_add_min_u32_e64 v4, v5, -1, v4
	v_lshlrev_b64_e32 v[0:1], v4, v[0:1]
	s_delay_alu instid0(VALU_DEP_1) | instskip(NEXT) | instid1(VALU_DEP_1)
	v_min_u32_e32 v0, 1, v0
	v_or_b32_e32 v0, v1, v0
	v_sub_nc_u32_e32 v1, 32, v4
	s_delay_alu instid0(VALU_DEP_2) | instskip(NEXT) | instid1(VALU_DEP_1)
	v_cvt_f32_i32_e32 v0, v0
	v_ldexp_f32 v0, v0, v1
	s_branch .LBB150_975
.LBB150_972:
	s_mov_b32 s34, -1
                                        ; implicit-def: $vgpr0
	s_branch .LBB150_981
.LBB150_973:
	s_mov_b32 s34, -1
                                        ; implicit-def: $vgpr0
	s_branch .LBB150_978
.LBB150_974:
	s_mov_b32 s34, -1
                                        ; implicit-def: $vgpr0
.LBB150_975:
	s_delay_alu instid0(SALU_CYCLE_1)
	s_and_not1_b32 vcc_lo, exec_lo, s34
	s_cbranch_vccnz .LBB150_977
; %bb.976:
	s_wait_loadcnt 0x0
	global_load_b32 v0, v[2:3], off
	s_wait_loadcnt 0x0
	v_cvt_f32_i32_e32 v0, v0
.LBB150_977:
	s_mov_b32 s34, 0
.LBB150_978:
	s_delay_alu instid0(SALU_CYCLE_1)
	s_and_not1_b32 vcc_lo, exec_lo, s34
	s_cbranch_vccnz .LBB150_980
; %bb.979:
	s_wait_loadcnt 0x0
	global_load_i16 v0, v[2:3], off
	s_wait_loadcnt 0x0
	v_cvt_f32_i32_e32 v0, v0
.LBB150_980:
	s_mov_b32 s34, 0
.LBB150_981:
	s_delay_alu instid0(SALU_CYCLE_1)
	s_and_not1_b32 vcc_lo, exec_lo, s34
	s_cbranch_vccnz .LBB150_987
; %bb.982:
	s_cmp_gt_i32 s0, 0
	s_mov_b32 s0, 0
	s_cbranch_scc0 .LBB150_984
; %bb.983:
	s_wait_loadcnt 0x0
	global_load_i8 v0, v[2:3], off
	s_wait_loadcnt 0x0
	v_cvt_f32_i32_e32 v0, v0
	s_branch .LBB150_985
.LBB150_984:
	s_mov_b32 s0, -1
                                        ; implicit-def: $vgpr0
.LBB150_985:
	s_delay_alu instid0(SALU_CYCLE_1)
	s_and_not1_b32 vcc_lo, exec_lo, s0
	s_cbranch_vccnz .LBB150_987
; %bb.986:
	s_wait_loadcnt 0x0
	global_load_u8 v0, v[2:3], off
	s_wait_loadcnt 0x0
	v_cvt_f32_ubyte0_e32 v0, v0
.LBB150_987:
	s_wait_loadcnt 0x0
	v_mov_b32_e32 v1, 0
.LBB150_988:
	s_mov_b32 s35, -1
.LBB150_989:
	s_mov_b32 s34, 0
	s_mov_b32 s0, s27
	s_and_not1_b32 vcc_lo, exec_lo, s35
	s_mov_b32 s35, s28
	s_mov_b32 s37, 0
	s_cbranch_vccnz .LBB150_1249
; %bb.990:
	s_wait_xcnt 0x0
	v_mul_lo_u32 v2, v18, s5
	s_and_b32 s0, 0xffff, s1
	s_delay_alu instid0(SALU_CYCLE_1) | instskip(NEXT) | instid1(VALU_DEP_1)
	s_cmp_lt_i32 s0, 11
	v_ashrrev_i32_e32 v3, 31, v2
	s_delay_alu instid0(VALU_DEP_1)
	v_add_nc_u64_e32 v[2:3], s[10:11], v[2:3]
	s_cbranch_scc1 .LBB150_997
; %bb.991:
	s_cmp_gt_i32 s0, 25
	s_cbranch_scc0 .LBB150_998
; %bb.992:
	s_cmp_gt_i32 s0, 28
	s_cbranch_scc0 .LBB150_999
; %bb.993:
	s_cmp_gt_i32 s0, 43
	s_cbranch_scc0 .LBB150_1000
; %bb.994:
	s_cmp_gt_i32 s0, 45
	s_cbranch_scc0 .LBB150_1001
; %bb.995:
	s_cmp_eq_u32 s0, 46
	s_cbranch_scc0 .LBB150_1004
; %bb.996:
	global_load_b32 v4, v[2:3], off
	s_mov_b32 s36, -1
	s_mov_b32 s35, 0
	s_wait_loadcnt 0x0
	v_and_b32_e32 v7, 0xffff0000, v4
	v_lshlrev_b32_e32 v6, 16, v4
	s_branch .LBB150_1006
.LBB150_997:
	s_mov_b32 s37, -1
	s_mov_b32 s36, 0
	s_mov_b32 s35, s28
                                        ; implicit-def: $vgpr7
	s_branch .LBB150_1074
.LBB150_998:
	s_mov_b32 s37, -1
	s_mov_b32 s36, 0
	s_mov_b32 s35, s28
                                        ; implicit-def: $vgpr7
	s_branch .LBB150_1037
.LBB150_999:
	s_mov_b32 s37, -1
	s_mov_b32 s36, 0
	s_mov_b32 s35, s28
                                        ; implicit-def: $vgpr7
	s_branch .LBB150_1018
.LBB150_1000:
	s_mov_b32 s37, -1
	s_mov_b32 s36, 0
	s_mov_b32 s35, s28
                                        ; implicit-def: $vgpr7
	s_branch .LBB150_1012
.LBB150_1001:
	s_mov_b32 s37, -1
	s_mov_b32 s36, 0
	s_mov_b32 s35, s28
	s_branch .LBB150_1005
.LBB150_1002:
	s_and_not1_saveexec_b32 s35, s35
	s_cbranch_execz .LBB150_753
.LBB150_1003:
	v_add_f32_e64 v4, 0x42800000, |v2|
	s_and_not1_b32 s34, s34, exec_lo
	s_delay_alu instid0(VALU_DEP_1) | instskip(NEXT) | instid1(VALU_DEP_1)
	v_and_b32_e32 v4, 0xff, v4
	v_cmp_ne_u32_e32 vcc_lo, 0, v4
	s_and_b32 s36, vcc_lo, exec_lo
	s_delay_alu instid0(SALU_CYCLE_1)
	s_or_b32 s34, s34, s36
	s_or_b32 exec_lo, exec_lo, s35
	v_mov_b32_e32 v6, 0
	s_and_saveexec_b32 s35, s34
	s_cbranch_execnz .LBB150_754
	s_branch .LBB150_755
.LBB150_1004:
	s_mov_b32 s35, -1
	s_mov_b32 s36, 0
.LBB150_1005:
                                        ; implicit-def: $vgpr7
.LBB150_1006:
	s_and_b32 vcc_lo, exec_lo, s37
	s_cbranch_vccz .LBB150_1011
; %bb.1007:
	s_cmp_eq_u32 s0, 44
	s_cbranch_scc0 .LBB150_1009
; %bb.1008:
	global_load_u8 v4, v[2:3], off
	s_mov_b32 s35, 0
	s_mov_b32 s36, -1
	s_wait_loadcnt 0x0
	v_lshlrev_b32_e32 v5, 23, v4
	v_cmp_ne_u32_e32 vcc_lo, 0xff, v4
	s_delay_alu instid0(VALU_DEP_2) | instskip(SKIP_1) | instid1(VALU_DEP_2)
	v_cndmask_b32_e32 v5, 0x7f800001, v5, vcc_lo
	v_cmp_ne_u32_e32 vcc_lo, 0, v4
	v_cndmask_b32_e32 v6, 0x400000, v5, vcc_lo
	s_branch .LBB150_1010
.LBB150_1009:
	s_mov_b32 s35, -1
                                        ; implicit-def: $vgpr6
.LBB150_1010:
	v_mov_b32_e32 v7, 0
.LBB150_1011:
	s_mov_b32 s37, 0
.LBB150_1012:
	s_delay_alu instid0(SALU_CYCLE_1)
	s_and_b32 vcc_lo, exec_lo, s37
	s_cbranch_vccz .LBB150_1017
; %bb.1013:
	s_cmp_eq_u32 s0, 29
	s_cbranch_scc0 .LBB150_1015
; %bb.1014:
	global_load_b64 v[4:5], v[2:3], off
	s_mov_b32 s36, -1
	s_mov_b32 s35, 0
	s_wait_loadcnt 0x0
	v_clz_i32_u32_e32 v6, v5
	s_delay_alu instid0(VALU_DEP_1) | instskip(NEXT) | instid1(VALU_DEP_1)
	v_min_u32_e32 v6, 32, v6
	v_lshlrev_b64_e32 v[4:5], v6, v[4:5]
	s_delay_alu instid0(VALU_DEP_1) | instskip(NEXT) | instid1(VALU_DEP_1)
	v_min_u32_e32 v4, 1, v4
	v_dual_sub_nc_u32 v5, 32, v6 :: v_dual_bitop2_b32 v4, v5, v4 bitop3:0x54
	s_delay_alu instid0(VALU_DEP_1) | instskip(NEXT) | instid1(VALU_DEP_1)
	v_cvt_f32_u32_e32 v4, v4
	v_ldexp_f32 v6, v4, v5
	s_branch .LBB150_1016
.LBB150_1015:
	s_mov_b32 s35, -1
                                        ; implicit-def: $vgpr6
.LBB150_1016:
	v_mov_b32_e32 v7, 0
.LBB150_1017:
	s_mov_b32 s37, 0
.LBB150_1018:
	s_delay_alu instid0(SALU_CYCLE_1)
	s_and_b32 vcc_lo, exec_lo, s37
	s_cbranch_vccz .LBB150_1036
; %bb.1019:
	s_cmp_lt_i32 s0, 27
	s_cbranch_scc1 .LBB150_1022
; %bb.1020:
	s_cmp_gt_i32 s0, 27
	s_cbranch_scc0 .LBB150_1023
; %bb.1021:
	global_load_b32 v4, v[2:3], off
	s_mov_b32 s36, 0
	s_wait_loadcnt 0x0
	v_cvt_f32_u32_e32 v6, v4
	s_branch .LBB150_1024
.LBB150_1022:
	s_mov_b32 s36, -1
                                        ; implicit-def: $vgpr6
	s_branch .LBB150_1027
.LBB150_1023:
	s_mov_b32 s36, -1
                                        ; implicit-def: $vgpr6
.LBB150_1024:
	s_delay_alu instid0(SALU_CYCLE_1)
	s_and_not1_b32 vcc_lo, exec_lo, s36
	s_cbranch_vccnz .LBB150_1026
; %bb.1025:
	global_load_u16 v4, v[2:3], off
	s_wait_loadcnt 0x0
	v_cvt_f32_u32_e32 v6, v4
.LBB150_1026:
	s_mov_b32 s36, 0
.LBB150_1027:
	s_delay_alu instid0(SALU_CYCLE_1)
	s_and_not1_b32 vcc_lo, exec_lo, s36
	s_cbranch_vccnz .LBB150_1035
; %bb.1028:
	global_load_u8 v4, v[2:3], off
	s_mov_b32 s36, 0
	s_mov_b32 s37, exec_lo
	s_wait_loadcnt 0x0
	v_cmpx_lt_i16_e32 0x7f, v4
	s_xor_b32 s37, exec_lo, s37
	s_cbranch_execz .LBB150_1049
; %bb.1029:
	s_mov_b32 s36, -1
	s_mov_b32 s38, exec_lo
	v_cmpx_eq_u16_e32 0x80, v4
; %bb.1030:
	s_xor_b32 s36, exec_lo, -1
; %bb.1031:
	s_or_b32 exec_lo, exec_lo, s38
	s_delay_alu instid0(SALU_CYCLE_1)
	s_and_b32 s36, s36, exec_lo
	s_or_saveexec_b32 s37, s37
	v_mov_b32_e32 v6, 0x7f800001
	s_xor_b32 exec_lo, exec_lo, s37
	s_cbranch_execnz .LBB150_1050
.LBB150_1032:
	s_or_b32 exec_lo, exec_lo, s37
	s_and_saveexec_b32 s37, s36
	s_cbranch_execz .LBB150_1034
.LBB150_1033:
	v_and_b32_e32 v5, 0xffff, v4
	s_delay_alu instid0(VALU_DEP_1) | instskip(SKIP_1) | instid1(VALU_DEP_2)
	v_and_b32_e32 v6, 7, v5
	v_bfe_u32 v9, v5, 3, 4
	v_clz_i32_u32_e32 v7, v6
	s_delay_alu instid0(VALU_DEP_2) | instskip(NEXT) | instid1(VALU_DEP_2)
	v_cmp_eq_u32_e32 vcc_lo, 0, v9
	v_min_u32_e32 v7, 32, v7
	s_delay_alu instid0(VALU_DEP_1) | instskip(NEXT) | instid1(VALU_DEP_1)
	v_subrev_nc_u32_e32 v8, 28, v7
	v_dual_lshlrev_b32 v5, v8, v5 :: v_dual_sub_nc_u32 v7, 29, v7
	s_delay_alu instid0(VALU_DEP_1) | instskip(NEXT) | instid1(VALU_DEP_1)
	v_dual_lshlrev_b32 v4, 24, v4 :: v_dual_bitop2_b32 v5, 7, v5 bitop3:0x40
	v_dual_cndmask_b32 v7, v9, v7, vcc_lo :: v_dual_cndmask_b32 v5, v6, v5, vcc_lo
	s_delay_alu instid0(VALU_DEP_2) | instskip(NEXT) | instid1(VALU_DEP_2)
	v_and_b32_e32 v4, 0x80000000, v4
	v_lshl_add_u32 v6, v7, 23, 0x3b800000
	s_delay_alu instid0(VALU_DEP_3) | instskip(NEXT) | instid1(VALU_DEP_1)
	v_lshlrev_b32_e32 v5, 20, v5
	v_or3_b32 v6, v4, v6, v5
.LBB150_1034:
	s_or_b32 exec_lo, exec_lo, s37
.LBB150_1035:
	v_mov_b32_e32 v7, 0
	s_mov_b32 s36, -1
.LBB150_1036:
	s_mov_b32 s37, 0
.LBB150_1037:
	s_delay_alu instid0(SALU_CYCLE_1)
	s_and_b32 vcc_lo, exec_lo, s37
	s_cbranch_vccz .LBB150_1073
; %bb.1038:
	s_cmp_gt_i32 s0, 22
	s_cbranch_scc0 .LBB150_1048
; %bb.1039:
	s_cmp_lt_i32 s0, 24
	s_cbranch_scc1 .LBB150_1051
; %bb.1040:
	s_cmp_gt_i32 s0, 24
	s_cbranch_scc0 .LBB150_1052
; %bb.1041:
	global_load_u8 v4, v[2:3], off
	s_mov_b32 s36, 0
	s_mov_b32 s37, exec_lo
	s_wait_loadcnt 0x0
	v_cmpx_lt_i16_e32 0x7f, v4
	s_xor_b32 s37, exec_lo, s37
	s_cbranch_execz .LBB150_1064
; %bb.1042:
	s_mov_b32 s36, -1
	s_mov_b32 s38, exec_lo
	v_cmpx_eq_u16_e32 0x80, v4
; %bb.1043:
	s_xor_b32 s36, exec_lo, -1
; %bb.1044:
	s_or_b32 exec_lo, exec_lo, s38
	s_delay_alu instid0(SALU_CYCLE_1)
	s_and_b32 s36, s36, exec_lo
	s_or_saveexec_b32 s37, s37
	v_mov_b32_e32 v6, 0x7f800001
	s_xor_b32 exec_lo, exec_lo, s37
	s_cbranch_execnz .LBB150_1065
.LBB150_1045:
	s_or_b32 exec_lo, exec_lo, s37
	s_and_saveexec_b32 s37, s36
	s_cbranch_execz .LBB150_1047
.LBB150_1046:
	v_and_b32_e32 v5, 0xffff, v4
	s_delay_alu instid0(VALU_DEP_1) | instskip(SKIP_1) | instid1(VALU_DEP_2)
	v_and_b32_e32 v6, 3, v5
	v_bfe_u32 v9, v5, 2, 5
	v_clz_i32_u32_e32 v7, v6
	s_delay_alu instid0(VALU_DEP_2) | instskip(NEXT) | instid1(VALU_DEP_2)
	v_cmp_eq_u32_e32 vcc_lo, 0, v9
	v_min_u32_e32 v7, 32, v7
	s_delay_alu instid0(VALU_DEP_1) | instskip(NEXT) | instid1(VALU_DEP_1)
	v_subrev_nc_u32_e32 v8, 29, v7
	v_dual_lshlrev_b32 v5, v8, v5 :: v_dual_sub_nc_u32 v7, 30, v7
	s_delay_alu instid0(VALU_DEP_1) | instskip(NEXT) | instid1(VALU_DEP_1)
	v_dual_lshlrev_b32 v4, 24, v4 :: v_dual_bitop2_b32 v5, 3, v5 bitop3:0x40
	v_dual_cndmask_b32 v7, v9, v7, vcc_lo :: v_dual_cndmask_b32 v5, v6, v5, vcc_lo
	s_delay_alu instid0(VALU_DEP_2) | instskip(NEXT) | instid1(VALU_DEP_2)
	v_and_b32_e32 v4, 0x80000000, v4
	v_lshl_add_u32 v6, v7, 23, 0x37800000
	s_delay_alu instid0(VALU_DEP_3) | instskip(NEXT) | instid1(VALU_DEP_1)
	v_lshlrev_b32_e32 v5, 21, v5
	v_or3_b32 v6, v4, v6, v5
.LBB150_1047:
	s_or_b32 exec_lo, exec_lo, s37
	s_mov_b32 s36, 0
	s_branch .LBB150_1053
.LBB150_1048:
	s_mov_b32 s37, -1
                                        ; implicit-def: $vgpr6
	s_branch .LBB150_1059
.LBB150_1049:
	s_or_saveexec_b32 s37, s37
	v_mov_b32_e32 v6, 0x7f800001
	s_xor_b32 exec_lo, exec_lo, s37
	s_cbranch_execz .LBB150_1032
.LBB150_1050:
	v_cmp_ne_u16_e32 vcc_lo, 0, v4
	v_mov_b32_e32 v6, 0
	s_and_not1_b32 s36, s36, exec_lo
	s_and_b32 s38, vcc_lo, exec_lo
	s_delay_alu instid0(SALU_CYCLE_1)
	s_or_b32 s36, s36, s38
	s_or_b32 exec_lo, exec_lo, s37
	s_and_saveexec_b32 s37, s36
	s_cbranch_execnz .LBB150_1033
	s_branch .LBB150_1034
.LBB150_1051:
	s_mov_b32 s36, -1
                                        ; implicit-def: $vgpr6
	s_branch .LBB150_1056
.LBB150_1052:
	s_mov_b32 s36, -1
                                        ; implicit-def: $vgpr6
.LBB150_1053:
	s_delay_alu instid0(SALU_CYCLE_1)
	s_and_b32 vcc_lo, exec_lo, s36
	s_cbranch_vccz .LBB150_1055
; %bb.1054:
	global_load_u8 v4, v[2:3], off
	s_wait_loadcnt 0x0
	v_lshlrev_b32_e32 v4, 24, v4
	s_delay_alu instid0(VALU_DEP_1) | instskip(NEXT) | instid1(VALU_DEP_1)
	v_and_b32_e32 v5, 0x7f000000, v4
	v_clz_i32_u32_e32 v6, v5
	v_cmp_ne_u32_e32 vcc_lo, 0, v5
	v_add_nc_u32_e32 v8, 0x1000000, v5
	s_delay_alu instid0(VALU_DEP_3) | instskip(NEXT) | instid1(VALU_DEP_1)
	v_min_u32_e32 v6, 32, v6
	v_sub_nc_u32_e64 v6, v6, 4 clamp
	s_delay_alu instid0(VALU_DEP_1) | instskip(NEXT) | instid1(VALU_DEP_1)
	v_dual_lshlrev_b32 v7, v6, v5 :: v_dual_lshlrev_b32 v6, 23, v6
	v_lshrrev_b32_e32 v7, 4, v7
	s_delay_alu instid0(VALU_DEP_1) | instskip(NEXT) | instid1(VALU_DEP_1)
	v_dual_sub_nc_u32 v6, v7, v6 :: v_dual_ashrrev_i32 v7, 8, v8
	v_add_nc_u32_e32 v6, 0x3c000000, v6
	s_delay_alu instid0(VALU_DEP_1) | instskip(NEXT) | instid1(VALU_DEP_1)
	v_and_or_b32 v6, 0x7f800000, v7, v6
	v_cndmask_b32_e32 v5, 0, v6, vcc_lo
	s_delay_alu instid0(VALU_DEP_1)
	v_and_or_b32 v6, 0x80000000, v4, v5
.LBB150_1055:
	s_mov_b32 s36, 0
.LBB150_1056:
	s_delay_alu instid0(SALU_CYCLE_1)
	s_and_not1_b32 vcc_lo, exec_lo, s36
	s_cbranch_vccnz .LBB150_1058
; %bb.1057:
	global_load_u8 v4, v[2:3], off
	s_wait_loadcnt 0x0
	v_lshlrev_b32_e32 v5, 25, v4
	v_lshlrev_b16 v4, 8, v4
	s_delay_alu instid0(VALU_DEP_1) | instskip(SKIP_1) | instid1(VALU_DEP_2)
	v_and_or_b32 v7, 0x7f00, v4, 0.5
	v_bfe_i32 v4, v4, 0, 16
	v_dual_add_f32 v7, -0.5, v7 :: v_dual_lshrrev_b32 v6, 4, v5
	v_cmp_gt_u32_e32 vcc_lo, 0x8000000, v5
	s_delay_alu instid0(VALU_DEP_2) | instskip(NEXT) | instid1(VALU_DEP_1)
	v_or_b32_e32 v6, 0x70000000, v6
	v_mul_f32_e32 v6, 0x7800000, v6
	s_delay_alu instid0(VALU_DEP_1) | instskip(NEXT) | instid1(VALU_DEP_1)
	v_cndmask_b32_e32 v5, v6, v7, vcc_lo
	v_and_or_b32 v6, 0x80000000, v4, v5
.LBB150_1058:
	s_mov_b32 s37, 0
	s_mov_b32 s36, -1
.LBB150_1059:
	s_and_not1_b32 vcc_lo, exec_lo, s37
	s_cbranch_vccnz .LBB150_1072
; %bb.1060:
	s_cmp_gt_i32 s0, 14
	s_cbranch_scc0 .LBB150_1063
; %bb.1061:
	s_cmp_eq_u32 s0, 15
	s_cbranch_scc0 .LBB150_1066
; %bb.1062:
	global_load_u16 v4, v[2:3], off
	s_mov_b32 s36, -1
	s_mov_b32 s35, 0
	s_wait_loadcnt 0x0
	v_lshlrev_b32_e32 v6, 16, v4
	s_branch .LBB150_1067
.LBB150_1063:
	s_mov_b32 s37, -1
                                        ; implicit-def: $vgpr6
	s_branch .LBB150_1068
.LBB150_1064:
	s_or_saveexec_b32 s37, s37
	v_mov_b32_e32 v6, 0x7f800001
	s_xor_b32 exec_lo, exec_lo, s37
	s_cbranch_execz .LBB150_1045
.LBB150_1065:
	v_cmp_ne_u16_e32 vcc_lo, 0, v4
	v_mov_b32_e32 v6, 0
	s_and_not1_b32 s36, s36, exec_lo
	s_and_b32 s38, vcc_lo, exec_lo
	s_delay_alu instid0(SALU_CYCLE_1)
	s_or_b32 s36, s36, s38
	s_or_b32 exec_lo, exec_lo, s37
	s_and_saveexec_b32 s37, s36
	s_cbranch_execnz .LBB150_1046
	s_branch .LBB150_1047
.LBB150_1066:
	s_mov_b32 s35, -1
                                        ; implicit-def: $vgpr6
.LBB150_1067:
	s_mov_b32 s37, 0
.LBB150_1068:
	s_delay_alu instid0(SALU_CYCLE_1)
	s_and_b32 vcc_lo, exec_lo, s37
	s_cbranch_vccz .LBB150_1072
; %bb.1069:
	s_cmp_eq_u32 s0, 11
	s_cbranch_scc0 .LBB150_1071
; %bb.1070:
	global_load_u8 v4, v[2:3], off
	s_mov_b32 s35, 0
	s_mov_b32 s36, -1
	v_mov_b32_e32 v7, 0
	s_wait_loadcnt 0x0
	v_cmp_ne_u16_e32 vcc_lo, 0, v4
	v_cndmask_b32_e64 v6, 0, 1.0, vcc_lo
	s_branch .LBB150_1073
.LBB150_1071:
	s_mov_b32 s35, -1
                                        ; implicit-def: $vgpr6
.LBB150_1072:
	v_mov_b32_e32 v7, 0
.LBB150_1073:
	s_mov_b32 s37, 0
.LBB150_1074:
	s_delay_alu instid0(SALU_CYCLE_1)
	s_and_b32 vcc_lo, exec_lo, s37
	s_cbranch_vccz .LBB150_1125
; %bb.1075:
	s_cmp_lt_i32 s0, 5
	s_cbranch_scc1 .LBB150_1080
; %bb.1076:
	s_cmp_lt_i32 s0, 8
	s_cbranch_scc1 .LBB150_1081
	;; [unrolled: 3-line block ×3, first 2 shown]
; %bb.1078:
	s_cmp_gt_i32 s0, 9
	s_cbranch_scc0 .LBB150_1083
; %bb.1079:
	global_load_b128 v[6:9], v[2:3], off
	s_mov_b32 s36, 0
	s_wait_loadcnt 0x0
	v_cvt_f32_f64_e32 v6, v[6:7]
	v_cvt_f32_f64_e32 v7, v[8:9]
	s_branch .LBB150_1084
.LBB150_1080:
	s_mov_b32 s36, -1
                                        ; implicit-def: $vgpr7
	s_branch .LBB150_1103
.LBB150_1081:
	s_mov_b32 s36, -1
                                        ; implicit-def: $vgpr7
	s_branch .LBB150_1090
.LBB150_1082:
	s_mov_b32 s36, -1
                                        ; implicit-def: $vgpr7
	s_branch .LBB150_1087
.LBB150_1083:
	s_mov_b32 s36, -1
                                        ; implicit-def: $vgpr7
.LBB150_1084:
	s_delay_alu instid0(SALU_CYCLE_1)
	s_and_not1_b32 vcc_lo, exec_lo, s36
	s_cbranch_vccnz .LBB150_1086
; %bb.1085:
	global_load_b64 v[6:7], v[2:3], off
.LBB150_1086:
	s_mov_b32 s36, 0
.LBB150_1087:
	s_delay_alu instid0(SALU_CYCLE_1)
	s_and_not1_b32 vcc_lo, exec_lo, s36
	s_cbranch_vccnz .LBB150_1089
; %bb.1088:
	global_load_b32 v4, v[2:3], off
	s_wait_loadcnt 0x0
	v_lshrrev_b32_e32 v5, 16, v4
	v_cvt_f32_f16_e32 v6, v4
	s_delay_alu instid0(VALU_DEP_2)
	v_cvt_f32_f16_e32 v7, v5
.LBB150_1089:
	s_mov_b32 s36, 0
.LBB150_1090:
	s_delay_alu instid0(SALU_CYCLE_1)
	s_and_not1_b32 vcc_lo, exec_lo, s36
	s_cbranch_vccnz .LBB150_1102
; %bb.1091:
	s_cmp_lt_i32 s0, 6
	s_cbranch_scc1 .LBB150_1094
; %bb.1092:
	s_cmp_gt_i32 s0, 6
	s_cbranch_scc0 .LBB150_1095
; %bb.1093:
	global_load_b64 v[4:5], v[2:3], off
	s_mov_b32 s36, 0
	s_wait_loadcnt 0x0
	v_cvt_f32_f64_e32 v6, v[4:5]
	s_branch .LBB150_1096
.LBB150_1094:
	s_mov_b32 s36, -1
                                        ; implicit-def: $vgpr6
	s_branch .LBB150_1099
.LBB150_1095:
	s_mov_b32 s36, -1
                                        ; implicit-def: $vgpr6
.LBB150_1096:
	s_delay_alu instid0(SALU_CYCLE_1)
	s_and_not1_b32 vcc_lo, exec_lo, s36
	s_cbranch_vccnz .LBB150_1098
; %bb.1097:
	s_wait_loadcnt 0x0
	global_load_b32 v6, v[2:3], off
.LBB150_1098:
	s_mov_b32 s36, 0
.LBB150_1099:
	s_delay_alu instid0(SALU_CYCLE_1)
	s_and_not1_b32 vcc_lo, exec_lo, s36
	s_cbranch_vccnz .LBB150_1101
; %bb.1100:
	global_load_u16 v4, v[2:3], off
	s_wait_loadcnt 0x0
	v_cvt_f32_f16_e32 v6, v4
.LBB150_1101:
	s_wait_loadcnt 0x0
	v_mov_b32_e32 v7, 0
.LBB150_1102:
	s_mov_b32 s36, 0
.LBB150_1103:
	s_delay_alu instid0(SALU_CYCLE_1)
	s_and_not1_b32 vcc_lo, exec_lo, s36
	s_cbranch_vccnz .LBB150_1124
; %bb.1104:
	s_cmp_lt_i32 s0, 2
	s_cbranch_scc1 .LBB150_1108
; %bb.1105:
	s_cmp_lt_i32 s0, 3
	s_cbranch_scc1 .LBB150_1109
; %bb.1106:
	s_cmp_gt_i32 s0, 3
	s_cbranch_scc0 .LBB150_1110
; %bb.1107:
	global_load_b64 v[4:5], v[2:3], off
	s_mov_b32 s36, 0
	s_wait_loadcnt 0x0
	v_xor_b32_e32 v6, v4, v5
	v_cls_i32_e32 v7, v5
	s_delay_alu instid0(VALU_DEP_2) | instskip(NEXT) | instid1(VALU_DEP_1)
	v_ashrrev_i32_e32 v6, 31, v6
	v_add_nc_u32_e32 v6, 32, v6
	s_delay_alu instid0(VALU_DEP_1) | instskip(NEXT) | instid1(VALU_DEP_1)
	v_add_min_u32_e64 v6, v7, -1, v6
	v_lshlrev_b64_e32 v[4:5], v6, v[4:5]
	s_delay_alu instid0(VALU_DEP_1) | instskip(NEXT) | instid1(VALU_DEP_1)
	v_min_u32_e32 v4, 1, v4
	v_dual_sub_nc_u32 v5, 32, v6 :: v_dual_bitop2_b32 v4, v5, v4 bitop3:0x54
	s_delay_alu instid0(VALU_DEP_1) | instskip(NEXT) | instid1(VALU_DEP_1)
	v_cvt_f32_i32_e32 v4, v4
	v_ldexp_f32 v6, v4, v5
	s_branch .LBB150_1111
.LBB150_1108:
	s_mov_b32 s36, -1
                                        ; implicit-def: $vgpr6
	s_branch .LBB150_1117
.LBB150_1109:
	s_mov_b32 s36, -1
                                        ; implicit-def: $vgpr6
	s_branch .LBB150_1114
.LBB150_1110:
	s_mov_b32 s36, -1
                                        ; implicit-def: $vgpr6
.LBB150_1111:
	s_delay_alu instid0(SALU_CYCLE_1)
	s_and_not1_b32 vcc_lo, exec_lo, s36
	s_cbranch_vccnz .LBB150_1113
; %bb.1112:
	global_load_b32 v4, v[2:3], off
	s_wait_loadcnt 0x0
	v_cvt_f32_i32_e32 v6, v4
.LBB150_1113:
	s_mov_b32 s36, 0
.LBB150_1114:
	s_delay_alu instid0(SALU_CYCLE_1)
	s_and_not1_b32 vcc_lo, exec_lo, s36
	s_cbranch_vccnz .LBB150_1116
; %bb.1115:
	global_load_i16 v4, v[2:3], off
	s_wait_loadcnt 0x0
	v_cvt_f32_i32_e32 v6, v4
.LBB150_1116:
	s_mov_b32 s36, 0
.LBB150_1117:
	s_delay_alu instid0(SALU_CYCLE_1)
	s_and_not1_b32 vcc_lo, exec_lo, s36
	s_cbranch_vccnz .LBB150_1123
; %bb.1118:
	s_cmp_gt_i32 s0, 0
	s_mov_b32 s0, 0
	s_cbranch_scc0 .LBB150_1120
; %bb.1119:
	global_load_i8 v4, v[2:3], off
	s_wait_loadcnt 0x0
	v_cvt_f32_i32_e32 v6, v4
	s_branch .LBB150_1121
.LBB150_1120:
	s_mov_b32 s0, -1
                                        ; implicit-def: $vgpr6
.LBB150_1121:
	s_delay_alu instid0(SALU_CYCLE_1)
	s_and_not1_b32 vcc_lo, exec_lo, s0
	s_cbranch_vccnz .LBB150_1123
; %bb.1122:
	global_load_u8 v2, v[2:3], off
	s_wait_loadcnt 0x0
	v_cvt_f32_ubyte0_e32 v6, v2
.LBB150_1123:
	s_wait_loadcnt 0x0
	v_mov_b32_e32 v7, 0
.LBB150_1124:
	s_mov_b32 s36, -1
.LBB150_1125:
	s_delay_alu instid0(SALU_CYCLE_1)
	s_and_not1_b32 vcc_lo, exec_lo, s36
	s_cbranch_vccnz .LBB150_1133
; %bb.1126:
	s_wait_xcnt 0x0
	v_mov_b64_e32 v[2:3], s[12:13]
	v_mul_lo_u32 v10, v18, s14
	s_wait_loadcnt 0x0
	s_delay_alu instid0(VALU_DEP_3) | instskip(SKIP_1) | instid1(SALU_CYCLE_1)
	v_dual_mov_b32 v8, v7 :: v_dual_mov_b32 v9, v6
	s_and_b32 s36, s15, 0xff
	s_cmp_lt_i32 s36, 11
	s_delay_alu instid0(VALU_DEP_3) | instskip(SKIP_1) | instid1(VALU_DEP_2)
	v_pk_mul_f32 v[4:5], v[0:1], v[2:3]
	v_pk_mul_f32 v[0:1], v[0:1], v[2:3] op_sel:[0,1] op_sel_hi:[1,0]
	v_dual_add_f32 v2, v4, v5 :: v_dual_ashrrev_i32 v11, 31, v10
	s_delay_alu instid0(VALU_DEP_2) | instskip(NEXT) | instid1(VALU_DEP_2)
	v_pk_add_f32 v[12:13], v[0:1], v[0:1] op_sel:[0,1] op_sel_hi:[0,1] neg_lo:[0,1] neg_hi:[0,1]
	v_pk_mul_f32 v[2:3], v[2:3], v[8:9] op_sel_hi:[0,1]
	s_delay_alu instid0(VALU_DEP_3) | instskip(NEXT) | instid1(VALU_DEP_2)
	v_add_nc_u64_e32 v[0:1], s[2:3], v[10:11]
	v_pk_fma_f32 v[4:5], v[12:13], v[6:7], v[2:3]
	v_pk_fma_f32 v[2:3], v[12:13], v[6:7], v[2:3] neg_lo:[0,0,1] neg_hi:[0,0,1]
	s_delay_alu instid0(VALU_DEP_2)
	v_mov_b32_e32 v3, v5
	s_cbranch_scc1 .LBB150_1134
; %bb.1127:
	s_and_b32 s37, 0xffff, s36
	s_delay_alu instid0(SALU_CYCLE_1)
	s_cmp_gt_i32 s37, 25
	s_cbranch_scc0 .LBB150_1135
; %bb.1128:
	s_cmp_gt_i32 s37, 28
	s_cbranch_scc0 .LBB150_1136
; %bb.1129:
	;; [unrolled: 3-line block ×4, first 2 shown]
	s_mov_b32 s39, 0
	s_mov_b32 s0, -1
	s_cmp_eq_u32 s37, 46
	s_mov_b32 s38, 0
	s_cbranch_scc0 .LBB150_1139
; %bb.1132:
	v_dual_lshrrev_b32 v4, 16, v2 :: v_dual_lshrrev_b32 v6, 16, v5
	v_cmp_o_f32_e32 vcc_lo, v2, v2
	s_mov_b32 s38, -1
	s_mov_b32 s0, 0
	s_delay_alu instid0(VALU_DEP_2) | instskip(NEXT) | instid1(VALU_DEP_1)
	v_and_b32_e32 v4, 1, v4
	v_add3_u32 v4, v2, v4, 0x7fff
	s_delay_alu instid0(VALU_DEP_1) | instskip(NEXT) | instid1(VALU_DEP_1)
	v_dual_lshrrev_b32 v4, 16, v4 :: v_dual_bitop2_b32 v6, 1, v6 bitop3:0x40
	v_add3_u32 v6, v5, v6, 0x7fff
	s_delay_alu instid0(VALU_DEP_2) | instskip(NEXT) | instid1(VALU_DEP_2)
	v_cndmask_b32_e32 v4, 0x7fc0, v4, vcc_lo
	v_and_b32_e32 v6, 0xffff0000, v6
	v_cmp_o_f32_e32 vcc_lo, v5, v5
	s_delay_alu instid0(VALU_DEP_2) | instskip(NEXT) | instid1(VALU_DEP_1)
	v_cndmask_b32_e32 v6, 0x7fc00000, v6, vcc_lo
	v_or_b32_e32 v4, v6, v4
	global_store_b32 v[0:1], v4, off
	s_branch .LBB150_1139
.LBB150_1133:
	s_mov_b32 s37, 0
	s_mov_b32 s0, s27
	s_branch .LBB150_860
.LBB150_1134:
	s_mov_b32 s37, -1
	s_mov_b32 s38, 0
	s_mov_b32 s0, s27
	s_branch .LBB150_1208
.LBB150_1135:
	s_mov_b32 s39, -1
	s_mov_b32 s38, 0
	s_mov_b32 s0, s27
	s_branch .LBB150_1166
.LBB150_1136:
	s_mov_b32 s39, -1
	s_mov_b32 s38, 0
	s_mov_b32 s0, s27
	s_branch .LBB150_1149
.LBB150_1137:
	s_mov_b32 s39, -1
	s_mov_b32 s38, 0
	s_mov_b32 s0, s27
	s_branch .LBB150_1145
.LBB150_1138:
	s_mov_b32 s39, -1
	s_mov_b32 s38, 0
	s_mov_b32 s0, s27
.LBB150_1139:
	s_and_b32 vcc_lo, exec_lo, s39
	s_cbranch_vccz .LBB150_1144
; %bb.1140:
	s_cmp_eq_u32 s37, 44
	s_mov_b32 s0, -1
	s_cbranch_scc0 .LBB150_1144
; %bb.1141:
	v_bfe_u32 v6, v2, 23, 8
	s_wait_xcnt 0x0
	v_mov_b32_e32 v4, 0xff
	s_mov_b32 s38, exec_lo
	s_delay_alu instid0(VALU_DEP_2)
	v_cmpx_ne_u32_e32 0xff, v6
	s_cbranch_execz .LBB150_1143
; %bb.1142:
	v_and_b32_e32 v4, 0x400000, v2
	v_and_or_b32 v6, 0x3fffff, v2, v6
	s_delay_alu instid0(VALU_DEP_2) | instskip(NEXT) | instid1(VALU_DEP_2)
	v_cmp_ne_u32_e32 vcc_lo, 0, v4
	v_cmp_ne_u32_e64 s0, 0, v6
	v_lshrrev_b32_e32 v4, 23, v2
	s_and_b32 s0, vcc_lo, s0
	s_delay_alu instid0(SALU_CYCLE_1) | instskip(NEXT) | instid1(VALU_DEP_1)
	v_cndmask_b32_e64 v6, 0, 1, s0
	v_add_nc_u32_e32 v4, v4, v6
.LBB150_1143:
	s_or_b32 exec_lo, exec_lo, s38
	s_mov_b32 s38, -1
	s_mov_b32 s0, 0
	global_store_b8 v[0:1], v4, off
.LBB150_1144:
	s_mov_b32 s39, 0
.LBB150_1145:
	s_delay_alu instid0(SALU_CYCLE_1)
	s_and_b32 vcc_lo, exec_lo, s39
	s_cbranch_vccz .LBB150_1148
; %bb.1146:
	s_cmp_eq_u32 s37, 29
	s_mov_b32 s0, -1
	s_cbranch_scc0 .LBB150_1148
; %bb.1147:
	s_wait_xcnt 0x0
	v_trunc_f32_e32 v4, v2
	s_mov_b32 s38, -1
	s_mov_b32 s0, 0
	s_mov_b32 s39, 0
	s_delay_alu instid0(VALU_DEP_1) | instskip(NEXT) | instid1(VALU_DEP_1)
	v_mul_f32_e32 v6, 0x2f800000, v4
	v_floor_f32_e32 v6, v6
	s_delay_alu instid0(VALU_DEP_1) | instskip(SKIP_1) | instid1(VALU_DEP_2)
	v_fmamk_f32 v4, v6, 0xcf800000, v4
	v_cvt_u32_f32_e32 v7, v6
	v_cvt_u32_f32_e32 v6, v4
	global_store_b64 v[0:1], v[6:7], off
	s_branch .LBB150_1149
.LBB150_1148:
	s_mov_b32 s39, 0
.LBB150_1149:
	s_delay_alu instid0(SALU_CYCLE_1)
	s_and_b32 vcc_lo, exec_lo, s39
	s_cbranch_vccz .LBB150_1165
; %bb.1150:
	s_cmp_lt_i32 s37, 27
	s_mov_b32 s38, -1
	s_cbranch_scc1 .LBB150_1156
; %bb.1151:
	s_wait_xcnt 0x0
	v_cvt_u32_f32_e32 v4, v2
	s_cmp_gt_i32 s37, 27
	s_cbranch_scc0 .LBB150_1153
; %bb.1152:
	s_mov_b32 s38, 0
	global_store_b32 v[0:1], v4, off
.LBB150_1153:
	s_and_not1_b32 vcc_lo, exec_lo, s38
	s_cbranch_vccnz .LBB150_1155
; %bb.1154:
	global_store_b16 v[0:1], v4, off
.LBB150_1155:
	s_mov_b32 s38, 0
.LBB150_1156:
	s_delay_alu instid0(SALU_CYCLE_1)
	s_and_not1_b32 vcc_lo, exec_lo, s38
	s_cbranch_vccnz .LBB150_1164
; %bb.1157:
	s_wait_xcnt 0x0
	v_and_b32_e32 v4, 0x7fffffff, v2
	v_mov_b32_e32 v6, 0x80
	s_mov_b32 s38, exec_lo
	s_delay_alu instid0(VALU_DEP_2)
	v_cmpx_gt_u32_e32 0x43800000, v4
	s_cbranch_execz .LBB150_1163
; %bb.1158:
	v_cmp_lt_u32_e32 vcc_lo, 0x3bffffff, v4
	s_mov_b32 s39, 0
                                        ; implicit-def: $vgpr4
	s_and_saveexec_b32 s40, vcc_lo
	s_delay_alu instid0(SALU_CYCLE_1)
	s_xor_b32 s40, exec_lo, s40
	s_cbranch_execz .LBB150_2123
; %bb.1159:
	v_bfe_u32 v4, v2, 20, 1
	s_mov_b32 s39, exec_lo
	s_delay_alu instid0(VALU_DEP_1) | instskip(NEXT) | instid1(VALU_DEP_1)
	v_add3_u32 v4, v2, v4, 0x487ffff
	v_lshrrev_b32_e32 v4, 20, v4
	s_and_not1_saveexec_b32 s40, s40
	s_cbranch_execnz .LBB150_2124
.LBB150_1160:
	s_or_b32 exec_lo, exec_lo, s40
	v_mov_b32_e32 v6, 0
	s_and_saveexec_b32 s40, s39
.LBB150_1161:
	v_lshrrev_b32_e32 v6, 24, v2
	s_delay_alu instid0(VALU_DEP_1)
	v_and_or_b32 v6, 0x80, v6, v4
.LBB150_1162:
	s_or_b32 exec_lo, exec_lo, s40
.LBB150_1163:
	s_delay_alu instid0(SALU_CYCLE_1)
	s_or_b32 exec_lo, exec_lo, s38
	global_store_b8 v[0:1], v6, off
.LBB150_1164:
	s_mov_b32 s38, -1
.LBB150_1165:
	s_mov_b32 s39, 0
.LBB150_1166:
	s_delay_alu instid0(SALU_CYCLE_1)
	s_and_b32 vcc_lo, exec_lo, s39
	s_cbranch_vccz .LBB150_1207
; %bb.1167:
	s_cmp_gt_i32 s37, 22
	s_mov_b32 s39, -1
	s_cbranch_scc0 .LBB150_1199
; %bb.1168:
	s_cmp_lt_i32 s37, 24
	s_mov_b32 s38, -1
	s_cbranch_scc1 .LBB150_1188
; %bb.1169:
	s_cmp_gt_i32 s37, 24
	s_cbranch_scc0 .LBB150_1177
; %bb.1170:
	s_wait_xcnt 0x0
	v_and_b32_e32 v4, 0x7fffffff, v2
	v_mov_b32_e32 v6, 0x80
	s_mov_b32 s38, exec_lo
	s_delay_alu instid0(VALU_DEP_2)
	v_cmpx_gt_u32_e32 0x47800000, v4
	s_cbranch_execz .LBB150_1176
; %bb.1171:
	v_cmp_lt_u32_e32 vcc_lo, 0x37ffffff, v4
	s_mov_b32 s39, 0
                                        ; implicit-def: $vgpr4
	s_and_saveexec_b32 s40, vcc_lo
	s_delay_alu instid0(SALU_CYCLE_1)
	s_xor_b32 s40, exec_lo, s40
	s_cbranch_execz .LBB150_2281
; %bb.1172:
	v_bfe_u32 v4, v2, 21, 1
	s_mov_b32 s39, exec_lo
	s_delay_alu instid0(VALU_DEP_1) | instskip(NEXT) | instid1(VALU_DEP_1)
	v_add3_u32 v4, v2, v4, 0x88fffff
	v_lshrrev_b32_e32 v4, 21, v4
	s_and_not1_saveexec_b32 s40, s40
	s_cbranch_execnz .LBB150_2282
.LBB150_1173:
	s_or_b32 exec_lo, exec_lo, s40
	v_mov_b32_e32 v6, 0
	s_and_saveexec_b32 s40, s39
.LBB150_1174:
	v_lshrrev_b32_e32 v6, 24, v2
	s_delay_alu instid0(VALU_DEP_1)
	v_and_or_b32 v6, 0x80, v6, v4
.LBB150_1175:
	s_or_b32 exec_lo, exec_lo, s40
.LBB150_1176:
	s_delay_alu instid0(SALU_CYCLE_1)
	s_or_b32 exec_lo, exec_lo, s38
	s_mov_b32 s38, 0
	global_store_b8 v[0:1], v6, off
.LBB150_1177:
	s_and_b32 vcc_lo, exec_lo, s38
	s_cbranch_vccz .LBB150_1187
; %bb.1178:
	s_wait_xcnt 0x0
	v_and_b32_e32 v6, 0x7fffffff, v2
	s_mov_b32 s38, exec_lo
                                        ; implicit-def: $vgpr4
	s_delay_alu instid0(VALU_DEP_1)
	v_cmpx_gt_u32_e32 0x43f00000, v6
	s_xor_b32 s38, exec_lo, s38
	s_cbranch_execz .LBB150_1184
; %bb.1179:
	s_mov_b32 s39, exec_lo
                                        ; implicit-def: $vgpr4
	v_cmpx_lt_u32_e32 0x3c7fffff, v6
	s_xor_b32 s39, exec_lo, s39
; %bb.1180:
	v_bfe_u32 v4, v2, 20, 1
	s_delay_alu instid0(VALU_DEP_1) | instskip(NEXT) | instid1(VALU_DEP_1)
	v_add3_u32 v4, v2, v4, 0x407ffff
	v_and_b32_e32 v6, 0xff00000, v4
	v_lshrrev_b32_e32 v4, 20, v4
	s_delay_alu instid0(VALU_DEP_2) | instskip(NEXT) | instid1(VALU_DEP_2)
	v_cmp_ne_u32_e32 vcc_lo, 0x7f00000, v6
	v_cndmask_b32_e32 v4, 0x7e, v4, vcc_lo
; %bb.1181:
	s_and_not1_saveexec_b32 s39, s39
; %bb.1182:
	v_add_f32_e64 v4, 0x46800000, |v2|
; %bb.1183:
	s_or_b32 exec_lo, exec_lo, s39
                                        ; implicit-def: $vgpr6
.LBB150_1184:
	s_and_not1_saveexec_b32 s38, s38
; %bb.1185:
	v_mov_b32_e32 v4, 0x7f
	v_cmp_lt_u32_e32 vcc_lo, 0x7f800000, v6
	s_delay_alu instid0(VALU_DEP_2)
	v_cndmask_b32_e32 v4, 0x7e, v4, vcc_lo
; %bb.1186:
	s_or_b32 exec_lo, exec_lo, s38
	v_lshrrev_b32_e32 v6, 24, v2
	s_delay_alu instid0(VALU_DEP_1)
	v_and_or_b32 v4, 0x80, v6, v4
	global_store_b8 v[0:1], v4, off
.LBB150_1187:
	s_mov_b32 s38, 0
.LBB150_1188:
	s_delay_alu instid0(SALU_CYCLE_1)
	s_and_not1_b32 vcc_lo, exec_lo, s38
	s_cbranch_vccnz .LBB150_1198
; %bb.1189:
	s_wait_xcnt 0x0
	v_and_b32_e32 v6, 0x7fffffff, v2
	s_mov_b32 s38, exec_lo
                                        ; implicit-def: $vgpr4
	s_delay_alu instid0(VALU_DEP_1)
	v_cmpx_gt_u32_e32 0x47800000, v6
	s_xor_b32 s38, exec_lo, s38
	s_cbranch_execz .LBB150_1195
; %bb.1190:
	s_mov_b32 s39, exec_lo
                                        ; implicit-def: $vgpr4
	v_cmpx_lt_u32_e32 0x387fffff, v6
	s_xor_b32 s39, exec_lo, s39
; %bb.1191:
	v_bfe_u32 v4, v2, 21, 1
	s_delay_alu instid0(VALU_DEP_1) | instskip(NEXT) | instid1(VALU_DEP_1)
	v_add3_u32 v4, v2, v4, 0x80fffff
	v_lshrrev_b32_e32 v4, 21, v4
; %bb.1192:
	s_and_not1_saveexec_b32 s39, s39
; %bb.1193:
	v_add_f32_e64 v4, 0x43000000, |v2|
; %bb.1194:
	s_or_b32 exec_lo, exec_lo, s39
                                        ; implicit-def: $vgpr6
.LBB150_1195:
	s_and_not1_saveexec_b32 s38, s38
; %bb.1196:
	v_mov_b32_e32 v4, 0x7f
	v_cmp_lt_u32_e32 vcc_lo, 0x7f800000, v6
	s_delay_alu instid0(VALU_DEP_2)
	v_cndmask_b32_e32 v4, 0x7c, v4, vcc_lo
; %bb.1197:
	s_or_b32 exec_lo, exec_lo, s38
	v_lshrrev_b32_e32 v6, 24, v2
	s_delay_alu instid0(VALU_DEP_1)
	v_and_or_b32 v4, 0x80, v6, v4
	global_store_b8 v[0:1], v4, off
.LBB150_1198:
	s_mov_b32 s39, 0
	s_mov_b32 s38, -1
.LBB150_1199:
	s_and_not1_b32 vcc_lo, exec_lo, s39
	s_cbranch_vccnz .LBB150_1207
; %bb.1200:
	s_cmp_gt_i32 s37, 14
	s_mov_b32 s39, -1
	s_cbranch_scc0 .LBB150_1204
; %bb.1201:
	s_cmp_eq_u32 s37, 15
	s_mov_b32 s0, -1
	s_cbranch_scc0 .LBB150_1203
; %bb.1202:
	s_wait_xcnt 0x0
	v_bfe_u32 v4, v2, 16, 1
	v_cmp_o_f32_e32 vcc_lo, v2, v2
	s_mov_b32 s38, -1
	s_mov_b32 s0, 0
	s_delay_alu instid0(VALU_DEP_2) | instskip(NEXT) | instid1(VALU_DEP_1)
	v_add3_u32 v4, v2, v4, 0x7fff
	v_lshrrev_b32_e32 v4, 16, v4
	s_delay_alu instid0(VALU_DEP_1)
	v_cndmask_b32_e32 v4, 0x7fc0, v4, vcc_lo
	global_store_b16 v[0:1], v4, off
.LBB150_1203:
	s_mov_b32 s39, 0
.LBB150_1204:
	s_delay_alu instid0(SALU_CYCLE_1)
	s_and_b32 vcc_lo, exec_lo, s39
	s_cbranch_vccz .LBB150_1207
; %bb.1205:
	s_cmp_eq_u32 s37, 11
	s_mov_b32 s0, -1
	s_cbranch_scc0 .LBB150_1207
; %bb.1206:
	v_cmp_neq_f32_e32 vcc_lo, 0, v2
	v_cmp_neq_f32_e64 s0, 0, v5
	s_mov_b32 s38, -1
	s_or_b32 s0, vcc_lo, s0
	s_wait_xcnt 0x0
	v_cndmask_b32_e64 v4, 0, 1, s0
	s_mov_b32 s0, 0
	global_store_b8 v[0:1], v4, off
.LBB150_1207:
	s_mov_b32 s37, 0
.LBB150_1208:
	s_delay_alu instid0(SALU_CYCLE_1)
	s_and_b32 vcc_lo, exec_lo, s37
	s_cbranch_vccz .LBB150_1247
; %bb.1209:
	s_and_b32 s36, 0xffff, s36
	s_mov_b32 s37, -1
	s_cmp_lt_i32 s36, 5
	s_cbranch_scc1 .LBB150_1230
; %bb.1210:
	s_cmp_lt_i32 s36, 8
	s_cbranch_scc1 .LBB150_1220
; %bb.1211:
	;; [unrolled: 3-line block ×3, first 2 shown]
	s_cmp_gt_i32 s36, 9
	s_cbranch_scc0 .LBB150_1214
; %bb.1213:
	s_wait_xcnt 0x0
	v_cvt_f64_f32_e32 v[6:7], v2
	v_cvt_f64_f32_e32 v[8:9], v5
	s_mov_b32 s37, 0
	global_store_b128 v[0:1], v[6:9], off
.LBB150_1214:
	s_and_not1_b32 vcc_lo, exec_lo, s37
	s_cbranch_vccnz .LBB150_1216
; %bb.1215:
	global_store_b64 v[0:1], v[2:3], off
.LBB150_1216:
	s_mov_b32 s37, 0
.LBB150_1217:
	s_delay_alu instid0(SALU_CYCLE_1)
	s_and_not1_b32 vcc_lo, exec_lo, s37
	s_cbranch_vccnz .LBB150_1219
; %bb.1218:
	s_wait_xcnt 0x0
	v_cvt_f16_f32_e32 v3, v5
	v_cvt_f16_f32_e32 v4, v2
	s_delay_alu instid0(VALU_DEP_2) | instskip(NEXT) | instid1(VALU_DEP_2)
	v_lshlrev_b32_e32 v3, 16, v3
	v_and_b32_e32 v4, 0xffff, v4
	s_delay_alu instid0(VALU_DEP_1)
	v_or_b32_e32 v3, v3, v4
	global_store_b32 v[0:1], v3, off
.LBB150_1219:
	s_mov_b32 s37, 0
.LBB150_1220:
	s_delay_alu instid0(SALU_CYCLE_1)
	s_and_not1_b32 vcc_lo, exec_lo, s37
	s_cbranch_vccnz .LBB150_1229
; %bb.1221:
	s_cmp_lt_i32 s36, 6
	s_mov_b32 s37, -1
	s_cbranch_scc1 .LBB150_1227
; %bb.1222:
	s_cmp_gt_i32 s36, 6
	s_cbranch_scc0 .LBB150_1224
; %bb.1223:
	s_wait_xcnt 0x0
	v_cvt_f64_f32_e32 v[4:5], v2
	s_mov_b32 s37, 0
	global_store_b64 v[0:1], v[4:5], off
.LBB150_1224:
	s_and_not1_b32 vcc_lo, exec_lo, s37
	s_cbranch_vccnz .LBB150_1226
; %bb.1225:
	global_store_b32 v[0:1], v2, off
.LBB150_1226:
	s_mov_b32 s37, 0
.LBB150_1227:
	s_delay_alu instid0(SALU_CYCLE_1)
	s_and_not1_b32 vcc_lo, exec_lo, s37
	s_cbranch_vccnz .LBB150_1229
; %bb.1228:
	s_wait_xcnt 0x0
	v_cvt_f16_f32_e32 v3, v2
	global_store_b16 v[0:1], v3, off
.LBB150_1229:
	s_mov_b32 s37, 0
.LBB150_1230:
	s_delay_alu instid0(SALU_CYCLE_1)
	s_and_not1_b32 vcc_lo, exec_lo, s37
	s_cbranch_vccnz .LBB150_1246
; %bb.1231:
	s_cmp_lt_i32 s36, 2
	s_mov_b32 s37, -1
	s_cbranch_scc1 .LBB150_1241
; %bb.1232:
	s_cmp_lt_i32 s36, 3
	s_cbranch_scc1 .LBB150_1238
; %bb.1233:
	s_cmp_gt_i32 s36, 3
	s_cbranch_scc0 .LBB150_1235
; %bb.1234:
	s_wait_xcnt 0x0
	v_trunc_f32_e32 v3, v2
	s_mov_b32 s37, 0
	s_delay_alu instid0(VALU_DEP_1) | instskip(NEXT) | instid1(VALU_DEP_1)
	v_mul_f32_e64 v4, 0x2f800000, |v3|
	v_floor_f32_e32 v5, v4
	v_ashrrev_i32_e32 v4, 31, v3
	s_delay_alu instid0(VALU_DEP_2) | instskip(SKIP_1) | instid1(VALU_DEP_3)
	v_fma_f32 v6, 0xcf800000, v5, |v3|
	v_cvt_u32_f32_e32 v3, v5
	v_mov_b32_e32 v5, v4
	s_delay_alu instid0(VALU_DEP_3) | instskip(NEXT) | instid1(VALU_DEP_3)
	v_cvt_u32_f32_e32 v6, v6
	v_xor_b32_e32 v7, v3, v4
	s_delay_alu instid0(VALU_DEP_2) | instskip(NEXT) | instid1(VALU_DEP_1)
	v_xor_b32_e32 v6, v6, v4
	v_sub_nc_u64_e32 v[4:5], v[6:7], v[4:5]
	global_store_b64 v[0:1], v[4:5], off
.LBB150_1235:
	s_and_not1_b32 vcc_lo, exec_lo, s37
	s_cbranch_vccnz .LBB150_1237
; %bb.1236:
	s_wait_xcnt 0x0
	v_cvt_i32_f32_e32 v3, v2
	global_store_b32 v[0:1], v3, off
.LBB150_1237:
	s_mov_b32 s37, 0
.LBB150_1238:
	s_delay_alu instid0(SALU_CYCLE_1)
	s_and_not1_b32 vcc_lo, exec_lo, s37
	s_cbranch_vccnz .LBB150_1240
; %bb.1239:
	s_wait_xcnt 0x0
	v_cvt_i32_f32_e32 v3, v2
	global_store_b16 v[0:1], v3, off
.LBB150_1240:
	s_mov_b32 s37, 0
.LBB150_1241:
	s_delay_alu instid0(SALU_CYCLE_1)
	s_and_not1_b32 vcc_lo, exec_lo, s37
	s_cbranch_vccnz .LBB150_1246
; %bb.1242:
	s_cmp_gt_i32 s36, 0
	s_mov_b32 s36, -1
	s_cbranch_scc0 .LBB150_1244
; %bb.1243:
	s_wait_xcnt 0x0
	v_cvt_i32_f32_e32 v3, v2
	s_mov_b32 s36, 0
	global_store_b8 v[0:1], v3, off
.LBB150_1244:
	s_and_not1_b32 vcc_lo, exec_lo, s36
	s_cbranch_vccnz .LBB150_1246
; %bb.1245:
	s_wait_xcnt 0x0
	v_trunc_f32_e32 v2, v2
	s_delay_alu instid0(VALU_DEP_1) | instskip(NEXT) | instid1(VALU_DEP_1)
	v_mul_f32_e64 v3, 0x2f800000, |v2|
	v_floor_f32_e32 v3, v3
	s_delay_alu instid0(VALU_DEP_1) | instskip(SKIP_1) | instid1(VALU_DEP_2)
	v_fma_f32 v3, 0xcf800000, v3, |v2|
	v_ashrrev_i32_e32 v2, 31, v2
	v_cvt_u32_f32_e32 v3, v3
	s_delay_alu instid0(VALU_DEP_1) | instskip(NEXT) | instid1(VALU_DEP_1)
	v_xor_b32_e32 v3, v3, v2
	v_sub_nc_u32_e32 v2, v3, v2
	global_store_b8 v[0:1], v2, off
.LBB150_1246:
	s_mov_b32 s38, -1
.LBB150_1247:
	s_delay_alu instid0(SALU_CYCLE_1)
	s_and_not1_b32 vcc_lo, exec_lo, s38
	s_cbranch_vccnz .LBB150_1258
; %bb.1248:
	v_add_nc_u32_e32 v18, 0x80, v18
	s_mov_b32 s37, -1
.LBB150_1249:
	s_and_not1_b32 s36, s27, exec_lo
	s_and_b32 s0, s0, exec_lo
	s_and_not1_b32 s38, s28, exec_lo
	s_and_b32 s35, s35, exec_lo
	s_or_b32 s36, s36, s0
	s_or_b32 s35, s38, s35
	s_and_not1_b32 s0, s29, exec_lo
	s_and_b32 s33, s33, exec_lo
	s_and_not1_b32 s38, s26, exec_lo
	s_and_b32 s34, s34, exec_lo
	s_or_b32 s33, s0, s33
	s_or_b32 s0, s38, s34
	s_or_not1_b32 s34, s37, exec_lo
.LBB150_1250:
	s_wait_xcnt 0x0
	s_or_b32 exec_lo, exec_lo, s31
	s_mov_b32 s37, 0
	s_and_saveexec_b32 s31, s34
	s_cbranch_execz .LBB150_1273
; %bb.1251:
	v_cmp_gt_i32_e32 vcc_lo, s20, v18
	s_mov_b32 s34, 0
	s_mov_b32 s37, s0
	s_and_saveexec_b32 s20, vcc_lo
	s_cbranch_execz .LBB150_1272
; %bb.1252:
	s_and_b32 s38, s18, 0xff
	s_delay_alu instid0(SALU_CYCLE_1)
	s_cmp_lt_i32 s38, 23
	s_cbranch_scc1 .LBB150_1256
; %bb.1253:
	s_and_b32 s39, 0xffff, s38
	s_delay_alu instid0(SALU_CYCLE_1)
	s_cmp_gt_i32 s39, 43
	s_cbranch_scc0 .LBB150_1257
; %bb.1254:
	s_cmp_gt_i32 s39, 45
	s_cbranch_scc0 .LBB150_1259
; %bb.1255:
	s_cmp_lg_u32 s39, 46
	s_mov_b32 s40, 0
	s_cselect_b32 s34, -1, 0
	s_and_not1_b32 s37, s0, exec_lo
	s_and_b32 s41, s34, exec_lo
	s_mov_b32 s34, -1
	s_or_b32 s37, s37, s41
	s_branch .LBB150_1260
.LBB150_1256:
	s_mov_b32 s39, -1
	s_mov_b32 s37, s0
	s_branch .LBB150_1266
.LBB150_1257:
	s_mov_b32 s40, -1
	s_mov_b32 s37, s0
	s_branch .LBB150_1263
.LBB150_1258:
	s_mov_b32 s37, 0
	s_branch .LBB150_860
.LBB150_1259:
	s_mov_b32 s40, -1
	s_mov_b32 s37, s0
.LBB150_1260:
	s_and_not1_b32 vcc_lo, exec_lo, s40
	s_cbranch_vccnz .LBB150_1262
; %bb.1261:
	s_cmp_eq_u32 s39, 44
	s_cselect_b32 s34, -1, 0
	s_cmp_lg_u32 s39, 44
	s_cselect_b32 s40, -1, 0
	s_and_not1_b32 s37, s37, exec_lo
	s_and_b32 s40, s40, exec_lo
	s_delay_alu instid0(SALU_CYCLE_1)
	s_or_b32 s37, s37, s40
.LBB150_1262:
	s_mov_b32 s40, 0
.LBB150_1263:
	s_delay_alu instid0(SALU_CYCLE_1)
	s_and_b32 vcc_lo, exec_lo, s40
	s_cbranch_vccz .LBB150_1265
; %bb.1264:
	s_cmp_lt_i32 s39, 30
	s_cselect_b32 s34, -1, 0
	s_cmp_gt_i32 s39, 29
	s_cselect_b32 s39, -1, 0
	s_and_not1_b32 s37, s37, exec_lo
	s_and_b32 s39, s39, exec_lo
	s_delay_alu instid0(SALU_CYCLE_1)
	s_or_b32 s37, s37, s39
.LBB150_1265:
	s_mov_b32 s39, 0
.LBB150_1266:
	s_delay_alu instid0(SALU_CYCLE_1)
	s_and_b32 vcc_lo, exec_lo, s39
	s_cbranch_vccz .LBB150_1271
; %bb.1267:
	s_and_b32 s38, 0xffff, s38
	s_mov_b32 s39, -1
	s_cmp_gt_i32 s38, 14
	s_cbranch_scc0 .LBB150_1269
; %bb.1268:
	s_cmp_eq_u32 s38, 15
	s_cselect_b32 s34, -1, 0
	s_cmp_lg_u32 s38, 15
	s_cselect_b32 s39, -1, 0
	s_and_not1_b32 s37, s37, exec_lo
	s_and_b32 s40, s39, exec_lo
	s_mov_b32 s39, 0
	s_or_b32 s37, s37, s40
.LBB150_1269:
	s_and_not1_b32 vcc_lo, exec_lo, s39
	s_cbranch_vccnz .LBB150_1271
; %bb.1270:
	s_cmp_lt_i32 s38, 12
	s_cselect_b32 s34, -1, 0
	s_cmp_gt_i32 s38, 11
	s_cselect_b32 s38, -1, 0
	s_and_not1_b32 s37, s37, exec_lo
	s_and_b32 s38, s38, exec_lo
	s_delay_alu instid0(SALU_CYCLE_1)
	s_or_b32 s37, s37, s38
.LBB150_1271:
	s_and_not1_b32 s38, s0, exec_lo
	s_and_b32 s37, s37, exec_lo
	s_and_b32 s34, s34, exec_lo
	s_or_b32 s37, s38, s37
.LBB150_1272:
	s_or_b32 exec_lo, exec_lo, s20
	s_delay_alu instid0(SALU_CYCLE_1)
	s_and_not1_b32 s0, s0, exec_lo
	s_and_b32 s20, s37, exec_lo
	s_and_b32 s37, s34, exec_lo
	s_or_b32 s0, s0, s20
.LBB150_1273:
	s_or_b32 exec_lo, exec_lo, s31
	s_delay_alu instid0(SALU_CYCLE_1)
	s_and_not1_b32 s20, s27, exec_lo
	s_and_b32 s27, s36, exec_lo
	s_and_not1_b32 s29, s29, exec_lo
	s_or_b32 s27, s20, s27
	s_and_not1_b32 s20, s28, exec_lo
	s_and_b32 s28, s35, exec_lo
	s_and_b32 s31, s33, exec_lo
	s_or_b32 s28, s20, s28
	s_and_not1_b32 s20, s26, exec_lo
	s_and_b32 s26, s0, exec_lo
	s_or_b32 s29, s29, s31
	s_and_b32 s0, s37, exec_lo
	s_or_b32 s26, s20, s26
.LBB150_1274:
	s_or_b32 exec_lo, exec_lo, s30
	s_delay_alu instid0(SALU_CYCLE_1)
	s_and_not1_b32 s20, s21, exec_lo
	s_and_b32 s21, s27, exec_lo
	s_and_not1_b32 s23, s23, exec_lo
	s_or_b32 s21, s20, s21
	s_and_not1_b32 s20, s22, exec_lo
	s_and_b32 s22, s28, exec_lo
	s_and_b32 s27, s29, exec_lo
	s_or_b32 s22, s20, s22
	s_and_not1_b32 s20, s24, exec_lo
	s_and_b32 s24, s26, exec_lo
	s_or_b32 s23, s23, s27
	s_and_b32 s26, s0, exec_lo
	s_or_b32 s24, s20, s24
.LBB150_1275:
	s_or_b32 exec_lo, exec_lo, s25
	s_mov_b32 s27, 0
	s_mov_b32 s20, 0
	s_and_saveexec_b32 s0, s24
	s_cbranch_execnz .LBB150_1290
.LBB150_1276:
	s_or_b32 exec_lo, exec_lo, s0
	s_mov_b32 s28, 0
	s_mov_b32 s25, 0
                                        ; implicit-def: $sgpr0
                                        ; implicit-def: $vgpr2_vgpr3
                                        ; implicit-def: $vgpr1
	s_and_saveexec_b32 s24, s26
	s_cbranch_execz .LBB150_1284
; %bb.1277:
	s_wait_loadcnt 0x0
	v_mul_lo_u32 v0, v18, s4
	s_and_b32 s0, s16, 0xff
	s_delay_alu instid0(SALU_CYCLE_1) | instskip(NEXT) | instid1(VALU_DEP_1)
	s_cmp_lt_i32 s0, 11
	v_ashrrev_i32_e32 v1, 31, v0
	s_delay_alu instid0(VALU_DEP_1)
	v_add_nc_u64_e32 v[2:3], s[8:9], v[0:1]
	s_cbranch_scc1 .LBB150_1287
; %bb.1278:
	s_and_b32 s25, 0xffff, s0
	s_delay_alu instid0(SALU_CYCLE_1)
	s_cmp_gt_i32 s25, 25
	s_cbranch_scc0 .LBB150_1288
; %bb.1279:
	s_cmp_gt_i32 s25, 28
	s_cbranch_scc0 .LBB150_1289
; %bb.1280:
	;; [unrolled: 3-line block ×4, first 2 shown]
	s_cmp_eq_u32 s25, 46
	s_mov_b32 s29, 0
	s_cbranch_scc0 .LBB150_1293
; %bb.1283:
	global_load_b32 v0, v[2:3], off
	s_mov_b32 s26, 0
	s_mov_b32 s28, -1
	s_wait_loadcnt 0x0
	v_and_b32_e32 v1, 0xffff0000, v0
	v_lshlrev_b32_e32 v0, 16, v0
	s_branch .LBB150_1295
.LBB150_1284:
	s_or_b32 exec_lo, exec_lo, s24
	s_and_saveexec_b32 s24, s23
	s_cbranch_execnz .LBB150_1361
.LBB150_1285:
	s_or_b32 exec_lo, exec_lo, s24
	s_and_saveexec_b32 s23, s27
	s_delay_alu instid0(SALU_CYCLE_1)
	s_xor_b32 s23, exec_lo, s23
	s_cbranch_execz .LBB150_1362
.LBB150_1286:
	s_wait_loadcnt 0x0
	global_load_u8 v0, v[2:3], off
	v_mov_b32_e32 v1, 0
	s_or_b32 s25, s25, exec_lo
	s_wait_loadcnt 0x0
	v_cmp_ne_u16_e32 vcc_lo, 0, v0
	v_cndmask_b32_e64 v0, 0, 1.0, vcc_lo
	s_wait_xcnt 0x0
	s_or_b32 exec_lo, exec_lo, s23
	s_and_saveexec_b32 s23, s28
	s_cbranch_execz .LBB150_1410
	s_branch .LBB150_1363
.LBB150_1287:
	s_mov_b32 s29, -1
	s_mov_b32 s26, s23
                                        ; implicit-def: $vgpr1
	s_branch .LBB150_1360
.LBB150_1288:
	s_mov_b32 s26, s23
                                        ; implicit-def: $vgpr1
	s_cbranch_execnz .LBB150_1326
	s_branch .LBB150_1359
.LBB150_1289:
	s_mov_b32 s29, -1
	s_mov_b32 s26, s23
                                        ; implicit-def: $vgpr1
	s_branch .LBB150_1307
.LBB150_1290:
	s_mov_b32 s20, exec_lo
	s_and_not1_b32 s26, s26, exec_lo
	s_trap 2
	s_branch .LBB150_1276
.LBB150_1291:
	s_mov_b32 s29, -1
	s_mov_b32 s26, s23
                                        ; implicit-def: $vgpr1
	s_branch .LBB150_1301
.LBB150_1292:
	s_mov_b32 s29, -1
	s_mov_b32 s26, s23
	s_branch .LBB150_1294
.LBB150_1293:
	s_mov_b32 s26, -1
.LBB150_1294:
                                        ; implicit-def: $vgpr1
.LBB150_1295:
	s_and_b32 vcc_lo, exec_lo, s29
	s_cbranch_vccz .LBB150_1300
; %bb.1296:
	s_cmp_eq_u32 s25, 44
	s_cbranch_scc0 .LBB150_1298
; %bb.1297:
	global_load_u8 v0, v[2:3], off
	s_mov_b32 s26, 0
	s_mov_b32 s28, -1
	s_wait_loadcnt 0x0
	v_lshlrev_b32_e32 v1, 23, v0
	v_cmp_ne_u32_e32 vcc_lo, 0xff, v0
	s_delay_alu instid0(VALU_DEP_2) | instskip(SKIP_1) | instid1(VALU_DEP_2)
	v_cndmask_b32_e32 v1, 0x7f800001, v1, vcc_lo
	v_cmp_ne_u32_e32 vcc_lo, 0, v0
	v_cndmask_b32_e32 v0, 0x400000, v1, vcc_lo
	s_branch .LBB150_1299
.LBB150_1298:
	s_mov_b32 s26, -1
                                        ; implicit-def: $vgpr0
.LBB150_1299:
	v_mov_b32_e32 v1, 0
.LBB150_1300:
	s_mov_b32 s29, 0
.LBB150_1301:
	s_delay_alu instid0(SALU_CYCLE_1)
	s_and_b32 vcc_lo, exec_lo, s29
	s_cbranch_vccz .LBB150_1306
; %bb.1302:
	s_cmp_eq_u32 s25, 29
	s_cbranch_scc0 .LBB150_1304
; %bb.1303:
	global_load_b64 v[0:1], v[2:3], off
	s_mov_b32 s26, 0
	s_mov_b32 s28, -1
	s_wait_loadcnt 0x0
	v_clz_i32_u32_e32 v4, v1
	s_delay_alu instid0(VALU_DEP_1) | instskip(NEXT) | instid1(VALU_DEP_1)
	v_min_u32_e32 v4, 32, v4
	v_lshlrev_b64_e32 v[0:1], v4, v[0:1]
	s_delay_alu instid0(VALU_DEP_1) | instskip(NEXT) | instid1(VALU_DEP_1)
	v_min_u32_e32 v0, 1, v0
	v_or_b32_e32 v0, v1, v0
	v_sub_nc_u32_e32 v1, 32, v4
	s_delay_alu instid0(VALU_DEP_2) | instskip(NEXT) | instid1(VALU_DEP_1)
	v_cvt_f32_u32_e32 v0, v0
	v_ldexp_f32 v0, v0, v1
	s_branch .LBB150_1305
.LBB150_1304:
	s_mov_b32 s26, -1
                                        ; implicit-def: $vgpr0
.LBB150_1305:
	v_mov_b32_e32 v1, 0
.LBB150_1306:
	s_mov_b32 s29, 0
.LBB150_1307:
	s_delay_alu instid0(SALU_CYCLE_1)
	s_and_b32 vcc_lo, exec_lo, s29
	s_cbranch_vccz .LBB150_1325
; %bb.1308:
	s_cmp_lt_i32 s25, 27
	s_cbranch_scc1 .LBB150_1311
; %bb.1309:
	s_cmp_gt_i32 s25, 27
	s_cbranch_scc0 .LBB150_1312
; %bb.1310:
	global_load_b32 v0, v[2:3], off
	s_mov_b32 s28, 0
	s_wait_loadcnt 0x0
	v_cvt_f32_u32_e32 v0, v0
	s_branch .LBB150_1313
.LBB150_1311:
	s_mov_b32 s28, -1
                                        ; implicit-def: $vgpr0
	s_branch .LBB150_1316
.LBB150_1312:
	s_mov_b32 s28, -1
                                        ; implicit-def: $vgpr0
.LBB150_1313:
	s_delay_alu instid0(SALU_CYCLE_1)
	s_and_not1_b32 vcc_lo, exec_lo, s28
	s_cbranch_vccnz .LBB150_1315
; %bb.1314:
	global_load_u16 v0, v[2:3], off
	s_wait_loadcnt 0x0
	v_cvt_f32_u32_e32 v0, v0
.LBB150_1315:
	s_mov_b32 s28, 0
.LBB150_1316:
	s_delay_alu instid0(SALU_CYCLE_1)
	s_and_not1_b32 vcc_lo, exec_lo, s28
	s_cbranch_vccnz .LBB150_1324
; %bb.1317:
	global_load_u8 v1, v[2:3], off
	s_mov_b32 s28, 0
	s_mov_b32 s29, exec_lo
	s_wait_loadcnt 0x0
	v_cmpx_lt_i16_e32 0x7f, v1
	s_xor_b32 s29, exec_lo, s29
	s_cbranch_execz .LBB150_1337
; %bb.1318:
	s_mov_b32 s28, -1
	s_mov_b32 s30, exec_lo
	v_cmpx_eq_u16_e32 0x80, v1
; %bb.1319:
	s_xor_b32 s28, exec_lo, -1
; %bb.1320:
	s_or_b32 exec_lo, exec_lo, s30
	s_delay_alu instid0(SALU_CYCLE_1)
	s_and_b32 s28, s28, exec_lo
	s_or_saveexec_b32 s29, s29
	v_mov_b32_e32 v0, 0x7f800001
	s_xor_b32 exec_lo, exec_lo, s29
	s_cbranch_execnz .LBB150_1338
.LBB150_1321:
	s_or_b32 exec_lo, exec_lo, s29
	s_and_saveexec_b32 s29, s28
	s_cbranch_execz .LBB150_1323
.LBB150_1322:
	v_and_b32_e32 v0, 0xffff, v1
	s_delay_alu instid0(VALU_DEP_1) | instskip(SKIP_1) | instid1(VALU_DEP_2)
	v_and_b32_e32 v4, 7, v0
	v_bfe_u32 v7, v0, 3, 4
	v_clz_i32_u32_e32 v5, v4
	s_delay_alu instid0(VALU_DEP_2) | instskip(NEXT) | instid1(VALU_DEP_2)
	v_cmp_eq_u32_e32 vcc_lo, 0, v7
	v_min_u32_e32 v5, 32, v5
	s_delay_alu instid0(VALU_DEP_1) | instskip(NEXT) | instid1(VALU_DEP_1)
	v_subrev_nc_u32_e32 v6, 28, v5
	v_dual_lshlrev_b32 v0, v6, v0 :: v_dual_sub_nc_u32 v5, 29, v5
	s_delay_alu instid0(VALU_DEP_1) | instskip(NEXT) | instid1(VALU_DEP_1)
	v_dual_lshlrev_b32 v1, 24, v1 :: v_dual_bitop2_b32 v0, 7, v0 bitop3:0x40
	v_dual_cndmask_b32 v0, v4, v0 :: v_dual_cndmask_b32 v5, v7, v5
	s_delay_alu instid0(VALU_DEP_2) | instskip(NEXT) | instid1(VALU_DEP_2)
	v_and_b32_e32 v1, 0x80000000, v1
	v_lshlrev_b32_e32 v0, 20, v0
	s_delay_alu instid0(VALU_DEP_3) | instskip(NEXT) | instid1(VALU_DEP_1)
	v_lshl_add_u32 v4, v5, 23, 0x3b800000
	v_or3_b32 v0, v1, v4, v0
.LBB150_1323:
	s_or_b32 exec_lo, exec_lo, s29
.LBB150_1324:
	v_mov_b32_e32 v1, 0
	s_mov_b32 s28, -1
.LBB150_1325:
	s_branch .LBB150_1359
.LBB150_1326:
	s_cmp_gt_i32 s25, 22
	s_cbranch_scc0 .LBB150_1336
; %bb.1327:
	s_cmp_lt_i32 s25, 24
	s_cbranch_scc1 .LBB150_1339
; %bb.1328:
	s_cmp_gt_i32 s25, 24
	s_cbranch_scc0 .LBB150_1340
; %bb.1329:
	global_load_u8 v1, v[2:3], off
	s_mov_b32 s28, exec_lo
	s_wait_loadcnt 0x0
	v_cmpx_lt_i16_e32 0x7f, v1
	s_xor_b32 s28, exec_lo, s28
	s_cbranch_execz .LBB150_1352
; %bb.1330:
	s_mov_b32 s27, -1
	s_mov_b32 s29, exec_lo
	v_cmpx_eq_u16_e32 0x80, v1
; %bb.1331:
	s_xor_b32 s27, exec_lo, -1
; %bb.1332:
	s_or_b32 exec_lo, exec_lo, s29
	s_delay_alu instid0(SALU_CYCLE_1)
	s_and_b32 s27, s27, exec_lo
	s_or_saveexec_b32 s28, s28
	v_mov_b32_e32 v0, 0x7f800001
	s_xor_b32 exec_lo, exec_lo, s28
	s_cbranch_execnz .LBB150_1353
.LBB150_1333:
	s_or_b32 exec_lo, exec_lo, s28
	s_and_saveexec_b32 s28, s27
	s_cbranch_execz .LBB150_1335
.LBB150_1334:
	v_and_b32_e32 v0, 0xffff, v1
	s_delay_alu instid0(VALU_DEP_1) | instskip(SKIP_1) | instid1(VALU_DEP_2)
	v_and_b32_e32 v4, 3, v0
	v_bfe_u32 v7, v0, 2, 5
	v_clz_i32_u32_e32 v5, v4
	s_delay_alu instid0(VALU_DEP_2) | instskip(NEXT) | instid1(VALU_DEP_2)
	v_cmp_eq_u32_e32 vcc_lo, 0, v7
	v_min_u32_e32 v5, 32, v5
	s_delay_alu instid0(VALU_DEP_1) | instskip(NEXT) | instid1(VALU_DEP_1)
	v_subrev_nc_u32_e32 v6, 29, v5
	v_dual_lshlrev_b32 v0, v6, v0 :: v_dual_sub_nc_u32 v5, 30, v5
	s_delay_alu instid0(VALU_DEP_1) | instskip(NEXT) | instid1(VALU_DEP_1)
	v_dual_lshlrev_b32 v1, 24, v1 :: v_dual_bitop2_b32 v0, 3, v0 bitop3:0x40
	v_dual_cndmask_b32 v0, v4, v0 :: v_dual_cndmask_b32 v5, v7, v5
	s_delay_alu instid0(VALU_DEP_2) | instskip(NEXT) | instid1(VALU_DEP_2)
	v_and_b32_e32 v1, 0x80000000, v1
	v_lshlrev_b32_e32 v0, 21, v0
	s_delay_alu instid0(VALU_DEP_3) | instskip(NEXT) | instid1(VALU_DEP_1)
	v_lshl_add_u32 v4, v5, 23, 0x37800000
	v_or3_b32 v0, v1, v4, v0
.LBB150_1335:
	s_or_b32 exec_lo, exec_lo, s28
	s_mov_b32 s27, 0
	s_branch .LBB150_1341
.LBB150_1336:
	s_mov_b32 s27, -1
                                        ; implicit-def: $vgpr0
	s_branch .LBB150_1347
.LBB150_1337:
	s_or_saveexec_b32 s29, s29
	v_mov_b32_e32 v0, 0x7f800001
	s_xor_b32 exec_lo, exec_lo, s29
	s_cbranch_execz .LBB150_1321
.LBB150_1338:
	v_cmp_ne_u16_e32 vcc_lo, 0, v1
	v_mov_b32_e32 v0, 0
	s_and_not1_b32 s28, s28, exec_lo
	s_and_b32 s30, vcc_lo, exec_lo
	s_delay_alu instid0(SALU_CYCLE_1)
	s_or_b32 s28, s28, s30
	s_or_b32 exec_lo, exec_lo, s29
	s_and_saveexec_b32 s29, s28
	s_cbranch_execnz .LBB150_1322
	s_branch .LBB150_1323
.LBB150_1339:
	s_mov_b32 s27, -1
                                        ; implicit-def: $vgpr0
	s_branch .LBB150_1344
.LBB150_1340:
	s_mov_b32 s27, -1
                                        ; implicit-def: $vgpr0
.LBB150_1341:
	s_delay_alu instid0(SALU_CYCLE_1)
	s_and_b32 vcc_lo, exec_lo, s27
	s_cbranch_vccz .LBB150_1343
; %bb.1342:
	global_load_u8 v0, v[2:3], off
	s_wait_loadcnt 0x0
	v_lshlrev_b32_e32 v0, 24, v0
	s_delay_alu instid0(VALU_DEP_1) | instskip(NEXT) | instid1(VALU_DEP_1)
	v_and_b32_e32 v1, 0x7f000000, v0
	v_clz_i32_u32_e32 v4, v1
	v_cmp_ne_u32_e32 vcc_lo, 0, v1
	v_add_nc_u32_e32 v6, 0x1000000, v1
	s_delay_alu instid0(VALU_DEP_3) | instskip(NEXT) | instid1(VALU_DEP_1)
	v_min_u32_e32 v4, 32, v4
	v_sub_nc_u32_e64 v4, v4, 4 clamp
	s_delay_alu instid0(VALU_DEP_1) | instskip(NEXT) | instid1(VALU_DEP_1)
	v_dual_lshlrev_b32 v5, v4, v1 :: v_dual_lshlrev_b32 v4, 23, v4
	v_lshrrev_b32_e32 v5, 4, v5
	s_delay_alu instid0(VALU_DEP_1) | instskip(NEXT) | instid1(VALU_DEP_1)
	v_dual_sub_nc_u32 v4, v5, v4 :: v_dual_ashrrev_i32 v5, 8, v6
	v_add_nc_u32_e32 v4, 0x3c000000, v4
	s_delay_alu instid0(VALU_DEP_1) | instskip(NEXT) | instid1(VALU_DEP_1)
	v_and_or_b32 v4, 0x7f800000, v5, v4
	v_cndmask_b32_e32 v1, 0, v4, vcc_lo
	s_delay_alu instid0(VALU_DEP_1)
	v_and_or_b32 v0, 0x80000000, v0, v1
.LBB150_1343:
	s_mov_b32 s27, 0
.LBB150_1344:
	s_delay_alu instid0(SALU_CYCLE_1)
	s_and_not1_b32 vcc_lo, exec_lo, s27
	s_cbranch_vccnz .LBB150_1346
; %bb.1345:
	global_load_u8 v0, v[2:3], off
	s_wait_loadcnt 0x0
	v_lshlrev_b32_e32 v1, 25, v0
	v_lshlrev_b16 v0, 8, v0
	s_delay_alu instid0(VALU_DEP_1) | instskip(SKIP_1) | instid1(VALU_DEP_2)
	v_and_or_b32 v5, 0x7f00, v0, 0.5
	v_bfe_i32 v0, v0, 0, 16
	v_add_f32_e32 v5, -0.5, v5
	v_lshrrev_b32_e32 v4, 4, v1
	v_cmp_gt_u32_e32 vcc_lo, 0x8000000, v1
	s_delay_alu instid0(VALU_DEP_2) | instskip(NEXT) | instid1(VALU_DEP_1)
	v_or_b32_e32 v4, 0x70000000, v4
	v_mul_f32_e32 v4, 0x7800000, v4
	s_delay_alu instid0(VALU_DEP_1) | instskip(NEXT) | instid1(VALU_DEP_1)
	v_cndmask_b32_e32 v1, v4, v5, vcc_lo
	v_and_or_b32 v0, 0x80000000, v0, v1
.LBB150_1346:
	s_mov_b32 s27, 0
	s_mov_b32 s28, -1
.LBB150_1347:
	s_and_not1_b32 vcc_lo, exec_lo, s27
	s_mov_b32 s27, 0
	s_cbranch_vccnz .LBB150_1358
; %bb.1348:
	s_cmp_gt_i32 s25, 14
	s_cbranch_scc0 .LBB150_1351
; %bb.1349:
	s_cmp_eq_u32 s25, 15
	s_cbranch_scc0 .LBB150_1354
; %bb.1350:
	global_load_u16 v0, v[2:3], off
	s_mov_b32 s26, 0
	s_mov_b32 s28, -1
	s_wait_loadcnt 0x0
	v_lshlrev_b32_e32 v0, 16, v0
	s_branch .LBB150_1356
.LBB150_1351:
	s_mov_b32 s27, -1
	s_branch .LBB150_1355
.LBB150_1352:
	s_or_saveexec_b32 s28, s28
	v_mov_b32_e32 v0, 0x7f800001
	s_xor_b32 exec_lo, exec_lo, s28
	s_cbranch_execz .LBB150_1333
.LBB150_1353:
	v_cmp_ne_u16_e32 vcc_lo, 0, v1
	v_mov_b32_e32 v0, 0
	s_and_not1_b32 s27, s27, exec_lo
	s_and_b32 s29, vcc_lo, exec_lo
	s_delay_alu instid0(SALU_CYCLE_1)
	s_or_b32 s27, s27, s29
	s_or_b32 exec_lo, exec_lo, s28
	s_and_saveexec_b32 s28, s27
	s_cbranch_execnz .LBB150_1334
	s_branch .LBB150_1335
.LBB150_1354:
	s_mov_b32 s26, -1
.LBB150_1355:
                                        ; implicit-def: $vgpr0
.LBB150_1356:
	s_and_b32 vcc_lo, exec_lo, s27
	s_mov_b32 s27, 0
	s_cbranch_vccz .LBB150_1358
; %bb.1357:
	s_cmp_lg_u32 s25, 11
	s_mov_b32 s27, -1
	s_cselect_b32 s25, -1, 0
	s_and_not1_b32 s26, s26, exec_lo
	s_and_b32 s25, s25, exec_lo
	s_delay_alu instid0(SALU_CYCLE_1)
	s_or_b32 s26, s26, s25
.LBB150_1358:
	v_mov_b32_e32 v1, 0
.LBB150_1359:
	s_mov_b32 s29, 0
.LBB150_1360:
	s_and_not1_b32 s23, s23, exec_lo
	s_and_b32 s26, s26, exec_lo
	s_and_b32 s25, s28, exec_lo
	;; [unrolled: 1-line block ×4, first 2 shown]
	s_or_b32 s23, s23, s26
	s_wait_xcnt 0x0
	s_or_b32 exec_lo, exec_lo, s24
	s_and_saveexec_b32 s24, s23
	s_cbranch_execz .LBB150_1285
.LBB150_1361:
	s_or_b32 s20, s20, exec_lo
	s_and_not1_b32 s27, s27, exec_lo
	s_trap 2
	s_or_b32 exec_lo, exec_lo, s24
	s_and_saveexec_b32 s23, s27
	s_delay_alu instid0(SALU_CYCLE_1)
	s_xor_b32 s23, exec_lo, s23
	s_cbranch_execnz .LBB150_1286
.LBB150_1362:
	s_or_b32 exec_lo, exec_lo, s23
	s_and_saveexec_b32 s23, s28
	s_cbranch_execz .LBB150_1410
.LBB150_1363:
	s_sext_i32_i16 s24, s0
	s_delay_alu instid0(SALU_CYCLE_1)
	s_cmp_lt_i32 s24, 5
	s_cbranch_scc1 .LBB150_1368
; %bb.1364:
	s_cmp_lt_i32 s24, 8
	s_cbranch_scc1 .LBB150_1369
; %bb.1365:
	;; [unrolled: 3-line block ×3, first 2 shown]
	s_cmp_gt_i32 s24, 9
	s_cbranch_scc0 .LBB150_1371
; %bb.1367:
	s_wait_loadcnt 0x0
	global_load_b128 v[4:7], v[2:3], off
	s_mov_b32 s24, 0
	s_wait_loadcnt 0x0
	v_cvt_f32_f64_e32 v0, v[4:5]
	v_cvt_f32_f64_e32 v1, v[6:7]
	s_branch .LBB150_1372
.LBB150_1368:
                                        ; implicit-def: $vgpr1
	s_branch .LBB150_1390
.LBB150_1369:
                                        ; implicit-def: $vgpr1
	s_branch .LBB150_1378
.LBB150_1370:
	s_mov_b32 s24, -1
                                        ; implicit-def: $vgpr1
	s_branch .LBB150_1375
.LBB150_1371:
	s_mov_b32 s24, -1
                                        ; implicit-def: $vgpr1
.LBB150_1372:
	s_delay_alu instid0(SALU_CYCLE_1)
	s_and_not1_b32 vcc_lo, exec_lo, s24
	s_cbranch_vccnz .LBB150_1374
; %bb.1373:
	s_wait_loadcnt 0x0
	global_load_b64 v[0:1], v[2:3], off
.LBB150_1374:
	s_mov_b32 s24, 0
.LBB150_1375:
	s_delay_alu instid0(SALU_CYCLE_1)
	s_and_not1_b32 vcc_lo, exec_lo, s24
	s_cbranch_vccnz .LBB150_1377
; %bb.1376:
	s_wait_loadcnt 0x0
	global_load_b32 v0, v[2:3], off
	s_wait_loadcnt 0x0
	v_lshrrev_b32_e32 v1, 16, v0
	v_cvt_f32_f16_e32 v0, v0
	s_delay_alu instid0(VALU_DEP_2)
	v_cvt_f32_f16_e32 v1, v1
.LBB150_1377:
	s_cbranch_execnz .LBB150_1389
.LBB150_1378:
	s_sext_i32_i16 s24, s0
	s_delay_alu instid0(SALU_CYCLE_1)
	s_cmp_lt_i32 s24, 6
	s_cbranch_scc1 .LBB150_1381
; %bb.1379:
	s_cmp_gt_i32 s24, 6
	s_cbranch_scc0 .LBB150_1382
; %bb.1380:
	s_wait_loadcnt 0x0
	global_load_b64 v[0:1], v[2:3], off
	s_mov_b32 s24, 0
	s_wait_loadcnt 0x0
	v_cvt_f32_f64_e32 v0, v[0:1]
	s_branch .LBB150_1383
.LBB150_1381:
	s_mov_b32 s24, -1
                                        ; implicit-def: $vgpr0
	s_branch .LBB150_1386
.LBB150_1382:
	s_mov_b32 s24, -1
                                        ; implicit-def: $vgpr0
.LBB150_1383:
	s_delay_alu instid0(SALU_CYCLE_1)
	s_and_not1_b32 vcc_lo, exec_lo, s24
	s_cbranch_vccnz .LBB150_1385
; %bb.1384:
	s_wait_loadcnt 0x0
	global_load_b32 v0, v[2:3], off
.LBB150_1385:
	s_mov_b32 s24, 0
.LBB150_1386:
	s_delay_alu instid0(SALU_CYCLE_1)
	s_and_not1_b32 vcc_lo, exec_lo, s24
	s_cbranch_vccnz .LBB150_1388
; %bb.1387:
	s_wait_loadcnt 0x0
	global_load_u16 v0, v[2:3], off
	s_wait_loadcnt 0x0
	v_cvt_f32_f16_e32 v0, v0
.LBB150_1388:
	s_wait_loadcnt 0x0
	v_mov_b32_e32 v1, 0
.LBB150_1389:
	s_cbranch_execnz .LBB150_1409
.LBB150_1390:
	s_sext_i32_i16 s24, s0
	s_delay_alu instid0(SALU_CYCLE_1)
	s_cmp_lt_i32 s24, 2
	s_cbranch_scc1 .LBB150_1394
; %bb.1391:
	s_cmp_lt_i32 s24, 3
	s_cbranch_scc1 .LBB150_1395
; %bb.1392:
	s_cmp_gt_i32 s24, 3
	s_cbranch_scc0 .LBB150_1396
; %bb.1393:
	s_wait_loadcnt 0x0
	global_load_b64 v[0:1], v[2:3], off
	s_mov_b32 s24, 0
	s_wait_loadcnt 0x0
	v_xor_b32_e32 v4, v0, v1
	v_cls_i32_e32 v5, v1
	s_delay_alu instid0(VALU_DEP_2) | instskip(NEXT) | instid1(VALU_DEP_1)
	v_ashrrev_i32_e32 v4, 31, v4
	v_add_nc_u32_e32 v4, 32, v4
	s_delay_alu instid0(VALU_DEP_1) | instskip(NEXT) | instid1(VALU_DEP_1)
	v_add_min_u32_e64 v4, v5, -1, v4
	v_lshlrev_b64_e32 v[0:1], v4, v[0:1]
	s_delay_alu instid0(VALU_DEP_1) | instskip(NEXT) | instid1(VALU_DEP_1)
	v_min_u32_e32 v0, 1, v0
	v_or_b32_e32 v0, v1, v0
	v_sub_nc_u32_e32 v1, 32, v4
	s_delay_alu instid0(VALU_DEP_2) | instskip(NEXT) | instid1(VALU_DEP_1)
	v_cvt_f32_i32_e32 v0, v0
	v_ldexp_f32 v0, v0, v1
	s_branch .LBB150_1397
.LBB150_1394:
                                        ; implicit-def: $vgpr0
	s_branch .LBB150_1403
.LBB150_1395:
	s_mov_b32 s24, -1
                                        ; implicit-def: $vgpr0
	s_branch .LBB150_1400
.LBB150_1396:
	s_mov_b32 s24, -1
                                        ; implicit-def: $vgpr0
.LBB150_1397:
	s_delay_alu instid0(SALU_CYCLE_1)
	s_and_not1_b32 vcc_lo, exec_lo, s24
	s_cbranch_vccnz .LBB150_1399
; %bb.1398:
	s_wait_loadcnt 0x0
	global_load_b32 v0, v[2:3], off
	s_wait_loadcnt 0x0
	v_cvt_f32_i32_e32 v0, v0
.LBB150_1399:
	s_mov_b32 s24, 0
.LBB150_1400:
	s_delay_alu instid0(SALU_CYCLE_1)
	s_and_not1_b32 vcc_lo, exec_lo, s24
	s_cbranch_vccnz .LBB150_1402
; %bb.1401:
	s_wait_loadcnt 0x0
	global_load_i16 v0, v[2:3], off
	s_wait_loadcnt 0x0
	v_cvt_f32_i32_e32 v0, v0
.LBB150_1402:
	s_cbranch_execnz .LBB150_1408
.LBB150_1403:
	s_sext_i32_i16 s0, s0
	s_delay_alu instid0(SALU_CYCLE_1)
	s_cmp_gt_i32 s0, 0
	s_mov_b32 s0, 0
	s_cbranch_scc0 .LBB150_1405
; %bb.1404:
	s_wait_loadcnt 0x0
	global_load_i8 v0, v[2:3], off
	s_wait_loadcnt 0x0
	v_cvt_f32_i32_e32 v0, v0
	s_branch .LBB150_1406
.LBB150_1405:
	s_mov_b32 s0, -1
                                        ; implicit-def: $vgpr0
.LBB150_1406:
	s_delay_alu instid0(SALU_CYCLE_1)
	s_and_not1_b32 vcc_lo, exec_lo, s0
	s_cbranch_vccnz .LBB150_1408
; %bb.1407:
	s_wait_loadcnt 0x0
	global_load_u8 v0, v[2:3], off
	s_wait_loadcnt 0x0
	v_cvt_f32_ubyte0_e32 v0, v0
.LBB150_1408:
	s_wait_loadcnt 0x0
	v_mov_b32_e32 v1, 0
.LBB150_1409:
	s_or_b32 s25, s25, exec_lo
.LBB150_1410:
	s_wait_xcnt 0x0
	s_or_b32 exec_lo, exec_lo, s23
	s_mov_b32 s24, 0
	s_mov_b32 s23, 0
	s_mov_b32 s26, 0
                                        ; implicit-def: $vgpr2_vgpr3
                                        ; implicit-def: $vgpr7
	s_and_saveexec_b32 s0, s25
	s_cbranch_execz .LBB150_1418
; %bb.1411:
	v_mul_lo_u32 v2, v18, s5
	s_and_b32 s23, 0xffff, s1
	s_delay_alu instid0(SALU_CYCLE_1) | instskip(NEXT) | instid1(VALU_DEP_1)
	s_cmp_lt_i32 s23, 11
	v_ashrrev_i32_e32 v3, 31, v2
	s_delay_alu instid0(VALU_DEP_1)
	v_add_nc_u64_e32 v[2:3], s[10:11], v[2:3]
	s_cbranch_scc1 .LBB150_1421
; %bb.1412:
	s_cmp_gt_i32 s23, 25
	s_mov_b32 s25, 0
	s_cbranch_scc0 .LBB150_1422
; %bb.1413:
	s_cmp_gt_i32 s23, 28
	s_cbranch_scc0 .LBB150_1423
; %bb.1414:
	s_cmp_gt_i32 s23, 43
	;; [unrolled: 3-line block ×3, first 2 shown]
	s_cbranch_scc0 .LBB150_1425
; %bb.1416:
	s_cmp_eq_u32 s23, 46
	s_mov_b32 s27, 0
	s_cbranch_scc0 .LBB150_1426
; %bb.1417:
	global_load_b32 v4, v[2:3], off
	s_mov_b32 s26, -1
	s_wait_loadcnt 0x0
	v_and_b32_e32 v7, 0xffff0000, v4
	v_lshlrev_b32_e32 v6, 16, v4
	s_branch .LBB150_1428
.LBB150_1418:
	s_or_b32 exec_lo, exec_lo, s0
	s_and_saveexec_b32 s0, s22
	s_cbranch_execnz .LBB150_1494
.LBB150_1419:
	s_or_b32 exec_lo, exec_lo, s0
	s_and_saveexec_b32 s0, s24
	s_delay_alu instid0(SALU_CYCLE_1)
	s_xor_b32 s0, exec_lo, s0
	s_cbranch_execz .LBB150_1495
.LBB150_1420:
	global_load_u8 v4, v[2:3], off
	s_wait_loadcnt 0x1
	v_mov_b32_e32 v7, 0
	s_or_b32 s26, s26, exec_lo
	s_wait_loadcnt 0x0
	v_cmp_ne_u16_e32 vcc_lo, 0, v4
	v_cndmask_b32_e64 v6, 0, 1.0, vcc_lo
	s_wait_xcnt 0x0
	s_or_b32 exec_lo, exec_lo, s0
	s_and_saveexec_b32 s0, s23
	s_cbranch_execz .LBB150_1543
	s_branch .LBB150_1496
.LBB150_1421:
	s_mov_b32 s23, -1
	s_mov_b32 s25, 0
	s_mov_b32 s24, s22
                                        ; implicit-def: $vgpr7
	s_branch .LBB150_1493
.LBB150_1422:
	s_mov_b32 s24, s22
                                        ; implicit-def: $vgpr7
	s_cbranch_execnz .LBB150_1459
	s_branch .LBB150_1492
.LBB150_1423:
	s_mov_b32 s27, -1
	s_mov_b32 s24, s22
                                        ; implicit-def: $vgpr7
	s_branch .LBB150_1440
.LBB150_1424:
	s_mov_b32 s27, -1
	s_mov_b32 s24, s22
                                        ; implicit-def: $vgpr7
	s_branch .LBB150_1434
.LBB150_1425:
	s_mov_b32 s27, -1
	s_mov_b32 s24, s22
	s_branch .LBB150_1427
.LBB150_1426:
	s_mov_b32 s24, -1
.LBB150_1427:
                                        ; implicit-def: $vgpr7
.LBB150_1428:
	s_and_b32 vcc_lo, exec_lo, s27
	s_cbranch_vccz .LBB150_1433
; %bb.1429:
	s_cmp_eq_u32 s23, 44
	s_cbranch_scc0 .LBB150_1431
; %bb.1430:
	global_load_u8 v4, v[2:3], off
	s_mov_b32 s24, 0
	s_mov_b32 s26, -1
	s_wait_loadcnt 0x0
	v_lshlrev_b32_e32 v5, 23, v4
	v_cmp_ne_u32_e32 vcc_lo, 0xff, v4
	s_delay_alu instid0(VALU_DEP_2) | instskip(SKIP_1) | instid1(VALU_DEP_2)
	v_cndmask_b32_e32 v5, 0x7f800001, v5, vcc_lo
	v_cmp_ne_u32_e32 vcc_lo, 0, v4
	v_cndmask_b32_e32 v6, 0x400000, v5, vcc_lo
	s_branch .LBB150_1432
.LBB150_1431:
	s_mov_b32 s24, -1
                                        ; implicit-def: $vgpr6
.LBB150_1432:
	s_wait_loadcnt 0x0
	v_mov_b32_e32 v7, 0
.LBB150_1433:
	s_mov_b32 s27, 0
.LBB150_1434:
	s_delay_alu instid0(SALU_CYCLE_1)
	s_and_b32 vcc_lo, exec_lo, s27
	s_cbranch_vccz .LBB150_1439
; %bb.1435:
	s_cmp_eq_u32 s23, 29
	s_cbranch_scc0 .LBB150_1437
; %bb.1436:
	global_load_b64 v[4:5], v[2:3], off
	s_mov_b32 s24, 0
	s_mov_b32 s26, -1
	s_wait_loadcnt 0x0
	v_clz_i32_u32_e32 v6, v5
	s_delay_alu instid0(VALU_DEP_1) | instskip(NEXT) | instid1(VALU_DEP_1)
	v_min_u32_e32 v6, 32, v6
	v_lshlrev_b64_e32 v[4:5], v6, v[4:5]
	s_delay_alu instid0(VALU_DEP_1) | instskip(NEXT) | instid1(VALU_DEP_1)
	v_min_u32_e32 v4, 1, v4
	v_dual_sub_nc_u32 v5, 32, v6 :: v_dual_bitop2_b32 v4, v5, v4 bitop3:0x54
	s_delay_alu instid0(VALU_DEP_1) | instskip(NEXT) | instid1(VALU_DEP_1)
	v_cvt_f32_u32_e32 v4, v4
	v_ldexp_f32 v6, v4, v5
	s_branch .LBB150_1438
.LBB150_1437:
	s_mov_b32 s24, -1
                                        ; implicit-def: $vgpr6
.LBB150_1438:
	s_wait_loadcnt 0x0
	v_mov_b32_e32 v7, 0
.LBB150_1439:
	s_mov_b32 s27, 0
.LBB150_1440:
	s_delay_alu instid0(SALU_CYCLE_1)
	s_and_b32 vcc_lo, exec_lo, s27
	s_cbranch_vccz .LBB150_1458
; %bb.1441:
	s_cmp_lt_i32 s23, 27
	s_cbranch_scc1 .LBB150_1444
; %bb.1442:
	s_cmp_gt_i32 s23, 27
	s_cbranch_scc0 .LBB150_1445
; %bb.1443:
	global_load_b32 v4, v[2:3], off
	s_mov_b32 s26, 0
	s_wait_loadcnt 0x0
	v_cvt_f32_u32_e32 v6, v4
	s_branch .LBB150_1446
.LBB150_1444:
	s_mov_b32 s26, -1
                                        ; implicit-def: $vgpr6
	s_branch .LBB150_1449
.LBB150_1445:
	s_mov_b32 s26, -1
                                        ; implicit-def: $vgpr6
.LBB150_1446:
	s_delay_alu instid0(SALU_CYCLE_1)
	s_and_not1_b32 vcc_lo, exec_lo, s26
	s_cbranch_vccnz .LBB150_1448
; %bb.1447:
	global_load_u16 v4, v[2:3], off
	s_wait_loadcnt 0x0
	v_cvt_f32_u32_e32 v6, v4
.LBB150_1448:
	s_mov_b32 s26, 0
.LBB150_1449:
	s_delay_alu instid0(SALU_CYCLE_1)
	s_and_not1_b32 vcc_lo, exec_lo, s26
	s_cbranch_vccnz .LBB150_1457
; %bb.1450:
	global_load_u8 v4, v[2:3], off
	s_mov_b32 s26, 0
	s_mov_b32 s27, exec_lo
	s_wait_loadcnt 0x0
	v_cmpx_lt_i16_e32 0x7f, v4
	s_xor_b32 s27, exec_lo, s27
	s_cbranch_execz .LBB150_1470
; %bb.1451:
	s_mov_b32 s26, -1
	s_mov_b32 s28, exec_lo
	v_cmpx_eq_u16_e32 0x80, v4
; %bb.1452:
	s_xor_b32 s26, exec_lo, -1
; %bb.1453:
	s_or_b32 exec_lo, exec_lo, s28
	s_delay_alu instid0(SALU_CYCLE_1)
	s_and_b32 s26, s26, exec_lo
	s_or_saveexec_b32 s27, s27
	v_mov_b32_e32 v6, 0x7f800001
	s_xor_b32 exec_lo, exec_lo, s27
	s_cbranch_execnz .LBB150_1471
.LBB150_1454:
	s_or_b32 exec_lo, exec_lo, s27
	s_and_saveexec_b32 s27, s26
	s_cbranch_execz .LBB150_1456
.LBB150_1455:
	v_and_b32_e32 v5, 0xffff, v4
	s_delay_alu instid0(VALU_DEP_1) | instskip(SKIP_1) | instid1(VALU_DEP_2)
	v_and_b32_e32 v6, 7, v5
	v_bfe_u32 v9, v5, 3, 4
	v_clz_i32_u32_e32 v7, v6
	s_delay_alu instid0(VALU_DEP_2) | instskip(NEXT) | instid1(VALU_DEP_2)
	v_cmp_eq_u32_e32 vcc_lo, 0, v9
	v_min_u32_e32 v7, 32, v7
	s_delay_alu instid0(VALU_DEP_1) | instskip(NEXT) | instid1(VALU_DEP_1)
	v_subrev_nc_u32_e32 v8, 28, v7
	v_dual_lshlrev_b32 v5, v8, v5 :: v_dual_sub_nc_u32 v7, 29, v7
	s_delay_alu instid0(VALU_DEP_1) | instskip(NEXT) | instid1(VALU_DEP_1)
	v_dual_lshlrev_b32 v4, 24, v4 :: v_dual_bitop2_b32 v5, 7, v5 bitop3:0x40
	v_dual_cndmask_b32 v7, v9, v7, vcc_lo :: v_dual_cndmask_b32 v5, v6, v5, vcc_lo
	s_delay_alu instid0(VALU_DEP_2) | instskip(NEXT) | instid1(VALU_DEP_2)
	v_and_b32_e32 v4, 0x80000000, v4
	v_lshl_add_u32 v6, v7, 23, 0x3b800000
	s_delay_alu instid0(VALU_DEP_3) | instskip(NEXT) | instid1(VALU_DEP_1)
	v_lshlrev_b32_e32 v5, 20, v5
	v_or3_b32 v6, v4, v6, v5
.LBB150_1456:
	s_or_b32 exec_lo, exec_lo, s27
.LBB150_1457:
	s_wait_loadcnt 0x0
	v_mov_b32_e32 v7, 0
	s_mov_b32 s26, -1
.LBB150_1458:
	s_branch .LBB150_1492
.LBB150_1459:
	s_cmp_gt_i32 s23, 22
	s_cbranch_scc0 .LBB150_1469
; %bb.1460:
	s_cmp_lt_i32 s23, 24
	s_cbranch_scc1 .LBB150_1472
; %bb.1461:
	s_cmp_gt_i32 s23, 24
	s_cbranch_scc0 .LBB150_1473
; %bb.1462:
	global_load_u8 v4, v[2:3], off
	s_mov_b32 s26, exec_lo
	s_wait_loadcnt 0x0
	v_cmpx_lt_i16_e32 0x7f, v4
	s_xor_b32 s26, exec_lo, s26
	s_cbranch_execz .LBB150_1485
; %bb.1463:
	s_mov_b32 s25, -1
	s_mov_b32 s27, exec_lo
	v_cmpx_eq_u16_e32 0x80, v4
; %bb.1464:
	s_xor_b32 s25, exec_lo, -1
; %bb.1465:
	s_or_b32 exec_lo, exec_lo, s27
	s_delay_alu instid0(SALU_CYCLE_1)
	s_and_b32 s25, s25, exec_lo
	s_or_saveexec_b32 s26, s26
	v_mov_b32_e32 v6, 0x7f800001
	s_xor_b32 exec_lo, exec_lo, s26
	s_cbranch_execnz .LBB150_1486
.LBB150_1466:
	s_or_b32 exec_lo, exec_lo, s26
	s_and_saveexec_b32 s26, s25
	s_cbranch_execz .LBB150_1468
.LBB150_1467:
	v_and_b32_e32 v5, 0xffff, v4
	s_delay_alu instid0(VALU_DEP_1) | instskip(SKIP_1) | instid1(VALU_DEP_2)
	v_and_b32_e32 v6, 3, v5
	v_bfe_u32 v9, v5, 2, 5
	v_clz_i32_u32_e32 v7, v6
	s_delay_alu instid0(VALU_DEP_2) | instskip(NEXT) | instid1(VALU_DEP_2)
	v_cmp_eq_u32_e32 vcc_lo, 0, v9
	v_min_u32_e32 v7, 32, v7
	s_delay_alu instid0(VALU_DEP_1) | instskip(NEXT) | instid1(VALU_DEP_1)
	v_subrev_nc_u32_e32 v8, 29, v7
	v_dual_lshlrev_b32 v5, v8, v5 :: v_dual_sub_nc_u32 v7, 30, v7
	s_delay_alu instid0(VALU_DEP_1) | instskip(NEXT) | instid1(VALU_DEP_1)
	v_dual_lshlrev_b32 v4, 24, v4 :: v_dual_bitop2_b32 v5, 3, v5 bitop3:0x40
	v_dual_cndmask_b32 v7, v9, v7, vcc_lo :: v_dual_cndmask_b32 v5, v6, v5, vcc_lo
	s_delay_alu instid0(VALU_DEP_2) | instskip(NEXT) | instid1(VALU_DEP_2)
	v_and_b32_e32 v4, 0x80000000, v4
	v_lshl_add_u32 v6, v7, 23, 0x37800000
	s_delay_alu instid0(VALU_DEP_3) | instskip(NEXT) | instid1(VALU_DEP_1)
	v_lshlrev_b32_e32 v5, 21, v5
	v_or3_b32 v6, v4, v6, v5
.LBB150_1468:
	s_or_b32 exec_lo, exec_lo, s26
	s_mov_b32 s25, 0
	s_branch .LBB150_1474
.LBB150_1469:
	s_mov_b32 s25, -1
                                        ; implicit-def: $vgpr6
	s_branch .LBB150_1480
.LBB150_1470:
	s_or_saveexec_b32 s27, s27
	v_mov_b32_e32 v6, 0x7f800001
	s_xor_b32 exec_lo, exec_lo, s27
	s_cbranch_execz .LBB150_1454
.LBB150_1471:
	v_cmp_ne_u16_e32 vcc_lo, 0, v4
	v_mov_b32_e32 v6, 0
	s_and_not1_b32 s26, s26, exec_lo
	s_and_b32 s28, vcc_lo, exec_lo
	s_delay_alu instid0(SALU_CYCLE_1)
	s_or_b32 s26, s26, s28
	s_or_b32 exec_lo, exec_lo, s27
	s_and_saveexec_b32 s27, s26
	s_cbranch_execnz .LBB150_1455
	s_branch .LBB150_1456
.LBB150_1472:
	s_mov_b32 s25, -1
                                        ; implicit-def: $vgpr6
	s_branch .LBB150_1477
.LBB150_1473:
	s_mov_b32 s25, -1
                                        ; implicit-def: $vgpr6
.LBB150_1474:
	s_delay_alu instid0(SALU_CYCLE_1)
	s_and_b32 vcc_lo, exec_lo, s25
	s_cbranch_vccz .LBB150_1476
; %bb.1475:
	global_load_u8 v4, v[2:3], off
	s_wait_loadcnt 0x0
	v_lshlrev_b32_e32 v4, 24, v4
	s_delay_alu instid0(VALU_DEP_1) | instskip(NEXT) | instid1(VALU_DEP_1)
	v_and_b32_e32 v5, 0x7f000000, v4
	v_clz_i32_u32_e32 v6, v5
	v_cmp_ne_u32_e32 vcc_lo, 0, v5
	v_add_nc_u32_e32 v8, 0x1000000, v5
	s_delay_alu instid0(VALU_DEP_3) | instskip(NEXT) | instid1(VALU_DEP_1)
	v_min_u32_e32 v6, 32, v6
	v_sub_nc_u32_e64 v6, v6, 4 clamp
	s_delay_alu instid0(VALU_DEP_1) | instskip(NEXT) | instid1(VALU_DEP_1)
	v_dual_lshlrev_b32 v7, v6, v5 :: v_dual_lshlrev_b32 v6, 23, v6
	v_lshrrev_b32_e32 v7, 4, v7
	s_delay_alu instid0(VALU_DEP_1) | instskip(NEXT) | instid1(VALU_DEP_1)
	v_dual_sub_nc_u32 v6, v7, v6 :: v_dual_ashrrev_i32 v7, 8, v8
	v_add_nc_u32_e32 v6, 0x3c000000, v6
	s_delay_alu instid0(VALU_DEP_1) | instskip(NEXT) | instid1(VALU_DEP_1)
	v_and_or_b32 v6, 0x7f800000, v7, v6
	v_cndmask_b32_e32 v5, 0, v6, vcc_lo
	s_delay_alu instid0(VALU_DEP_1)
	v_and_or_b32 v6, 0x80000000, v4, v5
.LBB150_1476:
	s_mov_b32 s25, 0
.LBB150_1477:
	s_delay_alu instid0(SALU_CYCLE_1)
	s_and_not1_b32 vcc_lo, exec_lo, s25
	s_cbranch_vccnz .LBB150_1479
; %bb.1478:
	global_load_u8 v4, v[2:3], off
	s_wait_loadcnt 0x0
	v_lshlrev_b32_e32 v5, 25, v4
	v_lshlrev_b16 v4, 8, v4
	s_delay_alu instid0(VALU_DEP_1) | instskip(SKIP_1) | instid1(VALU_DEP_2)
	v_and_or_b32 v7, 0x7f00, v4, 0.5
	v_bfe_i32 v4, v4, 0, 16
	v_dual_add_f32 v7, -0.5, v7 :: v_dual_lshrrev_b32 v6, 4, v5
	v_cmp_gt_u32_e32 vcc_lo, 0x8000000, v5
	s_delay_alu instid0(VALU_DEP_2) | instskip(NEXT) | instid1(VALU_DEP_1)
	v_or_b32_e32 v6, 0x70000000, v6
	v_mul_f32_e32 v6, 0x7800000, v6
	s_delay_alu instid0(VALU_DEP_1) | instskip(NEXT) | instid1(VALU_DEP_1)
	v_cndmask_b32_e32 v5, v6, v7, vcc_lo
	v_and_or_b32 v6, 0x80000000, v4, v5
.LBB150_1479:
	s_mov_b32 s25, 0
	s_mov_b32 s26, -1
.LBB150_1480:
	s_and_not1_b32 vcc_lo, exec_lo, s25
	s_mov_b32 s25, 0
	s_cbranch_vccnz .LBB150_1491
; %bb.1481:
	s_cmp_gt_i32 s23, 14
	s_cbranch_scc0 .LBB150_1484
; %bb.1482:
	s_cmp_eq_u32 s23, 15
	s_cbranch_scc0 .LBB150_1487
; %bb.1483:
	global_load_u16 v4, v[2:3], off
	s_mov_b32 s24, 0
	s_mov_b32 s26, -1
	s_wait_loadcnt 0x0
	v_lshlrev_b32_e32 v6, 16, v4
	s_branch .LBB150_1489
.LBB150_1484:
	s_mov_b32 s25, -1
	s_branch .LBB150_1488
.LBB150_1485:
	s_or_saveexec_b32 s26, s26
	v_mov_b32_e32 v6, 0x7f800001
	s_xor_b32 exec_lo, exec_lo, s26
	s_cbranch_execz .LBB150_1466
.LBB150_1486:
	v_cmp_ne_u16_e32 vcc_lo, 0, v4
	v_mov_b32_e32 v6, 0
	s_and_not1_b32 s25, s25, exec_lo
	s_and_b32 s27, vcc_lo, exec_lo
	s_delay_alu instid0(SALU_CYCLE_1)
	s_or_b32 s25, s25, s27
	s_or_b32 exec_lo, exec_lo, s26
	s_and_saveexec_b32 s26, s25
	s_cbranch_execnz .LBB150_1467
	s_branch .LBB150_1468
.LBB150_1487:
	s_mov_b32 s24, -1
.LBB150_1488:
                                        ; implicit-def: $vgpr6
.LBB150_1489:
	s_and_b32 vcc_lo, exec_lo, s25
	s_mov_b32 s25, 0
	s_cbranch_vccz .LBB150_1491
; %bb.1490:
	s_cmp_lg_u32 s23, 11
	s_mov_b32 s25, -1
	s_cselect_b32 s23, -1, 0
	s_and_not1_b32 s24, s24, exec_lo
	s_and_b32 s23, s23, exec_lo
	s_delay_alu instid0(SALU_CYCLE_1)
	s_or_b32 s24, s24, s23
.LBB150_1491:
	s_wait_loadcnt 0x0
	v_mov_b32_e32 v7, 0
.LBB150_1492:
	s_mov_b32 s23, 0
.LBB150_1493:
	s_and_not1_b32 s22, s22, exec_lo
	s_and_b32 s27, s24, exec_lo
	s_and_b32 s26, s26, exec_lo
	;; [unrolled: 1-line block ×4, first 2 shown]
	s_or_b32 s22, s22, s27
	s_wait_xcnt 0x0
	s_or_b32 exec_lo, exec_lo, s0
	s_and_saveexec_b32 s0, s22
	s_cbranch_execz .LBB150_1419
.LBB150_1494:
	s_or_b32 s20, s20, exec_lo
	s_and_not1_b32 s24, s24, exec_lo
	s_trap 2
	s_or_b32 exec_lo, exec_lo, s0
	s_and_saveexec_b32 s0, s24
	s_delay_alu instid0(SALU_CYCLE_1)
	s_xor_b32 s0, exec_lo, s0
	s_cbranch_execnz .LBB150_1420
.LBB150_1495:
	s_or_b32 exec_lo, exec_lo, s0
	s_and_saveexec_b32 s0, s23
	s_cbranch_execz .LBB150_1543
.LBB150_1496:
	s_sext_i32_i16 s22, s1
	s_delay_alu instid0(SALU_CYCLE_1)
	s_cmp_lt_i32 s22, 5
	s_cbranch_scc1 .LBB150_1501
; %bb.1497:
	s_cmp_lt_i32 s22, 8
	s_cbranch_scc1 .LBB150_1502
; %bb.1498:
	;; [unrolled: 3-line block ×3, first 2 shown]
	s_cmp_gt_i32 s22, 9
	s_cbranch_scc0 .LBB150_1504
; %bb.1500:
	s_wait_loadcnt 0x0
	global_load_b128 v[6:9], v[2:3], off
	s_mov_b32 s22, 0
	s_wait_loadcnt 0x0
	v_cvt_f32_f64_e32 v6, v[6:7]
	v_cvt_f32_f64_e32 v7, v[8:9]
	s_branch .LBB150_1505
.LBB150_1501:
                                        ; implicit-def: $vgpr7
	s_branch .LBB150_1523
.LBB150_1502:
                                        ; implicit-def: $vgpr7
	s_branch .LBB150_1511
.LBB150_1503:
	s_mov_b32 s22, -1
                                        ; implicit-def: $vgpr7
	s_branch .LBB150_1508
.LBB150_1504:
	s_mov_b32 s22, -1
                                        ; implicit-def: $vgpr7
.LBB150_1505:
	s_delay_alu instid0(SALU_CYCLE_1)
	s_and_not1_b32 vcc_lo, exec_lo, s22
	s_cbranch_vccnz .LBB150_1507
; %bb.1506:
	s_wait_loadcnt 0x0
	global_load_b64 v[6:7], v[2:3], off
.LBB150_1507:
	s_mov_b32 s22, 0
.LBB150_1508:
	s_delay_alu instid0(SALU_CYCLE_1)
	s_and_not1_b32 vcc_lo, exec_lo, s22
	s_cbranch_vccnz .LBB150_1510
; %bb.1509:
	global_load_b32 v4, v[2:3], off
	s_wait_loadcnt 0x0
	v_lshrrev_b32_e32 v5, 16, v4
	v_cvt_f32_f16_e32 v6, v4
	s_delay_alu instid0(VALU_DEP_2)
	v_cvt_f32_f16_e32 v7, v5
.LBB150_1510:
	s_cbranch_execnz .LBB150_1522
.LBB150_1511:
	s_sext_i32_i16 s22, s1
	s_delay_alu instid0(SALU_CYCLE_1)
	s_cmp_lt_i32 s22, 6
	s_cbranch_scc1 .LBB150_1514
; %bb.1512:
	s_cmp_gt_i32 s22, 6
	s_cbranch_scc0 .LBB150_1515
; %bb.1513:
	global_load_b64 v[4:5], v[2:3], off
	s_mov_b32 s22, 0
	s_wait_loadcnt 0x0
	v_cvt_f32_f64_e32 v6, v[4:5]
	s_branch .LBB150_1516
.LBB150_1514:
	s_mov_b32 s22, -1
                                        ; implicit-def: $vgpr6
	s_branch .LBB150_1519
.LBB150_1515:
	s_mov_b32 s22, -1
                                        ; implicit-def: $vgpr6
.LBB150_1516:
	s_delay_alu instid0(SALU_CYCLE_1)
	s_and_not1_b32 vcc_lo, exec_lo, s22
	s_cbranch_vccnz .LBB150_1518
; %bb.1517:
	s_wait_loadcnt 0x0
	global_load_b32 v6, v[2:3], off
.LBB150_1518:
	s_mov_b32 s22, 0
.LBB150_1519:
	s_delay_alu instid0(SALU_CYCLE_1)
	s_and_not1_b32 vcc_lo, exec_lo, s22
	s_cbranch_vccnz .LBB150_1521
; %bb.1520:
	global_load_u16 v4, v[2:3], off
	s_wait_loadcnt 0x0
	v_cvt_f32_f16_e32 v6, v4
.LBB150_1521:
	s_wait_loadcnt 0x0
	v_mov_b32_e32 v7, 0
.LBB150_1522:
	s_cbranch_execnz .LBB150_1542
.LBB150_1523:
	s_sext_i32_i16 s22, s1
	s_delay_alu instid0(SALU_CYCLE_1)
	s_cmp_lt_i32 s22, 2
	s_cbranch_scc1 .LBB150_1527
; %bb.1524:
	s_cmp_lt_i32 s22, 3
	s_cbranch_scc1 .LBB150_1528
; %bb.1525:
	s_cmp_gt_i32 s22, 3
	s_cbranch_scc0 .LBB150_1529
; %bb.1526:
	global_load_b64 v[4:5], v[2:3], off
	s_mov_b32 s22, 0
	s_wait_loadcnt 0x0
	v_xor_b32_e32 v6, v4, v5
	v_cls_i32_e32 v7, v5
	s_delay_alu instid0(VALU_DEP_2) | instskip(NEXT) | instid1(VALU_DEP_1)
	v_ashrrev_i32_e32 v6, 31, v6
	v_add_nc_u32_e32 v6, 32, v6
	s_delay_alu instid0(VALU_DEP_1) | instskip(NEXT) | instid1(VALU_DEP_1)
	v_add_min_u32_e64 v6, v7, -1, v6
	v_lshlrev_b64_e32 v[4:5], v6, v[4:5]
	s_delay_alu instid0(VALU_DEP_1) | instskip(NEXT) | instid1(VALU_DEP_1)
	v_min_u32_e32 v4, 1, v4
	v_dual_sub_nc_u32 v5, 32, v6 :: v_dual_bitop2_b32 v4, v5, v4 bitop3:0x54
	s_delay_alu instid0(VALU_DEP_1) | instskip(NEXT) | instid1(VALU_DEP_1)
	v_cvt_f32_i32_e32 v4, v4
	v_ldexp_f32 v6, v4, v5
	s_branch .LBB150_1530
.LBB150_1527:
                                        ; implicit-def: $vgpr6
	s_branch .LBB150_1536
.LBB150_1528:
	s_mov_b32 s22, -1
                                        ; implicit-def: $vgpr6
	s_branch .LBB150_1533
.LBB150_1529:
	s_mov_b32 s22, -1
                                        ; implicit-def: $vgpr6
.LBB150_1530:
	s_delay_alu instid0(SALU_CYCLE_1)
	s_and_not1_b32 vcc_lo, exec_lo, s22
	s_cbranch_vccnz .LBB150_1532
; %bb.1531:
	global_load_b32 v4, v[2:3], off
	s_wait_loadcnt 0x0
	v_cvt_f32_i32_e32 v6, v4
.LBB150_1532:
	s_mov_b32 s22, 0
.LBB150_1533:
	s_delay_alu instid0(SALU_CYCLE_1)
	s_and_not1_b32 vcc_lo, exec_lo, s22
	s_cbranch_vccnz .LBB150_1535
; %bb.1534:
	global_load_i16 v4, v[2:3], off
	s_wait_loadcnt 0x0
	v_cvt_f32_i32_e32 v6, v4
.LBB150_1535:
	s_cbranch_execnz .LBB150_1541
.LBB150_1536:
	s_sext_i32_i16 s22, s1
	s_delay_alu instid0(SALU_CYCLE_1)
	s_cmp_gt_i32 s22, 0
	s_mov_b32 s22, 0
	s_cbranch_scc0 .LBB150_1538
; %bb.1537:
	global_load_i8 v4, v[2:3], off
	s_wait_loadcnt 0x0
	v_cvt_f32_i32_e32 v6, v4
	s_branch .LBB150_1539
.LBB150_1538:
	s_mov_b32 s22, -1
                                        ; implicit-def: $vgpr6
.LBB150_1539:
	s_delay_alu instid0(SALU_CYCLE_1)
	s_and_not1_b32 vcc_lo, exec_lo, s22
	s_cbranch_vccnz .LBB150_1541
; %bb.1540:
	global_load_u8 v2, v[2:3], off
	s_wait_loadcnt 0x0
	v_cvt_f32_ubyte0_e32 v6, v2
.LBB150_1541:
	s_wait_loadcnt 0x0
	v_mov_b32_e32 v7, 0
.LBB150_1542:
	s_or_b32 s26, s26, exec_lo
.LBB150_1543:
	s_wait_xcnt 0x0
	s_or_b32 exec_lo, exec_lo, s0
	s_mov_b32 s0, 0
	s_mov_b32 s24, 0
                                        ; implicit-def: $sgpr22
                                        ; implicit-def: $vgpr2_vgpr3
                                        ; implicit-def: $vgpr4
                                        ; implicit-def: $vgpr8_vgpr9
	s_and_saveexec_b32 s23, s26
	s_cbranch_execz .LBB150_1551
; %bb.1544:
	v_mov_b64_e32 v[2:3], s[12:13]
	v_mul_lo_u32 v10, v18, s14
	s_wait_loadcnt 0x0
	s_delay_alu instid0(VALU_DEP_3) | instskip(SKIP_1) | instid1(SALU_CYCLE_1)
	v_dual_mov_b32 v8, v7 :: v_dual_mov_b32 v9, v6
	s_and_b32 s22, s15, 0xff
	s_cmp_lt_i32 s22, 11
	s_delay_alu instid0(VALU_DEP_3) | instskip(SKIP_1) | instid1(VALU_DEP_2)
	v_pk_mul_f32 v[4:5], v[0:1], v[2:3]
	v_pk_mul_f32 v[0:1], v[0:1], v[2:3] op_sel:[0,1] op_sel_hi:[1,0]
	v_dual_add_f32 v2, v4, v5 :: v_dual_ashrrev_i32 v11, 31, v10
	s_delay_alu instid0(VALU_DEP_2) | instskip(NEXT) | instid1(VALU_DEP_2)
	v_pk_add_f32 v[0:1], v[0:1], v[0:1] op_sel:[0,1] op_sel_hi:[0,1] neg_lo:[0,1] neg_hi:[0,1]
	v_pk_mul_f32 v[4:5], v[2:3], v[8:9] op_sel_hi:[0,1]
	s_delay_alu instid0(VALU_DEP_3) | instskip(NEXT) | instid1(VALU_DEP_2)
	v_add_nc_u64_e32 v[2:3], s[2:3], v[10:11]
	v_pk_fma_f32 v[8:9], v[0:1], v[6:7], v[4:5]
	v_pk_fma_f32 v[4:5], v[0:1], v[6:7], v[4:5] neg_lo:[0,0,1] neg_hi:[0,0,1]
	s_delay_alu instid0(VALU_DEP_2)
	v_mov_b32_e32 v5, v9
	s_cbranch_scc1 .LBB150_1554
; %bb.1545:
	s_and_b32 s12, 0xffff, s22
	s_mov_b32 s13, -1
	s_cmp_gt_i32 s12, 25
	s_mov_b32 s0, s21
	s_cbranch_scc0 .LBB150_1582
; %bb.1546:
	s_cmp_gt_i32 s12, 28
	s_mov_b32 s0, s21
	s_cbranch_scc0 .LBB150_1566
; %bb.1547:
	;; [unrolled: 4-line block ×4, first 2 shown]
	s_cmp_eq_u32 s12, 46
	s_mov_b32 s0, -1
	s_cbranch_scc0 .LBB150_1555
; %bb.1550:
	v_dual_lshrrev_b32 v0, 16, v4 :: v_dual_lshrrev_b32 v1, 16, v9
	v_cmp_o_f32_e32 vcc_lo, v4, v4
	s_mov_b32 s0, 0
	s_mov_b32 s13, 0
	s_delay_alu instid0(VALU_DEP_2) | instskip(NEXT) | instid1(VALU_DEP_1)
	v_and_b32_e32 v0, 1, v0
	v_add3_u32 v0, v4, v0, 0x7fff
	s_delay_alu instid0(VALU_DEP_1) | instskip(NEXT) | instid1(VALU_DEP_1)
	v_dual_lshrrev_b32 v0, 16, v0 :: v_dual_bitop2_b32 v1, 1, v1 bitop3:0x40
	v_add3_u32 v1, v9, v1, 0x7fff
	s_delay_alu instid0(VALU_DEP_2) | instskip(NEXT) | instid1(VALU_DEP_2)
	v_cndmask_b32_e32 v0, 0x7fc0, v0, vcc_lo
	v_and_b32_e32 v1, 0xffff0000, v1
	v_cmp_o_f32_e32 vcc_lo, v9, v9
	s_delay_alu instid0(VALU_DEP_2) | instskip(NEXT) | instid1(VALU_DEP_1)
	v_cndmask_b32_e32 v1, 0x7fc00000, v1, vcc_lo
	v_or_b32_e32 v0, v1, v0
	global_store_b32 v[2:3], v0, off
	s_branch .LBB150_1556
.LBB150_1551:
	s_or_b32 exec_lo, exec_lo, s23
	s_and_saveexec_b32 s12, s21
	s_cbranch_execnz .LBB150_1624
.LBB150_1552:
	s_or_b32 exec_lo, exec_lo, s12
	s_and_saveexec_b32 s12, s0
	s_delay_alu instid0(SALU_CYCLE_1)
	s_xor_b32 s12, exec_lo, s12
	s_cbranch_execz .LBB150_1625
.LBB150_1553:
	v_cmp_neq_f32_e32 vcc_lo, 0, v4
	v_cmp_neq_f32_e64 s0, 0, v9
	s_or_b32 s0, vcc_lo, s0
	s_wait_loadcnt 0x0
	v_cndmask_b32_e64 v0, 0, 1, s0
	global_store_b8 v[2:3], v0, off
	s_wait_xcnt 0x0
	s_or_b32 exec_lo, exec_lo, s12
	s_and_saveexec_b32 s0, s24
	s_delay_alu instid0(SALU_CYCLE_1)
	s_xor_b32 s0, exec_lo, s0
	s_cbranch_execz .LBB150_1663
	s_branch .LBB150_1626
.LBB150_1554:
	s_mov_b32 s25, 0
	s_mov_b32 s13, -1
	s_mov_b32 s0, s21
	s_branch .LBB150_1623
.LBB150_1555:
	s_mov_b32 s13, 0
.LBB150_1556:
	s_delay_alu instid0(SALU_CYCLE_1)
	s_and_b32 vcc_lo, exec_lo, s13
	s_cbranch_vccz .LBB150_1561
; %bb.1557:
	s_cmp_eq_u32 s12, 44
	s_mov_b32 s0, -1
	s_cbranch_scc0 .LBB150_1561
; %bb.1558:
	v_bfe_u32 v1, v4, 23, 8
	s_wait_xcnt 0x0
	v_mov_b32_e32 v0, 0xff
	s_mov_b32 s13, exec_lo
	s_delay_alu instid0(VALU_DEP_2)
	v_cmpx_ne_u32_e32 0xff, v1
	s_cbranch_execz .LBB150_1560
; %bb.1559:
	v_and_b32_e32 v0, 0x400000, v4
	v_and_or_b32 v1, 0x3fffff, v4, v1
	s_delay_alu instid0(VALU_DEP_2) | instskip(NEXT) | instid1(VALU_DEP_2)
	v_cmp_ne_u32_e32 vcc_lo, 0, v0
	v_cmp_ne_u32_e64 s0, 0, v1
	v_lshrrev_b32_e32 v0, 23, v4
	s_and_b32 s0, vcc_lo, s0
	s_delay_alu instid0(SALU_CYCLE_1) | instskip(NEXT) | instid1(VALU_DEP_1)
	v_cndmask_b32_e64 v1, 0, 1, s0
	v_add_nc_u32_e32 v0, v0, v1
.LBB150_1560:
	s_or_b32 exec_lo, exec_lo, s13
	s_mov_b32 s0, 0
	global_store_b8 v[2:3], v0, off
.LBB150_1561:
	s_mov_b32 s13, 0
.LBB150_1562:
	s_delay_alu instid0(SALU_CYCLE_1)
	s_and_b32 vcc_lo, exec_lo, s13
	s_cbranch_vccz .LBB150_1565
; %bb.1563:
	s_cmp_eq_u32 s12, 29
	s_mov_b32 s0, -1
	s_cbranch_scc0 .LBB150_1565
; %bb.1564:
	s_wait_xcnt 0x0
	v_trunc_f32_e32 v0, v4
	s_mov_b32 s0, 0
	s_mov_b32 s13, 0
	s_delay_alu instid0(VALU_DEP_1) | instskip(NEXT) | instid1(VALU_DEP_1)
	v_mul_f32_e32 v1, 0x2f800000, v0
	v_floor_f32_e32 v1, v1
	s_delay_alu instid0(VALU_DEP_1) | instskip(SKIP_1) | instid1(VALU_DEP_2)
	v_fmamk_f32 v0, v1, 0xcf800000, v0
	v_cvt_u32_f32_e32 v1, v1
	v_cvt_u32_f32_e32 v0, v0
	global_store_b64 v[2:3], v[0:1], off
	s_branch .LBB150_1566
.LBB150_1565:
	s_mov_b32 s13, 0
.LBB150_1566:
	s_delay_alu instid0(SALU_CYCLE_1)
	s_and_b32 vcc_lo, exec_lo, s13
	s_cbranch_vccz .LBB150_1581
; %bb.1567:
	s_cmp_lt_i32 s12, 27
	s_mov_b32 s13, -1
	s_cbranch_scc1 .LBB150_1573
; %bb.1568:
	s_wait_xcnt 0x0
	v_cvt_u32_f32_e32 v0, v4
	s_cmp_gt_i32 s12, 27
	s_cbranch_scc0 .LBB150_1570
; %bb.1569:
	s_mov_b32 s13, 0
	global_store_b32 v[2:3], v0, off
.LBB150_1570:
	s_and_not1_b32 vcc_lo, exec_lo, s13
	s_cbranch_vccnz .LBB150_1572
; %bb.1571:
	global_store_b16 v[2:3], v0, off
.LBB150_1572:
	s_mov_b32 s13, 0
.LBB150_1573:
	s_delay_alu instid0(SALU_CYCLE_1)
	s_and_not1_b32 vcc_lo, exec_lo, s13
	s_cbranch_vccnz .LBB150_1581
; %bb.1574:
	s_wait_xcnt 0x0
	v_and_b32_e32 v0, 0x7fffffff, v4
	v_mov_b32_e32 v1, 0x80
	s_mov_b32 s13, exec_lo
	s_delay_alu instid0(VALU_DEP_2)
	v_cmpx_gt_u32_e32 0x43800000, v0
	s_cbranch_execz .LBB150_1580
; %bb.1575:
	v_cmp_lt_u32_e32 vcc_lo, 0x3bffffff, v0
                                        ; implicit-def: $vgpr0
	s_and_saveexec_b32 s25, vcc_lo
	s_delay_alu instid0(SALU_CYCLE_1)
	s_xor_b32 s25, exec_lo, s25
	s_cbranch_execz .LBB150_1695
; %bb.1576:
	v_bfe_u32 v0, v4, 20, 1
	s_mov_b32 s24, exec_lo
	s_delay_alu instid0(VALU_DEP_1) | instskip(NEXT) | instid1(VALU_DEP_1)
	v_add3_u32 v0, v4, v0, 0x487ffff
	v_lshrrev_b32_e32 v0, 20, v0
	s_and_not1_saveexec_b32 s25, s25
	s_cbranch_execnz .LBB150_1696
.LBB150_1577:
	s_or_b32 exec_lo, exec_lo, s25
	v_mov_b32_e32 v1, 0
	s_and_saveexec_b32 s25, s24
.LBB150_1578:
	v_lshrrev_b32_e32 v1, 24, v4
	s_delay_alu instid0(VALU_DEP_1)
	v_and_or_b32 v1, 0x80, v1, v0
.LBB150_1579:
	s_or_b32 exec_lo, exec_lo, s25
.LBB150_1580:
	s_delay_alu instid0(SALU_CYCLE_1)
	s_or_b32 exec_lo, exec_lo, s13
	global_store_b8 v[2:3], v1, off
.LBB150_1581:
	s_mov_b32 s13, 0
.LBB150_1582:
	s_delay_alu instid0(SALU_CYCLE_1)
	s_and_b32 vcc_lo, exec_lo, s13
	s_mov_b32 s13, 0
	s_cbranch_vccz .LBB150_1622
; %bb.1583:
	s_cmp_gt_i32 s12, 22
	s_mov_b32 s24, -1
	s_cbranch_scc0 .LBB150_1615
; %bb.1584:
	s_cmp_lt_i32 s12, 24
	s_cbranch_scc1 .LBB150_1604
; %bb.1585:
	s_cmp_gt_i32 s12, 24
	s_cbranch_scc0 .LBB150_1593
; %bb.1586:
	s_wait_xcnt 0x0
	v_and_b32_e32 v0, 0x7fffffff, v4
	v_mov_b32_e32 v1, 0x80
	s_mov_b32 s24, exec_lo
	s_delay_alu instid0(VALU_DEP_2)
	v_cmpx_gt_u32_e32 0x47800000, v0
	s_cbranch_execz .LBB150_1592
; %bb.1587:
	v_cmp_lt_u32_e32 vcc_lo, 0x37ffffff, v0
	s_mov_b32 s25, 0
                                        ; implicit-def: $vgpr0
	s_and_saveexec_b32 s26, vcc_lo
	s_delay_alu instid0(SALU_CYCLE_1)
	s_xor_b32 s26, exec_lo, s26
	s_cbranch_execz .LBB150_1698
; %bb.1588:
	v_bfe_u32 v0, v4, 21, 1
	s_mov_b32 s25, exec_lo
	s_delay_alu instid0(VALU_DEP_1) | instskip(NEXT) | instid1(VALU_DEP_1)
	v_add3_u32 v0, v4, v0, 0x88fffff
	v_lshrrev_b32_e32 v0, 21, v0
	s_and_not1_saveexec_b32 s26, s26
	s_cbranch_execnz .LBB150_1699
.LBB150_1589:
	s_or_b32 exec_lo, exec_lo, s26
	v_mov_b32_e32 v1, 0
	s_and_saveexec_b32 s26, s25
.LBB150_1590:
	v_lshrrev_b32_e32 v1, 24, v4
	s_delay_alu instid0(VALU_DEP_1)
	v_and_or_b32 v1, 0x80, v1, v0
.LBB150_1591:
	s_or_b32 exec_lo, exec_lo, s26
.LBB150_1592:
	s_delay_alu instid0(SALU_CYCLE_1)
	s_or_b32 exec_lo, exec_lo, s24
	s_mov_b32 s24, 0
	global_store_b8 v[2:3], v1, off
.LBB150_1593:
	s_and_b32 vcc_lo, exec_lo, s24
	s_cbranch_vccz .LBB150_1603
; %bb.1594:
	s_wait_xcnt 0x0
	v_and_b32_e32 v1, 0x7fffffff, v4
	s_mov_b32 s24, exec_lo
                                        ; implicit-def: $vgpr0
	s_delay_alu instid0(VALU_DEP_1)
	v_cmpx_gt_u32_e32 0x43f00000, v1
	s_xor_b32 s24, exec_lo, s24
	s_cbranch_execz .LBB150_1600
; %bb.1595:
	s_mov_b32 s25, exec_lo
                                        ; implicit-def: $vgpr0
	v_cmpx_lt_u32_e32 0x3c7fffff, v1
	s_xor_b32 s25, exec_lo, s25
; %bb.1596:
	v_bfe_u32 v0, v4, 20, 1
	s_delay_alu instid0(VALU_DEP_1) | instskip(NEXT) | instid1(VALU_DEP_1)
	v_add3_u32 v0, v4, v0, 0x407ffff
	v_and_b32_e32 v1, 0xff00000, v0
	v_lshrrev_b32_e32 v0, 20, v0
	s_delay_alu instid0(VALU_DEP_2) | instskip(NEXT) | instid1(VALU_DEP_2)
	v_cmp_ne_u32_e32 vcc_lo, 0x7f00000, v1
	v_cndmask_b32_e32 v0, 0x7e, v0, vcc_lo
; %bb.1597:
	s_and_not1_saveexec_b32 s25, s25
; %bb.1598:
	v_add_f32_e64 v0, 0x46800000, |v4|
; %bb.1599:
	s_or_b32 exec_lo, exec_lo, s25
                                        ; implicit-def: $vgpr1
.LBB150_1600:
	s_and_not1_saveexec_b32 s24, s24
; %bb.1601:
	v_mov_b32_e32 v0, 0x7f
	v_cmp_lt_u32_e32 vcc_lo, 0x7f800000, v1
	s_delay_alu instid0(VALU_DEP_2)
	v_cndmask_b32_e32 v0, 0x7e, v0, vcc_lo
; %bb.1602:
	s_or_b32 exec_lo, exec_lo, s24
	v_lshrrev_b32_e32 v1, 24, v4
	s_delay_alu instid0(VALU_DEP_1)
	v_and_or_b32 v0, 0x80, v1, v0
	global_store_b8 v[2:3], v0, off
.LBB150_1603:
	s_mov_b32 s24, 0
.LBB150_1604:
	s_delay_alu instid0(SALU_CYCLE_1)
	s_and_not1_b32 vcc_lo, exec_lo, s24
	s_cbranch_vccnz .LBB150_1614
; %bb.1605:
	s_wait_xcnt 0x0
	v_and_b32_e32 v1, 0x7fffffff, v4
	s_mov_b32 s24, exec_lo
                                        ; implicit-def: $vgpr0
	s_delay_alu instid0(VALU_DEP_1)
	v_cmpx_gt_u32_e32 0x47800000, v1
	s_xor_b32 s24, exec_lo, s24
	s_cbranch_execz .LBB150_1611
; %bb.1606:
	s_mov_b32 s25, exec_lo
                                        ; implicit-def: $vgpr0
	v_cmpx_lt_u32_e32 0x387fffff, v1
	s_xor_b32 s25, exec_lo, s25
; %bb.1607:
	v_bfe_u32 v0, v4, 21, 1
	s_delay_alu instid0(VALU_DEP_1) | instskip(NEXT) | instid1(VALU_DEP_1)
	v_add3_u32 v0, v4, v0, 0x80fffff
	v_lshrrev_b32_e32 v0, 21, v0
; %bb.1608:
	s_and_not1_saveexec_b32 s25, s25
; %bb.1609:
	v_add_f32_e64 v0, 0x43000000, |v4|
; %bb.1610:
	s_or_b32 exec_lo, exec_lo, s25
                                        ; implicit-def: $vgpr1
.LBB150_1611:
	s_and_not1_saveexec_b32 s24, s24
; %bb.1612:
	v_mov_b32_e32 v0, 0x7f
	v_cmp_lt_u32_e32 vcc_lo, 0x7f800000, v1
	s_delay_alu instid0(VALU_DEP_2)
	v_cndmask_b32_e32 v0, 0x7c, v0, vcc_lo
; %bb.1613:
	s_or_b32 exec_lo, exec_lo, s24
	v_lshrrev_b32_e32 v1, 24, v4
	s_delay_alu instid0(VALU_DEP_1)
	v_and_or_b32 v0, 0x80, v1, v0
	global_store_b8 v[2:3], v0, off
.LBB150_1614:
	s_mov_b32 s24, 0
.LBB150_1615:
	s_delay_alu instid0(SALU_CYCLE_1)
	s_and_not1_b32 vcc_lo, exec_lo, s24
	s_mov_b32 s25, 0
	s_cbranch_vccnz .LBB150_1623
; %bb.1616:
	s_cmp_gt_i32 s12, 14
	s_mov_b32 s24, -1
	s_cbranch_scc0 .LBB150_1620
; %bb.1617:
	s_cmp_eq_u32 s12, 15
	s_mov_b32 s0, -1
	s_cbranch_scc0 .LBB150_1619
; %bb.1618:
	s_wait_xcnt 0x0
	v_bfe_u32 v0, v4, 16, 1
	v_cmp_o_f32_e32 vcc_lo, v4, v4
	s_mov_b32 s0, 0
	s_delay_alu instid0(VALU_DEP_2) | instskip(NEXT) | instid1(VALU_DEP_1)
	v_add3_u32 v0, v4, v0, 0x7fff
	v_lshrrev_b32_e32 v0, 16, v0
	s_delay_alu instid0(VALU_DEP_1)
	v_cndmask_b32_e32 v0, 0x7fc0, v0, vcc_lo
	global_store_b16 v[2:3], v0, off
.LBB150_1619:
	s_mov_b32 s24, 0
.LBB150_1620:
	s_delay_alu instid0(SALU_CYCLE_1)
	s_and_b32 vcc_lo, exec_lo, s24
	s_cbranch_vccz .LBB150_1623
; %bb.1621:
	s_cmp_lg_u32 s12, 11
	s_mov_b32 s25, -1
	s_cselect_b32 s12, -1, 0
	s_and_not1_b32 s0, s0, exec_lo
	s_and_b32 s12, s12, exec_lo
	s_delay_alu instid0(SALU_CYCLE_1)
	s_or_b32 s0, s0, s12
	s_branch .LBB150_1623
.LBB150_1622:
	s_mov_b32 s25, 0
.LBB150_1623:
	s_and_b32 s24, s13, exec_lo
	s_and_not1_b32 s12, s21, exec_lo
	s_and_b32 s13, s0, exec_lo
	s_and_b32 s0, s25, exec_lo
	s_or_b32 s21, s12, s13
	s_wait_xcnt 0x0
	s_or_b32 exec_lo, exec_lo, s23
	s_and_saveexec_b32 s12, s21
	s_cbranch_execz .LBB150_1552
.LBB150_1624:
	s_or_b32 s20, s20, exec_lo
	s_and_not1_b32 s0, s0, exec_lo
	s_trap 2
	s_or_b32 exec_lo, exec_lo, s12
	s_and_saveexec_b32 s12, s0
	s_delay_alu instid0(SALU_CYCLE_1)
	s_xor_b32 s12, exec_lo, s12
	s_cbranch_execnz .LBB150_1553
.LBB150_1625:
	s_or_b32 exec_lo, exec_lo, s12
	s_and_saveexec_b32 s0, s24
	s_delay_alu instid0(SALU_CYCLE_1)
	s_xor_b32 s0, exec_lo, s0
	s_cbranch_execz .LBB150_1663
.LBB150_1626:
	s_sext_i32_i16 s13, s22
	s_mov_b32 s12, -1
	s_cmp_lt_i32 s13, 5
	s_cbranch_scc1 .LBB150_1647
; %bb.1627:
	s_cmp_lt_i32 s13, 8
	s_cbranch_scc1 .LBB150_1637
; %bb.1628:
	;; [unrolled: 3-line block ×3, first 2 shown]
	s_cmp_gt_i32 s13, 9
	s_cbranch_scc0 .LBB150_1631
; %bb.1630:
	v_cvt_f64_f32_e32 v[10:11], v4
	v_cvt_f64_f32_e32 v[12:13], v9
	s_mov_b32 s12, 0
	global_store_b128 v[2:3], v[10:13], off
.LBB150_1631:
	s_and_not1_b32 vcc_lo, exec_lo, s12
	s_cbranch_vccnz .LBB150_1633
; %bb.1632:
	global_store_b64 v[2:3], v[4:5], off
.LBB150_1633:
	s_mov_b32 s12, 0
.LBB150_1634:
	s_delay_alu instid0(SALU_CYCLE_1)
	s_and_not1_b32 vcc_lo, exec_lo, s12
	s_cbranch_vccnz .LBB150_1636
; %bb.1635:
	s_wait_loadcnt 0x0
	v_cvt_f16_f32_e32 v0, v9
	v_cvt_f16_f32_e32 v1, v4
	s_delay_alu instid0(VALU_DEP_2) | instskip(NEXT) | instid1(VALU_DEP_2)
	v_lshlrev_b32_e32 v0, 16, v0
	v_and_b32_e32 v1, 0xffff, v1
	s_delay_alu instid0(VALU_DEP_1)
	v_or_b32_e32 v0, v0, v1
	global_store_b32 v[2:3], v0, off
.LBB150_1636:
	s_mov_b32 s12, 0
.LBB150_1637:
	s_delay_alu instid0(SALU_CYCLE_1)
	s_and_not1_b32 vcc_lo, exec_lo, s12
	s_cbranch_vccnz .LBB150_1646
; %bb.1638:
	s_sext_i32_i16 s13, s22
	s_mov_b32 s12, -1
	s_cmp_lt_i32 s13, 6
	s_cbranch_scc1 .LBB150_1644
; %bb.1639:
	s_cmp_gt_i32 s13, 6
	s_cbranch_scc0 .LBB150_1641
; %bb.1640:
	s_wait_loadcnt 0x0
	v_cvt_f64_f32_e32 v[0:1], v4
	s_mov_b32 s12, 0
	global_store_b64 v[2:3], v[0:1], off
.LBB150_1641:
	s_and_not1_b32 vcc_lo, exec_lo, s12
	s_cbranch_vccnz .LBB150_1643
; %bb.1642:
	global_store_b32 v[2:3], v4, off
.LBB150_1643:
	s_mov_b32 s12, 0
.LBB150_1644:
	s_delay_alu instid0(SALU_CYCLE_1)
	s_and_not1_b32 vcc_lo, exec_lo, s12
	s_cbranch_vccnz .LBB150_1646
; %bb.1645:
	s_wait_loadcnt 0x0
	v_cvt_f16_f32_e32 v0, v4
	global_store_b16 v[2:3], v0, off
.LBB150_1646:
	s_mov_b32 s12, 0
.LBB150_1647:
	s_delay_alu instid0(SALU_CYCLE_1)
	s_and_not1_b32 vcc_lo, exec_lo, s12
	s_cbranch_vccnz .LBB150_1663
; %bb.1648:
	s_sext_i32_i16 s13, s22
	s_mov_b32 s12, -1
	s_cmp_lt_i32 s13, 2
	s_cbranch_scc1 .LBB150_1658
; %bb.1649:
	s_cmp_lt_i32 s13, 3
	s_cbranch_scc1 .LBB150_1655
; %bb.1650:
	s_cmp_gt_i32 s13, 3
	s_cbranch_scc0 .LBB150_1652
; %bb.1651:
	s_wait_loadcnt 0x0
	v_trunc_f32_e32 v0, v4
	s_mov_b32 s12, 0
	s_delay_alu instid0(VALU_DEP_1) | instskip(NEXT) | instid1(VALU_DEP_1)
	v_mul_f32_e64 v1, 0x2f800000, |v0|
	v_floor_f32_e32 v1, v1
	s_delay_alu instid0(VALU_DEP_1) | instskip(SKIP_2) | instid1(VALU_DEP_3)
	v_fma_f32 v5, 0xcf800000, v1, |v0|
	v_ashrrev_i32_e32 v0, 31, v0
	v_cvt_u32_f32_e32 v6, v1
	v_cvt_u32_f32_e32 v5, v5
	s_delay_alu instid0(VALU_DEP_2) | instskip(NEXT) | instid1(VALU_DEP_2)
	v_dual_mov_b32 v1, v0 :: v_dual_bitop2_b32 v7, v6, v0 bitop3:0x14
	v_xor_b32_e32 v6, v5, v0
	s_delay_alu instid0(VALU_DEP_1)
	v_sub_nc_u64_e32 v[0:1], v[6:7], v[0:1]
	global_store_b64 v[2:3], v[0:1], off
.LBB150_1652:
	s_and_not1_b32 vcc_lo, exec_lo, s12
	s_cbranch_vccnz .LBB150_1654
; %bb.1653:
	s_wait_loadcnt 0x0
	v_cvt_i32_f32_e32 v0, v4
	global_store_b32 v[2:3], v0, off
.LBB150_1654:
	s_mov_b32 s12, 0
.LBB150_1655:
	s_delay_alu instid0(SALU_CYCLE_1)
	s_and_not1_b32 vcc_lo, exec_lo, s12
	s_cbranch_vccnz .LBB150_1657
; %bb.1656:
	s_wait_loadcnt 0x0
	v_cvt_i32_f32_e32 v0, v4
	global_store_b16 v[2:3], v0, off
.LBB150_1657:
	s_mov_b32 s12, 0
.LBB150_1658:
	s_delay_alu instid0(SALU_CYCLE_1)
	s_and_not1_b32 vcc_lo, exec_lo, s12
	s_cbranch_vccnz .LBB150_1663
; %bb.1659:
	s_sext_i32_i16 s12, s22
	s_delay_alu instid0(SALU_CYCLE_1)
	s_cmp_gt_i32 s12, 0
	s_mov_b32 s12, -1
	s_cbranch_scc0 .LBB150_1661
; %bb.1660:
	s_wait_loadcnt 0x0
	v_cvt_i32_f32_e32 v0, v4
	s_mov_b32 s12, 0
	global_store_b8 v[2:3], v0, off
.LBB150_1661:
	s_and_not1_b32 vcc_lo, exec_lo, s12
	s_cbranch_vccnz .LBB150_1663
; %bb.1662:
	s_wait_loadcnt 0x0
	v_trunc_f32_e32 v0, v4
	s_delay_alu instid0(VALU_DEP_1) | instskip(NEXT) | instid1(VALU_DEP_1)
	v_mul_f32_e64 v1, 0x2f800000, |v0|
	v_floor_f32_e32 v1, v1
	s_delay_alu instid0(VALU_DEP_1) | instskip(SKIP_1) | instid1(VALU_DEP_2)
	v_fma_f32 v1, 0xcf800000, v1, |v0|
	v_ashrrev_i32_e32 v0, 31, v0
	v_cvt_u32_f32_e32 v1, v1
	s_delay_alu instid0(VALU_DEP_1) | instskip(NEXT) | instid1(VALU_DEP_1)
	v_xor_b32_e32 v1, v1, v0
	v_sub_nc_u32_e32 v0, v1, v0
	global_store_b8 v[2:3], v0, off
.LBB150_1663:
	s_wait_xcnt 0x0
	s_or_b32 exec_lo, exec_lo, s0
	s_delay_alu instid0(SALU_CYCLE_1)
	s_and_b32 s12, s20, exec_lo
                                        ; implicit-def: $vgpr18
.LBB150_1664:
	s_or_saveexec_b32 s13, s19
	s_mov_b32 s20, 0
                                        ; implicit-def: $sgpr19
                                        ; implicit-def: $vgpr0_vgpr1
                                        ; implicit-def: $vgpr2_vgpr3
                                        ; implicit-def: $vgpr4_vgpr5
	s_xor_b32 exec_lo, exec_lo, s13
	s_cbranch_execz .LBB150_3272
; %bb.1665:
	s_and_b32 s18, s18, 0xff
	s_delay_alu instid0(SALU_CYCLE_1)
	s_cmp_lt_i32 s18, 23
	s_cbranch_scc1 .LBB150_1669
; %bb.1666:
	s_and_b32 s19, 0xffff, s18
	s_delay_alu instid0(SALU_CYCLE_1)
	s_cmp_gt_i32 s19, 43
	s_cbranch_scc0 .LBB150_1670
; %bb.1667:
	s_cmp_gt_i32 s19, 45
	s_cbranch_scc0 .LBB150_1671
; %bb.1668:
	s_cmp_lg_u32 s19, 46
	s_mov_b32 s0, -1
	s_cselect_b32 s17, -1, 0
	s_and_not1_b32 vcc_lo, exec_lo, s20
	s_cbranch_vccz .LBB150_1672
	s_branch .LBB150_1673
.LBB150_1669:
	s_mov_b32 s0, 0
	s_cbranch_execnz .LBB150_1676
	s_branch .LBB150_1680
.LBB150_1670:
	s_mov_b32 s0, 0
	s_cbranch_execnz .LBB150_1674
	s_branch .LBB150_1675
.LBB150_1671:
	s_mov_b32 s0, 0
.LBB150_1672:
	s_cmp_eq_u32 s19, 44
	s_cselect_b32 s0, -1, 0
	s_cmp_lg_u32 s19, 44
	s_cselect_b32 s17, -1, 0
.LBB150_1673:
	s_branch .LBB150_1675
.LBB150_1674:
	s_cmp_lt_i32 s19, 30
	s_cselect_b32 s0, -1, 0
	s_cmp_gt_i32 s19, 29
	s_cselect_b32 s17, -1, 0
.LBB150_1675:
	s_branch .LBB150_1680
.LBB150_1676:
	s_and_b32 s19, 0xffff, s18
	s_mov_b32 s20, -1
	s_cmp_gt_i32 s19, 14
	s_cbranch_scc0 .LBB150_1678
; %bb.1677:
	s_cmp_eq_u32 s19, 15
	s_mov_b32 s20, 0
	s_cselect_b32 s0, -1, 0
	s_cmp_lg_u32 s19, 15
	s_cselect_b32 s17, -1, 0
.LBB150_1678:
	s_and_not1_b32 vcc_lo, exec_lo, s20
	s_cbranch_vccnz .LBB150_1680
; %bb.1679:
	s_cmp_lt_i32 s19, 12
	s_cselect_b32 s0, -1, 0
	s_cmp_gt_i32 s19, 11
	s_cselect_b32 s17, -1, 0
.LBB150_1680:
	s_delay_alu instid0(SALU_CYCLE_1)
	s_and_b32 vcc_lo, exec_lo, s17
	s_mov_b32 s17, s12
	s_cbranch_vccnz .LBB150_1693
; %bb.1681:
	s_and_not1_b32 vcc_lo, exec_lo, s0
	s_cbranch_vccnz .LBB150_3270
.LBB150_1682:
	v_mul_lo_u32 v4, s4, v18
	s_and_b32 s16, s16, 0xff
	s_delay_alu instid0(SALU_CYCLE_1) | instskip(NEXT) | instid1(VALU_DEP_1)
	s_cmp_lt_i32 s16, 11
	v_ashrrev_i32_e32 v5, 31, v4
	s_delay_alu instid0(VALU_DEP_1)
	v_add_nc_u64_e32 v[2:3], s[8:9], v[4:5]
	s_cbranch_scc1 .LBB150_1689
; %bb.1683:
	s_and_b32 s0, 0xffff, s16
	s_mov_b32 s20, 0
	s_cmp_gt_i32 s0, 25
	s_cbranch_scc0 .LBB150_1691
; %bb.1684:
	s_cmp_gt_i32 s0, 28
	s_cbranch_scc0 .LBB150_1692
; %bb.1685:
	;; [unrolled: 3-line block ×4, first 2 shown]
	s_cmp_eq_u32 s0, 46
	s_mov_b32 s22, 0
	s_cbranch_scc0 .LBB150_1700
; %bb.1688:
	s_wait_loadcnt 0x0
	global_load_b32 v0, v[2:3], off
	s_mov_b32 s19, 0
	s_mov_b32 s21, -1
	s_wait_loadcnt 0x0
	v_and_b32_e32 v1, 0xffff0000, v0
	v_lshlrev_b32_e32 v0, 16, v0
	s_branch .LBB150_1702
.LBB150_1689:
	s_mov_b32 s21, 0
                                        ; implicit-def: $vgpr1
	s_cbranch_execnz .LBB150_1770
.LBB150_1690:
	s_and_not1_b32 vcc_lo, exec_lo, s21
	s_cbranch_vccz .LBB150_1819
	s_branch .LBB150_3270
.LBB150_1691:
	s_mov_b32 s21, 0
	s_mov_b32 s19, 0
                                        ; implicit-def: $vgpr1
	s_cbranch_execnz .LBB150_1733
	s_branch .LBB150_1766
.LBB150_1692:
	s_mov_b32 s22, -1
	s_mov_b32 s21, 0
	s_mov_b32 s19, 0
                                        ; implicit-def: $vgpr1
	s_branch .LBB150_1714
.LBB150_1693:
	s_or_b32 s17, s12, exec_lo
	s_trap 2
	s_cbranch_execz .LBB150_1682
	s_branch .LBB150_3270
.LBB150_1694:
	s_mov_b32 s22, -1
	s_mov_b32 s21, 0
	s_mov_b32 s19, 0
                                        ; implicit-def: $vgpr1
	s_branch .LBB150_1708
.LBB150_1695:
	s_and_not1_saveexec_b32 s25, s25
	s_cbranch_execz .LBB150_1577
.LBB150_1696:
	v_add_f32_e64 v0, 0x46000000, |v4|
	s_and_not1_b32 s24, s24, exec_lo
	s_delay_alu instid0(VALU_DEP_1) | instskip(NEXT) | instid1(VALU_DEP_1)
	v_and_b32_e32 v0, 0xff, v0
	v_cmp_ne_u32_e32 vcc_lo, 0, v0
	s_and_b32 s26, vcc_lo, exec_lo
	s_delay_alu instid0(SALU_CYCLE_1)
	s_or_b32 s24, s24, s26
	s_or_b32 exec_lo, exec_lo, s25
	v_mov_b32_e32 v1, 0
	s_and_saveexec_b32 s25, s24
	s_cbranch_execnz .LBB150_1578
	s_branch .LBB150_1579
.LBB150_1697:
	s_mov_b32 s22, -1
	s_mov_b32 s21, 0
	s_mov_b32 s19, 0
	s_branch .LBB150_1701
.LBB150_1698:
	s_and_not1_saveexec_b32 s26, s26
	s_cbranch_execz .LBB150_1589
.LBB150_1699:
	v_add_f32_e64 v0, 0x42800000, |v4|
	s_and_not1_b32 s25, s25, exec_lo
	s_delay_alu instid0(VALU_DEP_1) | instskip(NEXT) | instid1(VALU_DEP_1)
	v_and_b32_e32 v0, 0xff, v0
	v_cmp_ne_u32_e32 vcc_lo, 0, v0
	s_and_b32 s27, vcc_lo, exec_lo
	s_delay_alu instid0(SALU_CYCLE_1)
	s_or_b32 s25, s25, s27
	s_or_b32 exec_lo, exec_lo, s26
	v_mov_b32_e32 v1, 0
	s_and_saveexec_b32 s26, s25
	s_cbranch_execnz .LBB150_1590
	s_branch .LBB150_1591
.LBB150_1700:
	s_mov_b32 s19, -1
	s_mov_b32 s21, 0
.LBB150_1701:
                                        ; implicit-def: $vgpr1
.LBB150_1702:
	s_and_b32 vcc_lo, exec_lo, s22
	s_cbranch_vccz .LBB150_1707
; %bb.1703:
	s_cmp_eq_u32 s0, 44
	s_cbranch_scc0 .LBB150_1705
; %bb.1704:
	s_wait_loadcnt 0x0
	global_load_u8 v0, v[2:3], off
	s_mov_b32 s19, 0
	s_mov_b32 s21, -1
	s_wait_loadcnt 0x0
	v_lshlrev_b32_e32 v1, 23, v0
	v_cmp_ne_u32_e32 vcc_lo, 0xff, v0
	s_delay_alu instid0(VALU_DEP_2) | instskip(SKIP_1) | instid1(VALU_DEP_2)
	v_cndmask_b32_e32 v1, 0x7f800001, v1, vcc_lo
	v_cmp_ne_u32_e32 vcc_lo, 0, v0
	v_cndmask_b32_e32 v0, 0x400000, v1, vcc_lo
	s_branch .LBB150_1706
.LBB150_1705:
	s_mov_b32 s19, -1
                                        ; implicit-def: $vgpr0
.LBB150_1706:
	s_wait_loadcnt 0x0
	v_mov_b32_e32 v1, 0
.LBB150_1707:
	s_mov_b32 s22, 0
.LBB150_1708:
	s_delay_alu instid0(SALU_CYCLE_1)
	s_and_b32 vcc_lo, exec_lo, s22
	s_cbranch_vccz .LBB150_1713
; %bb.1709:
	s_cmp_eq_u32 s0, 29
	s_cbranch_scc0 .LBB150_1711
; %bb.1710:
	s_wait_loadcnt 0x0
	global_load_b64 v[0:1], v[2:3], off
	s_mov_b32 s19, 0
	s_mov_b32 s21, -1
	s_wait_loadcnt 0x0
	v_clz_i32_u32_e32 v5, v1
	s_delay_alu instid0(VALU_DEP_1) | instskip(NEXT) | instid1(VALU_DEP_1)
	v_min_u32_e32 v5, 32, v5
	v_lshlrev_b64_e32 v[0:1], v5, v[0:1]
	s_delay_alu instid0(VALU_DEP_1) | instskip(NEXT) | instid1(VALU_DEP_1)
	v_min_u32_e32 v0, 1, v0
	v_dual_sub_nc_u32 v1, 32, v5 :: v_dual_bitop2_b32 v0, v1, v0 bitop3:0x54
	s_delay_alu instid0(VALU_DEP_1) | instskip(NEXT) | instid1(VALU_DEP_1)
	v_cvt_f32_u32_e32 v0, v0
	v_ldexp_f32 v0, v0, v1
	s_branch .LBB150_1712
.LBB150_1711:
	s_mov_b32 s19, -1
                                        ; implicit-def: $vgpr0
.LBB150_1712:
	s_wait_loadcnt 0x0
	v_mov_b32_e32 v1, 0
.LBB150_1713:
	s_mov_b32 s22, 0
.LBB150_1714:
	s_delay_alu instid0(SALU_CYCLE_1)
	s_and_b32 vcc_lo, exec_lo, s22
	s_cbranch_vccz .LBB150_1732
; %bb.1715:
	s_cmp_lt_i32 s0, 27
	s_cbranch_scc1 .LBB150_1718
; %bb.1716:
	s_cmp_gt_i32 s0, 27
	s_cbranch_scc0 .LBB150_1719
; %bb.1717:
	s_wait_loadcnt 0x0
	global_load_b32 v0, v[2:3], off
	s_mov_b32 s21, 0
	s_wait_loadcnt 0x0
	v_cvt_f32_u32_e32 v0, v0
	s_branch .LBB150_1720
.LBB150_1718:
	s_mov_b32 s21, -1
                                        ; implicit-def: $vgpr0
	s_branch .LBB150_1723
.LBB150_1719:
	s_mov_b32 s21, -1
                                        ; implicit-def: $vgpr0
.LBB150_1720:
	s_delay_alu instid0(SALU_CYCLE_1)
	s_and_not1_b32 vcc_lo, exec_lo, s21
	s_cbranch_vccnz .LBB150_1722
; %bb.1721:
	s_wait_loadcnt 0x0
	global_load_u16 v0, v[2:3], off
	s_wait_loadcnt 0x0
	v_cvt_f32_u32_e32 v0, v0
.LBB150_1722:
	s_mov_b32 s21, 0
.LBB150_1723:
	s_delay_alu instid0(SALU_CYCLE_1)
	s_and_not1_b32 vcc_lo, exec_lo, s21
	s_cbranch_vccnz .LBB150_1731
; %bb.1724:
	s_wait_loadcnt 0x0
	global_load_u8 v1, v[2:3], off
	s_mov_b32 s21, 0
	s_mov_b32 s22, exec_lo
	s_wait_loadcnt 0x0
	v_cmpx_lt_i16_e32 0x7f, v1
	s_xor_b32 s22, exec_lo, s22
	s_cbranch_execz .LBB150_1744
; %bb.1725:
	s_mov_b32 s21, -1
	s_mov_b32 s23, exec_lo
	v_cmpx_eq_u16_e32 0x80, v1
; %bb.1726:
	s_xor_b32 s21, exec_lo, -1
; %bb.1727:
	s_or_b32 exec_lo, exec_lo, s23
	s_delay_alu instid0(SALU_CYCLE_1)
	s_and_b32 s21, s21, exec_lo
	s_or_saveexec_b32 s22, s22
	v_mov_b32_e32 v0, 0x7f800001
	s_xor_b32 exec_lo, exec_lo, s22
	s_cbranch_execnz .LBB150_1745
.LBB150_1728:
	s_or_b32 exec_lo, exec_lo, s22
	s_and_saveexec_b32 s22, s21
	s_cbranch_execz .LBB150_1730
.LBB150_1729:
	v_and_b32_e32 v0, 0xffff, v1
	s_delay_alu instid0(VALU_DEP_1) | instskip(SKIP_1) | instid1(VALU_DEP_2)
	v_and_b32_e32 v5, 7, v0
	v_bfe_u32 v8, v0, 3, 4
	v_clz_i32_u32_e32 v6, v5
	s_delay_alu instid0(VALU_DEP_2) | instskip(NEXT) | instid1(VALU_DEP_2)
	v_cmp_eq_u32_e32 vcc_lo, 0, v8
	v_min_u32_e32 v6, 32, v6
	s_delay_alu instid0(VALU_DEP_1) | instskip(NEXT) | instid1(VALU_DEP_1)
	v_subrev_nc_u32_e32 v7, 28, v6
	v_dual_lshlrev_b32 v0, v7, v0 :: v_dual_sub_nc_u32 v6, 29, v6
	s_delay_alu instid0(VALU_DEP_1) | instskip(NEXT) | instid1(VALU_DEP_1)
	v_dual_lshlrev_b32 v1, 24, v1 :: v_dual_bitop2_b32 v0, 7, v0 bitop3:0x40
	v_dual_cndmask_b32 v6, v8, v6, vcc_lo :: v_dual_cndmask_b32 v0, v5, v0, vcc_lo
	s_delay_alu instid0(VALU_DEP_2) | instskip(NEXT) | instid1(VALU_DEP_2)
	v_and_b32_e32 v1, 0x80000000, v1
	v_lshl_add_u32 v5, v6, 23, 0x3b800000
	s_delay_alu instid0(VALU_DEP_3) | instskip(NEXT) | instid1(VALU_DEP_1)
	v_lshlrev_b32_e32 v0, 20, v0
	v_or3_b32 v0, v1, v5, v0
.LBB150_1730:
	s_or_b32 exec_lo, exec_lo, s22
.LBB150_1731:
	s_wait_loadcnt 0x0
	v_mov_b32_e32 v1, 0
	s_mov_b32 s21, -1
.LBB150_1732:
	s_branch .LBB150_1766
.LBB150_1733:
	s_cmp_gt_i32 s0, 22
	s_cbranch_scc0 .LBB150_1743
; %bb.1734:
	s_cmp_lt_i32 s0, 24
	s_cbranch_scc1 .LBB150_1746
; %bb.1735:
	s_cmp_gt_i32 s0, 24
	s_cbranch_scc0 .LBB150_1747
; %bb.1736:
	s_wait_loadcnt 0x0
	global_load_u8 v1, v[2:3], off
	s_mov_b32 s21, exec_lo
	s_wait_loadcnt 0x0
	v_cmpx_lt_i16_e32 0x7f, v1
	s_xor_b32 s21, exec_lo, s21
	s_cbranch_execz .LBB150_1759
; %bb.1737:
	s_mov_b32 s20, -1
	s_mov_b32 s22, exec_lo
	v_cmpx_eq_u16_e32 0x80, v1
; %bb.1738:
	s_xor_b32 s20, exec_lo, -1
; %bb.1739:
	s_or_b32 exec_lo, exec_lo, s22
	s_delay_alu instid0(SALU_CYCLE_1)
	s_and_b32 s20, s20, exec_lo
	s_or_saveexec_b32 s21, s21
	v_mov_b32_e32 v0, 0x7f800001
	s_xor_b32 exec_lo, exec_lo, s21
	s_cbranch_execnz .LBB150_1760
.LBB150_1740:
	s_or_b32 exec_lo, exec_lo, s21
	s_and_saveexec_b32 s21, s20
	s_cbranch_execz .LBB150_1742
.LBB150_1741:
	v_and_b32_e32 v0, 0xffff, v1
	s_delay_alu instid0(VALU_DEP_1) | instskip(SKIP_1) | instid1(VALU_DEP_2)
	v_and_b32_e32 v5, 3, v0
	v_bfe_u32 v8, v0, 2, 5
	v_clz_i32_u32_e32 v6, v5
	s_delay_alu instid0(VALU_DEP_2) | instskip(NEXT) | instid1(VALU_DEP_2)
	v_cmp_eq_u32_e32 vcc_lo, 0, v8
	v_min_u32_e32 v6, 32, v6
	s_delay_alu instid0(VALU_DEP_1) | instskip(NEXT) | instid1(VALU_DEP_1)
	v_subrev_nc_u32_e32 v7, 29, v6
	v_dual_lshlrev_b32 v0, v7, v0 :: v_dual_sub_nc_u32 v6, 30, v6
	s_delay_alu instid0(VALU_DEP_1) | instskip(NEXT) | instid1(VALU_DEP_1)
	v_dual_lshlrev_b32 v1, 24, v1 :: v_dual_bitop2_b32 v0, 3, v0 bitop3:0x40
	v_dual_cndmask_b32 v6, v8, v6, vcc_lo :: v_dual_cndmask_b32 v0, v5, v0, vcc_lo
	s_delay_alu instid0(VALU_DEP_2) | instskip(NEXT) | instid1(VALU_DEP_2)
	v_and_b32_e32 v1, 0x80000000, v1
	v_lshl_add_u32 v5, v6, 23, 0x37800000
	s_delay_alu instid0(VALU_DEP_3) | instskip(NEXT) | instid1(VALU_DEP_1)
	v_lshlrev_b32_e32 v0, 21, v0
	v_or3_b32 v0, v1, v5, v0
.LBB150_1742:
	s_or_b32 exec_lo, exec_lo, s21
	s_mov_b32 s20, 0
	s_branch .LBB150_1748
.LBB150_1743:
	s_mov_b32 s20, -1
                                        ; implicit-def: $vgpr0
	s_branch .LBB150_1754
.LBB150_1744:
	s_or_saveexec_b32 s22, s22
	v_mov_b32_e32 v0, 0x7f800001
	s_xor_b32 exec_lo, exec_lo, s22
	s_cbranch_execz .LBB150_1728
.LBB150_1745:
	v_cmp_ne_u16_e32 vcc_lo, 0, v1
	v_mov_b32_e32 v0, 0
	s_and_not1_b32 s21, s21, exec_lo
	s_and_b32 s23, vcc_lo, exec_lo
	s_delay_alu instid0(SALU_CYCLE_1)
	s_or_b32 s21, s21, s23
	s_or_b32 exec_lo, exec_lo, s22
	s_and_saveexec_b32 s22, s21
	s_cbranch_execnz .LBB150_1729
	s_branch .LBB150_1730
.LBB150_1746:
	s_mov_b32 s20, -1
                                        ; implicit-def: $vgpr0
	s_branch .LBB150_1751
.LBB150_1747:
	s_mov_b32 s20, -1
                                        ; implicit-def: $vgpr0
.LBB150_1748:
	s_delay_alu instid0(SALU_CYCLE_1)
	s_and_b32 vcc_lo, exec_lo, s20
	s_cbranch_vccz .LBB150_1750
; %bb.1749:
	s_wait_loadcnt 0x0
	global_load_u8 v0, v[2:3], off
	s_wait_loadcnt 0x0
	v_lshlrev_b32_e32 v0, 24, v0
	s_delay_alu instid0(VALU_DEP_1) | instskip(NEXT) | instid1(VALU_DEP_1)
	v_and_b32_e32 v1, 0x7f000000, v0
	v_clz_i32_u32_e32 v5, v1
	v_add_nc_u32_e32 v7, 0x1000000, v1
	v_cmp_ne_u32_e32 vcc_lo, 0, v1
	s_delay_alu instid0(VALU_DEP_3) | instskip(NEXT) | instid1(VALU_DEP_1)
	v_min_u32_e32 v5, 32, v5
	v_sub_nc_u32_e64 v5, v5, 4 clamp
	s_delay_alu instid0(VALU_DEP_1) | instskip(NEXT) | instid1(VALU_DEP_1)
	v_lshlrev_b32_e32 v6, v5, v1
	v_dual_lshlrev_b32 v5, 23, v5 :: v_dual_lshrrev_b32 v6, 4, v6
	s_delay_alu instid0(VALU_DEP_1) | instskip(NEXT) | instid1(VALU_DEP_1)
	v_dual_sub_nc_u32 v5, v6, v5 :: v_dual_ashrrev_i32 v6, 8, v7
	v_add_nc_u32_e32 v5, 0x3c000000, v5
	s_delay_alu instid0(VALU_DEP_1) | instskip(NEXT) | instid1(VALU_DEP_1)
	v_and_or_b32 v5, 0x7f800000, v6, v5
	v_cndmask_b32_e32 v1, 0, v5, vcc_lo
	s_delay_alu instid0(VALU_DEP_1)
	v_and_or_b32 v0, 0x80000000, v0, v1
.LBB150_1750:
	s_mov_b32 s20, 0
.LBB150_1751:
	s_delay_alu instid0(SALU_CYCLE_1)
	s_and_not1_b32 vcc_lo, exec_lo, s20
	s_cbranch_vccnz .LBB150_1753
; %bb.1752:
	s_wait_loadcnt 0x0
	global_load_u8 v0, v[2:3], off
	s_wait_loadcnt 0x0
	v_lshlrev_b32_e32 v1, 25, v0
	v_lshlrev_b16 v0, 8, v0
	s_delay_alu instid0(VALU_DEP_1) | instskip(SKIP_1) | instid1(VALU_DEP_2)
	v_and_or_b32 v6, 0x7f00, v0, 0.5
	v_bfe_i32 v0, v0, 0, 16
	v_dual_add_f32 v6, -0.5, v6 :: v_dual_lshrrev_b32 v5, 4, v1
	v_cmp_gt_u32_e32 vcc_lo, 0x8000000, v1
	s_delay_alu instid0(VALU_DEP_2) | instskip(NEXT) | instid1(VALU_DEP_1)
	v_or_b32_e32 v5, 0x70000000, v5
	v_mul_f32_e32 v5, 0x7800000, v5
	s_delay_alu instid0(VALU_DEP_1) | instskip(NEXT) | instid1(VALU_DEP_1)
	v_cndmask_b32_e32 v1, v5, v6, vcc_lo
	v_and_or_b32 v0, 0x80000000, v0, v1
.LBB150_1753:
	s_mov_b32 s20, 0
	s_mov_b32 s21, -1
.LBB150_1754:
	s_and_not1_b32 vcc_lo, exec_lo, s20
	s_mov_b32 s20, 0
	s_cbranch_vccnz .LBB150_1765
; %bb.1755:
	s_cmp_gt_i32 s0, 14
	s_cbranch_scc0 .LBB150_1758
; %bb.1756:
	s_cmp_eq_u32 s0, 15
	s_cbranch_scc0 .LBB150_1761
; %bb.1757:
	s_wait_loadcnt 0x0
	global_load_u16 v0, v[2:3], off
	s_mov_b32 s19, 0
	s_mov_b32 s21, -1
	s_wait_loadcnt 0x0
	v_lshlrev_b32_e32 v0, 16, v0
	s_branch .LBB150_1763
.LBB150_1758:
	s_mov_b32 s20, -1
	s_branch .LBB150_1762
.LBB150_1759:
	s_or_saveexec_b32 s21, s21
	v_mov_b32_e32 v0, 0x7f800001
	s_xor_b32 exec_lo, exec_lo, s21
	s_cbranch_execz .LBB150_1740
.LBB150_1760:
	v_cmp_ne_u16_e32 vcc_lo, 0, v1
	v_mov_b32_e32 v0, 0
	s_and_not1_b32 s20, s20, exec_lo
	s_and_b32 s22, vcc_lo, exec_lo
	s_delay_alu instid0(SALU_CYCLE_1)
	s_or_b32 s20, s20, s22
	s_or_b32 exec_lo, exec_lo, s21
	s_and_saveexec_b32 s21, s20
	s_cbranch_execnz .LBB150_1741
	s_branch .LBB150_1742
.LBB150_1761:
	s_mov_b32 s19, -1
.LBB150_1762:
                                        ; implicit-def: $vgpr0
.LBB150_1763:
	s_and_b32 vcc_lo, exec_lo, s20
	s_mov_b32 s20, 0
	s_cbranch_vccz .LBB150_1765
; %bb.1764:
	s_cmp_lg_u32 s0, 11
	s_mov_b32 s20, -1
	s_cselect_b32 s19, -1, 0
.LBB150_1765:
	s_wait_loadcnt 0x0
	v_mov_b32_e32 v1, 0
.LBB150_1766:
	s_and_b32 vcc_lo, exec_lo, s19
	s_cbranch_vccnz .LBB150_1843
; %bb.1767:
	s_and_not1_b32 vcc_lo, exec_lo, s20
	s_cbranch_vccnz .LBB150_1769
.LBB150_1768:
	s_wait_loadcnt 0x0
	global_load_u8 v0, v[2:3], off
	v_mov_b32_e32 v1, 0
	s_mov_b32 s21, -1
	s_wait_loadcnt 0x0
	v_cmp_ne_u16_e32 vcc_lo, 0, v0
	v_cndmask_b32_e64 v0, 0, 1.0, vcc_lo
.LBB150_1769:
	s_branch .LBB150_1690
.LBB150_1770:
	s_and_b32 s0, 0xffff, s16
	s_delay_alu instid0(SALU_CYCLE_1)
	s_cmp_lt_i32 s0, 5
	s_cbranch_scc1 .LBB150_1775
; %bb.1771:
	s_cmp_lt_i32 s0, 8
	s_cbranch_scc1 .LBB150_1777
; %bb.1772:
	;; [unrolled: 3-line block ×3, first 2 shown]
	s_cmp_gt_i32 s0, 9
	s_cbranch_scc0 .LBB150_1779
; %bb.1774:
	s_wait_loadcnt 0x0
	global_load_b128 v[6:9], v[2:3], off
	s_mov_b32 s19, 0
	s_wait_loadcnt 0x0
	v_cvt_f32_f64_e32 v0, v[6:7]
	v_cvt_f32_f64_e32 v1, v[8:9]
	s_branch .LBB150_1780
.LBB150_1775:
                                        ; implicit-def: $vgpr1
	s_branch .LBB150_1799
.LBB150_1776:
	s_branch .LBB150_1819
.LBB150_1777:
	s_mov_b32 s19, -1
                                        ; implicit-def: $vgpr1
	s_branch .LBB150_1786
.LBB150_1778:
	s_mov_b32 s19, -1
                                        ; implicit-def: $vgpr1
	s_branch .LBB150_1783
.LBB150_1779:
	s_mov_b32 s19, -1
                                        ; implicit-def: $vgpr1
.LBB150_1780:
	s_delay_alu instid0(SALU_CYCLE_1)
	s_and_not1_b32 vcc_lo, exec_lo, s19
	s_cbranch_vccnz .LBB150_1782
; %bb.1781:
	s_wait_loadcnt 0x0
	global_load_b64 v[0:1], v[2:3], off
.LBB150_1782:
	s_mov_b32 s19, 0
.LBB150_1783:
	s_delay_alu instid0(SALU_CYCLE_1)
	s_and_not1_b32 vcc_lo, exec_lo, s19
	s_cbranch_vccnz .LBB150_1785
; %bb.1784:
	s_wait_loadcnt 0x0
	global_load_b32 v0, v[2:3], off
	s_wait_loadcnt 0x0
	v_lshrrev_b32_e32 v1, 16, v0
	v_cvt_f32_f16_e32 v0, v0
	s_delay_alu instid0(VALU_DEP_2)
	v_cvt_f32_f16_e32 v1, v1
.LBB150_1785:
	s_mov_b32 s19, 0
.LBB150_1786:
	s_delay_alu instid0(SALU_CYCLE_1)
	s_and_not1_b32 vcc_lo, exec_lo, s19
	s_cbranch_vccnz .LBB150_1798
; %bb.1787:
	s_cmp_lt_i32 s0, 6
	s_cbranch_scc1 .LBB150_1790
; %bb.1788:
	s_cmp_gt_i32 s0, 6
	s_cbranch_scc0 .LBB150_1791
; %bb.1789:
	s_wait_loadcnt 0x0
	global_load_b64 v[0:1], v[2:3], off
	s_mov_b32 s19, 0
	s_wait_loadcnt 0x0
	v_cvt_f32_f64_e32 v0, v[0:1]
	s_branch .LBB150_1792
.LBB150_1790:
	s_mov_b32 s19, -1
                                        ; implicit-def: $vgpr0
	s_branch .LBB150_1795
.LBB150_1791:
	s_mov_b32 s19, -1
                                        ; implicit-def: $vgpr0
.LBB150_1792:
	s_delay_alu instid0(SALU_CYCLE_1)
	s_and_not1_b32 vcc_lo, exec_lo, s19
	s_cbranch_vccnz .LBB150_1794
; %bb.1793:
	s_wait_loadcnt 0x0
	global_load_b32 v0, v[2:3], off
.LBB150_1794:
	s_mov_b32 s19, 0
.LBB150_1795:
	s_delay_alu instid0(SALU_CYCLE_1)
	s_and_not1_b32 vcc_lo, exec_lo, s19
	s_cbranch_vccnz .LBB150_1797
; %bb.1796:
	s_wait_loadcnt 0x0
	global_load_u16 v0, v[2:3], off
	s_wait_loadcnt 0x0
	v_cvt_f32_f16_e32 v0, v0
.LBB150_1797:
	s_wait_loadcnt 0x0
	v_mov_b32_e32 v1, 0
.LBB150_1798:
	s_cbranch_execnz .LBB150_1776
.LBB150_1799:
	s_cmp_lt_i32 s0, 2
	s_cbranch_scc1 .LBB150_1803
; %bb.1800:
	s_cmp_lt_i32 s0, 3
	s_cbranch_scc1 .LBB150_1804
; %bb.1801:
	s_cmp_gt_i32 s0, 3
	s_cbranch_scc0 .LBB150_1805
; %bb.1802:
	s_wait_loadcnt 0x0
	global_load_b64 v[0:1], v[2:3], off
	s_mov_b32 s19, 0
	s_wait_loadcnt 0x0
	v_xor_b32_e32 v5, v0, v1
	v_cls_i32_e32 v6, v1
	s_delay_alu instid0(VALU_DEP_2) | instskip(NEXT) | instid1(VALU_DEP_1)
	v_ashrrev_i32_e32 v5, 31, v5
	v_add_nc_u32_e32 v5, 32, v5
	s_delay_alu instid0(VALU_DEP_1) | instskip(NEXT) | instid1(VALU_DEP_1)
	v_add_min_u32_e64 v5, v6, -1, v5
	v_lshlrev_b64_e32 v[0:1], v5, v[0:1]
	s_delay_alu instid0(VALU_DEP_1) | instskip(NEXT) | instid1(VALU_DEP_1)
	v_min_u32_e32 v0, 1, v0
	v_dual_sub_nc_u32 v1, 32, v5 :: v_dual_bitop2_b32 v0, v1, v0 bitop3:0x54
	s_delay_alu instid0(VALU_DEP_1) | instskip(NEXT) | instid1(VALU_DEP_1)
	v_cvt_f32_i32_e32 v0, v0
	v_ldexp_f32 v0, v0, v1
	s_branch .LBB150_1806
.LBB150_1803:
	s_mov_b32 s19, -1
                                        ; implicit-def: $vgpr0
	s_branch .LBB150_1812
.LBB150_1804:
	s_mov_b32 s19, -1
                                        ; implicit-def: $vgpr0
	s_branch .LBB150_1809
.LBB150_1805:
	s_mov_b32 s19, -1
                                        ; implicit-def: $vgpr0
.LBB150_1806:
	s_delay_alu instid0(SALU_CYCLE_1)
	s_and_not1_b32 vcc_lo, exec_lo, s19
	s_cbranch_vccnz .LBB150_1808
; %bb.1807:
	s_wait_loadcnt 0x0
	global_load_b32 v0, v[2:3], off
	s_wait_loadcnt 0x0
	v_cvt_f32_i32_e32 v0, v0
.LBB150_1808:
	s_mov_b32 s19, 0
.LBB150_1809:
	s_delay_alu instid0(SALU_CYCLE_1)
	s_and_not1_b32 vcc_lo, exec_lo, s19
	s_cbranch_vccnz .LBB150_1811
; %bb.1810:
	s_wait_loadcnt 0x0
	global_load_i16 v0, v[2:3], off
	s_wait_loadcnt 0x0
	v_cvt_f32_i32_e32 v0, v0
.LBB150_1811:
	s_mov_b32 s19, 0
.LBB150_1812:
	s_delay_alu instid0(SALU_CYCLE_1)
	s_and_not1_b32 vcc_lo, exec_lo, s19
	s_cbranch_vccnz .LBB150_1818
; %bb.1813:
	s_cmp_gt_i32 s0, 0
	s_mov_b32 s0, 0
	s_cbranch_scc0 .LBB150_1815
; %bb.1814:
	s_wait_loadcnt 0x0
	global_load_i8 v0, v[2:3], off
	s_wait_loadcnt 0x0
	v_cvt_f32_i32_e32 v0, v0
	s_branch .LBB150_1816
.LBB150_1815:
	s_mov_b32 s0, -1
                                        ; implicit-def: $vgpr0
.LBB150_1816:
	s_delay_alu instid0(SALU_CYCLE_1)
	s_and_not1_b32 vcc_lo, exec_lo, s0
	s_cbranch_vccnz .LBB150_1818
; %bb.1817:
	s_wait_loadcnt 0x0
	global_load_u8 v0, v[2:3], off
	s_wait_loadcnt 0x0
	v_cvt_f32_ubyte0_e32 v0, v0
.LBB150_1818:
	s_wait_loadcnt 0x0
	v_mov_b32_e32 v1, 0
.LBB150_1819:
	s_wait_loadcnt 0x0
	v_mul_lo_u32 v6, s5, v18
	s_and_b32 s0, 0xffff, s1
	s_delay_alu instid0(SALU_CYCLE_1) | instskip(NEXT) | instid1(VALU_DEP_1)
	s_cmp_lt_i32 s0, 11
	v_ashrrev_i32_e32 v7, 31, v6
	s_delay_alu instid0(VALU_DEP_1)
	v_add_nc_u64_e32 v[8:9], s[10:11], v[6:7]
	s_cbranch_scc1 .LBB150_1826
; %bb.1820:
	s_cmp_gt_i32 s0, 25
	s_mov_b32 s19, 0
	s_cbranch_scc0 .LBB150_1828
; %bb.1821:
	s_cmp_gt_i32 s0, 28
	s_cbranch_scc0 .LBB150_1839
; %bb.1822:
	s_cmp_gt_i32 s0, 43
	;; [unrolled: 3-line block ×3, first 2 shown]
	s_cbranch_scc0 .LBB150_1844
; %bb.1824:
	s_cmp_eq_u32 s0, 46
	s_mov_b32 s21, 0
	s_cbranch_scc0 .LBB150_1918
; %bb.1825:
	global_load_b32 v2, v[8:9], off
	s_mov_b32 s1, 0
	s_mov_b32 s20, -1
	s_wait_loadcnt 0x0
	v_and_b32_e32 v3, 0xffff0000, v2
	v_lshlrev_b32_e32 v2, 16, v2
	s_branch .LBB150_1920
.LBB150_1826:
	s_mov_b32 s20, 0
                                        ; implicit-def: $vgpr3
	s_cbranch_execnz .LBB150_1833
.LBB150_1827:
	s_and_not1_b32 vcc_lo, exec_lo, s20
	s_cbranch_vccz .LBB150_1887
	s_branch .LBB150_3270
.LBB150_1828:
	s_mov_b32 s20, 0
	s_mov_b32 s1, 0
                                        ; implicit-def: $vgpr3
	s_cbranch_execnz .LBB150_1952
.LBB150_1829:
	s_and_b32 vcc_lo, exec_lo, s1
	s_cbranch_vccnz .LBB150_1985
.LBB150_1830:
	s_and_not1_b32 vcc_lo, exec_lo, s19
	s_cbranch_vccnz .LBB150_1832
.LBB150_1831:
	global_load_u8 v2, v[8:9], off
	v_mov_b32_e32 v3, 0
	s_mov_b32 s20, -1
	s_wait_loadcnt 0x0
	v_cmp_ne_u16_e32 vcc_lo, 0, v2
	v_cndmask_b32_e64 v2, 0, 1.0, vcc_lo
.LBB150_1832:
	s_branch .LBB150_1827
.LBB150_1833:
	s_cmp_lt_i32 s0, 5
	s_cbranch_scc1 .LBB150_1838
; %bb.1834:
	s_cmp_lt_i32 s0, 8
	s_cbranch_scc1 .LBB150_1840
; %bb.1835:
	;; [unrolled: 3-line block ×3, first 2 shown]
	s_cmp_gt_i32 s0, 9
	s_cbranch_scc0 .LBB150_1845
; %bb.1837:
	global_load_b128 v[10:13], v[8:9], off
	s_mov_b32 s1, 0
	s_wait_loadcnt 0x0
	s_wait_xcnt 0x1
	v_cvt_f32_f64_e32 v2, v[10:11]
	v_cvt_f32_f64_e32 v3, v[12:13]
	s_branch .LBB150_1846
.LBB150_1838:
	s_mov_b32 s1, -1
                                        ; implicit-def: $vgpr3
	s_branch .LBB150_1865
.LBB150_1839:
	s_mov_b32 s21, -1
	s_mov_b32 s20, 0
	s_mov_b32 s1, 0
                                        ; implicit-def: $vgpr3
	s_branch .LBB150_1933
.LBB150_1840:
	s_mov_b32 s1, -1
                                        ; implicit-def: $vgpr3
	s_branch .LBB150_1852
.LBB150_1841:
	s_mov_b32 s21, -1
	s_mov_b32 s20, 0
	s_mov_b32 s1, 0
                                        ; implicit-def: $vgpr3
	s_branch .LBB150_1927
.LBB150_1842:
	s_mov_b32 s1, -1
                                        ; implicit-def: $vgpr3
	s_branch .LBB150_1849
.LBB150_1843:
	s_or_b32 s17, s17, exec_lo
	s_trap 2
	s_cbranch_execz .LBB150_1768
	s_branch .LBB150_1769
.LBB150_1844:
	s_mov_b32 s21, -1
	s_mov_b32 s20, 0
	s_mov_b32 s1, 0
	s_branch .LBB150_1919
.LBB150_1845:
	s_mov_b32 s1, -1
                                        ; implicit-def: $vgpr3
.LBB150_1846:
	s_delay_alu instid0(SALU_CYCLE_1)
	s_and_not1_b32 vcc_lo, exec_lo, s1
	s_cbranch_vccnz .LBB150_1848
; %bb.1847:
	global_load_b64 v[2:3], v[8:9], off
.LBB150_1848:
	s_mov_b32 s1, 0
.LBB150_1849:
	s_delay_alu instid0(SALU_CYCLE_1)
	s_and_not1_b32 vcc_lo, exec_lo, s1
	s_cbranch_vccnz .LBB150_1851
; %bb.1850:
	s_wait_loadcnt 0x0
	global_load_b32 v2, v[8:9], off
	s_wait_loadcnt 0x0
	v_lshrrev_b32_e32 v3, 16, v2
	v_cvt_f32_f16_e32 v2, v2
	s_delay_alu instid0(VALU_DEP_2)
	v_cvt_f32_f16_e32 v3, v3
.LBB150_1851:
	s_mov_b32 s1, 0
.LBB150_1852:
	s_delay_alu instid0(SALU_CYCLE_1)
	s_and_not1_b32 vcc_lo, exec_lo, s1
	s_cbranch_vccnz .LBB150_1864
; %bb.1853:
	s_cmp_lt_i32 s0, 6
	s_cbranch_scc1 .LBB150_1856
; %bb.1854:
	s_cmp_gt_i32 s0, 6
	s_cbranch_scc0 .LBB150_1857
; %bb.1855:
	s_wait_loadcnt 0x0
	global_load_b64 v[2:3], v[8:9], off
	s_mov_b32 s1, 0
	s_wait_loadcnt 0x0
	v_cvt_f32_f64_e32 v2, v[2:3]
	s_branch .LBB150_1858
.LBB150_1856:
	s_mov_b32 s1, -1
                                        ; implicit-def: $vgpr2
	s_branch .LBB150_1861
.LBB150_1857:
	s_mov_b32 s1, -1
                                        ; implicit-def: $vgpr2
.LBB150_1858:
	s_delay_alu instid0(SALU_CYCLE_1)
	s_and_not1_b32 vcc_lo, exec_lo, s1
	s_cbranch_vccnz .LBB150_1860
; %bb.1859:
	s_wait_loadcnt 0x0
	global_load_b32 v2, v[8:9], off
.LBB150_1860:
	s_mov_b32 s1, 0
.LBB150_1861:
	s_delay_alu instid0(SALU_CYCLE_1)
	s_and_not1_b32 vcc_lo, exec_lo, s1
	s_cbranch_vccnz .LBB150_1863
; %bb.1862:
	s_wait_loadcnt 0x0
	global_load_u16 v2, v[8:9], off
	s_wait_loadcnt 0x0
	v_cvt_f32_f16_e32 v2, v2
.LBB150_1863:
	s_wait_loadcnt 0x0
	v_mov_b32_e32 v3, 0
.LBB150_1864:
	s_mov_b32 s1, 0
.LBB150_1865:
	s_delay_alu instid0(SALU_CYCLE_1)
	s_and_not1_b32 vcc_lo, exec_lo, s1
	s_cbranch_vccnz .LBB150_1886
; %bb.1866:
	s_cmp_lt_i32 s0, 2
	s_cbranch_scc1 .LBB150_1870
; %bb.1867:
	s_cmp_lt_i32 s0, 3
	s_cbranch_scc1 .LBB150_1871
; %bb.1868:
	s_cmp_gt_i32 s0, 3
	s_cbranch_scc0 .LBB150_1872
; %bb.1869:
	s_wait_loadcnt 0x0
	global_load_b64 v[2:3], v[8:9], off
	s_mov_b32 s1, 0
	s_wait_loadcnt 0x0
	v_xor_b32_e32 v5, v2, v3
	v_cls_i32_e32 v7, v3
	s_delay_alu instid0(VALU_DEP_2) | instskip(NEXT) | instid1(VALU_DEP_1)
	v_ashrrev_i32_e32 v5, 31, v5
	v_add_nc_u32_e32 v5, 32, v5
	s_delay_alu instid0(VALU_DEP_1) | instskip(NEXT) | instid1(VALU_DEP_1)
	v_add_min_u32_e64 v5, v7, -1, v5
	v_lshlrev_b64_e32 v[2:3], v5, v[2:3]
	s_delay_alu instid0(VALU_DEP_1) | instskip(NEXT) | instid1(VALU_DEP_1)
	v_min_u32_e32 v2, 1, v2
	v_dual_sub_nc_u32 v3, 32, v5 :: v_dual_bitop2_b32 v2, v3, v2 bitop3:0x54
	s_delay_alu instid0(VALU_DEP_1) | instskip(NEXT) | instid1(VALU_DEP_1)
	v_cvt_f32_i32_e32 v2, v2
	v_ldexp_f32 v2, v2, v3
	s_branch .LBB150_1873
.LBB150_1870:
	s_mov_b32 s1, -1
                                        ; implicit-def: $vgpr2
	s_branch .LBB150_1879
.LBB150_1871:
	s_mov_b32 s1, -1
                                        ; implicit-def: $vgpr2
	s_branch .LBB150_1876
.LBB150_1872:
	s_mov_b32 s1, -1
                                        ; implicit-def: $vgpr2
.LBB150_1873:
	s_delay_alu instid0(SALU_CYCLE_1)
	s_and_not1_b32 vcc_lo, exec_lo, s1
	s_cbranch_vccnz .LBB150_1875
; %bb.1874:
	s_wait_loadcnt 0x0
	global_load_b32 v2, v[8:9], off
	s_wait_loadcnt 0x0
	v_cvt_f32_i32_e32 v2, v2
.LBB150_1875:
	s_mov_b32 s1, 0
.LBB150_1876:
	s_delay_alu instid0(SALU_CYCLE_1)
	s_and_not1_b32 vcc_lo, exec_lo, s1
	s_cbranch_vccnz .LBB150_1878
; %bb.1877:
	s_wait_loadcnt 0x0
	global_load_i16 v2, v[8:9], off
	s_wait_loadcnt 0x0
	v_cvt_f32_i32_e32 v2, v2
.LBB150_1878:
	s_mov_b32 s1, 0
.LBB150_1879:
	s_delay_alu instid0(SALU_CYCLE_1)
	s_and_not1_b32 vcc_lo, exec_lo, s1
	s_cbranch_vccnz .LBB150_1885
; %bb.1880:
	s_cmp_gt_i32 s0, 0
	s_mov_b32 s1, 0
	s_cbranch_scc0 .LBB150_1882
; %bb.1881:
	s_wait_loadcnt 0x0
	global_load_i8 v2, v[8:9], off
	s_wait_loadcnt 0x0
	v_cvt_f32_i32_e32 v2, v2
	s_branch .LBB150_1883
.LBB150_1882:
	s_mov_b32 s1, -1
                                        ; implicit-def: $vgpr2
.LBB150_1883:
	s_delay_alu instid0(SALU_CYCLE_1)
	s_and_not1_b32 vcc_lo, exec_lo, s1
	s_cbranch_vccnz .LBB150_1885
; %bb.1884:
	s_wait_loadcnt 0x0
	global_load_u8 v2, v[8:9], off
	s_wait_loadcnt 0x0
	v_cvt_f32_ubyte0_e32 v2, v2
.LBB150_1885:
	s_wait_loadcnt 0x0
	v_mov_b32_e32 v3, 0
.LBB150_1886:
.LBB150_1887:
	s_cmp_lt_i32 s18, 23
	s_cbranch_scc1 .LBB150_1891
; %bb.1888:
	s_and_b32 s20, 0xffff, s18
	s_delay_alu instid0(SALU_CYCLE_1)
	s_cmp_gt_i32 s20, 43
	s_cbranch_scc0 .LBB150_1892
; %bb.1889:
	s_cmp_gt_i32 s20, 45
	s_cbranch_scc0 .LBB150_1893
; %bb.1890:
	s_cmp_lg_u32 s20, 46
	s_mov_b32 s21, 0
	s_mov_b32 s1, -1
	s_cselect_b32 s19, -1, 0
	s_branch .LBB150_1894
.LBB150_1891:
	s_mov_b32 s20, -1
	s_mov_b32 s1, 0
	s_mov_b32 s19, 0
	s_branch .LBB150_1900
.LBB150_1892:
	s_mov_b32 s21, -1
	s_mov_b32 s1, 0
	s_mov_b32 s19, 0
	s_branch .LBB150_1897
.LBB150_1893:
	s_mov_b32 s21, -1
	s_mov_b32 s1, 0
	s_mov_b32 s19, 0
.LBB150_1894:
	s_and_not1_b32 vcc_lo, exec_lo, s21
	s_cbranch_vccnz .LBB150_1896
; %bb.1895:
	s_cmp_eq_u32 s20, 44
	s_cselect_b32 s1, -1, 0
	s_cmp_lg_u32 s20, 44
	s_cselect_b32 s19, -1, 0
.LBB150_1896:
	s_mov_b32 s21, 0
.LBB150_1897:
	s_delay_alu instid0(SALU_CYCLE_1)
	s_and_b32 vcc_lo, exec_lo, s21
	s_cbranch_vccz .LBB150_1899
; %bb.1898:
	s_cmp_lt_i32 s20, 30
	s_cselect_b32 s1, -1, 0
	s_cmp_gt_i32 s20, 29
	s_cselect_b32 s19, -1, 0
.LBB150_1899:
	s_mov_b32 s20, 0
.LBB150_1900:
	s_delay_alu instid0(SALU_CYCLE_1)
	s_and_b32 vcc_lo, exec_lo, s20
	s_cbranch_vccz .LBB150_1905
; %bb.1901:
	s_and_b32 s20, 0xffff, s18
	s_mov_b32 s21, -1
	s_cmp_gt_i32 s20, 14
	s_cbranch_scc0 .LBB150_1903
; %bb.1902:
	s_cmp_eq_u32 s20, 15
	s_mov_b32 s21, 0
	s_cselect_b32 s1, -1, 0
	s_cmp_lg_u32 s20, 15
	s_cselect_b32 s19, -1, 0
.LBB150_1903:
	s_and_not1_b32 vcc_lo, exec_lo, s21
	s_cbranch_vccnz .LBB150_1905
; %bb.1904:
	s_cmp_lt_i32 s20, 12
	s_cselect_b32 s1, -1, 0
	s_cmp_gt_i32 s20, 11
	s_cselect_b32 s19, -1, 0
.LBB150_1905:
	s_delay_alu instid0(SALU_CYCLE_1)
	s_and_b32 vcc_lo, exec_lo, s19
	s_cbranch_vccnz .LBB150_1917
; %bb.1906:
	s_and_not1_b32 vcc_lo, exec_lo, s1
	s_cbranch_vccnz .LBB150_3270
.LBB150_1907:
	s_lshl_b32 s1, s4, 7
	s_cmp_lt_i32 s16, 11
	s_wait_xcnt 0x0
	v_add_nc_u32_e32 v8, s1, v4
	s_delay_alu instid0(VALU_DEP_1) | instskip(NEXT) | instid1(VALU_DEP_1)
	v_ashrrev_i32_e32 v9, 31, v8
	v_add_nc_u64_e32 v[10:11], s[8:9], v[8:9]
	s_cbranch_scc1 .LBB150_1914
; %bb.1908:
	s_and_b32 s4, 0xffff, s16
	s_mov_b32 s20, 0
	s_cmp_gt_i32 s4, 25
	s_cbranch_scc0 .LBB150_1915
; %bb.1909:
	s_cmp_gt_i32 s4, 28
	s_cbranch_scc0 .LBB150_1916
; %bb.1910:
	;; [unrolled: 3-line block ×4, first 2 shown]
	s_cmp_eq_u32 s4, 46
	s_mov_b32 s22, 0
	s_cbranch_scc0 .LBB150_1987
; %bb.1913:
	global_load_b32 v4, v[10:11], off
	s_mov_b32 s19, 0
	s_mov_b32 s21, -1
	s_wait_loadcnt 0x0
	v_and_b32_e32 v5, 0xffff0000, v4
	v_lshlrev_b32_e32 v4, 16, v4
	s_branch .LBB150_1989
.LBB150_1914:
	s_mov_b32 s4, -1
	s_mov_b32 s21, 0
                                        ; implicit-def: $vgpr5
	s_branch .LBB150_2035
.LBB150_1915:
	s_mov_b32 s22, -1
	s_mov_b32 s21, 0
	s_mov_b32 s19, 0
                                        ; implicit-def: $vgpr5
	s_branch .LBB150_2020
.LBB150_1916:
	s_mov_b32 s22, -1
	s_mov_b32 s21, 0
	s_mov_b32 s19, 0
                                        ; implicit-def: $vgpr5
	s_branch .LBB150_2001
.LBB150_1917:
	s_or_b32 s17, s17, exec_lo
	s_trap 2
	s_cbranch_execz .LBB150_1907
	s_branch .LBB150_3270
.LBB150_1918:
	s_mov_b32 s1, -1
	s_mov_b32 s20, 0
.LBB150_1919:
                                        ; implicit-def: $vgpr3
.LBB150_1920:
	s_and_b32 vcc_lo, exec_lo, s21
	s_cbranch_vccz .LBB150_1926
; %bb.1921:
	s_cmp_eq_u32 s0, 44
	s_cbranch_scc0 .LBB150_1924
; %bb.1922:
	global_load_u8 v2, v[8:9], off
	s_mov_b32 s1, 0
	s_mov_b32 s20, -1
	s_wait_loadcnt 0x0
	v_lshlrev_b32_e32 v3, 23, v2
	v_cmp_ne_u32_e32 vcc_lo, 0xff, v2
	s_delay_alu instid0(VALU_DEP_2) | instskip(SKIP_1) | instid1(VALU_DEP_2)
	v_cndmask_b32_e32 v3, 0x7f800001, v3, vcc_lo
	v_cmp_ne_u32_e32 vcc_lo, 0, v2
	v_cndmask_b32_e32 v2, 0x400000, v3, vcc_lo
	s_branch .LBB150_1925
.LBB150_1923:
	s_mov_b32 s22, -1
	s_mov_b32 s21, 0
	s_mov_b32 s19, 0
                                        ; implicit-def: $vgpr5
	s_branch .LBB150_1995
.LBB150_1924:
	s_mov_b32 s1, -1
                                        ; implicit-def: $vgpr2
.LBB150_1925:
	s_wait_xcnt 0x0
	v_mov_b32_e32 v3, 0
.LBB150_1926:
	s_mov_b32 s21, 0
.LBB150_1927:
	s_delay_alu instid0(SALU_CYCLE_1)
	s_and_b32 vcc_lo, exec_lo, s21
	s_cbranch_vccz .LBB150_1932
; %bb.1928:
	s_cmp_eq_u32 s0, 29
	s_cbranch_scc0 .LBB150_1930
; %bb.1929:
	global_load_b64 v[2:3], v[8:9], off
	s_mov_b32 s1, 0
	s_mov_b32 s20, -1
	s_wait_loadcnt 0x0
	v_clz_i32_u32_e32 v5, v3
	s_delay_alu instid0(VALU_DEP_1) | instskip(NEXT) | instid1(VALU_DEP_1)
	v_min_u32_e32 v5, 32, v5
	v_lshlrev_b64_e32 v[2:3], v5, v[2:3]
	s_delay_alu instid0(VALU_DEP_1) | instskip(NEXT) | instid1(VALU_DEP_1)
	v_min_u32_e32 v2, 1, v2
	v_dual_sub_nc_u32 v3, 32, v5 :: v_dual_bitop2_b32 v2, v3, v2 bitop3:0x54
	s_delay_alu instid0(VALU_DEP_1) | instskip(NEXT) | instid1(VALU_DEP_1)
	v_cvt_f32_u32_e32 v2, v2
	v_ldexp_f32 v2, v2, v3
	s_branch .LBB150_1931
.LBB150_1930:
	s_mov_b32 s1, -1
                                        ; implicit-def: $vgpr2
.LBB150_1931:
	s_wait_xcnt 0x0
	v_mov_b32_e32 v3, 0
.LBB150_1932:
	s_mov_b32 s21, 0
.LBB150_1933:
	s_delay_alu instid0(SALU_CYCLE_1)
	s_and_b32 vcc_lo, exec_lo, s21
	s_cbranch_vccz .LBB150_1951
; %bb.1934:
	s_cmp_lt_i32 s0, 27
	s_cbranch_scc1 .LBB150_1937
; %bb.1935:
	s_cmp_gt_i32 s0, 27
	s_cbranch_scc0 .LBB150_1938
; %bb.1936:
	global_load_b32 v2, v[8:9], off
	s_mov_b32 s20, 0
	s_wait_loadcnt 0x0
	v_cvt_f32_u32_e32 v2, v2
	s_branch .LBB150_1939
.LBB150_1937:
	s_mov_b32 s20, -1
                                        ; implicit-def: $vgpr2
	s_branch .LBB150_1942
.LBB150_1938:
	s_mov_b32 s20, -1
                                        ; implicit-def: $vgpr2
.LBB150_1939:
	s_delay_alu instid0(SALU_CYCLE_1)
	s_and_not1_b32 vcc_lo, exec_lo, s20
	s_cbranch_vccnz .LBB150_1941
; %bb.1940:
	global_load_u16 v2, v[8:9], off
	s_wait_loadcnt 0x0
	v_cvt_f32_u32_e32 v2, v2
.LBB150_1941:
	s_mov_b32 s20, 0
.LBB150_1942:
	s_delay_alu instid0(SALU_CYCLE_1)
	s_and_not1_b32 vcc_lo, exec_lo, s20
	s_cbranch_vccnz .LBB150_1950
; %bb.1943:
	global_load_u8 v3, v[8:9], off
	s_mov_b32 s20, 0
	s_mov_b32 s21, exec_lo
	s_wait_loadcnt 0x0
	v_cmpx_lt_i16_e32 0x7f, v3
	s_xor_b32 s21, exec_lo, s21
	s_cbranch_execz .LBB150_1963
; %bb.1944:
	s_mov_b32 s20, -1
	s_mov_b32 s22, exec_lo
	v_cmpx_eq_u16_e32 0x80, v3
; %bb.1945:
	s_xor_b32 s20, exec_lo, -1
; %bb.1946:
	s_or_b32 exec_lo, exec_lo, s22
	s_delay_alu instid0(SALU_CYCLE_1)
	s_and_b32 s20, s20, exec_lo
	s_or_saveexec_b32 s21, s21
	v_mov_b32_e32 v2, 0x7f800001
	s_xor_b32 exec_lo, exec_lo, s21
	s_cbranch_execnz .LBB150_1964
.LBB150_1947:
	s_or_b32 exec_lo, exec_lo, s21
	s_and_saveexec_b32 s21, s20
	s_cbranch_execz .LBB150_1949
.LBB150_1948:
	v_and_b32_e32 v2, 0xffff, v3
	s_delay_alu instid0(VALU_DEP_1) | instskip(SKIP_1) | instid1(VALU_DEP_2)
	v_and_b32_e32 v5, 7, v2
	v_bfe_u32 v11, v2, 3, 4
	v_clz_i32_u32_e32 v7, v5
	s_delay_alu instid0(VALU_DEP_2) | instskip(NEXT) | instid1(VALU_DEP_2)
	v_cmp_eq_u32_e32 vcc_lo, 0, v11
	v_min_u32_e32 v7, 32, v7
	s_delay_alu instid0(VALU_DEP_1) | instskip(NEXT) | instid1(VALU_DEP_1)
	v_subrev_nc_u32_e32 v10, 28, v7
	v_dual_lshlrev_b32 v2, v10, v2 :: v_dual_sub_nc_u32 v7, 29, v7
	s_delay_alu instid0(VALU_DEP_1) | instskip(NEXT) | instid1(VALU_DEP_1)
	v_dual_lshlrev_b32 v3, 24, v3 :: v_dual_bitop2_b32 v2, 7, v2 bitop3:0x40
	v_dual_cndmask_b32 v2, v5, v2 :: v_dual_cndmask_b32 v7, v11, v7
	s_delay_alu instid0(VALU_DEP_2) | instskip(NEXT) | instid1(VALU_DEP_2)
	v_and_b32_e32 v3, 0x80000000, v3
	v_lshlrev_b32_e32 v2, 20, v2
	s_delay_alu instid0(VALU_DEP_3) | instskip(NEXT) | instid1(VALU_DEP_1)
	v_lshl_add_u32 v5, v7, 23, 0x3b800000
	v_or3_b32 v2, v3, v5, v2
.LBB150_1949:
	s_or_b32 exec_lo, exec_lo, s21
.LBB150_1950:
	s_wait_xcnt 0x0
	v_mov_b32_e32 v3, 0
	s_mov_b32 s20, -1
.LBB150_1951:
	s_branch .LBB150_1829
.LBB150_1952:
	s_cmp_gt_i32 s0, 22
	s_cbranch_scc0 .LBB150_1962
; %bb.1953:
	s_cmp_lt_i32 s0, 24
	s_cbranch_scc1 .LBB150_1965
; %bb.1954:
	s_cmp_gt_i32 s0, 24
	s_cbranch_scc0 .LBB150_1966
; %bb.1955:
	global_load_u8 v3, v[8:9], off
	s_mov_b32 s20, exec_lo
	s_wait_loadcnt 0x0
	v_cmpx_lt_i16_e32 0x7f, v3
	s_xor_b32 s20, exec_lo, s20
	s_cbranch_execz .LBB150_1978
; %bb.1956:
	s_mov_b32 s19, -1
	s_mov_b32 s21, exec_lo
	v_cmpx_eq_u16_e32 0x80, v3
; %bb.1957:
	s_xor_b32 s19, exec_lo, -1
; %bb.1958:
	s_or_b32 exec_lo, exec_lo, s21
	s_delay_alu instid0(SALU_CYCLE_1)
	s_and_b32 s19, s19, exec_lo
	s_or_saveexec_b32 s20, s20
	v_mov_b32_e32 v2, 0x7f800001
	s_xor_b32 exec_lo, exec_lo, s20
	s_cbranch_execnz .LBB150_1979
.LBB150_1959:
	s_or_b32 exec_lo, exec_lo, s20
	s_and_saveexec_b32 s20, s19
	s_cbranch_execz .LBB150_1961
.LBB150_1960:
	v_and_b32_e32 v2, 0xffff, v3
	s_delay_alu instid0(VALU_DEP_1) | instskip(SKIP_1) | instid1(VALU_DEP_2)
	v_and_b32_e32 v5, 3, v2
	v_bfe_u32 v11, v2, 2, 5
	v_clz_i32_u32_e32 v7, v5
	s_delay_alu instid0(VALU_DEP_2) | instskip(NEXT) | instid1(VALU_DEP_2)
	v_cmp_eq_u32_e32 vcc_lo, 0, v11
	v_min_u32_e32 v7, 32, v7
	s_delay_alu instid0(VALU_DEP_1) | instskip(NEXT) | instid1(VALU_DEP_1)
	v_subrev_nc_u32_e32 v10, 29, v7
	v_dual_lshlrev_b32 v2, v10, v2 :: v_dual_sub_nc_u32 v7, 30, v7
	s_delay_alu instid0(VALU_DEP_1) | instskip(NEXT) | instid1(VALU_DEP_1)
	v_dual_lshlrev_b32 v3, 24, v3 :: v_dual_bitop2_b32 v2, 3, v2 bitop3:0x40
	v_dual_cndmask_b32 v2, v5, v2 :: v_dual_cndmask_b32 v7, v11, v7
	s_delay_alu instid0(VALU_DEP_2) | instskip(NEXT) | instid1(VALU_DEP_2)
	v_and_b32_e32 v3, 0x80000000, v3
	v_lshlrev_b32_e32 v2, 21, v2
	s_delay_alu instid0(VALU_DEP_3) | instskip(NEXT) | instid1(VALU_DEP_1)
	v_lshl_add_u32 v5, v7, 23, 0x37800000
	v_or3_b32 v2, v3, v5, v2
.LBB150_1961:
	s_or_b32 exec_lo, exec_lo, s20
	s_mov_b32 s19, 0
	s_branch .LBB150_1967
.LBB150_1962:
	s_mov_b32 s19, -1
                                        ; implicit-def: $vgpr2
	s_branch .LBB150_1973
.LBB150_1963:
	s_or_saveexec_b32 s21, s21
	v_mov_b32_e32 v2, 0x7f800001
	s_xor_b32 exec_lo, exec_lo, s21
	s_cbranch_execz .LBB150_1947
.LBB150_1964:
	v_cmp_ne_u16_e32 vcc_lo, 0, v3
	v_mov_b32_e32 v2, 0
	s_and_not1_b32 s20, s20, exec_lo
	s_and_b32 s22, vcc_lo, exec_lo
	s_delay_alu instid0(SALU_CYCLE_1)
	s_or_b32 s20, s20, s22
	s_or_b32 exec_lo, exec_lo, s21
	s_and_saveexec_b32 s21, s20
	s_cbranch_execnz .LBB150_1948
	s_branch .LBB150_1949
.LBB150_1965:
	s_mov_b32 s19, -1
                                        ; implicit-def: $vgpr2
	s_branch .LBB150_1970
.LBB150_1966:
	s_mov_b32 s19, -1
                                        ; implicit-def: $vgpr2
.LBB150_1967:
	s_delay_alu instid0(SALU_CYCLE_1)
	s_and_b32 vcc_lo, exec_lo, s19
	s_cbranch_vccz .LBB150_1969
; %bb.1968:
	global_load_u8 v2, v[8:9], off
	s_wait_loadcnt 0x0
	v_lshlrev_b32_e32 v2, 24, v2
	s_delay_alu instid0(VALU_DEP_1) | instskip(NEXT) | instid1(VALU_DEP_1)
	v_and_b32_e32 v3, 0x7f000000, v2
	v_clz_i32_u32_e32 v5, v3
	v_cmp_ne_u32_e32 vcc_lo, 0, v3
	v_add_nc_u32_e32 v10, 0x1000000, v3
	s_delay_alu instid0(VALU_DEP_3) | instskip(NEXT) | instid1(VALU_DEP_1)
	v_min_u32_e32 v5, 32, v5
	v_sub_nc_u32_e64 v5, v5, 4 clamp
	s_delay_alu instid0(VALU_DEP_1) | instskip(NEXT) | instid1(VALU_DEP_1)
	v_dual_lshlrev_b32 v7, v5, v3 :: v_dual_lshlrev_b32 v5, 23, v5
	v_lshrrev_b32_e32 v7, 4, v7
	s_delay_alu instid0(VALU_DEP_1) | instskip(NEXT) | instid1(VALU_DEP_1)
	v_dual_sub_nc_u32 v5, v7, v5 :: v_dual_ashrrev_i32 v7, 8, v10
	v_add_nc_u32_e32 v5, 0x3c000000, v5
	s_delay_alu instid0(VALU_DEP_1) | instskip(NEXT) | instid1(VALU_DEP_1)
	v_and_or_b32 v5, 0x7f800000, v7, v5
	v_cndmask_b32_e32 v3, 0, v5, vcc_lo
	s_delay_alu instid0(VALU_DEP_1)
	v_and_or_b32 v2, 0x80000000, v2, v3
.LBB150_1969:
	s_mov_b32 s19, 0
.LBB150_1970:
	s_delay_alu instid0(SALU_CYCLE_1)
	s_and_not1_b32 vcc_lo, exec_lo, s19
	s_cbranch_vccnz .LBB150_1972
; %bb.1971:
	global_load_u8 v2, v[8:9], off
	s_wait_loadcnt 0x0
	v_lshlrev_b32_e32 v3, 25, v2
	v_lshlrev_b16 v2, 8, v2
	s_delay_alu instid0(VALU_DEP_1) | instskip(SKIP_1) | instid1(VALU_DEP_2)
	v_and_or_b32 v7, 0x7f00, v2, 0.5
	v_bfe_i32 v2, v2, 0, 16
	v_add_f32_e32 v7, -0.5, v7
	v_lshrrev_b32_e32 v5, 4, v3
	v_cmp_gt_u32_e32 vcc_lo, 0x8000000, v3
	s_delay_alu instid0(VALU_DEP_2) | instskip(NEXT) | instid1(VALU_DEP_1)
	v_or_b32_e32 v5, 0x70000000, v5
	v_mul_f32_e32 v5, 0x7800000, v5
	s_delay_alu instid0(VALU_DEP_1) | instskip(NEXT) | instid1(VALU_DEP_1)
	v_cndmask_b32_e32 v3, v5, v7, vcc_lo
	v_and_or_b32 v2, 0x80000000, v2, v3
.LBB150_1972:
	s_mov_b32 s19, 0
	s_mov_b32 s20, -1
.LBB150_1973:
	s_and_not1_b32 vcc_lo, exec_lo, s19
	s_mov_b32 s19, 0
	s_cbranch_vccnz .LBB150_1984
; %bb.1974:
	s_cmp_gt_i32 s0, 14
	s_cbranch_scc0 .LBB150_1977
; %bb.1975:
	s_cmp_eq_u32 s0, 15
	s_cbranch_scc0 .LBB150_1980
; %bb.1976:
	global_load_u16 v2, v[8:9], off
	s_mov_b32 s1, 0
	s_mov_b32 s20, -1
	s_wait_loadcnt 0x0
	v_lshlrev_b32_e32 v2, 16, v2
	s_branch .LBB150_1982
.LBB150_1977:
	s_mov_b32 s19, -1
	s_branch .LBB150_1981
.LBB150_1978:
	s_or_saveexec_b32 s20, s20
	v_mov_b32_e32 v2, 0x7f800001
	s_xor_b32 exec_lo, exec_lo, s20
	s_cbranch_execz .LBB150_1959
.LBB150_1979:
	v_cmp_ne_u16_e32 vcc_lo, 0, v3
	v_mov_b32_e32 v2, 0
	s_and_not1_b32 s19, s19, exec_lo
	s_and_b32 s21, vcc_lo, exec_lo
	s_delay_alu instid0(SALU_CYCLE_1)
	s_or_b32 s19, s19, s21
	s_or_b32 exec_lo, exec_lo, s20
	s_and_saveexec_b32 s20, s19
	s_cbranch_execnz .LBB150_1960
	s_branch .LBB150_1961
.LBB150_1980:
	s_mov_b32 s1, -1
.LBB150_1981:
                                        ; implicit-def: $vgpr2
.LBB150_1982:
	s_and_b32 vcc_lo, exec_lo, s19
	s_mov_b32 s19, 0
	s_cbranch_vccz .LBB150_1984
; %bb.1983:
	s_cmp_lg_u32 s0, 11
	s_mov_b32 s19, -1
	s_cselect_b32 s1, -1, 0
.LBB150_1984:
	s_wait_xcnt 0x0
	v_mov_b32_e32 v3, 0
	s_and_b32 vcc_lo, exec_lo, s1
	s_cbranch_vccz .LBB150_1830
.LBB150_1985:
	s_or_b32 s17, s17, exec_lo
	s_trap 2
	s_cbranch_execz .LBB150_1831
	s_branch .LBB150_1832
.LBB150_1986:
	s_mov_b32 s22, -1
	s_mov_b32 s21, 0
	s_mov_b32 s19, 0
	s_branch .LBB150_1988
.LBB150_1987:
	s_mov_b32 s19, -1
	s_mov_b32 s21, 0
.LBB150_1988:
                                        ; implicit-def: $vgpr5
.LBB150_1989:
	s_and_b32 vcc_lo, exec_lo, s22
	s_cbranch_vccz .LBB150_1994
; %bb.1990:
	s_cmp_eq_u32 s4, 44
	s_cbranch_scc0 .LBB150_1992
; %bb.1991:
	global_load_u8 v4, v[10:11], off
	s_mov_b32 s19, 0
	s_mov_b32 s21, -1
	s_wait_loadcnt 0x0
	v_lshlrev_b32_e32 v5, 23, v4
	v_cmp_ne_u32_e32 vcc_lo, 0xff, v4
	s_delay_alu instid0(VALU_DEP_2) | instskip(SKIP_1) | instid1(VALU_DEP_2)
	v_cndmask_b32_e32 v5, 0x7f800001, v5, vcc_lo
	v_cmp_ne_u32_e32 vcc_lo, 0, v4
	v_cndmask_b32_e32 v4, 0x400000, v5, vcc_lo
	s_branch .LBB150_1993
.LBB150_1992:
	s_mov_b32 s19, -1
                                        ; implicit-def: $vgpr4
.LBB150_1993:
	v_mov_b32_e32 v5, 0
.LBB150_1994:
	s_mov_b32 s22, 0
.LBB150_1995:
	s_delay_alu instid0(SALU_CYCLE_1)
	s_and_b32 vcc_lo, exec_lo, s22
	s_cbranch_vccz .LBB150_2000
; %bb.1996:
	s_cmp_eq_u32 s4, 29
	s_cbranch_scc0 .LBB150_1998
; %bb.1997:
	global_load_b64 v[4:5], v[10:11], off
	s_mov_b32 s19, 0
	s_mov_b32 s21, -1
	s_wait_loadcnt 0x0
	v_clz_i32_u32_e32 v7, v5
	s_delay_alu instid0(VALU_DEP_1) | instskip(NEXT) | instid1(VALU_DEP_1)
	v_min_u32_e32 v7, 32, v7
	v_lshlrev_b64_e32 v[4:5], v7, v[4:5]
	s_delay_alu instid0(VALU_DEP_1) | instskip(NEXT) | instid1(VALU_DEP_1)
	v_min_u32_e32 v4, 1, v4
	v_dual_sub_nc_u32 v5, 32, v7 :: v_dual_bitop2_b32 v4, v5, v4 bitop3:0x54
	s_delay_alu instid0(VALU_DEP_1) | instskip(NEXT) | instid1(VALU_DEP_1)
	v_cvt_f32_u32_e32 v4, v4
	v_ldexp_f32 v4, v4, v5
	s_branch .LBB150_1999
.LBB150_1998:
	s_mov_b32 s19, -1
                                        ; implicit-def: $vgpr4
.LBB150_1999:
	v_mov_b32_e32 v5, 0
.LBB150_2000:
	s_mov_b32 s22, 0
.LBB150_2001:
	s_delay_alu instid0(SALU_CYCLE_1)
	s_and_b32 vcc_lo, exec_lo, s22
	s_cbranch_vccz .LBB150_2019
; %bb.2002:
	s_cmp_lt_i32 s4, 27
	s_cbranch_scc1 .LBB150_2005
; %bb.2003:
	s_cmp_gt_i32 s4, 27
	s_cbranch_scc0 .LBB150_2006
; %bb.2004:
	global_load_b32 v4, v[10:11], off
	s_mov_b32 s21, 0
	s_wait_loadcnt 0x0
	v_cvt_f32_u32_e32 v4, v4
	s_branch .LBB150_2007
.LBB150_2005:
	s_mov_b32 s21, -1
                                        ; implicit-def: $vgpr4
	s_branch .LBB150_2010
.LBB150_2006:
	s_mov_b32 s21, -1
                                        ; implicit-def: $vgpr4
.LBB150_2007:
	s_delay_alu instid0(SALU_CYCLE_1)
	s_and_not1_b32 vcc_lo, exec_lo, s21
	s_cbranch_vccnz .LBB150_2009
; %bb.2008:
	global_load_u16 v4, v[10:11], off
	s_wait_loadcnt 0x0
	v_cvt_f32_u32_e32 v4, v4
.LBB150_2009:
	s_mov_b32 s21, 0
.LBB150_2010:
	s_delay_alu instid0(SALU_CYCLE_1)
	s_and_not1_b32 vcc_lo, exec_lo, s21
	s_cbranch_vccnz .LBB150_2018
; %bb.2011:
	global_load_u8 v5, v[10:11], off
	s_mov_b32 s21, 0
	s_mov_b32 s22, exec_lo
	s_wait_loadcnt 0x0
	v_cmpx_lt_i16_e32 0x7f, v5
	s_xor_b32 s22, exec_lo, s22
	s_cbranch_execz .LBB150_2044
; %bb.2012:
	s_mov_b32 s21, -1
	s_mov_b32 s23, exec_lo
	v_cmpx_eq_u16_e32 0x80, v5
; %bb.2013:
	s_xor_b32 s21, exec_lo, -1
; %bb.2014:
	s_or_b32 exec_lo, exec_lo, s23
	s_delay_alu instid0(SALU_CYCLE_1)
	s_and_b32 s21, s21, exec_lo
	s_or_saveexec_b32 s22, s22
	v_mov_b32_e32 v4, 0x7f800001
	s_xor_b32 exec_lo, exec_lo, s22
	s_cbranch_execnz .LBB150_2045
.LBB150_2015:
	s_or_b32 exec_lo, exec_lo, s22
	s_and_saveexec_b32 s22, s21
	s_cbranch_execz .LBB150_2017
.LBB150_2016:
	v_and_b32_e32 v4, 0xffff, v5
	s_delay_alu instid0(VALU_DEP_1) | instskip(SKIP_1) | instid1(VALU_DEP_2)
	v_and_b32_e32 v7, 7, v4
	v_bfe_u32 v13, v4, 3, 4
	v_clz_i32_u32_e32 v9, v7
	s_delay_alu instid0(VALU_DEP_2) | instskip(NEXT) | instid1(VALU_DEP_2)
	v_cmp_eq_u32_e32 vcc_lo, 0, v13
	v_min_u32_e32 v9, 32, v9
	s_delay_alu instid0(VALU_DEP_1) | instskip(NEXT) | instid1(VALU_DEP_1)
	v_subrev_nc_u32_e32 v12, 28, v9
	v_dual_lshlrev_b32 v4, v12, v4 :: v_dual_sub_nc_u32 v9, 29, v9
	s_delay_alu instid0(VALU_DEP_1) | instskip(NEXT) | instid1(VALU_DEP_1)
	v_dual_lshlrev_b32 v5, 24, v5 :: v_dual_bitop2_b32 v4, 7, v4 bitop3:0x40
	v_dual_cndmask_b32 v4, v7, v4 :: v_dual_cndmask_b32 v9, v13, v9
	s_delay_alu instid0(VALU_DEP_2) | instskip(NEXT) | instid1(VALU_DEP_2)
	v_and_b32_e32 v5, 0x80000000, v5
	v_lshlrev_b32_e32 v4, 20, v4
	s_delay_alu instid0(VALU_DEP_3) | instskip(NEXT) | instid1(VALU_DEP_1)
	v_lshl_add_u32 v7, v9, 23, 0x3b800000
	v_or3_b32 v4, v5, v7, v4
.LBB150_2017:
	s_or_b32 exec_lo, exec_lo, s22
.LBB150_2018:
	v_mov_b32_e32 v5, 0
	s_mov_b32 s21, -1
.LBB150_2019:
	s_mov_b32 s22, 0
.LBB150_2020:
	s_delay_alu instid0(SALU_CYCLE_1)
	s_and_b32 vcc_lo, exec_lo, s22
	s_cbranch_vccz .LBB150_2031
; %bb.2021:
	s_cmp_gt_i32 s4, 22
	s_cbranch_scc0 .LBB150_2042
; %bb.2022:
	s_cmp_lt_i32 s4, 24
	s_cbranch_scc1 .LBB150_2046
; %bb.2023:
	s_cmp_gt_i32 s4, 24
	s_cbranch_scc0 .LBB150_2048
; %bb.2024:
	global_load_u8 v5, v[10:11], off
	s_mov_b32 s21, exec_lo
	s_wait_loadcnt 0x0
	v_cmpx_lt_i16_e32 0x7f, v5
	s_xor_b32 s21, exec_lo, s21
	s_cbranch_execz .LBB150_2060
; %bb.2025:
	s_mov_b32 s20, -1
	s_mov_b32 s22, exec_lo
	v_cmpx_eq_u16_e32 0x80, v5
; %bb.2026:
	s_xor_b32 s20, exec_lo, -1
; %bb.2027:
	s_or_b32 exec_lo, exec_lo, s22
	s_delay_alu instid0(SALU_CYCLE_1)
	s_and_b32 s20, s20, exec_lo
	s_or_saveexec_b32 s21, s21
	v_mov_b32_e32 v4, 0x7f800001
	s_xor_b32 exec_lo, exec_lo, s21
	s_cbranch_execnz .LBB150_2061
.LBB150_2028:
	s_or_b32 exec_lo, exec_lo, s21
	s_and_saveexec_b32 s21, s20
	s_cbranch_execz .LBB150_2030
.LBB150_2029:
	v_and_b32_e32 v4, 0xffff, v5
	s_delay_alu instid0(VALU_DEP_1) | instskip(SKIP_1) | instid1(VALU_DEP_2)
	v_and_b32_e32 v7, 3, v4
	v_bfe_u32 v13, v4, 2, 5
	v_clz_i32_u32_e32 v9, v7
	s_delay_alu instid0(VALU_DEP_2) | instskip(NEXT) | instid1(VALU_DEP_2)
	v_cmp_eq_u32_e32 vcc_lo, 0, v13
	v_min_u32_e32 v9, 32, v9
	s_delay_alu instid0(VALU_DEP_1) | instskip(NEXT) | instid1(VALU_DEP_1)
	v_subrev_nc_u32_e32 v12, 29, v9
	v_dual_lshlrev_b32 v4, v12, v4 :: v_dual_sub_nc_u32 v9, 30, v9
	s_delay_alu instid0(VALU_DEP_1) | instskip(NEXT) | instid1(VALU_DEP_1)
	v_dual_lshlrev_b32 v5, 24, v5 :: v_dual_bitop2_b32 v4, 3, v4 bitop3:0x40
	v_dual_cndmask_b32 v4, v7, v4 :: v_dual_cndmask_b32 v9, v13, v9
	s_delay_alu instid0(VALU_DEP_2) | instskip(NEXT) | instid1(VALU_DEP_2)
	v_and_b32_e32 v5, 0x80000000, v5
	v_lshlrev_b32_e32 v4, 21, v4
	s_delay_alu instid0(VALU_DEP_3) | instskip(NEXT) | instid1(VALU_DEP_1)
	v_lshl_add_u32 v7, v9, 23, 0x37800000
	v_or3_b32 v4, v5, v7, v4
.LBB150_2030:
	s_or_b32 exec_lo, exec_lo, s21
	s_mov_b32 s20, 0
	s_branch .LBB150_2049
.LBB150_2031:
	s_and_b32 vcc_lo, exec_lo, s19
	s_cbranch_vccnz .LBB150_2079
.LBB150_2032:
	s_and_not1_b32 vcc_lo, exec_lo, s20
	s_cbranch_vccnz .LBB150_2034
.LBB150_2033:
	global_load_u8 v4, v[10:11], off
	v_mov_b32_e32 v5, 0
	s_mov_b32 s21, -1
	s_wait_loadcnt 0x0
	v_cmp_ne_u16_e32 vcc_lo, 0, v4
	v_cndmask_b32_e64 v4, 0, 1.0, vcc_lo
.LBB150_2034:
	s_mov_b32 s4, 0
.LBB150_2035:
	s_delay_alu instid0(SALU_CYCLE_1)
	s_and_b32 vcc_lo, exec_lo, s4
	s_cbranch_vccz .LBB150_2110
; %bb.2036:
	s_and_b32 s4, 0xffff, s16
	s_delay_alu instid0(SALU_CYCLE_1)
	s_cmp_lt_i32 s4, 5
	s_cbranch_scc1 .LBB150_2041
; %bb.2037:
	s_cmp_lt_i32 s4, 8
	s_cbranch_scc1 .LBB150_2043
; %bb.2038:
	;; [unrolled: 3-line block ×3, first 2 shown]
	s_cmp_gt_i32 s4, 9
	s_cbranch_scc0 .LBB150_2062
; %bb.2040:
	global_load_b128 v[12:15], v[10:11], off
	s_mov_b32 s19, 0
	s_wait_loadcnt 0x0
	v_cvt_f32_f64_e32 v4, v[12:13]
	v_cvt_f32_f64_e32 v5, v[14:15]
	s_branch .LBB150_2063
.LBB150_2041:
	s_mov_b32 s19, -1
                                        ; implicit-def: $vgpr5
	s_branch .LBB150_2088
.LBB150_2042:
	s_mov_b32 s20, -1
                                        ; implicit-def: $vgpr4
	s_branch .LBB150_2055
.LBB150_2043:
	s_mov_b32 s19, -1
                                        ; implicit-def: $vgpr5
	s_branch .LBB150_2069
.LBB150_2044:
	s_or_saveexec_b32 s22, s22
	v_mov_b32_e32 v4, 0x7f800001
	s_xor_b32 exec_lo, exec_lo, s22
	s_cbranch_execz .LBB150_2015
.LBB150_2045:
	v_cmp_ne_u16_e32 vcc_lo, 0, v5
	v_mov_b32_e32 v4, 0
	s_and_not1_b32 s21, s21, exec_lo
	s_and_b32 s23, vcc_lo, exec_lo
	s_delay_alu instid0(SALU_CYCLE_1)
	s_or_b32 s21, s21, s23
	s_or_b32 exec_lo, exec_lo, s22
	s_and_saveexec_b32 s22, s21
	s_cbranch_execnz .LBB150_2016
	s_branch .LBB150_2017
.LBB150_2046:
	s_mov_b32 s20, -1
                                        ; implicit-def: $vgpr4
	s_branch .LBB150_2052
.LBB150_2047:
	s_mov_b32 s19, -1
                                        ; implicit-def: $vgpr5
	s_branch .LBB150_2066
.LBB150_2048:
	s_mov_b32 s20, -1
                                        ; implicit-def: $vgpr4
.LBB150_2049:
	s_delay_alu instid0(SALU_CYCLE_1)
	s_and_b32 vcc_lo, exec_lo, s20
	s_cbranch_vccz .LBB150_2051
; %bb.2050:
	global_load_u8 v4, v[10:11], off
	s_wait_loadcnt 0x0
	v_lshlrev_b32_e32 v4, 24, v4
	s_delay_alu instid0(VALU_DEP_1) | instskip(NEXT) | instid1(VALU_DEP_1)
	v_and_b32_e32 v5, 0x7f000000, v4
	v_clz_i32_u32_e32 v7, v5
	v_cmp_ne_u32_e32 vcc_lo, 0, v5
	v_add_nc_u32_e32 v12, 0x1000000, v5
	s_delay_alu instid0(VALU_DEP_3) | instskip(NEXT) | instid1(VALU_DEP_1)
	v_min_u32_e32 v7, 32, v7
	v_sub_nc_u32_e64 v7, v7, 4 clamp
	s_delay_alu instid0(VALU_DEP_1) | instskip(NEXT) | instid1(VALU_DEP_1)
	v_dual_lshlrev_b32 v9, v7, v5 :: v_dual_lshlrev_b32 v7, 23, v7
	v_lshrrev_b32_e32 v9, 4, v9
	s_delay_alu instid0(VALU_DEP_1) | instskip(NEXT) | instid1(VALU_DEP_1)
	v_dual_sub_nc_u32 v7, v9, v7 :: v_dual_ashrrev_i32 v9, 8, v12
	v_add_nc_u32_e32 v7, 0x3c000000, v7
	s_delay_alu instid0(VALU_DEP_1) | instskip(NEXT) | instid1(VALU_DEP_1)
	v_and_or_b32 v7, 0x7f800000, v9, v7
	v_cndmask_b32_e32 v5, 0, v7, vcc_lo
	s_delay_alu instid0(VALU_DEP_1)
	v_and_or_b32 v4, 0x80000000, v4, v5
.LBB150_2051:
	s_mov_b32 s20, 0
.LBB150_2052:
	s_delay_alu instid0(SALU_CYCLE_1)
	s_and_not1_b32 vcc_lo, exec_lo, s20
	s_cbranch_vccnz .LBB150_2054
; %bb.2053:
	global_load_u8 v4, v[10:11], off
	s_wait_loadcnt 0x0
	v_lshlrev_b32_e32 v5, 25, v4
	v_lshlrev_b16 v4, 8, v4
	s_delay_alu instid0(VALU_DEP_1) | instskip(SKIP_1) | instid1(VALU_DEP_2)
	v_and_or_b32 v9, 0x7f00, v4, 0.5
	v_bfe_i32 v4, v4, 0, 16
	v_add_f32_e32 v9, -0.5, v9
	v_lshrrev_b32_e32 v7, 4, v5
	v_cmp_gt_u32_e32 vcc_lo, 0x8000000, v5
	s_delay_alu instid0(VALU_DEP_2) | instskip(NEXT) | instid1(VALU_DEP_1)
	v_or_b32_e32 v7, 0x70000000, v7
	v_mul_f32_e32 v7, 0x7800000, v7
	s_delay_alu instid0(VALU_DEP_1) | instskip(NEXT) | instid1(VALU_DEP_1)
	v_cndmask_b32_e32 v5, v7, v9, vcc_lo
	v_and_or_b32 v4, 0x80000000, v4, v5
.LBB150_2054:
	s_mov_b32 s20, 0
	s_mov_b32 s21, -1
.LBB150_2055:
	s_and_not1_b32 vcc_lo, exec_lo, s20
	s_mov_b32 s20, 0
	s_cbranch_vccnz .LBB150_2078
; %bb.2056:
	s_cmp_gt_i32 s4, 14
	s_cbranch_scc0 .LBB150_2059
; %bb.2057:
	s_cmp_eq_u32 s4, 15
	s_cbranch_scc0 .LBB150_2074
; %bb.2058:
	global_load_u16 v4, v[10:11], off
	s_mov_b32 s19, 0
	s_mov_b32 s21, -1
	s_wait_loadcnt 0x0
	v_lshlrev_b32_e32 v4, 16, v4
	s_branch .LBB150_2076
.LBB150_2059:
	s_mov_b32 s20, -1
	s_branch .LBB150_2075
.LBB150_2060:
	s_or_saveexec_b32 s21, s21
	v_mov_b32_e32 v4, 0x7f800001
	s_xor_b32 exec_lo, exec_lo, s21
	s_cbranch_execz .LBB150_2028
.LBB150_2061:
	v_cmp_ne_u16_e32 vcc_lo, 0, v5
	v_mov_b32_e32 v4, 0
	s_and_not1_b32 s20, s20, exec_lo
	s_and_b32 s22, vcc_lo, exec_lo
	s_delay_alu instid0(SALU_CYCLE_1)
	s_or_b32 s20, s20, s22
	s_or_b32 exec_lo, exec_lo, s21
	s_and_saveexec_b32 s21, s20
	s_cbranch_execnz .LBB150_2029
	s_branch .LBB150_2030
.LBB150_2062:
	s_mov_b32 s19, -1
                                        ; implicit-def: $vgpr5
.LBB150_2063:
	s_delay_alu instid0(SALU_CYCLE_1)
	s_and_not1_b32 vcc_lo, exec_lo, s19
	s_cbranch_vccnz .LBB150_2065
; %bb.2064:
	global_load_b64 v[4:5], v[10:11], off
.LBB150_2065:
	s_mov_b32 s19, 0
.LBB150_2066:
	s_delay_alu instid0(SALU_CYCLE_1)
	s_and_not1_b32 vcc_lo, exec_lo, s19
	s_cbranch_vccnz .LBB150_2068
; %bb.2067:
	s_wait_loadcnt 0x0
	global_load_b32 v4, v[10:11], off
	s_wait_loadcnt 0x0
	v_lshrrev_b32_e32 v5, 16, v4
	v_cvt_f32_f16_e32 v4, v4
	s_delay_alu instid0(VALU_DEP_2)
	v_cvt_f32_f16_e32 v5, v5
.LBB150_2068:
	s_mov_b32 s19, 0
.LBB150_2069:
	s_delay_alu instid0(SALU_CYCLE_1)
	s_and_not1_b32 vcc_lo, exec_lo, s19
	s_cbranch_vccnz .LBB150_2087
; %bb.2070:
	s_cmp_lt_i32 s4, 6
	s_cbranch_scc1 .LBB150_2073
; %bb.2071:
	s_cmp_gt_i32 s4, 6
	s_cbranch_scc0 .LBB150_2080
; %bb.2072:
	s_wait_loadcnt 0x0
	global_load_b64 v[4:5], v[10:11], off
	s_mov_b32 s19, 0
	s_wait_loadcnt 0x0
	v_cvt_f32_f64_e32 v4, v[4:5]
	s_branch .LBB150_2081
.LBB150_2073:
	s_mov_b32 s19, -1
                                        ; implicit-def: $vgpr4
	s_branch .LBB150_2084
.LBB150_2074:
	s_mov_b32 s19, -1
.LBB150_2075:
                                        ; implicit-def: $vgpr4
.LBB150_2076:
	s_and_b32 vcc_lo, exec_lo, s20
	s_mov_b32 s20, 0
	s_cbranch_vccz .LBB150_2078
; %bb.2077:
	s_cmp_lg_u32 s4, 11
	s_mov_b32 s20, -1
	s_cselect_b32 s19, -1, 0
.LBB150_2078:
	v_mov_b32_e32 v5, 0
	s_and_b32 vcc_lo, exec_lo, s19
	s_cbranch_vccz .LBB150_2032
.LBB150_2079:
	s_or_b32 s17, s17, exec_lo
	s_trap 2
	s_cbranch_execz .LBB150_2033
	s_branch .LBB150_2034
.LBB150_2080:
	s_mov_b32 s19, -1
                                        ; implicit-def: $vgpr4
.LBB150_2081:
	s_delay_alu instid0(SALU_CYCLE_1)
	s_and_not1_b32 vcc_lo, exec_lo, s19
	s_cbranch_vccnz .LBB150_2083
; %bb.2082:
	s_wait_loadcnt 0x0
	global_load_b32 v4, v[10:11], off
.LBB150_2083:
	s_mov_b32 s19, 0
.LBB150_2084:
	s_delay_alu instid0(SALU_CYCLE_1)
	s_and_not1_b32 vcc_lo, exec_lo, s19
	s_cbranch_vccnz .LBB150_2086
; %bb.2085:
	s_wait_loadcnt 0x0
	global_load_u16 v4, v[10:11], off
	s_wait_loadcnt 0x0
	v_cvt_f32_f16_e32 v4, v4
.LBB150_2086:
	s_wait_loadcnt 0x0
	v_mov_b32_e32 v5, 0
.LBB150_2087:
	s_mov_b32 s19, 0
.LBB150_2088:
	s_delay_alu instid0(SALU_CYCLE_1)
	s_and_not1_b32 vcc_lo, exec_lo, s19
	s_cbranch_vccnz .LBB150_2109
; %bb.2089:
	s_cmp_lt_i32 s4, 2
	s_cbranch_scc1 .LBB150_2093
; %bb.2090:
	s_cmp_lt_i32 s4, 3
	s_cbranch_scc1 .LBB150_2094
; %bb.2091:
	s_cmp_gt_i32 s4, 3
	s_cbranch_scc0 .LBB150_2095
; %bb.2092:
	s_wait_loadcnt 0x0
	global_load_b64 v[4:5], v[10:11], off
	s_mov_b32 s19, 0
	s_wait_loadcnt 0x0
	v_xor_b32_e32 v7, v4, v5
	v_cls_i32_e32 v9, v5
	s_delay_alu instid0(VALU_DEP_2) | instskip(NEXT) | instid1(VALU_DEP_1)
	v_ashrrev_i32_e32 v7, 31, v7
	v_add_nc_u32_e32 v7, 32, v7
	s_delay_alu instid0(VALU_DEP_1) | instskip(NEXT) | instid1(VALU_DEP_1)
	v_add_min_u32_e64 v7, v9, -1, v7
	v_lshlrev_b64_e32 v[4:5], v7, v[4:5]
	s_delay_alu instid0(VALU_DEP_1) | instskip(NEXT) | instid1(VALU_DEP_1)
	v_min_u32_e32 v4, 1, v4
	v_dual_sub_nc_u32 v5, 32, v7 :: v_dual_bitop2_b32 v4, v5, v4 bitop3:0x54
	s_delay_alu instid0(VALU_DEP_1) | instskip(NEXT) | instid1(VALU_DEP_1)
	v_cvt_f32_i32_e32 v4, v4
	v_ldexp_f32 v4, v4, v5
	s_branch .LBB150_2096
.LBB150_2093:
	s_mov_b32 s19, -1
                                        ; implicit-def: $vgpr4
	s_branch .LBB150_2102
.LBB150_2094:
	s_mov_b32 s19, -1
                                        ; implicit-def: $vgpr4
	s_branch .LBB150_2099
.LBB150_2095:
	s_mov_b32 s19, -1
                                        ; implicit-def: $vgpr4
.LBB150_2096:
	s_delay_alu instid0(SALU_CYCLE_1)
	s_and_not1_b32 vcc_lo, exec_lo, s19
	s_cbranch_vccnz .LBB150_2098
; %bb.2097:
	s_wait_loadcnt 0x0
	global_load_b32 v4, v[10:11], off
	s_wait_loadcnt 0x0
	v_cvt_f32_i32_e32 v4, v4
.LBB150_2098:
	s_mov_b32 s19, 0
.LBB150_2099:
	s_delay_alu instid0(SALU_CYCLE_1)
	s_and_not1_b32 vcc_lo, exec_lo, s19
	s_cbranch_vccnz .LBB150_2101
; %bb.2100:
	s_wait_loadcnt 0x0
	global_load_i16 v4, v[10:11], off
	s_wait_loadcnt 0x0
	v_cvt_f32_i32_e32 v4, v4
.LBB150_2101:
	s_mov_b32 s19, 0
.LBB150_2102:
	s_delay_alu instid0(SALU_CYCLE_1)
	s_and_not1_b32 vcc_lo, exec_lo, s19
	s_cbranch_vccnz .LBB150_2108
; %bb.2103:
	s_cmp_gt_i32 s4, 0
	s_mov_b32 s4, 0
	s_cbranch_scc0 .LBB150_2105
; %bb.2104:
	s_wait_loadcnt 0x0
	global_load_i8 v4, v[10:11], off
	s_wait_loadcnt 0x0
	v_cvt_f32_i32_e32 v4, v4
	s_branch .LBB150_2106
.LBB150_2105:
	s_mov_b32 s4, -1
                                        ; implicit-def: $vgpr4
.LBB150_2106:
	s_delay_alu instid0(SALU_CYCLE_1)
	s_and_not1_b32 vcc_lo, exec_lo, s4
	s_cbranch_vccnz .LBB150_2108
; %bb.2107:
	s_wait_loadcnt 0x0
	global_load_u8 v4, v[10:11], off
	s_wait_loadcnt 0x0
	v_cvt_f32_ubyte0_e32 v4, v4
.LBB150_2108:
	s_wait_loadcnt 0x0
	v_mov_b32_e32 v5, 0
.LBB150_2109:
	s_mov_b32 s21, -1
.LBB150_2110:
	s_delay_alu instid0(SALU_CYCLE_1)
	s_and_not1_b32 vcc_lo, exec_lo, s21
	s_cbranch_vccnz .LBB150_3270
; %bb.2111:
	s_lshl_b32 s4, s5, 7
	s_cmp_lt_i32 s0, 11
	s_wait_xcnt 0x0
	v_add_nc_u32_e32 v10, s4, v6
	s_delay_alu instid0(VALU_DEP_1) | instskip(NEXT) | instid1(VALU_DEP_1)
	v_ashrrev_i32_e32 v11, 31, v10
	v_add_nc_u64_e32 v[12:13], s[10:11], v[10:11]
	s_cbranch_scc1 .LBB150_2118
; %bb.2112:
	s_cmp_gt_i32 s0, 25
	s_mov_b32 s19, 0
	s_cbranch_scc0 .LBB150_2119
; %bb.2113:
	s_cmp_gt_i32 s0, 28
	s_cbranch_scc0 .LBB150_2120
; %bb.2114:
	s_cmp_gt_i32 s0, 43
	;; [unrolled: 3-line block ×3, first 2 shown]
	s_cbranch_scc0 .LBB150_2122
; %bb.2116:
	s_cmp_eq_u32 s0, 46
	s_mov_b32 s21, 0
	s_cbranch_scc0 .LBB150_2125
; %bb.2117:
	global_load_b32 v6, v[12:13], off
	s_mov_b32 s5, 0
	s_mov_b32 s20, -1
	s_wait_loadcnt 0x0
	v_and_b32_e32 v7, 0xffff0000, v6
	v_lshlrev_b32_e32 v6, 16, v6
	s_branch .LBB150_2127
.LBB150_2118:
	s_mov_b32 s5, -1
	s_mov_b32 s20, 0
                                        ; implicit-def: $vgpr7
	s_branch .LBB150_2173
.LBB150_2119:
	s_mov_b32 s21, -1
	s_mov_b32 s20, 0
	s_mov_b32 s5, 0
                                        ; implicit-def: $vgpr7
	s_branch .LBB150_2158
.LBB150_2120:
	s_mov_b32 s21, -1
	s_mov_b32 s20, 0
	s_mov_b32 s5, 0
                                        ; implicit-def: $vgpr7
	s_branch .LBB150_2139
.LBB150_2121:
	s_mov_b32 s21, -1
	s_mov_b32 s20, 0
	s_mov_b32 s5, 0
                                        ; implicit-def: $vgpr7
	s_branch .LBB150_2133
.LBB150_2122:
	s_mov_b32 s21, -1
	s_mov_b32 s20, 0
	s_mov_b32 s5, 0
	s_branch .LBB150_2126
.LBB150_2123:
	s_and_not1_saveexec_b32 s40, s40
	s_cbranch_execz .LBB150_1160
.LBB150_2124:
	v_add_f32_e64 v4, 0x46000000, |v2|
	s_and_not1_b32 s39, s39, exec_lo
	s_delay_alu instid0(VALU_DEP_1) | instskip(NEXT) | instid1(VALU_DEP_1)
	v_and_b32_e32 v4, 0xff, v4
	v_cmp_ne_u32_e32 vcc_lo, 0, v4
	s_and_b32 s41, vcc_lo, exec_lo
	s_delay_alu instid0(SALU_CYCLE_1)
	s_or_b32 s39, s39, s41
	s_or_b32 exec_lo, exec_lo, s40
	v_mov_b32_e32 v6, 0
	s_and_saveexec_b32 s40, s39
	s_cbranch_execnz .LBB150_1161
	s_branch .LBB150_1162
.LBB150_2125:
	s_mov_b32 s5, -1
	s_mov_b32 s20, 0
.LBB150_2126:
                                        ; implicit-def: $vgpr7
.LBB150_2127:
	s_and_b32 vcc_lo, exec_lo, s21
	s_cbranch_vccz .LBB150_2132
; %bb.2128:
	s_cmp_eq_u32 s0, 44
	s_cbranch_scc0 .LBB150_2130
; %bb.2129:
	global_load_u8 v6, v[12:13], off
	s_mov_b32 s5, 0
	s_mov_b32 s20, -1
	s_wait_loadcnt 0x0
	v_lshlrev_b32_e32 v7, 23, v6
	v_cmp_ne_u32_e32 vcc_lo, 0xff, v6
	s_delay_alu instid0(VALU_DEP_2) | instskip(SKIP_1) | instid1(VALU_DEP_2)
	v_cndmask_b32_e32 v7, 0x7f800001, v7, vcc_lo
	v_cmp_ne_u32_e32 vcc_lo, 0, v6
	v_cndmask_b32_e32 v6, 0x400000, v7, vcc_lo
	s_branch .LBB150_2131
.LBB150_2130:
	s_mov_b32 s5, -1
                                        ; implicit-def: $vgpr6
.LBB150_2131:
	v_mov_b32_e32 v7, 0
.LBB150_2132:
	s_mov_b32 s21, 0
.LBB150_2133:
	s_delay_alu instid0(SALU_CYCLE_1)
	s_and_b32 vcc_lo, exec_lo, s21
	s_cbranch_vccz .LBB150_2138
; %bb.2134:
	s_cmp_eq_u32 s0, 29
	s_cbranch_scc0 .LBB150_2136
; %bb.2135:
	global_load_b64 v[6:7], v[12:13], off
	s_mov_b32 s5, 0
	s_mov_b32 s20, -1
	s_wait_loadcnt 0x0
	v_clz_i32_u32_e32 v9, v7
	s_delay_alu instid0(VALU_DEP_1) | instskip(NEXT) | instid1(VALU_DEP_1)
	v_min_u32_e32 v9, 32, v9
	v_lshlrev_b64_e32 v[6:7], v9, v[6:7]
	s_delay_alu instid0(VALU_DEP_1) | instskip(NEXT) | instid1(VALU_DEP_1)
	v_min_u32_e32 v6, 1, v6
	v_dual_sub_nc_u32 v7, 32, v9 :: v_dual_bitop2_b32 v6, v7, v6 bitop3:0x54
	s_delay_alu instid0(VALU_DEP_1) | instskip(NEXT) | instid1(VALU_DEP_1)
	v_cvt_f32_u32_e32 v6, v6
	v_ldexp_f32 v6, v6, v7
	s_branch .LBB150_2137
.LBB150_2136:
	s_mov_b32 s5, -1
                                        ; implicit-def: $vgpr6
.LBB150_2137:
	v_mov_b32_e32 v7, 0
.LBB150_2138:
	s_mov_b32 s21, 0
.LBB150_2139:
	s_delay_alu instid0(SALU_CYCLE_1)
	s_and_b32 vcc_lo, exec_lo, s21
	s_cbranch_vccz .LBB150_2157
; %bb.2140:
	s_cmp_lt_i32 s0, 27
	s_cbranch_scc1 .LBB150_2143
; %bb.2141:
	s_cmp_gt_i32 s0, 27
	s_cbranch_scc0 .LBB150_2144
; %bb.2142:
	global_load_b32 v6, v[12:13], off
	s_mov_b32 s20, 0
	s_wait_loadcnt 0x0
	v_cvt_f32_u32_e32 v6, v6
	s_branch .LBB150_2145
.LBB150_2143:
	s_mov_b32 s20, -1
                                        ; implicit-def: $vgpr6
	s_branch .LBB150_2148
.LBB150_2144:
	s_mov_b32 s20, -1
                                        ; implicit-def: $vgpr6
.LBB150_2145:
	s_delay_alu instid0(SALU_CYCLE_1)
	s_and_not1_b32 vcc_lo, exec_lo, s20
	s_cbranch_vccnz .LBB150_2147
; %bb.2146:
	global_load_u16 v6, v[12:13], off
	s_wait_loadcnt 0x0
	v_cvt_f32_u32_e32 v6, v6
.LBB150_2147:
	s_mov_b32 s20, 0
.LBB150_2148:
	s_delay_alu instid0(SALU_CYCLE_1)
	s_and_not1_b32 vcc_lo, exec_lo, s20
	s_cbranch_vccnz .LBB150_2156
; %bb.2149:
	global_load_u8 v7, v[12:13], off
	s_mov_b32 s20, 0
	s_mov_b32 s21, exec_lo
	s_wait_loadcnt 0x0
	v_cmpx_lt_i16_e32 0x7f, v7
	s_xor_b32 s21, exec_lo, s21
	s_cbranch_execz .LBB150_2182
; %bb.2150:
	s_mov_b32 s20, -1
	s_mov_b32 s22, exec_lo
	v_cmpx_eq_u16_e32 0x80, v7
; %bb.2151:
	s_xor_b32 s20, exec_lo, -1
; %bb.2152:
	s_or_b32 exec_lo, exec_lo, s22
	s_delay_alu instid0(SALU_CYCLE_1)
	s_and_b32 s20, s20, exec_lo
	s_or_saveexec_b32 s21, s21
	v_mov_b32_e32 v6, 0x7f800001
	s_xor_b32 exec_lo, exec_lo, s21
	s_cbranch_execnz .LBB150_2183
.LBB150_2153:
	s_or_b32 exec_lo, exec_lo, s21
	s_and_saveexec_b32 s21, s20
	s_cbranch_execz .LBB150_2155
.LBB150_2154:
	v_and_b32_e32 v6, 0xffff, v7
	s_delay_alu instid0(VALU_DEP_1) | instskip(SKIP_1) | instid1(VALU_DEP_2)
	v_and_b32_e32 v9, 7, v6
	v_bfe_u32 v15, v6, 3, 4
	v_clz_i32_u32_e32 v11, v9
	s_delay_alu instid0(VALU_DEP_2) | instskip(NEXT) | instid1(VALU_DEP_2)
	v_cmp_eq_u32_e32 vcc_lo, 0, v15
	v_min_u32_e32 v11, 32, v11
	s_delay_alu instid0(VALU_DEP_1) | instskip(NEXT) | instid1(VALU_DEP_1)
	v_subrev_nc_u32_e32 v14, 28, v11
	v_dual_lshlrev_b32 v6, v14, v6 :: v_dual_sub_nc_u32 v11, 29, v11
	s_delay_alu instid0(VALU_DEP_1) | instskip(NEXT) | instid1(VALU_DEP_1)
	v_dual_lshlrev_b32 v7, 24, v7 :: v_dual_bitop2_b32 v6, 7, v6 bitop3:0x40
	v_dual_cndmask_b32 v6, v9, v6 :: v_dual_cndmask_b32 v11, v15, v11
	s_delay_alu instid0(VALU_DEP_2) | instskip(NEXT) | instid1(VALU_DEP_2)
	v_and_b32_e32 v7, 0x80000000, v7
	v_lshlrev_b32_e32 v6, 20, v6
	s_delay_alu instid0(VALU_DEP_3) | instskip(NEXT) | instid1(VALU_DEP_1)
	v_lshl_add_u32 v9, v11, 23, 0x3b800000
	v_or3_b32 v6, v7, v9, v6
.LBB150_2155:
	s_or_b32 exec_lo, exec_lo, s21
.LBB150_2156:
	v_mov_b32_e32 v7, 0
	s_mov_b32 s20, -1
.LBB150_2157:
	s_mov_b32 s21, 0
.LBB150_2158:
	s_delay_alu instid0(SALU_CYCLE_1)
	s_and_b32 vcc_lo, exec_lo, s21
	s_cbranch_vccz .LBB150_2169
; %bb.2159:
	s_cmp_gt_i32 s0, 22
	s_cbranch_scc0 .LBB150_2180
; %bb.2160:
	s_cmp_lt_i32 s0, 24
	s_cbranch_scc1 .LBB150_2184
; %bb.2161:
	s_cmp_gt_i32 s0, 24
	s_cbranch_scc0 .LBB150_2186
; %bb.2162:
	global_load_u8 v7, v[12:13], off
	s_mov_b32 s20, exec_lo
	s_wait_loadcnt 0x0
	v_cmpx_lt_i16_e32 0x7f, v7
	s_xor_b32 s20, exec_lo, s20
	s_cbranch_execz .LBB150_2198
; %bb.2163:
	s_mov_b32 s19, -1
	s_mov_b32 s21, exec_lo
	v_cmpx_eq_u16_e32 0x80, v7
; %bb.2164:
	s_xor_b32 s19, exec_lo, -1
; %bb.2165:
	s_or_b32 exec_lo, exec_lo, s21
	s_delay_alu instid0(SALU_CYCLE_1)
	s_and_b32 s19, s19, exec_lo
	s_or_saveexec_b32 s20, s20
	v_mov_b32_e32 v6, 0x7f800001
	s_xor_b32 exec_lo, exec_lo, s20
	s_cbranch_execnz .LBB150_2199
.LBB150_2166:
	s_or_b32 exec_lo, exec_lo, s20
	s_and_saveexec_b32 s20, s19
	s_cbranch_execz .LBB150_2168
.LBB150_2167:
	v_and_b32_e32 v6, 0xffff, v7
	s_delay_alu instid0(VALU_DEP_1) | instskip(SKIP_1) | instid1(VALU_DEP_2)
	v_and_b32_e32 v9, 3, v6
	v_bfe_u32 v15, v6, 2, 5
	v_clz_i32_u32_e32 v11, v9
	s_delay_alu instid0(VALU_DEP_2) | instskip(NEXT) | instid1(VALU_DEP_2)
	v_cmp_eq_u32_e32 vcc_lo, 0, v15
	v_min_u32_e32 v11, 32, v11
	s_delay_alu instid0(VALU_DEP_1) | instskip(NEXT) | instid1(VALU_DEP_1)
	v_subrev_nc_u32_e32 v14, 29, v11
	v_dual_lshlrev_b32 v6, v14, v6 :: v_dual_sub_nc_u32 v11, 30, v11
	s_delay_alu instid0(VALU_DEP_1) | instskip(NEXT) | instid1(VALU_DEP_1)
	v_dual_lshlrev_b32 v7, 24, v7 :: v_dual_bitop2_b32 v6, 3, v6 bitop3:0x40
	v_dual_cndmask_b32 v6, v9, v6 :: v_dual_cndmask_b32 v11, v15, v11
	s_delay_alu instid0(VALU_DEP_2) | instskip(NEXT) | instid1(VALU_DEP_2)
	v_and_b32_e32 v7, 0x80000000, v7
	v_lshlrev_b32_e32 v6, 21, v6
	s_delay_alu instid0(VALU_DEP_3) | instskip(NEXT) | instid1(VALU_DEP_1)
	v_lshl_add_u32 v9, v11, 23, 0x37800000
	v_or3_b32 v6, v7, v9, v6
.LBB150_2168:
	s_or_b32 exec_lo, exec_lo, s20
	s_mov_b32 s19, 0
	s_branch .LBB150_2187
.LBB150_2169:
	s_and_b32 vcc_lo, exec_lo, s5
	s_cbranch_vccnz .LBB150_2217
.LBB150_2170:
	s_and_not1_b32 vcc_lo, exec_lo, s19
	s_cbranch_vccnz .LBB150_2172
.LBB150_2171:
	global_load_u8 v6, v[12:13], off
	v_mov_b32_e32 v7, 0
	s_mov_b32 s20, -1
	s_wait_loadcnt 0x0
	v_cmp_ne_u16_e32 vcc_lo, 0, v6
	v_cndmask_b32_e64 v6, 0, 1.0, vcc_lo
.LBB150_2172:
	s_mov_b32 s5, 0
.LBB150_2173:
	s_delay_alu instid0(SALU_CYCLE_1)
	s_and_b32 vcc_lo, exec_lo, s5
	s_cbranch_vccz .LBB150_2248
; %bb.2174:
	s_cmp_lt_i32 s0, 5
	s_cbranch_scc1 .LBB150_2179
; %bb.2175:
	s_cmp_lt_i32 s0, 8
	s_cbranch_scc1 .LBB150_2181
	;; [unrolled: 3-line block ×3, first 2 shown]
; %bb.2177:
	s_cmp_gt_i32 s0, 9
	s_cbranch_scc0 .LBB150_2200
; %bb.2178:
	global_load_b128 v[14:17], v[12:13], off
	s_mov_b32 s5, 0
	s_wait_loadcnt 0x0
	v_cvt_f32_f64_e32 v6, v[14:15]
	v_cvt_f32_f64_e32 v7, v[16:17]
	s_branch .LBB150_2201
.LBB150_2179:
	s_mov_b32 s5, -1
                                        ; implicit-def: $vgpr7
	s_branch .LBB150_2226
.LBB150_2180:
	s_mov_b32 s19, -1
                                        ; implicit-def: $vgpr6
	s_branch .LBB150_2193
.LBB150_2181:
	s_mov_b32 s5, -1
                                        ; implicit-def: $vgpr7
	s_branch .LBB150_2207
.LBB150_2182:
	s_or_saveexec_b32 s21, s21
	v_mov_b32_e32 v6, 0x7f800001
	s_xor_b32 exec_lo, exec_lo, s21
	s_cbranch_execz .LBB150_2153
.LBB150_2183:
	v_cmp_ne_u16_e32 vcc_lo, 0, v7
	v_mov_b32_e32 v6, 0
	s_and_not1_b32 s20, s20, exec_lo
	s_and_b32 s22, vcc_lo, exec_lo
	s_delay_alu instid0(SALU_CYCLE_1)
	s_or_b32 s20, s20, s22
	s_or_b32 exec_lo, exec_lo, s21
	s_and_saveexec_b32 s21, s20
	s_cbranch_execnz .LBB150_2154
	s_branch .LBB150_2155
.LBB150_2184:
	s_mov_b32 s19, -1
                                        ; implicit-def: $vgpr6
	s_branch .LBB150_2190
.LBB150_2185:
	s_mov_b32 s5, -1
                                        ; implicit-def: $vgpr7
	s_branch .LBB150_2204
.LBB150_2186:
	s_mov_b32 s19, -1
                                        ; implicit-def: $vgpr6
.LBB150_2187:
	s_delay_alu instid0(SALU_CYCLE_1)
	s_and_b32 vcc_lo, exec_lo, s19
	s_cbranch_vccz .LBB150_2189
; %bb.2188:
	global_load_u8 v6, v[12:13], off
	s_wait_loadcnt 0x0
	v_lshlrev_b32_e32 v6, 24, v6
	s_delay_alu instid0(VALU_DEP_1) | instskip(NEXT) | instid1(VALU_DEP_1)
	v_and_b32_e32 v7, 0x7f000000, v6
	v_clz_i32_u32_e32 v9, v7
	v_cmp_ne_u32_e32 vcc_lo, 0, v7
	v_add_nc_u32_e32 v14, 0x1000000, v7
	s_delay_alu instid0(VALU_DEP_3) | instskip(NEXT) | instid1(VALU_DEP_1)
	v_min_u32_e32 v9, 32, v9
	v_sub_nc_u32_e64 v9, v9, 4 clamp
	s_delay_alu instid0(VALU_DEP_1) | instskip(NEXT) | instid1(VALU_DEP_1)
	v_dual_lshlrev_b32 v11, v9, v7 :: v_dual_lshlrev_b32 v9, 23, v9
	v_lshrrev_b32_e32 v11, 4, v11
	s_delay_alu instid0(VALU_DEP_1) | instskip(NEXT) | instid1(VALU_DEP_1)
	v_dual_sub_nc_u32 v9, v11, v9 :: v_dual_ashrrev_i32 v11, 8, v14
	v_add_nc_u32_e32 v9, 0x3c000000, v9
	s_delay_alu instid0(VALU_DEP_1) | instskip(NEXT) | instid1(VALU_DEP_1)
	v_and_or_b32 v9, 0x7f800000, v11, v9
	v_cndmask_b32_e32 v7, 0, v9, vcc_lo
	s_delay_alu instid0(VALU_DEP_1)
	v_and_or_b32 v6, 0x80000000, v6, v7
.LBB150_2189:
	s_mov_b32 s19, 0
.LBB150_2190:
	s_delay_alu instid0(SALU_CYCLE_1)
	s_and_not1_b32 vcc_lo, exec_lo, s19
	s_cbranch_vccnz .LBB150_2192
; %bb.2191:
	global_load_u8 v6, v[12:13], off
	s_wait_loadcnt 0x0
	v_lshlrev_b32_e32 v7, 25, v6
	v_lshlrev_b16 v6, 8, v6
	s_delay_alu instid0(VALU_DEP_1) | instskip(SKIP_1) | instid1(VALU_DEP_2)
	v_and_or_b32 v11, 0x7f00, v6, 0.5
	v_bfe_i32 v6, v6, 0, 16
	v_add_f32_e32 v11, -0.5, v11
	v_lshrrev_b32_e32 v9, 4, v7
	v_cmp_gt_u32_e32 vcc_lo, 0x8000000, v7
	s_delay_alu instid0(VALU_DEP_2) | instskip(NEXT) | instid1(VALU_DEP_1)
	v_or_b32_e32 v9, 0x70000000, v9
	v_mul_f32_e32 v9, 0x7800000, v9
	s_delay_alu instid0(VALU_DEP_1) | instskip(NEXT) | instid1(VALU_DEP_1)
	v_cndmask_b32_e32 v7, v9, v11, vcc_lo
	v_and_or_b32 v6, 0x80000000, v6, v7
.LBB150_2192:
	s_mov_b32 s19, 0
	s_mov_b32 s20, -1
.LBB150_2193:
	s_and_not1_b32 vcc_lo, exec_lo, s19
	s_mov_b32 s19, 0
	s_cbranch_vccnz .LBB150_2216
; %bb.2194:
	s_cmp_gt_i32 s0, 14
	s_cbranch_scc0 .LBB150_2197
; %bb.2195:
	s_cmp_eq_u32 s0, 15
	s_cbranch_scc0 .LBB150_2212
; %bb.2196:
	global_load_u16 v6, v[12:13], off
	s_mov_b32 s5, 0
	s_mov_b32 s20, -1
	s_wait_loadcnt 0x0
	v_lshlrev_b32_e32 v6, 16, v6
	s_branch .LBB150_2214
.LBB150_2197:
	s_mov_b32 s19, -1
	s_branch .LBB150_2213
.LBB150_2198:
	s_or_saveexec_b32 s20, s20
	v_mov_b32_e32 v6, 0x7f800001
	s_xor_b32 exec_lo, exec_lo, s20
	s_cbranch_execz .LBB150_2166
.LBB150_2199:
	v_cmp_ne_u16_e32 vcc_lo, 0, v7
	v_mov_b32_e32 v6, 0
	s_and_not1_b32 s19, s19, exec_lo
	s_and_b32 s21, vcc_lo, exec_lo
	s_delay_alu instid0(SALU_CYCLE_1)
	s_or_b32 s19, s19, s21
	s_or_b32 exec_lo, exec_lo, s20
	s_and_saveexec_b32 s20, s19
	s_cbranch_execnz .LBB150_2167
	s_branch .LBB150_2168
.LBB150_2200:
	s_mov_b32 s5, -1
                                        ; implicit-def: $vgpr7
.LBB150_2201:
	s_delay_alu instid0(SALU_CYCLE_1)
	s_and_not1_b32 vcc_lo, exec_lo, s5
	s_cbranch_vccnz .LBB150_2203
; %bb.2202:
	global_load_b64 v[6:7], v[12:13], off
.LBB150_2203:
	s_mov_b32 s5, 0
.LBB150_2204:
	s_delay_alu instid0(SALU_CYCLE_1)
	s_and_not1_b32 vcc_lo, exec_lo, s5
	s_cbranch_vccnz .LBB150_2206
; %bb.2205:
	s_wait_loadcnt 0x0
	global_load_b32 v6, v[12:13], off
	s_wait_loadcnt 0x0
	v_lshrrev_b32_e32 v7, 16, v6
	v_cvt_f32_f16_e32 v6, v6
	s_delay_alu instid0(VALU_DEP_2)
	v_cvt_f32_f16_e32 v7, v7
.LBB150_2206:
	s_mov_b32 s5, 0
.LBB150_2207:
	s_delay_alu instid0(SALU_CYCLE_1)
	s_and_not1_b32 vcc_lo, exec_lo, s5
	s_cbranch_vccnz .LBB150_2225
; %bb.2208:
	s_cmp_lt_i32 s0, 6
	s_cbranch_scc1 .LBB150_2211
; %bb.2209:
	s_cmp_gt_i32 s0, 6
	s_cbranch_scc0 .LBB150_2218
; %bb.2210:
	s_wait_loadcnt 0x0
	global_load_b64 v[6:7], v[12:13], off
	s_mov_b32 s5, 0
	s_wait_loadcnt 0x0
	v_cvt_f32_f64_e32 v6, v[6:7]
	s_branch .LBB150_2219
.LBB150_2211:
	s_mov_b32 s5, -1
                                        ; implicit-def: $vgpr6
	s_branch .LBB150_2222
.LBB150_2212:
	s_mov_b32 s5, -1
.LBB150_2213:
                                        ; implicit-def: $vgpr6
.LBB150_2214:
	s_and_b32 vcc_lo, exec_lo, s19
	s_mov_b32 s19, 0
	s_cbranch_vccz .LBB150_2216
; %bb.2215:
	s_cmp_lg_u32 s0, 11
	s_mov_b32 s19, -1
	s_cselect_b32 s5, -1, 0
.LBB150_2216:
	v_mov_b32_e32 v7, 0
	s_and_b32 vcc_lo, exec_lo, s5
	s_cbranch_vccz .LBB150_2170
.LBB150_2217:
	s_or_b32 s17, s17, exec_lo
	s_trap 2
	s_cbranch_execz .LBB150_2171
	s_branch .LBB150_2172
.LBB150_2218:
	s_mov_b32 s5, -1
                                        ; implicit-def: $vgpr6
.LBB150_2219:
	s_delay_alu instid0(SALU_CYCLE_1)
	s_and_not1_b32 vcc_lo, exec_lo, s5
	s_cbranch_vccnz .LBB150_2221
; %bb.2220:
	s_wait_loadcnt 0x0
	global_load_b32 v6, v[12:13], off
.LBB150_2221:
	s_mov_b32 s5, 0
.LBB150_2222:
	s_delay_alu instid0(SALU_CYCLE_1)
	s_and_not1_b32 vcc_lo, exec_lo, s5
	s_cbranch_vccnz .LBB150_2224
; %bb.2223:
	s_wait_loadcnt 0x0
	global_load_u16 v6, v[12:13], off
	s_wait_loadcnt 0x0
	v_cvt_f32_f16_e32 v6, v6
.LBB150_2224:
	s_wait_loadcnt 0x0
	v_mov_b32_e32 v7, 0
.LBB150_2225:
	s_mov_b32 s5, 0
.LBB150_2226:
	s_delay_alu instid0(SALU_CYCLE_1)
	s_and_not1_b32 vcc_lo, exec_lo, s5
	s_cbranch_vccnz .LBB150_2247
; %bb.2227:
	s_cmp_lt_i32 s0, 2
	s_cbranch_scc1 .LBB150_2231
; %bb.2228:
	s_cmp_lt_i32 s0, 3
	s_cbranch_scc1 .LBB150_2232
; %bb.2229:
	s_cmp_gt_i32 s0, 3
	s_cbranch_scc0 .LBB150_2233
; %bb.2230:
	s_wait_loadcnt 0x0
	global_load_b64 v[6:7], v[12:13], off
	s_mov_b32 s5, 0
	s_wait_loadcnt 0x0
	v_xor_b32_e32 v9, v6, v7
	v_cls_i32_e32 v11, v7
	s_delay_alu instid0(VALU_DEP_2) | instskip(NEXT) | instid1(VALU_DEP_1)
	v_ashrrev_i32_e32 v9, 31, v9
	v_add_nc_u32_e32 v9, 32, v9
	s_delay_alu instid0(VALU_DEP_1) | instskip(NEXT) | instid1(VALU_DEP_1)
	v_add_min_u32_e64 v9, v11, -1, v9
	v_lshlrev_b64_e32 v[6:7], v9, v[6:7]
	s_delay_alu instid0(VALU_DEP_1) | instskip(NEXT) | instid1(VALU_DEP_1)
	v_min_u32_e32 v6, 1, v6
	v_dual_sub_nc_u32 v7, 32, v9 :: v_dual_bitop2_b32 v6, v7, v6 bitop3:0x54
	s_delay_alu instid0(VALU_DEP_1) | instskip(NEXT) | instid1(VALU_DEP_1)
	v_cvt_f32_i32_e32 v6, v6
	v_ldexp_f32 v6, v6, v7
	s_branch .LBB150_2234
.LBB150_2231:
	s_mov_b32 s5, -1
                                        ; implicit-def: $vgpr6
	s_branch .LBB150_2240
.LBB150_2232:
	s_mov_b32 s5, -1
                                        ; implicit-def: $vgpr6
	s_branch .LBB150_2237
.LBB150_2233:
	s_mov_b32 s5, -1
                                        ; implicit-def: $vgpr6
.LBB150_2234:
	s_delay_alu instid0(SALU_CYCLE_1)
	s_and_not1_b32 vcc_lo, exec_lo, s5
	s_cbranch_vccnz .LBB150_2236
; %bb.2235:
	s_wait_loadcnt 0x0
	global_load_b32 v6, v[12:13], off
	s_wait_loadcnt 0x0
	v_cvt_f32_i32_e32 v6, v6
.LBB150_2236:
	s_mov_b32 s5, 0
.LBB150_2237:
	s_delay_alu instid0(SALU_CYCLE_1)
	s_and_not1_b32 vcc_lo, exec_lo, s5
	s_cbranch_vccnz .LBB150_2239
; %bb.2238:
	s_wait_loadcnt 0x0
	global_load_i16 v6, v[12:13], off
	s_wait_loadcnt 0x0
	v_cvt_f32_i32_e32 v6, v6
.LBB150_2239:
	s_mov_b32 s5, 0
.LBB150_2240:
	s_delay_alu instid0(SALU_CYCLE_1)
	s_and_not1_b32 vcc_lo, exec_lo, s5
	s_cbranch_vccnz .LBB150_2246
; %bb.2241:
	s_cmp_gt_i32 s0, 0
	s_mov_b32 s5, 0
	s_cbranch_scc0 .LBB150_2243
; %bb.2242:
	s_wait_loadcnt 0x0
	global_load_i8 v6, v[12:13], off
	s_wait_loadcnt 0x0
	v_cvt_f32_i32_e32 v6, v6
	s_branch .LBB150_2244
.LBB150_2243:
	s_mov_b32 s5, -1
                                        ; implicit-def: $vgpr6
.LBB150_2244:
	s_delay_alu instid0(SALU_CYCLE_1)
	s_and_not1_b32 vcc_lo, exec_lo, s5
	s_cbranch_vccnz .LBB150_2246
; %bb.2245:
	s_wait_loadcnt 0x0
	global_load_u8 v6, v[12:13], off
	s_wait_loadcnt 0x0
	v_cvt_f32_ubyte0_e32 v6, v6
.LBB150_2246:
	s_wait_loadcnt 0x0
	v_mov_b32_e32 v7, 0
.LBB150_2247:
	s_mov_b32 s20, -1
.LBB150_2248:
	s_delay_alu instid0(SALU_CYCLE_1)
	s_and_not1_b32 vcc_lo, exec_lo, s20
	s_cbranch_vccnz .LBB150_3270
; %bb.2249:
	s_cmp_lt_i32 s18, 23
	s_cbranch_scc1 .LBB150_2253
; %bb.2250:
	s_and_b32 s20, 0xffff, s18
	s_delay_alu instid0(SALU_CYCLE_1)
	s_cmp_gt_i32 s20, 43
	s_cbranch_scc0 .LBB150_2254
; %bb.2251:
	s_cmp_gt_i32 s20, 45
	s_cbranch_scc0 .LBB150_2255
; %bb.2252:
	s_cmp_lg_u32 s20, 46
	s_mov_b32 s21, 0
	s_mov_b32 s5, -1
	s_cselect_b32 s19, -1, 0
	s_branch .LBB150_2256
.LBB150_2253:
	s_mov_b32 s20, -1
	s_mov_b32 s5, 0
	s_mov_b32 s19, 0
	s_branch .LBB150_2262
.LBB150_2254:
	s_mov_b32 s21, -1
	s_mov_b32 s5, 0
	s_mov_b32 s19, 0
	s_branch .LBB150_2259
.LBB150_2255:
	s_mov_b32 s21, -1
	s_mov_b32 s5, 0
	s_mov_b32 s19, 0
.LBB150_2256:
	s_and_not1_b32 vcc_lo, exec_lo, s21
	s_cbranch_vccnz .LBB150_2258
; %bb.2257:
	s_cmp_eq_u32 s20, 44
	s_cselect_b32 s5, -1, 0
	s_cmp_lg_u32 s20, 44
	s_cselect_b32 s19, -1, 0
.LBB150_2258:
	s_mov_b32 s21, 0
.LBB150_2259:
	s_delay_alu instid0(SALU_CYCLE_1)
	s_and_b32 vcc_lo, exec_lo, s21
	s_cbranch_vccz .LBB150_2261
; %bb.2260:
	s_cmp_lt_i32 s20, 30
	s_cselect_b32 s5, -1, 0
	s_cmp_gt_i32 s20, 29
	s_cselect_b32 s19, -1, 0
.LBB150_2261:
	s_mov_b32 s20, 0
.LBB150_2262:
	s_delay_alu instid0(SALU_CYCLE_1)
	s_and_b32 vcc_lo, exec_lo, s20
	s_cbranch_vccz .LBB150_2267
; %bb.2263:
	s_and_b32 s20, 0xffff, s18
	s_mov_b32 s21, -1
	s_cmp_gt_i32 s20, 14
	s_cbranch_scc0 .LBB150_2265
; %bb.2264:
	s_cmp_eq_u32 s20, 15
	s_mov_b32 s21, 0
	s_cselect_b32 s5, -1, 0
	s_cmp_lg_u32 s20, 15
	s_cselect_b32 s19, -1, 0
.LBB150_2265:
	s_and_not1_b32 vcc_lo, exec_lo, s21
	s_cbranch_vccnz .LBB150_2267
; %bb.2266:
	s_cmp_lt_i32 s20, 12
	s_cselect_b32 s5, -1, 0
	s_cmp_gt_i32 s20, 11
	s_cselect_b32 s19, -1, 0
.LBB150_2267:
	s_delay_alu instid0(SALU_CYCLE_1)
	s_and_b32 vcc_lo, exec_lo, s19
	s_cbranch_vccnz .LBB150_2279
; %bb.2268:
	s_and_not1_b32 vcc_lo, exec_lo, s5
	s_cbranch_vccnz .LBB150_3270
.LBB150_2269:
	s_wait_xcnt 0x0
	v_add_nc_u32_e32 v12, s1, v8
	s_cmp_lt_i32 s16, 11
	s_delay_alu instid0(VALU_DEP_1) | instskip(NEXT) | instid1(VALU_DEP_1)
	v_ashrrev_i32_e32 v13, 31, v12
	v_add_nc_u64_e32 v[14:15], s[8:9], v[12:13]
	s_cbranch_scc1 .LBB150_2276
; %bb.2270:
	s_and_b32 s5, 0xffff, s16
	s_mov_b32 s20, 0
	s_cmp_gt_i32 s5, 25
	s_cbranch_scc0 .LBB150_2277
; %bb.2271:
	s_cmp_gt_i32 s5, 28
	s_cbranch_scc0 .LBB150_2278
; %bb.2272:
	;; [unrolled: 3-line block ×4, first 2 shown]
	s_cmp_eq_u32 s5, 46
	s_mov_b32 s22, 0
	s_cbranch_scc0 .LBB150_2284
; %bb.2275:
	global_load_b32 v8, v[14:15], off
	s_mov_b32 s19, 0
	s_mov_b32 s21, -1
	s_wait_loadcnt 0x0
	v_and_b32_e32 v9, 0xffff0000, v8
	v_lshlrev_b32_e32 v8, 16, v8
	s_branch .LBB150_2286
.LBB150_2276:
	s_mov_b32 s5, -1
	s_mov_b32 s21, 0
                                        ; implicit-def: $vgpr9
	s_branch .LBB150_2332
.LBB150_2277:
	s_mov_b32 s22, -1
	s_mov_b32 s21, 0
	s_mov_b32 s19, 0
                                        ; implicit-def: $vgpr9
	s_branch .LBB150_2317
.LBB150_2278:
	s_mov_b32 s22, -1
	s_mov_b32 s21, 0
	s_mov_b32 s19, 0
                                        ; implicit-def: $vgpr9
	s_branch .LBB150_2298
.LBB150_2279:
	s_or_b32 s17, s17, exec_lo
	s_trap 2
	s_cbranch_execz .LBB150_2269
	s_branch .LBB150_3270
.LBB150_2280:
	s_mov_b32 s22, -1
	s_mov_b32 s21, 0
	s_mov_b32 s19, 0
                                        ; implicit-def: $vgpr9
	s_branch .LBB150_2292
.LBB150_2281:
	s_and_not1_saveexec_b32 s40, s40
	s_cbranch_execz .LBB150_1173
.LBB150_2282:
	v_add_f32_e64 v4, 0x42800000, |v2|
	s_and_not1_b32 s39, s39, exec_lo
	s_delay_alu instid0(VALU_DEP_1) | instskip(NEXT) | instid1(VALU_DEP_1)
	v_and_b32_e32 v4, 0xff, v4
	v_cmp_ne_u32_e32 vcc_lo, 0, v4
	s_and_b32 s41, vcc_lo, exec_lo
	s_delay_alu instid0(SALU_CYCLE_1)
	s_or_b32 s39, s39, s41
	s_or_b32 exec_lo, exec_lo, s40
	v_mov_b32_e32 v6, 0
	s_and_saveexec_b32 s40, s39
	s_cbranch_execnz .LBB150_1174
	s_branch .LBB150_1175
.LBB150_2283:
	s_mov_b32 s22, -1
	s_mov_b32 s21, 0
	s_mov_b32 s19, 0
	s_branch .LBB150_2285
.LBB150_2284:
	s_mov_b32 s19, -1
	s_mov_b32 s21, 0
.LBB150_2285:
                                        ; implicit-def: $vgpr9
.LBB150_2286:
	s_and_b32 vcc_lo, exec_lo, s22
	s_cbranch_vccz .LBB150_2291
; %bb.2287:
	s_cmp_eq_u32 s5, 44
	s_cbranch_scc0 .LBB150_2289
; %bb.2288:
	global_load_u8 v8, v[14:15], off
	s_mov_b32 s19, 0
	s_mov_b32 s21, -1
	s_wait_loadcnt 0x0
	v_lshlrev_b32_e32 v9, 23, v8
	v_cmp_ne_u32_e32 vcc_lo, 0xff, v8
	s_delay_alu instid0(VALU_DEP_2) | instskip(SKIP_1) | instid1(VALU_DEP_2)
	v_cndmask_b32_e32 v9, 0x7f800001, v9, vcc_lo
	v_cmp_ne_u32_e32 vcc_lo, 0, v8
	v_cndmask_b32_e32 v8, 0x400000, v9, vcc_lo
	s_branch .LBB150_2290
.LBB150_2289:
	s_mov_b32 s19, -1
                                        ; implicit-def: $vgpr8
.LBB150_2290:
	v_mov_b32_e32 v9, 0
.LBB150_2291:
	s_mov_b32 s22, 0
.LBB150_2292:
	s_delay_alu instid0(SALU_CYCLE_1)
	s_and_b32 vcc_lo, exec_lo, s22
	s_cbranch_vccz .LBB150_2297
; %bb.2293:
	s_cmp_eq_u32 s5, 29
	s_cbranch_scc0 .LBB150_2295
; %bb.2294:
	global_load_b64 v[8:9], v[14:15], off
	s_mov_b32 s19, 0
	s_mov_b32 s21, -1
	s_wait_loadcnt 0x0
	v_clz_i32_u32_e32 v11, v9
	s_delay_alu instid0(VALU_DEP_1) | instskip(NEXT) | instid1(VALU_DEP_1)
	v_min_u32_e32 v11, 32, v11
	v_lshlrev_b64_e32 v[8:9], v11, v[8:9]
	s_delay_alu instid0(VALU_DEP_1) | instskip(NEXT) | instid1(VALU_DEP_1)
	v_min_u32_e32 v8, 1, v8
	v_dual_sub_nc_u32 v9, 32, v11 :: v_dual_bitop2_b32 v8, v9, v8 bitop3:0x54
	s_delay_alu instid0(VALU_DEP_1) | instskip(NEXT) | instid1(VALU_DEP_1)
	v_cvt_f32_u32_e32 v8, v8
	v_ldexp_f32 v8, v8, v9
	s_branch .LBB150_2296
.LBB150_2295:
	s_mov_b32 s19, -1
                                        ; implicit-def: $vgpr8
.LBB150_2296:
	v_mov_b32_e32 v9, 0
.LBB150_2297:
	s_mov_b32 s22, 0
.LBB150_2298:
	s_delay_alu instid0(SALU_CYCLE_1)
	s_and_b32 vcc_lo, exec_lo, s22
	s_cbranch_vccz .LBB150_2316
; %bb.2299:
	s_cmp_lt_i32 s5, 27
	s_cbranch_scc1 .LBB150_2302
; %bb.2300:
	s_cmp_gt_i32 s5, 27
	s_cbranch_scc0 .LBB150_2303
; %bb.2301:
	global_load_b32 v8, v[14:15], off
	s_mov_b32 s21, 0
	s_wait_loadcnt 0x0
	v_cvt_f32_u32_e32 v8, v8
	s_branch .LBB150_2304
.LBB150_2302:
	s_mov_b32 s21, -1
                                        ; implicit-def: $vgpr8
	s_branch .LBB150_2307
.LBB150_2303:
	s_mov_b32 s21, -1
                                        ; implicit-def: $vgpr8
.LBB150_2304:
	s_delay_alu instid0(SALU_CYCLE_1)
	s_and_not1_b32 vcc_lo, exec_lo, s21
	s_cbranch_vccnz .LBB150_2306
; %bb.2305:
	global_load_u16 v8, v[14:15], off
	s_wait_loadcnt 0x0
	v_cvt_f32_u32_e32 v8, v8
.LBB150_2306:
	s_mov_b32 s21, 0
.LBB150_2307:
	s_delay_alu instid0(SALU_CYCLE_1)
	s_and_not1_b32 vcc_lo, exec_lo, s21
	s_cbranch_vccnz .LBB150_2315
; %bb.2308:
	global_load_u8 v9, v[14:15], off
	s_mov_b32 s21, 0
	s_mov_b32 s22, exec_lo
	s_wait_loadcnt 0x0
	v_cmpx_lt_i16_e32 0x7f, v9
	s_xor_b32 s22, exec_lo, s22
	s_cbranch_execz .LBB150_2341
; %bb.2309:
	s_mov_b32 s21, -1
	s_mov_b32 s23, exec_lo
	v_cmpx_eq_u16_e32 0x80, v9
; %bb.2310:
	s_xor_b32 s21, exec_lo, -1
; %bb.2311:
	s_or_b32 exec_lo, exec_lo, s23
	s_delay_alu instid0(SALU_CYCLE_1)
	s_and_b32 s21, s21, exec_lo
	s_or_saveexec_b32 s22, s22
	v_mov_b32_e32 v8, 0x7f800001
	s_xor_b32 exec_lo, exec_lo, s22
	s_cbranch_execnz .LBB150_2342
.LBB150_2312:
	s_or_b32 exec_lo, exec_lo, s22
	s_and_saveexec_b32 s22, s21
	s_cbranch_execz .LBB150_2314
.LBB150_2313:
	v_and_b32_e32 v8, 0xffff, v9
	s_delay_alu instid0(VALU_DEP_1) | instskip(SKIP_1) | instid1(VALU_DEP_2)
	v_and_b32_e32 v11, 7, v8
	v_bfe_u32 v17, v8, 3, 4
	v_clz_i32_u32_e32 v13, v11
	s_delay_alu instid0(VALU_DEP_2) | instskip(NEXT) | instid1(VALU_DEP_2)
	v_cmp_eq_u32_e32 vcc_lo, 0, v17
	v_min_u32_e32 v13, 32, v13
	s_delay_alu instid0(VALU_DEP_1) | instskip(NEXT) | instid1(VALU_DEP_1)
	v_subrev_nc_u32_e32 v16, 28, v13
	v_dual_lshlrev_b32 v8, v16, v8 :: v_dual_sub_nc_u32 v13, 29, v13
	s_delay_alu instid0(VALU_DEP_1) | instskip(NEXT) | instid1(VALU_DEP_1)
	v_dual_lshlrev_b32 v9, 24, v9 :: v_dual_bitop2_b32 v8, 7, v8 bitop3:0x40
	v_dual_cndmask_b32 v8, v11, v8 :: v_dual_cndmask_b32 v13, v17, v13
	s_delay_alu instid0(VALU_DEP_2) | instskip(NEXT) | instid1(VALU_DEP_2)
	v_and_b32_e32 v9, 0x80000000, v9
	v_lshlrev_b32_e32 v8, 20, v8
	s_delay_alu instid0(VALU_DEP_3) | instskip(NEXT) | instid1(VALU_DEP_1)
	v_lshl_add_u32 v11, v13, 23, 0x3b800000
	v_or3_b32 v8, v9, v11, v8
.LBB150_2314:
	s_or_b32 exec_lo, exec_lo, s22
.LBB150_2315:
	v_mov_b32_e32 v9, 0
	s_mov_b32 s21, -1
.LBB150_2316:
	s_mov_b32 s22, 0
.LBB150_2317:
	s_delay_alu instid0(SALU_CYCLE_1)
	s_and_b32 vcc_lo, exec_lo, s22
	s_cbranch_vccz .LBB150_2328
; %bb.2318:
	s_cmp_gt_i32 s5, 22
	s_cbranch_scc0 .LBB150_2339
; %bb.2319:
	s_cmp_lt_i32 s5, 24
	s_cbranch_scc1 .LBB150_2343
; %bb.2320:
	s_cmp_gt_i32 s5, 24
	s_cbranch_scc0 .LBB150_2345
; %bb.2321:
	global_load_u8 v9, v[14:15], off
	s_mov_b32 s21, exec_lo
	s_wait_loadcnt 0x0
	v_cmpx_lt_i16_e32 0x7f, v9
	s_xor_b32 s21, exec_lo, s21
	s_cbranch_execz .LBB150_2357
; %bb.2322:
	s_mov_b32 s20, -1
	s_mov_b32 s22, exec_lo
	v_cmpx_eq_u16_e32 0x80, v9
; %bb.2323:
	s_xor_b32 s20, exec_lo, -1
; %bb.2324:
	s_or_b32 exec_lo, exec_lo, s22
	s_delay_alu instid0(SALU_CYCLE_1)
	s_and_b32 s20, s20, exec_lo
	s_or_saveexec_b32 s21, s21
	v_mov_b32_e32 v8, 0x7f800001
	s_xor_b32 exec_lo, exec_lo, s21
	s_cbranch_execnz .LBB150_2358
.LBB150_2325:
	s_or_b32 exec_lo, exec_lo, s21
	s_and_saveexec_b32 s21, s20
	s_cbranch_execz .LBB150_2327
.LBB150_2326:
	v_and_b32_e32 v8, 0xffff, v9
	s_delay_alu instid0(VALU_DEP_1) | instskip(SKIP_1) | instid1(VALU_DEP_2)
	v_and_b32_e32 v11, 3, v8
	v_bfe_u32 v17, v8, 2, 5
	v_clz_i32_u32_e32 v13, v11
	s_delay_alu instid0(VALU_DEP_2) | instskip(NEXT) | instid1(VALU_DEP_2)
	v_cmp_eq_u32_e32 vcc_lo, 0, v17
	v_min_u32_e32 v13, 32, v13
	s_delay_alu instid0(VALU_DEP_1) | instskip(NEXT) | instid1(VALU_DEP_1)
	v_subrev_nc_u32_e32 v16, 29, v13
	v_dual_lshlrev_b32 v8, v16, v8 :: v_dual_sub_nc_u32 v13, 30, v13
	s_delay_alu instid0(VALU_DEP_1) | instskip(NEXT) | instid1(VALU_DEP_1)
	v_dual_lshlrev_b32 v9, 24, v9 :: v_dual_bitop2_b32 v8, 3, v8 bitop3:0x40
	v_dual_cndmask_b32 v8, v11, v8 :: v_dual_cndmask_b32 v13, v17, v13
	s_delay_alu instid0(VALU_DEP_2) | instskip(NEXT) | instid1(VALU_DEP_2)
	v_and_b32_e32 v9, 0x80000000, v9
	v_lshlrev_b32_e32 v8, 21, v8
	s_delay_alu instid0(VALU_DEP_3) | instskip(NEXT) | instid1(VALU_DEP_1)
	v_lshl_add_u32 v11, v13, 23, 0x37800000
	v_or3_b32 v8, v9, v11, v8
.LBB150_2327:
	s_or_b32 exec_lo, exec_lo, s21
	s_mov_b32 s20, 0
	s_branch .LBB150_2346
.LBB150_2328:
	s_and_b32 vcc_lo, exec_lo, s19
	s_cbranch_vccnz .LBB150_2376
.LBB150_2329:
	s_and_not1_b32 vcc_lo, exec_lo, s20
	s_cbranch_vccnz .LBB150_2331
.LBB150_2330:
	global_load_u8 v8, v[14:15], off
	v_mov_b32_e32 v9, 0
	s_mov_b32 s21, -1
	s_wait_loadcnt 0x0
	v_cmp_ne_u16_e32 vcc_lo, 0, v8
	v_cndmask_b32_e64 v8, 0, 1.0, vcc_lo
.LBB150_2331:
	s_mov_b32 s5, 0
.LBB150_2332:
	s_delay_alu instid0(SALU_CYCLE_1)
	s_and_b32 vcc_lo, exec_lo, s5
	s_cbranch_vccz .LBB150_2407
; %bb.2333:
	s_and_b32 s5, 0xffff, s16
	s_delay_alu instid0(SALU_CYCLE_1)
	s_cmp_lt_i32 s5, 5
	s_cbranch_scc1 .LBB150_2338
; %bb.2334:
	s_cmp_lt_i32 s5, 8
	s_cbranch_scc1 .LBB150_2340
; %bb.2335:
	;; [unrolled: 3-line block ×3, first 2 shown]
	s_cmp_gt_i32 s5, 9
	s_cbranch_scc0 .LBB150_2359
; %bb.2337:
	global_load_b128 v[20:23], v[14:15], off
	s_mov_b32 s19, 0
	s_wait_loadcnt 0x0
	v_cvt_f32_f64_e32 v8, v[20:21]
	v_cvt_f32_f64_e32 v9, v[22:23]
	s_branch .LBB150_2360
.LBB150_2338:
	s_mov_b32 s19, -1
                                        ; implicit-def: $vgpr9
	s_branch .LBB150_2385
.LBB150_2339:
	s_mov_b32 s20, -1
                                        ; implicit-def: $vgpr8
	s_branch .LBB150_2352
.LBB150_2340:
	s_mov_b32 s19, -1
                                        ; implicit-def: $vgpr9
	s_branch .LBB150_2366
.LBB150_2341:
	s_or_saveexec_b32 s22, s22
	v_mov_b32_e32 v8, 0x7f800001
	s_xor_b32 exec_lo, exec_lo, s22
	s_cbranch_execz .LBB150_2312
.LBB150_2342:
	v_cmp_ne_u16_e32 vcc_lo, 0, v9
	v_mov_b32_e32 v8, 0
	s_and_not1_b32 s21, s21, exec_lo
	s_and_b32 s23, vcc_lo, exec_lo
	s_delay_alu instid0(SALU_CYCLE_1)
	s_or_b32 s21, s21, s23
	s_or_b32 exec_lo, exec_lo, s22
	s_and_saveexec_b32 s22, s21
	s_cbranch_execnz .LBB150_2313
	s_branch .LBB150_2314
.LBB150_2343:
	s_mov_b32 s20, -1
                                        ; implicit-def: $vgpr8
	s_branch .LBB150_2349
.LBB150_2344:
	s_mov_b32 s19, -1
                                        ; implicit-def: $vgpr9
	s_branch .LBB150_2363
.LBB150_2345:
	s_mov_b32 s20, -1
                                        ; implicit-def: $vgpr8
.LBB150_2346:
	s_delay_alu instid0(SALU_CYCLE_1)
	s_and_b32 vcc_lo, exec_lo, s20
	s_cbranch_vccz .LBB150_2348
; %bb.2347:
	global_load_u8 v8, v[14:15], off
	s_wait_loadcnt 0x0
	v_lshlrev_b32_e32 v8, 24, v8
	s_delay_alu instid0(VALU_DEP_1) | instskip(NEXT) | instid1(VALU_DEP_1)
	v_and_b32_e32 v9, 0x7f000000, v8
	v_clz_i32_u32_e32 v11, v9
	v_cmp_ne_u32_e32 vcc_lo, 0, v9
	v_add_nc_u32_e32 v16, 0x1000000, v9
	s_delay_alu instid0(VALU_DEP_3) | instskip(NEXT) | instid1(VALU_DEP_1)
	v_min_u32_e32 v11, 32, v11
	v_sub_nc_u32_e64 v11, v11, 4 clamp
	s_delay_alu instid0(VALU_DEP_1) | instskip(NEXT) | instid1(VALU_DEP_1)
	v_dual_lshlrev_b32 v13, v11, v9 :: v_dual_lshlrev_b32 v11, 23, v11
	v_lshrrev_b32_e32 v13, 4, v13
	s_delay_alu instid0(VALU_DEP_1) | instskip(NEXT) | instid1(VALU_DEP_1)
	v_dual_sub_nc_u32 v11, v13, v11 :: v_dual_ashrrev_i32 v13, 8, v16
	v_add_nc_u32_e32 v11, 0x3c000000, v11
	s_delay_alu instid0(VALU_DEP_1) | instskip(NEXT) | instid1(VALU_DEP_1)
	v_and_or_b32 v11, 0x7f800000, v13, v11
	v_cndmask_b32_e32 v9, 0, v11, vcc_lo
	s_delay_alu instid0(VALU_DEP_1)
	v_and_or_b32 v8, 0x80000000, v8, v9
.LBB150_2348:
	s_mov_b32 s20, 0
.LBB150_2349:
	s_delay_alu instid0(SALU_CYCLE_1)
	s_and_not1_b32 vcc_lo, exec_lo, s20
	s_cbranch_vccnz .LBB150_2351
; %bb.2350:
	global_load_u8 v8, v[14:15], off
	s_wait_loadcnt 0x0
	v_lshlrev_b32_e32 v9, 25, v8
	v_lshlrev_b16 v8, 8, v8
	s_delay_alu instid0(VALU_DEP_1) | instskip(SKIP_1) | instid1(VALU_DEP_2)
	v_and_or_b32 v13, 0x7f00, v8, 0.5
	v_bfe_i32 v8, v8, 0, 16
	v_add_f32_e32 v13, -0.5, v13
	v_lshrrev_b32_e32 v11, 4, v9
	v_cmp_gt_u32_e32 vcc_lo, 0x8000000, v9
	s_delay_alu instid0(VALU_DEP_2) | instskip(NEXT) | instid1(VALU_DEP_1)
	v_or_b32_e32 v11, 0x70000000, v11
	v_mul_f32_e32 v11, 0x7800000, v11
	s_delay_alu instid0(VALU_DEP_1) | instskip(NEXT) | instid1(VALU_DEP_1)
	v_cndmask_b32_e32 v9, v11, v13, vcc_lo
	v_and_or_b32 v8, 0x80000000, v8, v9
.LBB150_2351:
	s_mov_b32 s20, 0
	s_mov_b32 s21, -1
.LBB150_2352:
	s_and_not1_b32 vcc_lo, exec_lo, s20
	s_mov_b32 s20, 0
	s_cbranch_vccnz .LBB150_2375
; %bb.2353:
	s_cmp_gt_i32 s5, 14
	s_cbranch_scc0 .LBB150_2356
; %bb.2354:
	s_cmp_eq_u32 s5, 15
	s_cbranch_scc0 .LBB150_2371
; %bb.2355:
	global_load_u16 v8, v[14:15], off
	s_mov_b32 s19, 0
	s_mov_b32 s21, -1
	s_wait_loadcnt 0x0
	v_lshlrev_b32_e32 v8, 16, v8
	s_branch .LBB150_2373
.LBB150_2356:
	s_mov_b32 s20, -1
	s_branch .LBB150_2372
.LBB150_2357:
	s_or_saveexec_b32 s21, s21
	v_mov_b32_e32 v8, 0x7f800001
	s_xor_b32 exec_lo, exec_lo, s21
	s_cbranch_execz .LBB150_2325
.LBB150_2358:
	v_cmp_ne_u16_e32 vcc_lo, 0, v9
	v_mov_b32_e32 v8, 0
	s_and_not1_b32 s20, s20, exec_lo
	s_and_b32 s22, vcc_lo, exec_lo
	s_delay_alu instid0(SALU_CYCLE_1)
	s_or_b32 s20, s20, s22
	s_or_b32 exec_lo, exec_lo, s21
	s_and_saveexec_b32 s21, s20
	s_cbranch_execnz .LBB150_2326
	s_branch .LBB150_2327
.LBB150_2359:
	s_mov_b32 s19, -1
                                        ; implicit-def: $vgpr9
.LBB150_2360:
	s_delay_alu instid0(SALU_CYCLE_1)
	s_and_not1_b32 vcc_lo, exec_lo, s19
	s_cbranch_vccnz .LBB150_2362
; %bb.2361:
	global_load_b64 v[8:9], v[14:15], off
.LBB150_2362:
	s_mov_b32 s19, 0
.LBB150_2363:
	s_delay_alu instid0(SALU_CYCLE_1)
	s_and_not1_b32 vcc_lo, exec_lo, s19
	s_cbranch_vccnz .LBB150_2365
; %bb.2364:
	s_wait_loadcnt 0x0
	global_load_b32 v8, v[14:15], off
	s_wait_loadcnt 0x0
	v_lshrrev_b32_e32 v9, 16, v8
	v_cvt_f32_f16_e32 v8, v8
	s_delay_alu instid0(VALU_DEP_2)
	v_cvt_f32_f16_e32 v9, v9
.LBB150_2365:
	s_mov_b32 s19, 0
.LBB150_2366:
	s_delay_alu instid0(SALU_CYCLE_1)
	s_and_not1_b32 vcc_lo, exec_lo, s19
	s_cbranch_vccnz .LBB150_2384
; %bb.2367:
	s_cmp_lt_i32 s5, 6
	s_cbranch_scc1 .LBB150_2370
; %bb.2368:
	s_cmp_gt_i32 s5, 6
	s_cbranch_scc0 .LBB150_2377
; %bb.2369:
	s_wait_loadcnt 0x0
	global_load_b64 v[8:9], v[14:15], off
	s_mov_b32 s19, 0
	s_wait_loadcnt 0x0
	v_cvt_f32_f64_e32 v8, v[8:9]
	s_branch .LBB150_2378
.LBB150_2370:
	s_mov_b32 s19, -1
                                        ; implicit-def: $vgpr8
	s_branch .LBB150_2381
.LBB150_2371:
	s_mov_b32 s19, -1
.LBB150_2372:
                                        ; implicit-def: $vgpr8
.LBB150_2373:
	s_and_b32 vcc_lo, exec_lo, s20
	s_mov_b32 s20, 0
	s_cbranch_vccz .LBB150_2375
; %bb.2374:
	s_cmp_lg_u32 s5, 11
	s_mov_b32 s20, -1
	s_cselect_b32 s19, -1, 0
.LBB150_2375:
	v_mov_b32_e32 v9, 0
	s_and_b32 vcc_lo, exec_lo, s19
	s_cbranch_vccz .LBB150_2329
.LBB150_2376:
	s_or_b32 s17, s17, exec_lo
	s_trap 2
	s_cbranch_execz .LBB150_2330
	s_branch .LBB150_2331
.LBB150_2377:
	s_mov_b32 s19, -1
                                        ; implicit-def: $vgpr8
.LBB150_2378:
	s_delay_alu instid0(SALU_CYCLE_1)
	s_and_not1_b32 vcc_lo, exec_lo, s19
	s_cbranch_vccnz .LBB150_2380
; %bb.2379:
	s_wait_loadcnt 0x0
	global_load_b32 v8, v[14:15], off
.LBB150_2380:
	s_mov_b32 s19, 0
.LBB150_2381:
	s_delay_alu instid0(SALU_CYCLE_1)
	s_and_not1_b32 vcc_lo, exec_lo, s19
	s_cbranch_vccnz .LBB150_2383
; %bb.2382:
	s_wait_loadcnt 0x0
	global_load_u16 v8, v[14:15], off
	s_wait_loadcnt 0x0
	v_cvt_f32_f16_e32 v8, v8
.LBB150_2383:
	s_wait_loadcnt 0x0
	v_mov_b32_e32 v9, 0
.LBB150_2384:
	s_mov_b32 s19, 0
.LBB150_2385:
	s_delay_alu instid0(SALU_CYCLE_1)
	s_and_not1_b32 vcc_lo, exec_lo, s19
	s_cbranch_vccnz .LBB150_2406
; %bb.2386:
	s_cmp_lt_i32 s5, 2
	s_cbranch_scc1 .LBB150_2390
; %bb.2387:
	s_cmp_lt_i32 s5, 3
	s_cbranch_scc1 .LBB150_2391
; %bb.2388:
	s_cmp_gt_i32 s5, 3
	s_cbranch_scc0 .LBB150_2392
; %bb.2389:
	s_wait_loadcnt 0x0
	global_load_b64 v[8:9], v[14:15], off
	s_mov_b32 s19, 0
	s_wait_loadcnt 0x0
	v_xor_b32_e32 v11, v8, v9
	v_cls_i32_e32 v13, v9
	s_delay_alu instid0(VALU_DEP_2) | instskip(NEXT) | instid1(VALU_DEP_1)
	v_ashrrev_i32_e32 v11, 31, v11
	v_add_nc_u32_e32 v11, 32, v11
	s_delay_alu instid0(VALU_DEP_1) | instskip(NEXT) | instid1(VALU_DEP_1)
	v_add_min_u32_e64 v11, v13, -1, v11
	v_lshlrev_b64_e32 v[8:9], v11, v[8:9]
	s_delay_alu instid0(VALU_DEP_1) | instskip(NEXT) | instid1(VALU_DEP_1)
	v_min_u32_e32 v8, 1, v8
	v_dual_sub_nc_u32 v9, 32, v11 :: v_dual_bitop2_b32 v8, v9, v8 bitop3:0x54
	s_delay_alu instid0(VALU_DEP_1) | instskip(NEXT) | instid1(VALU_DEP_1)
	v_cvt_f32_i32_e32 v8, v8
	v_ldexp_f32 v8, v8, v9
	s_branch .LBB150_2393
.LBB150_2390:
	s_mov_b32 s19, -1
                                        ; implicit-def: $vgpr8
	s_branch .LBB150_2399
.LBB150_2391:
	s_mov_b32 s19, -1
                                        ; implicit-def: $vgpr8
	s_branch .LBB150_2396
.LBB150_2392:
	s_mov_b32 s19, -1
                                        ; implicit-def: $vgpr8
.LBB150_2393:
	s_delay_alu instid0(SALU_CYCLE_1)
	s_and_not1_b32 vcc_lo, exec_lo, s19
	s_cbranch_vccnz .LBB150_2395
; %bb.2394:
	s_wait_loadcnt 0x0
	global_load_b32 v8, v[14:15], off
	s_wait_loadcnt 0x0
	v_cvt_f32_i32_e32 v8, v8
.LBB150_2395:
	s_mov_b32 s19, 0
.LBB150_2396:
	s_delay_alu instid0(SALU_CYCLE_1)
	s_and_not1_b32 vcc_lo, exec_lo, s19
	s_cbranch_vccnz .LBB150_2398
; %bb.2397:
	s_wait_loadcnt 0x0
	global_load_i16 v8, v[14:15], off
	s_wait_loadcnt 0x0
	v_cvt_f32_i32_e32 v8, v8
.LBB150_2398:
	s_mov_b32 s19, 0
.LBB150_2399:
	s_delay_alu instid0(SALU_CYCLE_1)
	s_and_not1_b32 vcc_lo, exec_lo, s19
	s_cbranch_vccnz .LBB150_2405
; %bb.2400:
	s_cmp_gt_i32 s5, 0
	s_mov_b32 s5, 0
	s_cbranch_scc0 .LBB150_2402
; %bb.2401:
	s_wait_loadcnt 0x0
	global_load_i8 v8, v[14:15], off
	s_wait_loadcnt 0x0
	v_cvt_f32_i32_e32 v8, v8
	s_branch .LBB150_2403
.LBB150_2402:
	s_mov_b32 s5, -1
                                        ; implicit-def: $vgpr8
.LBB150_2403:
	s_delay_alu instid0(SALU_CYCLE_1)
	s_and_not1_b32 vcc_lo, exec_lo, s5
	s_cbranch_vccnz .LBB150_2405
; %bb.2404:
	s_wait_loadcnt 0x0
	global_load_u8 v8, v[14:15], off
	s_wait_loadcnt 0x0
	v_cvt_f32_ubyte0_e32 v8, v8
.LBB150_2405:
	s_wait_loadcnt 0x0
	v_mov_b32_e32 v9, 0
.LBB150_2406:
	s_mov_b32 s21, -1
.LBB150_2407:
	s_delay_alu instid0(SALU_CYCLE_1)
	s_and_not1_b32 vcc_lo, exec_lo, s21
	s_cbranch_vccnz .LBB150_3270
; %bb.2408:
	s_wait_xcnt 0x0
	v_add_nc_u32_e32 v14, s4, v10
	s_cmp_lt_i32 s0, 11
	s_delay_alu instid0(VALU_DEP_1) | instskip(NEXT) | instid1(VALU_DEP_1)
	v_ashrrev_i32_e32 v15, 31, v14
	v_add_nc_u64_e32 v[16:17], s[10:11], v[14:15]
	s_cbranch_scc1 .LBB150_2415
; %bb.2409:
	s_cmp_gt_i32 s0, 25
	s_mov_b32 s19, 0
	s_cbranch_scc0 .LBB150_2416
; %bb.2410:
	s_cmp_gt_i32 s0, 28
	s_cbranch_scc0 .LBB150_2417
; %bb.2411:
	s_cmp_gt_i32 s0, 43
	;; [unrolled: 3-line block ×3, first 2 shown]
	s_cbranch_scc0 .LBB150_2419
; %bb.2413:
	s_cmp_eq_u32 s0, 46
	s_mov_b32 s21, 0
	s_cbranch_scc0 .LBB150_2420
; %bb.2414:
	global_load_b32 v10, v[16:17], off
	s_mov_b32 s5, 0
	s_mov_b32 s20, -1
	s_wait_loadcnt 0x0
	v_and_b32_e32 v11, 0xffff0000, v10
	v_lshlrev_b32_e32 v10, 16, v10
	s_branch .LBB150_2422
.LBB150_2415:
	s_mov_b32 s5, -1
	s_mov_b32 s20, 0
                                        ; implicit-def: $vgpr11
	s_branch .LBB150_2468
.LBB150_2416:
	s_mov_b32 s21, -1
	s_mov_b32 s20, 0
	s_mov_b32 s5, 0
                                        ; implicit-def: $vgpr11
	s_branch .LBB150_2453
.LBB150_2417:
	s_mov_b32 s21, -1
	s_mov_b32 s20, 0
	s_mov_b32 s5, 0
                                        ; implicit-def: $vgpr11
	s_branch .LBB150_2434
.LBB150_2418:
	s_mov_b32 s21, -1
	s_mov_b32 s20, 0
	s_mov_b32 s5, 0
                                        ; implicit-def: $vgpr11
	s_branch .LBB150_2428
.LBB150_2419:
	s_mov_b32 s21, -1
	s_mov_b32 s20, 0
	s_mov_b32 s5, 0
	s_branch .LBB150_2421
.LBB150_2420:
	s_mov_b32 s5, -1
	s_mov_b32 s20, 0
.LBB150_2421:
                                        ; implicit-def: $vgpr11
.LBB150_2422:
	s_and_b32 vcc_lo, exec_lo, s21
	s_cbranch_vccz .LBB150_2427
; %bb.2423:
	s_cmp_eq_u32 s0, 44
	s_cbranch_scc0 .LBB150_2425
; %bb.2424:
	global_load_u8 v10, v[16:17], off
	s_mov_b32 s5, 0
	s_mov_b32 s20, -1
	s_wait_loadcnt 0x0
	v_lshlrev_b32_e32 v11, 23, v10
	v_cmp_ne_u32_e32 vcc_lo, 0xff, v10
	s_delay_alu instid0(VALU_DEP_2) | instskip(SKIP_1) | instid1(VALU_DEP_2)
	v_cndmask_b32_e32 v11, 0x7f800001, v11, vcc_lo
	v_cmp_ne_u32_e32 vcc_lo, 0, v10
	v_cndmask_b32_e32 v10, 0x400000, v11, vcc_lo
	s_branch .LBB150_2426
.LBB150_2425:
	s_mov_b32 s5, -1
                                        ; implicit-def: $vgpr10
.LBB150_2426:
	v_mov_b32_e32 v11, 0
.LBB150_2427:
	s_mov_b32 s21, 0
.LBB150_2428:
	s_delay_alu instid0(SALU_CYCLE_1)
	s_and_b32 vcc_lo, exec_lo, s21
	s_cbranch_vccz .LBB150_2433
; %bb.2429:
	s_cmp_eq_u32 s0, 29
	s_cbranch_scc0 .LBB150_2431
; %bb.2430:
	global_load_b64 v[10:11], v[16:17], off
	s_mov_b32 s5, 0
	s_mov_b32 s20, -1
	s_wait_loadcnt 0x0
	v_clz_i32_u32_e32 v13, v11
	s_delay_alu instid0(VALU_DEP_1) | instskip(NEXT) | instid1(VALU_DEP_1)
	v_min_u32_e32 v13, 32, v13
	v_lshlrev_b64_e32 v[10:11], v13, v[10:11]
	s_delay_alu instid0(VALU_DEP_1) | instskip(NEXT) | instid1(VALU_DEP_1)
	v_min_u32_e32 v10, 1, v10
	v_dual_sub_nc_u32 v11, 32, v13 :: v_dual_bitop2_b32 v10, v11, v10 bitop3:0x54
	s_delay_alu instid0(VALU_DEP_1) | instskip(NEXT) | instid1(VALU_DEP_1)
	v_cvt_f32_u32_e32 v10, v10
	v_ldexp_f32 v10, v10, v11
	s_branch .LBB150_2432
.LBB150_2431:
	s_mov_b32 s5, -1
                                        ; implicit-def: $vgpr10
.LBB150_2432:
	v_mov_b32_e32 v11, 0
.LBB150_2433:
	s_mov_b32 s21, 0
.LBB150_2434:
	s_delay_alu instid0(SALU_CYCLE_1)
	s_and_b32 vcc_lo, exec_lo, s21
	s_cbranch_vccz .LBB150_2452
; %bb.2435:
	s_cmp_lt_i32 s0, 27
	s_cbranch_scc1 .LBB150_2438
; %bb.2436:
	s_cmp_gt_i32 s0, 27
	s_cbranch_scc0 .LBB150_2439
; %bb.2437:
	global_load_b32 v10, v[16:17], off
	s_mov_b32 s20, 0
	s_wait_loadcnt 0x0
	v_cvt_f32_u32_e32 v10, v10
	s_branch .LBB150_2440
.LBB150_2438:
	s_mov_b32 s20, -1
                                        ; implicit-def: $vgpr10
	s_branch .LBB150_2443
.LBB150_2439:
	s_mov_b32 s20, -1
                                        ; implicit-def: $vgpr10
.LBB150_2440:
	s_delay_alu instid0(SALU_CYCLE_1)
	s_and_not1_b32 vcc_lo, exec_lo, s20
	s_cbranch_vccnz .LBB150_2442
; %bb.2441:
	global_load_u16 v10, v[16:17], off
	s_wait_loadcnt 0x0
	v_cvt_f32_u32_e32 v10, v10
.LBB150_2442:
	s_mov_b32 s20, 0
.LBB150_2443:
	s_delay_alu instid0(SALU_CYCLE_1)
	s_and_not1_b32 vcc_lo, exec_lo, s20
	s_cbranch_vccnz .LBB150_2451
; %bb.2444:
	global_load_u8 v11, v[16:17], off
	s_mov_b32 s20, 0
	s_mov_b32 s21, exec_lo
	s_wait_loadcnt 0x0
	v_cmpx_lt_i16_e32 0x7f, v11
	s_xor_b32 s21, exec_lo, s21
	s_cbranch_execz .LBB150_2477
; %bb.2445:
	s_mov_b32 s20, -1
	s_mov_b32 s22, exec_lo
	v_cmpx_eq_u16_e32 0x80, v11
; %bb.2446:
	s_xor_b32 s20, exec_lo, -1
; %bb.2447:
	s_or_b32 exec_lo, exec_lo, s22
	s_delay_alu instid0(SALU_CYCLE_1)
	s_and_b32 s20, s20, exec_lo
	s_or_saveexec_b32 s21, s21
	v_mov_b32_e32 v10, 0x7f800001
	s_xor_b32 exec_lo, exec_lo, s21
	s_cbranch_execnz .LBB150_2478
.LBB150_2448:
	s_or_b32 exec_lo, exec_lo, s21
	s_and_saveexec_b32 s21, s20
	s_cbranch_execz .LBB150_2450
.LBB150_2449:
	v_and_b32_e32 v10, 0xffff, v11
	s_delay_alu instid0(VALU_DEP_1) | instskip(SKIP_1) | instid1(VALU_DEP_2)
	v_and_b32_e32 v13, 7, v10
	v_bfe_u32 v20, v10, 3, 4
	v_clz_i32_u32_e32 v15, v13
	s_delay_alu instid0(VALU_DEP_2) | instskip(NEXT) | instid1(VALU_DEP_2)
	v_cmp_eq_u32_e32 vcc_lo, 0, v20
	v_min_u32_e32 v15, 32, v15
	s_delay_alu instid0(VALU_DEP_1) | instskip(NEXT) | instid1(VALU_DEP_1)
	v_subrev_nc_u32_e32 v19, 28, v15
	v_dual_lshlrev_b32 v10, v19, v10 :: v_dual_sub_nc_u32 v15, 29, v15
	s_delay_alu instid0(VALU_DEP_1) | instskip(NEXT) | instid1(VALU_DEP_1)
	v_dual_lshlrev_b32 v11, 24, v11 :: v_dual_bitop2_b32 v10, 7, v10 bitop3:0x40
	v_dual_cndmask_b32 v10, v13, v10 :: v_dual_cndmask_b32 v15, v20, v15
	s_delay_alu instid0(VALU_DEP_2) | instskip(NEXT) | instid1(VALU_DEP_2)
	v_and_b32_e32 v11, 0x80000000, v11
	v_lshlrev_b32_e32 v10, 20, v10
	s_delay_alu instid0(VALU_DEP_3) | instskip(NEXT) | instid1(VALU_DEP_1)
	v_lshl_add_u32 v13, v15, 23, 0x3b800000
	v_or3_b32 v10, v11, v13, v10
.LBB150_2450:
	s_or_b32 exec_lo, exec_lo, s21
.LBB150_2451:
	v_mov_b32_e32 v11, 0
	s_mov_b32 s20, -1
.LBB150_2452:
	s_mov_b32 s21, 0
.LBB150_2453:
	s_delay_alu instid0(SALU_CYCLE_1)
	s_and_b32 vcc_lo, exec_lo, s21
	s_cbranch_vccz .LBB150_2464
; %bb.2454:
	s_cmp_gt_i32 s0, 22
	s_cbranch_scc0 .LBB150_2475
; %bb.2455:
	s_cmp_lt_i32 s0, 24
	s_cbranch_scc1 .LBB150_2479
; %bb.2456:
	s_cmp_gt_i32 s0, 24
	s_cbranch_scc0 .LBB150_2481
; %bb.2457:
	global_load_u8 v11, v[16:17], off
	s_mov_b32 s20, exec_lo
	s_wait_loadcnt 0x0
	v_cmpx_lt_i16_e32 0x7f, v11
	s_xor_b32 s20, exec_lo, s20
	s_cbranch_execz .LBB150_2493
; %bb.2458:
	s_mov_b32 s19, -1
	s_mov_b32 s21, exec_lo
	v_cmpx_eq_u16_e32 0x80, v11
; %bb.2459:
	s_xor_b32 s19, exec_lo, -1
; %bb.2460:
	s_or_b32 exec_lo, exec_lo, s21
	s_delay_alu instid0(SALU_CYCLE_1)
	s_and_b32 s19, s19, exec_lo
	s_or_saveexec_b32 s20, s20
	v_mov_b32_e32 v10, 0x7f800001
	s_xor_b32 exec_lo, exec_lo, s20
	s_cbranch_execnz .LBB150_2494
.LBB150_2461:
	s_or_b32 exec_lo, exec_lo, s20
	s_and_saveexec_b32 s20, s19
	s_cbranch_execz .LBB150_2463
.LBB150_2462:
	v_and_b32_e32 v10, 0xffff, v11
	s_delay_alu instid0(VALU_DEP_1) | instskip(SKIP_1) | instid1(VALU_DEP_2)
	v_and_b32_e32 v13, 3, v10
	v_bfe_u32 v20, v10, 2, 5
	v_clz_i32_u32_e32 v15, v13
	s_delay_alu instid0(VALU_DEP_2) | instskip(NEXT) | instid1(VALU_DEP_2)
	v_cmp_eq_u32_e32 vcc_lo, 0, v20
	v_min_u32_e32 v15, 32, v15
	s_delay_alu instid0(VALU_DEP_1) | instskip(NEXT) | instid1(VALU_DEP_1)
	v_subrev_nc_u32_e32 v19, 29, v15
	v_dual_lshlrev_b32 v10, v19, v10 :: v_dual_sub_nc_u32 v15, 30, v15
	s_delay_alu instid0(VALU_DEP_1) | instskip(NEXT) | instid1(VALU_DEP_1)
	v_dual_lshlrev_b32 v11, 24, v11 :: v_dual_bitop2_b32 v10, 3, v10 bitop3:0x40
	v_dual_cndmask_b32 v10, v13, v10 :: v_dual_cndmask_b32 v15, v20, v15
	s_delay_alu instid0(VALU_DEP_2) | instskip(NEXT) | instid1(VALU_DEP_2)
	v_and_b32_e32 v11, 0x80000000, v11
	v_lshlrev_b32_e32 v10, 21, v10
	s_delay_alu instid0(VALU_DEP_3) | instskip(NEXT) | instid1(VALU_DEP_1)
	v_lshl_add_u32 v13, v15, 23, 0x37800000
	v_or3_b32 v10, v11, v13, v10
.LBB150_2463:
	s_or_b32 exec_lo, exec_lo, s20
	s_mov_b32 s19, 0
	s_branch .LBB150_2482
.LBB150_2464:
	s_and_b32 vcc_lo, exec_lo, s5
	s_cbranch_vccnz .LBB150_2512
.LBB150_2465:
	s_and_not1_b32 vcc_lo, exec_lo, s19
	s_cbranch_vccnz .LBB150_2467
.LBB150_2466:
	global_load_u8 v10, v[16:17], off
	v_mov_b32_e32 v11, 0
	s_mov_b32 s20, -1
	s_wait_loadcnt 0x0
	v_cmp_ne_u16_e32 vcc_lo, 0, v10
	v_cndmask_b32_e64 v10, 0, 1.0, vcc_lo
.LBB150_2467:
	s_mov_b32 s5, 0
.LBB150_2468:
	s_delay_alu instid0(SALU_CYCLE_1)
	s_and_b32 vcc_lo, exec_lo, s5
	s_cbranch_vccz .LBB150_2543
; %bb.2469:
	s_cmp_lt_i32 s0, 5
	s_cbranch_scc1 .LBB150_2474
; %bb.2470:
	s_cmp_lt_i32 s0, 8
	s_cbranch_scc1 .LBB150_2476
	;; [unrolled: 3-line block ×3, first 2 shown]
; %bb.2472:
	s_cmp_gt_i32 s0, 9
	s_cbranch_scc0 .LBB150_2495
; %bb.2473:
	global_load_b128 v[20:23], v[16:17], off
	s_mov_b32 s5, 0
	s_wait_loadcnt 0x0
	v_cvt_f32_f64_e32 v10, v[20:21]
	v_cvt_f32_f64_e32 v11, v[22:23]
	s_branch .LBB150_2496
.LBB150_2474:
	s_mov_b32 s5, -1
                                        ; implicit-def: $vgpr11
	s_branch .LBB150_2521
.LBB150_2475:
	s_mov_b32 s19, -1
                                        ; implicit-def: $vgpr10
	s_branch .LBB150_2488
.LBB150_2476:
	s_mov_b32 s5, -1
                                        ; implicit-def: $vgpr11
	s_branch .LBB150_2502
.LBB150_2477:
	s_or_saveexec_b32 s21, s21
	v_mov_b32_e32 v10, 0x7f800001
	s_xor_b32 exec_lo, exec_lo, s21
	s_cbranch_execz .LBB150_2448
.LBB150_2478:
	v_cmp_ne_u16_e32 vcc_lo, 0, v11
	v_mov_b32_e32 v10, 0
	s_and_not1_b32 s20, s20, exec_lo
	s_and_b32 s22, vcc_lo, exec_lo
	s_delay_alu instid0(SALU_CYCLE_1)
	s_or_b32 s20, s20, s22
	s_or_b32 exec_lo, exec_lo, s21
	s_and_saveexec_b32 s21, s20
	s_cbranch_execnz .LBB150_2449
	s_branch .LBB150_2450
.LBB150_2479:
	s_mov_b32 s19, -1
                                        ; implicit-def: $vgpr10
	s_branch .LBB150_2485
.LBB150_2480:
	s_mov_b32 s5, -1
                                        ; implicit-def: $vgpr11
	s_branch .LBB150_2499
.LBB150_2481:
	s_mov_b32 s19, -1
                                        ; implicit-def: $vgpr10
.LBB150_2482:
	s_delay_alu instid0(SALU_CYCLE_1)
	s_and_b32 vcc_lo, exec_lo, s19
	s_cbranch_vccz .LBB150_2484
; %bb.2483:
	global_load_u8 v10, v[16:17], off
	s_wait_loadcnt 0x0
	v_lshlrev_b32_e32 v10, 24, v10
	s_delay_alu instid0(VALU_DEP_1) | instskip(NEXT) | instid1(VALU_DEP_1)
	v_and_b32_e32 v11, 0x7f000000, v10
	v_clz_i32_u32_e32 v13, v11
	v_add_nc_u32_e32 v19, 0x1000000, v11
	v_cmp_ne_u32_e32 vcc_lo, 0, v11
	s_delay_alu instid0(VALU_DEP_3) | instskip(NEXT) | instid1(VALU_DEP_1)
	v_min_u32_e32 v13, 32, v13
	v_sub_nc_u32_e64 v13, v13, 4 clamp
	s_delay_alu instid0(VALU_DEP_1) | instskip(NEXT) | instid1(VALU_DEP_1)
	v_dual_lshlrev_b32 v15, v13, v11 :: v_dual_lshlrev_b32 v13, 23, v13
	v_lshrrev_b32_e32 v15, 4, v15
	s_delay_alu instid0(VALU_DEP_1) | instskip(NEXT) | instid1(VALU_DEP_1)
	v_dual_sub_nc_u32 v13, v15, v13 :: v_dual_ashrrev_i32 v15, 8, v19
	v_add_nc_u32_e32 v13, 0x3c000000, v13
	s_delay_alu instid0(VALU_DEP_1) | instskip(NEXT) | instid1(VALU_DEP_1)
	v_and_or_b32 v13, 0x7f800000, v15, v13
	v_cndmask_b32_e32 v11, 0, v13, vcc_lo
	s_delay_alu instid0(VALU_DEP_1)
	v_and_or_b32 v10, 0x80000000, v10, v11
.LBB150_2484:
	s_mov_b32 s19, 0
.LBB150_2485:
	s_delay_alu instid0(SALU_CYCLE_1)
	s_and_not1_b32 vcc_lo, exec_lo, s19
	s_cbranch_vccnz .LBB150_2487
; %bb.2486:
	global_load_u8 v10, v[16:17], off
	s_wait_loadcnt 0x0
	v_lshlrev_b32_e32 v11, 25, v10
	v_lshlrev_b16 v10, 8, v10
	s_delay_alu instid0(VALU_DEP_1) | instskip(SKIP_1) | instid1(VALU_DEP_2)
	v_and_or_b32 v15, 0x7f00, v10, 0.5
	v_bfe_i32 v10, v10, 0, 16
	v_add_f32_e32 v15, -0.5, v15
	v_lshrrev_b32_e32 v13, 4, v11
	v_cmp_gt_u32_e32 vcc_lo, 0x8000000, v11
	s_delay_alu instid0(VALU_DEP_2) | instskip(NEXT) | instid1(VALU_DEP_1)
	v_or_b32_e32 v13, 0x70000000, v13
	v_mul_f32_e32 v13, 0x7800000, v13
	s_delay_alu instid0(VALU_DEP_1) | instskip(NEXT) | instid1(VALU_DEP_1)
	v_cndmask_b32_e32 v11, v13, v15, vcc_lo
	v_and_or_b32 v10, 0x80000000, v10, v11
.LBB150_2487:
	s_mov_b32 s19, 0
	s_mov_b32 s20, -1
.LBB150_2488:
	s_and_not1_b32 vcc_lo, exec_lo, s19
	s_mov_b32 s19, 0
	s_cbranch_vccnz .LBB150_2511
; %bb.2489:
	s_cmp_gt_i32 s0, 14
	s_cbranch_scc0 .LBB150_2492
; %bb.2490:
	s_cmp_eq_u32 s0, 15
	s_cbranch_scc0 .LBB150_2507
; %bb.2491:
	global_load_u16 v10, v[16:17], off
	s_mov_b32 s5, 0
	s_mov_b32 s20, -1
	s_wait_loadcnt 0x0
	v_lshlrev_b32_e32 v10, 16, v10
	s_branch .LBB150_2509
.LBB150_2492:
	s_mov_b32 s19, -1
	s_branch .LBB150_2508
.LBB150_2493:
	s_or_saveexec_b32 s20, s20
	v_mov_b32_e32 v10, 0x7f800001
	s_xor_b32 exec_lo, exec_lo, s20
	s_cbranch_execz .LBB150_2461
.LBB150_2494:
	v_cmp_ne_u16_e32 vcc_lo, 0, v11
	v_mov_b32_e32 v10, 0
	s_and_not1_b32 s19, s19, exec_lo
	s_and_b32 s21, vcc_lo, exec_lo
	s_delay_alu instid0(SALU_CYCLE_1)
	s_or_b32 s19, s19, s21
	s_or_b32 exec_lo, exec_lo, s20
	s_and_saveexec_b32 s20, s19
	s_cbranch_execnz .LBB150_2462
	s_branch .LBB150_2463
.LBB150_2495:
	s_mov_b32 s5, -1
                                        ; implicit-def: $vgpr11
.LBB150_2496:
	s_delay_alu instid0(SALU_CYCLE_1)
	s_and_not1_b32 vcc_lo, exec_lo, s5
	s_cbranch_vccnz .LBB150_2498
; %bb.2497:
	global_load_b64 v[10:11], v[16:17], off
.LBB150_2498:
	s_mov_b32 s5, 0
.LBB150_2499:
	s_delay_alu instid0(SALU_CYCLE_1)
	s_and_not1_b32 vcc_lo, exec_lo, s5
	s_cbranch_vccnz .LBB150_2501
; %bb.2500:
	s_wait_loadcnt 0x0
	global_load_b32 v10, v[16:17], off
	s_wait_loadcnt 0x0
	v_lshrrev_b32_e32 v11, 16, v10
	v_cvt_f32_f16_e32 v10, v10
	s_delay_alu instid0(VALU_DEP_2)
	v_cvt_f32_f16_e32 v11, v11
.LBB150_2501:
	s_mov_b32 s5, 0
.LBB150_2502:
	s_delay_alu instid0(SALU_CYCLE_1)
	s_and_not1_b32 vcc_lo, exec_lo, s5
	s_cbranch_vccnz .LBB150_2520
; %bb.2503:
	s_cmp_lt_i32 s0, 6
	s_cbranch_scc1 .LBB150_2506
; %bb.2504:
	s_cmp_gt_i32 s0, 6
	s_cbranch_scc0 .LBB150_2513
; %bb.2505:
	s_wait_loadcnt 0x0
	global_load_b64 v[10:11], v[16:17], off
	s_mov_b32 s5, 0
	s_wait_loadcnt 0x0
	v_cvt_f32_f64_e32 v10, v[10:11]
	s_branch .LBB150_2514
.LBB150_2506:
	s_mov_b32 s5, -1
                                        ; implicit-def: $vgpr10
	s_branch .LBB150_2517
.LBB150_2507:
	s_mov_b32 s5, -1
.LBB150_2508:
                                        ; implicit-def: $vgpr10
.LBB150_2509:
	s_and_b32 vcc_lo, exec_lo, s19
	s_mov_b32 s19, 0
	s_cbranch_vccz .LBB150_2511
; %bb.2510:
	s_cmp_lg_u32 s0, 11
	s_mov_b32 s19, -1
	s_cselect_b32 s5, -1, 0
.LBB150_2511:
	v_mov_b32_e32 v11, 0
	s_and_b32 vcc_lo, exec_lo, s5
	s_cbranch_vccz .LBB150_2465
.LBB150_2512:
	s_or_b32 s17, s17, exec_lo
	s_trap 2
	s_cbranch_execz .LBB150_2466
	s_branch .LBB150_2467
.LBB150_2513:
	s_mov_b32 s5, -1
                                        ; implicit-def: $vgpr10
.LBB150_2514:
	s_delay_alu instid0(SALU_CYCLE_1)
	s_and_not1_b32 vcc_lo, exec_lo, s5
	s_cbranch_vccnz .LBB150_2516
; %bb.2515:
	s_wait_loadcnt 0x0
	global_load_b32 v10, v[16:17], off
.LBB150_2516:
	s_mov_b32 s5, 0
.LBB150_2517:
	s_delay_alu instid0(SALU_CYCLE_1)
	s_and_not1_b32 vcc_lo, exec_lo, s5
	s_cbranch_vccnz .LBB150_2519
; %bb.2518:
	s_wait_loadcnt 0x0
	global_load_u16 v10, v[16:17], off
	s_wait_loadcnt 0x0
	v_cvt_f32_f16_e32 v10, v10
.LBB150_2519:
	s_wait_loadcnt 0x0
	v_mov_b32_e32 v11, 0
.LBB150_2520:
	s_mov_b32 s5, 0
.LBB150_2521:
	s_delay_alu instid0(SALU_CYCLE_1)
	s_and_not1_b32 vcc_lo, exec_lo, s5
	s_cbranch_vccnz .LBB150_2542
; %bb.2522:
	s_cmp_lt_i32 s0, 2
	s_cbranch_scc1 .LBB150_2526
; %bb.2523:
	s_cmp_lt_i32 s0, 3
	s_cbranch_scc1 .LBB150_2527
; %bb.2524:
	s_cmp_gt_i32 s0, 3
	s_cbranch_scc0 .LBB150_2528
; %bb.2525:
	s_wait_loadcnt 0x0
	global_load_b64 v[10:11], v[16:17], off
	s_mov_b32 s5, 0
	s_wait_loadcnt 0x0
	v_xor_b32_e32 v13, v10, v11
	v_cls_i32_e32 v15, v11
	s_delay_alu instid0(VALU_DEP_2) | instskip(NEXT) | instid1(VALU_DEP_1)
	v_ashrrev_i32_e32 v13, 31, v13
	v_add_nc_u32_e32 v13, 32, v13
	s_delay_alu instid0(VALU_DEP_1) | instskip(NEXT) | instid1(VALU_DEP_1)
	v_add_min_u32_e64 v13, v15, -1, v13
	v_lshlrev_b64_e32 v[10:11], v13, v[10:11]
	s_delay_alu instid0(VALU_DEP_1) | instskip(NEXT) | instid1(VALU_DEP_1)
	v_min_u32_e32 v10, 1, v10
	v_dual_sub_nc_u32 v11, 32, v13 :: v_dual_bitop2_b32 v10, v11, v10 bitop3:0x54
	s_delay_alu instid0(VALU_DEP_1) | instskip(NEXT) | instid1(VALU_DEP_1)
	v_cvt_f32_i32_e32 v10, v10
	v_ldexp_f32 v10, v10, v11
	s_branch .LBB150_2529
.LBB150_2526:
	s_mov_b32 s5, -1
                                        ; implicit-def: $vgpr10
	s_branch .LBB150_2535
.LBB150_2527:
	s_mov_b32 s5, -1
                                        ; implicit-def: $vgpr10
	s_branch .LBB150_2532
.LBB150_2528:
	s_mov_b32 s5, -1
                                        ; implicit-def: $vgpr10
.LBB150_2529:
	s_delay_alu instid0(SALU_CYCLE_1)
	s_and_not1_b32 vcc_lo, exec_lo, s5
	s_cbranch_vccnz .LBB150_2531
; %bb.2530:
	s_wait_loadcnt 0x0
	global_load_b32 v10, v[16:17], off
	s_wait_loadcnt 0x0
	v_cvt_f32_i32_e32 v10, v10
.LBB150_2531:
	s_mov_b32 s5, 0
.LBB150_2532:
	s_delay_alu instid0(SALU_CYCLE_1)
	s_and_not1_b32 vcc_lo, exec_lo, s5
	s_cbranch_vccnz .LBB150_2534
; %bb.2533:
	s_wait_loadcnt 0x0
	global_load_i16 v10, v[16:17], off
	s_wait_loadcnt 0x0
	v_cvt_f32_i32_e32 v10, v10
.LBB150_2534:
	s_mov_b32 s5, 0
.LBB150_2535:
	s_delay_alu instid0(SALU_CYCLE_1)
	s_and_not1_b32 vcc_lo, exec_lo, s5
	s_cbranch_vccnz .LBB150_2541
; %bb.2536:
	s_cmp_gt_i32 s0, 0
	s_mov_b32 s5, 0
	s_cbranch_scc0 .LBB150_2538
; %bb.2537:
	s_wait_loadcnt 0x0
	global_load_i8 v10, v[16:17], off
	s_wait_loadcnt 0x0
	v_cvt_f32_i32_e32 v10, v10
	s_branch .LBB150_2539
.LBB150_2538:
	s_mov_b32 s5, -1
                                        ; implicit-def: $vgpr10
.LBB150_2539:
	s_delay_alu instid0(SALU_CYCLE_1)
	s_and_not1_b32 vcc_lo, exec_lo, s5
	s_cbranch_vccnz .LBB150_2541
; %bb.2540:
	s_wait_loadcnt 0x0
	global_load_u8 v10, v[16:17], off
	s_wait_loadcnt 0x0
	v_cvt_f32_ubyte0_e32 v10, v10
.LBB150_2541:
	s_wait_loadcnt 0x0
	v_mov_b32_e32 v11, 0
.LBB150_2542:
	s_mov_b32 s20, -1
.LBB150_2543:
	s_delay_alu instid0(SALU_CYCLE_1)
	s_and_not1_b32 vcc_lo, exec_lo, s20
	s_cbranch_vccnz .LBB150_3270
; %bb.2544:
	s_cmp_lt_i32 s18, 23
	s_cbranch_scc1 .LBB150_2548
; %bb.2545:
	s_and_b32 s20, 0xffff, s18
	s_delay_alu instid0(SALU_CYCLE_1)
	s_cmp_gt_i32 s20, 43
	s_cbranch_scc0 .LBB150_2549
; %bb.2546:
	s_cmp_gt_i32 s20, 45
	s_cbranch_scc0 .LBB150_2550
; %bb.2547:
	s_cmp_lg_u32 s20, 46
	s_mov_b32 s21, 0
	s_mov_b32 s5, -1
	s_cselect_b32 s19, -1, 0
	s_branch .LBB150_2551
.LBB150_2548:
	s_mov_b32 s20, -1
	s_mov_b32 s5, 0
	s_mov_b32 s19, 0
	s_branch .LBB150_2557
.LBB150_2549:
	s_mov_b32 s21, -1
	s_mov_b32 s5, 0
	s_mov_b32 s19, 0
	s_branch .LBB150_2554
.LBB150_2550:
	s_mov_b32 s21, -1
	s_mov_b32 s5, 0
	s_mov_b32 s19, 0
.LBB150_2551:
	s_and_not1_b32 vcc_lo, exec_lo, s21
	s_cbranch_vccnz .LBB150_2553
; %bb.2552:
	s_cmp_eq_u32 s20, 44
	s_cselect_b32 s5, -1, 0
	s_cmp_lg_u32 s20, 44
	s_cselect_b32 s19, -1, 0
.LBB150_2553:
	s_mov_b32 s21, 0
.LBB150_2554:
	s_delay_alu instid0(SALU_CYCLE_1)
	s_and_b32 vcc_lo, exec_lo, s21
	s_cbranch_vccz .LBB150_2556
; %bb.2555:
	s_cmp_lt_i32 s20, 30
	s_cselect_b32 s5, -1, 0
	s_cmp_gt_i32 s20, 29
	s_cselect_b32 s19, -1, 0
.LBB150_2556:
	s_mov_b32 s20, 0
.LBB150_2557:
	s_delay_alu instid0(SALU_CYCLE_1)
	s_and_b32 vcc_lo, exec_lo, s20
	s_cbranch_vccz .LBB150_2562
; %bb.2558:
	s_and_b32 s18, 0xffff, s18
	s_mov_b32 s20, -1
	s_cmp_gt_i32 s18, 14
	s_cbranch_scc0 .LBB150_2560
; %bb.2559:
	s_cmp_eq_u32 s18, 15
	s_mov_b32 s20, 0
	s_cselect_b32 s5, -1, 0
	s_cmp_lg_u32 s18, 15
	s_cselect_b32 s19, -1, 0
.LBB150_2560:
	s_and_not1_b32 vcc_lo, exec_lo, s20
	s_cbranch_vccnz .LBB150_2562
; %bb.2561:
	s_cmp_lt_i32 s18, 12
	s_cselect_b32 s5, -1, 0
	s_cmp_gt_i32 s18, 11
	s_cselect_b32 s19, -1, 0
.LBB150_2562:
	s_delay_alu instid0(SALU_CYCLE_1)
	s_and_b32 vcc_lo, exec_lo, s19
	s_cbranch_vccnz .LBB150_2574
; %bb.2563:
	s_and_not1_b32 vcc_lo, exec_lo, s5
	s_cbranch_vccnz .LBB150_3270
.LBB150_2564:
	v_add_nc_u32_e32 v12, s1, v12
	s_cmp_lt_i32 s16, 11
	s_delay_alu instid0(VALU_DEP_1) | instskip(SKIP_1) | instid1(VALU_DEP_1)
	v_ashrrev_i32_e32 v13, 31, v12
	s_wait_xcnt 0x0
	v_add_nc_u64_e32 v[16:17], s[8:9], v[12:13]
	s_cbranch_scc1 .LBB150_2571
; %bb.2565:
	s_and_b32 s1, 0xffff, s16
	s_mov_b32 s8, 0
	s_cmp_gt_i32 s1, 25
	s_cbranch_scc0 .LBB150_2572
; %bb.2566:
	s_cmp_gt_i32 s1, 28
	s_cbranch_scc0 .LBB150_2573
; %bb.2567:
	;; [unrolled: 3-line block ×4, first 2 shown]
	s_cmp_eq_u32 s1, 46
	s_mov_b32 s18, 0
	s_cbranch_scc0 .LBB150_2577
; %bb.2570:
	global_load_b32 v12, v[16:17], off
	s_mov_b32 s5, 0
	s_mov_b32 s9, -1
	s_wait_loadcnt 0x0
	v_and_b32_e32 v13, 0xffff0000, v12
	v_lshlrev_b32_e32 v12, 16, v12
	s_branch .LBB150_2579
.LBB150_2571:
	s_mov_b32 s1, -1
	s_mov_b32 s9, 0
                                        ; implicit-def: $vgpr13
	s_branch .LBB150_2625
.LBB150_2572:
	s_mov_b32 s18, -1
	s_mov_b32 s9, 0
	s_mov_b32 s5, 0
                                        ; implicit-def: $vgpr13
	s_branch .LBB150_2610
.LBB150_2573:
	s_mov_b32 s18, -1
	s_mov_b32 s9, 0
	s_mov_b32 s5, 0
                                        ; implicit-def: $vgpr13
	s_branch .LBB150_2591
.LBB150_2574:
	s_or_b32 s17, s17, exec_lo
	s_trap 2
	s_cbranch_execz .LBB150_2564
	s_branch .LBB150_3270
.LBB150_2575:
	s_mov_b32 s18, -1
	s_mov_b32 s9, 0
	s_mov_b32 s5, 0
                                        ; implicit-def: $vgpr13
	s_branch .LBB150_2585
.LBB150_2576:
	s_mov_b32 s18, -1
	s_mov_b32 s9, 0
	s_mov_b32 s5, 0
	s_branch .LBB150_2578
.LBB150_2577:
	s_mov_b32 s5, -1
	s_mov_b32 s9, 0
.LBB150_2578:
                                        ; implicit-def: $vgpr13
.LBB150_2579:
	s_and_b32 vcc_lo, exec_lo, s18
	s_cbranch_vccz .LBB150_2584
; %bb.2580:
	s_cmp_eq_u32 s1, 44
	s_cbranch_scc0 .LBB150_2582
; %bb.2581:
	global_load_u8 v12, v[16:17], off
	s_mov_b32 s5, 0
	s_mov_b32 s9, -1
	s_wait_loadcnt 0x0
	v_lshlrev_b32_e32 v13, 23, v12
	v_cmp_ne_u32_e32 vcc_lo, 0xff, v12
	s_delay_alu instid0(VALU_DEP_2) | instskip(SKIP_1) | instid1(VALU_DEP_2)
	v_cndmask_b32_e32 v13, 0x7f800001, v13, vcc_lo
	v_cmp_ne_u32_e32 vcc_lo, 0, v12
	v_cndmask_b32_e32 v12, 0x400000, v13, vcc_lo
	s_branch .LBB150_2583
.LBB150_2582:
	s_mov_b32 s5, -1
                                        ; implicit-def: $vgpr12
.LBB150_2583:
	v_mov_b32_e32 v13, 0
.LBB150_2584:
	s_mov_b32 s18, 0
.LBB150_2585:
	s_delay_alu instid0(SALU_CYCLE_1)
	s_and_b32 vcc_lo, exec_lo, s18
	s_cbranch_vccz .LBB150_2590
; %bb.2586:
	s_cmp_eq_u32 s1, 29
	s_cbranch_scc0 .LBB150_2588
; %bb.2587:
	global_load_b64 v[12:13], v[16:17], off
	s_mov_b32 s5, 0
	s_mov_b32 s9, -1
	s_wait_loadcnt 0x0
	v_clz_i32_u32_e32 v15, v13
	s_delay_alu instid0(VALU_DEP_1) | instskip(NEXT) | instid1(VALU_DEP_1)
	v_min_u32_e32 v15, 32, v15
	v_lshlrev_b64_e32 v[12:13], v15, v[12:13]
	s_delay_alu instid0(VALU_DEP_1) | instskip(NEXT) | instid1(VALU_DEP_1)
	v_min_u32_e32 v12, 1, v12
	v_dual_sub_nc_u32 v13, 32, v15 :: v_dual_bitop2_b32 v12, v13, v12 bitop3:0x54
	s_delay_alu instid0(VALU_DEP_1) | instskip(NEXT) | instid1(VALU_DEP_1)
	v_cvt_f32_u32_e32 v12, v12
	v_ldexp_f32 v12, v12, v13
	s_branch .LBB150_2589
.LBB150_2588:
	s_mov_b32 s5, -1
                                        ; implicit-def: $vgpr12
.LBB150_2589:
	v_mov_b32_e32 v13, 0
.LBB150_2590:
	s_mov_b32 s18, 0
.LBB150_2591:
	s_delay_alu instid0(SALU_CYCLE_1)
	s_and_b32 vcc_lo, exec_lo, s18
	s_cbranch_vccz .LBB150_2609
; %bb.2592:
	s_cmp_lt_i32 s1, 27
	s_cbranch_scc1 .LBB150_2595
; %bb.2593:
	s_cmp_gt_i32 s1, 27
	s_cbranch_scc0 .LBB150_2596
; %bb.2594:
	global_load_b32 v12, v[16:17], off
	s_mov_b32 s9, 0
	s_wait_loadcnt 0x0
	v_cvt_f32_u32_e32 v12, v12
	s_branch .LBB150_2597
.LBB150_2595:
	s_mov_b32 s9, -1
                                        ; implicit-def: $vgpr12
	s_branch .LBB150_2600
.LBB150_2596:
	s_mov_b32 s9, -1
                                        ; implicit-def: $vgpr12
.LBB150_2597:
	s_delay_alu instid0(SALU_CYCLE_1)
	s_and_not1_b32 vcc_lo, exec_lo, s9
	s_cbranch_vccnz .LBB150_2599
; %bb.2598:
	global_load_u16 v12, v[16:17], off
	s_wait_loadcnt 0x0
	v_cvt_f32_u32_e32 v12, v12
.LBB150_2599:
	s_mov_b32 s9, 0
.LBB150_2600:
	s_delay_alu instid0(SALU_CYCLE_1)
	s_and_not1_b32 vcc_lo, exec_lo, s9
	s_cbranch_vccnz .LBB150_2608
; %bb.2601:
	global_load_u8 v13, v[16:17], off
	s_mov_b32 s9, 0
	s_mov_b32 s18, exec_lo
	s_wait_loadcnt 0x0
	v_cmpx_lt_i16_e32 0x7f, v13
	s_xor_b32 s18, exec_lo, s18
	s_cbranch_execz .LBB150_2634
; %bb.2602:
	s_mov_b32 s9, -1
	s_mov_b32 s19, exec_lo
	v_cmpx_eq_u16_e32 0x80, v13
; %bb.2603:
	s_xor_b32 s9, exec_lo, -1
; %bb.2604:
	s_or_b32 exec_lo, exec_lo, s19
	s_delay_alu instid0(SALU_CYCLE_1)
	s_and_b32 s9, s9, exec_lo
	s_or_saveexec_b32 s18, s18
	v_mov_b32_e32 v12, 0x7f800001
	s_xor_b32 exec_lo, exec_lo, s18
	s_cbranch_execnz .LBB150_2635
.LBB150_2605:
	s_or_b32 exec_lo, exec_lo, s18
	s_and_saveexec_b32 s18, s9
	s_cbranch_execz .LBB150_2607
.LBB150_2606:
	v_and_b32_e32 v12, 0xffff, v13
	s_delay_alu instid0(VALU_DEP_1) | instskip(SKIP_1) | instid1(VALU_DEP_2)
	v_and_b32_e32 v15, 7, v12
	v_bfe_u32 v21, v12, 3, 4
	v_clz_i32_u32_e32 v19, v15
	s_delay_alu instid0(VALU_DEP_2) | instskip(NEXT) | instid1(VALU_DEP_2)
	v_cmp_eq_u32_e32 vcc_lo, 0, v21
	v_min_u32_e32 v19, 32, v19
	s_delay_alu instid0(VALU_DEP_1) | instskip(NEXT) | instid1(VALU_DEP_1)
	v_subrev_nc_u32_e32 v20, 28, v19
	v_dual_lshlrev_b32 v12, v20, v12 :: v_dual_sub_nc_u32 v19, 29, v19
	s_delay_alu instid0(VALU_DEP_1) | instskip(NEXT) | instid1(VALU_DEP_1)
	v_dual_lshlrev_b32 v13, 24, v13 :: v_dual_bitop2_b32 v12, 7, v12 bitop3:0x40
	v_dual_cndmask_b32 v19, v21, v19 :: v_dual_cndmask_b32 v12, v15, v12
	s_delay_alu instid0(VALU_DEP_2) | instskip(NEXT) | instid1(VALU_DEP_2)
	v_and_b32_e32 v13, 0x80000000, v13
	v_lshl_add_u32 v15, v19, 23, 0x3b800000
	s_delay_alu instid0(VALU_DEP_3) | instskip(NEXT) | instid1(VALU_DEP_1)
	v_lshlrev_b32_e32 v12, 20, v12
	v_or3_b32 v12, v13, v15, v12
.LBB150_2607:
	s_or_b32 exec_lo, exec_lo, s18
.LBB150_2608:
	v_mov_b32_e32 v13, 0
	s_mov_b32 s9, -1
.LBB150_2609:
	s_mov_b32 s18, 0
.LBB150_2610:
	s_delay_alu instid0(SALU_CYCLE_1)
	s_and_b32 vcc_lo, exec_lo, s18
	s_cbranch_vccz .LBB150_2621
; %bb.2611:
	s_cmp_gt_i32 s1, 22
	s_cbranch_scc0 .LBB150_2632
; %bb.2612:
	s_cmp_lt_i32 s1, 24
	s_cbranch_scc1 .LBB150_2636
; %bb.2613:
	s_cmp_gt_i32 s1, 24
	s_cbranch_scc0 .LBB150_2638
; %bb.2614:
	global_load_u8 v13, v[16:17], off
	s_mov_b32 s9, exec_lo
	s_wait_loadcnt 0x0
	v_cmpx_lt_i16_e32 0x7f, v13
	s_xor_b32 s9, exec_lo, s9
	s_cbranch_execz .LBB150_2650
; %bb.2615:
	s_mov_b32 s8, -1
	s_mov_b32 s18, exec_lo
	v_cmpx_eq_u16_e32 0x80, v13
; %bb.2616:
	s_xor_b32 s8, exec_lo, -1
; %bb.2617:
	s_or_b32 exec_lo, exec_lo, s18
	s_delay_alu instid0(SALU_CYCLE_1)
	s_and_b32 s8, s8, exec_lo
	s_or_saveexec_b32 s9, s9
	v_mov_b32_e32 v12, 0x7f800001
	s_xor_b32 exec_lo, exec_lo, s9
	s_cbranch_execnz .LBB150_2651
.LBB150_2618:
	s_or_b32 exec_lo, exec_lo, s9
	s_and_saveexec_b32 s9, s8
	s_cbranch_execz .LBB150_2620
.LBB150_2619:
	v_and_b32_e32 v12, 0xffff, v13
	s_delay_alu instid0(VALU_DEP_1) | instskip(SKIP_1) | instid1(VALU_DEP_2)
	v_and_b32_e32 v15, 3, v12
	v_bfe_u32 v21, v12, 2, 5
	v_clz_i32_u32_e32 v19, v15
	s_delay_alu instid0(VALU_DEP_2) | instskip(NEXT) | instid1(VALU_DEP_2)
	v_cmp_eq_u32_e32 vcc_lo, 0, v21
	v_min_u32_e32 v19, 32, v19
	s_delay_alu instid0(VALU_DEP_1) | instskip(NEXT) | instid1(VALU_DEP_1)
	v_subrev_nc_u32_e32 v20, 29, v19
	v_dual_lshlrev_b32 v12, v20, v12 :: v_dual_sub_nc_u32 v19, 30, v19
	s_delay_alu instid0(VALU_DEP_1) | instskip(NEXT) | instid1(VALU_DEP_1)
	v_dual_lshlrev_b32 v13, 24, v13 :: v_dual_bitop2_b32 v12, 3, v12 bitop3:0x40
	v_dual_cndmask_b32 v19, v21, v19 :: v_dual_cndmask_b32 v12, v15, v12
	s_delay_alu instid0(VALU_DEP_2) | instskip(NEXT) | instid1(VALU_DEP_2)
	v_and_b32_e32 v13, 0x80000000, v13
	v_lshl_add_u32 v15, v19, 23, 0x37800000
	s_delay_alu instid0(VALU_DEP_3) | instskip(NEXT) | instid1(VALU_DEP_1)
	v_lshlrev_b32_e32 v12, 21, v12
	v_or3_b32 v12, v13, v15, v12
.LBB150_2620:
	s_or_b32 exec_lo, exec_lo, s9
	s_mov_b32 s8, 0
	s_branch .LBB150_2639
.LBB150_2621:
	s_and_b32 vcc_lo, exec_lo, s5
	s_cbranch_vccnz .LBB150_2669
.LBB150_2622:
	s_and_not1_b32 vcc_lo, exec_lo, s8
	s_cbranch_vccnz .LBB150_2624
.LBB150_2623:
	global_load_u8 v12, v[16:17], off
	v_mov_b32_e32 v13, 0
	s_mov_b32 s9, -1
	s_wait_loadcnt 0x0
	v_cmp_ne_u16_e32 vcc_lo, 0, v12
	v_cndmask_b32_e64 v12, 0, 1.0, vcc_lo
.LBB150_2624:
	s_mov_b32 s1, 0
.LBB150_2625:
	s_delay_alu instid0(SALU_CYCLE_1)
	s_and_b32 vcc_lo, exec_lo, s1
	s_cbranch_vccz .LBB150_2700
; %bb.2626:
	s_and_b32 s1, 0xffff, s16
	s_delay_alu instid0(SALU_CYCLE_1)
	s_cmp_lt_i32 s1, 5
	s_cbranch_scc1 .LBB150_2631
; %bb.2627:
	s_cmp_lt_i32 s1, 8
	s_cbranch_scc1 .LBB150_2633
; %bb.2628:
	;; [unrolled: 3-line block ×3, first 2 shown]
	s_cmp_gt_i32 s1, 9
	s_cbranch_scc0 .LBB150_2652
; %bb.2630:
	global_load_b128 v[20:23], v[16:17], off
	s_mov_b32 s5, 0
	s_wait_loadcnt 0x0
	v_cvt_f32_f64_e32 v12, v[20:21]
	v_cvt_f32_f64_e32 v13, v[22:23]
	s_branch .LBB150_2653
.LBB150_2631:
	s_mov_b32 s5, -1
                                        ; implicit-def: $vgpr13
	s_branch .LBB150_2678
.LBB150_2632:
	s_mov_b32 s8, -1
                                        ; implicit-def: $vgpr12
	s_branch .LBB150_2645
.LBB150_2633:
	s_mov_b32 s5, -1
                                        ; implicit-def: $vgpr13
	s_branch .LBB150_2659
.LBB150_2634:
	s_or_saveexec_b32 s18, s18
	v_mov_b32_e32 v12, 0x7f800001
	s_xor_b32 exec_lo, exec_lo, s18
	s_cbranch_execz .LBB150_2605
.LBB150_2635:
	v_cmp_ne_u16_e32 vcc_lo, 0, v13
	v_mov_b32_e32 v12, 0
	s_and_not1_b32 s9, s9, exec_lo
	s_and_b32 s19, vcc_lo, exec_lo
	s_delay_alu instid0(SALU_CYCLE_1)
	s_or_b32 s9, s9, s19
	s_or_b32 exec_lo, exec_lo, s18
	s_and_saveexec_b32 s18, s9
	s_cbranch_execnz .LBB150_2606
	s_branch .LBB150_2607
.LBB150_2636:
	s_mov_b32 s8, -1
                                        ; implicit-def: $vgpr12
	s_branch .LBB150_2642
.LBB150_2637:
	s_mov_b32 s5, -1
                                        ; implicit-def: $vgpr13
	s_branch .LBB150_2656
.LBB150_2638:
	s_mov_b32 s8, -1
                                        ; implicit-def: $vgpr12
.LBB150_2639:
	s_delay_alu instid0(SALU_CYCLE_1)
	s_and_b32 vcc_lo, exec_lo, s8
	s_cbranch_vccz .LBB150_2641
; %bb.2640:
	global_load_u8 v12, v[16:17], off
	s_wait_loadcnt 0x0
	v_lshlrev_b32_e32 v12, 24, v12
	s_delay_alu instid0(VALU_DEP_1) | instskip(NEXT) | instid1(VALU_DEP_1)
	v_and_b32_e32 v13, 0x7f000000, v12
	v_clz_i32_u32_e32 v15, v13
	v_cmp_ne_u32_e32 vcc_lo, 0, v13
	v_add_nc_u32_e32 v20, 0x1000000, v13
	s_delay_alu instid0(VALU_DEP_3) | instskip(NEXT) | instid1(VALU_DEP_1)
	v_min_u32_e32 v15, 32, v15
	v_sub_nc_u32_e64 v15, v15, 4 clamp
	s_delay_alu instid0(VALU_DEP_1) | instskip(NEXT) | instid1(VALU_DEP_1)
	v_dual_lshlrev_b32 v19, v15, v13 :: v_dual_lshlrev_b32 v15, 23, v15
	v_lshrrev_b32_e32 v19, 4, v19
	s_delay_alu instid0(VALU_DEP_1) | instskip(NEXT) | instid1(VALU_DEP_1)
	v_dual_sub_nc_u32 v15, v19, v15 :: v_dual_ashrrev_i32 v19, 8, v20
	v_add_nc_u32_e32 v15, 0x3c000000, v15
	s_delay_alu instid0(VALU_DEP_1) | instskip(NEXT) | instid1(VALU_DEP_1)
	v_and_or_b32 v15, 0x7f800000, v19, v15
	v_cndmask_b32_e32 v13, 0, v15, vcc_lo
	s_delay_alu instid0(VALU_DEP_1)
	v_and_or_b32 v12, 0x80000000, v12, v13
.LBB150_2641:
	s_mov_b32 s8, 0
.LBB150_2642:
	s_delay_alu instid0(SALU_CYCLE_1)
	s_and_not1_b32 vcc_lo, exec_lo, s8
	s_cbranch_vccnz .LBB150_2644
; %bb.2643:
	global_load_u8 v12, v[16:17], off
	s_wait_loadcnt 0x0
	v_lshlrev_b32_e32 v13, 25, v12
	v_lshlrev_b16 v12, 8, v12
	s_delay_alu instid0(VALU_DEP_1) | instskip(SKIP_1) | instid1(VALU_DEP_2)
	v_and_or_b32 v19, 0x7f00, v12, 0.5
	v_bfe_i32 v12, v12, 0, 16
	v_dual_add_f32 v19, -0.5, v19 :: v_dual_lshrrev_b32 v15, 4, v13
	v_cmp_gt_u32_e32 vcc_lo, 0x8000000, v13
	s_delay_alu instid0(VALU_DEP_2) | instskip(NEXT) | instid1(VALU_DEP_1)
	v_or_b32_e32 v15, 0x70000000, v15
	v_mul_f32_e32 v15, 0x7800000, v15
	s_delay_alu instid0(VALU_DEP_1) | instskip(NEXT) | instid1(VALU_DEP_1)
	v_cndmask_b32_e32 v13, v15, v19, vcc_lo
	v_and_or_b32 v12, 0x80000000, v12, v13
.LBB150_2644:
	s_mov_b32 s8, 0
	s_mov_b32 s9, -1
.LBB150_2645:
	s_and_not1_b32 vcc_lo, exec_lo, s8
	s_mov_b32 s8, 0
	s_cbranch_vccnz .LBB150_2668
; %bb.2646:
	s_cmp_gt_i32 s1, 14
	s_cbranch_scc0 .LBB150_2649
; %bb.2647:
	s_cmp_eq_u32 s1, 15
	s_cbranch_scc0 .LBB150_2664
; %bb.2648:
	global_load_u16 v12, v[16:17], off
	s_mov_b32 s5, 0
	s_mov_b32 s9, -1
	s_wait_loadcnt 0x0
	v_lshlrev_b32_e32 v12, 16, v12
	s_branch .LBB150_2666
.LBB150_2649:
	s_mov_b32 s8, -1
	s_branch .LBB150_2665
.LBB150_2650:
	s_or_saveexec_b32 s9, s9
	v_mov_b32_e32 v12, 0x7f800001
	s_xor_b32 exec_lo, exec_lo, s9
	s_cbranch_execz .LBB150_2618
.LBB150_2651:
	v_cmp_ne_u16_e32 vcc_lo, 0, v13
	v_mov_b32_e32 v12, 0
	s_and_not1_b32 s8, s8, exec_lo
	s_and_b32 s18, vcc_lo, exec_lo
	s_delay_alu instid0(SALU_CYCLE_1)
	s_or_b32 s8, s8, s18
	s_or_b32 exec_lo, exec_lo, s9
	s_and_saveexec_b32 s9, s8
	s_cbranch_execnz .LBB150_2619
	s_branch .LBB150_2620
.LBB150_2652:
	s_mov_b32 s5, -1
                                        ; implicit-def: $vgpr13
.LBB150_2653:
	s_delay_alu instid0(SALU_CYCLE_1)
	s_and_not1_b32 vcc_lo, exec_lo, s5
	s_cbranch_vccnz .LBB150_2655
; %bb.2654:
	global_load_b64 v[12:13], v[16:17], off
.LBB150_2655:
	s_mov_b32 s5, 0
.LBB150_2656:
	s_delay_alu instid0(SALU_CYCLE_1)
	s_and_not1_b32 vcc_lo, exec_lo, s5
	s_cbranch_vccnz .LBB150_2658
; %bb.2657:
	s_wait_loadcnt 0x0
	global_load_b32 v12, v[16:17], off
	s_wait_loadcnt 0x0
	v_lshrrev_b32_e32 v13, 16, v12
	v_cvt_f32_f16_e32 v12, v12
	s_delay_alu instid0(VALU_DEP_2)
	v_cvt_f32_f16_e32 v13, v13
.LBB150_2658:
	s_mov_b32 s5, 0
.LBB150_2659:
	s_delay_alu instid0(SALU_CYCLE_1)
	s_and_not1_b32 vcc_lo, exec_lo, s5
	s_cbranch_vccnz .LBB150_2677
; %bb.2660:
	s_cmp_lt_i32 s1, 6
	s_cbranch_scc1 .LBB150_2663
; %bb.2661:
	s_cmp_gt_i32 s1, 6
	s_cbranch_scc0 .LBB150_2670
; %bb.2662:
	s_wait_loadcnt 0x0
	global_load_b64 v[12:13], v[16:17], off
	s_mov_b32 s5, 0
	s_wait_loadcnt 0x0
	v_cvt_f32_f64_e32 v12, v[12:13]
	s_branch .LBB150_2671
.LBB150_2663:
	s_mov_b32 s5, -1
                                        ; implicit-def: $vgpr12
	s_branch .LBB150_2674
.LBB150_2664:
	s_mov_b32 s5, -1
.LBB150_2665:
                                        ; implicit-def: $vgpr12
.LBB150_2666:
	s_and_b32 vcc_lo, exec_lo, s8
	s_mov_b32 s8, 0
	s_cbranch_vccz .LBB150_2668
; %bb.2667:
	s_cmp_lg_u32 s1, 11
	s_mov_b32 s8, -1
	s_cselect_b32 s5, -1, 0
.LBB150_2668:
	v_mov_b32_e32 v13, 0
	s_and_b32 vcc_lo, exec_lo, s5
	s_cbranch_vccz .LBB150_2622
.LBB150_2669:
	s_or_b32 s17, s17, exec_lo
	s_trap 2
	s_cbranch_execz .LBB150_2623
	s_branch .LBB150_2624
.LBB150_2670:
	s_mov_b32 s5, -1
                                        ; implicit-def: $vgpr12
.LBB150_2671:
	s_delay_alu instid0(SALU_CYCLE_1)
	s_and_not1_b32 vcc_lo, exec_lo, s5
	s_cbranch_vccnz .LBB150_2673
; %bb.2672:
	s_wait_loadcnt 0x0
	global_load_b32 v12, v[16:17], off
.LBB150_2673:
	s_mov_b32 s5, 0
.LBB150_2674:
	s_delay_alu instid0(SALU_CYCLE_1)
	s_and_not1_b32 vcc_lo, exec_lo, s5
	s_cbranch_vccnz .LBB150_2676
; %bb.2675:
	s_wait_loadcnt 0x0
	global_load_u16 v12, v[16:17], off
	s_wait_loadcnt 0x0
	v_cvt_f32_f16_e32 v12, v12
.LBB150_2676:
	s_wait_loadcnt 0x0
	v_mov_b32_e32 v13, 0
.LBB150_2677:
	s_mov_b32 s5, 0
.LBB150_2678:
	s_delay_alu instid0(SALU_CYCLE_1)
	s_and_not1_b32 vcc_lo, exec_lo, s5
	s_cbranch_vccnz .LBB150_2699
; %bb.2679:
	s_cmp_lt_i32 s1, 2
	s_cbranch_scc1 .LBB150_2683
; %bb.2680:
	s_cmp_lt_i32 s1, 3
	s_cbranch_scc1 .LBB150_2684
; %bb.2681:
	s_cmp_gt_i32 s1, 3
	s_cbranch_scc0 .LBB150_2685
; %bb.2682:
	s_wait_loadcnt 0x0
	global_load_b64 v[12:13], v[16:17], off
	s_mov_b32 s5, 0
	s_wait_loadcnt 0x0
	v_xor_b32_e32 v15, v12, v13
	v_cls_i32_e32 v19, v13
	s_delay_alu instid0(VALU_DEP_2) | instskip(NEXT) | instid1(VALU_DEP_1)
	v_ashrrev_i32_e32 v15, 31, v15
	v_add_nc_u32_e32 v15, 32, v15
	s_delay_alu instid0(VALU_DEP_1) | instskip(NEXT) | instid1(VALU_DEP_1)
	v_add_min_u32_e64 v15, v19, -1, v15
	v_lshlrev_b64_e32 v[12:13], v15, v[12:13]
	s_delay_alu instid0(VALU_DEP_1) | instskip(NEXT) | instid1(VALU_DEP_1)
	v_min_u32_e32 v12, 1, v12
	v_dual_sub_nc_u32 v13, 32, v15 :: v_dual_bitop2_b32 v12, v13, v12 bitop3:0x54
	s_delay_alu instid0(VALU_DEP_1) | instskip(NEXT) | instid1(VALU_DEP_1)
	v_cvt_f32_i32_e32 v12, v12
	v_ldexp_f32 v12, v12, v13
	s_branch .LBB150_2686
.LBB150_2683:
	s_mov_b32 s5, -1
                                        ; implicit-def: $vgpr12
	s_branch .LBB150_2692
.LBB150_2684:
	s_mov_b32 s5, -1
                                        ; implicit-def: $vgpr12
	s_branch .LBB150_2689
.LBB150_2685:
	s_mov_b32 s5, -1
                                        ; implicit-def: $vgpr12
.LBB150_2686:
	s_delay_alu instid0(SALU_CYCLE_1)
	s_and_not1_b32 vcc_lo, exec_lo, s5
	s_cbranch_vccnz .LBB150_2688
; %bb.2687:
	s_wait_loadcnt 0x0
	global_load_b32 v12, v[16:17], off
	s_wait_loadcnt 0x0
	v_cvt_f32_i32_e32 v12, v12
.LBB150_2688:
	s_mov_b32 s5, 0
.LBB150_2689:
	s_delay_alu instid0(SALU_CYCLE_1)
	s_and_not1_b32 vcc_lo, exec_lo, s5
	s_cbranch_vccnz .LBB150_2691
; %bb.2690:
	s_wait_loadcnt 0x0
	global_load_i16 v12, v[16:17], off
	s_wait_loadcnt 0x0
	v_cvt_f32_i32_e32 v12, v12
.LBB150_2691:
	s_mov_b32 s5, 0
.LBB150_2692:
	s_delay_alu instid0(SALU_CYCLE_1)
	s_and_not1_b32 vcc_lo, exec_lo, s5
	s_cbranch_vccnz .LBB150_2698
; %bb.2693:
	s_cmp_gt_i32 s1, 0
	s_mov_b32 s1, 0
	s_cbranch_scc0 .LBB150_2695
; %bb.2694:
	s_wait_loadcnt 0x0
	global_load_i8 v12, v[16:17], off
	s_wait_loadcnt 0x0
	v_cvt_f32_i32_e32 v12, v12
	s_branch .LBB150_2696
.LBB150_2695:
	s_mov_b32 s1, -1
                                        ; implicit-def: $vgpr12
.LBB150_2696:
	s_delay_alu instid0(SALU_CYCLE_1)
	s_and_not1_b32 vcc_lo, exec_lo, s1
	s_cbranch_vccnz .LBB150_2698
; %bb.2697:
	s_wait_loadcnt 0x0
	global_load_u8 v12, v[16:17], off
	s_wait_loadcnt 0x0
	v_cvt_f32_ubyte0_e32 v12, v12
.LBB150_2698:
	s_wait_loadcnt 0x0
	v_mov_b32_e32 v13, 0
.LBB150_2699:
	s_mov_b32 s9, -1
.LBB150_2700:
	s_delay_alu instid0(SALU_CYCLE_1)
	s_and_not1_b32 vcc_lo, exec_lo, s9
	s_cbranch_vccnz .LBB150_3270
; %bb.2701:
	v_add_nc_u32_e32 v14, s4, v14
	s_cmp_lt_i32 s0, 11
	s_delay_alu instid0(VALU_DEP_1) | instskip(SKIP_1) | instid1(VALU_DEP_1)
	v_ashrrev_i32_e32 v15, 31, v14
	s_wait_xcnt 0x0
	v_add_nc_u64_e32 v[16:17], s[10:11], v[14:15]
	s_cbranch_scc1 .LBB150_2708
; %bb.2702:
	s_cmp_gt_i32 s0, 25
	s_mov_b32 s4, 0
	s_cbranch_scc0 .LBB150_2709
; %bb.2703:
	s_cmp_gt_i32 s0, 28
	s_cbranch_scc0 .LBB150_2710
; %bb.2704:
	s_cmp_gt_i32 s0, 43
	s_cbranch_scc0 .LBB150_2711
; %bb.2705:
	s_cmp_gt_i32 s0, 45
	s_cbranch_scc0 .LBB150_2712
; %bb.2706:
	s_cmp_eq_u32 s0, 46
	s_mov_b32 s8, 0
	s_cbranch_scc0 .LBB150_2713
; %bb.2707:
	global_load_b32 v14, v[16:17], off
	s_mov_b32 s1, 0
	s_mov_b32 s5, -1
	s_wait_loadcnt 0x0
	v_and_b32_e32 v15, 0xffff0000, v14
	v_lshlrev_b32_e32 v14, 16, v14
	s_branch .LBB150_2715
.LBB150_2708:
	s_mov_b32 s1, -1
	s_mov_b32 s5, 0
                                        ; implicit-def: $vgpr15
	s_branch .LBB150_2761
.LBB150_2709:
	s_mov_b32 s8, -1
	s_mov_b32 s5, 0
	s_mov_b32 s1, 0
                                        ; implicit-def: $vgpr15
	s_branch .LBB150_2746
.LBB150_2710:
	s_mov_b32 s8, -1
	s_mov_b32 s5, 0
	s_mov_b32 s1, 0
                                        ; implicit-def: $vgpr15
	s_branch .LBB150_2727
.LBB150_2711:
	s_mov_b32 s8, -1
	s_mov_b32 s5, 0
	s_mov_b32 s1, 0
                                        ; implicit-def: $vgpr15
	s_branch .LBB150_2721
.LBB150_2712:
	s_mov_b32 s8, -1
	s_mov_b32 s5, 0
	s_mov_b32 s1, 0
	s_branch .LBB150_2714
.LBB150_2713:
	s_mov_b32 s1, -1
	s_mov_b32 s5, 0
.LBB150_2714:
                                        ; implicit-def: $vgpr15
.LBB150_2715:
	s_and_b32 vcc_lo, exec_lo, s8
	s_cbranch_vccz .LBB150_2720
; %bb.2716:
	s_cmp_eq_u32 s0, 44
	s_cbranch_scc0 .LBB150_2718
; %bb.2717:
	global_load_u8 v14, v[16:17], off
	s_mov_b32 s1, 0
	s_mov_b32 s5, -1
	s_wait_loadcnt 0x0
	v_lshlrev_b32_e32 v15, 23, v14
	v_cmp_ne_u32_e32 vcc_lo, 0xff, v14
	s_delay_alu instid0(VALU_DEP_2) | instskip(SKIP_1) | instid1(VALU_DEP_2)
	v_cndmask_b32_e32 v15, 0x7f800001, v15, vcc_lo
	v_cmp_ne_u32_e32 vcc_lo, 0, v14
	v_cndmask_b32_e32 v14, 0x400000, v15, vcc_lo
	s_branch .LBB150_2719
.LBB150_2718:
	s_mov_b32 s1, -1
                                        ; implicit-def: $vgpr14
.LBB150_2719:
	v_mov_b32_e32 v15, 0
.LBB150_2720:
	s_mov_b32 s8, 0
.LBB150_2721:
	s_delay_alu instid0(SALU_CYCLE_1)
	s_and_b32 vcc_lo, exec_lo, s8
	s_cbranch_vccz .LBB150_2726
; %bb.2722:
	s_cmp_eq_u32 s0, 29
	s_cbranch_scc0 .LBB150_2724
; %bb.2723:
	global_load_b64 v[14:15], v[16:17], off
	s_mov_b32 s1, 0
	s_mov_b32 s5, -1
	s_wait_loadcnt 0x0
	v_clz_i32_u32_e32 v19, v15
	s_delay_alu instid0(VALU_DEP_1) | instskip(NEXT) | instid1(VALU_DEP_1)
	v_min_u32_e32 v19, 32, v19
	v_lshlrev_b64_e32 v[14:15], v19, v[14:15]
	s_delay_alu instid0(VALU_DEP_1) | instskip(NEXT) | instid1(VALU_DEP_1)
	v_min_u32_e32 v14, 1, v14
	v_dual_sub_nc_u32 v15, 32, v19 :: v_dual_bitop2_b32 v14, v15, v14 bitop3:0x54
	s_delay_alu instid0(VALU_DEP_1) | instskip(NEXT) | instid1(VALU_DEP_1)
	v_cvt_f32_u32_e32 v14, v14
	v_ldexp_f32 v14, v14, v15
	s_branch .LBB150_2725
.LBB150_2724:
	s_mov_b32 s1, -1
                                        ; implicit-def: $vgpr14
.LBB150_2725:
	v_mov_b32_e32 v15, 0
.LBB150_2726:
	s_mov_b32 s8, 0
.LBB150_2727:
	s_delay_alu instid0(SALU_CYCLE_1)
	s_and_b32 vcc_lo, exec_lo, s8
	s_cbranch_vccz .LBB150_2745
; %bb.2728:
	s_cmp_lt_i32 s0, 27
	s_cbranch_scc1 .LBB150_2731
; %bb.2729:
	s_cmp_gt_i32 s0, 27
	s_cbranch_scc0 .LBB150_2732
; %bb.2730:
	global_load_b32 v14, v[16:17], off
	s_mov_b32 s5, 0
	s_wait_loadcnt 0x0
	v_cvt_f32_u32_e32 v14, v14
	s_branch .LBB150_2733
.LBB150_2731:
	s_mov_b32 s5, -1
                                        ; implicit-def: $vgpr14
	s_branch .LBB150_2736
.LBB150_2732:
	s_mov_b32 s5, -1
                                        ; implicit-def: $vgpr14
.LBB150_2733:
	s_delay_alu instid0(SALU_CYCLE_1)
	s_and_not1_b32 vcc_lo, exec_lo, s5
	s_cbranch_vccnz .LBB150_2735
; %bb.2734:
	global_load_u16 v14, v[16:17], off
	s_wait_loadcnt 0x0
	v_cvt_f32_u32_e32 v14, v14
.LBB150_2735:
	s_mov_b32 s5, 0
.LBB150_2736:
	s_delay_alu instid0(SALU_CYCLE_1)
	s_and_not1_b32 vcc_lo, exec_lo, s5
	s_cbranch_vccnz .LBB150_2744
; %bb.2737:
	global_load_u8 v15, v[16:17], off
	s_mov_b32 s5, 0
	s_mov_b32 s8, exec_lo
	s_wait_loadcnt 0x0
	v_cmpx_lt_i16_e32 0x7f, v15
	s_xor_b32 s8, exec_lo, s8
	s_cbranch_execz .LBB150_2770
; %bb.2738:
	s_mov_b32 s5, -1
	s_mov_b32 s9, exec_lo
	v_cmpx_eq_u16_e32 0x80, v15
; %bb.2739:
	s_xor_b32 s5, exec_lo, -1
; %bb.2740:
	s_or_b32 exec_lo, exec_lo, s9
	s_delay_alu instid0(SALU_CYCLE_1)
	s_and_b32 s5, s5, exec_lo
	s_or_saveexec_b32 s8, s8
	v_mov_b32_e32 v14, 0x7f800001
	s_xor_b32 exec_lo, exec_lo, s8
	s_cbranch_execnz .LBB150_2771
.LBB150_2741:
	s_or_b32 exec_lo, exec_lo, s8
	s_and_saveexec_b32 s8, s5
	s_cbranch_execz .LBB150_2743
.LBB150_2742:
	v_and_b32_e32 v14, 0xffff, v15
	s_delay_alu instid0(VALU_DEP_1) | instskip(SKIP_1) | instid1(VALU_DEP_2)
	v_and_b32_e32 v19, 7, v14
	v_bfe_u32 v22, v14, 3, 4
	v_clz_i32_u32_e32 v20, v19
	s_delay_alu instid0(VALU_DEP_2) | instskip(NEXT) | instid1(VALU_DEP_2)
	v_cmp_eq_u32_e32 vcc_lo, 0, v22
	v_min_u32_e32 v20, 32, v20
	s_delay_alu instid0(VALU_DEP_1) | instskip(NEXT) | instid1(VALU_DEP_1)
	v_subrev_nc_u32_e32 v21, 28, v20
	v_dual_lshlrev_b32 v14, v21, v14 :: v_dual_sub_nc_u32 v20, 29, v20
	s_delay_alu instid0(VALU_DEP_1) | instskip(NEXT) | instid1(VALU_DEP_1)
	v_dual_lshlrev_b32 v15, 24, v15 :: v_dual_bitop2_b32 v14, 7, v14 bitop3:0x40
	v_dual_cndmask_b32 v20, v22, v20, vcc_lo :: v_dual_cndmask_b32 v14, v19, v14, vcc_lo
	s_delay_alu instid0(VALU_DEP_2) | instskip(NEXT) | instid1(VALU_DEP_2)
	v_and_b32_e32 v15, 0x80000000, v15
	v_lshl_add_u32 v19, v20, 23, 0x3b800000
	s_delay_alu instid0(VALU_DEP_3) | instskip(NEXT) | instid1(VALU_DEP_1)
	v_lshlrev_b32_e32 v14, 20, v14
	v_or3_b32 v14, v15, v19, v14
.LBB150_2743:
	s_or_b32 exec_lo, exec_lo, s8
.LBB150_2744:
	v_mov_b32_e32 v15, 0
	s_mov_b32 s5, -1
.LBB150_2745:
	s_mov_b32 s8, 0
.LBB150_2746:
	s_delay_alu instid0(SALU_CYCLE_1)
	s_and_b32 vcc_lo, exec_lo, s8
	s_cbranch_vccz .LBB150_2757
; %bb.2747:
	s_cmp_gt_i32 s0, 22
	s_cbranch_scc0 .LBB150_2768
; %bb.2748:
	s_cmp_lt_i32 s0, 24
	s_cbranch_scc1 .LBB150_2772
; %bb.2749:
	s_cmp_gt_i32 s0, 24
	s_cbranch_scc0 .LBB150_2774
; %bb.2750:
	global_load_u8 v15, v[16:17], off
	s_mov_b32 s5, exec_lo
	s_wait_loadcnt 0x0
	v_cmpx_lt_i16_e32 0x7f, v15
	s_xor_b32 s5, exec_lo, s5
	s_cbranch_execz .LBB150_2786
; %bb.2751:
	s_mov_b32 s4, -1
	s_mov_b32 s8, exec_lo
	v_cmpx_eq_u16_e32 0x80, v15
; %bb.2752:
	s_xor_b32 s4, exec_lo, -1
; %bb.2753:
	s_or_b32 exec_lo, exec_lo, s8
	s_delay_alu instid0(SALU_CYCLE_1)
	s_and_b32 s4, s4, exec_lo
	s_or_saveexec_b32 s5, s5
	v_mov_b32_e32 v14, 0x7f800001
	s_xor_b32 exec_lo, exec_lo, s5
	s_cbranch_execnz .LBB150_2787
.LBB150_2754:
	s_or_b32 exec_lo, exec_lo, s5
	s_and_saveexec_b32 s5, s4
	s_cbranch_execz .LBB150_2756
.LBB150_2755:
	v_and_b32_e32 v14, 0xffff, v15
	s_delay_alu instid0(VALU_DEP_1) | instskip(SKIP_1) | instid1(VALU_DEP_2)
	v_and_b32_e32 v19, 3, v14
	v_bfe_u32 v22, v14, 2, 5
	v_clz_i32_u32_e32 v20, v19
	s_delay_alu instid0(VALU_DEP_2) | instskip(NEXT) | instid1(VALU_DEP_2)
	v_cmp_eq_u32_e32 vcc_lo, 0, v22
	v_min_u32_e32 v20, 32, v20
	s_delay_alu instid0(VALU_DEP_1) | instskip(NEXT) | instid1(VALU_DEP_1)
	v_subrev_nc_u32_e32 v21, 29, v20
	v_dual_lshlrev_b32 v14, v21, v14 :: v_dual_sub_nc_u32 v20, 30, v20
	s_delay_alu instid0(VALU_DEP_1) | instskip(NEXT) | instid1(VALU_DEP_1)
	v_dual_lshlrev_b32 v15, 24, v15 :: v_dual_bitop2_b32 v14, 3, v14 bitop3:0x40
	v_dual_cndmask_b32 v20, v22, v20, vcc_lo :: v_dual_cndmask_b32 v14, v19, v14, vcc_lo
	s_delay_alu instid0(VALU_DEP_2) | instskip(NEXT) | instid1(VALU_DEP_2)
	v_and_b32_e32 v15, 0x80000000, v15
	v_lshl_add_u32 v19, v20, 23, 0x37800000
	s_delay_alu instid0(VALU_DEP_3) | instskip(NEXT) | instid1(VALU_DEP_1)
	v_lshlrev_b32_e32 v14, 21, v14
	v_or3_b32 v14, v15, v19, v14
.LBB150_2756:
	s_or_b32 exec_lo, exec_lo, s5
	s_mov_b32 s4, 0
	s_branch .LBB150_2775
.LBB150_2757:
	s_and_b32 vcc_lo, exec_lo, s1
	s_cbranch_vccnz .LBB150_2805
.LBB150_2758:
	s_and_not1_b32 vcc_lo, exec_lo, s4
	s_cbranch_vccnz .LBB150_2760
.LBB150_2759:
	global_load_u8 v14, v[16:17], off
	v_mov_b32_e32 v15, 0
	s_mov_b32 s5, -1
	s_wait_loadcnt 0x0
	v_cmp_ne_u16_e32 vcc_lo, 0, v14
	v_cndmask_b32_e64 v14, 0, 1.0, vcc_lo
.LBB150_2760:
	s_mov_b32 s1, 0
.LBB150_2761:
	s_delay_alu instid0(SALU_CYCLE_1)
	s_and_b32 vcc_lo, exec_lo, s1
	s_cbranch_vccz .LBB150_2836
; %bb.2762:
	s_cmp_lt_i32 s0, 5
	s_cbranch_scc1 .LBB150_2767
; %bb.2763:
	s_cmp_lt_i32 s0, 8
	s_cbranch_scc1 .LBB150_2769
	;; [unrolled: 3-line block ×3, first 2 shown]
; %bb.2765:
	s_cmp_gt_i32 s0, 9
	s_cbranch_scc0 .LBB150_2788
; %bb.2766:
	global_load_b128 v[20:23], v[16:17], off
	s_mov_b32 s1, 0
	s_wait_loadcnt 0x0
	v_cvt_f32_f64_e32 v14, v[20:21]
	v_cvt_f32_f64_e32 v15, v[22:23]
	s_branch .LBB150_2789
.LBB150_2767:
	s_mov_b32 s1, -1
                                        ; implicit-def: $vgpr15
	s_branch .LBB150_2814
.LBB150_2768:
	s_mov_b32 s4, -1
                                        ; implicit-def: $vgpr14
	s_branch .LBB150_2781
.LBB150_2769:
	s_mov_b32 s1, -1
                                        ; implicit-def: $vgpr15
	s_branch .LBB150_2795
.LBB150_2770:
	s_or_saveexec_b32 s8, s8
	v_mov_b32_e32 v14, 0x7f800001
	s_xor_b32 exec_lo, exec_lo, s8
	s_cbranch_execz .LBB150_2741
.LBB150_2771:
	v_cmp_ne_u16_e32 vcc_lo, 0, v15
	v_mov_b32_e32 v14, 0
	s_and_not1_b32 s5, s5, exec_lo
	s_and_b32 s9, vcc_lo, exec_lo
	s_delay_alu instid0(SALU_CYCLE_1)
	s_or_b32 s5, s5, s9
	s_or_b32 exec_lo, exec_lo, s8
	s_and_saveexec_b32 s8, s5
	s_cbranch_execnz .LBB150_2742
	s_branch .LBB150_2743
.LBB150_2772:
	s_mov_b32 s4, -1
                                        ; implicit-def: $vgpr14
	s_branch .LBB150_2778
.LBB150_2773:
	s_mov_b32 s1, -1
                                        ; implicit-def: $vgpr15
	s_branch .LBB150_2792
.LBB150_2774:
	s_mov_b32 s4, -1
                                        ; implicit-def: $vgpr14
.LBB150_2775:
	s_delay_alu instid0(SALU_CYCLE_1)
	s_and_b32 vcc_lo, exec_lo, s4
	s_cbranch_vccz .LBB150_2777
; %bb.2776:
	global_load_u8 v14, v[16:17], off
	s_wait_loadcnt 0x0
	v_lshlrev_b32_e32 v14, 24, v14
	s_delay_alu instid0(VALU_DEP_1) | instskip(NEXT) | instid1(VALU_DEP_1)
	v_and_b32_e32 v15, 0x7f000000, v14
	v_clz_i32_u32_e32 v19, v15
	v_add_nc_u32_e32 v21, 0x1000000, v15
	v_cmp_ne_u32_e32 vcc_lo, 0, v15
	s_delay_alu instid0(VALU_DEP_3) | instskip(NEXT) | instid1(VALU_DEP_1)
	v_min_u32_e32 v19, 32, v19
	v_sub_nc_u32_e64 v19, v19, 4 clamp
	s_delay_alu instid0(VALU_DEP_1) | instskip(NEXT) | instid1(VALU_DEP_1)
	v_lshlrev_b32_e32 v20, v19, v15
	v_dual_lshlrev_b32 v19, 23, v19 :: v_dual_lshrrev_b32 v20, 4, v20
	s_delay_alu instid0(VALU_DEP_1) | instskip(NEXT) | instid1(VALU_DEP_1)
	v_dual_sub_nc_u32 v19, v20, v19 :: v_dual_ashrrev_i32 v20, 8, v21
	v_add_nc_u32_e32 v19, 0x3c000000, v19
	s_delay_alu instid0(VALU_DEP_1) | instskip(NEXT) | instid1(VALU_DEP_1)
	v_and_or_b32 v19, 0x7f800000, v20, v19
	v_cndmask_b32_e32 v15, 0, v19, vcc_lo
	s_delay_alu instid0(VALU_DEP_1)
	v_and_or_b32 v14, 0x80000000, v14, v15
.LBB150_2777:
	s_mov_b32 s4, 0
.LBB150_2778:
	s_delay_alu instid0(SALU_CYCLE_1)
	s_and_not1_b32 vcc_lo, exec_lo, s4
	s_cbranch_vccnz .LBB150_2780
; %bb.2779:
	global_load_u8 v14, v[16:17], off
	s_wait_loadcnt 0x0
	v_lshlrev_b32_e32 v15, 25, v14
	v_lshlrev_b16 v14, 8, v14
	s_delay_alu instid0(VALU_DEP_1) | instskip(SKIP_1) | instid1(VALU_DEP_2)
	v_and_or_b32 v20, 0x7f00, v14, 0.5
	v_bfe_i32 v14, v14, 0, 16
	v_dual_add_f32 v20, -0.5, v20 :: v_dual_lshrrev_b32 v19, 4, v15
	v_cmp_gt_u32_e32 vcc_lo, 0x8000000, v15
	s_delay_alu instid0(VALU_DEP_2) | instskip(NEXT) | instid1(VALU_DEP_1)
	v_or_b32_e32 v19, 0x70000000, v19
	v_mul_f32_e32 v19, 0x7800000, v19
	s_delay_alu instid0(VALU_DEP_1) | instskip(NEXT) | instid1(VALU_DEP_1)
	v_cndmask_b32_e32 v15, v19, v20, vcc_lo
	v_and_or_b32 v14, 0x80000000, v14, v15
.LBB150_2780:
	s_mov_b32 s4, 0
	s_mov_b32 s5, -1
.LBB150_2781:
	s_and_not1_b32 vcc_lo, exec_lo, s4
	s_mov_b32 s4, 0
	s_cbranch_vccnz .LBB150_2804
; %bb.2782:
	s_cmp_gt_i32 s0, 14
	s_cbranch_scc0 .LBB150_2785
; %bb.2783:
	s_cmp_eq_u32 s0, 15
	s_cbranch_scc0 .LBB150_2800
; %bb.2784:
	global_load_u16 v14, v[16:17], off
	s_mov_b32 s1, 0
	s_mov_b32 s5, -1
	s_wait_loadcnt 0x0
	v_lshlrev_b32_e32 v14, 16, v14
	s_branch .LBB150_2802
.LBB150_2785:
	s_mov_b32 s4, -1
	s_branch .LBB150_2801
.LBB150_2786:
	s_or_saveexec_b32 s5, s5
	v_mov_b32_e32 v14, 0x7f800001
	s_xor_b32 exec_lo, exec_lo, s5
	s_cbranch_execz .LBB150_2754
.LBB150_2787:
	v_cmp_ne_u16_e32 vcc_lo, 0, v15
	v_mov_b32_e32 v14, 0
	s_and_not1_b32 s4, s4, exec_lo
	s_and_b32 s8, vcc_lo, exec_lo
	s_delay_alu instid0(SALU_CYCLE_1)
	s_or_b32 s4, s4, s8
	s_or_b32 exec_lo, exec_lo, s5
	s_and_saveexec_b32 s5, s4
	s_cbranch_execnz .LBB150_2755
	s_branch .LBB150_2756
.LBB150_2788:
	s_mov_b32 s1, -1
                                        ; implicit-def: $vgpr15
.LBB150_2789:
	s_delay_alu instid0(SALU_CYCLE_1)
	s_and_not1_b32 vcc_lo, exec_lo, s1
	s_cbranch_vccnz .LBB150_2791
; %bb.2790:
	global_load_b64 v[14:15], v[16:17], off
.LBB150_2791:
	s_mov_b32 s1, 0
.LBB150_2792:
	s_delay_alu instid0(SALU_CYCLE_1)
	s_and_not1_b32 vcc_lo, exec_lo, s1
	s_cbranch_vccnz .LBB150_2794
; %bb.2793:
	s_wait_loadcnt 0x0
	global_load_b32 v14, v[16:17], off
	s_wait_loadcnt 0x0
	v_lshrrev_b32_e32 v15, 16, v14
	v_cvt_f32_f16_e32 v14, v14
	s_delay_alu instid0(VALU_DEP_2)
	v_cvt_f32_f16_e32 v15, v15
.LBB150_2794:
	s_mov_b32 s1, 0
.LBB150_2795:
	s_delay_alu instid0(SALU_CYCLE_1)
	s_and_not1_b32 vcc_lo, exec_lo, s1
	s_cbranch_vccnz .LBB150_2813
; %bb.2796:
	s_cmp_lt_i32 s0, 6
	s_cbranch_scc1 .LBB150_2799
; %bb.2797:
	s_cmp_gt_i32 s0, 6
	s_cbranch_scc0 .LBB150_2806
; %bb.2798:
	s_wait_loadcnt 0x0
	global_load_b64 v[14:15], v[16:17], off
	s_mov_b32 s1, 0
	s_wait_loadcnt 0x0
	v_cvt_f32_f64_e32 v14, v[14:15]
	s_branch .LBB150_2807
.LBB150_2799:
	s_mov_b32 s1, -1
                                        ; implicit-def: $vgpr14
	s_branch .LBB150_2810
.LBB150_2800:
	s_mov_b32 s1, -1
.LBB150_2801:
                                        ; implicit-def: $vgpr14
.LBB150_2802:
	s_and_b32 vcc_lo, exec_lo, s4
	s_mov_b32 s4, 0
	s_cbranch_vccz .LBB150_2804
; %bb.2803:
	s_cmp_lg_u32 s0, 11
	s_mov_b32 s4, -1
	s_cselect_b32 s1, -1, 0
.LBB150_2804:
	v_mov_b32_e32 v15, 0
	s_and_b32 vcc_lo, exec_lo, s1
	s_cbranch_vccz .LBB150_2758
.LBB150_2805:
	s_or_b32 s17, s17, exec_lo
	s_trap 2
	s_cbranch_execz .LBB150_2759
	s_branch .LBB150_2760
.LBB150_2806:
	s_mov_b32 s1, -1
                                        ; implicit-def: $vgpr14
.LBB150_2807:
	s_delay_alu instid0(SALU_CYCLE_1)
	s_and_not1_b32 vcc_lo, exec_lo, s1
	s_cbranch_vccnz .LBB150_2809
; %bb.2808:
	s_wait_loadcnt 0x0
	global_load_b32 v14, v[16:17], off
.LBB150_2809:
	s_mov_b32 s1, 0
.LBB150_2810:
	s_delay_alu instid0(SALU_CYCLE_1)
	s_and_not1_b32 vcc_lo, exec_lo, s1
	s_cbranch_vccnz .LBB150_2812
; %bb.2811:
	s_wait_loadcnt 0x0
	global_load_u16 v14, v[16:17], off
	s_wait_loadcnt 0x0
	v_cvt_f32_f16_e32 v14, v14
.LBB150_2812:
	s_wait_loadcnt 0x0
	v_mov_b32_e32 v15, 0
.LBB150_2813:
	s_mov_b32 s1, 0
.LBB150_2814:
	s_delay_alu instid0(SALU_CYCLE_1)
	s_and_not1_b32 vcc_lo, exec_lo, s1
	s_cbranch_vccnz .LBB150_2835
; %bb.2815:
	s_cmp_lt_i32 s0, 2
	s_cbranch_scc1 .LBB150_2819
; %bb.2816:
	s_cmp_lt_i32 s0, 3
	s_cbranch_scc1 .LBB150_2820
; %bb.2817:
	s_cmp_gt_i32 s0, 3
	s_cbranch_scc0 .LBB150_2821
; %bb.2818:
	s_wait_loadcnt 0x0
	global_load_b64 v[14:15], v[16:17], off
	s_mov_b32 s1, 0
	s_wait_loadcnt 0x0
	v_xor_b32_e32 v19, v14, v15
	v_cls_i32_e32 v20, v15
	s_delay_alu instid0(VALU_DEP_2) | instskip(NEXT) | instid1(VALU_DEP_1)
	v_ashrrev_i32_e32 v19, 31, v19
	v_add_nc_u32_e32 v19, 32, v19
	s_delay_alu instid0(VALU_DEP_1) | instskip(NEXT) | instid1(VALU_DEP_1)
	v_add_min_u32_e64 v19, v20, -1, v19
	v_lshlrev_b64_e32 v[14:15], v19, v[14:15]
	s_delay_alu instid0(VALU_DEP_1) | instskip(NEXT) | instid1(VALU_DEP_1)
	v_min_u32_e32 v14, 1, v14
	v_dual_sub_nc_u32 v15, 32, v19 :: v_dual_bitop2_b32 v14, v15, v14 bitop3:0x54
	s_delay_alu instid0(VALU_DEP_1) | instskip(NEXT) | instid1(VALU_DEP_1)
	v_cvt_f32_i32_e32 v14, v14
	v_ldexp_f32 v14, v14, v15
	s_branch .LBB150_2822
.LBB150_2819:
	s_mov_b32 s1, -1
                                        ; implicit-def: $vgpr14
	s_branch .LBB150_2828
.LBB150_2820:
	s_mov_b32 s1, -1
                                        ; implicit-def: $vgpr14
	s_branch .LBB150_2825
.LBB150_2821:
	s_mov_b32 s1, -1
                                        ; implicit-def: $vgpr14
.LBB150_2822:
	s_delay_alu instid0(SALU_CYCLE_1)
	s_and_not1_b32 vcc_lo, exec_lo, s1
	s_cbranch_vccnz .LBB150_2824
; %bb.2823:
	s_wait_loadcnt 0x0
	global_load_b32 v14, v[16:17], off
	s_wait_loadcnt 0x0
	v_cvt_f32_i32_e32 v14, v14
.LBB150_2824:
	s_mov_b32 s1, 0
.LBB150_2825:
	s_delay_alu instid0(SALU_CYCLE_1)
	s_and_not1_b32 vcc_lo, exec_lo, s1
	s_cbranch_vccnz .LBB150_2827
; %bb.2826:
	s_wait_loadcnt 0x0
	global_load_i16 v14, v[16:17], off
	s_wait_loadcnt 0x0
	v_cvt_f32_i32_e32 v14, v14
.LBB150_2827:
	s_mov_b32 s1, 0
.LBB150_2828:
	s_delay_alu instid0(SALU_CYCLE_1)
	s_and_not1_b32 vcc_lo, exec_lo, s1
	s_cbranch_vccnz .LBB150_2834
; %bb.2829:
	s_cmp_gt_i32 s0, 0
	s_mov_b32 s0, 0
	s_cbranch_scc0 .LBB150_2831
; %bb.2830:
	s_wait_loadcnt 0x0
	global_load_i8 v14, v[16:17], off
	s_wait_loadcnt 0x0
	v_cvt_f32_i32_e32 v14, v14
	s_branch .LBB150_2832
.LBB150_2831:
	s_mov_b32 s0, -1
                                        ; implicit-def: $vgpr14
.LBB150_2832:
	s_delay_alu instid0(SALU_CYCLE_1)
	s_and_not1_b32 vcc_lo, exec_lo, s0
	s_cbranch_vccnz .LBB150_2834
; %bb.2833:
	s_wait_loadcnt 0x0
	global_load_u8 v14, v[16:17], off
	s_wait_loadcnt 0x0
	v_cvt_f32_ubyte0_e32 v14, v14
.LBB150_2834:
	s_wait_loadcnt 0x0
	v_mov_b32_e32 v15, 0
.LBB150_2835:
	s_mov_b32 s5, -1
.LBB150_2836:
	s_delay_alu instid0(SALU_CYCLE_1)
	s_and_not1_b32 vcc_lo, exec_lo, s5
	s_cbranch_vccnz .LBB150_3270
; %bb.2837:
	s_mov_b32 s4, s7
	s_mov_b32 s5, s6
	v_mov_b64_e32 v[20:21], s[6:7]
	s_wait_xcnt 0x0
	v_mov_b64_e32 v[16:17], s[4:5]
	s_wait_loadcnt 0x0
	v_dual_mov_b32 v24, v3 :: v_dual_mov_b32 v25, v2
	s_and_b32 s19, s15, 0xff
	s_delay_alu instid0(SALU_CYCLE_1) | instskip(NEXT) | instid1(VALU_DEP_2)
	s_cmp_lt_i32 s19, 11
	v_pk_mul_f32 v[22:23], v[0:1], v[16:17]
	v_mul_lo_u32 v16, s14, v18
	v_pk_mul_f32 v[0:1], v[0:1], v[20:21]
	s_delay_alu instid0(VALU_DEP_3) | instskip(NEXT) | instid1(VALU_DEP_2)
	v_add_f32_e32 v18, v22, v23
	v_pk_add_f32 v[20:21], v[0:1], v[0:1] op_sel:[0,1] op_sel_hi:[0,1] neg_lo:[0,1] neg_hi:[0,1]
	s_delay_alu instid0(VALU_DEP_4) | instskip(NEXT) | instid1(VALU_DEP_3)
	v_ashrrev_i32_e32 v17, 31, v16
	v_pk_mul_f32 v[22:23], v[18:19], v[24:25] op_sel_hi:[0,1]
	s_delay_alu instid0(VALU_DEP_2) | instskip(NEXT) | instid1(VALU_DEP_2)
	v_add_nc_u64_e32 v[0:1], s[2:3], v[16:17]
	v_pk_fma_f32 v[18:19], v[20:21], v[2:3], v[22:23]
	v_pk_fma_f32 v[2:3], v[20:21], v[2:3], v[22:23] neg_lo:[0,0,1] neg_hi:[0,0,1]
	s_delay_alu instid0(VALU_DEP_2)
	v_mov_b32_e32 v3, v19
	s_cbranch_scc1 .LBB150_2915
; %bb.2838:
	s_and_b32 s1, 0xffff, s19
	s_mov_b32 s10, -1
	s_mov_b32 s8, 0
	s_cmp_gt_i32 s1, 25
	s_mov_b32 s9, 0
	s_mov_b32 s0, 0
	s_cbranch_scc0 .LBB150_2871
; %bb.2839:
	s_cmp_gt_i32 s1, 28
	s_cbranch_scc0 .LBB150_2854
; %bb.2840:
	s_cmp_gt_i32 s1, 43
	;; [unrolled: 3-line block ×3, first 2 shown]
	s_cbranch_scc0 .LBB150_2844
; %bb.2842:
	s_mov_b32 s0, -1
	s_mov_b32 s10, 0
	s_cmp_eq_u32 s1, 46
	s_cbranch_scc0 .LBB150_2844
; %bb.2843:
	v_dual_lshrrev_b32 v17, 16, v2 :: v_dual_lshrrev_b32 v18, 16, v3
	v_cmp_o_f32_e32 vcc_lo, v2, v2
	s_mov_b32 s0, 0
	s_mov_b32 s9, -1
	s_delay_alu instid0(VALU_DEP_2) | instskip(NEXT) | instid1(VALU_DEP_1)
	v_and_b32_e32 v17, 1, v17
	v_add3_u32 v17, v2, v17, 0x7fff
	s_delay_alu instid0(VALU_DEP_1) | instskip(NEXT) | instid1(VALU_DEP_1)
	v_dual_lshrrev_b32 v17, 16, v17 :: v_dual_bitop2_b32 v18, 1, v18 bitop3:0x40
	v_add3_u32 v18, v3, v18, 0x7fff
	s_delay_alu instid0(VALU_DEP_2) | instskip(NEXT) | instid1(VALU_DEP_2)
	v_cndmask_b32_e32 v17, 0x7fc0, v17, vcc_lo
	v_and_b32_e32 v18, 0xffff0000, v18
	v_cmp_o_f32_e32 vcc_lo, v19, v19
	s_delay_alu instid0(VALU_DEP_2) | instskip(NEXT) | instid1(VALU_DEP_1)
	v_cndmask_b32_e32 v18, 0x7fc00000, v18, vcc_lo
	v_or_b32_e32 v17, v18, v17
	global_store_b32 v[0:1], v17, off
.LBB150_2844:
	s_and_b32 vcc_lo, exec_lo, s10
	s_cbranch_vccz .LBB150_2849
; %bb.2845:
	s_cmp_eq_u32 s1, 44
	s_mov_b32 s0, -1
	s_cbranch_scc0 .LBB150_2849
; %bb.2846:
	v_bfe_u32 v18, v2, 23, 8
	s_wait_xcnt 0x0
	v_mov_b32_e32 v17, 0xff
	s_mov_b32 s9, exec_lo
	s_delay_alu instid0(VALU_DEP_2)
	v_cmpx_ne_u32_e32 0xff, v18
	s_cbranch_execz .LBB150_2848
; %bb.2847:
	v_and_b32_e32 v17, 0x400000, v2
	v_and_or_b32 v18, 0x3fffff, v2, v18
	s_delay_alu instid0(VALU_DEP_2) | instskip(NEXT) | instid1(VALU_DEP_2)
	v_cmp_ne_u32_e32 vcc_lo, 0, v17
	v_cmp_ne_u32_e64 s0, 0, v18
	v_lshrrev_b32_e32 v17, 23, v2
	s_and_b32 s0, vcc_lo, s0
	s_delay_alu instid0(SALU_CYCLE_1) | instskip(NEXT) | instid1(VALU_DEP_1)
	v_cndmask_b32_e64 v18, 0, 1, s0
	v_add_nc_u32_e32 v17, v17, v18
.LBB150_2848:
	s_or_b32 exec_lo, exec_lo, s9
	s_mov_b32 s0, 0
	s_mov_b32 s9, -1
	global_store_b8 v[0:1], v17, off
.LBB150_2849:
	s_mov_b32 s10, 0
.LBB150_2850:
	s_delay_alu instid0(SALU_CYCLE_1)
	s_and_b32 vcc_lo, exec_lo, s10
	s_cbranch_vccz .LBB150_2853
; %bb.2851:
	s_cmp_eq_u32 s1, 29
	s_mov_b32 s0, -1
	s_cbranch_scc0 .LBB150_2853
; %bb.2852:
	s_wait_xcnt 0x0
	v_trunc_f32_e32 v17, v2
	s_mov_b32 s0, 0
	s_mov_b32 s9, -1
	s_delay_alu instid0(VALU_DEP_1) | instskip(NEXT) | instid1(VALU_DEP_1)
	v_mul_f32_e32 v18, 0x2f800000, v17
	v_floor_f32_e32 v18, v18
	s_delay_alu instid0(VALU_DEP_1) | instskip(SKIP_1) | instid1(VALU_DEP_2)
	v_fmamk_f32 v17, v18, 0xcf800000, v17
	v_cvt_u32_f32_e32 v21, v18
	v_cvt_u32_f32_e32 v20, v17
	global_store_b64 v[0:1], v[20:21], off
.LBB150_2853:
	s_mov_b32 s10, 0
.LBB150_2854:
	s_delay_alu instid0(SALU_CYCLE_1)
	s_and_b32 vcc_lo, exec_lo, s10
	s_cbranch_vccz .LBB150_2870
; %bb.2855:
	s_cmp_lt_i32 s1, 27
	s_mov_b32 s9, -1
	s_cbranch_scc1 .LBB150_2861
; %bb.2856:
	s_wait_xcnt 0x0
	v_cvt_u32_f32_e32 v17, v2
	s_cmp_gt_i32 s1, 27
	s_cbranch_scc0 .LBB150_2858
; %bb.2857:
	s_mov_b32 s9, 0
	global_store_b32 v[0:1], v17, off
.LBB150_2858:
	s_and_not1_b32 vcc_lo, exec_lo, s9
	s_cbranch_vccnz .LBB150_2860
; %bb.2859:
	global_store_b16 v[0:1], v17, off
.LBB150_2860:
	s_mov_b32 s9, 0
.LBB150_2861:
	s_delay_alu instid0(SALU_CYCLE_1)
	s_and_not1_b32 vcc_lo, exec_lo, s9
	s_cbranch_vccnz .LBB150_2869
; %bb.2862:
	s_wait_xcnt 0x0
	v_and_b32_e32 v17, 0x7fffffff, v2
	v_mov_b32_e32 v18, 0x80
	s_mov_b32 s9, exec_lo
	s_delay_alu instid0(VALU_DEP_2)
	v_cmpx_gt_u32_e32 0x43800000, v17
	s_cbranch_execz .LBB150_2868
; %bb.2863:
	v_cmp_lt_u32_e32 vcc_lo, 0x3bffffff, v17
	s_mov_b32 s10, 0
                                        ; implicit-def: $vgpr17
	s_and_saveexec_b32 s11, vcc_lo
	s_delay_alu instid0(SALU_CYCLE_1)
	s_xor_b32 s11, exec_lo, s11
	s_cbranch_execz .LBB150_3316
; %bb.2864:
	v_bfe_u32 v17, v2, 20, 1
	s_mov_b32 s10, exec_lo
	s_delay_alu instid0(VALU_DEP_1) | instskip(NEXT) | instid1(VALU_DEP_1)
	v_add3_u32 v17, v2, v17, 0x487ffff
	v_lshrrev_b32_e32 v17, 20, v17
	s_and_not1_saveexec_b32 s11, s11
	s_cbranch_execnz .LBB150_3317
.LBB150_2865:
	s_or_b32 exec_lo, exec_lo, s11
	v_mov_b32_e32 v18, 0
	s_and_saveexec_b32 s11, s10
.LBB150_2866:
	v_lshrrev_b32_e32 v18, 24, v2
	s_delay_alu instid0(VALU_DEP_1)
	v_and_or_b32 v18, 0x80, v18, v17
.LBB150_2867:
	s_or_b32 exec_lo, exec_lo, s11
.LBB150_2868:
	s_delay_alu instid0(SALU_CYCLE_1)
	s_or_b32 exec_lo, exec_lo, s9
	global_store_b8 v[0:1], v18, off
.LBB150_2869:
	s_mov_b32 s9, -1
.LBB150_2870:
	s_mov_b32 s10, 0
.LBB150_2871:
	s_delay_alu instid0(SALU_CYCLE_1)
	s_and_b32 vcc_lo, exec_lo, s10
	s_cbranch_vccz .LBB150_2911
; %bb.2872:
	s_cmp_gt_i32 s1, 22
	s_mov_b32 s8, -1
	s_cbranch_scc0 .LBB150_2904
; %bb.2873:
	s_cmp_lt_i32 s1, 24
	s_cbranch_scc1 .LBB150_2893
; %bb.2874:
	s_cmp_gt_i32 s1, 24
	s_cbranch_scc0 .LBB150_2882
; %bb.2875:
	s_wait_xcnt 0x0
	v_and_b32_e32 v17, 0x7fffffff, v2
	v_mov_b32_e32 v18, 0x80
	s_mov_b32 s8, exec_lo
	s_delay_alu instid0(VALU_DEP_2)
	v_cmpx_gt_u32_e32 0x47800000, v17
	s_cbranch_execz .LBB150_2881
; %bb.2876:
	v_cmp_lt_u32_e32 vcc_lo, 0x37ffffff, v17
	s_mov_b32 s9, 0
                                        ; implicit-def: $vgpr17
	s_and_saveexec_b32 s10, vcc_lo
	s_delay_alu instid0(SALU_CYCLE_1)
	s_xor_b32 s10, exec_lo, s10
	s_cbranch_execz .LBB150_3321
; %bb.2877:
	v_bfe_u32 v17, v2, 21, 1
	s_mov_b32 s9, exec_lo
	s_delay_alu instid0(VALU_DEP_1) | instskip(NEXT) | instid1(VALU_DEP_1)
	v_add3_u32 v17, v2, v17, 0x88fffff
	v_lshrrev_b32_e32 v17, 21, v17
	s_and_not1_saveexec_b32 s10, s10
	s_cbranch_execnz .LBB150_3322
.LBB150_2878:
	s_or_b32 exec_lo, exec_lo, s10
	v_mov_b32_e32 v18, 0
	s_and_saveexec_b32 s10, s9
.LBB150_2879:
	v_lshrrev_b32_e32 v18, 24, v2
	s_delay_alu instid0(VALU_DEP_1)
	v_and_or_b32 v18, 0x80, v18, v17
.LBB150_2880:
	s_or_b32 exec_lo, exec_lo, s10
.LBB150_2881:
	s_delay_alu instid0(SALU_CYCLE_1)
	s_or_b32 exec_lo, exec_lo, s8
	s_mov_b32 s8, 0
	global_store_b8 v[0:1], v18, off
.LBB150_2882:
	s_and_b32 vcc_lo, exec_lo, s8
	s_cbranch_vccz .LBB150_2892
; %bb.2883:
	s_wait_xcnt 0x0
	v_and_b32_e32 v18, 0x7fffffff, v2
	s_mov_b32 s8, exec_lo
                                        ; implicit-def: $vgpr17
	s_delay_alu instid0(VALU_DEP_1)
	v_cmpx_gt_u32_e32 0x43f00000, v18
	s_xor_b32 s8, exec_lo, s8
	s_cbranch_execz .LBB150_2889
; %bb.2884:
	s_mov_b32 s9, exec_lo
                                        ; implicit-def: $vgpr17
	v_cmpx_lt_u32_e32 0x3c7fffff, v18
	s_xor_b32 s9, exec_lo, s9
; %bb.2885:
	v_bfe_u32 v17, v2, 20, 1
	s_delay_alu instid0(VALU_DEP_1) | instskip(NEXT) | instid1(VALU_DEP_1)
	v_add3_u32 v17, v2, v17, 0x407ffff
	v_and_b32_e32 v18, 0xff00000, v17
	v_lshrrev_b32_e32 v17, 20, v17
	s_delay_alu instid0(VALU_DEP_2) | instskip(NEXT) | instid1(VALU_DEP_2)
	v_cmp_ne_u32_e32 vcc_lo, 0x7f00000, v18
	v_cndmask_b32_e32 v17, 0x7e, v17, vcc_lo
; %bb.2886:
	s_and_not1_saveexec_b32 s9, s9
; %bb.2887:
	v_add_f32_e64 v17, 0x46800000, |v2|
; %bb.2888:
	s_or_b32 exec_lo, exec_lo, s9
                                        ; implicit-def: $vgpr18
.LBB150_2889:
	s_and_not1_saveexec_b32 s8, s8
; %bb.2890:
	v_mov_b32_e32 v17, 0x7f
	v_cmp_lt_u32_e32 vcc_lo, 0x7f800000, v18
	s_delay_alu instid0(VALU_DEP_2)
	v_cndmask_b32_e32 v17, 0x7e, v17, vcc_lo
; %bb.2891:
	s_or_b32 exec_lo, exec_lo, s8
	v_lshrrev_b32_e32 v18, 24, v2
	s_delay_alu instid0(VALU_DEP_1)
	v_and_or_b32 v17, 0x80, v18, v17
	global_store_b8 v[0:1], v17, off
.LBB150_2892:
	s_mov_b32 s8, 0
.LBB150_2893:
	s_delay_alu instid0(SALU_CYCLE_1)
	s_and_not1_b32 vcc_lo, exec_lo, s8
	s_cbranch_vccnz .LBB150_2903
; %bb.2894:
	s_wait_xcnt 0x0
	v_and_b32_e32 v18, 0x7fffffff, v2
	s_mov_b32 s8, exec_lo
                                        ; implicit-def: $vgpr17
	s_delay_alu instid0(VALU_DEP_1)
	v_cmpx_gt_u32_e32 0x47800000, v18
	s_xor_b32 s8, exec_lo, s8
	s_cbranch_execz .LBB150_2900
; %bb.2895:
	s_mov_b32 s9, exec_lo
                                        ; implicit-def: $vgpr17
	v_cmpx_lt_u32_e32 0x387fffff, v18
	s_xor_b32 s9, exec_lo, s9
; %bb.2896:
	v_bfe_u32 v17, v2, 21, 1
	s_delay_alu instid0(VALU_DEP_1) | instskip(NEXT) | instid1(VALU_DEP_1)
	v_add3_u32 v17, v2, v17, 0x80fffff
	v_lshrrev_b32_e32 v17, 21, v17
; %bb.2897:
	s_and_not1_saveexec_b32 s9, s9
; %bb.2898:
	v_add_f32_e64 v17, 0x43000000, |v2|
; %bb.2899:
	s_or_b32 exec_lo, exec_lo, s9
                                        ; implicit-def: $vgpr18
.LBB150_2900:
	s_and_not1_saveexec_b32 s8, s8
; %bb.2901:
	v_mov_b32_e32 v17, 0x7f
	v_cmp_lt_u32_e32 vcc_lo, 0x7f800000, v18
	s_delay_alu instid0(VALU_DEP_2)
	v_cndmask_b32_e32 v17, 0x7c, v17, vcc_lo
; %bb.2902:
	s_or_b32 exec_lo, exec_lo, s8
	v_lshrrev_b32_e32 v18, 24, v2
	s_delay_alu instid0(VALU_DEP_1)
	v_and_or_b32 v17, 0x80, v18, v17
	global_store_b8 v[0:1], v17, off
.LBB150_2903:
	s_mov_b32 s8, 0
	s_mov_b32 s9, -1
.LBB150_2904:
	s_and_not1_b32 vcc_lo, exec_lo, s8
	s_mov_b32 s8, 0
	s_cbranch_vccnz .LBB150_2911
; %bb.2905:
	s_cmp_gt_i32 s1, 14
	s_mov_b32 s8, -1
	s_cbranch_scc0 .LBB150_2909
; %bb.2906:
	s_cmp_eq_u32 s1, 15
	s_mov_b32 s0, -1
	s_cbranch_scc0 .LBB150_2908
; %bb.2907:
	s_wait_xcnt 0x0
	v_bfe_u32 v17, v2, 16, 1
	v_cmp_o_f32_e32 vcc_lo, v2, v2
	s_mov_b32 s0, 0
	s_mov_b32 s9, -1
	s_delay_alu instid0(VALU_DEP_2) | instskip(NEXT) | instid1(VALU_DEP_1)
	v_add3_u32 v17, v2, v17, 0x7fff
	v_lshrrev_b32_e32 v17, 16, v17
	s_delay_alu instid0(VALU_DEP_1)
	v_cndmask_b32_e32 v17, 0x7fc0, v17, vcc_lo
	global_store_b16 v[0:1], v17, off
.LBB150_2908:
	s_mov_b32 s8, 0
.LBB150_2909:
	s_delay_alu instid0(SALU_CYCLE_1)
	s_and_b32 vcc_lo, exec_lo, s8
	s_mov_b32 s8, 0
	s_cbranch_vccz .LBB150_2911
; %bb.2910:
	s_cmp_lg_u32 s1, 11
	s_mov_b32 s8, -1
	s_cselect_b32 s0, -1, 0
.LBB150_2911:
	s_delay_alu instid0(SALU_CYCLE_1)
	s_and_b32 vcc_lo, exec_lo, s0
	s_cbranch_vccnz .LBB150_3320
; %bb.2912:
	s_and_not1_b32 vcc_lo, exec_lo, s8
	s_cbranch_vccnz .LBB150_2914
.LBB150_2913:
	v_cmp_neq_f32_e32 vcc_lo, 0, v2
	v_cmp_neq_f32_e64 s0, 0, v19
	s_mov_b32 s9, -1
	s_or_b32 s0, vcc_lo, s0
	s_wait_xcnt 0x0
	v_cndmask_b32_e64 v17, 0, 1, s0
	global_store_b8 v[0:1], v17, off
.LBB150_2914:
	s_mov_b32 s0, 0
	s_branch .LBB150_2916
.LBB150_2915:
	s_mov_b32 s0, -1
	s_mov_b32 s9, 0
.LBB150_2916:
	s_and_b32 vcc_lo, exec_lo, s0
	s_cbranch_vccz .LBB150_2955
; %bb.2917:
	s_and_b32 s0, 0xffff, s19
	s_mov_b32 s1, -1
	s_cmp_lt_i32 s0, 5
	s_cbranch_scc1 .LBB150_2938
; %bb.2918:
	s_cmp_lt_i32 s0, 8
	s_cbranch_scc1 .LBB150_2928
; %bb.2919:
	;; [unrolled: 3-line block ×3, first 2 shown]
	s_cmp_gt_i32 s0, 9
	s_cbranch_scc0 .LBB150_2922
; %bb.2921:
	s_wait_xcnt 0x0
	v_cvt_f64_f32_e32 v[20:21], v2
	v_cvt_f64_f32_e32 v[22:23], v19
	s_mov_b32 s1, 0
	global_store_b128 v[0:1], v[20:23], off
.LBB150_2922:
	s_and_not1_b32 vcc_lo, exec_lo, s1
	s_cbranch_vccnz .LBB150_2924
; %bb.2923:
	global_store_b64 v[0:1], v[2:3], off
.LBB150_2924:
	s_mov_b32 s1, 0
.LBB150_2925:
	s_delay_alu instid0(SALU_CYCLE_1)
	s_and_not1_b32 vcc_lo, exec_lo, s1
	s_cbranch_vccnz .LBB150_2927
; %bb.2926:
	s_wait_xcnt 0x0
	v_cvt_f16_f32_e32 v3, v19
	v_cvt_f16_f32_e32 v17, v2
	s_delay_alu instid0(VALU_DEP_2) | instskip(NEXT) | instid1(VALU_DEP_2)
	v_lshlrev_b32_e32 v3, 16, v3
	v_and_b32_e32 v17, 0xffff, v17
	s_delay_alu instid0(VALU_DEP_1)
	v_or_b32_e32 v3, v3, v17
	global_store_b32 v[0:1], v3, off
.LBB150_2927:
	s_mov_b32 s1, 0
.LBB150_2928:
	s_delay_alu instid0(SALU_CYCLE_1)
	s_and_not1_b32 vcc_lo, exec_lo, s1
	s_cbranch_vccnz .LBB150_2937
; %bb.2929:
	s_cmp_lt_i32 s0, 6
	s_mov_b32 s1, -1
	s_cbranch_scc1 .LBB150_2935
; %bb.2930:
	s_cmp_gt_i32 s0, 6
	s_cbranch_scc0 .LBB150_2932
; %bb.2931:
	s_wait_xcnt 0x0
	v_cvt_f64_f32_e32 v[18:19], v2
	s_mov_b32 s1, 0
	global_store_b64 v[0:1], v[18:19], off
.LBB150_2932:
	s_and_not1_b32 vcc_lo, exec_lo, s1
	s_cbranch_vccnz .LBB150_2934
; %bb.2933:
	global_store_b32 v[0:1], v2, off
.LBB150_2934:
	s_mov_b32 s1, 0
.LBB150_2935:
	s_delay_alu instid0(SALU_CYCLE_1)
	s_and_not1_b32 vcc_lo, exec_lo, s1
	s_cbranch_vccnz .LBB150_2937
; %bb.2936:
	s_wait_xcnt 0x0
	v_cvt_f16_f32_e32 v3, v2
	global_store_b16 v[0:1], v3, off
.LBB150_2937:
	s_mov_b32 s1, 0
.LBB150_2938:
	s_delay_alu instid0(SALU_CYCLE_1)
	s_and_not1_b32 vcc_lo, exec_lo, s1
	s_cbranch_vccnz .LBB150_2954
; %bb.2939:
	s_cmp_lt_i32 s0, 2
	s_mov_b32 s1, -1
	s_cbranch_scc1 .LBB150_2949
; %bb.2940:
	s_cmp_lt_i32 s0, 3
	s_cbranch_scc1 .LBB150_2946
; %bb.2941:
	s_cmp_gt_i32 s0, 3
	s_cbranch_scc0 .LBB150_2943
; %bb.2942:
	s_wait_xcnt 0x0
	v_trunc_f32_e32 v3, v2
	s_mov_b32 s1, 0
	s_delay_alu instid0(VALU_DEP_1) | instskip(SKIP_1) | instid1(VALU_DEP_2)
	v_mul_f32_e64 v17, 0x2f800000, |v3|
	v_ashrrev_i32_e32 v18, 31, v3
	v_floor_f32_e32 v17, v17
	s_delay_alu instid0(VALU_DEP_1) | instskip(SKIP_1) | instid1(VALU_DEP_2)
	v_fma_f32 v19, 0xcf800000, v17, |v3|
	v_cvt_u32_f32_e32 v3, v17
	v_cvt_u32_f32_e32 v17, v19
	s_delay_alu instid0(VALU_DEP_2) | instskip(NEXT) | instid1(VALU_DEP_2)
	v_dual_mov_b32 v19, v18 :: v_dual_bitop2_b32 v21, v3, v18 bitop3:0x14
	v_xor_b32_e32 v20, v17, v18
	s_delay_alu instid0(VALU_DEP_1)
	v_sub_nc_u64_e32 v[18:19], v[20:21], v[18:19]
	global_store_b64 v[0:1], v[18:19], off
.LBB150_2943:
	s_and_not1_b32 vcc_lo, exec_lo, s1
	s_cbranch_vccnz .LBB150_2945
; %bb.2944:
	s_wait_xcnt 0x0
	v_cvt_i32_f32_e32 v3, v2
	global_store_b32 v[0:1], v3, off
.LBB150_2945:
	s_mov_b32 s1, 0
.LBB150_2946:
	s_delay_alu instid0(SALU_CYCLE_1)
	s_and_not1_b32 vcc_lo, exec_lo, s1
	s_cbranch_vccnz .LBB150_2948
; %bb.2947:
	s_wait_xcnt 0x0
	v_cvt_i32_f32_e32 v3, v2
	global_store_b16 v[0:1], v3, off
.LBB150_2948:
	s_mov_b32 s1, 0
.LBB150_2949:
	s_delay_alu instid0(SALU_CYCLE_1)
	s_and_not1_b32 vcc_lo, exec_lo, s1
	s_cbranch_vccnz .LBB150_2954
; %bb.2950:
	s_cmp_gt_i32 s0, 0
	s_mov_b32 s0, -1
	s_cbranch_scc0 .LBB150_2952
; %bb.2951:
	s_wait_xcnt 0x0
	v_cvt_i32_f32_e32 v3, v2
	s_mov_b32 s0, 0
	global_store_b8 v[0:1], v3, off
.LBB150_2952:
	s_and_not1_b32 vcc_lo, exec_lo, s0
	s_cbranch_vccnz .LBB150_2954
; %bb.2953:
	s_wait_xcnt 0x0
	v_trunc_f32_e32 v2, v2
	s_delay_alu instid0(VALU_DEP_1) | instskip(NEXT) | instid1(VALU_DEP_1)
	v_mul_f32_e64 v3, 0x2f800000, |v2|
	v_floor_f32_e32 v3, v3
	s_delay_alu instid0(VALU_DEP_1) | instskip(SKIP_1) | instid1(VALU_DEP_2)
	v_fma_f32 v3, 0xcf800000, v3, |v2|
	v_ashrrev_i32_e32 v2, 31, v2
	v_cvt_u32_f32_e32 v3, v3
	s_delay_alu instid0(VALU_DEP_1) | instskip(NEXT) | instid1(VALU_DEP_1)
	v_xor_b32_e32 v3, v3, v2
	v_sub_nc_u32_e32 v2, v3, v2
	global_store_b8 v[0:1], v2, off
.LBB150_2954:
	s_mov_b32 s9, -1
.LBB150_2955:
	s_delay_alu instid0(SALU_CYCLE_1)
	s_and_not1_b32 vcc_lo, exec_lo, s9
	s_cbranch_vccnz .LBB150_3270
; %bb.2956:
	s_wait_xcnt 0x0
	v_mov_b64_e32 v[0:1], s[4:5]
	v_mov_b64_e32 v[2:3], s[6:7]
	s_lshl_b32 s1, s14, 7
	v_mov_b32_e32 v19, v6
	s_cmp_lt_i32 s19, 11
	s_delay_alu instid0(VALU_DEP_3) | instskip(SKIP_1) | instid1(VALU_DEP_4)
	v_pk_mul_f32 v[0:1], v[4:5], v[0:1]
	v_mov_b32_e32 v18, v7
	v_pk_mul_f32 v[2:3], v[4:5], v[2:3]
	s_delay_alu instid0(VALU_DEP_3) | instskip(NEXT) | instid1(VALU_DEP_2)
	v_dual_add_f32 v4, v0, v1 :: v_dual_add_nc_u32 v0, s1, v16
	v_pk_add_f32 v[20:21], v[2:3], v[2:3] op_sel:[0,1] op_sel_hi:[0,1] neg_lo:[0,1] neg_hi:[0,1]
	s_delay_alu instid0(VALU_DEP_2) | instskip(NEXT) | instid1(VALU_DEP_1)
	v_pk_mul_f32 v[4:5], v[4:5], v[18:19] op_sel_hi:[0,1]
	v_pk_fma_f32 v[16:17], v[20:21], v[6:7], v[4:5]
	s_delay_alu instid0(VALU_DEP_4) | instskip(SKIP_1) | instid1(VALU_DEP_3)
	v_ashrrev_i32_e32 v1, 31, v0
	v_pk_fma_f32 v[4:5], v[20:21], v[6:7], v[4:5] neg_lo:[0,0,1] neg_hi:[0,0,1]
	v_mov_b32_e32 v5, v17
	s_delay_alu instid0(VALU_DEP_3)
	v_add_nc_u64_e32 v[2:3], s[2:3], v[0:1]
	s_cbranch_scc1 .LBB150_3034
; %bb.2957:
	s_and_b32 s8, 0xffff, s19
	s_mov_b32 s11, -1
	s_mov_b32 s9, 0
	s_cmp_gt_i32 s8, 25
	s_mov_b32 s10, 0
	s_mov_b32 s0, 0
	s_cbranch_scc0 .LBB150_2990
; %bb.2958:
	s_cmp_gt_i32 s8, 28
	s_cbranch_scc0 .LBB150_2973
; %bb.2959:
	s_cmp_gt_i32 s8, 43
	;; [unrolled: 3-line block ×3, first 2 shown]
	s_cbranch_scc0 .LBB150_2963
; %bb.2961:
	s_mov_b32 s0, -1
	s_mov_b32 s11, 0
	s_cmp_eq_u32 s8, 46
	s_cbranch_scc0 .LBB150_2963
; %bb.2962:
	v_dual_lshrrev_b32 v1, 16, v4 :: v_dual_lshrrev_b32 v6, 16, v5
	v_cmp_o_f32_e32 vcc_lo, v4, v4
	s_mov_b32 s0, 0
	s_mov_b32 s10, -1
	s_delay_alu instid0(VALU_DEP_2) | instskip(NEXT) | instid1(VALU_DEP_1)
	v_and_b32_e32 v1, 1, v1
	v_add3_u32 v1, v4, v1, 0x7fff
	s_delay_alu instid0(VALU_DEP_1) | instskip(NEXT) | instid1(VALU_DEP_1)
	v_dual_lshrrev_b32 v1, 16, v1 :: v_dual_bitop2_b32 v6, 1, v6 bitop3:0x40
	v_add3_u32 v6, v5, v6, 0x7fff
	s_delay_alu instid0(VALU_DEP_2) | instskip(NEXT) | instid1(VALU_DEP_2)
	v_cndmask_b32_e32 v1, 0x7fc0, v1, vcc_lo
	v_and_b32_e32 v6, 0xffff0000, v6
	v_cmp_o_f32_e32 vcc_lo, v17, v17
	s_delay_alu instid0(VALU_DEP_2) | instskip(NEXT) | instid1(VALU_DEP_1)
	v_cndmask_b32_e32 v6, 0x7fc00000, v6, vcc_lo
	v_or_b32_e32 v1, v6, v1
	global_store_b32 v[2:3], v1, off
.LBB150_2963:
	s_and_b32 vcc_lo, exec_lo, s11
	s_cbranch_vccz .LBB150_2968
; %bb.2964:
	s_cmp_eq_u32 s8, 44
	s_mov_b32 s0, -1
	s_cbranch_scc0 .LBB150_2968
; %bb.2965:
	v_bfe_u32 v6, v4, 23, 8
	s_wait_xcnt 0x0
	v_mov_b32_e32 v1, 0xff
	s_mov_b32 s10, exec_lo
	s_delay_alu instid0(VALU_DEP_2)
	v_cmpx_ne_u32_e32 0xff, v6
	s_cbranch_execz .LBB150_2967
; %bb.2966:
	v_and_b32_e32 v1, 0x400000, v4
	v_and_or_b32 v6, 0x3fffff, v4, v6
	s_delay_alu instid0(VALU_DEP_2) | instskip(NEXT) | instid1(VALU_DEP_2)
	v_cmp_ne_u32_e32 vcc_lo, 0, v1
	v_cmp_ne_u32_e64 s0, 0, v6
	v_lshrrev_b32_e32 v1, 23, v4
	s_and_b32 s0, vcc_lo, s0
	s_delay_alu instid0(SALU_CYCLE_1) | instskip(NEXT) | instid1(VALU_DEP_1)
	v_cndmask_b32_e64 v6, 0, 1, s0
	v_add_nc_u32_e32 v1, v1, v6
.LBB150_2967:
	s_or_b32 exec_lo, exec_lo, s10
	s_mov_b32 s0, 0
	s_mov_b32 s10, -1
	global_store_b8 v[2:3], v1, off
.LBB150_2968:
	s_mov_b32 s11, 0
.LBB150_2969:
	s_delay_alu instid0(SALU_CYCLE_1)
	s_and_b32 vcc_lo, exec_lo, s11
	s_cbranch_vccz .LBB150_2972
; %bb.2970:
	s_cmp_eq_u32 s8, 29
	s_mov_b32 s0, -1
	s_cbranch_scc0 .LBB150_2972
; %bb.2971:
	s_wait_xcnt 0x0
	v_trunc_f32_e32 v1, v4
	s_mov_b32 s0, 0
	s_mov_b32 s10, -1
	s_delay_alu instid0(VALU_DEP_1) | instskip(NEXT) | instid1(VALU_DEP_1)
	v_mul_f32_e32 v6, 0x2f800000, v1
	v_floor_f32_e32 v6, v6
	s_delay_alu instid0(VALU_DEP_1) | instskip(SKIP_1) | instid1(VALU_DEP_2)
	v_fmamk_f32 v1, v6, 0xcf800000, v1
	v_cvt_u32_f32_e32 v7, v6
	v_cvt_u32_f32_e32 v6, v1
	global_store_b64 v[2:3], v[6:7], off
.LBB150_2972:
	s_mov_b32 s11, 0
.LBB150_2973:
	s_delay_alu instid0(SALU_CYCLE_1)
	s_and_b32 vcc_lo, exec_lo, s11
	s_cbranch_vccz .LBB150_2989
; %bb.2974:
	s_cmp_lt_i32 s8, 27
	s_mov_b32 s10, -1
	s_cbranch_scc1 .LBB150_2980
; %bb.2975:
	s_wait_xcnt 0x0
	v_cvt_u32_f32_e32 v1, v4
	s_cmp_gt_i32 s8, 27
	s_cbranch_scc0 .LBB150_2977
; %bb.2976:
	s_mov_b32 s10, 0
	global_store_b32 v[2:3], v1, off
.LBB150_2977:
	s_and_not1_b32 vcc_lo, exec_lo, s10
	s_cbranch_vccnz .LBB150_2979
; %bb.2978:
	global_store_b16 v[2:3], v1, off
.LBB150_2979:
	s_mov_b32 s10, 0
.LBB150_2980:
	s_delay_alu instid0(SALU_CYCLE_1)
	s_and_not1_b32 vcc_lo, exec_lo, s10
	s_cbranch_vccnz .LBB150_2988
; %bb.2981:
	s_wait_xcnt 0x0
	v_and_b32_e32 v1, 0x7fffffff, v4
	v_mov_b32_e32 v6, 0x80
	s_mov_b32 s10, exec_lo
	s_delay_alu instid0(VALU_DEP_2)
	v_cmpx_gt_u32_e32 0x43800000, v1
	s_cbranch_execz .LBB150_2987
; %bb.2982:
	v_cmp_lt_u32_e32 vcc_lo, 0x3bffffff, v1
	s_mov_b32 s11, 0
                                        ; implicit-def: $vgpr1
	s_and_saveexec_b32 s14, vcc_lo
	s_delay_alu instid0(SALU_CYCLE_1)
	s_xor_b32 s14, exec_lo, s14
	s_cbranch_execz .LBB150_3325
; %bb.2983:
	v_bfe_u32 v1, v4, 20, 1
	s_mov_b32 s11, exec_lo
	s_delay_alu instid0(VALU_DEP_1) | instskip(NEXT) | instid1(VALU_DEP_1)
	v_add3_u32 v1, v4, v1, 0x487ffff
	v_lshrrev_b32_e32 v1, 20, v1
	s_and_not1_saveexec_b32 s14, s14
	s_cbranch_execnz .LBB150_3326
.LBB150_2984:
	s_or_b32 exec_lo, exec_lo, s14
	v_mov_b32_e32 v6, 0
	s_and_saveexec_b32 s14, s11
.LBB150_2985:
	v_lshrrev_b32_e32 v6, 24, v4
	s_delay_alu instid0(VALU_DEP_1)
	v_and_or_b32 v6, 0x80, v6, v1
.LBB150_2986:
	s_or_b32 exec_lo, exec_lo, s14
.LBB150_2987:
	s_delay_alu instid0(SALU_CYCLE_1)
	s_or_b32 exec_lo, exec_lo, s10
	global_store_b8 v[2:3], v6, off
.LBB150_2988:
	s_mov_b32 s10, -1
.LBB150_2989:
	s_mov_b32 s11, 0
.LBB150_2990:
	s_delay_alu instid0(SALU_CYCLE_1)
	s_and_b32 vcc_lo, exec_lo, s11
	s_cbranch_vccz .LBB150_3030
; %bb.2991:
	s_cmp_gt_i32 s8, 22
	s_mov_b32 s9, -1
	s_cbranch_scc0 .LBB150_3023
; %bb.2992:
	s_cmp_lt_i32 s8, 24
	s_cbranch_scc1 .LBB150_3012
; %bb.2993:
	s_cmp_gt_i32 s8, 24
	s_cbranch_scc0 .LBB150_3001
; %bb.2994:
	s_wait_xcnt 0x0
	v_and_b32_e32 v1, 0x7fffffff, v4
	v_mov_b32_e32 v6, 0x80
	s_mov_b32 s9, exec_lo
	s_delay_alu instid0(VALU_DEP_2)
	v_cmpx_gt_u32_e32 0x47800000, v1
	s_cbranch_execz .LBB150_3000
; %bb.2995:
	v_cmp_lt_u32_e32 vcc_lo, 0x37ffffff, v1
	s_mov_b32 s10, 0
                                        ; implicit-def: $vgpr1
	s_and_saveexec_b32 s11, vcc_lo
	s_delay_alu instid0(SALU_CYCLE_1)
	s_xor_b32 s11, exec_lo, s11
	s_cbranch_execz .LBB150_3330
; %bb.2996:
	v_bfe_u32 v1, v4, 21, 1
	s_mov_b32 s10, exec_lo
	s_delay_alu instid0(VALU_DEP_1) | instskip(NEXT) | instid1(VALU_DEP_1)
	v_add3_u32 v1, v4, v1, 0x88fffff
	v_lshrrev_b32_e32 v1, 21, v1
	s_and_not1_saveexec_b32 s11, s11
	s_cbranch_execnz .LBB150_3331
.LBB150_2997:
	s_or_b32 exec_lo, exec_lo, s11
	v_mov_b32_e32 v6, 0
	s_and_saveexec_b32 s11, s10
.LBB150_2998:
	v_lshrrev_b32_e32 v6, 24, v4
	s_delay_alu instid0(VALU_DEP_1)
	v_and_or_b32 v6, 0x80, v6, v1
.LBB150_2999:
	s_or_b32 exec_lo, exec_lo, s11
.LBB150_3000:
	s_delay_alu instid0(SALU_CYCLE_1)
	s_or_b32 exec_lo, exec_lo, s9
	s_mov_b32 s9, 0
	global_store_b8 v[2:3], v6, off
.LBB150_3001:
	s_and_b32 vcc_lo, exec_lo, s9
	s_cbranch_vccz .LBB150_3011
; %bb.3002:
	s_wait_xcnt 0x0
	v_and_b32_e32 v6, 0x7fffffff, v4
	s_mov_b32 s9, exec_lo
                                        ; implicit-def: $vgpr1
	s_delay_alu instid0(VALU_DEP_1)
	v_cmpx_gt_u32_e32 0x43f00000, v6
	s_xor_b32 s9, exec_lo, s9
	s_cbranch_execz .LBB150_3008
; %bb.3003:
	s_mov_b32 s10, exec_lo
                                        ; implicit-def: $vgpr1
	v_cmpx_lt_u32_e32 0x3c7fffff, v6
	s_xor_b32 s10, exec_lo, s10
; %bb.3004:
	v_bfe_u32 v1, v4, 20, 1
	s_delay_alu instid0(VALU_DEP_1) | instskip(NEXT) | instid1(VALU_DEP_1)
	v_add3_u32 v1, v4, v1, 0x407ffff
	v_and_b32_e32 v6, 0xff00000, v1
	v_lshrrev_b32_e32 v1, 20, v1
	s_delay_alu instid0(VALU_DEP_2) | instskip(NEXT) | instid1(VALU_DEP_2)
	v_cmp_ne_u32_e32 vcc_lo, 0x7f00000, v6
	v_cndmask_b32_e32 v1, 0x7e, v1, vcc_lo
; %bb.3005:
	s_and_not1_saveexec_b32 s10, s10
; %bb.3006:
	v_add_f32_e64 v1, 0x46800000, |v4|
; %bb.3007:
	s_or_b32 exec_lo, exec_lo, s10
                                        ; implicit-def: $vgpr6
.LBB150_3008:
	s_and_not1_saveexec_b32 s9, s9
; %bb.3009:
	v_mov_b32_e32 v1, 0x7f
	v_cmp_lt_u32_e32 vcc_lo, 0x7f800000, v6
	s_delay_alu instid0(VALU_DEP_2)
	v_cndmask_b32_e32 v1, 0x7e, v1, vcc_lo
; %bb.3010:
	s_or_b32 exec_lo, exec_lo, s9
	v_lshrrev_b32_e32 v6, 24, v4
	s_delay_alu instid0(VALU_DEP_1)
	v_and_or_b32 v1, 0x80, v6, v1
	global_store_b8 v[2:3], v1, off
.LBB150_3011:
	s_mov_b32 s9, 0
.LBB150_3012:
	s_delay_alu instid0(SALU_CYCLE_1)
	s_and_not1_b32 vcc_lo, exec_lo, s9
	s_cbranch_vccnz .LBB150_3022
; %bb.3013:
	s_wait_xcnt 0x0
	v_and_b32_e32 v6, 0x7fffffff, v4
	s_mov_b32 s9, exec_lo
                                        ; implicit-def: $vgpr1
	s_delay_alu instid0(VALU_DEP_1)
	v_cmpx_gt_u32_e32 0x47800000, v6
	s_xor_b32 s9, exec_lo, s9
	s_cbranch_execz .LBB150_3019
; %bb.3014:
	s_mov_b32 s10, exec_lo
                                        ; implicit-def: $vgpr1
	v_cmpx_lt_u32_e32 0x387fffff, v6
	s_xor_b32 s10, exec_lo, s10
; %bb.3015:
	v_bfe_u32 v1, v4, 21, 1
	s_delay_alu instid0(VALU_DEP_1) | instskip(NEXT) | instid1(VALU_DEP_1)
	v_add3_u32 v1, v4, v1, 0x80fffff
	v_lshrrev_b32_e32 v1, 21, v1
; %bb.3016:
	s_and_not1_saveexec_b32 s10, s10
; %bb.3017:
	v_add_f32_e64 v1, 0x43000000, |v4|
; %bb.3018:
	s_or_b32 exec_lo, exec_lo, s10
                                        ; implicit-def: $vgpr6
.LBB150_3019:
	s_and_not1_saveexec_b32 s9, s9
; %bb.3020:
	v_mov_b32_e32 v1, 0x7f
	v_cmp_lt_u32_e32 vcc_lo, 0x7f800000, v6
	s_delay_alu instid0(VALU_DEP_2)
	v_cndmask_b32_e32 v1, 0x7c, v1, vcc_lo
; %bb.3021:
	s_or_b32 exec_lo, exec_lo, s9
	v_lshrrev_b32_e32 v6, 24, v4
	s_delay_alu instid0(VALU_DEP_1)
	v_and_or_b32 v1, 0x80, v6, v1
	global_store_b8 v[2:3], v1, off
.LBB150_3022:
	s_mov_b32 s9, 0
	s_mov_b32 s10, -1
.LBB150_3023:
	s_and_not1_b32 vcc_lo, exec_lo, s9
	s_mov_b32 s9, 0
	s_cbranch_vccnz .LBB150_3030
; %bb.3024:
	s_cmp_gt_i32 s8, 14
	s_mov_b32 s9, -1
	s_cbranch_scc0 .LBB150_3028
; %bb.3025:
	s_cmp_eq_u32 s8, 15
	s_mov_b32 s0, -1
	s_cbranch_scc0 .LBB150_3027
; %bb.3026:
	s_wait_xcnt 0x0
	v_bfe_u32 v1, v4, 16, 1
	v_cmp_o_f32_e32 vcc_lo, v4, v4
	s_mov_b32 s0, 0
	s_mov_b32 s10, -1
	s_delay_alu instid0(VALU_DEP_2) | instskip(NEXT) | instid1(VALU_DEP_1)
	v_add3_u32 v1, v4, v1, 0x7fff
	v_lshrrev_b32_e32 v1, 16, v1
	s_delay_alu instid0(VALU_DEP_1)
	v_cndmask_b32_e32 v1, 0x7fc0, v1, vcc_lo
	global_store_b16 v[2:3], v1, off
.LBB150_3027:
	s_mov_b32 s9, 0
.LBB150_3028:
	s_delay_alu instid0(SALU_CYCLE_1)
	s_and_b32 vcc_lo, exec_lo, s9
	s_mov_b32 s9, 0
	s_cbranch_vccz .LBB150_3030
; %bb.3029:
	s_cmp_lg_u32 s8, 11
	s_mov_b32 s9, -1
	s_cselect_b32 s0, -1, 0
.LBB150_3030:
	s_delay_alu instid0(SALU_CYCLE_1)
	s_and_b32 vcc_lo, exec_lo, s0
	s_cbranch_vccnz .LBB150_3329
; %bb.3031:
	s_and_not1_b32 vcc_lo, exec_lo, s9
	s_cbranch_vccnz .LBB150_3033
.LBB150_3032:
	v_cmp_neq_f32_e32 vcc_lo, 0, v4
	v_cmp_neq_f32_e64 s0, 0, v17
	s_mov_b32 s10, -1
	s_or_b32 s0, vcc_lo, s0
	s_wait_xcnt 0x0
	v_cndmask_b32_e64 v1, 0, 1, s0
	global_store_b8 v[2:3], v1, off
.LBB150_3033:
	s_mov_b32 s0, 0
	s_branch .LBB150_3035
.LBB150_3034:
	s_mov_b32 s0, -1
	s_mov_b32 s10, 0
.LBB150_3035:
	s_and_b32 vcc_lo, exec_lo, s0
	s_cbranch_vccz .LBB150_3074
; %bb.3036:
	s_and_b32 s0, 0xffff, s19
	s_mov_b32 s8, -1
	s_cmp_lt_i32 s0, 5
	s_cbranch_scc1 .LBB150_3057
; %bb.3037:
	s_cmp_lt_i32 s0, 8
	s_cbranch_scc1 .LBB150_3047
; %bb.3038:
	;; [unrolled: 3-line block ×3, first 2 shown]
	s_cmp_gt_i32 s0, 9
	s_cbranch_scc0 .LBB150_3041
; %bb.3040:
	v_cvt_f64_f32_e32 v[18:19], v4
	v_cvt_f64_f32_e32 v[20:21], v17
	s_mov_b32 s8, 0
	global_store_b128 v[2:3], v[18:21], off
.LBB150_3041:
	s_and_not1_b32 vcc_lo, exec_lo, s8
	s_cbranch_vccnz .LBB150_3043
; %bb.3042:
	global_store_b64 v[2:3], v[4:5], off
.LBB150_3043:
	s_mov_b32 s8, 0
.LBB150_3044:
	s_delay_alu instid0(SALU_CYCLE_1)
	s_and_not1_b32 vcc_lo, exec_lo, s8
	s_cbranch_vccnz .LBB150_3046
; %bb.3045:
	s_wait_xcnt 0x0
	v_cvt_f16_f32_e32 v1, v17
	v_cvt_f16_f32_e32 v5, v4
	s_delay_alu instid0(VALU_DEP_2) | instskip(NEXT) | instid1(VALU_DEP_2)
	v_lshlrev_b32_e32 v1, 16, v1
	v_and_b32_e32 v5, 0xffff, v5
	s_delay_alu instid0(VALU_DEP_1)
	v_or_b32_e32 v1, v1, v5
	global_store_b32 v[2:3], v1, off
.LBB150_3046:
	s_mov_b32 s8, 0
.LBB150_3047:
	s_delay_alu instid0(SALU_CYCLE_1)
	s_and_not1_b32 vcc_lo, exec_lo, s8
	s_cbranch_vccnz .LBB150_3056
; %bb.3048:
	s_cmp_lt_i32 s0, 6
	s_mov_b32 s8, -1
	s_cbranch_scc1 .LBB150_3054
; %bb.3049:
	s_cmp_gt_i32 s0, 6
	s_cbranch_scc0 .LBB150_3051
; %bb.3050:
	s_wait_xcnt 0x0
	v_cvt_f64_f32_e32 v[6:7], v4
	s_mov_b32 s8, 0
	global_store_b64 v[2:3], v[6:7], off
.LBB150_3051:
	s_and_not1_b32 vcc_lo, exec_lo, s8
	s_cbranch_vccnz .LBB150_3053
; %bb.3052:
	global_store_b32 v[2:3], v4, off
.LBB150_3053:
	s_mov_b32 s8, 0
.LBB150_3054:
	s_delay_alu instid0(SALU_CYCLE_1)
	s_and_not1_b32 vcc_lo, exec_lo, s8
	s_cbranch_vccnz .LBB150_3056
; %bb.3055:
	s_wait_xcnt 0x0
	v_cvt_f16_f32_e32 v1, v4
	global_store_b16 v[2:3], v1, off
.LBB150_3056:
	s_mov_b32 s8, 0
.LBB150_3057:
	s_delay_alu instid0(SALU_CYCLE_1)
	s_and_not1_b32 vcc_lo, exec_lo, s8
	s_cbranch_vccnz .LBB150_3073
; %bb.3058:
	s_cmp_lt_i32 s0, 2
	s_mov_b32 s8, -1
	s_cbranch_scc1 .LBB150_3068
; %bb.3059:
	s_cmp_lt_i32 s0, 3
	s_cbranch_scc1 .LBB150_3065
; %bb.3060:
	s_cmp_gt_i32 s0, 3
	s_cbranch_scc0 .LBB150_3062
; %bb.3061:
	s_wait_xcnt 0x0
	v_trunc_f32_e32 v1, v4
	s_mov_b32 s8, 0
	s_delay_alu instid0(VALU_DEP_1) | instskip(SKIP_1) | instid1(VALU_DEP_2)
	v_mul_f32_e64 v5, 0x2f800000, |v1|
	v_ashrrev_i32_e32 v6, 31, v1
	v_floor_f32_e32 v5, v5
	s_delay_alu instid0(VALU_DEP_1) | instskip(SKIP_1) | instid1(VALU_DEP_2)
	v_fma_f32 v7, 0xcf800000, v5, |v1|
	v_cvt_u32_f32_e32 v1, v5
	v_cvt_u32_f32_e32 v5, v7
	s_delay_alu instid0(VALU_DEP_2) | instskip(NEXT) | instid1(VALU_DEP_2)
	v_dual_mov_b32 v7, v6 :: v_dual_bitop2_b32 v17, v1, v6 bitop3:0x14
	v_xor_b32_e32 v16, v5, v6
	s_delay_alu instid0(VALU_DEP_1)
	v_sub_nc_u64_e32 v[6:7], v[16:17], v[6:7]
	global_store_b64 v[2:3], v[6:7], off
.LBB150_3062:
	s_and_not1_b32 vcc_lo, exec_lo, s8
	s_cbranch_vccnz .LBB150_3064
; %bb.3063:
	s_wait_xcnt 0x0
	v_cvt_i32_f32_e32 v1, v4
	global_store_b32 v[2:3], v1, off
.LBB150_3064:
	s_mov_b32 s8, 0
.LBB150_3065:
	s_delay_alu instid0(SALU_CYCLE_1)
	s_and_not1_b32 vcc_lo, exec_lo, s8
	s_cbranch_vccnz .LBB150_3067
; %bb.3066:
	s_wait_xcnt 0x0
	v_cvt_i32_f32_e32 v1, v4
	global_store_b16 v[2:3], v1, off
.LBB150_3067:
	s_mov_b32 s8, 0
.LBB150_3068:
	s_delay_alu instid0(SALU_CYCLE_1)
	s_and_not1_b32 vcc_lo, exec_lo, s8
	s_cbranch_vccnz .LBB150_3073
; %bb.3069:
	s_cmp_gt_i32 s0, 0
	s_mov_b32 s0, -1
	s_cbranch_scc0 .LBB150_3071
; %bb.3070:
	s_wait_xcnt 0x0
	v_cvt_i32_f32_e32 v1, v4
	s_mov_b32 s0, 0
	global_store_b8 v[2:3], v1, off
.LBB150_3071:
	s_and_not1_b32 vcc_lo, exec_lo, s0
	s_cbranch_vccnz .LBB150_3073
; %bb.3072:
	s_wait_xcnt 0x0
	v_trunc_f32_e32 v1, v4
	s_delay_alu instid0(VALU_DEP_1) | instskip(NEXT) | instid1(VALU_DEP_1)
	v_mul_f32_e64 v4, 0x2f800000, |v1|
	v_floor_f32_e32 v4, v4
	s_delay_alu instid0(VALU_DEP_1) | instskip(SKIP_1) | instid1(VALU_DEP_2)
	v_fma_f32 v4, 0xcf800000, v4, |v1|
	v_ashrrev_i32_e32 v1, 31, v1
	v_cvt_u32_f32_e32 v4, v4
	s_delay_alu instid0(VALU_DEP_1) | instskip(NEXT) | instid1(VALU_DEP_1)
	v_xor_b32_e32 v4, v4, v1
	v_sub_nc_u32_e32 v1, v4, v1
	global_store_b8 v[2:3], v1, off
.LBB150_3073:
	s_mov_b32 s10, -1
.LBB150_3074:
	s_delay_alu instid0(SALU_CYCLE_1)
	s_and_not1_b32 vcc_lo, exec_lo, s10
	s_cbranch_vccnz .LBB150_3270
; %bb.3075:
	s_wait_xcnt 0x0
	v_mov_b64_e32 v[2:3], s[4:5]
	v_mov_b64_e32 v[4:5], s[6:7]
	v_dual_mov_b32 v7, v10 :: v_dual_add_nc_u32 v0, s1, v0
	s_cmp_lt_i32 s19, 11
	s_delay_alu instid0(VALU_DEP_3) | instskip(SKIP_1) | instid1(VALU_DEP_4)
	v_pk_mul_f32 v[2:3], v[8:9], v[2:3]
	v_mov_b32_e32 v6, v11
	v_pk_mul_f32 v[4:5], v[8:9], v[4:5]
	s_delay_alu instid0(VALU_DEP_3) | instskip(NEXT) | instid1(VALU_DEP_2)
	v_add_f32_e32 v2, v2, v3
	v_pk_add_f32 v[4:5], v[4:5], v[4:5] op_sel:[0,1] op_sel_hi:[0,1] neg_lo:[0,1] neg_hi:[0,1]
	s_delay_alu instid0(VALU_DEP_2) | instskip(NEXT) | instid1(VALU_DEP_1)
	v_pk_mul_f32 v[8:9], v[2:3], v[6:7] op_sel_hi:[0,1]
	v_pk_fma_f32 v[6:7], v[4:5], v[10:11], v[8:9]
	v_ashrrev_i32_e32 v1, 31, v0
	v_pk_fma_f32 v[4:5], v[4:5], v[10:11], v[8:9] neg_lo:[0,0,1] neg_hi:[0,0,1]
	s_delay_alu instid0(VALU_DEP_3) | instskip(NEXT) | instid1(VALU_DEP_3)
	v_mov_b32_e32 v5, v7
	v_add_nc_u64_e32 v[2:3], s[2:3], v[0:1]
	s_cbranch_scc1 .LBB150_3153
; %bb.3076:
	s_and_b32 s8, 0xffff, s19
	s_mov_b32 s11, -1
	s_mov_b32 s9, 0
	s_cmp_gt_i32 s8, 25
	s_mov_b32 s10, 0
	s_mov_b32 s0, 0
	s_cbranch_scc0 .LBB150_3109
; %bb.3077:
	s_cmp_gt_i32 s8, 28
	s_cbranch_scc0 .LBB150_3092
; %bb.3078:
	s_cmp_gt_i32 s8, 43
	;; [unrolled: 3-line block ×3, first 2 shown]
	s_cbranch_scc0 .LBB150_3082
; %bb.3080:
	s_mov_b32 s0, -1
	s_mov_b32 s11, 0
	s_cmp_eq_u32 s8, 46
	s_cbranch_scc0 .LBB150_3082
; %bb.3081:
	v_dual_lshrrev_b32 v1, 16, v4 :: v_dual_lshrrev_b32 v6, 16, v5
	v_cmp_o_f32_e32 vcc_lo, v4, v4
	s_mov_b32 s0, 0
	s_mov_b32 s10, -1
	s_delay_alu instid0(VALU_DEP_2) | instskip(NEXT) | instid1(VALU_DEP_1)
	v_and_b32_e32 v1, 1, v1
	v_add3_u32 v1, v4, v1, 0x7fff
	s_delay_alu instid0(VALU_DEP_1) | instskip(NEXT) | instid1(VALU_DEP_1)
	v_dual_lshrrev_b32 v1, 16, v1 :: v_dual_bitop2_b32 v6, 1, v6 bitop3:0x40
	v_add3_u32 v6, v5, v6, 0x7fff
	s_delay_alu instid0(VALU_DEP_2) | instskip(NEXT) | instid1(VALU_DEP_2)
	v_cndmask_b32_e32 v1, 0x7fc0, v1, vcc_lo
	v_and_b32_e32 v6, 0xffff0000, v6
	v_cmp_o_f32_e32 vcc_lo, v7, v7
	s_delay_alu instid0(VALU_DEP_2) | instskip(NEXT) | instid1(VALU_DEP_1)
	v_cndmask_b32_e32 v6, 0x7fc00000, v6, vcc_lo
	v_or_b32_e32 v1, v6, v1
	global_store_b32 v[2:3], v1, off
.LBB150_3082:
	s_and_b32 vcc_lo, exec_lo, s11
	s_cbranch_vccz .LBB150_3087
; %bb.3083:
	s_cmp_eq_u32 s8, 44
	s_mov_b32 s0, -1
	s_cbranch_scc0 .LBB150_3087
; %bb.3084:
	v_bfe_u32 v6, v4, 23, 8
	s_wait_xcnt 0x0
	v_mov_b32_e32 v1, 0xff
	s_mov_b32 s10, exec_lo
	s_delay_alu instid0(VALU_DEP_2)
	v_cmpx_ne_u32_e32 0xff, v6
	s_cbranch_execz .LBB150_3086
; %bb.3085:
	v_and_b32_e32 v1, 0x400000, v4
	v_and_or_b32 v6, 0x3fffff, v4, v6
	s_delay_alu instid0(VALU_DEP_2) | instskip(NEXT) | instid1(VALU_DEP_2)
	v_cmp_ne_u32_e32 vcc_lo, 0, v1
	v_cmp_ne_u32_e64 s0, 0, v6
	v_lshrrev_b32_e32 v1, 23, v4
	s_and_b32 s0, vcc_lo, s0
	s_delay_alu instid0(SALU_CYCLE_1) | instskip(NEXT) | instid1(VALU_DEP_1)
	v_cndmask_b32_e64 v6, 0, 1, s0
	v_add_nc_u32_e32 v1, v1, v6
.LBB150_3086:
	s_or_b32 exec_lo, exec_lo, s10
	s_mov_b32 s0, 0
	s_mov_b32 s10, -1
	global_store_b8 v[2:3], v1, off
.LBB150_3087:
	s_mov_b32 s11, 0
.LBB150_3088:
	s_delay_alu instid0(SALU_CYCLE_1)
	s_and_b32 vcc_lo, exec_lo, s11
	s_cbranch_vccz .LBB150_3091
; %bb.3089:
	s_cmp_eq_u32 s8, 29
	s_mov_b32 s0, -1
	s_cbranch_scc0 .LBB150_3091
; %bb.3090:
	s_wait_xcnt 0x0
	v_trunc_f32_e32 v1, v4
	s_mov_b32 s0, 0
	s_mov_b32 s10, -1
	s_delay_alu instid0(VALU_DEP_1) | instskip(NEXT) | instid1(VALU_DEP_1)
	v_mul_f32_e32 v6, 0x2f800000, v1
	v_floor_f32_e32 v6, v6
	s_delay_alu instid0(VALU_DEP_1) | instskip(SKIP_1) | instid1(VALU_DEP_2)
	v_fmamk_f32 v1, v6, 0xcf800000, v1
	v_cvt_u32_f32_e32 v9, v6
	v_cvt_u32_f32_e32 v8, v1
	global_store_b64 v[2:3], v[8:9], off
.LBB150_3091:
	s_mov_b32 s11, 0
.LBB150_3092:
	s_delay_alu instid0(SALU_CYCLE_1)
	s_and_b32 vcc_lo, exec_lo, s11
	s_cbranch_vccz .LBB150_3108
; %bb.3093:
	s_cmp_lt_i32 s8, 27
	s_mov_b32 s10, -1
	s_cbranch_scc1 .LBB150_3099
; %bb.3094:
	s_wait_xcnt 0x0
	v_cvt_u32_f32_e32 v1, v4
	s_cmp_gt_i32 s8, 27
	s_cbranch_scc0 .LBB150_3096
; %bb.3095:
	s_mov_b32 s10, 0
	global_store_b32 v[2:3], v1, off
.LBB150_3096:
	s_and_not1_b32 vcc_lo, exec_lo, s10
	s_cbranch_vccnz .LBB150_3098
; %bb.3097:
	global_store_b16 v[2:3], v1, off
.LBB150_3098:
	s_mov_b32 s10, 0
.LBB150_3099:
	s_delay_alu instid0(SALU_CYCLE_1)
	s_and_not1_b32 vcc_lo, exec_lo, s10
	s_cbranch_vccnz .LBB150_3107
; %bb.3100:
	s_wait_xcnt 0x0
	v_and_b32_e32 v1, 0x7fffffff, v4
	v_mov_b32_e32 v6, 0x80
	s_mov_b32 s10, exec_lo
	s_delay_alu instid0(VALU_DEP_2)
	v_cmpx_gt_u32_e32 0x43800000, v1
	s_cbranch_execz .LBB150_3106
; %bb.3101:
	v_cmp_lt_u32_e32 vcc_lo, 0x3bffffff, v1
	s_mov_b32 s11, 0
                                        ; implicit-def: $vgpr1
	s_and_saveexec_b32 s14, vcc_lo
	s_delay_alu instid0(SALU_CYCLE_1)
	s_xor_b32 s14, exec_lo, s14
	s_cbranch_execz .LBB150_3334
; %bb.3102:
	v_bfe_u32 v1, v4, 20, 1
	s_mov_b32 s11, exec_lo
	s_delay_alu instid0(VALU_DEP_1) | instskip(NEXT) | instid1(VALU_DEP_1)
	v_add3_u32 v1, v4, v1, 0x487ffff
	v_lshrrev_b32_e32 v1, 20, v1
	s_and_not1_saveexec_b32 s14, s14
	s_cbranch_execnz .LBB150_3335
.LBB150_3103:
	s_or_b32 exec_lo, exec_lo, s14
	v_mov_b32_e32 v6, 0
	s_and_saveexec_b32 s14, s11
.LBB150_3104:
	v_lshrrev_b32_e32 v6, 24, v4
	s_delay_alu instid0(VALU_DEP_1)
	v_and_or_b32 v6, 0x80, v6, v1
.LBB150_3105:
	s_or_b32 exec_lo, exec_lo, s14
.LBB150_3106:
	s_delay_alu instid0(SALU_CYCLE_1)
	s_or_b32 exec_lo, exec_lo, s10
	global_store_b8 v[2:3], v6, off
.LBB150_3107:
	s_mov_b32 s10, -1
.LBB150_3108:
	s_mov_b32 s11, 0
.LBB150_3109:
	s_delay_alu instid0(SALU_CYCLE_1)
	s_and_b32 vcc_lo, exec_lo, s11
	s_cbranch_vccz .LBB150_3149
; %bb.3110:
	s_cmp_gt_i32 s8, 22
	s_mov_b32 s9, -1
	s_cbranch_scc0 .LBB150_3142
; %bb.3111:
	s_cmp_lt_i32 s8, 24
	s_cbranch_scc1 .LBB150_3131
; %bb.3112:
	s_cmp_gt_i32 s8, 24
	s_cbranch_scc0 .LBB150_3120
; %bb.3113:
	s_wait_xcnt 0x0
	v_and_b32_e32 v1, 0x7fffffff, v4
	v_mov_b32_e32 v6, 0x80
	s_mov_b32 s9, exec_lo
	s_delay_alu instid0(VALU_DEP_2)
	v_cmpx_gt_u32_e32 0x47800000, v1
	s_cbranch_execz .LBB150_3119
; %bb.3114:
	v_cmp_lt_u32_e32 vcc_lo, 0x37ffffff, v1
	s_mov_b32 s10, 0
                                        ; implicit-def: $vgpr1
	s_and_saveexec_b32 s11, vcc_lo
	s_delay_alu instid0(SALU_CYCLE_1)
	s_xor_b32 s11, exec_lo, s11
	s_cbranch_execz .LBB150_3339
; %bb.3115:
	v_bfe_u32 v1, v4, 21, 1
	s_mov_b32 s10, exec_lo
	s_delay_alu instid0(VALU_DEP_1) | instskip(NEXT) | instid1(VALU_DEP_1)
	v_add3_u32 v1, v4, v1, 0x88fffff
	v_lshrrev_b32_e32 v1, 21, v1
	s_and_not1_saveexec_b32 s11, s11
	s_cbranch_execnz .LBB150_3340
.LBB150_3116:
	s_or_b32 exec_lo, exec_lo, s11
	v_mov_b32_e32 v6, 0
	s_and_saveexec_b32 s11, s10
.LBB150_3117:
	v_lshrrev_b32_e32 v6, 24, v4
	s_delay_alu instid0(VALU_DEP_1)
	v_and_or_b32 v6, 0x80, v6, v1
.LBB150_3118:
	s_or_b32 exec_lo, exec_lo, s11
.LBB150_3119:
	s_delay_alu instid0(SALU_CYCLE_1)
	s_or_b32 exec_lo, exec_lo, s9
	s_mov_b32 s9, 0
	global_store_b8 v[2:3], v6, off
.LBB150_3120:
	s_and_b32 vcc_lo, exec_lo, s9
	s_cbranch_vccz .LBB150_3130
; %bb.3121:
	s_wait_xcnt 0x0
	v_and_b32_e32 v6, 0x7fffffff, v4
	s_mov_b32 s9, exec_lo
                                        ; implicit-def: $vgpr1
	s_delay_alu instid0(VALU_DEP_1)
	v_cmpx_gt_u32_e32 0x43f00000, v6
	s_xor_b32 s9, exec_lo, s9
	s_cbranch_execz .LBB150_3127
; %bb.3122:
	s_mov_b32 s10, exec_lo
                                        ; implicit-def: $vgpr1
	v_cmpx_lt_u32_e32 0x3c7fffff, v6
	s_xor_b32 s10, exec_lo, s10
; %bb.3123:
	v_bfe_u32 v1, v4, 20, 1
	s_delay_alu instid0(VALU_DEP_1) | instskip(NEXT) | instid1(VALU_DEP_1)
	v_add3_u32 v1, v4, v1, 0x407ffff
	v_and_b32_e32 v6, 0xff00000, v1
	v_lshrrev_b32_e32 v1, 20, v1
	s_delay_alu instid0(VALU_DEP_2) | instskip(NEXT) | instid1(VALU_DEP_2)
	v_cmp_ne_u32_e32 vcc_lo, 0x7f00000, v6
	v_cndmask_b32_e32 v1, 0x7e, v1, vcc_lo
; %bb.3124:
	s_and_not1_saveexec_b32 s10, s10
; %bb.3125:
	v_add_f32_e64 v1, 0x46800000, |v4|
; %bb.3126:
	s_or_b32 exec_lo, exec_lo, s10
                                        ; implicit-def: $vgpr6
.LBB150_3127:
	s_and_not1_saveexec_b32 s9, s9
; %bb.3128:
	v_mov_b32_e32 v1, 0x7f
	v_cmp_lt_u32_e32 vcc_lo, 0x7f800000, v6
	s_delay_alu instid0(VALU_DEP_2)
	v_cndmask_b32_e32 v1, 0x7e, v1, vcc_lo
; %bb.3129:
	s_or_b32 exec_lo, exec_lo, s9
	v_lshrrev_b32_e32 v6, 24, v4
	s_delay_alu instid0(VALU_DEP_1)
	v_and_or_b32 v1, 0x80, v6, v1
	global_store_b8 v[2:3], v1, off
.LBB150_3130:
	s_mov_b32 s9, 0
.LBB150_3131:
	s_delay_alu instid0(SALU_CYCLE_1)
	s_and_not1_b32 vcc_lo, exec_lo, s9
	s_cbranch_vccnz .LBB150_3141
; %bb.3132:
	s_wait_xcnt 0x0
	v_and_b32_e32 v6, 0x7fffffff, v4
	s_mov_b32 s9, exec_lo
                                        ; implicit-def: $vgpr1
	s_delay_alu instid0(VALU_DEP_1)
	v_cmpx_gt_u32_e32 0x47800000, v6
	s_xor_b32 s9, exec_lo, s9
	s_cbranch_execz .LBB150_3138
; %bb.3133:
	s_mov_b32 s10, exec_lo
                                        ; implicit-def: $vgpr1
	v_cmpx_lt_u32_e32 0x387fffff, v6
	s_xor_b32 s10, exec_lo, s10
; %bb.3134:
	v_bfe_u32 v1, v4, 21, 1
	s_delay_alu instid0(VALU_DEP_1) | instskip(NEXT) | instid1(VALU_DEP_1)
	v_add3_u32 v1, v4, v1, 0x80fffff
	v_lshrrev_b32_e32 v1, 21, v1
; %bb.3135:
	s_and_not1_saveexec_b32 s10, s10
; %bb.3136:
	v_add_f32_e64 v1, 0x43000000, |v4|
; %bb.3137:
	s_or_b32 exec_lo, exec_lo, s10
                                        ; implicit-def: $vgpr6
.LBB150_3138:
	s_and_not1_saveexec_b32 s9, s9
; %bb.3139:
	v_mov_b32_e32 v1, 0x7f
	v_cmp_lt_u32_e32 vcc_lo, 0x7f800000, v6
	s_delay_alu instid0(VALU_DEP_2)
	v_cndmask_b32_e32 v1, 0x7c, v1, vcc_lo
; %bb.3140:
	s_or_b32 exec_lo, exec_lo, s9
	v_lshrrev_b32_e32 v6, 24, v4
	s_delay_alu instid0(VALU_DEP_1)
	v_and_or_b32 v1, 0x80, v6, v1
	global_store_b8 v[2:3], v1, off
.LBB150_3141:
	s_mov_b32 s9, 0
	s_mov_b32 s10, -1
.LBB150_3142:
	s_and_not1_b32 vcc_lo, exec_lo, s9
	s_mov_b32 s9, 0
	s_cbranch_vccnz .LBB150_3149
; %bb.3143:
	s_cmp_gt_i32 s8, 14
	s_mov_b32 s9, -1
	s_cbranch_scc0 .LBB150_3147
; %bb.3144:
	s_cmp_eq_u32 s8, 15
	s_mov_b32 s0, -1
	s_cbranch_scc0 .LBB150_3146
; %bb.3145:
	s_wait_xcnt 0x0
	v_bfe_u32 v1, v4, 16, 1
	v_cmp_o_f32_e32 vcc_lo, v4, v4
	s_mov_b32 s0, 0
	s_mov_b32 s10, -1
	s_delay_alu instid0(VALU_DEP_2) | instskip(NEXT) | instid1(VALU_DEP_1)
	v_add3_u32 v1, v4, v1, 0x7fff
	v_lshrrev_b32_e32 v1, 16, v1
	s_delay_alu instid0(VALU_DEP_1)
	v_cndmask_b32_e32 v1, 0x7fc0, v1, vcc_lo
	global_store_b16 v[2:3], v1, off
.LBB150_3146:
	s_mov_b32 s9, 0
.LBB150_3147:
	s_delay_alu instid0(SALU_CYCLE_1)
	s_and_b32 vcc_lo, exec_lo, s9
	s_mov_b32 s9, 0
	s_cbranch_vccz .LBB150_3149
; %bb.3148:
	s_cmp_lg_u32 s8, 11
	s_mov_b32 s9, -1
	s_cselect_b32 s0, -1, 0
.LBB150_3149:
	s_delay_alu instid0(SALU_CYCLE_1)
	s_and_b32 vcc_lo, exec_lo, s0
	s_cbranch_vccnz .LBB150_3338
; %bb.3150:
	s_and_not1_b32 vcc_lo, exec_lo, s9
	s_cbranch_vccnz .LBB150_3152
.LBB150_3151:
	v_cmp_neq_f32_e32 vcc_lo, 0, v4
	v_cmp_neq_f32_e64 s0, 0, v7
	s_mov_b32 s10, -1
	s_or_b32 s0, vcc_lo, s0
	s_wait_xcnt 0x0
	v_cndmask_b32_e64 v1, 0, 1, s0
	global_store_b8 v[2:3], v1, off
.LBB150_3152:
	s_mov_b32 s0, 0
	s_branch .LBB150_3154
.LBB150_3153:
	s_mov_b32 s0, -1
	s_mov_b32 s10, 0
.LBB150_3154:
	s_and_b32 vcc_lo, exec_lo, s0
	s_cbranch_vccz .LBB150_3193
; %bb.3155:
	s_and_b32 s0, 0xffff, s19
	s_mov_b32 s8, -1
	s_cmp_lt_i32 s0, 5
	s_cbranch_scc1 .LBB150_3176
; %bb.3156:
	s_cmp_lt_i32 s0, 8
	s_cbranch_scc1 .LBB150_3166
; %bb.3157:
	;; [unrolled: 3-line block ×3, first 2 shown]
	s_cmp_gt_i32 s0, 9
	s_cbranch_scc0 .LBB150_3160
; %bb.3159:
	s_wait_xcnt 0x0
	v_cvt_f64_f32_e32 v[8:9], v4
	v_cvt_f64_f32_e32 v[10:11], v7
	s_mov_b32 s8, 0
	global_store_b128 v[2:3], v[8:11], off
.LBB150_3160:
	s_and_not1_b32 vcc_lo, exec_lo, s8
	s_cbranch_vccnz .LBB150_3162
; %bb.3161:
	global_store_b64 v[2:3], v[4:5], off
.LBB150_3162:
	s_mov_b32 s8, 0
.LBB150_3163:
	s_delay_alu instid0(SALU_CYCLE_1)
	s_and_not1_b32 vcc_lo, exec_lo, s8
	s_cbranch_vccnz .LBB150_3165
; %bb.3164:
	s_wait_xcnt 0x0
	v_cvt_f16_f32_e32 v1, v7
	v_cvt_f16_f32_e32 v5, v4
	s_delay_alu instid0(VALU_DEP_2) | instskip(NEXT) | instid1(VALU_DEP_2)
	v_lshlrev_b32_e32 v1, 16, v1
	v_and_b32_e32 v5, 0xffff, v5
	s_delay_alu instid0(VALU_DEP_1)
	v_or_b32_e32 v1, v1, v5
	global_store_b32 v[2:3], v1, off
.LBB150_3165:
	s_mov_b32 s8, 0
.LBB150_3166:
	s_delay_alu instid0(SALU_CYCLE_1)
	s_and_not1_b32 vcc_lo, exec_lo, s8
	s_cbranch_vccnz .LBB150_3175
; %bb.3167:
	s_cmp_lt_i32 s0, 6
	s_mov_b32 s8, -1
	s_cbranch_scc1 .LBB150_3173
; %bb.3168:
	s_cmp_gt_i32 s0, 6
	s_cbranch_scc0 .LBB150_3170
; %bb.3169:
	s_wait_xcnt 0x0
	v_cvt_f64_f32_e32 v[6:7], v4
	s_mov_b32 s8, 0
	global_store_b64 v[2:3], v[6:7], off
.LBB150_3170:
	s_and_not1_b32 vcc_lo, exec_lo, s8
	s_cbranch_vccnz .LBB150_3172
; %bb.3171:
	global_store_b32 v[2:3], v4, off
.LBB150_3172:
	s_mov_b32 s8, 0
.LBB150_3173:
	s_delay_alu instid0(SALU_CYCLE_1)
	s_and_not1_b32 vcc_lo, exec_lo, s8
	s_cbranch_vccnz .LBB150_3175
; %bb.3174:
	s_wait_xcnt 0x0
	v_cvt_f16_f32_e32 v1, v4
	global_store_b16 v[2:3], v1, off
.LBB150_3175:
	s_mov_b32 s8, 0
.LBB150_3176:
	s_delay_alu instid0(SALU_CYCLE_1)
	s_and_not1_b32 vcc_lo, exec_lo, s8
	s_cbranch_vccnz .LBB150_3192
; %bb.3177:
	s_cmp_lt_i32 s0, 2
	s_mov_b32 s8, -1
	s_cbranch_scc1 .LBB150_3187
; %bb.3178:
	s_cmp_lt_i32 s0, 3
	s_cbranch_scc1 .LBB150_3184
; %bb.3179:
	s_cmp_gt_i32 s0, 3
	s_cbranch_scc0 .LBB150_3181
; %bb.3180:
	s_wait_xcnt 0x0
	v_trunc_f32_e32 v1, v4
	s_mov_b32 s8, 0
	s_delay_alu instid0(VALU_DEP_1) | instskip(SKIP_1) | instid1(VALU_DEP_2)
	v_mul_f32_e64 v5, 0x2f800000, |v1|
	v_ashrrev_i32_e32 v6, 31, v1
	v_floor_f32_e32 v5, v5
	s_delay_alu instid0(VALU_DEP_1) | instskip(SKIP_1) | instid1(VALU_DEP_2)
	v_fma_f32 v7, 0xcf800000, v5, |v1|
	v_cvt_u32_f32_e32 v1, v5
	v_cvt_u32_f32_e32 v5, v7
	s_delay_alu instid0(VALU_DEP_2) | instskip(NEXT) | instid1(VALU_DEP_2)
	v_dual_mov_b32 v7, v6 :: v_dual_bitop2_b32 v9, v1, v6 bitop3:0x14
	v_xor_b32_e32 v8, v5, v6
	s_delay_alu instid0(VALU_DEP_1)
	v_sub_nc_u64_e32 v[6:7], v[8:9], v[6:7]
	global_store_b64 v[2:3], v[6:7], off
.LBB150_3181:
	s_and_not1_b32 vcc_lo, exec_lo, s8
	s_cbranch_vccnz .LBB150_3183
; %bb.3182:
	s_wait_xcnt 0x0
	v_cvt_i32_f32_e32 v1, v4
	global_store_b32 v[2:3], v1, off
.LBB150_3183:
	s_mov_b32 s8, 0
.LBB150_3184:
	s_delay_alu instid0(SALU_CYCLE_1)
	s_and_not1_b32 vcc_lo, exec_lo, s8
	s_cbranch_vccnz .LBB150_3186
; %bb.3185:
	s_wait_xcnt 0x0
	v_cvt_i32_f32_e32 v1, v4
	global_store_b16 v[2:3], v1, off
.LBB150_3186:
	s_mov_b32 s8, 0
.LBB150_3187:
	s_delay_alu instid0(SALU_CYCLE_1)
	s_and_not1_b32 vcc_lo, exec_lo, s8
	s_cbranch_vccnz .LBB150_3192
; %bb.3188:
	s_cmp_gt_i32 s0, 0
	s_mov_b32 s0, -1
	s_cbranch_scc0 .LBB150_3190
; %bb.3189:
	s_wait_xcnt 0x0
	v_cvt_i32_f32_e32 v1, v4
	s_mov_b32 s0, 0
	global_store_b8 v[2:3], v1, off
.LBB150_3190:
	s_and_not1_b32 vcc_lo, exec_lo, s0
	s_cbranch_vccnz .LBB150_3192
; %bb.3191:
	s_wait_xcnt 0x0
	v_trunc_f32_e32 v1, v4
	s_delay_alu instid0(VALU_DEP_1) | instskip(NEXT) | instid1(VALU_DEP_1)
	v_mul_f32_e64 v4, 0x2f800000, |v1|
	v_floor_f32_e32 v4, v4
	s_delay_alu instid0(VALU_DEP_1) | instskip(SKIP_1) | instid1(VALU_DEP_2)
	v_fma_f32 v4, 0xcf800000, v4, |v1|
	v_ashrrev_i32_e32 v1, 31, v1
	v_cvt_u32_f32_e32 v4, v4
	s_delay_alu instid0(VALU_DEP_1) | instskip(NEXT) | instid1(VALU_DEP_1)
	v_xor_b32_e32 v4, v4, v1
	v_sub_nc_u32_e32 v1, v4, v1
	global_store_b8 v[2:3], v1, off
.LBB150_3192:
	s_mov_b32 s10, -1
.LBB150_3193:
	s_delay_alu instid0(SALU_CYCLE_1)
	s_and_not1_b32 vcc_lo, exec_lo, s10
	s_cbranch_vccnz .LBB150_3270
; %bb.3194:
	s_wait_xcnt 0x0
	v_mov_b64_e32 v[2:3], s[4:5]
	v_mov_b64_e32 v[4:5], s[6:7]
	v_dual_mov_b32 v7, v14 :: v_dual_add_nc_u32 v0, s1, v0
	s_cmp_lt_i32 s19, 11
	s_delay_alu instid0(VALU_DEP_3) | instskip(SKIP_1) | instid1(VALU_DEP_4)
	v_pk_mul_f32 v[2:3], v[12:13], v[2:3]
	v_mov_b32_e32 v6, v15
	v_pk_mul_f32 v[4:5], v[12:13], v[4:5]
	s_delay_alu instid0(VALU_DEP_3) | instskip(NEXT) | instid1(VALU_DEP_2)
	v_add_f32_e32 v2, v2, v3
	v_pk_add_f32 v[8:9], v[4:5], v[4:5] op_sel:[0,1] op_sel_hi:[0,1] neg_lo:[0,1] neg_hi:[0,1]
	s_delay_alu instid0(VALU_DEP_2) | instskip(NEXT) | instid1(VALU_DEP_1)
	v_pk_mul_f32 v[2:3], v[2:3], v[6:7] op_sel_hi:[0,1]
	v_pk_fma_f32 v[4:5], v[8:9], v[14:15], v[2:3]
	v_ashrrev_i32_e32 v1, 31, v0
	v_pk_fma_f32 v[2:3], v[8:9], v[14:15], v[2:3] neg_lo:[0,0,1] neg_hi:[0,0,1]
	s_delay_alu instid0(VALU_DEP_3) | instskip(NEXT) | instid1(VALU_DEP_3)
	v_mov_b32_e32 v3, v5
	v_add_nc_u64_e32 v[0:1], s[2:3], v[0:1]
	s_cbranch_scc1 .LBB150_3315
; %bb.3195:
	s_and_b32 s2, 0xffff, s19
	s_mov_b32 s3, -1
	s_mov_b32 s1, 0
	s_cmp_gt_i32 s2, 25
	s_mov_b32 s0, 0
	s_cbranch_scc0 .LBB150_3228
; %bb.3196:
	s_cmp_gt_i32 s2, 28
	s_cbranch_scc0 .LBB150_3212
; %bb.3197:
	s_cmp_gt_i32 s2, 43
	;; [unrolled: 3-line block ×3, first 2 shown]
	s_cbranch_scc0 .LBB150_3202
; %bb.3199:
	s_cmp_eq_u32 s2, 46
	s_mov_b32 s0, -1
	s_cbranch_scc0 .LBB150_3201
; %bb.3200:
	v_dual_lshrrev_b32 v4, 16, v2 :: v_dual_lshrrev_b32 v6, 16, v3
	v_cmp_o_f32_e32 vcc_lo, v2, v2
	s_mov_b32 s0, 0
	s_delay_alu instid0(VALU_DEP_2) | instskip(NEXT) | instid1(VALU_DEP_1)
	v_and_b32_e32 v4, 1, v4
	v_add3_u32 v4, v2, v4, 0x7fff
	s_delay_alu instid0(VALU_DEP_1) | instskip(NEXT) | instid1(VALU_DEP_1)
	v_dual_lshrrev_b32 v4, 16, v4 :: v_dual_bitop2_b32 v6, 1, v6 bitop3:0x40
	v_add3_u32 v6, v3, v6, 0x7fff
	s_delay_alu instid0(VALU_DEP_2) | instskip(NEXT) | instid1(VALU_DEP_2)
	v_cndmask_b32_e32 v4, 0x7fc0, v4, vcc_lo
	v_and_b32_e32 v6, 0xffff0000, v6
	v_cmp_o_f32_e32 vcc_lo, v5, v5
	s_delay_alu instid0(VALU_DEP_2) | instskip(NEXT) | instid1(VALU_DEP_1)
	v_cndmask_b32_e32 v6, 0x7fc00000, v6, vcc_lo
	v_or_b32_e32 v4, v6, v4
	global_store_b32 v[0:1], v4, off
.LBB150_3201:
	s_mov_b32 s3, 0
.LBB150_3202:
	s_delay_alu instid0(SALU_CYCLE_1)
	s_and_b32 vcc_lo, exec_lo, s3
	s_cbranch_vccz .LBB150_3207
; %bb.3203:
	s_cmp_eq_u32 s2, 44
	s_mov_b32 s0, -1
	s_cbranch_scc0 .LBB150_3207
; %bb.3204:
	v_bfe_u32 v6, v2, 23, 8
	s_wait_xcnt 0x0
	v_mov_b32_e32 v4, 0xff
	s_mov_b32 s3, exec_lo
	s_delay_alu instid0(VALU_DEP_2)
	v_cmpx_ne_u32_e32 0xff, v6
	s_cbranch_execz .LBB150_3206
; %bb.3205:
	v_and_b32_e32 v4, 0x400000, v2
	v_and_or_b32 v6, 0x3fffff, v2, v6
	s_delay_alu instid0(VALU_DEP_2) | instskip(NEXT) | instid1(VALU_DEP_2)
	v_cmp_ne_u32_e32 vcc_lo, 0, v4
	v_cmp_ne_u32_e64 s0, 0, v6
	v_lshrrev_b32_e32 v4, 23, v2
	s_and_b32 s0, vcc_lo, s0
	s_delay_alu instid0(SALU_CYCLE_1) | instskip(NEXT) | instid1(VALU_DEP_1)
	v_cndmask_b32_e64 v6, 0, 1, s0
	v_add_nc_u32_e32 v4, v4, v6
.LBB150_3206:
	s_or_b32 exec_lo, exec_lo, s3
	s_mov_b32 s0, 0
	global_store_b8 v[0:1], v4, off
.LBB150_3207:
	s_mov_b32 s3, 0
.LBB150_3208:
	s_delay_alu instid0(SALU_CYCLE_1)
	s_and_b32 vcc_lo, exec_lo, s3
	s_cbranch_vccz .LBB150_3211
; %bb.3209:
	s_cmp_eq_u32 s2, 29
	s_mov_b32 s0, -1
	s_cbranch_scc0 .LBB150_3211
; %bb.3210:
	s_wait_xcnt 0x0
	v_trunc_f32_e32 v4, v2
	s_mov_b32 s0, 0
	s_delay_alu instid0(VALU_DEP_1) | instskip(NEXT) | instid1(VALU_DEP_1)
	v_mul_f32_e32 v6, 0x2f800000, v4
	v_floor_f32_e32 v6, v6
	s_delay_alu instid0(VALU_DEP_1) | instskip(SKIP_1) | instid1(VALU_DEP_2)
	v_fmamk_f32 v4, v6, 0xcf800000, v4
	v_cvt_u32_f32_e32 v7, v6
	v_cvt_u32_f32_e32 v6, v4
	global_store_b64 v[0:1], v[6:7], off
.LBB150_3211:
	s_mov_b32 s3, 0
.LBB150_3212:
	s_delay_alu instid0(SALU_CYCLE_1)
	s_and_b32 vcc_lo, exec_lo, s3
	s_cbranch_vccz .LBB150_3227
; %bb.3213:
	s_cmp_lt_i32 s2, 27
	s_mov_b32 s3, -1
	s_cbranch_scc1 .LBB150_3219
; %bb.3214:
	s_wait_xcnt 0x0
	v_cvt_u32_f32_e32 v4, v2
	s_cmp_gt_i32 s2, 27
	s_cbranch_scc0 .LBB150_3216
; %bb.3215:
	s_mov_b32 s3, 0
	global_store_b32 v[0:1], v4, off
.LBB150_3216:
	s_and_not1_b32 vcc_lo, exec_lo, s3
	s_cbranch_vccnz .LBB150_3218
; %bb.3217:
	global_store_b16 v[0:1], v4, off
.LBB150_3218:
	s_mov_b32 s3, 0
.LBB150_3219:
	s_delay_alu instid0(SALU_CYCLE_1)
	s_and_not1_b32 vcc_lo, exec_lo, s3
	s_cbranch_vccnz .LBB150_3227
; %bb.3220:
	s_wait_xcnt 0x0
	v_and_b32_e32 v4, 0x7fffffff, v2
	v_mov_b32_e32 v6, 0x80
	s_mov_b32 s3, exec_lo
	s_delay_alu instid0(VALU_DEP_2)
	v_cmpx_gt_u32_e32 0x43800000, v4
	s_cbranch_execz .LBB150_3226
; %bb.3221:
	v_cmp_lt_u32_e32 vcc_lo, 0x3bffffff, v4
	s_mov_b32 s4, 0
                                        ; implicit-def: $vgpr4
	s_and_saveexec_b32 s5, vcc_lo
	s_delay_alu instid0(SALU_CYCLE_1)
	s_xor_b32 s5, exec_lo, s5
	s_cbranch_execz .LBB150_3343
; %bb.3222:
	v_bfe_u32 v4, v2, 20, 1
	s_mov_b32 s4, exec_lo
	s_delay_alu instid0(VALU_DEP_1) | instskip(NEXT) | instid1(VALU_DEP_1)
	v_add3_u32 v4, v2, v4, 0x487ffff
	v_lshrrev_b32_e32 v4, 20, v4
	s_and_not1_saveexec_b32 s5, s5
	s_cbranch_execnz .LBB150_3344
.LBB150_3223:
	s_or_b32 exec_lo, exec_lo, s5
	v_mov_b32_e32 v6, 0
	s_and_saveexec_b32 s5, s4
.LBB150_3224:
	v_lshrrev_b32_e32 v6, 24, v2
	s_delay_alu instid0(VALU_DEP_1)
	v_and_or_b32 v6, 0x80, v6, v4
.LBB150_3225:
	s_or_b32 exec_lo, exec_lo, s5
.LBB150_3226:
	s_delay_alu instid0(SALU_CYCLE_1)
	s_or_b32 exec_lo, exec_lo, s3
	global_store_b8 v[0:1], v6, off
.LBB150_3227:
	s_mov_b32 s3, 0
.LBB150_3228:
	s_delay_alu instid0(SALU_CYCLE_1)
	s_and_b32 vcc_lo, exec_lo, s3
	s_cbranch_vccz .LBB150_3268
; %bb.3229:
	s_cmp_gt_i32 s2, 22
	s_mov_b32 s1, -1
	s_cbranch_scc0 .LBB150_3261
; %bb.3230:
	s_cmp_lt_i32 s2, 24
	s_cbranch_scc1 .LBB150_3250
; %bb.3231:
	s_cmp_gt_i32 s2, 24
	s_cbranch_scc0 .LBB150_3239
; %bb.3232:
	s_wait_xcnt 0x0
	v_and_b32_e32 v4, 0x7fffffff, v2
	v_mov_b32_e32 v6, 0x80
	s_mov_b32 s1, exec_lo
	s_delay_alu instid0(VALU_DEP_2)
	v_cmpx_gt_u32_e32 0x47800000, v4
	s_cbranch_execz .LBB150_3238
; %bb.3233:
	v_cmp_lt_u32_e32 vcc_lo, 0x37ffffff, v4
	s_mov_b32 s3, 0
                                        ; implicit-def: $vgpr4
	s_and_saveexec_b32 s4, vcc_lo
	s_delay_alu instid0(SALU_CYCLE_1)
	s_xor_b32 s4, exec_lo, s4
	s_cbranch_execz .LBB150_3348
; %bb.3234:
	v_bfe_u32 v4, v2, 21, 1
	s_mov_b32 s3, exec_lo
	s_delay_alu instid0(VALU_DEP_1) | instskip(NEXT) | instid1(VALU_DEP_1)
	v_add3_u32 v4, v2, v4, 0x88fffff
	v_lshrrev_b32_e32 v4, 21, v4
	s_and_not1_saveexec_b32 s4, s4
	s_cbranch_execnz .LBB150_3349
.LBB150_3235:
	s_or_b32 exec_lo, exec_lo, s4
	v_mov_b32_e32 v6, 0
	s_and_saveexec_b32 s4, s3
.LBB150_3236:
	v_lshrrev_b32_e32 v6, 24, v2
	s_delay_alu instid0(VALU_DEP_1)
	v_and_or_b32 v6, 0x80, v6, v4
.LBB150_3237:
	s_or_b32 exec_lo, exec_lo, s4
.LBB150_3238:
	s_delay_alu instid0(SALU_CYCLE_1)
	s_or_b32 exec_lo, exec_lo, s1
	s_mov_b32 s1, 0
	global_store_b8 v[0:1], v6, off
.LBB150_3239:
	s_and_b32 vcc_lo, exec_lo, s1
	s_cbranch_vccz .LBB150_3249
; %bb.3240:
	s_wait_xcnt 0x0
	v_and_b32_e32 v6, 0x7fffffff, v2
	s_mov_b32 s1, exec_lo
                                        ; implicit-def: $vgpr4
	s_delay_alu instid0(VALU_DEP_1)
	v_cmpx_gt_u32_e32 0x43f00000, v6
	s_xor_b32 s1, exec_lo, s1
	s_cbranch_execz .LBB150_3246
; %bb.3241:
	s_mov_b32 s3, exec_lo
                                        ; implicit-def: $vgpr4
	v_cmpx_lt_u32_e32 0x3c7fffff, v6
	s_xor_b32 s3, exec_lo, s3
; %bb.3242:
	v_bfe_u32 v4, v2, 20, 1
	s_delay_alu instid0(VALU_DEP_1) | instskip(NEXT) | instid1(VALU_DEP_1)
	v_add3_u32 v4, v2, v4, 0x407ffff
	v_and_b32_e32 v6, 0xff00000, v4
	v_lshrrev_b32_e32 v4, 20, v4
	s_delay_alu instid0(VALU_DEP_2) | instskip(NEXT) | instid1(VALU_DEP_2)
	v_cmp_ne_u32_e32 vcc_lo, 0x7f00000, v6
	v_cndmask_b32_e32 v4, 0x7e, v4, vcc_lo
; %bb.3243:
	s_and_not1_saveexec_b32 s3, s3
; %bb.3244:
	v_add_f32_e64 v4, 0x46800000, |v2|
; %bb.3245:
	s_or_b32 exec_lo, exec_lo, s3
                                        ; implicit-def: $vgpr6
.LBB150_3246:
	s_and_not1_saveexec_b32 s1, s1
; %bb.3247:
	v_mov_b32_e32 v4, 0x7f
	v_cmp_lt_u32_e32 vcc_lo, 0x7f800000, v6
	s_delay_alu instid0(VALU_DEP_2)
	v_cndmask_b32_e32 v4, 0x7e, v4, vcc_lo
; %bb.3248:
	s_or_b32 exec_lo, exec_lo, s1
	v_lshrrev_b32_e32 v6, 24, v2
	s_delay_alu instid0(VALU_DEP_1)
	v_and_or_b32 v4, 0x80, v6, v4
	global_store_b8 v[0:1], v4, off
.LBB150_3249:
	s_mov_b32 s1, 0
.LBB150_3250:
	s_delay_alu instid0(SALU_CYCLE_1)
	s_and_not1_b32 vcc_lo, exec_lo, s1
	s_cbranch_vccnz .LBB150_3260
; %bb.3251:
	s_wait_xcnt 0x0
	v_and_b32_e32 v6, 0x7fffffff, v2
	s_mov_b32 s1, exec_lo
                                        ; implicit-def: $vgpr4
	s_delay_alu instid0(VALU_DEP_1)
	v_cmpx_gt_u32_e32 0x47800000, v6
	s_xor_b32 s1, exec_lo, s1
	s_cbranch_execz .LBB150_3257
; %bb.3252:
	s_mov_b32 s3, exec_lo
                                        ; implicit-def: $vgpr4
	v_cmpx_lt_u32_e32 0x387fffff, v6
	s_xor_b32 s3, exec_lo, s3
; %bb.3253:
	v_bfe_u32 v4, v2, 21, 1
	s_delay_alu instid0(VALU_DEP_1) | instskip(NEXT) | instid1(VALU_DEP_1)
	v_add3_u32 v4, v2, v4, 0x80fffff
	v_lshrrev_b32_e32 v4, 21, v4
; %bb.3254:
	s_and_not1_saveexec_b32 s3, s3
; %bb.3255:
	v_add_f32_e64 v4, 0x43000000, |v2|
; %bb.3256:
	s_or_b32 exec_lo, exec_lo, s3
                                        ; implicit-def: $vgpr6
.LBB150_3257:
	s_and_not1_saveexec_b32 s1, s1
; %bb.3258:
	v_mov_b32_e32 v4, 0x7f
	v_cmp_lt_u32_e32 vcc_lo, 0x7f800000, v6
	s_delay_alu instid0(VALU_DEP_2)
	v_cndmask_b32_e32 v4, 0x7c, v4, vcc_lo
; %bb.3259:
	s_or_b32 exec_lo, exec_lo, s1
	v_lshrrev_b32_e32 v6, 24, v2
	s_delay_alu instid0(VALU_DEP_1)
	v_and_or_b32 v4, 0x80, v6, v4
	global_store_b8 v[0:1], v4, off
.LBB150_3260:
	s_mov_b32 s1, 0
.LBB150_3261:
	s_delay_alu instid0(SALU_CYCLE_1)
	s_and_not1_b32 vcc_lo, exec_lo, s1
	s_mov_b32 s1, 0
	s_cbranch_vccnz .LBB150_3268
; %bb.3262:
	s_cmp_gt_i32 s2, 14
	s_mov_b32 s1, -1
	s_cbranch_scc0 .LBB150_3266
; %bb.3263:
	s_cmp_eq_u32 s2, 15
	s_mov_b32 s0, -1
	s_cbranch_scc0 .LBB150_3265
; %bb.3264:
	s_wait_xcnt 0x0
	v_bfe_u32 v4, v2, 16, 1
	v_cmp_o_f32_e32 vcc_lo, v2, v2
	s_mov_b32 s0, 0
	s_delay_alu instid0(VALU_DEP_2) | instskip(NEXT) | instid1(VALU_DEP_1)
	v_add3_u32 v4, v2, v4, 0x7fff
	v_lshrrev_b32_e32 v4, 16, v4
	s_delay_alu instid0(VALU_DEP_1)
	v_cndmask_b32_e32 v4, 0x7fc0, v4, vcc_lo
	global_store_b16 v[0:1], v4, off
.LBB150_3265:
	s_mov_b32 s1, 0
.LBB150_3266:
	s_delay_alu instid0(SALU_CYCLE_1)
	s_and_b32 vcc_lo, exec_lo, s1
	s_mov_b32 s1, 0
	s_cbranch_vccz .LBB150_3268
; %bb.3267:
	s_cmp_lg_u32 s2, 11
	s_mov_b32 s1, -1
	s_cselect_b32 s0, -1, 0
.LBB150_3268:
	s_delay_alu instid0(SALU_CYCLE_1)
	s_and_b32 vcc_lo, exec_lo, s0
	s_cbranch_vccnz .LBB150_3347
.LBB150_3269:
	s_mov_b32 s0, 0
	s_branch .LBB150_3271
.LBB150_3270:
	s_mov_b32 s0, 0
	s_mov_b32 s1, 0
                                        ; implicit-def: $sgpr19
                                        ; implicit-def: $vgpr0_vgpr1
                                        ; implicit-def: $vgpr2_vgpr3
                                        ; implicit-def: $vgpr4_vgpr5
.LBB150_3271:
	s_and_b32 s20, s0, exec_lo
	s_and_not1_b32 s0, s12, exec_lo
	s_and_b32 s2, s17, exec_lo
	s_and_b32 s17, s1, exec_lo
	s_or_b32 s12, s0, s2
.LBB150_3272:
	s_wait_xcnt 0x0
	s_or_b32 exec_lo, exec_lo, s13
	s_and_saveexec_b32 s0, s12
	s_cbranch_execz .LBB150_3275
; %bb.3273:
	; divergent unreachable
	s_or_b32 exec_lo, exec_lo, s0
	s_and_saveexec_b32 s0, s17
	s_delay_alu instid0(SALU_CYCLE_1)
	s_xor_b32 s1, exec_lo, s0
	s_cbranch_execnz .LBB150_3276
.LBB150_3274:
	s_or_b32 exec_lo, exec_lo, s1
	s_and_saveexec_b32 s0, s20
	s_cbranch_execnz .LBB150_3277
	s_branch .LBB150_3314
.LBB150_3275:
	s_or_b32 exec_lo, exec_lo, s0
	s_and_saveexec_b32 s0, s17
	s_delay_alu instid0(SALU_CYCLE_1)
	s_xor_b32 s1, exec_lo, s0
	s_cbranch_execz .LBB150_3274
.LBB150_3276:
	s_wait_loadcnt 0x0
	v_cmp_neq_f32_e32 vcc_lo, 0, v2
	v_cmp_neq_f32_e64 s0, 0, v5
	s_or_b32 s0, vcc_lo, s0
	s_delay_alu instid0(SALU_CYCLE_1)
	v_cndmask_b32_e64 v4, 0, 1, s0
	global_store_b8 v[0:1], v4, off
	s_wait_xcnt 0x0
	s_or_b32 exec_lo, exec_lo, s1
	s_and_saveexec_b32 s0, s20
	s_cbranch_execz .LBB150_3314
.LBB150_3277:
	s_sext_i32_i16 s1, s19
	s_mov_b32 s0, -1
	s_cmp_lt_i32 s1, 5
	s_cbranch_scc1 .LBB150_3298
; %bb.3278:
	s_cmp_lt_i32 s1, 8
	s_cbranch_scc1 .LBB150_3288
; %bb.3279:
	;; [unrolled: 3-line block ×3, first 2 shown]
	s_cmp_gt_i32 s1, 9
	s_cbranch_scc0 .LBB150_3282
; %bb.3281:
	s_wait_loadcnt 0x0
	v_cvt_f64_f32_e32 v[6:7], v2
	v_cvt_f64_f32_e32 v[8:9], v5
	s_mov_b32 s0, 0
	global_store_b128 v[0:1], v[6:9], off
.LBB150_3282:
	s_and_not1_b32 vcc_lo, exec_lo, s0
	s_cbranch_vccnz .LBB150_3284
; %bb.3283:
	s_wait_loadcnt 0x0
	global_store_b64 v[0:1], v[2:3], off
.LBB150_3284:
	s_mov_b32 s0, 0
.LBB150_3285:
	s_delay_alu instid0(SALU_CYCLE_1)
	s_and_not1_b32 vcc_lo, exec_lo, s0
	s_cbranch_vccnz .LBB150_3287
; %bb.3286:
	s_wait_loadcnt 0x0
	v_cvt_f16_f32_e32 v3, v5
	v_cvt_f16_f32_e32 v4, v2
	s_delay_alu instid0(VALU_DEP_2) | instskip(NEXT) | instid1(VALU_DEP_2)
	v_lshlrev_b32_e32 v3, 16, v3
	v_and_b32_e32 v4, 0xffff, v4
	s_delay_alu instid0(VALU_DEP_1)
	v_or_b32_e32 v3, v3, v4
	global_store_b32 v[0:1], v3, off
.LBB150_3287:
	s_mov_b32 s0, 0
.LBB150_3288:
	s_delay_alu instid0(SALU_CYCLE_1)
	s_and_not1_b32 vcc_lo, exec_lo, s0
	s_cbranch_vccnz .LBB150_3297
; %bb.3289:
	s_sext_i32_i16 s1, s19
	s_mov_b32 s0, -1
	s_cmp_lt_i32 s1, 6
	s_cbranch_scc1 .LBB150_3295
; %bb.3290:
	s_cmp_gt_i32 s1, 6
	s_cbranch_scc0 .LBB150_3292
; %bb.3291:
	s_wait_loadcnt 0x0
	v_cvt_f64_f32_e32 v[4:5], v2
	s_mov_b32 s0, 0
	global_store_b64 v[0:1], v[4:5], off
.LBB150_3292:
	s_and_not1_b32 vcc_lo, exec_lo, s0
	s_cbranch_vccnz .LBB150_3294
; %bb.3293:
	s_wait_loadcnt 0x0
	global_store_b32 v[0:1], v2, off
.LBB150_3294:
	s_mov_b32 s0, 0
.LBB150_3295:
	s_delay_alu instid0(SALU_CYCLE_1)
	s_and_not1_b32 vcc_lo, exec_lo, s0
	s_cbranch_vccnz .LBB150_3297
; %bb.3296:
	s_wait_loadcnt 0x0
	v_cvt_f16_f32_e32 v3, v2
	global_store_b16 v[0:1], v3, off
.LBB150_3297:
	s_mov_b32 s0, 0
.LBB150_3298:
	s_delay_alu instid0(SALU_CYCLE_1)
	s_and_not1_b32 vcc_lo, exec_lo, s0
	s_cbranch_vccnz .LBB150_3314
; %bb.3299:
	s_sext_i32_i16 s1, s19
	s_mov_b32 s0, -1
	s_cmp_lt_i32 s1, 2
	s_cbranch_scc1 .LBB150_3309
; %bb.3300:
	s_cmp_lt_i32 s1, 3
	s_cbranch_scc1 .LBB150_3306
; %bb.3301:
	s_cmp_gt_i32 s1, 3
	s_cbranch_scc0 .LBB150_3303
; %bb.3302:
	s_wait_loadcnt 0x0
	v_trunc_f32_e32 v3, v2
	s_mov_b32 s0, 0
	s_delay_alu instid0(VALU_DEP_1) | instskip(NEXT) | instid1(VALU_DEP_1)
	v_mul_f32_e64 v4, 0x2f800000, |v3|
	v_floor_f32_e32 v5, v4
	v_ashrrev_i32_e32 v4, 31, v3
	s_delay_alu instid0(VALU_DEP_2) | instskip(SKIP_1) | instid1(VALU_DEP_3)
	v_fma_f32 v6, 0xcf800000, v5, |v3|
	v_cvt_u32_f32_e32 v3, v5
	v_mov_b32_e32 v5, v4
	s_delay_alu instid0(VALU_DEP_3) | instskip(NEXT) | instid1(VALU_DEP_3)
	v_cvt_u32_f32_e32 v6, v6
	v_xor_b32_e32 v7, v3, v4
	s_delay_alu instid0(VALU_DEP_2) | instskip(NEXT) | instid1(VALU_DEP_1)
	v_xor_b32_e32 v6, v6, v4
	v_sub_nc_u64_e32 v[4:5], v[6:7], v[4:5]
	global_store_b64 v[0:1], v[4:5], off
.LBB150_3303:
	s_and_not1_b32 vcc_lo, exec_lo, s0
	s_cbranch_vccnz .LBB150_3305
; %bb.3304:
	s_wait_loadcnt 0x0
	v_cvt_i32_f32_e32 v3, v2
	global_store_b32 v[0:1], v3, off
.LBB150_3305:
	s_mov_b32 s0, 0
.LBB150_3306:
	s_delay_alu instid0(SALU_CYCLE_1)
	s_and_not1_b32 vcc_lo, exec_lo, s0
	s_cbranch_vccnz .LBB150_3308
; %bb.3307:
	s_wait_loadcnt 0x0
	v_cvt_i32_f32_e32 v3, v2
	global_store_b16 v[0:1], v3, off
.LBB150_3308:
	s_mov_b32 s0, 0
.LBB150_3309:
	s_delay_alu instid0(SALU_CYCLE_1)
	s_and_not1_b32 vcc_lo, exec_lo, s0
	s_cbranch_vccnz .LBB150_3314
; %bb.3310:
	s_sext_i32_i16 s0, s19
	s_delay_alu instid0(SALU_CYCLE_1)
	s_cmp_gt_i32 s0, 0
	s_mov_b32 s0, -1
	s_cbranch_scc0 .LBB150_3312
; %bb.3311:
	s_wait_loadcnt 0x0
	v_cvt_i32_f32_e32 v3, v2
	s_mov_b32 s0, 0
	global_store_b8 v[0:1], v3, off
.LBB150_3312:
	s_and_not1_b32 vcc_lo, exec_lo, s0
	s_cbranch_vccnz .LBB150_3314
; %bb.3313:
	s_wait_loadcnt 0x0
	v_trunc_f32_e32 v2, v2
	s_delay_alu instid0(VALU_DEP_1) | instskip(NEXT) | instid1(VALU_DEP_1)
	v_mul_f32_e64 v3, 0x2f800000, |v2|
	v_floor_f32_e32 v3, v3
	s_delay_alu instid0(VALU_DEP_1) | instskip(SKIP_1) | instid1(VALU_DEP_2)
	v_fma_f32 v3, 0xcf800000, v3, |v2|
	v_ashrrev_i32_e32 v2, 31, v2
	v_cvt_u32_f32_e32 v3, v3
	s_delay_alu instid0(VALU_DEP_1) | instskip(NEXT) | instid1(VALU_DEP_1)
	v_xor_b32_e32 v3, v3, v2
	v_sub_nc_u32_e32 v2, v3, v2
	global_store_b8 v[0:1], v2, off
	s_endpgm
.LBB150_3314:
	s_endpgm
.LBB150_3315:
	s_mov_b32 s1, 0
	s_mov_b32 s0, -1
	s_branch .LBB150_3271
.LBB150_3316:
	s_and_not1_saveexec_b32 s11, s11
	s_cbranch_execz .LBB150_2865
.LBB150_3317:
	v_add_f32_e64 v17, 0x46000000, |v2|
	s_mov_b32 s15, s10
	s_mov_b32 s16, exec_lo
	s_delay_alu instid0(VALU_DEP_1) | instskip(NEXT) | instid1(VALU_DEP_1)
	v_and_b32_e32 v17, 0xff, v17
	v_cmpx_ne_u32_e32 0, v17
; %bb.3318:
	s_or_b32 s15, s10, exec_lo
; %bb.3319:
	s_or_b32 exec_lo, exec_lo, s16
	s_delay_alu instid0(SALU_CYCLE_1) | instskip(SKIP_1) | instid1(SALU_CYCLE_1)
	s_and_not1_b32 s10, s10, exec_lo
	s_and_b32 s15, s15, exec_lo
	s_or_b32 s10, s10, s15
	s_or_b32 exec_lo, exec_lo, s11
	v_mov_b32_e32 v18, 0
	s_and_saveexec_b32 s11, s10
	s_cbranch_execnz .LBB150_2866
	s_branch .LBB150_2867
.LBB150_3320:
	s_or_b32 s17, s17, exec_lo
	s_trap 2
	s_cbranch_execz .LBB150_2913
	s_branch .LBB150_2914
.LBB150_3321:
	s_and_not1_saveexec_b32 s10, s10
	s_cbranch_execz .LBB150_2878
.LBB150_3322:
	v_add_f32_e64 v17, 0x42800000, |v2|
	s_mov_b32 s11, s9
	s_mov_b32 s15, exec_lo
	s_delay_alu instid0(VALU_DEP_1) | instskip(NEXT) | instid1(VALU_DEP_1)
	v_and_b32_e32 v17, 0xff, v17
	v_cmpx_ne_u32_e32 0, v17
; %bb.3323:
	s_or_b32 s11, s9, exec_lo
; %bb.3324:
	s_or_b32 exec_lo, exec_lo, s15
	s_delay_alu instid0(SALU_CYCLE_1) | instskip(SKIP_1) | instid1(SALU_CYCLE_1)
	s_and_not1_b32 s9, s9, exec_lo
	s_and_b32 s11, s11, exec_lo
	s_or_b32 s9, s9, s11
	s_or_b32 exec_lo, exec_lo, s10
	v_mov_b32_e32 v18, 0
	s_and_saveexec_b32 s10, s9
	s_cbranch_execnz .LBB150_2879
	s_branch .LBB150_2880
.LBB150_3325:
	s_and_not1_saveexec_b32 s14, s14
	s_cbranch_execz .LBB150_2984
.LBB150_3326:
	v_add_f32_e64 v1, 0x46000000, |v4|
	s_mov_b32 s15, s11
	s_mov_b32 s16, exec_lo
	s_delay_alu instid0(VALU_DEP_1) | instskip(NEXT) | instid1(VALU_DEP_1)
	v_and_b32_e32 v1, 0xff, v1
	v_cmpx_ne_u32_e32 0, v1
; %bb.3327:
	s_or_b32 s15, s11, exec_lo
; %bb.3328:
	s_or_b32 exec_lo, exec_lo, s16
	s_delay_alu instid0(SALU_CYCLE_1) | instskip(SKIP_1) | instid1(SALU_CYCLE_1)
	s_and_not1_b32 s11, s11, exec_lo
	s_and_b32 s15, s15, exec_lo
	s_or_b32 s11, s11, s15
	s_or_b32 exec_lo, exec_lo, s14
	v_mov_b32_e32 v6, 0
	s_and_saveexec_b32 s14, s11
	s_cbranch_execnz .LBB150_2985
	s_branch .LBB150_2986
.LBB150_3329:
	s_or_b32 s17, s17, exec_lo
	s_trap 2
	s_cbranch_execz .LBB150_3032
	s_branch .LBB150_3033
.LBB150_3330:
	s_and_not1_saveexec_b32 s11, s11
	s_cbranch_execz .LBB150_2997
.LBB150_3331:
	v_add_f32_e64 v1, 0x42800000, |v4|
	s_mov_b32 s14, s10
	s_mov_b32 s15, exec_lo
	s_delay_alu instid0(VALU_DEP_1) | instskip(NEXT) | instid1(VALU_DEP_1)
	v_and_b32_e32 v1, 0xff, v1
	v_cmpx_ne_u32_e32 0, v1
; %bb.3332:
	s_or_b32 s14, s10, exec_lo
; %bb.3333:
	s_or_b32 exec_lo, exec_lo, s15
	s_delay_alu instid0(SALU_CYCLE_1) | instskip(SKIP_1) | instid1(SALU_CYCLE_1)
	s_and_not1_b32 s10, s10, exec_lo
	s_and_b32 s14, s14, exec_lo
	s_or_b32 s10, s10, s14
	s_or_b32 exec_lo, exec_lo, s11
	v_mov_b32_e32 v6, 0
	s_and_saveexec_b32 s11, s10
	s_cbranch_execnz .LBB150_2998
	s_branch .LBB150_2999
.LBB150_3334:
	s_and_not1_saveexec_b32 s14, s14
	s_cbranch_execz .LBB150_3103
.LBB150_3335:
	v_add_f32_e64 v1, 0x46000000, |v4|
	s_mov_b32 s15, s11
	s_mov_b32 s16, exec_lo
	s_delay_alu instid0(VALU_DEP_1) | instskip(NEXT) | instid1(VALU_DEP_1)
	v_and_b32_e32 v1, 0xff, v1
	v_cmpx_ne_u32_e32 0, v1
; %bb.3336:
	s_or_b32 s15, s11, exec_lo
; %bb.3337:
	s_or_b32 exec_lo, exec_lo, s16
	s_delay_alu instid0(SALU_CYCLE_1) | instskip(SKIP_1) | instid1(SALU_CYCLE_1)
	s_and_not1_b32 s11, s11, exec_lo
	s_and_b32 s15, s15, exec_lo
	s_or_b32 s11, s11, s15
	s_or_b32 exec_lo, exec_lo, s14
	v_mov_b32_e32 v6, 0
	s_and_saveexec_b32 s14, s11
	s_cbranch_execnz .LBB150_3104
	s_branch .LBB150_3105
.LBB150_3338:
	s_or_b32 s17, s17, exec_lo
	s_trap 2
	s_cbranch_execz .LBB150_3151
	s_branch .LBB150_3152
.LBB150_3339:
	s_and_not1_saveexec_b32 s11, s11
	s_cbranch_execz .LBB150_3116
.LBB150_3340:
	v_add_f32_e64 v1, 0x42800000, |v4|
	s_mov_b32 s14, s10
	s_mov_b32 s15, exec_lo
	s_delay_alu instid0(VALU_DEP_1) | instskip(NEXT) | instid1(VALU_DEP_1)
	v_and_b32_e32 v1, 0xff, v1
	v_cmpx_ne_u32_e32 0, v1
; %bb.3341:
	s_or_b32 s14, s10, exec_lo
; %bb.3342:
	s_or_b32 exec_lo, exec_lo, s15
	s_delay_alu instid0(SALU_CYCLE_1) | instskip(SKIP_1) | instid1(SALU_CYCLE_1)
	s_and_not1_b32 s10, s10, exec_lo
	s_and_b32 s14, s14, exec_lo
	s_or_b32 s10, s10, s14
	s_or_b32 exec_lo, exec_lo, s11
	v_mov_b32_e32 v6, 0
	s_and_saveexec_b32 s11, s10
	s_cbranch_execnz .LBB150_3117
	s_branch .LBB150_3118
.LBB150_3343:
	s_and_not1_saveexec_b32 s5, s5
	s_cbranch_execz .LBB150_3223
.LBB150_3344:
	v_add_f32_e64 v4, 0x46000000, |v2|
	s_mov_b32 s6, s4
	s_mov_b32 s7, exec_lo
	s_delay_alu instid0(VALU_DEP_1) | instskip(NEXT) | instid1(VALU_DEP_1)
	v_and_b32_e32 v4, 0xff, v4
	v_cmpx_ne_u32_e32 0, v4
; %bb.3345:
	s_or_b32 s6, s4, exec_lo
; %bb.3346:
	s_or_b32 exec_lo, exec_lo, s7
	s_delay_alu instid0(SALU_CYCLE_1) | instskip(SKIP_1) | instid1(SALU_CYCLE_1)
	s_and_not1_b32 s4, s4, exec_lo
	s_and_b32 s6, s6, exec_lo
	s_or_b32 s4, s4, s6
	s_or_b32 exec_lo, exec_lo, s5
	v_mov_b32_e32 v6, 0
	s_and_saveexec_b32 s5, s4
	s_cbranch_execnz .LBB150_3224
	s_branch .LBB150_3225
.LBB150_3347:
	s_mov_b32 s1, 0
	s_or_b32 s17, s17, exec_lo
	s_trap 2
	s_branch .LBB150_3269
.LBB150_3348:
	s_and_not1_saveexec_b32 s4, s4
	s_cbranch_execz .LBB150_3235
.LBB150_3349:
	v_add_f32_e64 v4, 0x42800000, |v2|
	s_mov_b32 s5, s3
	s_mov_b32 s6, exec_lo
	s_delay_alu instid0(VALU_DEP_1) | instskip(NEXT) | instid1(VALU_DEP_1)
	v_and_b32_e32 v4, 0xff, v4
	v_cmpx_ne_u32_e32 0, v4
; %bb.3350:
	s_or_b32 s5, s3, exec_lo
; %bb.3351:
	s_or_b32 exec_lo, exec_lo, s6
	s_delay_alu instid0(SALU_CYCLE_1) | instskip(SKIP_1) | instid1(SALU_CYCLE_1)
	s_and_not1_b32 s3, s3, exec_lo
	s_and_b32 s5, s5, exec_lo
	s_or_b32 s3, s3, s5
	s_or_b32 exec_lo, exec_lo, s4
	v_mov_b32_e32 v6, 0
	s_and_saveexec_b32 s4, s3
	s_cbranch_execnz .LBB150_3236
	s_branch .LBB150_3237
	.section	.rodata,"a",@progbits
	.p2align	6, 0x0
	.amdhsa_kernel _ZN2at6native32elementwise_kernel_manual_unrollILi128ELi4EZNS0_15gpu_kernel_implIZZZNS0_12_GLOBAL__N_116addr_kernel_cudaERNS_14TensorIteratorERKN3c106ScalarES9_ENKUlvE_clEvENKUlvE7_clEvEUlNS6_7complexIfEESD_SD_E_EEvRNS_18TensorIteratorBaseERKT_EUlibE_EEviT1_
		.amdhsa_group_segment_fixed_size 0
		.amdhsa_private_segment_fixed_size 0
		.amdhsa_kernarg_size 72
		.amdhsa_user_sgpr_count 2
		.amdhsa_user_sgpr_dispatch_ptr 0
		.amdhsa_user_sgpr_queue_ptr 0
		.amdhsa_user_sgpr_kernarg_segment_ptr 1
		.amdhsa_user_sgpr_dispatch_id 0
		.amdhsa_user_sgpr_kernarg_preload_length 0
		.amdhsa_user_sgpr_kernarg_preload_offset 0
		.amdhsa_user_sgpr_private_segment_size 0
		.amdhsa_wavefront_size32 1
		.amdhsa_uses_dynamic_stack 0
		.amdhsa_enable_private_segment 0
		.amdhsa_system_sgpr_workgroup_id_x 1
		.amdhsa_system_sgpr_workgroup_id_y 0
		.amdhsa_system_sgpr_workgroup_id_z 0
		.amdhsa_system_sgpr_workgroup_info 0
		.amdhsa_system_vgpr_workitem_id 0
		.amdhsa_next_free_vgpr 26
		.amdhsa_next_free_sgpr 42
		.amdhsa_named_barrier_count 0
		.amdhsa_reserve_vcc 1
		.amdhsa_float_round_mode_32 0
		.amdhsa_float_round_mode_16_64 0
		.amdhsa_float_denorm_mode_32 3
		.amdhsa_float_denorm_mode_16_64 3
		.amdhsa_fp16_overflow 0
		.amdhsa_memory_ordered 1
		.amdhsa_forward_progress 1
		.amdhsa_inst_pref_size 255
		.amdhsa_round_robin_scheduling 0
		.amdhsa_exception_fp_ieee_invalid_op 0
		.amdhsa_exception_fp_denorm_src 0
		.amdhsa_exception_fp_ieee_div_zero 0
		.amdhsa_exception_fp_ieee_overflow 0
		.amdhsa_exception_fp_ieee_underflow 0
		.amdhsa_exception_fp_ieee_inexact 0
		.amdhsa_exception_int_div_zero 0
	.end_amdhsa_kernel
	.section	.text._ZN2at6native32elementwise_kernel_manual_unrollILi128ELi4EZNS0_15gpu_kernel_implIZZZNS0_12_GLOBAL__N_116addr_kernel_cudaERNS_14TensorIteratorERKN3c106ScalarES9_ENKUlvE_clEvENKUlvE7_clEvEUlNS6_7complexIfEESD_SD_E_EEvRNS_18TensorIteratorBaseERKT_EUlibE_EEviT1_,"axG",@progbits,_ZN2at6native32elementwise_kernel_manual_unrollILi128ELi4EZNS0_15gpu_kernel_implIZZZNS0_12_GLOBAL__N_116addr_kernel_cudaERNS_14TensorIteratorERKN3c106ScalarES9_ENKUlvE_clEvENKUlvE7_clEvEUlNS6_7complexIfEESD_SD_E_EEvRNS_18TensorIteratorBaseERKT_EUlibE_EEviT1_,comdat
.Lfunc_end150:
	.size	_ZN2at6native32elementwise_kernel_manual_unrollILi128ELi4EZNS0_15gpu_kernel_implIZZZNS0_12_GLOBAL__N_116addr_kernel_cudaERNS_14TensorIteratorERKN3c106ScalarES9_ENKUlvE_clEvENKUlvE7_clEvEUlNS6_7complexIfEESD_SD_E_EEvRNS_18TensorIteratorBaseERKT_EUlibE_EEviT1_, .Lfunc_end150-_ZN2at6native32elementwise_kernel_manual_unrollILi128ELi4EZNS0_15gpu_kernel_implIZZZNS0_12_GLOBAL__N_116addr_kernel_cudaERNS_14TensorIteratorERKN3c106ScalarES9_ENKUlvE_clEvENKUlvE7_clEvEUlNS6_7complexIfEESD_SD_E_EEvRNS_18TensorIteratorBaseERKT_EUlibE_EEviT1_
                                        ; -- End function
	.set _ZN2at6native32elementwise_kernel_manual_unrollILi128ELi4EZNS0_15gpu_kernel_implIZZZNS0_12_GLOBAL__N_116addr_kernel_cudaERNS_14TensorIteratorERKN3c106ScalarES9_ENKUlvE_clEvENKUlvE7_clEvEUlNS6_7complexIfEESD_SD_E_EEvRNS_18TensorIteratorBaseERKT_EUlibE_EEviT1_.num_vgpr, 26
	.set _ZN2at6native32elementwise_kernel_manual_unrollILi128ELi4EZNS0_15gpu_kernel_implIZZZNS0_12_GLOBAL__N_116addr_kernel_cudaERNS_14TensorIteratorERKN3c106ScalarES9_ENKUlvE_clEvENKUlvE7_clEvEUlNS6_7complexIfEESD_SD_E_EEvRNS_18TensorIteratorBaseERKT_EUlibE_EEviT1_.num_agpr, 0
	.set _ZN2at6native32elementwise_kernel_manual_unrollILi128ELi4EZNS0_15gpu_kernel_implIZZZNS0_12_GLOBAL__N_116addr_kernel_cudaERNS_14TensorIteratorERKN3c106ScalarES9_ENKUlvE_clEvENKUlvE7_clEvEUlNS6_7complexIfEESD_SD_E_EEvRNS_18TensorIteratorBaseERKT_EUlibE_EEviT1_.numbered_sgpr, 42
	.set _ZN2at6native32elementwise_kernel_manual_unrollILi128ELi4EZNS0_15gpu_kernel_implIZZZNS0_12_GLOBAL__N_116addr_kernel_cudaERNS_14TensorIteratorERKN3c106ScalarES9_ENKUlvE_clEvENKUlvE7_clEvEUlNS6_7complexIfEESD_SD_E_EEvRNS_18TensorIteratorBaseERKT_EUlibE_EEviT1_.num_named_barrier, 0
	.set _ZN2at6native32elementwise_kernel_manual_unrollILi128ELi4EZNS0_15gpu_kernel_implIZZZNS0_12_GLOBAL__N_116addr_kernel_cudaERNS_14TensorIteratorERKN3c106ScalarES9_ENKUlvE_clEvENKUlvE7_clEvEUlNS6_7complexIfEESD_SD_E_EEvRNS_18TensorIteratorBaseERKT_EUlibE_EEviT1_.private_seg_size, 0
	.set _ZN2at6native32elementwise_kernel_manual_unrollILi128ELi4EZNS0_15gpu_kernel_implIZZZNS0_12_GLOBAL__N_116addr_kernel_cudaERNS_14TensorIteratorERKN3c106ScalarES9_ENKUlvE_clEvENKUlvE7_clEvEUlNS6_7complexIfEESD_SD_E_EEvRNS_18TensorIteratorBaseERKT_EUlibE_EEviT1_.uses_vcc, 1
	.set _ZN2at6native32elementwise_kernel_manual_unrollILi128ELi4EZNS0_15gpu_kernel_implIZZZNS0_12_GLOBAL__N_116addr_kernel_cudaERNS_14TensorIteratorERKN3c106ScalarES9_ENKUlvE_clEvENKUlvE7_clEvEUlNS6_7complexIfEESD_SD_E_EEvRNS_18TensorIteratorBaseERKT_EUlibE_EEviT1_.uses_flat_scratch, 0
	.set _ZN2at6native32elementwise_kernel_manual_unrollILi128ELi4EZNS0_15gpu_kernel_implIZZZNS0_12_GLOBAL__N_116addr_kernel_cudaERNS_14TensorIteratorERKN3c106ScalarES9_ENKUlvE_clEvENKUlvE7_clEvEUlNS6_7complexIfEESD_SD_E_EEvRNS_18TensorIteratorBaseERKT_EUlibE_EEviT1_.has_dyn_sized_stack, 0
	.set _ZN2at6native32elementwise_kernel_manual_unrollILi128ELi4EZNS0_15gpu_kernel_implIZZZNS0_12_GLOBAL__N_116addr_kernel_cudaERNS_14TensorIteratorERKN3c106ScalarES9_ENKUlvE_clEvENKUlvE7_clEvEUlNS6_7complexIfEESD_SD_E_EEvRNS_18TensorIteratorBaseERKT_EUlibE_EEviT1_.has_recursion, 0
	.set _ZN2at6native32elementwise_kernel_manual_unrollILi128ELi4EZNS0_15gpu_kernel_implIZZZNS0_12_GLOBAL__N_116addr_kernel_cudaERNS_14TensorIteratorERKN3c106ScalarES9_ENKUlvE_clEvENKUlvE7_clEvEUlNS6_7complexIfEESD_SD_E_EEvRNS_18TensorIteratorBaseERKT_EUlibE_EEviT1_.has_indirect_call, 0
	.section	.AMDGPU.csdata,"",@progbits
; Kernel info:
; codeLenInByte = 60572
; TotalNumSgprs: 44
; NumVgprs: 26
; ScratchSize: 0
; MemoryBound: 1
; FloatMode: 240
; IeeeMode: 1
; LDSByteSize: 0 bytes/workgroup (compile time only)
; SGPRBlocks: 0
; VGPRBlocks: 1
; NumSGPRsForWavesPerEU: 44
; NumVGPRsForWavesPerEU: 26
; NamedBarCnt: 0
; Occupancy: 16
; WaveLimiterHint : 0
; COMPUTE_PGM_RSRC2:SCRATCH_EN: 0
; COMPUTE_PGM_RSRC2:USER_SGPR: 2
; COMPUTE_PGM_RSRC2:TRAP_HANDLER: 0
; COMPUTE_PGM_RSRC2:TGID_X_EN: 1
; COMPUTE_PGM_RSRC2:TGID_Y_EN: 0
; COMPUTE_PGM_RSRC2:TGID_Z_EN: 0
; COMPUTE_PGM_RSRC2:TIDIG_COMP_CNT: 0
	.section	.text._ZN2at6native32elementwise_kernel_manual_unrollILi128ELi4EZNS0_15gpu_kernel_implIZZZNS0_12_GLOBAL__N_116addr_kernel_cudaERNS_14TensorIteratorERKN3c106ScalarES9_ENKUlvE_clEvENKUlvE7_clEvEUlNS6_7complexIfEESD_SD_E_EEvRNS_18TensorIteratorBaseERKT_EUlibE0_EEviT1_,"axG",@progbits,_ZN2at6native32elementwise_kernel_manual_unrollILi128ELi4EZNS0_15gpu_kernel_implIZZZNS0_12_GLOBAL__N_116addr_kernel_cudaERNS_14TensorIteratorERKN3c106ScalarES9_ENKUlvE_clEvENKUlvE7_clEvEUlNS6_7complexIfEESD_SD_E_EEvRNS_18TensorIteratorBaseERKT_EUlibE0_EEviT1_,comdat
	.globl	_ZN2at6native32elementwise_kernel_manual_unrollILi128ELi4EZNS0_15gpu_kernel_implIZZZNS0_12_GLOBAL__N_116addr_kernel_cudaERNS_14TensorIteratorERKN3c106ScalarES9_ENKUlvE_clEvENKUlvE7_clEvEUlNS6_7complexIfEESD_SD_E_EEvRNS_18TensorIteratorBaseERKT_EUlibE0_EEviT1_ ; -- Begin function _ZN2at6native32elementwise_kernel_manual_unrollILi128ELi4EZNS0_15gpu_kernel_implIZZZNS0_12_GLOBAL__N_116addr_kernel_cudaERNS_14TensorIteratorERKN3c106ScalarES9_ENKUlvE_clEvENKUlvE7_clEvEUlNS6_7complexIfEESD_SD_E_EEvRNS_18TensorIteratorBaseERKT_EUlibE0_EEviT1_
	.p2align	8
	.type	_ZN2at6native32elementwise_kernel_manual_unrollILi128ELi4EZNS0_15gpu_kernel_implIZZZNS0_12_GLOBAL__N_116addr_kernel_cudaERNS_14TensorIteratorERKN3c106ScalarES9_ENKUlvE_clEvENKUlvE7_clEvEUlNS6_7complexIfEESD_SD_E_EEvRNS_18TensorIteratorBaseERKT_EUlibE0_EEviT1_,@function
_ZN2at6native32elementwise_kernel_manual_unrollILi128ELi4EZNS0_15gpu_kernel_implIZZZNS0_12_GLOBAL__N_116addr_kernel_cudaERNS_14TensorIteratorERKN3c106ScalarES9_ENKUlvE_clEvENKUlvE7_clEvEUlNS6_7complexIfEESD_SD_E_EEvRNS_18TensorIteratorBaseERKT_EUlibE0_EEviT1_: ; @_ZN2at6native32elementwise_kernel_manual_unrollILi128ELi4EZNS0_15gpu_kernel_implIZZZNS0_12_GLOBAL__N_116addr_kernel_cudaERNS_14TensorIteratorERKN3c106ScalarES9_ENKUlvE_clEvENKUlvE7_clEvEUlNS6_7complexIfEESD_SD_E_EEvRNS_18TensorIteratorBaseERKT_EUlibE0_EEviT1_
; %bb.0:
	s_clause 0x1
	s_load_b32 s15, s[0:1], 0x8
	s_load_b32 s40, s[0:1], 0x0
	s_bfe_u32 s2, ttmp6, 0x4000c
	s_and_b32 s3, ttmp6, 15
	s_add_co_i32 s2, s2, 1
	s_getreg_b32 s4, hwreg(HW_REG_IB_STS2, 6, 4)
	s_mul_i32 s2, ttmp9, s2
	s_mov_b32 s30, -1
	s_add_co_i32 s3, s3, s2
	s_cmp_eq_u32 s4, 0
	s_add_nc_u64 s[16:17], s[0:1], 8
	s_cselect_b32 s2, ttmp9, s3
	s_mov_b32 s3, 0
	v_lshl_or_b32 v0, s2, 9, v0
	s_mov_b32 s7, 0
	s_wait_xcnt 0x0
	s_mov_b32 s0, exec_lo
	s_delay_alu instid0(VALU_DEP_1) | instskip(SKIP_2) | instid1(SALU_CYCLE_1)
	v_or_b32_e32 v1, 0x180, v0
	s_wait_kmcnt 0x0
	s_add_co_i32 s33, s15, -1
	s_cmp_gt_u32 s33, 1
	s_cselect_b32 s34, -1, 0
	v_cmpx_le_i32_e64 s40, v1
	s_xor_b32 s35, exec_lo, s0
	s_cbranch_execz .LBB151_1709
; %bb.1:
	s_clause 0x7
	s_load_b128 s[8:11], s[16:17], 0x4
	s_load_b64 s[24:25], s[16:17], 0x14
	s_load_b96 s[0:2], s[16:17], 0x1e8
	s_load_b32 s37, s[16:17], 0xc4
	s_load_b96 s[12:14], s[16:17], 0xcc
	s_load_b64 s[26:27], s[16:17], 0xdc
	s_load_b64 s[18:19], s[16:17], 0x1c8
	s_load_b128 s[4:7], s[16:17], 0x1d8
	s_cmp_lg_u32 s15, 0
	s_mov_b32 s23, 0
	s_cselect_b32 s41, -1, 0
	s_min_u32 s39, s33, 15
	s_cmp_gt_u32 s15, 1
	s_mov_b32 s29, s23
	s_cselect_b32 s38, -1, 0
	s_mov_b32 s45, s23
	s_mov_b32 s44, s23
	;; [unrolled: 1-line block ×4, first 2 shown]
	s_mov_b32 s46, exec_lo
	s_wait_kmcnt 0x0
	s_mov_b32 s22, s9
	s_mov_b32 s28, s24
	s_lshr_b32 s24, s2, 16
	s_lshr_b32 s36, s2, 8
	;; [unrolled: 1-line block ×3, first 2 shown]
	s_mov_b32 s20, s1
	s_mov_b32 s21, s0
	v_cmpx_gt_i32_e64 s40, v0
	s_cbranch_execz .LBB151_424
; %bb.2:
	s_and_not1_b32 vcc_lo, exec_lo, s34
	s_cbranch_vccnz .LBB151_8
; %bb.3:
	s_and_not1_b32 vcc_lo, exec_lo, s41
	s_cbranch_vccnz .LBB151_9
; %bb.4:
	v_dual_mov_b32 v2, 0 :: v_dual_mov_b32 v1, v0
	v_dual_mov_b32 v4, 0 :: v_dual_mov_b32 v6, 0
	s_add_co_i32 s30, s39, 1
	s_mov_b64 s[0:1], 0xffffffffffffffe0
	s_and_b32 s42, s30, 30
	s_add_nc_u64 s[0:1], s[16:17], s[0:1]
	s_mov_b64 s[30:31], s[16:17]
.LBB151_5:                              ; =>This Inner Loop Header: Depth=1
	s_clause 0x1
	s_load_b128 s[48:51], s[30:31], 0x4
	s_load_b64 s[44:45], s[30:31], 0x14
	s_load_b32 s43, s[0:1], 0xe4
	s_add_co_i32 s42, s42, -2
	s_wait_xcnt 0x0
	s_add_nc_u64 s[30:31], s[30:31], 24
	s_cmp_lg_u32 s42, 0
	s_wait_kmcnt 0x0
	v_mul_hi_u32 v3, s49, v1
	s_delay_alu instid0(VALU_DEP_1) | instskip(NEXT) | instid1(VALU_DEP_1)
	v_add_nc_u32_e32 v3, v1, v3
	v_lshrrev_b32_e32 v3, s50, v3
	s_delay_alu instid0(VALU_DEP_1) | instskip(SKIP_2) | instid1(VALU_DEP_1)
	v_mul_hi_u32 v5, s44, v3
	v_mul_lo_u32 v7, v3, s48
	s_load_b96 s[48:50], s[0:1], 0xec
	v_dual_add_nc_u32 v5, v3, v5 :: v_dual_sub_nc_u32 v7, v1, v7
	s_delay_alu instid0(VALU_DEP_1) | instskip(SKIP_1) | instid1(VALU_DEP_2)
	v_lshrrev_b32_e32 v1, s45, v5
	s_load_b64 s[44:45], s[0:1], 0xfc
	v_mad_u32 v2, v7, s43, v2
	s_wait_xcnt 0x0
	s_add_nc_u64 s[0:1], s[0:1], 32
	v_mul_lo_u32 v5, v1, s51
	s_wait_kmcnt 0x0
	v_mad_u32 v6, v7, s49, v6
	v_mad_u32 v4, v7, s48, v4
	s_delay_alu instid0(VALU_DEP_3) | instskip(NEXT) | instid1(VALU_DEP_1)
	v_sub_nc_u32_e32 v3, v3, v5
	v_mad_u32 v2, v3, s50, v2
	s_delay_alu instid0(VALU_DEP_4) | instskip(NEXT) | instid1(VALU_DEP_4)
	v_mad_u32 v6, v3, s45, v6
	v_mad_u32 v4, v3, s44, v4
	s_cbranch_scc1 .LBB151_5
; %bb.6:
	s_bitcmp1_b32 s39, 0
	s_cselect_b32 s42, -1, 0
	s_delay_alu instid0(SALU_CYCLE_1)
	s_and_b32 vcc_lo, exec_lo, s42
	s_cbranch_vccnz .LBB151_10
; %bb.7:
	s_load_b96 s[48:50], s[30:31], 0x4
	s_load_b32 s42, s[0:1], 0xe4
	s_wait_xcnt 0x0
	s_load_b64 s[30:31], s[0:1], 0xec
	s_wait_xcnt 0x0
	s_wait_kmcnt 0x0
	v_mul_hi_u32 v3, s49, v1
	s_delay_alu instid0(VALU_DEP_1) | instskip(NEXT) | instid1(VALU_DEP_1)
	v_add_nc_u32_e32 v3, v1, v3
	v_lshrrev_b32_e32 v3, s50, v3
	s_delay_alu instid0(VALU_DEP_1) | instskip(NEXT) | instid1(VALU_DEP_1)
	v_mul_lo_u32 v3, v3, s48
	v_sub_nc_u32_e32 v1, v1, v3
	s_delay_alu instid0(VALU_DEP_1)
	v_mad_u32 v2, v1, s42, v2
	v_mad_u32 v4, v1, s30, v4
	;; [unrolled: 1-line block ×3, first 2 shown]
	s_cbranch_execz .LBB151_11
	s_branch .LBB151_13
.LBB151_8:
                                        ; implicit-def: $vgpr6
                                        ; implicit-def: $vgpr4
                                        ; implicit-def: $vgpr2
	s_branch .LBB151_11
.LBB151_9:
	v_dual_mov_b32 v6, 0 :: v_dual_mov_b32 v4, 0
	v_mov_b32_e32 v2, 0
.LBB151_10:
	s_cbranch_execnz .LBB151_13
.LBB151_11:
	v_mov_b32_e32 v1, 0
	s_and_not1_b32 vcc_lo, exec_lo, s38
	s_delay_alu instid0(VALU_DEP_1) | instskip(NEXT) | instid1(VALU_DEP_1)
	v_mul_u64_e32 v[2:3], s[22:23], v[0:1]
	v_add_nc_u32_e32 v2, v0, v3
	s_delay_alu instid0(VALU_DEP_1) | instskip(NEXT) | instid1(VALU_DEP_1)
	v_lshrrev_b32_e32 v8, s10, v2
	v_mul_lo_u32 v2, v8, s8
	s_delay_alu instid0(VALU_DEP_1) | instskip(NEXT) | instid1(VALU_DEP_1)
	v_sub_nc_u32_e32 v3, v0, v2
	v_mul_lo_u32 v2, v3, s37
	v_mul_lo_u32 v6, v3, s13
	;; [unrolled: 1-line block ×3, first 2 shown]
	s_cbranch_vccnz .LBB151_13
; %bb.12:
	v_mov_b32_e32 v9, v1
	s_delay_alu instid0(VALU_DEP_1) | instskip(NEXT) | instid1(VALU_DEP_1)
	v_mul_u64_e32 v[10:11], s[28:29], v[8:9]
	v_add_nc_u32_e32 v1, v8, v11
	s_delay_alu instid0(VALU_DEP_1) | instskip(NEXT) | instid1(VALU_DEP_1)
	v_lshrrev_b32_e32 v1, s25, v1
	v_mul_lo_u32 v1, v1, s11
	s_delay_alu instid0(VALU_DEP_1) | instskip(NEXT) | instid1(VALU_DEP_1)
	v_sub_nc_u32_e32 v1, v8, v1
	v_mad_u32 v2, v1, s14, v2
	v_mad_u32 v4, v1, s26, v4
	;; [unrolled: 1-line block ×3, first 2 shown]
.LBB151_13:
	s_and_b32 s1, s36, 0xff
	s_delay_alu instid0(SALU_CYCLE_1)
	s_cmp_lt_i32 s1, 23
	s_cbranch_scc1 .LBB151_17
; %bb.14:
	s_and_b32 s31, 0xffff, s1
	s_delay_alu instid0(SALU_CYCLE_1)
	s_cmp_gt_i32 s31, 43
	s_cbranch_scc0 .LBB151_18
; %bb.15:
	s_cmp_gt_i32 s31, 45
	s_cbranch_scc0 .LBB151_19
; %bb.16:
	s_cmp_eq_u32 s31, 46
	s_mov_b32 s42, 0
	s_mov_b32 s30, -1
	s_cselect_b32 s0, -1, 0
	s_branch .LBB151_20
.LBB151_17:
	s_mov_b32 s30, 0
	s_mov_b32 s0, 0
	s_cbranch_execnz .LBB151_25
	s_branch .LBB151_29
.LBB151_18:
	s_mov_b32 s30, 0
	s_mov_b32 s0, 0
	s_cbranch_execnz .LBB151_23
	s_branch .LBB151_24
.LBB151_19:
	s_mov_b32 s42, -1
	s_mov_b32 s30, 0
	s_mov_b32 s0, 0
.LBB151_20:
	s_and_not1_b32 vcc_lo, exec_lo, s42
	s_cbranch_vccnz .LBB151_22
; %bb.21:
	s_cmp_eq_u32 s31, 44
	s_cselect_b32 s0, -1, 0
	s_cmp_lg_u32 s31, 44
	s_cselect_b32 s30, -1, 0
.LBB151_22:
	s_branch .LBB151_24
.LBB151_23:
	s_cmp_lt_i32 s31, 30
	s_cselect_b32 s0, -1, 0
	s_cmp_gt_i32 s31, 29
	s_cselect_b32 s30, -1, 0
.LBB151_24:
	s_branch .LBB151_29
.LBB151_25:
	s_and_b32 s1, 0xffff, s1
	s_mov_b32 s31, -1
	s_cmp_gt_i32 s1, 14
	s_cbranch_scc0 .LBB151_27
; %bb.26:
	s_cmp_eq_u32 s1, 15
	s_mov_b32 s31, 0
	s_cselect_b32 s0, -1, 0
	s_cmp_lg_u32 s1, 15
	s_cselect_b32 s30, -1, 0
.LBB151_27:
	s_and_not1_b32 vcc_lo, exec_lo, s31
	s_cbranch_vccnz .LBB151_29
; %bb.28:
	s_cmp_lt_i32 s1, 12
	s_cselect_b32 s0, -1, 0
	s_cmp_gt_i32 s1, 11
	s_cselect_b32 s30, -1, 0
.LBB151_29:
	s_and_b32 vcc_lo, exec_lo, s0
	s_cbranch_vccz .LBB151_37
; %bb.30:
	v_mov_b32_e32 v5, 0
	s_and_b32 s0, s24, 0xff
	s_delay_alu instid0(SALU_CYCLE_1) | instskip(NEXT) | instid1(VALU_DEP_1)
	s_cmp_lt_i32 s0, 11
	v_add_nc_u64_e32 v[8:9], s[4:5], v[4:5]
	s_cbranch_scc1 .LBB151_40
; %bb.31:
	s_and_b32 s30, 0xffff, s0
	s_delay_alu instid0(SALU_CYCLE_1)
	s_cmp_gt_i32 s30, 25
	s_cbranch_scc0 .LBB151_41
; %bb.32:
	s_cmp_gt_i32 s30, 28
	s_cbranch_scc0 .LBB151_42
; %bb.33:
	;; [unrolled: 3-line block ×4, first 2 shown]
	s_cmp_eq_u32 s30, 46
	s_mov_b32 s42, 0
	s_cbranch_scc0 .LBB151_45
; %bb.36:
	global_load_b32 v1, v[8:9], off
	s_mov_b32 s31, -1
	s_mov_b32 s1, 0
	s_wait_loadcnt 0x0
	v_and_b32_e32 v5, 0xffff0000, v1
	v_lshlrev_b32_e32 v4, 16, v1
	s_branch .LBB151_47
.LBB151_37:
	s_mov_b32 s0, 0
	s_mov_b32 s31, 0
	s_mov_b32 s1, 0
.LBB151_38:
	s_mov_b32 s47, 0
.LBB151_39:
                                        ; implicit-def: $vgpr0
	s_branch .LBB151_423
.LBB151_40:
	s_mov_b32 s1, 0
	s_mov_b32 s31, 0
                                        ; implicit-def: $vgpr5
	s_cbranch_execnz .LBB151_111
	s_branch .LBB151_161
.LBB151_41:
	s_mov_b32 s42, -1
	s_mov_b32 s1, 0
	s_mov_b32 s31, 0
                                        ; implicit-def: $vgpr5
	s_branch .LBB151_76
.LBB151_42:
	s_mov_b32 s42, -1
	s_mov_b32 s1, 0
	s_mov_b32 s31, 0
                                        ; implicit-def: $vgpr5
	s_branch .LBB151_59
.LBB151_43:
	s_mov_b32 s42, -1
	s_mov_b32 s1, 0
	s_mov_b32 s31, 0
                                        ; implicit-def: $vgpr5
	s_branch .LBB151_53
.LBB151_44:
	s_mov_b32 s42, -1
	s_mov_b32 s1, 0
	s_branch .LBB151_46
.LBB151_45:
	s_mov_b32 s1, -1
.LBB151_46:
	s_mov_b32 s31, 0
                                        ; implicit-def: $vgpr5
.LBB151_47:
	s_and_b32 vcc_lo, exec_lo, s42
	s_cbranch_vccz .LBB151_52
; %bb.48:
	s_cmp_eq_u32 s30, 44
	s_cbranch_scc0 .LBB151_50
; %bb.49:
	global_load_u8 v1, v[8:9], off
	s_mov_b32 s1, 0
	s_mov_b32 s31, -1
	s_wait_loadcnt 0x0
	v_lshlrev_b32_e32 v3, 23, v1
	v_cmp_ne_u32_e32 vcc_lo, 0xff, v1
	s_delay_alu instid0(VALU_DEP_2) | instskip(SKIP_1) | instid1(VALU_DEP_2)
	v_cndmask_b32_e32 v3, 0x7f800001, v3, vcc_lo
	v_cmp_ne_u32_e32 vcc_lo, 0, v1
	v_cndmask_b32_e32 v4, 0x400000, v3, vcc_lo
	s_branch .LBB151_51
.LBB151_50:
	s_mov_b32 s1, -1
                                        ; implicit-def: $vgpr4
.LBB151_51:
	v_mov_b32_e32 v5, 0
.LBB151_52:
	s_mov_b32 s42, 0
.LBB151_53:
	s_delay_alu instid0(SALU_CYCLE_1)
	s_and_b32 vcc_lo, exec_lo, s42
	s_cbranch_vccz .LBB151_58
; %bb.54:
	s_cmp_eq_u32 s30, 29
	s_cbranch_scc0 .LBB151_56
; %bb.55:
	global_load_b64 v[4:5], v[8:9], off
	s_mov_b32 s31, -1
	s_mov_b32 s1, 0
	s_wait_loadcnt 0x0
	v_clz_i32_u32_e32 v1, v5
	s_delay_alu instid0(VALU_DEP_1) | instskip(NEXT) | instid1(VALU_DEP_1)
	v_min_u32_e32 v1, 32, v1
	v_lshlrev_b64_e32 v[4:5], v1, v[4:5]
	v_sub_nc_u32_e32 v1, 32, v1
	s_delay_alu instid0(VALU_DEP_2) | instskip(NEXT) | instid1(VALU_DEP_1)
	v_min_u32_e32 v3, 1, v4
	v_or_b32_e32 v3, v5, v3
	s_delay_alu instid0(VALU_DEP_1) | instskip(NEXT) | instid1(VALU_DEP_1)
	v_cvt_f32_u32_e32 v3, v3
	v_ldexp_f32 v4, v3, v1
	s_branch .LBB151_57
.LBB151_56:
	s_mov_b32 s1, -1
                                        ; implicit-def: $vgpr4
.LBB151_57:
	v_mov_b32_e32 v5, 0
.LBB151_58:
	s_mov_b32 s42, 0
.LBB151_59:
	s_delay_alu instid0(SALU_CYCLE_1)
	s_and_b32 vcc_lo, exec_lo, s42
	s_cbranch_vccz .LBB151_75
; %bb.60:
	s_cmp_lt_i32 s30, 27
	s_cbranch_scc1 .LBB151_63
; %bb.61:
	s_cmp_gt_i32 s30, 27
	s_cbranch_scc0 .LBB151_64
; %bb.62:
	global_load_b32 v1, v[8:9], off
	s_mov_b32 s31, 0
	s_wait_loadcnt 0x0
	v_cvt_f32_u32_e32 v4, v1
	s_branch .LBB151_65
.LBB151_63:
	s_mov_b32 s31, -1
                                        ; implicit-def: $vgpr4
	s_branch .LBB151_68
.LBB151_64:
	s_mov_b32 s31, -1
                                        ; implicit-def: $vgpr4
.LBB151_65:
	s_delay_alu instid0(SALU_CYCLE_1)
	s_and_not1_b32 vcc_lo, exec_lo, s31
	s_cbranch_vccnz .LBB151_67
; %bb.66:
	global_load_u16 v1, v[8:9], off
	s_wait_loadcnt 0x0
	v_cvt_f32_u32_e32 v4, v1
.LBB151_67:
	s_mov_b32 s31, 0
.LBB151_68:
	s_delay_alu instid0(SALU_CYCLE_1)
	s_and_not1_b32 vcc_lo, exec_lo, s31
	s_cbranch_vccnz .LBB151_74
; %bb.69:
	global_load_u8 v1, v[8:9], off
	s_mov_b32 s31, 0
	s_mov_b32 s42, exec_lo
	s_wait_loadcnt 0x0
	v_cmpx_lt_i16_e32 0x7f, v1
	s_xor_b32 s42, exec_lo, s42
	s_cbranch_execnz .LBB151_87
; %bb.70:
	s_or_saveexec_b32 s42, s42
	v_mov_b32_e32 v4, 0x7f800001
	s_xor_b32 exec_lo, exec_lo, s42
	s_cbranch_execnz .LBB151_90
.LBB151_71:
	s_or_b32 exec_lo, exec_lo, s42
	s_and_saveexec_b32 s42, s31
	s_cbranch_execz .LBB151_73
.LBB151_72:
	v_and_b32_e32 v3, 0xffff, v1
	s_delay_alu instid0(VALU_DEP_1) | instskip(SKIP_1) | instid1(VALU_DEP_2)
	v_and_b32_e32 v4, 7, v3
	v_bfe_u32 v10, v3, 3, 4
	v_clz_i32_u32_e32 v5, v4
	s_delay_alu instid0(VALU_DEP_2) | instskip(NEXT) | instid1(VALU_DEP_2)
	v_cmp_eq_u32_e32 vcc_lo, 0, v10
	v_min_u32_e32 v5, 32, v5
	s_delay_alu instid0(VALU_DEP_1) | instskip(NEXT) | instid1(VALU_DEP_1)
	v_subrev_nc_u32_e32 v7, 28, v5
	v_dual_lshlrev_b32 v3, v7, v3 :: v_dual_sub_nc_u32 v5, 29, v5
	s_delay_alu instid0(VALU_DEP_1) | instskip(NEXT) | instid1(VALU_DEP_1)
	v_dual_lshlrev_b32 v1, 24, v1 :: v_dual_bitop2_b32 v3, 7, v3 bitop3:0x40
	v_dual_cndmask_b32 v3, v4, v3, vcc_lo :: v_dual_cndmask_b32 v5, v10, v5, vcc_lo
	s_delay_alu instid0(VALU_DEP_2) | instskip(NEXT) | instid1(VALU_DEP_2)
	v_and_b32_e32 v1, 0x80000000, v1
	v_lshlrev_b32_e32 v3, 20, v3
	s_delay_alu instid0(VALU_DEP_3) | instskip(NEXT) | instid1(VALU_DEP_1)
	v_lshl_add_u32 v4, v5, 23, 0x3b800000
	v_or3_b32 v4, v1, v4, v3
.LBB151_73:
	s_or_b32 exec_lo, exec_lo, s42
.LBB151_74:
	v_mov_b32_e32 v5, 0
	s_mov_b32 s31, -1
.LBB151_75:
	s_mov_b32 s42, 0
.LBB151_76:
	s_delay_alu instid0(SALU_CYCLE_1)
	s_and_b32 vcc_lo, exec_lo, s42
	s_cbranch_vccz .LBB151_110
; %bb.77:
	s_cmp_gt_i32 s30, 22
	s_cbranch_scc0 .LBB151_85
; %bb.78:
	s_cmp_lt_i32 s30, 24
	s_cbranch_scc1 .LBB151_86
; %bb.79:
	s_cmp_gt_i32 s30, 24
	s_cbranch_scc0 .LBB151_91
; %bb.80:
	global_load_u8 v1, v[8:9], off
	s_mov_b32 s31, 0
	s_mov_b32 s42, exec_lo
	s_wait_loadcnt 0x0
	v_cmpx_lt_i16_e32 0x7f, v1
	s_xor_b32 s42, exec_lo, s42
	s_cbranch_execnz .LBB151_173
; %bb.81:
	s_or_saveexec_b32 s42, s42
	v_mov_b32_e32 v4, 0x7f800001
	s_xor_b32 exec_lo, exec_lo, s42
	s_cbranch_execnz .LBB151_176
.LBB151_82:
	s_or_b32 exec_lo, exec_lo, s42
	s_and_saveexec_b32 s42, s31
	s_cbranch_execz .LBB151_84
.LBB151_83:
	v_and_b32_e32 v3, 0xffff, v1
	s_delay_alu instid0(VALU_DEP_1) | instskip(SKIP_1) | instid1(VALU_DEP_2)
	v_and_b32_e32 v4, 3, v3
	v_bfe_u32 v10, v3, 2, 5
	v_clz_i32_u32_e32 v5, v4
	s_delay_alu instid0(VALU_DEP_2) | instskip(NEXT) | instid1(VALU_DEP_2)
	v_cmp_eq_u32_e32 vcc_lo, 0, v10
	v_min_u32_e32 v5, 32, v5
	s_delay_alu instid0(VALU_DEP_1) | instskip(NEXT) | instid1(VALU_DEP_1)
	v_subrev_nc_u32_e32 v7, 29, v5
	v_dual_lshlrev_b32 v3, v7, v3 :: v_dual_sub_nc_u32 v5, 30, v5
	s_delay_alu instid0(VALU_DEP_1) | instskip(NEXT) | instid1(VALU_DEP_1)
	v_dual_lshlrev_b32 v1, 24, v1 :: v_dual_bitop2_b32 v3, 3, v3 bitop3:0x40
	v_dual_cndmask_b32 v3, v4, v3, vcc_lo :: v_dual_cndmask_b32 v5, v10, v5, vcc_lo
	s_delay_alu instid0(VALU_DEP_2) | instskip(NEXT) | instid1(VALU_DEP_2)
	v_and_b32_e32 v1, 0x80000000, v1
	v_lshlrev_b32_e32 v3, 21, v3
	s_delay_alu instid0(VALU_DEP_3) | instskip(NEXT) | instid1(VALU_DEP_1)
	v_lshl_add_u32 v4, v5, 23, 0x37800000
	v_or3_b32 v4, v1, v4, v3
.LBB151_84:
	s_or_b32 exec_lo, exec_lo, s42
	s_mov_b32 s31, 0
	s_branch .LBB151_92
.LBB151_85:
	s_mov_b32 s42, -1
                                        ; implicit-def: $vgpr4
	s_branch .LBB151_98
.LBB151_86:
	s_mov_b32 s31, -1
                                        ; implicit-def: $vgpr4
	s_branch .LBB151_95
.LBB151_87:
	s_mov_b32 s31, -1
	s_mov_b32 s43, exec_lo
	v_cmpx_eq_u16_e32 0x80, v1
; %bb.88:
	s_xor_b32 s31, exec_lo, -1
; %bb.89:
	s_or_b32 exec_lo, exec_lo, s43
	s_delay_alu instid0(SALU_CYCLE_1)
	s_and_b32 s31, s31, exec_lo
	s_or_saveexec_b32 s42, s42
	v_mov_b32_e32 v4, 0x7f800001
	s_xor_b32 exec_lo, exec_lo, s42
	s_cbranch_execz .LBB151_71
.LBB151_90:
	v_cmp_ne_u16_e32 vcc_lo, 0, v1
	v_mov_b32_e32 v4, 0
	s_and_not1_b32 s31, s31, exec_lo
	s_and_b32 s43, vcc_lo, exec_lo
	s_delay_alu instid0(SALU_CYCLE_1)
	s_or_b32 s31, s31, s43
	s_or_b32 exec_lo, exec_lo, s42
	s_and_saveexec_b32 s42, s31
	s_cbranch_execnz .LBB151_72
	s_branch .LBB151_73
.LBB151_91:
	s_mov_b32 s31, -1
                                        ; implicit-def: $vgpr4
.LBB151_92:
	s_delay_alu instid0(SALU_CYCLE_1)
	s_and_b32 vcc_lo, exec_lo, s31
	s_cbranch_vccz .LBB151_94
; %bb.93:
	global_load_u8 v1, v[8:9], off
	s_wait_loadcnt 0x0
	v_lshlrev_b32_e32 v1, 24, v1
	s_delay_alu instid0(VALU_DEP_1) | instskip(NEXT) | instid1(VALU_DEP_1)
	v_and_b32_e32 v3, 0x7f000000, v1
	v_clz_i32_u32_e32 v4, v3
	v_add_nc_u32_e32 v7, 0x1000000, v3
	v_cmp_ne_u32_e32 vcc_lo, 0, v3
	s_delay_alu instid0(VALU_DEP_3) | instskip(NEXT) | instid1(VALU_DEP_1)
	v_min_u32_e32 v4, 32, v4
	v_sub_nc_u32_e64 v4, v4, 4 clamp
	s_delay_alu instid0(VALU_DEP_1) | instskip(NEXT) | instid1(VALU_DEP_1)
	v_dual_lshlrev_b32 v5, v4, v3 :: v_dual_lshlrev_b32 v4, 23, v4
	v_lshrrev_b32_e32 v5, 4, v5
	s_delay_alu instid0(VALU_DEP_1) | instskip(NEXT) | instid1(VALU_DEP_1)
	v_dual_sub_nc_u32 v4, v5, v4 :: v_dual_ashrrev_i32 v5, 8, v7
	v_add_nc_u32_e32 v4, 0x3c000000, v4
	s_delay_alu instid0(VALU_DEP_1) | instskip(NEXT) | instid1(VALU_DEP_1)
	v_and_or_b32 v4, 0x7f800000, v5, v4
	v_cndmask_b32_e32 v3, 0, v4, vcc_lo
	s_delay_alu instid0(VALU_DEP_1)
	v_and_or_b32 v4, 0x80000000, v1, v3
.LBB151_94:
	s_mov_b32 s31, 0
.LBB151_95:
	s_delay_alu instid0(SALU_CYCLE_1)
	s_and_not1_b32 vcc_lo, exec_lo, s31
	s_cbranch_vccnz .LBB151_97
; %bb.96:
	global_load_u8 v1, v[8:9], off
	s_wait_loadcnt 0x0
	v_lshlrev_b32_e32 v3, 25, v1
	v_lshlrev_b16 v1, 8, v1
	s_delay_alu instid0(VALU_DEP_1) | instskip(NEXT) | instid1(VALU_DEP_3)
	v_and_or_b32 v5, 0x7f00, v1, 0.5
	v_lshrrev_b32_e32 v4, 4, v3
	v_bfe_i32 v1, v1, 0, 16
	s_delay_alu instid0(VALU_DEP_3) | instskip(NEXT) | instid1(VALU_DEP_3)
	v_add_f32_e32 v5, -0.5, v5
	v_or_b32_e32 v4, 0x70000000, v4
	s_delay_alu instid0(VALU_DEP_1) | instskip(SKIP_1) | instid1(VALU_DEP_2)
	v_mul_f32_e32 v4, 0x7800000, v4
	v_cmp_gt_u32_e32 vcc_lo, 0x8000000, v3
	v_cndmask_b32_e32 v3, v4, v5, vcc_lo
	s_delay_alu instid0(VALU_DEP_1)
	v_and_or_b32 v4, 0x80000000, v1, v3
.LBB151_97:
	s_mov_b32 s42, 0
	s_mov_b32 s31, -1
.LBB151_98:
	s_and_not1_b32 vcc_lo, exec_lo, s42
	s_cbranch_vccnz .LBB151_109
; %bb.99:
	s_cmp_gt_i32 s30, 14
	s_cbranch_scc0 .LBB151_102
; %bb.100:
	s_cmp_eq_u32 s30, 15
	s_cbranch_scc0 .LBB151_103
; %bb.101:
	global_load_u16 v1, v[8:9], off
	s_mov_b32 s31, -1
	s_mov_b32 s1, 0
	s_wait_loadcnt 0x0
	v_lshlrev_b32_e32 v4, 16, v1
	s_branch .LBB151_104
.LBB151_102:
	s_mov_b32 s42, -1
                                        ; implicit-def: $vgpr4
	s_branch .LBB151_105
.LBB151_103:
	s_mov_b32 s1, -1
                                        ; implicit-def: $vgpr4
.LBB151_104:
	s_mov_b32 s42, 0
.LBB151_105:
	s_delay_alu instid0(SALU_CYCLE_1)
	s_and_b32 vcc_lo, exec_lo, s42
	s_cbranch_vccz .LBB151_109
; %bb.106:
	s_cmp_eq_u32 s30, 11
	s_cbranch_scc0 .LBB151_108
; %bb.107:
	global_load_u8 v1, v[8:9], off
	s_mov_b32 s1, 0
	s_mov_b32 s31, -1
	v_mov_b32_e32 v5, 0
	s_wait_loadcnt 0x0
	v_cmp_ne_u16_e32 vcc_lo, 0, v1
	v_cndmask_b32_e64 v4, 0, 1.0, vcc_lo
	s_branch .LBB151_110
.LBB151_108:
	s_mov_b32 s1, -1
                                        ; implicit-def: $vgpr4
.LBB151_109:
	v_mov_b32_e32 v5, 0
.LBB151_110:
	s_branch .LBB151_161
.LBB151_111:
	s_and_b32 s0, 0xffff, s0
	s_delay_alu instid0(SALU_CYCLE_1)
	s_cmp_lt_i32 s0, 5
	s_cbranch_scc1 .LBB151_116
; %bb.112:
	s_cmp_lt_i32 s0, 8
	s_cbranch_scc1 .LBB151_117
; %bb.113:
	;; [unrolled: 3-line block ×3, first 2 shown]
	s_cmp_gt_i32 s0, 9
	s_cbranch_scc0 .LBB151_119
; %bb.115:
	global_load_b128 v[10:13], v[8:9], off
	s_mov_b32 s30, 0
	s_wait_loadcnt 0x0
	v_cvt_f32_f64_e32 v4, v[10:11]
	v_cvt_f32_f64_e32 v5, v[12:13]
	s_branch .LBB151_120
.LBB151_116:
	s_mov_b32 s30, -1
                                        ; implicit-def: $vgpr5
	s_branch .LBB151_139
.LBB151_117:
	s_mov_b32 s30, -1
                                        ; implicit-def: $vgpr5
	s_branch .LBB151_126
.LBB151_118:
	s_mov_b32 s30, -1
                                        ; implicit-def: $vgpr5
	s_branch .LBB151_123
.LBB151_119:
	s_mov_b32 s30, -1
                                        ; implicit-def: $vgpr5
.LBB151_120:
	s_delay_alu instid0(SALU_CYCLE_1)
	s_and_not1_b32 vcc_lo, exec_lo, s30
	s_cbranch_vccnz .LBB151_122
; %bb.121:
	global_load_b64 v[4:5], v[8:9], off
.LBB151_122:
	s_mov_b32 s30, 0
.LBB151_123:
	s_delay_alu instid0(SALU_CYCLE_1)
	s_and_not1_b32 vcc_lo, exec_lo, s30
	s_cbranch_vccnz .LBB151_125
; %bb.124:
	global_load_b32 v1, v[8:9], off
	s_wait_loadcnt 0x0
	v_lshrrev_b32_e32 v3, 16, v1
	v_cvt_f32_f16_e32 v4, v1
	s_delay_alu instid0(VALU_DEP_2)
	v_cvt_f32_f16_e32 v5, v3
.LBB151_125:
	s_mov_b32 s30, 0
.LBB151_126:
	s_delay_alu instid0(SALU_CYCLE_1)
	s_and_not1_b32 vcc_lo, exec_lo, s30
	s_cbranch_vccnz .LBB151_138
; %bb.127:
	s_cmp_lt_i32 s0, 6
	s_cbranch_scc1 .LBB151_130
; %bb.128:
	s_cmp_gt_i32 s0, 6
	s_cbranch_scc0 .LBB151_131
; %bb.129:
	s_wait_loadcnt 0x0
	global_load_b64 v[4:5], v[8:9], off
	s_mov_b32 s30, 0
	s_wait_loadcnt 0x0
	v_cvt_f32_f64_e32 v4, v[4:5]
	s_branch .LBB151_132
.LBB151_130:
	s_mov_b32 s30, -1
                                        ; implicit-def: $vgpr4
	s_branch .LBB151_135
.LBB151_131:
	s_mov_b32 s30, -1
                                        ; implicit-def: $vgpr4
.LBB151_132:
	s_delay_alu instid0(SALU_CYCLE_1)
	s_and_not1_b32 vcc_lo, exec_lo, s30
	s_cbranch_vccnz .LBB151_134
; %bb.133:
	s_wait_loadcnt 0x0
	global_load_b32 v4, v[8:9], off
.LBB151_134:
	s_mov_b32 s30, 0
.LBB151_135:
	s_delay_alu instid0(SALU_CYCLE_1)
	s_and_not1_b32 vcc_lo, exec_lo, s30
	s_cbranch_vccnz .LBB151_137
; %bb.136:
	global_load_u16 v1, v[8:9], off
	s_wait_loadcnt 0x0
	v_cvt_f32_f16_e32 v4, v1
.LBB151_137:
	s_wait_loadcnt 0x0
	v_mov_b32_e32 v5, 0
.LBB151_138:
	s_mov_b32 s30, 0
.LBB151_139:
	s_delay_alu instid0(SALU_CYCLE_1)
	s_and_not1_b32 vcc_lo, exec_lo, s30
	s_cbranch_vccnz .LBB151_160
; %bb.140:
	s_cmp_lt_i32 s0, 2
	s_cbranch_scc1 .LBB151_144
; %bb.141:
	s_cmp_lt_i32 s0, 3
	s_cbranch_scc1 .LBB151_145
; %bb.142:
	s_cmp_gt_i32 s0, 3
	s_cbranch_scc0 .LBB151_146
; %bb.143:
	s_wait_loadcnt 0x0
	global_load_b64 v[4:5], v[8:9], off
	s_mov_b32 s30, 0
	s_wait_loadcnt 0x0
	v_xor_b32_e32 v1, v4, v5
	v_cls_i32_e32 v3, v5
	s_delay_alu instid0(VALU_DEP_2) | instskip(NEXT) | instid1(VALU_DEP_1)
	v_ashrrev_i32_e32 v1, 31, v1
	v_add_nc_u32_e32 v1, 32, v1
	s_delay_alu instid0(VALU_DEP_1) | instskip(NEXT) | instid1(VALU_DEP_1)
	v_add_min_u32_e64 v1, v3, -1, v1
	v_lshlrev_b64_e32 v[4:5], v1, v[4:5]
	v_sub_nc_u32_e32 v1, 32, v1
	s_delay_alu instid0(VALU_DEP_2) | instskip(NEXT) | instid1(VALU_DEP_1)
	v_min_u32_e32 v3, 1, v4
	v_or_b32_e32 v3, v5, v3
	s_delay_alu instid0(VALU_DEP_1) | instskip(NEXT) | instid1(VALU_DEP_1)
	v_cvt_f32_i32_e32 v3, v3
	v_ldexp_f32 v4, v3, v1
	s_branch .LBB151_147
.LBB151_144:
	s_mov_b32 s30, -1
                                        ; implicit-def: $vgpr4
	s_branch .LBB151_153
.LBB151_145:
	s_mov_b32 s30, -1
                                        ; implicit-def: $vgpr4
	s_branch .LBB151_150
.LBB151_146:
	s_mov_b32 s30, -1
                                        ; implicit-def: $vgpr4
.LBB151_147:
	s_delay_alu instid0(SALU_CYCLE_1)
	s_and_not1_b32 vcc_lo, exec_lo, s30
	s_cbranch_vccnz .LBB151_149
; %bb.148:
	global_load_b32 v1, v[8:9], off
	s_wait_loadcnt 0x0
	v_cvt_f32_i32_e32 v4, v1
.LBB151_149:
	s_mov_b32 s30, 0
.LBB151_150:
	s_delay_alu instid0(SALU_CYCLE_1)
	s_and_not1_b32 vcc_lo, exec_lo, s30
	s_cbranch_vccnz .LBB151_152
; %bb.151:
	global_load_i16 v1, v[8:9], off
	s_wait_loadcnt 0x0
	v_cvt_f32_i32_e32 v4, v1
.LBB151_152:
	s_mov_b32 s30, 0
.LBB151_153:
	s_delay_alu instid0(SALU_CYCLE_1)
	s_and_not1_b32 vcc_lo, exec_lo, s30
	s_cbranch_vccnz .LBB151_159
; %bb.154:
	s_cmp_gt_i32 s0, 0
	s_mov_b32 s0, 0
	s_cbranch_scc0 .LBB151_156
; %bb.155:
	global_load_i8 v1, v[8:9], off
	s_wait_loadcnt 0x0
	v_cvt_f32_i32_e32 v4, v1
	s_branch .LBB151_157
.LBB151_156:
	s_mov_b32 s0, -1
                                        ; implicit-def: $vgpr4
.LBB151_157:
	s_delay_alu instid0(SALU_CYCLE_1)
	s_and_not1_b32 vcc_lo, exec_lo, s0
	s_cbranch_vccnz .LBB151_159
; %bb.158:
	global_load_u8 v1, v[8:9], off
	s_wait_loadcnt 0x0
	v_cvt_f32_ubyte0_e32 v4, v1
.LBB151_159:
	s_wait_loadcnt 0x0
	v_mov_b32_e32 v5, 0
.LBB151_160:
	s_mov_b32 s31, -1
.LBB151_161:
	s_mov_b32 s30, 0
	s_mov_b32 s0, 0
	s_and_not1_b32 vcc_lo, exec_lo, s31
	s_mov_b32 s31, 0
	s_mov_b32 s47, 0
	s_cbranch_vccnz .LBB151_423
; %bb.162:
	v_mov_b32_e32 v7, 0
	s_and_b32 s0, 0xffff, s9
	s_delay_alu instid0(SALU_CYCLE_1) | instskip(NEXT) | instid1(VALU_DEP_1)
	s_cmp_lt_i32 s0, 11
	v_add_nc_u64_e32 v[6:7], s[6:7], v[6:7]
	s_cbranch_scc1 .LBB151_169
; %bb.163:
	s_cmp_gt_i32 s0, 25
	s_cbranch_scc0 .LBB151_170
; %bb.164:
	s_cmp_gt_i32 s0, 28
	s_cbranch_scc0 .LBB151_171
	;; [unrolled: 3-line block ×4, first 2 shown]
; %bb.167:
	s_cmp_eq_u32 s0, 46
	s_mov_b32 s43, 0
	s_cbranch_scc0 .LBB151_178
; %bb.168:
	global_load_b32 v1, v[6:7], off
	s_mov_b32 s42, -1
	s_wait_loadcnt 0x0
	v_and_b32_e32 v9, 0xffff0000, v1
	v_lshlrev_b32_e32 v8, 16, v1
	s_branch .LBB151_180
.LBB151_169:
	s_mov_b32 s43, -1
	s_mov_b32 s42, 0
                                        ; implicit-def: $vgpr9
	s_branch .LBB151_244
.LBB151_170:
	s_mov_b32 s43, -1
	s_mov_b32 s42, 0
                                        ; implicit-def: $vgpr9
	s_branch .LBB151_209
.LBB151_171:
	s_mov_b32 s43, -1
	s_mov_b32 s42, 0
                                        ; implicit-def: $vgpr9
	s_branch .LBB151_192
.LBB151_172:
	s_mov_b32 s43, -1
	s_mov_b32 s42, 0
                                        ; implicit-def: $vgpr9
	s_branch .LBB151_186
.LBB151_173:
	s_mov_b32 s31, -1
	s_mov_b32 s43, exec_lo
	v_cmpx_eq_u16_e32 0x80, v1
; %bb.174:
	s_xor_b32 s31, exec_lo, -1
; %bb.175:
	s_or_b32 exec_lo, exec_lo, s43
	s_delay_alu instid0(SALU_CYCLE_1)
	s_and_b32 s31, s31, exec_lo
	s_or_saveexec_b32 s42, s42
	v_mov_b32_e32 v4, 0x7f800001
	s_xor_b32 exec_lo, exec_lo, s42
	s_cbranch_execz .LBB151_82
.LBB151_176:
	v_cmp_ne_u16_e32 vcc_lo, 0, v1
	v_mov_b32_e32 v4, 0
	s_and_not1_b32 s31, s31, exec_lo
	s_and_b32 s43, vcc_lo, exec_lo
	s_delay_alu instid0(SALU_CYCLE_1)
	s_or_b32 s31, s31, s43
	s_or_b32 exec_lo, exec_lo, s42
	s_and_saveexec_b32 s42, s31
	s_cbranch_execnz .LBB151_83
	s_branch .LBB151_84
.LBB151_177:
	s_mov_b32 s43, -1
	s_branch .LBB151_179
.LBB151_178:
	s_mov_b32 s31, -1
.LBB151_179:
	s_mov_b32 s42, 0
                                        ; implicit-def: $vgpr9
.LBB151_180:
	s_and_b32 vcc_lo, exec_lo, s43
	s_cbranch_vccz .LBB151_185
; %bb.181:
	s_cmp_eq_u32 s0, 44
	s_cbranch_scc0 .LBB151_183
; %bb.182:
	global_load_u8 v1, v[6:7], off
	s_mov_b32 s31, 0
	s_mov_b32 s42, -1
	s_wait_loadcnt 0x0
	v_lshlrev_b32_e32 v3, 23, v1
	v_cmp_ne_u32_e32 vcc_lo, 0xff, v1
	s_delay_alu instid0(VALU_DEP_2) | instskip(SKIP_1) | instid1(VALU_DEP_2)
	v_cndmask_b32_e32 v3, 0x7f800001, v3, vcc_lo
	v_cmp_ne_u32_e32 vcc_lo, 0, v1
	v_cndmask_b32_e32 v8, 0x400000, v3, vcc_lo
	s_branch .LBB151_184
.LBB151_183:
	s_mov_b32 s31, -1
                                        ; implicit-def: $vgpr8
.LBB151_184:
	s_wait_xcnt 0x0
	v_mov_b32_e32 v9, 0
.LBB151_185:
	s_mov_b32 s43, 0
.LBB151_186:
	s_delay_alu instid0(SALU_CYCLE_1)
	s_and_b32 vcc_lo, exec_lo, s43
	s_cbranch_vccz .LBB151_191
; %bb.187:
	s_cmp_eq_u32 s0, 29
	s_cbranch_scc0 .LBB151_189
; %bb.188:
	global_load_b64 v[8:9], v[6:7], off
	s_mov_b32 s42, -1
	s_mov_b32 s31, 0
	s_wait_loadcnt 0x0
	v_clz_i32_u32_e32 v1, v9
	s_delay_alu instid0(VALU_DEP_1) | instskip(NEXT) | instid1(VALU_DEP_1)
	v_min_u32_e32 v1, 32, v1
	v_lshlrev_b64_e32 v[8:9], v1, v[8:9]
	v_sub_nc_u32_e32 v1, 32, v1
	s_delay_alu instid0(VALU_DEP_2) | instskip(NEXT) | instid1(VALU_DEP_1)
	v_min_u32_e32 v3, 1, v8
	v_or_b32_e32 v3, v9, v3
	s_delay_alu instid0(VALU_DEP_1) | instskip(NEXT) | instid1(VALU_DEP_1)
	v_cvt_f32_u32_e32 v3, v3
	v_ldexp_f32 v8, v3, v1
	s_branch .LBB151_190
.LBB151_189:
	s_mov_b32 s31, -1
                                        ; implicit-def: $vgpr8
.LBB151_190:
	s_wait_xcnt 0x0
	v_mov_b32_e32 v9, 0
.LBB151_191:
	s_mov_b32 s43, 0
.LBB151_192:
	s_delay_alu instid0(SALU_CYCLE_1)
	s_and_b32 vcc_lo, exec_lo, s43
	s_cbranch_vccz .LBB151_208
; %bb.193:
	s_cmp_lt_i32 s0, 27
	s_cbranch_scc1 .LBB151_196
; %bb.194:
	s_cmp_gt_i32 s0, 27
	s_cbranch_scc0 .LBB151_197
; %bb.195:
	global_load_b32 v1, v[6:7], off
	s_mov_b32 s42, 0
	s_wait_loadcnt 0x0
	v_cvt_f32_u32_e32 v8, v1
	s_branch .LBB151_198
.LBB151_196:
	s_mov_b32 s42, -1
                                        ; implicit-def: $vgpr8
	s_branch .LBB151_201
.LBB151_197:
	s_mov_b32 s42, -1
                                        ; implicit-def: $vgpr8
.LBB151_198:
	s_delay_alu instid0(SALU_CYCLE_1)
	s_and_not1_b32 vcc_lo, exec_lo, s42
	s_cbranch_vccnz .LBB151_200
; %bb.199:
	global_load_u16 v1, v[6:7], off
	s_wait_loadcnt 0x0
	v_cvt_f32_u32_e32 v8, v1
.LBB151_200:
	s_mov_b32 s42, 0
.LBB151_201:
	s_delay_alu instid0(SALU_CYCLE_1)
	s_and_not1_b32 vcc_lo, exec_lo, s42
	s_cbranch_vccnz .LBB151_207
; %bb.202:
	global_load_u8 v1, v[6:7], off
	s_mov_b32 s42, 0
	s_mov_b32 s43, exec_lo
	s_wait_loadcnt 0x0
	v_cmpx_lt_i16_e32 0x7f, v1
	s_xor_b32 s43, exec_lo, s43
	s_cbranch_execnz .LBB151_220
; %bb.203:
	s_or_saveexec_b32 s43, s43
	v_mov_b32_e32 v8, 0x7f800001
	s_xor_b32 exec_lo, exec_lo, s43
	s_cbranch_execnz .LBB151_223
.LBB151_204:
	s_or_b32 exec_lo, exec_lo, s43
	s_and_saveexec_b32 s43, s42
	s_cbranch_execz .LBB151_206
.LBB151_205:
	v_and_b32_e32 v3, 0xffff, v1
	s_delay_alu instid0(VALU_DEP_1) | instskip(SKIP_1) | instid1(VALU_DEP_2)
	v_and_b32_e32 v8, 7, v3
	v_bfe_u32 v11, v3, 3, 4
	v_clz_i32_u32_e32 v9, v8
	s_delay_alu instid0(VALU_DEP_2) | instskip(NEXT) | instid1(VALU_DEP_2)
	v_cmp_eq_u32_e32 vcc_lo, 0, v11
	v_min_u32_e32 v9, 32, v9
	s_delay_alu instid0(VALU_DEP_1) | instskip(NEXT) | instid1(VALU_DEP_1)
	v_subrev_nc_u32_e32 v10, 28, v9
	v_dual_lshlrev_b32 v3, v10, v3 :: v_dual_sub_nc_u32 v9, 29, v9
	s_delay_alu instid0(VALU_DEP_1) | instskip(NEXT) | instid1(VALU_DEP_1)
	v_dual_lshlrev_b32 v1, 24, v1 :: v_dual_bitop2_b32 v3, 7, v3 bitop3:0x40
	v_dual_cndmask_b32 v3, v8, v3, vcc_lo :: v_dual_cndmask_b32 v9, v11, v9, vcc_lo
	s_delay_alu instid0(VALU_DEP_2) | instskip(NEXT) | instid1(VALU_DEP_2)
	v_and_b32_e32 v1, 0x80000000, v1
	v_lshlrev_b32_e32 v3, 20, v3
	s_delay_alu instid0(VALU_DEP_3) | instskip(NEXT) | instid1(VALU_DEP_1)
	v_lshl_add_u32 v8, v9, 23, 0x3b800000
	v_or3_b32 v8, v1, v8, v3
.LBB151_206:
	s_or_b32 exec_lo, exec_lo, s43
.LBB151_207:
	s_wait_xcnt 0x0
	v_mov_b32_e32 v9, 0
	s_mov_b32 s42, -1
.LBB151_208:
	s_mov_b32 s43, 0
.LBB151_209:
	s_delay_alu instid0(SALU_CYCLE_1)
	s_and_b32 vcc_lo, exec_lo, s43
	s_cbranch_vccz .LBB151_243
; %bb.210:
	s_cmp_gt_i32 s0, 22
	s_cbranch_scc0 .LBB151_218
; %bb.211:
	s_cmp_lt_i32 s0, 24
	s_cbranch_scc1 .LBB151_219
; %bb.212:
	s_cmp_gt_i32 s0, 24
	s_cbranch_scc0 .LBB151_224
; %bb.213:
	global_load_u8 v1, v[6:7], off
	s_mov_b32 s42, 0
	s_mov_b32 s43, exec_lo
	s_wait_loadcnt 0x0
	v_cmpx_lt_i16_e32 0x7f, v1
	s_xor_b32 s43, exec_lo, s43
	s_cbranch_execnz .LBB151_308
; %bb.214:
	s_or_saveexec_b32 s43, s43
	v_mov_b32_e32 v8, 0x7f800001
	s_xor_b32 exec_lo, exec_lo, s43
	s_cbranch_execnz .LBB151_311
.LBB151_215:
	s_or_b32 exec_lo, exec_lo, s43
	s_and_saveexec_b32 s43, s42
	s_cbranch_execz .LBB151_217
.LBB151_216:
	v_and_b32_e32 v3, 0xffff, v1
	s_delay_alu instid0(VALU_DEP_1) | instskip(SKIP_1) | instid1(VALU_DEP_2)
	v_and_b32_e32 v8, 3, v3
	v_bfe_u32 v11, v3, 2, 5
	v_clz_i32_u32_e32 v9, v8
	s_delay_alu instid0(VALU_DEP_2) | instskip(NEXT) | instid1(VALU_DEP_2)
	v_cmp_eq_u32_e32 vcc_lo, 0, v11
	v_min_u32_e32 v9, 32, v9
	s_delay_alu instid0(VALU_DEP_1) | instskip(NEXT) | instid1(VALU_DEP_1)
	v_subrev_nc_u32_e32 v10, 29, v9
	v_dual_lshlrev_b32 v3, v10, v3 :: v_dual_sub_nc_u32 v9, 30, v9
	s_delay_alu instid0(VALU_DEP_1) | instskip(NEXT) | instid1(VALU_DEP_1)
	v_dual_lshlrev_b32 v1, 24, v1 :: v_dual_bitop2_b32 v3, 3, v3 bitop3:0x40
	v_dual_cndmask_b32 v3, v8, v3, vcc_lo :: v_dual_cndmask_b32 v9, v11, v9, vcc_lo
	s_delay_alu instid0(VALU_DEP_2) | instskip(NEXT) | instid1(VALU_DEP_2)
	v_and_b32_e32 v1, 0x80000000, v1
	v_lshlrev_b32_e32 v3, 21, v3
	s_delay_alu instid0(VALU_DEP_3) | instskip(NEXT) | instid1(VALU_DEP_1)
	v_lshl_add_u32 v8, v9, 23, 0x37800000
	v_or3_b32 v8, v1, v8, v3
.LBB151_217:
	s_or_b32 exec_lo, exec_lo, s43
	s_mov_b32 s42, 0
	s_branch .LBB151_225
.LBB151_218:
	s_mov_b32 s43, -1
                                        ; implicit-def: $vgpr8
	s_branch .LBB151_231
.LBB151_219:
	s_mov_b32 s42, -1
                                        ; implicit-def: $vgpr8
	s_branch .LBB151_228
.LBB151_220:
	s_mov_b32 s42, -1
	s_mov_b32 s44, exec_lo
	v_cmpx_eq_u16_e32 0x80, v1
; %bb.221:
	s_xor_b32 s42, exec_lo, -1
; %bb.222:
	s_or_b32 exec_lo, exec_lo, s44
	s_delay_alu instid0(SALU_CYCLE_1)
	s_and_b32 s42, s42, exec_lo
	s_or_saveexec_b32 s43, s43
	v_mov_b32_e32 v8, 0x7f800001
	s_xor_b32 exec_lo, exec_lo, s43
	s_cbranch_execz .LBB151_204
.LBB151_223:
	v_cmp_ne_u16_e32 vcc_lo, 0, v1
	v_mov_b32_e32 v8, 0
	s_and_not1_b32 s42, s42, exec_lo
	s_and_b32 s44, vcc_lo, exec_lo
	s_delay_alu instid0(SALU_CYCLE_1)
	s_or_b32 s42, s42, s44
	s_or_b32 exec_lo, exec_lo, s43
	s_and_saveexec_b32 s43, s42
	s_cbranch_execnz .LBB151_205
	s_branch .LBB151_206
.LBB151_224:
	s_mov_b32 s42, -1
                                        ; implicit-def: $vgpr8
.LBB151_225:
	s_delay_alu instid0(SALU_CYCLE_1)
	s_and_b32 vcc_lo, exec_lo, s42
	s_cbranch_vccz .LBB151_227
; %bb.226:
	global_load_u8 v1, v[6:7], off
	s_wait_loadcnt 0x0
	v_lshlrev_b32_e32 v1, 24, v1
	s_delay_alu instid0(VALU_DEP_1) | instskip(NEXT) | instid1(VALU_DEP_1)
	v_and_b32_e32 v3, 0x7f000000, v1
	v_clz_i32_u32_e32 v8, v3
	v_cmp_ne_u32_e32 vcc_lo, 0, v3
	v_add_nc_u32_e32 v10, 0x1000000, v3
	s_delay_alu instid0(VALU_DEP_3) | instskip(NEXT) | instid1(VALU_DEP_1)
	v_min_u32_e32 v8, 32, v8
	v_sub_nc_u32_e64 v8, v8, 4 clamp
	s_delay_alu instid0(VALU_DEP_1) | instskip(NEXT) | instid1(VALU_DEP_1)
	v_dual_lshlrev_b32 v9, v8, v3 :: v_dual_lshlrev_b32 v8, 23, v8
	v_lshrrev_b32_e32 v9, 4, v9
	s_delay_alu instid0(VALU_DEP_1) | instskip(NEXT) | instid1(VALU_DEP_1)
	v_dual_sub_nc_u32 v8, v9, v8 :: v_dual_ashrrev_i32 v9, 8, v10
	v_add_nc_u32_e32 v8, 0x3c000000, v8
	s_delay_alu instid0(VALU_DEP_1) | instskip(NEXT) | instid1(VALU_DEP_1)
	v_and_or_b32 v8, 0x7f800000, v9, v8
	v_cndmask_b32_e32 v3, 0, v8, vcc_lo
	s_delay_alu instid0(VALU_DEP_1)
	v_and_or_b32 v8, 0x80000000, v1, v3
.LBB151_227:
	s_mov_b32 s42, 0
.LBB151_228:
	s_delay_alu instid0(SALU_CYCLE_1)
	s_and_not1_b32 vcc_lo, exec_lo, s42
	s_cbranch_vccnz .LBB151_230
; %bb.229:
	global_load_u8 v1, v[6:7], off
	s_wait_loadcnt 0x0
	v_lshlrev_b32_e32 v3, 25, v1
	v_lshlrev_b16 v1, 8, v1
	s_delay_alu instid0(VALU_DEP_1) | instskip(NEXT) | instid1(VALU_DEP_3)
	v_and_or_b32 v9, 0x7f00, v1, 0.5
	v_lshrrev_b32_e32 v8, 4, v3
	v_bfe_i32 v1, v1, 0, 16
	s_delay_alu instid0(VALU_DEP_3) | instskip(NEXT) | instid1(VALU_DEP_3)
	v_add_f32_e32 v9, -0.5, v9
	v_or_b32_e32 v8, 0x70000000, v8
	s_delay_alu instid0(VALU_DEP_1) | instskip(SKIP_1) | instid1(VALU_DEP_2)
	v_mul_f32_e32 v8, 0x7800000, v8
	v_cmp_gt_u32_e32 vcc_lo, 0x8000000, v3
	v_cndmask_b32_e32 v3, v8, v9, vcc_lo
	s_delay_alu instid0(VALU_DEP_1)
	v_and_or_b32 v8, 0x80000000, v1, v3
.LBB151_230:
	s_mov_b32 s43, 0
	s_mov_b32 s42, -1
.LBB151_231:
	s_and_not1_b32 vcc_lo, exec_lo, s43
	s_cbranch_vccnz .LBB151_242
; %bb.232:
	s_cmp_gt_i32 s0, 14
	s_cbranch_scc0 .LBB151_235
; %bb.233:
	s_cmp_eq_u32 s0, 15
	s_cbranch_scc0 .LBB151_236
; %bb.234:
	global_load_u16 v1, v[6:7], off
	s_mov_b32 s42, -1
	s_mov_b32 s31, 0
	s_wait_loadcnt 0x0
	v_lshlrev_b32_e32 v8, 16, v1
	s_branch .LBB151_237
.LBB151_235:
	s_mov_b32 s43, -1
                                        ; implicit-def: $vgpr8
	s_branch .LBB151_238
.LBB151_236:
	s_mov_b32 s31, -1
                                        ; implicit-def: $vgpr8
.LBB151_237:
	s_mov_b32 s43, 0
.LBB151_238:
	s_delay_alu instid0(SALU_CYCLE_1)
	s_and_b32 vcc_lo, exec_lo, s43
	s_cbranch_vccz .LBB151_242
; %bb.239:
	s_cmp_eq_u32 s0, 11
	s_cbranch_scc0 .LBB151_241
; %bb.240:
	global_load_u8 v1, v[6:7], off
	s_mov_b32 s31, 0
	s_mov_b32 s42, -1
	s_wait_xcnt 0x1
	v_mov_b32_e32 v9, 0
	s_wait_loadcnt 0x0
	v_cmp_ne_u16_e32 vcc_lo, 0, v1
	v_cndmask_b32_e64 v8, 0, 1.0, vcc_lo
	s_branch .LBB151_243
.LBB151_241:
	s_mov_b32 s31, -1
                                        ; implicit-def: $vgpr8
.LBB151_242:
	s_wait_xcnt 0x0
	v_mov_b32_e32 v9, 0
.LBB151_243:
	s_mov_b32 s43, 0
.LBB151_244:
	s_delay_alu instid0(SALU_CYCLE_1)
	s_and_b32 vcc_lo, exec_lo, s43
	s_cbranch_vccz .LBB151_295
; %bb.245:
	s_cmp_lt_i32 s0, 5
	s_cbranch_scc1 .LBB151_250
; %bb.246:
	s_cmp_lt_i32 s0, 8
	s_cbranch_scc1 .LBB151_251
	;; [unrolled: 3-line block ×3, first 2 shown]
; %bb.248:
	s_cmp_gt_i32 s0, 9
	s_cbranch_scc0 .LBB151_253
; %bb.249:
	global_load_b128 v[8:11], v[6:7], off
	s_mov_b32 s42, 0
	s_wait_loadcnt 0x0
	v_cvt_f32_f64_e32 v8, v[8:9]
	v_cvt_f32_f64_e32 v9, v[10:11]
	s_branch .LBB151_254
.LBB151_250:
	s_mov_b32 s42, -1
                                        ; implicit-def: $vgpr9
	s_branch .LBB151_273
.LBB151_251:
	s_mov_b32 s42, -1
                                        ; implicit-def: $vgpr9
	s_branch .LBB151_260
.LBB151_252:
	s_mov_b32 s42, -1
                                        ; implicit-def: $vgpr9
	s_branch .LBB151_257
.LBB151_253:
	s_mov_b32 s42, -1
                                        ; implicit-def: $vgpr9
.LBB151_254:
	s_delay_alu instid0(SALU_CYCLE_1)
	s_and_not1_b32 vcc_lo, exec_lo, s42
	s_cbranch_vccnz .LBB151_256
; %bb.255:
	global_load_b64 v[8:9], v[6:7], off
.LBB151_256:
	s_mov_b32 s42, 0
.LBB151_257:
	s_delay_alu instid0(SALU_CYCLE_1)
	s_and_not1_b32 vcc_lo, exec_lo, s42
	s_cbranch_vccnz .LBB151_259
; %bb.258:
	global_load_b32 v1, v[6:7], off
	s_wait_loadcnt 0x0
	v_lshrrev_b32_e32 v3, 16, v1
	v_cvt_f32_f16_e32 v8, v1
	s_delay_alu instid0(VALU_DEP_2)
	v_cvt_f32_f16_e32 v9, v3
.LBB151_259:
	s_mov_b32 s42, 0
.LBB151_260:
	s_delay_alu instid0(SALU_CYCLE_1)
	s_and_not1_b32 vcc_lo, exec_lo, s42
	s_cbranch_vccnz .LBB151_272
; %bb.261:
	s_cmp_lt_i32 s0, 6
	s_cbranch_scc1 .LBB151_264
; %bb.262:
	s_cmp_gt_i32 s0, 6
	s_cbranch_scc0 .LBB151_265
; %bb.263:
	s_wait_loadcnt 0x0
	global_load_b64 v[8:9], v[6:7], off
	s_mov_b32 s42, 0
	s_wait_loadcnt 0x0
	v_cvt_f32_f64_e32 v8, v[8:9]
	s_branch .LBB151_266
.LBB151_264:
	s_mov_b32 s42, -1
                                        ; implicit-def: $vgpr8
	s_branch .LBB151_269
.LBB151_265:
	s_mov_b32 s42, -1
                                        ; implicit-def: $vgpr8
.LBB151_266:
	s_delay_alu instid0(SALU_CYCLE_1)
	s_and_not1_b32 vcc_lo, exec_lo, s42
	s_cbranch_vccnz .LBB151_268
; %bb.267:
	s_wait_loadcnt 0x0
	global_load_b32 v8, v[6:7], off
.LBB151_268:
	s_mov_b32 s42, 0
.LBB151_269:
	s_delay_alu instid0(SALU_CYCLE_1)
	s_and_not1_b32 vcc_lo, exec_lo, s42
	s_cbranch_vccnz .LBB151_271
; %bb.270:
	global_load_u16 v1, v[6:7], off
	s_wait_loadcnt 0x0
	v_cvt_f32_f16_e32 v8, v1
.LBB151_271:
	s_wait_loadcnt 0x0
	v_mov_b32_e32 v9, 0
.LBB151_272:
	s_mov_b32 s42, 0
.LBB151_273:
	s_delay_alu instid0(SALU_CYCLE_1)
	s_and_not1_b32 vcc_lo, exec_lo, s42
	s_cbranch_vccnz .LBB151_294
; %bb.274:
	s_cmp_lt_i32 s0, 2
	s_cbranch_scc1 .LBB151_278
; %bb.275:
	s_cmp_lt_i32 s0, 3
	s_cbranch_scc1 .LBB151_279
; %bb.276:
	s_cmp_gt_i32 s0, 3
	s_cbranch_scc0 .LBB151_280
; %bb.277:
	s_wait_loadcnt 0x0
	global_load_b64 v[8:9], v[6:7], off
	s_mov_b32 s42, 0
	s_wait_loadcnt 0x0
	v_xor_b32_e32 v1, v8, v9
	v_cls_i32_e32 v3, v9
	s_delay_alu instid0(VALU_DEP_2) | instskip(NEXT) | instid1(VALU_DEP_1)
	v_ashrrev_i32_e32 v1, 31, v1
	v_add_nc_u32_e32 v1, 32, v1
	s_delay_alu instid0(VALU_DEP_1) | instskip(NEXT) | instid1(VALU_DEP_1)
	v_add_min_u32_e64 v1, v3, -1, v1
	v_lshlrev_b64_e32 v[8:9], v1, v[8:9]
	v_sub_nc_u32_e32 v1, 32, v1
	s_delay_alu instid0(VALU_DEP_2) | instskip(NEXT) | instid1(VALU_DEP_1)
	v_min_u32_e32 v3, 1, v8
	v_or_b32_e32 v3, v9, v3
	s_delay_alu instid0(VALU_DEP_1) | instskip(NEXT) | instid1(VALU_DEP_1)
	v_cvt_f32_i32_e32 v3, v3
	v_ldexp_f32 v8, v3, v1
	s_branch .LBB151_281
.LBB151_278:
	s_mov_b32 s42, -1
                                        ; implicit-def: $vgpr8
	s_branch .LBB151_287
.LBB151_279:
	s_mov_b32 s42, -1
                                        ; implicit-def: $vgpr8
	s_branch .LBB151_284
.LBB151_280:
	s_mov_b32 s42, -1
                                        ; implicit-def: $vgpr8
.LBB151_281:
	s_delay_alu instid0(SALU_CYCLE_1)
	s_and_not1_b32 vcc_lo, exec_lo, s42
	s_cbranch_vccnz .LBB151_283
; %bb.282:
	global_load_b32 v1, v[6:7], off
	s_wait_loadcnt 0x0
	v_cvt_f32_i32_e32 v8, v1
.LBB151_283:
	s_mov_b32 s42, 0
.LBB151_284:
	s_delay_alu instid0(SALU_CYCLE_1)
	s_and_not1_b32 vcc_lo, exec_lo, s42
	s_cbranch_vccnz .LBB151_286
; %bb.285:
	global_load_i16 v1, v[6:7], off
	s_wait_loadcnt 0x0
	v_cvt_f32_i32_e32 v8, v1
.LBB151_286:
	s_mov_b32 s42, 0
.LBB151_287:
	s_delay_alu instid0(SALU_CYCLE_1)
	s_and_not1_b32 vcc_lo, exec_lo, s42
	s_cbranch_vccnz .LBB151_293
; %bb.288:
	s_cmp_gt_i32 s0, 0
	s_mov_b32 s0, 0
	s_cbranch_scc0 .LBB151_290
; %bb.289:
	global_load_i8 v1, v[6:7], off
	s_wait_loadcnt 0x0
	v_cvt_f32_i32_e32 v8, v1
	s_branch .LBB151_291
.LBB151_290:
	s_mov_b32 s0, -1
                                        ; implicit-def: $vgpr8
.LBB151_291:
	s_delay_alu instid0(SALU_CYCLE_1)
	s_and_not1_b32 vcc_lo, exec_lo, s0
	s_cbranch_vccnz .LBB151_293
; %bb.292:
	global_load_u8 v1, v[6:7], off
	s_wait_loadcnt 0x0
	v_cvt_f32_ubyte0_e32 v8, v1
.LBB151_293:
	s_wait_loadcnt 0x0
	v_mov_b32_e32 v9, 0
.LBB151_294:
	s_mov_b32 s42, -1
.LBB151_295:
	s_delay_alu instid0(SALU_CYCLE_1)
	s_and_not1_b32 vcc_lo, exec_lo, s42
	s_cbranch_vccnz .LBB151_303
; %bb.296:
	s_wait_xcnt 0x0
	v_mov_b64_e32 v[6:7], s[20:21]
	s_wait_loadcnt 0x0
	s_delay_alu instid0(VALU_DEP_2) | instskip(SKIP_3) | instid1(VALU_DEP_3)
	v_dual_mov_b32 v12, v9 :: v_dual_mov_b32 v13, v8
	s_and_b32 s42, s2, 0xff
	v_mov_b32_e32 v3, 0
	s_cmp_lt_i32 s42, 11
	v_pk_mul_f32 v[10:11], v[4:5], v[6:7]
	v_pk_mul_f32 v[4:5], v[4:5], v[6:7] op_sel:[0,1] op_sel_hi:[1,0]
	s_delay_alu instid0(VALU_DEP_3) | instskip(NEXT) | instid1(VALU_DEP_3)
	v_add_nc_u64_e32 v[2:3], s[18:19], v[2:3]
	v_add_f32_e32 v6, v10, v11
	s_delay_alu instid0(VALU_DEP_3) | instskip(NEXT) | instid1(VALU_DEP_2)
	v_pk_add_f32 v[4:5], v[4:5], v[4:5] op_sel:[0,1] op_sel_hi:[0,1] neg_lo:[0,1] neg_hi:[0,1]
	v_pk_mul_f32 v[10:11], v[6:7], v[12:13] op_sel_hi:[0,1]
	s_delay_alu instid0(VALU_DEP_1) | instskip(SKIP_1) | instid1(VALU_DEP_2)
	v_pk_fma_f32 v[6:7], v[4:5], v[8:9], v[10:11]
	v_pk_fma_f32 v[4:5], v[4:5], v[8:9], v[10:11] neg_lo:[0,0,1] neg_hi:[0,0,1]
	v_mov_b32_e32 v5, v7
	s_cbranch_scc1 .LBB151_304
; %bb.297:
	s_and_b32 s43, 0xffff, s42
	s_delay_alu instid0(SALU_CYCLE_1)
	s_cmp_gt_i32 s43, 25
	s_cbranch_scc0 .LBB151_305
; %bb.298:
	s_cmp_gt_i32 s43, 28
	s_cbranch_scc0 .LBB151_306
; %bb.299:
	;; [unrolled: 3-line block ×4, first 2 shown]
	s_mov_b32 s45, 0
	s_mov_b32 s0, -1
	s_cmp_eq_u32 s43, 46
	s_mov_b32 s44, 0
	s_cbranch_scc0 .LBB151_313
; %bb.302:
	v_dual_lshrrev_b32 v1, 16, v4 :: v_dual_lshrrev_b32 v6, 16, v7
	v_cmp_o_f32_e32 vcc_lo, v4, v4
	s_mov_b32 s44, -1
	s_mov_b32 s0, 0
	s_delay_alu instid0(VALU_DEP_2) | instskip(NEXT) | instid1(VALU_DEP_1)
	v_and_b32_e32 v1, 1, v1
	v_add3_u32 v1, v4, v1, 0x7fff
	s_delay_alu instid0(VALU_DEP_1) | instskip(NEXT) | instid1(VALU_DEP_1)
	v_dual_lshrrev_b32 v1, 16, v1 :: v_dual_bitop2_b32 v6, 1, v6 bitop3:0x40
	v_add3_u32 v6, v7, v6, 0x7fff
	s_delay_alu instid0(VALU_DEP_2) | instskip(NEXT) | instid1(VALU_DEP_2)
	v_cndmask_b32_e32 v1, 0x7fc0, v1, vcc_lo
	v_and_b32_e32 v6, 0xffff0000, v6
	v_cmp_o_f32_e32 vcc_lo, v7, v7
	s_delay_alu instid0(VALU_DEP_2) | instskip(NEXT) | instid1(VALU_DEP_1)
	v_cndmask_b32_e32 v6, 0x7fc00000, v6, vcc_lo
	v_or_b32_e32 v1, v6, v1
	global_store_b32 v[2:3], v1, off
	s_branch .LBB151_313
.LBB151_303:
	s_mov_b32 s0, 0
	s_branch .LBB151_39
.LBB151_304:
	s_mov_b32 s43, -1
	s_mov_b32 s0, 0
	s_mov_b32 s44, 0
	s_branch .LBB151_382
.LBB151_305:
	s_mov_b32 s45, -1
	s_mov_b32 s0, 0
	s_mov_b32 s44, 0
	s_branch .LBB151_340
.LBB151_306:
	s_mov_b32 s45, -1
	s_mov_b32 s0, 0
	s_mov_b32 s44, 0
	s_branch .LBB151_323
.LBB151_307:
	s_mov_b32 s45, -1
	s_mov_b32 s0, 0
	s_mov_b32 s44, 0
	s_branch .LBB151_319
.LBB151_308:
	s_mov_b32 s42, -1
	s_mov_b32 s44, exec_lo
	v_cmpx_eq_u16_e32 0x80, v1
; %bb.309:
	s_xor_b32 s42, exec_lo, -1
; %bb.310:
	s_or_b32 exec_lo, exec_lo, s44
	s_delay_alu instid0(SALU_CYCLE_1)
	s_and_b32 s42, s42, exec_lo
	s_or_saveexec_b32 s43, s43
	v_mov_b32_e32 v8, 0x7f800001
	s_xor_b32 exec_lo, exec_lo, s43
	s_cbranch_execz .LBB151_215
.LBB151_311:
	v_cmp_ne_u16_e32 vcc_lo, 0, v1
	v_mov_b32_e32 v8, 0
	s_and_not1_b32 s42, s42, exec_lo
	s_and_b32 s44, vcc_lo, exec_lo
	s_delay_alu instid0(SALU_CYCLE_1)
	s_or_b32 s42, s42, s44
	s_or_b32 exec_lo, exec_lo, s43
	s_and_saveexec_b32 s43, s42
	s_cbranch_execnz .LBB151_216
	s_branch .LBB151_217
.LBB151_312:
	s_mov_b32 s45, -1
	s_mov_b32 s0, 0
	s_mov_b32 s44, 0
.LBB151_313:
	s_and_b32 vcc_lo, exec_lo, s45
	s_cbranch_vccz .LBB151_318
; %bb.314:
	s_cmp_eq_u32 s43, 44
	s_mov_b32 s0, -1
	s_cbranch_scc0 .LBB151_318
; %bb.315:
	v_bfe_u32 v6, v4, 23, 8
	s_wait_xcnt 0x0
	v_mov_b32_e32 v1, 0xff
	s_mov_b32 s44, exec_lo
	s_delay_alu instid0(VALU_DEP_2)
	v_cmpx_ne_u32_e32 0xff, v6
	s_cbranch_execz .LBB151_317
; %bb.316:
	v_and_b32_e32 v1, 0x400000, v4
	v_and_or_b32 v6, 0x3fffff, v4, v6
	s_delay_alu instid0(VALU_DEP_2) | instskip(NEXT) | instid1(VALU_DEP_2)
	v_cmp_ne_u32_e32 vcc_lo, 0, v1
	v_cmp_ne_u32_e64 s0, 0, v6
	v_lshrrev_b32_e32 v1, 23, v4
	s_and_b32 s0, vcc_lo, s0
	s_delay_alu instid0(SALU_CYCLE_1) | instskip(NEXT) | instid1(VALU_DEP_1)
	v_cndmask_b32_e64 v6, 0, 1, s0
	v_add_nc_u32_e32 v1, v1, v6
.LBB151_317:
	s_or_b32 exec_lo, exec_lo, s44
	s_mov_b32 s44, -1
	s_mov_b32 s0, 0
	global_store_b8 v[2:3], v1, off
.LBB151_318:
	s_mov_b32 s45, 0
.LBB151_319:
	s_delay_alu instid0(SALU_CYCLE_1)
	s_and_b32 vcc_lo, exec_lo, s45
	s_cbranch_vccz .LBB151_322
; %bb.320:
	s_cmp_eq_u32 s43, 29
	s_mov_b32 s0, -1
	s_cbranch_scc0 .LBB151_322
; %bb.321:
	s_wait_xcnt 0x0
	v_trunc_f32_e32 v1, v4
	s_mov_b32 s44, -1
	s_mov_b32 s0, 0
	s_mov_b32 s45, 0
	s_delay_alu instid0(VALU_DEP_1) | instskip(NEXT) | instid1(VALU_DEP_1)
	v_mul_f32_e32 v6, 0x2f800000, v1
	v_floor_f32_e32 v6, v6
	s_delay_alu instid0(VALU_DEP_1) | instskip(SKIP_1) | instid1(VALU_DEP_2)
	v_fmamk_f32 v1, v6, 0xcf800000, v1
	v_cvt_u32_f32_e32 v9, v6
	v_cvt_u32_f32_e32 v8, v1
	global_store_b64 v[2:3], v[8:9], off
	s_branch .LBB151_323
.LBB151_322:
	s_mov_b32 s45, 0
.LBB151_323:
	s_delay_alu instid0(SALU_CYCLE_1)
	s_and_b32 vcc_lo, exec_lo, s45
	s_cbranch_vccz .LBB151_339
; %bb.324:
	s_cmp_lt_i32 s43, 27
	s_mov_b32 s44, -1
	s_cbranch_scc1 .LBB151_330
; %bb.325:
	s_wait_xcnt 0x0
	v_cvt_u32_f32_e32 v1, v4
	s_cmp_gt_i32 s43, 27
	s_cbranch_scc0 .LBB151_327
; %bb.326:
	s_mov_b32 s44, 0
	global_store_b32 v[2:3], v1, off
.LBB151_327:
	s_and_not1_b32 vcc_lo, exec_lo, s44
	s_cbranch_vccnz .LBB151_329
; %bb.328:
	global_store_b16 v[2:3], v1, off
.LBB151_329:
	s_mov_b32 s44, 0
.LBB151_330:
	s_delay_alu instid0(SALU_CYCLE_1)
	s_and_not1_b32 vcc_lo, exec_lo, s44
	s_cbranch_vccnz .LBB151_338
; %bb.331:
	s_wait_xcnt 0x0
	v_and_b32_e32 v1, 0x7fffffff, v4
	v_mov_b32_e32 v6, 0x80
	s_mov_b32 s44, exec_lo
	s_delay_alu instid0(VALU_DEP_2)
	v_cmpx_gt_u32_e32 0x43800000, v1
	s_cbranch_execz .LBB151_337
; %bb.332:
	v_cmp_lt_u32_e32 vcc_lo, 0x3bffffff, v1
	s_mov_b32 s45, 0
                                        ; implicit-def: $vgpr1
	s_and_saveexec_b32 s47, vcc_lo
	s_delay_alu instid0(SALU_CYCLE_1)
	s_xor_b32 s47, exec_lo, s47
	s_cbranch_execnz .LBB151_603
; %bb.333:
	s_and_not1_saveexec_b32 s47, s47
	s_cbranch_execnz .LBB151_604
.LBB151_334:
	s_or_b32 exec_lo, exec_lo, s47
	v_mov_b32_e32 v6, 0
	s_and_saveexec_b32 s47, s45
.LBB151_335:
	v_lshrrev_b32_e32 v6, 24, v4
	s_delay_alu instid0(VALU_DEP_1)
	v_and_or_b32 v6, 0x80, v6, v1
.LBB151_336:
	s_or_b32 exec_lo, exec_lo, s47
.LBB151_337:
	s_delay_alu instid0(SALU_CYCLE_1)
	s_or_b32 exec_lo, exec_lo, s44
	global_store_b8 v[2:3], v6, off
.LBB151_338:
	s_mov_b32 s44, -1
.LBB151_339:
	s_mov_b32 s45, 0
.LBB151_340:
	s_delay_alu instid0(SALU_CYCLE_1)
	s_and_b32 vcc_lo, exec_lo, s45
	s_cbranch_vccz .LBB151_381
; %bb.341:
	s_cmp_gt_i32 s43, 22
	s_mov_b32 s45, -1
	s_cbranch_scc0 .LBB151_373
; %bb.342:
	s_cmp_lt_i32 s43, 24
	s_mov_b32 s44, -1
	s_cbranch_scc1 .LBB151_362
; %bb.343:
	s_cmp_gt_i32 s43, 24
	s_cbranch_scc0 .LBB151_351
; %bb.344:
	s_wait_xcnt 0x0
	v_and_b32_e32 v1, 0x7fffffff, v4
	v_mov_b32_e32 v6, 0x80
	s_mov_b32 s44, exec_lo
	s_delay_alu instid0(VALU_DEP_2)
	v_cmpx_gt_u32_e32 0x47800000, v1
	s_cbranch_execz .LBB151_350
; %bb.345:
	v_cmp_lt_u32_e32 vcc_lo, 0x37ffffff, v1
	s_mov_b32 s45, 0
                                        ; implicit-def: $vgpr1
	s_and_saveexec_b32 s47, vcc_lo
	s_delay_alu instid0(SALU_CYCLE_1)
	s_xor_b32 s47, exec_lo, s47
	s_cbranch_execnz .LBB151_1033
; %bb.346:
	s_and_not1_saveexec_b32 s47, s47
	s_cbranch_execnz .LBB151_1034
.LBB151_347:
	s_or_b32 exec_lo, exec_lo, s47
	v_mov_b32_e32 v6, 0
	s_and_saveexec_b32 s47, s45
.LBB151_348:
	v_lshrrev_b32_e32 v6, 24, v4
	s_delay_alu instid0(VALU_DEP_1)
	v_and_or_b32 v6, 0x80, v6, v1
.LBB151_349:
	s_or_b32 exec_lo, exec_lo, s47
.LBB151_350:
	s_delay_alu instid0(SALU_CYCLE_1)
	s_or_b32 exec_lo, exec_lo, s44
	s_mov_b32 s44, 0
	global_store_b8 v[2:3], v6, off
.LBB151_351:
	s_and_b32 vcc_lo, exec_lo, s44
	s_cbranch_vccz .LBB151_361
; %bb.352:
	s_wait_xcnt 0x0
	v_and_b32_e32 v6, 0x7fffffff, v4
	s_mov_b32 s44, exec_lo
                                        ; implicit-def: $vgpr1
	s_delay_alu instid0(VALU_DEP_1)
	v_cmpx_gt_u32_e32 0x43f00000, v6
	s_xor_b32 s44, exec_lo, s44
	s_cbranch_execz .LBB151_358
; %bb.353:
	s_mov_b32 s45, exec_lo
                                        ; implicit-def: $vgpr1
	v_cmpx_lt_u32_e32 0x3c7fffff, v6
	s_xor_b32 s45, exec_lo, s45
; %bb.354:
	v_bfe_u32 v1, v4, 20, 1
	s_delay_alu instid0(VALU_DEP_1) | instskip(NEXT) | instid1(VALU_DEP_1)
	v_add3_u32 v1, v4, v1, 0x407ffff
	v_and_b32_e32 v6, 0xff00000, v1
	v_lshrrev_b32_e32 v1, 20, v1
	s_delay_alu instid0(VALU_DEP_2) | instskip(NEXT) | instid1(VALU_DEP_2)
	v_cmp_ne_u32_e32 vcc_lo, 0x7f00000, v6
	v_cndmask_b32_e32 v1, 0x7e, v1, vcc_lo
; %bb.355:
	s_and_not1_saveexec_b32 s45, s45
; %bb.356:
	v_add_f32_e64 v1, 0x46800000, |v4|
; %bb.357:
	s_or_b32 exec_lo, exec_lo, s45
                                        ; implicit-def: $vgpr6
.LBB151_358:
	s_and_not1_saveexec_b32 s44, s44
; %bb.359:
	v_mov_b32_e32 v1, 0x7f
	v_cmp_lt_u32_e32 vcc_lo, 0x7f800000, v6
	s_delay_alu instid0(VALU_DEP_2)
	v_cndmask_b32_e32 v1, 0x7e, v1, vcc_lo
; %bb.360:
	s_or_b32 exec_lo, exec_lo, s44
	v_lshrrev_b32_e32 v6, 24, v4
	s_delay_alu instid0(VALU_DEP_1)
	v_and_or_b32 v1, 0x80, v6, v1
	global_store_b8 v[2:3], v1, off
.LBB151_361:
	s_mov_b32 s44, 0
.LBB151_362:
	s_delay_alu instid0(SALU_CYCLE_1)
	s_and_not1_b32 vcc_lo, exec_lo, s44
	s_cbranch_vccnz .LBB151_372
; %bb.363:
	s_wait_xcnt 0x0
	v_and_b32_e32 v6, 0x7fffffff, v4
	s_mov_b32 s44, exec_lo
                                        ; implicit-def: $vgpr1
	s_delay_alu instid0(VALU_DEP_1)
	v_cmpx_gt_u32_e32 0x47800000, v6
	s_xor_b32 s44, exec_lo, s44
	s_cbranch_execz .LBB151_369
; %bb.364:
	s_mov_b32 s45, exec_lo
                                        ; implicit-def: $vgpr1
	v_cmpx_lt_u32_e32 0x387fffff, v6
	s_xor_b32 s45, exec_lo, s45
; %bb.365:
	v_bfe_u32 v1, v4, 21, 1
	s_delay_alu instid0(VALU_DEP_1) | instskip(NEXT) | instid1(VALU_DEP_1)
	v_add3_u32 v1, v4, v1, 0x80fffff
	v_lshrrev_b32_e32 v1, 21, v1
; %bb.366:
	s_and_not1_saveexec_b32 s45, s45
; %bb.367:
	v_add_f32_e64 v1, 0x43000000, |v4|
; %bb.368:
	s_or_b32 exec_lo, exec_lo, s45
                                        ; implicit-def: $vgpr6
.LBB151_369:
	s_and_not1_saveexec_b32 s44, s44
; %bb.370:
	v_mov_b32_e32 v1, 0x7f
	v_cmp_lt_u32_e32 vcc_lo, 0x7f800000, v6
	s_delay_alu instid0(VALU_DEP_2)
	v_cndmask_b32_e32 v1, 0x7c, v1, vcc_lo
; %bb.371:
	s_or_b32 exec_lo, exec_lo, s44
	v_lshrrev_b32_e32 v6, 24, v4
	s_delay_alu instid0(VALU_DEP_1)
	v_and_or_b32 v1, 0x80, v6, v1
	global_store_b8 v[2:3], v1, off
.LBB151_372:
	s_mov_b32 s45, 0
	s_mov_b32 s44, -1
.LBB151_373:
	s_and_not1_b32 vcc_lo, exec_lo, s45
	s_cbranch_vccnz .LBB151_381
; %bb.374:
	s_cmp_gt_i32 s43, 14
	s_mov_b32 s45, -1
	s_cbranch_scc0 .LBB151_378
; %bb.375:
	s_cmp_eq_u32 s43, 15
	s_mov_b32 s0, -1
	s_cbranch_scc0 .LBB151_377
; %bb.376:
	s_wait_xcnt 0x0
	v_bfe_u32 v1, v4, 16, 1
	v_cmp_o_f32_e32 vcc_lo, v4, v4
	s_mov_b32 s44, -1
	s_mov_b32 s0, 0
	s_delay_alu instid0(VALU_DEP_2) | instskip(NEXT) | instid1(VALU_DEP_1)
	v_add3_u32 v1, v4, v1, 0x7fff
	v_lshrrev_b32_e32 v1, 16, v1
	s_delay_alu instid0(VALU_DEP_1)
	v_cndmask_b32_e32 v1, 0x7fc0, v1, vcc_lo
	global_store_b16 v[2:3], v1, off
.LBB151_377:
	s_mov_b32 s45, 0
.LBB151_378:
	s_delay_alu instid0(SALU_CYCLE_1)
	s_and_b32 vcc_lo, exec_lo, s45
	s_cbranch_vccz .LBB151_381
; %bb.379:
	s_cmp_eq_u32 s43, 11
	s_mov_b32 s0, -1
	s_cbranch_scc0 .LBB151_381
; %bb.380:
	v_cmp_neq_f32_e32 vcc_lo, 0, v4
	v_cmp_neq_f32_e64 s0, 0, v7
	s_mov_b32 s44, -1
	s_or_b32 s0, vcc_lo, s0
	s_wait_xcnt 0x0
	v_cndmask_b32_e64 v1, 0, 1, s0
	s_mov_b32 s0, 0
	global_store_b8 v[2:3], v1, off
.LBB151_381:
	s_mov_b32 s43, 0
.LBB151_382:
	s_delay_alu instid0(SALU_CYCLE_1)
	s_and_b32 vcc_lo, exec_lo, s43
	s_cbranch_vccz .LBB151_421
; %bb.383:
	s_and_b32 s42, 0xffff, s42
	s_mov_b32 s43, -1
	s_cmp_lt_i32 s42, 5
	s_cbranch_scc1 .LBB151_404
; %bb.384:
	s_cmp_lt_i32 s42, 8
	s_cbranch_scc1 .LBB151_394
; %bb.385:
	;; [unrolled: 3-line block ×3, first 2 shown]
	s_cmp_gt_i32 s42, 9
	s_cbranch_scc0 .LBB151_388
; %bb.387:
	s_wait_xcnt 0x0
	v_cvt_f64_f32_e32 v[8:9], v4
	v_cvt_f64_f32_e32 v[10:11], v7
	s_mov_b32 s43, 0
	global_store_b128 v[2:3], v[8:11], off
.LBB151_388:
	s_and_not1_b32 vcc_lo, exec_lo, s43
	s_cbranch_vccnz .LBB151_390
; %bb.389:
	global_store_b64 v[2:3], v[4:5], off
.LBB151_390:
	s_mov_b32 s43, 0
.LBB151_391:
	s_delay_alu instid0(SALU_CYCLE_1)
	s_and_not1_b32 vcc_lo, exec_lo, s43
	s_cbranch_vccnz .LBB151_393
; %bb.392:
	s_wait_xcnt 0x0
	v_cvt_f16_f32_e32 v1, v7
	v_cvt_f16_f32_e32 v5, v4
	s_delay_alu instid0(VALU_DEP_2) | instskip(NEXT) | instid1(VALU_DEP_2)
	v_lshlrev_b32_e32 v1, 16, v1
	v_and_b32_e32 v5, 0xffff, v5
	s_delay_alu instid0(VALU_DEP_1)
	v_or_b32_e32 v1, v1, v5
	global_store_b32 v[2:3], v1, off
.LBB151_393:
	s_mov_b32 s43, 0
.LBB151_394:
	s_delay_alu instid0(SALU_CYCLE_1)
	s_and_not1_b32 vcc_lo, exec_lo, s43
	s_cbranch_vccnz .LBB151_403
; %bb.395:
	s_cmp_lt_i32 s42, 6
	s_mov_b32 s43, -1
	s_cbranch_scc1 .LBB151_401
; %bb.396:
	s_cmp_gt_i32 s42, 6
	s_cbranch_scc0 .LBB151_398
; %bb.397:
	s_wait_xcnt 0x0
	v_cvt_f64_f32_e32 v[6:7], v4
	s_mov_b32 s43, 0
	global_store_b64 v[2:3], v[6:7], off
.LBB151_398:
	s_and_not1_b32 vcc_lo, exec_lo, s43
	s_cbranch_vccnz .LBB151_400
; %bb.399:
	global_store_b32 v[2:3], v4, off
.LBB151_400:
	s_mov_b32 s43, 0
.LBB151_401:
	s_delay_alu instid0(SALU_CYCLE_1)
	s_and_not1_b32 vcc_lo, exec_lo, s43
	s_cbranch_vccnz .LBB151_403
; %bb.402:
	s_wait_xcnt 0x0
	v_cvt_f16_f32_e32 v1, v4
	global_store_b16 v[2:3], v1, off
.LBB151_403:
	s_mov_b32 s43, 0
.LBB151_404:
	s_delay_alu instid0(SALU_CYCLE_1)
	s_and_not1_b32 vcc_lo, exec_lo, s43
	s_cbranch_vccnz .LBB151_420
; %bb.405:
	s_cmp_lt_i32 s42, 2
	s_mov_b32 s43, -1
	s_cbranch_scc1 .LBB151_415
; %bb.406:
	s_cmp_lt_i32 s42, 3
	s_cbranch_scc1 .LBB151_412
; %bb.407:
	s_cmp_gt_i32 s42, 3
	s_cbranch_scc0 .LBB151_409
; %bb.408:
	s_wait_xcnt 0x0
	v_trunc_f32_e32 v1, v4
	s_mov_b32 s43, 0
	s_delay_alu instid0(VALU_DEP_1) | instskip(SKIP_1) | instid1(VALU_DEP_2)
	v_mul_f32_e64 v5, 0x2f800000, |v1|
	v_ashrrev_i32_e32 v6, 31, v1
	v_floor_f32_e32 v5, v5
	s_delay_alu instid0(VALU_DEP_1) | instskip(SKIP_1) | instid1(VALU_DEP_2)
	v_fma_f32 v7, 0xcf800000, v5, |v1|
	v_cvt_u32_f32_e32 v1, v5
	v_cvt_u32_f32_e32 v5, v7
	s_delay_alu instid0(VALU_DEP_2) | instskip(NEXT) | instid1(VALU_DEP_2)
	v_dual_mov_b32 v7, v6 :: v_dual_bitop2_b32 v9, v1, v6 bitop3:0x14
	v_xor_b32_e32 v8, v5, v6
	s_delay_alu instid0(VALU_DEP_1)
	v_sub_nc_u64_e32 v[6:7], v[8:9], v[6:7]
	global_store_b64 v[2:3], v[6:7], off
.LBB151_409:
	s_and_not1_b32 vcc_lo, exec_lo, s43
	s_cbranch_vccnz .LBB151_411
; %bb.410:
	s_wait_xcnt 0x0
	v_cvt_i32_f32_e32 v1, v4
	global_store_b32 v[2:3], v1, off
.LBB151_411:
	s_mov_b32 s43, 0
.LBB151_412:
	s_delay_alu instid0(SALU_CYCLE_1)
	s_and_not1_b32 vcc_lo, exec_lo, s43
	s_cbranch_vccnz .LBB151_414
; %bb.413:
	s_wait_xcnt 0x0
	v_cvt_i32_f32_e32 v1, v4
	global_store_b16 v[2:3], v1, off
.LBB151_414:
	s_mov_b32 s43, 0
.LBB151_415:
	s_delay_alu instid0(SALU_CYCLE_1)
	s_and_not1_b32 vcc_lo, exec_lo, s43
	s_cbranch_vccnz .LBB151_420
; %bb.416:
	s_cmp_gt_i32 s42, 0
	s_mov_b32 s42, -1
	s_cbranch_scc0 .LBB151_418
; %bb.417:
	s_wait_xcnt 0x0
	v_cvt_i32_f32_e32 v1, v4
	s_mov_b32 s42, 0
	global_store_b8 v[2:3], v1, off
.LBB151_418:
	s_and_not1_b32 vcc_lo, exec_lo, s42
	s_cbranch_vccnz .LBB151_420
; %bb.419:
	s_wait_xcnt 0x0
	v_trunc_f32_e32 v1, v4
	s_delay_alu instid0(VALU_DEP_1) | instskip(NEXT) | instid1(VALU_DEP_1)
	v_mul_f32_e64 v4, 0x2f800000, |v1|
	v_floor_f32_e32 v4, v4
	s_delay_alu instid0(VALU_DEP_1) | instskip(SKIP_1) | instid1(VALU_DEP_2)
	v_fma_f32 v4, 0xcf800000, v4, |v1|
	v_ashrrev_i32_e32 v1, 31, v1
	v_cvt_u32_f32_e32 v4, v4
	s_delay_alu instid0(VALU_DEP_1) | instskip(NEXT) | instid1(VALU_DEP_1)
	v_xor_b32_e32 v4, v4, v1
	v_sub_nc_u32_e32 v1, v4, v1
	global_store_b8 v[2:3], v1, off
.LBB151_420:
	s_mov_b32 s44, -1
.LBB151_421:
	s_delay_alu instid0(SALU_CYCLE_1)
	s_and_not1_b32 vcc_lo, exec_lo, s44
	s_cbranch_vccnz .LBB151_38
; %bb.422:
	v_add_nc_u32_e32 v0, 0x80, v0
	s_mov_b32 s47, -1
.LBB151_423:
	s_and_b32 s42, s0, exec_lo
	s_and_b32 s43, s31, exec_lo
	;; [unrolled: 1-line block ×4, first 2 shown]
	s_or_not1_b32 s30, s47, exec_lo
.LBB151_424:
	s_wait_xcnt 0x0
	s_or_b32 exec_lo, exec_lo, s46
                                        ; implicit-def: $vgpr4
                                        ; implicit-def: $vgpr8
                                        ; implicit-def: $vgpr2
	s_and_saveexec_b32 s46, s30
	s_cbranch_execz .LBB151_1320
; %bb.425:
	s_mov_b32 s1, -1
	s_mov_b32 s47, s45
	s_mov_b32 s50, s44
	;; [unrolled: 1-line block ×4, first 2 shown]
	s_mov_b32 s51, exec_lo
	v_cmpx_gt_i32_e64 s40, v0
	s_cbranch_execz .LBB151_851
; %bb.426:
	s_and_not1_b32 vcc_lo, exec_lo, s34
	s_cbranch_vccnz .LBB151_432
; %bb.427:
	s_and_not1_b32 vcc_lo, exec_lo, s41
	s_cbranch_vccnz .LBB151_433
; %bb.428:
	v_dual_mov_b32 v2, 0 :: v_dual_mov_b32 v1, v0
	s_wait_loadcnt 0x0
	v_dual_mov_b32 v4, 0 :: v_dual_mov_b32 v6, 0
	s_add_co_i32 s30, s39, 1
	s_mov_b64 s[0:1], 0xffffffffffffffe0
	s_and_b32 s47, s30, 30
	s_add_nc_u64 s[0:1], s[16:17], s[0:1]
	s_mov_b64 s[30:31], s[16:17]
.LBB151_429:                            ; =>This Inner Loop Header: Depth=1
	s_clause 0x1
	s_load_b128 s[52:55], s[30:31], 0x4
	s_load_b64 s[56:57], s[30:31], 0x14
	s_add_co_i32 s47, s47, -2
	s_wait_xcnt 0x0
	s_add_nc_u64 s[30:31], s[30:31], 24
	s_cmp_eq_u32 s47, 0
	s_load_b96 s[48:50], s[0:1], 0xec
	s_wait_kmcnt 0x0
	v_mul_hi_u32 v3, s53, v1
	s_delay_alu instid0(VALU_DEP_1) | instskip(NEXT) | instid1(VALU_DEP_1)
	v_add_nc_u32_e32 v3, v1, v3
	v_lshrrev_b32_e32 v3, s54, v3
	s_load_b32 s54, s[0:1], 0xe4
	s_delay_alu instid0(VALU_DEP_1) | instskip(SKIP_4) | instid1(VALU_DEP_1)
	v_mul_hi_u32 v5, s56, v3
	v_mul_lo_u32 v7, v3, s52
	s_load_b64 s[52:53], s[0:1], 0xfc
	s_wait_xcnt 0x0
	s_add_nc_u64 s[0:1], s[0:1], 32
	v_dual_add_nc_u32 v5, v3, v5 :: v_dual_sub_nc_u32 v7, v1, v7
	s_delay_alu instid0(VALU_DEP_1) | instskip(SKIP_1) | instid1(VALU_DEP_2)
	v_lshrrev_b32_e32 v1, s57, v5
	s_wait_kmcnt 0x0
	v_mad_u32 v2, v7, s54, v2
	v_mad_u32 v6, v7, s49, v6
	v_mad_u32 v4, v7, s48, v4
	v_mul_lo_u32 v5, v1, s55
	s_delay_alu instid0(VALU_DEP_1) | instskip(NEXT) | instid1(VALU_DEP_1)
	v_sub_nc_u32_e32 v3, v3, v5
	v_mad_u32 v2, v3, s50, v2
	v_mad_u32 v6, v3, s53, v6
	;; [unrolled: 1-line block ×3, first 2 shown]
	s_cbranch_scc0 .LBB151_429
; %bb.430:
	s_bitcmp1_b32 s39, 0
	s_cselect_b32 s47, -1, 0
	s_delay_alu instid0(SALU_CYCLE_1)
	s_and_b32 vcc_lo, exec_lo, s47
	s_cbranch_vccnz .LBB151_434
; %bb.431:
	s_load_b96 s[48:50], s[30:31], 0x4
	s_load_b32 s47, s[0:1], 0xe4
	s_wait_xcnt 0x0
	s_load_b64 s[30:31], s[0:1], 0xec
	s_wait_kmcnt 0x0
	v_mul_hi_u32 v3, s49, v1
	s_delay_alu instid0(VALU_DEP_1) | instskip(NEXT) | instid1(VALU_DEP_1)
	v_add_nc_u32_e32 v3, v1, v3
	v_lshrrev_b32_e32 v3, s50, v3
	s_delay_alu instid0(VALU_DEP_1) | instskip(NEXT) | instid1(VALU_DEP_1)
	v_mul_lo_u32 v3, v3, s48
	v_sub_nc_u32_e32 v1, v1, v3
	s_delay_alu instid0(VALU_DEP_1)
	v_mad_u32 v2, v1, s47, v2
	v_mad_u32 v4, v1, s30, v4
	v_mad_u32 v6, v1, s31, v6
	s_branch .LBB151_434
.LBB151_432:
                                        ; implicit-def: $vgpr6
                                        ; implicit-def: $vgpr4
                                        ; implicit-def: $vgpr2
	s_branch .LBB151_435
.LBB151_433:
	s_wait_loadcnt 0x0
	v_dual_mov_b32 v6, 0 :: v_dual_mov_b32 v4, 0
	v_mov_b32_e32 v2, 0
.LBB151_434:
	s_cbranch_execnz .LBB151_437
.LBB151_435:
	v_mov_b32_e32 v1, 0
	s_and_not1_b32 vcc_lo, exec_lo, s38
	s_delay_alu instid0(VALU_DEP_1) | instskip(NEXT) | instid1(VALU_DEP_1)
	v_mul_u64_e32 v[2:3], s[22:23], v[0:1]
	v_add_nc_u32_e32 v2, v0, v3
	s_wait_loadcnt 0x0
	s_delay_alu instid0(VALU_DEP_1) | instskip(NEXT) | instid1(VALU_DEP_1)
	v_lshrrev_b32_e32 v8, s10, v2
	v_mul_lo_u32 v2, v8, s8
	s_delay_alu instid0(VALU_DEP_1) | instskip(NEXT) | instid1(VALU_DEP_1)
	v_sub_nc_u32_e32 v3, v0, v2
	v_mul_lo_u32 v2, v3, s37
	v_mul_lo_u32 v6, v3, s13
	;; [unrolled: 1-line block ×3, first 2 shown]
	s_cbranch_vccnz .LBB151_437
; %bb.436:
	v_mov_b32_e32 v9, v1
	s_delay_alu instid0(VALU_DEP_1) | instskip(NEXT) | instid1(VALU_DEP_1)
	v_mul_u64_e32 v[10:11], s[28:29], v[8:9]
	v_add_nc_u32_e32 v1, v8, v11
	s_delay_alu instid0(VALU_DEP_1) | instskip(NEXT) | instid1(VALU_DEP_1)
	v_lshrrev_b32_e32 v1, s25, v1
	v_mul_lo_u32 v1, v1, s11
	s_delay_alu instid0(VALU_DEP_1) | instskip(NEXT) | instid1(VALU_DEP_1)
	v_sub_nc_u32_e32 v1, v8, v1
	v_mad_u32 v2, v1, s14, v2
	v_mad_u32 v4, v1, s26, v4
	;; [unrolled: 1-line block ×3, first 2 shown]
.LBB151_437:
	s_and_b32 s1, s36, 0xff
	s_delay_alu instid0(SALU_CYCLE_1)
	s_cmp_lt_i32 s1, 23
	s_cbranch_scc1 .LBB151_441
; %bb.438:
	s_and_b32 s31, 0xffff, s1
	s_delay_alu instid0(SALU_CYCLE_1)
	s_cmp_gt_i32 s31, 43
	s_cbranch_scc0 .LBB151_442
; %bb.439:
	s_cmp_gt_i32 s31, 45
	s_cbranch_scc0 .LBB151_443
; %bb.440:
	s_cmp_eq_u32 s31, 46
	s_mov_b32 s47, 0
	s_cselect_b32 s0, -1, 0
	s_or_b32 s30, s45, exec_lo
	s_branch .LBB151_444
.LBB151_441:
	s_mov_b32 s0, 0
	s_mov_b32 s30, s45
	s_cbranch_execnz .LBB151_450
	s_branch .LBB151_454
.LBB151_442:
	s_mov_b32 s47, -1
	s_mov_b32 s0, 0
	s_mov_b32 s30, s45
	s_branch .LBB151_447
.LBB151_443:
	s_mov_b32 s47, -1
	s_mov_b32 s0, 0
	s_mov_b32 s30, s45
.LBB151_444:
	s_and_not1_b32 vcc_lo, exec_lo, s47
	s_cbranch_vccnz .LBB151_446
; %bb.445:
	s_cmp_eq_u32 s31, 44
	s_cselect_b32 s0, -1, 0
	s_cmp_lg_u32 s31, 44
	s_cselect_b32 s47, -1, 0
	s_and_not1_b32 s30, s30, exec_lo
	s_and_b32 s47, s47, exec_lo
	s_delay_alu instid0(SALU_CYCLE_1)
	s_or_b32 s30, s30, s47
.LBB151_446:
	s_mov_b32 s47, 0
.LBB151_447:
	s_delay_alu instid0(SALU_CYCLE_1)
	s_and_b32 vcc_lo, exec_lo, s47
	s_cbranch_vccz .LBB151_449
; %bb.448:
	s_cmp_lt_i32 s31, 30
	s_cselect_b32 s0, -1, 0
	s_cmp_gt_i32 s31, 29
	s_cselect_b32 s31, -1, 0
	s_and_not1_b32 s30, s30, exec_lo
	s_and_b32 s31, s31, exec_lo
	s_delay_alu instid0(SALU_CYCLE_1)
	s_or_b32 s30, s30, s31
.LBB151_449:
	s_branch .LBB151_454
.LBB151_450:
	s_and_b32 s1, 0xffff, s1
	s_mov_b32 s31, -1
	s_cmp_gt_i32 s1, 14
	s_cbranch_scc0 .LBB151_452
; %bb.451:
	s_cmp_eq_u32 s1, 15
	s_cselect_b32 s0, -1, 0
	s_cmp_lg_u32 s1, 15
	s_cselect_b32 s31, -1, 0
	s_and_not1_b32 s30, s30, exec_lo
	s_and_b32 s47, s31, exec_lo
	s_mov_b32 s31, 0
	s_or_b32 s30, s30, s47
.LBB151_452:
	s_and_not1_b32 vcc_lo, exec_lo, s31
	s_cbranch_vccnz .LBB151_454
; %bb.453:
	s_cmp_lt_i32 s1, 12
	s_cselect_b32 s0, -1, 0
	s_cmp_gt_i32 s1, 11
	s_cselect_b32 s1, -1, 0
	s_and_not1_b32 s30, s30, exec_lo
	s_and_b32 s1, s1, exec_lo
	s_delay_alu instid0(SALU_CYCLE_1)
	s_or_b32 s30, s30, s1
.LBB151_454:
	s_and_b32 vcc_lo, exec_lo, s0
	s_cbranch_vccz .LBB151_462
; %bb.455:
	s_wait_loadcnt 0x0
	v_mov_b32_e32 v5, 0
	s_and_b32 s0, s24, 0xff
	s_delay_alu instid0(SALU_CYCLE_1) | instskip(NEXT) | instid1(VALU_DEP_1)
	s_cmp_lt_i32 s0, 11
	v_add_nc_u64_e32 v[8:9], s[4:5], v[4:5]
	s_cbranch_scc1 .LBB151_464
; %bb.456:
	s_and_b32 s30, 0xffff, s0
	s_delay_alu instid0(SALU_CYCLE_1)
	s_cmp_gt_i32 s30, 25
	s_cbranch_scc0 .LBB151_465
; %bb.457:
	s_cmp_gt_i32 s30, 28
	s_cbranch_scc0 .LBB151_466
; %bb.458:
	;; [unrolled: 3-line block ×4, first 2 shown]
	s_cmp_eq_u32 s30, 46
	s_mov_b32 s47, 0
	s_cbranch_scc0 .LBB151_469
; %bb.461:
	global_load_b32 v1, v[8:9], off
	s_mov_b32 s31, -1
	s_mov_b32 s1, 0
	s_wait_loadcnt 0x0
	v_and_b32_e32 v5, 0xffff0000, v1
	v_lshlrev_b32_e32 v4, 16, v1
	s_branch .LBB151_471
.LBB151_462:
	s_mov_b32 s52, 0
	s_mov_b32 s0, s42
	;; [unrolled: 1-line block ×4, first 2 shown]
.LBB151_463:
                                        ; implicit-def: $vgpr0
	s_branch .LBB151_850
.LBB151_464:
	s_mov_b32 s30, -1
	s_mov_b32 s31, 0
	s_mov_b32 s1, s44
                                        ; implicit-def: $vgpr5
	s_branch .LBB151_535
.LBB151_465:
	s_mov_b32 s47, -1
	s_mov_b32 s31, 0
	s_mov_b32 s1, s44
                                        ; implicit-def: $vgpr5
	s_branch .LBB151_500
.LBB151_466:
	s_mov_b32 s47, -1
	s_mov_b32 s31, 0
	s_mov_b32 s1, s44
                                        ; implicit-def: $vgpr5
	s_branch .LBB151_483
.LBB151_467:
	s_mov_b32 s47, -1
	s_mov_b32 s31, 0
	s_mov_b32 s1, s44
                                        ; implicit-def: $vgpr5
	s_branch .LBB151_477
.LBB151_468:
	s_mov_b32 s47, -1
	s_mov_b32 s31, 0
	s_mov_b32 s1, s44
	s_branch .LBB151_470
.LBB151_469:
	s_mov_b32 s1, -1
	s_mov_b32 s31, 0
.LBB151_470:
                                        ; implicit-def: $vgpr5
.LBB151_471:
	s_and_b32 vcc_lo, exec_lo, s47
	s_cbranch_vccz .LBB151_476
; %bb.472:
	s_cmp_eq_u32 s30, 44
	s_cbranch_scc0 .LBB151_474
; %bb.473:
	global_load_u8 v1, v[8:9], off
	s_mov_b32 s1, 0
	s_mov_b32 s31, -1
	s_wait_loadcnt 0x0
	v_lshlrev_b32_e32 v3, 23, v1
	v_cmp_ne_u32_e32 vcc_lo, 0xff, v1
	s_delay_alu instid0(VALU_DEP_2) | instskip(SKIP_1) | instid1(VALU_DEP_2)
	v_cndmask_b32_e32 v3, 0x7f800001, v3, vcc_lo
	v_cmp_ne_u32_e32 vcc_lo, 0, v1
	v_cndmask_b32_e32 v4, 0x400000, v3, vcc_lo
	s_branch .LBB151_475
.LBB151_474:
	s_mov_b32 s1, -1
                                        ; implicit-def: $vgpr4
.LBB151_475:
	v_mov_b32_e32 v5, 0
.LBB151_476:
	s_mov_b32 s47, 0
.LBB151_477:
	s_delay_alu instid0(SALU_CYCLE_1)
	s_and_b32 vcc_lo, exec_lo, s47
	s_cbranch_vccz .LBB151_482
; %bb.478:
	s_cmp_eq_u32 s30, 29
	s_cbranch_scc0 .LBB151_480
; %bb.479:
	global_load_b64 v[4:5], v[8:9], off
	s_mov_b32 s31, -1
	s_mov_b32 s1, 0
	s_wait_loadcnt 0x0
	v_clz_i32_u32_e32 v1, v5
	s_delay_alu instid0(VALU_DEP_1) | instskip(NEXT) | instid1(VALU_DEP_1)
	v_min_u32_e32 v1, 32, v1
	v_lshlrev_b64_e32 v[4:5], v1, v[4:5]
	v_sub_nc_u32_e32 v1, 32, v1
	s_delay_alu instid0(VALU_DEP_2) | instskip(NEXT) | instid1(VALU_DEP_1)
	v_min_u32_e32 v3, 1, v4
	v_or_b32_e32 v3, v5, v3
	s_delay_alu instid0(VALU_DEP_1) | instskip(NEXT) | instid1(VALU_DEP_1)
	v_cvt_f32_u32_e32 v3, v3
	v_ldexp_f32 v4, v3, v1
	s_branch .LBB151_481
.LBB151_480:
	s_mov_b32 s1, -1
                                        ; implicit-def: $vgpr4
.LBB151_481:
	v_mov_b32_e32 v5, 0
.LBB151_482:
	s_mov_b32 s47, 0
.LBB151_483:
	s_delay_alu instid0(SALU_CYCLE_1)
	s_and_b32 vcc_lo, exec_lo, s47
	s_cbranch_vccz .LBB151_499
; %bb.484:
	s_cmp_lt_i32 s30, 27
	s_cbranch_scc1 .LBB151_487
; %bb.485:
	s_cmp_gt_i32 s30, 27
	s_cbranch_scc0 .LBB151_488
; %bb.486:
	global_load_b32 v1, v[8:9], off
	s_mov_b32 s31, 0
	s_wait_loadcnt 0x0
	v_cvt_f32_u32_e32 v4, v1
	s_branch .LBB151_489
.LBB151_487:
	s_mov_b32 s31, -1
                                        ; implicit-def: $vgpr4
	s_branch .LBB151_492
.LBB151_488:
	s_mov_b32 s31, -1
                                        ; implicit-def: $vgpr4
.LBB151_489:
	s_delay_alu instid0(SALU_CYCLE_1)
	s_and_not1_b32 vcc_lo, exec_lo, s31
	s_cbranch_vccnz .LBB151_491
; %bb.490:
	global_load_u16 v1, v[8:9], off
	s_wait_loadcnt 0x0
	v_cvt_f32_u32_e32 v4, v1
.LBB151_491:
	s_mov_b32 s31, 0
.LBB151_492:
	s_delay_alu instid0(SALU_CYCLE_1)
	s_and_not1_b32 vcc_lo, exec_lo, s31
	s_cbranch_vccnz .LBB151_498
; %bb.493:
	global_load_u8 v1, v[8:9], off
	s_mov_b32 s31, 0
	s_mov_b32 s47, exec_lo
	s_wait_loadcnt 0x0
	v_cmpx_lt_i16_e32 0x7f, v1
	s_xor_b32 s47, exec_lo, s47
	s_cbranch_execnz .LBB151_511
; %bb.494:
	s_or_saveexec_b32 s47, s47
	v_mov_b32_e32 v4, 0x7f800001
	s_xor_b32 exec_lo, exec_lo, s47
	s_cbranch_execnz .LBB151_514
.LBB151_495:
	s_or_b32 exec_lo, exec_lo, s47
	s_and_saveexec_b32 s47, s31
	s_cbranch_execz .LBB151_497
.LBB151_496:
	v_and_b32_e32 v3, 0xffff, v1
	s_delay_alu instid0(VALU_DEP_1) | instskip(SKIP_1) | instid1(VALU_DEP_2)
	v_and_b32_e32 v4, 7, v3
	v_bfe_u32 v10, v3, 3, 4
	v_clz_i32_u32_e32 v5, v4
	s_delay_alu instid0(VALU_DEP_2) | instskip(NEXT) | instid1(VALU_DEP_2)
	v_cmp_eq_u32_e32 vcc_lo, 0, v10
	v_min_u32_e32 v5, 32, v5
	s_delay_alu instid0(VALU_DEP_1) | instskip(NEXT) | instid1(VALU_DEP_1)
	v_subrev_nc_u32_e32 v7, 28, v5
	v_dual_lshlrev_b32 v3, v7, v3 :: v_dual_sub_nc_u32 v5, 29, v5
	s_delay_alu instid0(VALU_DEP_1) | instskip(NEXT) | instid1(VALU_DEP_1)
	v_dual_lshlrev_b32 v1, 24, v1 :: v_dual_bitop2_b32 v3, 7, v3 bitop3:0x40
	v_dual_cndmask_b32 v3, v4, v3, vcc_lo :: v_dual_cndmask_b32 v5, v10, v5, vcc_lo
	s_delay_alu instid0(VALU_DEP_2) | instskip(NEXT) | instid1(VALU_DEP_2)
	v_and_b32_e32 v1, 0x80000000, v1
	v_lshlrev_b32_e32 v3, 20, v3
	s_delay_alu instid0(VALU_DEP_3) | instskip(NEXT) | instid1(VALU_DEP_1)
	v_lshl_add_u32 v4, v5, 23, 0x3b800000
	v_or3_b32 v4, v1, v4, v3
.LBB151_497:
	s_or_b32 exec_lo, exec_lo, s47
.LBB151_498:
	v_mov_b32_e32 v5, 0
	s_mov_b32 s31, -1
.LBB151_499:
	s_mov_b32 s47, 0
.LBB151_500:
	s_delay_alu instid0(SALU_CYCLE_1)
	s_and_b32 vcc_lo, exec_lo, s47
	s_cbranch_vccz .LBB151_534
; %bb.501:
	s_cmp_gt_i32 s30, 22
	s_cbranch_scc0 .LBB151_509
; %bb.502:
	s_cmp_lt_i32 s30, 24
	s_cbranch_scc1 .LBB151_510
; %bb.503:
	s_cmp_gt_i32 s30, 24
	s_cbranch_scc0 .LBB151_515
; %bb.504:
	global_load_u8 v1, v[8:9], off
	s_mov_b32 s31, 0
	s_mov_b32 s47, exec_lo
	s_wait_loadcnt 0x0
	v_cmpx_lt_i16_e32 0x7f, v1
	s_xor_b32 s47, exec_lo, s47
	s_cbranch_execnz .LBB151_598
; %bb.505:
	s_or_saveexec_b32 s47, s47
	v_mov_b32_e32 v4, 0x7f800001
	s_xor_b32 exec_lo, exec_lo, s47
	s_cbranch_execnz .LBB151_601
.LBB151_506:
	s_or_b32 exec_lo, exec_lo, s47
	s_and_saveexec_b32 s47, s31
	s_cbranch_execz .LBB151_508
.LBB151_507:
	v_and_b32_e32 v3, 0xffff, v1
	s_delay_alu instid0(VALU_DEP_1) | instskip(SKIP_1) | instid1(VALU_DEP_2)
	v_and_b32_e32 v4, 3, v3
	v_bfe_u32 v10, v3, 2, 5
	v_clz_i32_u32_e32 v5, v4
	s_delay_alu instid0(VALU_DEP_2) | instskip(NEXT) | instid1(VALU_DEP_2)
	v_cmp_eq_u32_e32 vcc_lo, 0, v10
	v_min_u32_e32 v5, 32, v5
	s_delay_alu instid0(VALU_DEP_1) | instskip(NEXT) | instid1(VALU_DEP_1)
	v_subrev_nc_u32_e32 v7, 29, v5
	v_dual_lshlrev_b32 v3, v7, v3 :: v_dual_sub_nc_u32 v5, 30, v5
	s_delay_alu instid0(VALU_DEP_1) | instskip(NEXT) | instid1(VALU_DEP_1)
	v_dual_lshlrev_b32 v1, 24, v1 :: v_dual_bitop2_b32 v3, 3, v3 bitop3:0x40
	v_dual_cndmask_b32 v3, v4, v3, vcc_lo :: v_dual_cndmask_b32 v5, v10, v5, vcc_lo
	s_delay_alu instid0(VALU_DEP_2) | instskip(NEXT) | instid1(VALU_DEP_2)
	v_and_b32_e32 v1, 0x80000000, v1
	v_lshlrev_b32_e32 v3, 21, v3
	s_delay_alu instid0(VALU_DEP_3) | instskip(NEXT) | instid1(VALU_DEP_1)
	v_lshl_add_u32 v4, v5, 23, 0x37800000
	v_or3_b32 v4, v1, v4, v3
.LBB151_508:
	s_or_b32 exec_lo, exec_lo, s47
	s_mov_b32 s31, 0
	s_branch .LBB151_516
.LBB151_509:
	s_mov_b32 s47, -1
                                        ; implicit-def: $vgpr4
	s_branch .LBB151_522
.LBB151_510:
	s_mov_b32 s31, -1
                                        ; implicit-def: $vgpr4
	s_branch .LBB151_519
.LBB151_511:
	s_mov_b32 s31, -1
	s_mov_b32 s48, exec_lo
	v_cmpx_eq_u16_e32 0x80, v1
; %bb.512:
	s_xor_b32 s31, exec_lo, -1
; %bb.513:
	s_or_b32 exec_lo, exec_lo, s48
	s_delay_alu instid0(SALU_CYCLE_1)
	s_and_b32 s31, s31, exec_lo
	s_or_saveexec_b32 s47, s47
	v_mov_b32_e32 v4, 0x7f800001
	s_xor_b32 exec_lo, exec_lo, s47
	s_cbranch_execz .LBB151_495
.LBB151_514:
	v_cmp_ne_u16_e32 vcc_lo, 0, v1
	v_mov_b32_e32 v4, 0
	s_and_not1_b32 s31, s31, exec_lo
	s_and_b32 s48, vcc_lo, exec_lo
	s_delay_alu instid0(SALU_CYCLE_1)
	s_or_b32 s31, s31, s48
	s_or_b32 exec_lo, exec_lo, s47
	s_and_saveexec_b32 s47, s31
	s_cbranch_execnz .LBB151_496
	s_branch .LBB151_497
.LBB151_515:
	s_mov_b32 s31, -1
                                        ; implicit-def: $vgpr4
.LBB151_516:
	s_delay_alu instid0(SALU_CYCLE_1)
	s_and_b32 vcc_lo, exec_lo, s31
	s_cbranch_vccz .LBB151_518
; %bb.517:
	global_load_u8 v1, v[8:9], off
	s_wait_loadcnt 0x0
	v_lshlrev_b32_e32 v1, 24, v1
	s_delay_alu instid0(VALU_DEP_1) | instskip(NEXT) | instid1(VALU_DEP_1)
	v_and_b32_e32 v3, 0x7f000000, v1
	v_clz_i32_u32_e32 v4, v3
	v_add_nc_u32_e32 v7, 0x1000000, v3
	v_cmp_ne_u32_e32 vcc_lo, 0, v3
	s_delay_alu instid0(VALU_DEP_3) | instskip(NEXT) | instid1(VALU_DEP_1)
	v_min_u32_e32 v4, 32, v4
	v_sub_nc_u32_e64 v4, v4, 4 clamp
	s_delay_alu instid0(VALU_DEP_1) | instskip(NEXT) | instid1(VALU_DEP_1)
	v_dual_lshlrev_b32 v5, v4, v3 :: v_dual_lshlrev_b32 v4, 23, v4
	v_lshrrev_b32_e32 v5, 4, v5
	s_delay_alu instid0(VALU_DEP_1) | instskip(NEXT) | instid1(VALU_DEP_1)
	v_dual_sub_nc_u32 v4, v5, v4 :: v_dual_ashrrev_i32 v5, 8, v7
	v_add_nc_u32_e32 v4, 0x3c000000, v4
	s_delay_alu instid0(VALU_DEP_1) | instskip(NEXT) | instid1(VALU_DEP_1)
	v_and_or_b32 v4, 0x7f800000, v5, v4
	v_cndmask_b32_e32 v3, 0, v4, vcc_lo
	s_delay_alu instid0(VALU_DEP_1)
	v_and_or_b32 v4, 0x80000000, v1, v3
.LBB151_518:
	s_mov_b32 s31, 0
.LBB151_519:
	s_delay_alu instid0(SALU_CYCLE_1)
	s_and_not1_b32 vcc_lo, exec_lo, s31
	s_cbranch_vccnz .LBB151_521
; %bb.520:
	global_load_u8 v1, v[8:9], off
	s_wait_loadcnt 0x0
	v_lshlrev_b32_e32 v3, 25, v1
	v_lshlrev_b16 v1, 8, v1
	s_delay_alu instid0(VALU_DEP_1) | instskip(NEXT) | instid1(VALU_DEP_3)
	v_and_or_b32 v5, 0x7f00, v1, 0.5
	v_lshrrev_b32_e32 v4, 4, v3
	v_bfe_i32 v1, v1, 0, 16
	s_delay_alu instid0(VALU_DEP_3) | instskip(NEXT) | instid1(VALU_DEP_3)
	v_add_f32_e32 v5, -0.5, v5
	v_or_b32_e32 v4, 0x70000000, v4
	s_delay_alu instid0(VALU_DEP_1) | instskip(SKIP_1) | instid1(VALU_DEP_2)
	v_mul_f32_e32 v4, 0x7800000, v4
	v_cmp_gt_u32_e32 vcc_lo, 0x8000000, v3
	v_cndmask_b32_e32 v3, v4, v5, vcc_lo
	s_delay_alu instid0(VALU_DEP_1)
	v_and_or_b32 v4, 0x80000000, v1, v3
.LBB151_521:
	s_mov_b32 s47, 0
	s_mov_b32 s31, -1
.LBB151_522:
	s_and_not1_b32 vcc_lo, exec_lo, s47
	s_cbranch_vccnz .LBB151_533
; %bb.523:
	s_cmp_gt_i32 s30, 14
	s_cbranch_scc0 .LBB151_526
; %bb.524:
	s_cmp_eq_u32 s30, 15
	s_cbranch_scc0 .LBB151_527
; %bb.525:
	global_load_u16 v1, v[8:9], off
	s_mov_b32 s31, -1
	s_mov_b32 s1, 0
	s_wait_loadcnt 0x0
	v_lshlrev_b32_e32 v4, 16, v1
	s_branch .LBB151_528
.LBB151_526:
	s_mov_b32 s47, -1
                                        ; implicit-def: $vgpr4
	s_branch .LBB151_529
.LBB151_527:
	s_mov_b32 s1, -1
                                        ; implicit-def: $vgpr4
.LBB151_528:
	s_mov_b32 s47, 0
.LBB151_529:
	s_delay_alu instid0(SALU_CYCLE_1)
	s_and_b32 vcc_lo, exec_lo, s47
	s_cbranch_vccz .LBB151_533
; %bb.530:
	s_cmp_eq_u32 s30, 11
	s_cbranch_scc0 .LBB151_532
; %bb.531:
	global_load_u8 v1, v[8:9], off
	s_mov_b32 s1, 0
	s_mov_b32 s31, -1
	v_mov_b32_e32 v5, 0
	s_wait_loadcnt 0x0
	v_cmp_ne_u16_e32 vcc_lo, 0, v1
	v_cndmask_b32_e64 v4, 0, 1.0, vcc_lo
	s_branch .LBB151_534
.LBB151_532:
	s_mov_b32 s1, -1
                                        ; implicit-def: $vgpr4
.LBB151_533:
	v_mov_b32_e32 v5, 0
.LBB151_534:
	s_mov_b32 s30, 0
.LBB151_535:
	s_delay_alu instid0(SALU_CYCLE_1)
	s_and_b32 vcc_lo, exec_lo, s30
	s_cbranch_vccz .LBB151_586
; %bb.536:
	s_and_b32 s0, 0xffff, s0
	s_delay_alu instid0(SALU_CYCLE_1)
	s_cmp_lt_i32 s0, 5
	s_cbranch_scc1 .LBB151_541
; %bb.537:
	s_cmp_lt_i32 s0, 8
	s_cbranch_scc1 .LBB151_542
; %bb.538:
	s_cmp_lt_i32 s0, 9
	s_cbranch_scc1 .LBB151_543
; %bb.539:
	s_cmp_gt_i32 s0, 9
	s_cbranch_scc0 .LBB151_544
; %bb.540:
	global_load_b128 v[10:13], v[8:9], off
	s_mov_b32 s30, 0
	s_wait_loadcnt 0x0
	v_cvt_f32_f64_e32 v4, v[10:11]
	v_cvt_f32_f64_e32 v5, v[12:13]
	s_branch .LBB151_545
.LBB151_541:
	s_mov_b32 s30, -1
                                        ; implicit-def: $vgpr5
	s_branch .LBB151_564
.LBB151_542:
	s_mov_b32 s30, -1
                                        ; implicit-def: $vgpr5
	s_branch .LBB151_551
.LBB151_543:
	s_mov_b32 s30, -1
                                        ; implicit-def: $vgpr5
	s_branch .LBB151_548
.LBB151_544:
	s_mov_b32 s30, -1
                                        ; implicit-def: $vgpr5
.LBB151_545:
	s_delay_alu instid0(SALU_CYCLE_1)
	s_and_not1_b32 vcc_lo, exec_lo, s30
	s_cbranch_vccnz .LBB151_547
; %bb.546:
	global_load_b64 v[4:5], v[8:9], off
.LBB151_547:
	s_mov_b32 s30, 0
.LBB151_548:
	s_delay_alu instid0(SALU_CYCLE_1)
	s_and_not1_b32 vcc_lo, exec_lo, s30
	s_cbranch_vccnz .LBB151_550
; %bb.549:
	global_load_b32 v1, v[8:9], off
	s_wait_loadcnt 0x0
	v_lshrrev_b32_e32 v3, 16, v1
	v_cvt_f32_f16_e32 v4, v1
	s_delay_alu instid0(VALU_DEP_2)
	v_cvt_f32_f16_e32 v5, v3
.LBB151_550:
	s_mov_b32 s30, 0
.LBB151_551:
	s_delay_alu instid0(SALU_CYCLE_1)
	s_and_not1_b32 vcc_lo, exec_lo, s30
	s_cbranch_vccnz .LBB151_563
; %bb.552:
	s_cmp_lt_i32 s0, 6
	s_cbranch_scc1 .LBB151_555
; %bb.553:
	s_cmp_gt_i32 s0, 6
	s_cbranch_scc0 .LBB151_556
; %bb.554:
	s_wait_loadcnt 0x0
	global_load_b64 v[4:5], v[8:9], off
	s_mov_b32 s30, 0
	s_wait_loadcnt 0x0
	v_cvt_f32_f64_e32 v4, v[4:5]
	s_branch .LBB151_557
.LBB151_555:
	s_mov_b32 s30, -1
                                        ; implicit-def: $vgpr4
	s_branch .LBB151_560
.LBB151_556:
	s_mov_b32 s30, -1
                                        ; implicit-def: $vgpr4
.LBB151_557:
	s_delay_alu instid0(SALU_CYCLE_1)
	s_and_not1_b32 vcc_lo, exec_lo, s30
	s_cbranch_vccnz .LBB151_559
; %bb.558:
	s_wait_loadcnt 0x0
	global_load_b32 v4, v[8:9], off
.LBB151_559:
	s_mov_b32 s30, 0
.LBB151_560:
	s_delay_alu instid0(SALU_CYCLE_1)
	s_and_not1_b32 vcc_lo, exec_lo, s30
	s_cbranch_vccnz .LBB151_562
; %bb.561:
	global_load_u16 v1, v[8:9], off
	s_wait_loadcnt 0x0
	v_cvt_f32_f16_e32 v4, v1
.LBB151_562:
	s_wait_loadcnt 0x0
	v_mov_b32_e32 v5, 0
.LBB151_563:
	s_mov_b32 s30, 0
.LBB151_564:
	s_delay_alu instid0(SALU_CYCLE_1)
	s_and_not1_b32 vcc_lo, exec_lo, s30
	s_cbranch_vccnz .LBB151_585
; %bb.565:
	s_cmp_lt_i32 s0, 2
	s_cbranch_scc1 .LBB151_569
; %bb.566:
	s_cmp_lt_i32 s0, 3
	s_cbranch_scc1 .LBB151_570
; %bb.567:
	s_cmp_gt_i32 s0, 3
	s_cbranch_scc0 .LBB151_571
; %bb.568:
	s_wait_loadcnt 0x0
	global_load_b64 v[4:5], v[8:9], off
	s_mov_b32 s30, 0
	s_wait_loadcnt 0x0
	v_xor_b32_e32 v1, v4, v5
	v_cls_i32_e32 v3, v5
	s_delay_alu instid0(VALU_DEP_2) | instskip(NEXT) | instid1(VALU_DEP_1)
	v_ashrrev_i32_e32 v1, 31, v1
	v_add_nc_u32_e32 v1, 32, v1
	s_delay_alu instid0(VALU_DEP_1) | instskip(NEXT) | instid1(VALU_DEP_1)
	v_add_min_u32_e64 v1, v3, -1, v1
	v_lshlrev_b64_e32 v[4:5], v1, v[4:5]
	v_sub_nc_u32_e32 v1, 32, v1
	s_delay_alu instid0(VALU_DEP_2) | instskip(NEXT) | instid1(VALU_DEP_1)
	v_min_u32_e32 v3, 1, v4
	v_or_b32_e32 v3, v5, v3
	s_delay_alu instid0(VALU_DEP_1) | instskip(NEXT) | instid1(VALU_DEP_1)
	v_cvt_f32_i32_e32 v3, v3
	v_ldexp_f32 v4, v3, v1
	s_branch .LBB151_572
.LBB151_569:
	s_mov_b32 s30, -1
                                        ; implicit-def: $vgpr4
	s_branch .LBB151_578
.LBB151_570:
	s_mov_b32 s30, -1
                                        ; implicit-def: $vgpr4
	s_branch .LBB151_575
.LBB151_571:
	s_mov_b32 s30, -1
                                        ; implicit-def: $vgpr4
.LBB151_572:
	s_delay_alu instid0(SALU_CYCLE_1)
	s_and_not1_b32 vcc_lo, exec_lo, s30
	s_cbranch_vccnz .LBB151_574
; %bb.573:
	global_load_b32 v1, v[8:9], off
	s_wait_loadcnt 0x0
	v_cvt_f32_i32_e32 v4, v1
.LBB151_574:
	s_mov_b32 s30, 0
.LBB151_575:
	s_delay_alu instid0(SALU_CYCLE_1)
	s_and_not1_b32 vcc_lo, exec_lo, s30
	s_cbranch_vccnz .LBB151_577
; %bb.576:
	global_load_i16 v1, v[8:9], off
	s_wait_loadcnt 0x0
	v_cvt_f32_i32_e32 v4, v1
.LBB151_577:
	s_mov_b32 s30, 0
.LBB151_578:
	s_delay_alu instid0(SALU_CYCLE_1)
	s_and_not1_b32 vcc_lo, exec_lo, s30
	s_cbranch_vccnz .LBB151_584
; %bb.579:
	s_cmp_gt_i32 s0, 0
	s_mov_b32 s0, 0
	s_cbranch_scc0 .LBB151_581
; %bb.580:
	global_load_i8 v1, v[8:9], off
	s_wait_loadcnt 0x0
	v_cvt_f32_i32_e32 v4, v1
	s_branch .LBB151_582
.LBB151_581:
	s_mov_b32 s0, -1
                                        ; implicit-def: $vgpr4
.LBB151_582:
	s_delay_alu instid0(SALU_CYCLE_1)
	s_and_not1_b32 vcc_lo, exec_lo, s0
	s_cbranch_vccnz .LBB151_584
; %bb.583:
	global_load_u8 v1, v[8:9], off
	s_wait_loadcnt 0x0
	v_cvt_f32_ubyte0_e32 v4, v1
.LBB151_584:
	s_wait_loadcnt 0x0
	v_mov_b32_e32 v5, 0
.LBB151_585:
	s_mov_b32 s31, -1
.LBB151_586:
	s_mov_b32 s30, 0
	s_mov_b32 s0, s42
	s_and_not1_b32 vcc_lo, exec_lo, s31
	s_mov_b32 s31, s43
	s_mov_b32 s52, 0
	s_cbranch_vccnz .LBB151_850
; %bb.587:
	v_mov_b32_e32 v7, 0
	s_and_b32 s0, 0xffff, s9
	s_delay_alu instid0(SALU_CYCLE_1) | instskip(NEXT) | instid1(VALU_DEP_1)
	s_cmp_lt_i32 s0, 11
	v_add_nc_u64_e32 v[6:7], s[6:7], v[6:7]
	s_cbranch_scc1 .LBB151_594
; %bb.588:
	s_cmp_gt_i32 s0, 25
	s_cbranch_scc0 .LBB151_595
; %bb.589:
	s_cmp_gt_i32 s0, 28
	s_cbranch_scc0 .LBB151_596
	;; [unrolled: 3-line block ×4, first 2 shown]
; %bb.592:
	s_cmp_eq_u32 s0, 46
	s_mov_b32 s48, 0
	s_cbranch_scc0 .LBB151_605
; %bb.593:
	global_load_b32 v1, v[6:7], off
	s_mov_b32 s47, -1
	s_mov_b32 s31, 0
	s_wait_loadcnt 0x0
	s_wait_xcnt 0x1
	v_and_b32_e32 v9, 0xffff0000, v1
	v_lshlrev_b32_e32 v8, 16, v1
	s_branch .LBB151_607
.LBB151_594:
	s_mov_b32 s48, -1
	s_mov_b32 s47, 0
	s_mov_b32 s31, s43
                                        ; implicit-def: $vgpr9
	s_branch .LBB151_671
.LBB151_595:
	s_mov_b32 s48, -1
	s_mov_b32 s47, 0
	s_mov_b32 s31, s43
                                        ; implicit-def: $vgpr9
	s_branch .LBB151_636
.LBB151_596:
	s_mov_b32 s48, -1
	s_mov_b32 s47, 0
	s_mov_b32 s31, s43
                                        ; implicit-def: $vgpr9
	s_branch .LBB151_619
.LBB151_597:
	s_mov_b32 s48, -1
	s_mov_b32 s47, 0
	s_mov_b32 s31, s43
                                        ; implicit-def: $vgpr9
	s_branch .LBB151_613
.LBB151_598:
	s_mov_b32 s31, -1
	s_mov_b32 s48, exec_lo
	v_cmpx_eq_u16_e32 0x80, v1
; %bb.599:
	s_xor_b32 s31, exec_lo, -1
; %bb.600:
	s_or_b32 exec_lo, exec_lo, s48
	s_delay_alu instid0(SALU_CYCLE_1)
	s_and_b32 s31, s31, exec_lo
	s_or_saveexec_b32 s47, s47
	v_mov_b32_e32 v4, 0x7f800001
	s_xor_b32 exec_lo, exec_lo, s47
	s_cbranch_execz .LBB151_506
.LBB151_601:
	v_cmp_ne_u16_e32 vcc_lo, 0, v1
	v_mov_b32_e32 v4, 0
	s_and_not1_b32 s31, s31, exec_lo
	s_and_b32 s48, vcc_lo, exec_lo
	s_delay_alu instid0(SALU_CYCLE_1)
	s_or_b32 s31, s31, s48
	s_or_b32 exec_lo, exec_lo, s47
	s_and_saveexec_b32 s47, s31
	s_cbranch_execnz .LBB151_507
	s_branch .LBB151_508
.LBB151_602:
	s_mov_b32 s48, -1
	s_mov_b32 s47, 0
	s_mov_b32 s31, s43
	s_branch .LBB151_606
.LBB151_603:
	v_bfe_u32 v1, v4, 20, 1
	s_mov_b32 s45, exec_lo
	s_delay_alu instid0(VALU_DEP_1) | instskip(NEXT) | instid1(VALU_DEP_1)
	v_add3_u32 v1, v4, v1, 0x487ffff
	v_lshrrev_b32_e32 v1, 20, v1
	s_and_not1_saveexec_b32 s47, s47
	s_cbranch_execz .LBB151_334
.LBB151_604:
	v_add_f32_e64 v1, 0x46000000, |v4|
	s_and_not1_b32 s45, s45, exec_lo
	s_delay_alu instid0(VALU_DEP_1) | instskip(NEXT) | instid1(VALU_DEP_1)
	v_and_b32_e32 v1, 0xff, v1
	v_cmp_ne_u32_e32 vcc_lo, 0, v1
	s_and_b32 s48, vcc_lo, exec_lo
	s_delay_alu instid0(SALU_CYCLE_1)
	s_or_b32 s45, s45, s48
	s_or_b32 exec_lo, exec_lo, s47
	v_mov_b32_e32 v6, 0
	s_and_saveexec_b32 s47, s45
	s_cbranch_execnz .LBB151_335
	s_branch .LBB151_336
.LBB151_605:
	s_mov_b32 s31, -1
	s_mov_b32 s47, 0
.LBB151_606:
                                        ; implicit-def: $vgpr9
.LBB151_607:
	s_and_b32 vcc_lo, exec_lo, s48
	s_cbranch_vccz .LBB151_612
; %bb.608:
	s_cmp_eq_u32 s0, 44
	s_cbranch_scc0 .LBB151_610
; %bb.609:
	global_load_u8 v1, v[6:7], off
	s_mov_b32 s31, 0
	s_mov_b32 s47, -1
	s_wait_loadcnt 0x0
	v_lshlrev_b32_e32 v3, 23, v1
	v_cmp_ne_u32_e32 vcc_lo, 0xff, v1
	s_delay_alu instid0(VALU_DEP_2) | instskip(SKIP_2) | instid1(VALU_DEP_2)
	v_cndmask_b32_e32 v3, 0x7f800001, v3, vcc_lo
	v_cmp_ne_u32_e32 vcc_lo, 0, v1
	s_wait_xcnt 0x1
	v_cndmask_b32_e32 v8, 0x400000, v3, vcc_lo
	s_branch .LBB151_611
.LBB151_610:
	s_mov_b32 s31, -1
                                        ; implicit-def: $vgpr8
.LBB151_611:
	s_wait_xcnt 0x0
	v_mov_b32_e32 v9, 0
.LBB151_612:
	s_mov_b32 s48, 0
.LBB151_613:
	s_delay_alu instid0(SALU_CYCLE_1)
	s_and_b32 vcc_lo, exec_lo, s48
	s_cbranch_vccz .LBB151_618
; %bb.614:
	s_cmp_eq_u32 s0, 29
	s_cbranch_scc0 .LBB151_616
; %bb.615:
	global_load_b64 v[8:9], v[6:7], off
	s_mov_b32 s47, -1
	s_mov_b32 s31, 0
	s_wait_loadcnt 0x0
	v_clz_i32_u32_e32 v1, v9
	s_delay_alu instid0(VALU_DEP_1) | instskip(NEXT) | instid1(VALU_DEP_1)
	v_min_u32_e32 v1, 32, v1
	v_lshlrev_b64_e32 v[8:9], v1, v[8:9]
	v_sub_nc_u32_e32 v1, 32, v1
	s_delay_alu instid0(VALU_DEP_2) | instskip(NEXT) | instid1(VALU_DEP_1)
	v_min_u32_e32 v3, 1, v8
	v_or_b32_e32 v3, v9, v3
	s_delay_alu instid0(VALU_DEP_1) | instskip(NEXT) | instid1(VALU_DEP_1)
	v_cvt_f32_u32_e32 v3, v3
	v_ldexp_f32 v8, v3, v1
	s_branch .LBB151_617
.LBB151_616:
	s_mov_b32 s31, -1
                                        ; implicit-def: $vgpr8
.LBB151_617:
	s_wait_xcnt 0x0
	v_mov_b32_e32 v9, 0
.LBB151_618:
	s_mov_b32 s48, 0
.LBB151_619:
	s_delay_alu instid0(SALU_CYCLE_1)
	s_and_b32 vcc_lo, exec_lo, s48
	s_cbranch_vccz .LBB151_635
; %bb.620:
	s_cmp_lt_i32 s0, 27
	s_cbranch_scc1 .LBB151_623
; %bb.621:
	s_cmp_gt_i32 s0, 27
	s_cbranch_scc0 .LBB151_624
; %bb.622:
	global_load_b32 v1, v[6:7], off
	s_mov_b32 s47, 0
	s_wait_loadcnt 0x0
	s_wait_xcnt 0x1
	v_cvt_f32_u32_e32 v8, v1
	s_branch .LBB151_625
.LBB151_623:
	s_mov_b32 s47, -1
                                        ; implicit-def: $vgpr8
	s_branch .LBB151_628
.LBB151_624:
	s_mov_b32 s47, -1
                                        ; implicit-def: $vgpr8
.LBB151_625:
	s_delay_alu instid0(SALU_CYCLE_1)
	s_and_not1_b32 vcc_lo, exec_lo, s47
	s_cbranch_vccnz .LBB151_627
; %bb.626:
	global_load_u16 v1, v[6:7], off
	s_wait_loadcnt 0x0
	s_wait_xcnt 0x1
	v_cvt_f32_u32_e32 v8, v1
.LBB151_627:
	s_mov_b32 s47, 0
.LBB151_628:
	s_delay_alu instid0(SALU_CYCLE_1)
	s_and_not1_b32 vcc_lo, exec_lo, s47
	s_cbranch_vccnz .LBB151_634
; %bb.629:
	global_load_u8 v1, v[6:7], off
	s_mov_b32 s47, 0
	s_mov_b32 s48, exec_lo
	s_wait_loadcnt 0x0
	v_cmpx_lt_i16_e32 0x7f, v1
	s_xor_b32 s48, exec_lo, s48
	s_cbranch_execnz .LBB151_647
; %bb.630:
	s_or_saveexec_b32 s48, s48
	v_mov_b32_e32 v8, 0x7f800001
	s_xor_b32 exec_lo, exec_lo, s48
	s_cbranch_execnz .LBB151_650
.LBB151_631:
	s_or_b32 exec_lo, exec_lo, s48
	s_and_saveexec_b32 s48, s47
	s_cbranch_execz .LBB151_633
.LBB151_632:
	v_and_b32_e32 v3, 0xffff, v1
	s_delay_alu instid0(VALU_DEP_1) | instskip(SKIP_1) | instid1(VALU_DEP_2)
	v_and_b32_e32 v8, 7, v3
	v_bfe_u32 v11, v3, 3, 4
	v_clz_i32_u32_e32 v9, v8
	s_delay_alu instid0(VALU_DEP_2) | instskip(NEXT) | instid1(VALU_DEP_2)
	v_cmp_eq_u32_e32 vcc_lo, 0, v11
	v_min_u32_e32 v9, 32, v9
	s_delay_alu instid0(VALU_DEP_1) | instskip(NEXT) | instid1(VALU_DEP_1)
	v_subrev_nc_u32_e32 v10, 28, v9
	v_dual_lshlrev_b32 v3, v10, v3 :: v_dual_sub_nc_u32 v9, 29, v9
	s_delay_alu instid0(VALU_DEP_1) | instskip(NEXT) | instid1(VALU_DEP_1)
	v_dual_lshlrev_b32 v1, 24, v1 :: v_dual_bitop2_b32 v3, 7, v3 bitop3:0x40
	v_dual_cndmask_b32 v3, v8, v3, vcc_lo :: v_dual_cndmask_b32 v9, v11, v9, vcc_lo
	s_delay_alu instid0(VALU_DEP_2) | instskip(NEXT) | instid1(VALU_DEP_2)
	v_and_b32_e32 v1, 0x80000000, v1
	v_lshlrev_b32_e32 v3, 20, v3
	s_delay_alu instid0(VALU_DEP_3) | instskip(NEXT) | instid1(VALU_DEP_1)
	v_lshl_add_u32 v8, v9, 23, 0x3b800000
	v_or3_b32 v8, v1, v8, v3
.LBB151_633:
	s_or_b32 exec_lo, exec_lo, s48
.LBB151_634:
	s_wait_xcnt 0x0
	v_mov_b32_e32 v9, 0
	s_mov_b32 s47, -1
.LBB151_635:
	s_mov_b32 s48, 0
.LBB151_636:
	s_delay_alu instid0(SALU_CYCLE_1)
	s_and_b32 vcc_lo, exec_lo, s48
	s_cbranch_vccz .LBB151_670
; %bb.637:
	s_cmp_gt_i32 s0, 22
	s_cbranch_scc0 .LBB151_645
; %bb.638:
	s_cmp_lt_i32 s0, 24
	s_cbranch_scc1 .LBB151_646
; %bb.639:
	s_cmp_gt_i32 s0, 24
	s_cbranch_scc0 .LBB151_651
; %bb.640:
	global_load_u8 v1, v[6:7], off
	s_mov_b32 s47, 0
	s_mov_b32 s48, exec_lo
	s_wait_loadcnt 0x0
	v_cmpx_lt_i16_e32 0x7f, v1
	s_xor_b32 s48, exec_lo, s48
	s_cbranch_execnz .LBB151_735
; %bb.641:
	s_or_saveexec_b32 s48, s48
	v_mov_b32_e32 v8, 0x7f800001
	s_xor_b32 exec_lo, exec_lo, s48
	s_cbranch_execnz .LBB151_738
.LBB151_642:
	s_or_b32 exec_lo, exec_lo, s48
	s_and_saveexec_b32 s48, s47
	s_cbranch_execz .LBB151_644
.LBB151_643:
	v_and_b32_e32 v3, 0xffff, v1
	s_delay_alu instid0(VALU_DEP_1) | instskip(SKIP_1) | instid1(VALU_DEP_2)
	v_and_b32_e32 v8, 3, v3
	v_bfe_u32 v11, v3, 2, 5
	v_clz_i32_u32_e32 v9, v8
	s_delay_alu instid0(VALU_DEP_2) | instskip(NEXT) | instid1(VALU_DEP_2)
	v_cmp_eq_u32_e32 vcc_lo, 0, v11
	v_min_u32_e32 v9, 32, v9
	s_delay_alu instid0(VALU_DEP_1) | instskip(NEXT) | instid1(VALU_DEP_1)
	v_subrev_nc_u32_e32 v10, 29, v9
	v_dual_lshlrev_b32 v3, v10, v3 :: v_dual_sub_nc_u32 v9, 30, v9
	s_delay_alu instid0(VALU_DEP_1) | instskip(NEXT) | instid1(VALU_DEP_1)
	v_dual_lshlrev_b32 v1, 24, v1 :: v_dual_bitop2_b32 v3, 3, v3 bitop3:0x40
	v_dual_cndmask_b32 v3, v8, v3, vcc_lo :: v_dual_cndmask_b32 v9, v11, v9, vcc_lo
	s_delay_alu instid0(VALU_DEP_2) | instskip(NEXT) | instid1(VALU_DEP_2)
	v_and_b32_e32 v1, 0x80000000, v1
	v_lshlrev_b32_e32 v3, 21, v3
	s_delay_alu instid0(VALU_DEP_3) | instskip(NEXT) | instid1(VALU_DEP_1)
	v_lshl_add_u32 v8, v9, 23, 0x37800000
	v_or3_b32 v8, v1, v8, v3
.LBB151_644:
	s_or_b32 exec_lo, exec_lo, s48
	s_mov_b32 s47, 0
	s_branch .LBB151_652
.LBB151_645:
	s_mov_b32 s48, -1
                                        ; implicit-def: $vgpr8
	s_branch .LBB151_658
.LBB151_646:
	s_mov_b32 s47, -1
                                        ; implicit-def: $vgpr8
	s_branch .LBB151_655
.LBB151_647:
	s_mov_b32 s47, -1
	s_mov_b32 s49, exec_lo
	v_cmpx_eq_u16_e32 0x80, v1
; %bb.648:
	s_xor_b32 s47, exec_lo, -1
; %bb.649:
	s_or_b32 exec_lo, exec_lo, s49
	s_delay_alu instid0(SALU_CYCLE_1)
	s_and_b32 s47, s47, exec_lo
	s_or_saveexec_b32 s48, s48
	v_mov_b32_e32 v8, 0x7f800001
	s_xor_b32 exec_lo, exec_lo, s48
	s_cbranch_execz .LBB151_631
.LBB151_650:
	v_cmp_ne_u16_e32 vcc_lo, 0, v1
	v_mov_b32_e32 v8, 0
	s_and_not1_b32 s47, s47, exec_lo
	s_and_b32 s49, vcc_lo, exec_lo
	s_delay_alu instid0(SALU_CYCLE_1)
	s_or_b32 s47, s47, s49
	s_or_b32 exec_lo, exec_lo, s48
	s_and_saveexec_b32 s48, s47
	s_cbranch_execnz .LBB151_632
	s_branch .LBB151_633
.LBB151_651:
	s_mov_b32 s47, -1
                                        ; implicit-def: $vgpr8
.LBB151_652:
	s_delay_alu instid0(SALU_CYCLE_1)
	s_and_b32 vcc_lo, exec_lo, s47
	s_cbranch_vccz .LBB151_654
; %bb.653:
	global_load_u8 v1, v[6:7], off
	s_wait_loadcnt 0x0
	v_lshlrev_b32_e32 v1, 24, v1
	s_delay_alu instid0(VALU_DEP_1) | instskip(SKIP_1) | instid1(VALU_DEP_1)
	v_and_b32_e32 v3, 0x7f000000, v1
	s_wait_xcnt 0x1
	v_clz_i32_u32_e32 v8, v3
	v_cmp_ne_u32_e32 vcc_lo, 0, v3
	v_add_nc_u32_e32 v10, 0x1000000, v3
	s_delay_alu instid0(VALU_DEP_3) | instskip(NEXT) | instid1(VALU_DEP_1)
	v_min_u32_e32 v8, 32, v8
	v_sub_nc_u32_e64 v8, v8, 4 clamp
	s_delay_alu instid0(VALU_DEP_1) | instskip(NEXT) | instid1(VALU_DEP_1)
	v_dual_lshlrev_b32 v9, v8, v3 :: v_dual_lshlrev_b32 v8, 23, v8
	v_lshrrev_b32_e32 v9, 4, v9
	s_delay_alu instid0(VALU_DEP_1) | instskip(NEXT) | instid1(VALU_DEP_1)
	v_dual_sub_nc_u32 v8, v9, v8 :: v_dual_ashrrev_i32 v9, 8, v10
	v_add_nc_u32_e32 v8, 0x3c000000, v8
	s_delay_alu instid0(VALU_DEP_1) | instskip(NEXT) | instid1(VALU_DEP_1)
	v_and_or_b32 v8, 0x7f800000, v9, v8
	v_cndmask_b32_e32 v3, 0, v8, vcc_lo
	s_delay_alu instid0(VALU_DEP_1)
	v_and_or_b32 v8, 0x80000000, v1, v3
.LBB151_654:
	s_mov_b32 s47, 0
.LBB151_655:
	s_delay_alu instid0(SALU_CYCLE_1)
	s_and_not1_b32 vcc_lo, exec_lo, s47
	s_cbranch_vccnz .LBB151_657
; %bb.656:
	global_load_u8 v1, v[6:7], off
	s_wait_loadcnt 0x0
	v_lshlrev_b32_e32 v3, 25, v1
	v_lshlrev_b16 v1, 8, v1
	s_wait_xcnt 0x1
	s_delay_alu instid0(VALU_DEP_1) | instskip(NEXT) | instid1(VALU_DEP_3)
	v_and_or_b32 v9, 0x7f00, v1, 0.5
	v_lshrrev_b32_e32 v8, 4, v3
	v_bfe_i32 v1, v1, 0, 16
	s_delay_alu instid0(VALU_DEP_3) | instskip(NEXT) | instid1(VALU_DEP_3)
	v_add_f32_e32 v9, -0.5, v9
	v_or_b32_e32 v8, 0x70000000, v8
	s_delay_alu instid0(VALU_DEP_1) | instskip(SKIP_1) | instid1(VALU_DEP_2)
	v_mul_f32_e32 v8, 0x7800000, v8
	v_cmp_gt_u32_e32 vcc_lo, 0x8000000, v3
	v_cndmask_b32_e32 v3, v8, v9, vcc_lo
	s_delay_alu instid0(VALU_DEP_1)
	v_and_or_b32 v8, 0x80000000, v1, v3
.LBB151_657:
	s_mov_b32 s48, 0
	s_mov_b32 s47, -1
.LBB151_658:
	s_and_not1_b32 vcc_lo, exec_lo, s48
	s_cbranch_vccnz .LBB151_669
; %bb.659:
	s_cmp_gt_i32 s0, 14
	s_cbranch_scc0 .LBB151_662
; %bb.660:
	s_cmp_eq_u32 s0, 15
	s_cbranch_scc0 .LBB151_663
; %bb.661:
	global_load_u16 v1, v[6:7], off
	s_mov_b32 s47, -1
	s_mov_b32 s31, 0
	s_wait_loadcnt 0x0
	s_wait_xcnt 0x1
	v_lshlrev_b32_e32 v8, 16, v1
	s_branch .LBB151_664
.LBB151_662:
	s_mov_b32 s48, -1
                                        ; implicit-def: $vgpr8
	s_branch .LBB151_665
.LBB151_663:
	s_mov_b32 s31, -1
                                        ; implicit-def: $vgpr8
.LBB151_664:
	s_mov_b32 s48, 0
.LBB151_665:
	s_delay_alu instid0(SALU_CYCLE_1)
	s_and_b32 vcc_lo, exec_lo, s48
	s_cbranch_vccz .LBB151_669
; %bb.666:
	s_cmp_eq_u32 s0, 11
	s_cbranch_scc0 .LBB151_668
; %bb.667:
	global_load_u8 v1, v[6:7], off
	s_mov_b32 s31, 0
	s_mov_b32 s47, -1
	s_wait_xcnt 0x1
	v_mov_b32_e32 v9, 0
	s_wait_loadcnt 0x0
	v_cmp_ne_u16_e32 vcc_lo, 0, v1
	v_cndmask_b32_e64 v8, 0, 1.0, vcc_lo
	s_branch .LBB151_670
.LBB151_668:
	s_mov_b32 s31, -1
                                        ; implicit-def: $vgpr8
.LBB151_669:
	s_wait_xcnt 0x0
	v_mov_b32_e32 v9, 0
.LBB151_670:
	s_mov_b32 s48, 0
.LBB151_671:
	s_delay_alu instid0(SALU_CYCLE_1)
	s_and_b32 vcc_lo, exec_lo, s48
	s_cbranch_vccz .LBB151_722
; %bb.672:
	s_cmp_lt_i32 s0, 5
	s_cbranch_scc1 .LBB151_677
; %bb.673:
	s_cmp_lt_i32 s0, 8
	s_cbranch_scc1 .LBB151_678
	;; [unrolled: 3-line block ×3, first 2 shown]
; %bb.675:
	s_cmp_gt_i32 s0, 9
	s_cbranch_scc0 .LBB151_680
; %bb.676:
	global_load_b128 v[8:11], v[6:7], off
	s_mov_b32 s47, 0
	s_wait_loadcnt 0x0
	v_cvt_f32_f64_e32 v8, v[8:9]
	v_cvt_f32_f64_e32 v9, v[10:11]
	s_branch .LBB151_681
.LBB151_677:
	s_mov_b32 s47, -1
                                        ; implicit-def: $vgpr9
	s_branch .LBB151_700
.LBB151_678:
	s_mov_b32 s47, -1
                                        ; implicit-def: $vgpr9
	s_branch .LBB151_687
.LBB151_679:
	s_mov_b32 s47, -1
                                        ; implicit-def: $vgpr9
	s_branch .LBB151_684
.LBB151_680:
	s_mov_b32 s47, -1
                                        ; implicit-def: $vgpr9
.LBB151_681:
	s_delay_alu instid0(SALU_CYCLE_1)
	s_and_not1_b32 vcc_lo, exec_lo, s47
	s_cbranch_vccnz .LBB151_683
; %bb.682:
	global_load_b64 v[8:9], v[6:7], off
.LBB151_683:
	s_mov_b32 s47, 0
.LBB151_684:
	s_delay_alu instid0(SALU_CYCLE_1)
	s_and_not1_b32 vcc_lo, exec_lo, s47
	s_cbranch_vccnz .LBB151_686
; %bb.685:
	global_load_b32 v1, v[6:7], off
	s_wait_loadcnt 0x0
	v_lshrrev_b32_e32 v3, 16, v1
	s_wait_xcnt 0x1
	v_cvt_f32_f16_e32 v8, v1
	s_delay_alu instid0(VALU_DEP_2)
	v_cvt_f32_f16_e32 v9, v3
.LBB151_686:
	s_mov_b32 s47, 0
.LBB151_687:
	s_delay_alu instid0(SALU_CYCLE_1)
	s_and_not1_b32 vcc_lo, exec_lo, s47
	s_cbranch_vccnz .LBB151_699
; %bb.688:
	s_cmp_lt_i32 s0, 6
	s_cbranch_scc1 .LBB151_691
; %bb.689:
	s_cmp_gt_i32 s0, 6
	s_cbranch_scc0 .LBB151_692
; %bb.690:
	s_wait_loadcnt 0x0
	global_load_b64 v[8:9], v[6:7], off
	s_mov_b32 s47, 0
	s_wait_loadcnt 0x0
	v_cvt_f32_f64_e32 v8, v[8:9]
	s_branch .LBB151_693
.LBB151_691:
	s_mov_b32 s47, -1
                                        ; implicit-def: $vgpr8
	s_branch .LBB151_696
.LBB151_692:
	s_mov_b32 s47, -1
                                        ; implicit-def: $vgpr8
.LBB151_693:
	s_delay_alu instid0(SALU_CYCLE_1)
	s_and_not1_b32 vcc_lo, exec_lo, s47
	s_cbranch_vccnz .LBB151_695
; %bb.694:
	s_wait_loadcnt 0x0
	global_load_b32 v8, v[6:7], off
.LBB151_695:
	s_mov_b32 s47, 0
.LBB151_696:
	s_delay_alu instid0(SALU_CYCLE_1)
	s_and_not1_b32 vcc_lo, exec_lo, s47
	s_cbranch_vccnz .LBB151_698
; %bb.697:
	global_load_u16 v1, v[6:7], off
	s_wait_loadcnt 0x0
	s_wait_xcnt 0x1
	v_cvt_f32_f16_e32 v8, v1
.LBB151_698:
	s_wait_loadcnt 0x0
	v_mov_b32_e32 v9, 0
.LBB151_699:
	s_mov_b32 s47, 0
.LBB151_700:
	s_delay_alu instid0(SALU_CYCLE_1)
	s_and_not1_b32 vcc_lo, exec_lo, s47
	s_cbranch_vccnz .LBB151_721
; %bb.701:
	s_cmp_lt_i32 s0, 2
	s_cbranch_scc1 .LBB151_705
; %bb.702:
	s_cmp_lt_i32 s0, 3
	s_cbranch_scc1 .LBB151_706
; %bb.703:
	s_cmp_gt_i32 s0, 3
	s_cbranch_scc0 .LBB151_707
; %bb.704:
	s_wait_loadcnt 0x0
	global_load_b64 v[8:9], v[6:7], off
	s_mov_b32 s47, 0
	s_wait_loadcnt 0x0
	v_xor_b32_e32 v1, v8, v9
	v_cls_i32_e32 v3, v9
	s_delay_alu instid0(VALU_DEP_2) | instskip(NEXT) | instid1(VALU_DEP_1)
	v_ashrrev_i32_e32 v1, 31, v1
	v_add_nc_u32_e32 v1, 32, v1
	s_delay_alu instid0(VALU_DEP_1) | instskip(NEXT) | instid1(VALU_DEP_1)
	v_add_min_u32_e64 v1, v3, -1, v1
	v_lshlrev_b64_e32 v[8:9], v1, v[8:9]
	v_sub_nc_u32_e32 v1, 32, v1
	s_delay_alu instid0(VALU_DEP_2) | instskip(NEXT) | instid1(VALU_DEP_1)
	v_min_u32_e32 v3, 1, v8
	v_or_b32_e32 v3, v9, v3
	s_delay_alu instid0(VALU_DEP_1) | instskip(NEXT) | instid1(VALU_DEP_1)
	v_cvt_f32_i32_e32 v3, v3
	v_ldexp_f32 v8, v3, v1
	s_branch .LBB151_708
.LBB151_705:
	s_mov_b32 s47, -1
                                        ; implicit-def: $vgpr8
	s_branch .LBB151_714
.LBB151_706:
	s_mov_b32 s47, -1
                                        ; implicit-def: $vgpr8
	s_branch .LBB151_711
.LBB151_707:
	s_mov_b32 s47, -1
                                        ; implicit-def: $vgpr8
.LBB151_708:
	s_delay_alu instid0(SALU_CYCLE_1)
	s_and_not1_b32 vcc_lo, exec_lo, s47
	s_cbranch_vccnz .LBB151_710
; %bb.709:
	global_load_b32 v1, v[6:7], off
	s_wait_loadcnt 0x0
	s_wait_xcnt 0x1
	v_cvt_f32_i32_e32 v8, v1
.LBB151_710:
	s_mov_b32 s47, 0
.LBB151_711:
	s_delay_alu instid0(SALU_CYCLE_1)
	s_and_not1_b32 vcc_lo, exec_lo, s47
	s_cbranch_vccnz .LBB151_713
; %bb.712:
	global_load_i16 v1, v[6:7], off
	s_wait_loadcnt 0x0
	s_wait_xcnt 0x1
	v_cvt_f32_i32_e32 v8, v1
.LBB151_713:
	s_mov_b32 s47, 0
.LBB151_714:
	s_delay_alu instid0(SALU_CYCLE_1)
	s_and_not1_b32 vcc_lo, exec_lo, s47
	s_cbranch_vccnz .LBB151_720
; %bb.715:
	s_cmp_gt_i32 s0, 0
	s_mov_b32 s0, 0
	s_cbranch_scc0 .LBB151_717
; %bb.716:
	global_load_i8 v1, v[6:7], off
	s_wait_loadcnt 0x0
	s_wait_xcnt 0x1
	v_cvt_f32_i32_e32 v8, v1
	s_branch .LBB151_718
.LBB151_717:
	s_mov_b32 s0, -1
                                        ; implicit-def: $vgpr8
.LBB151_718:
	s_delay_alu instid0(SALU_CYCLE_1)
	s_and_not1_b32 vcc_lo, exec_lo, s0
	s_cbranch_vccnz .LBB151_720
; %bb.719:
	global_load_u8 v1, v[6:7], off
	s_wait_loadcnt 0x0
	s_wait_xcnt 0x1
	v_cvt_f32_ubyte0_e32 v8, v1
.LBB151_720:
	s_wait_loadcnt 0x0
	v_mov_b32_e32 v9, 0
.LBB151_721:
	s_mov_b32 s47, -1
.LBB151_722:
	s_delay_alu instid0(SALU_CYCLE_1)
	s_and_not1_b32 vcc_lo, exec_lo, s47
	s_cbranch_vccnz .LBB151_730
; %bb.723:
	s_wait_xcnt 0x0
	v_mov_b64_e32 v[6:7], s[20:21]
	s_wait_loadcnt 0x0
	s_delay_alu instid0(VALU_DEP_2) | instskip(SKIP_3) | instid1(VALU_DEP_3)
	v_dual_mov_b32 v12, v9 :: v_dual_mov_b32 v13, v8
	s_and_b32 s47, s2, 0xff
	v_mov_b32_e32 v3, 0
	s_cmp_lt_i32 s47, 11
	v_pk_mul_f32 v[10:11], v[4:5], v[6:7]
	v_pk_mul_f32 v[4:5], v[4:5], v[6:7] op_sel:[0,1] op_sel_hi:[1,0]
	s_delay_alu instid0(VALU_DEP_3) | instskip(NEXT) | instid1(VALU_DEP_3)
	v_add_nc_u64_e32 v[2:3], s[18:19], v[2:3]
	v_add_f32_e32 v6, v10, v11
	s_delay_alu instid0(VALU_DEP_3) | instskip(NEXT) | instid1(VALU_DEP_2)
	v_pk_add_f32 v[4:5], v[4:5], v[4:5] op_sel:[0,1] op_sel_hi:[0,1] neg_lo:[0,1] neg_hi:[0,1]
	v_pk_mul_f32 v[10:11], v[6:7], v[12:13] op_sel_hi:[0,1]
	s_delay_alu instid0(VALU_DEP_1) | instskip(SKIP_1) | instid1(VALU_DEP_2)
	v_pk_fma_f32 v[6:7], v[4:5], v[8:9], v[10:11]
	v_pk_fma_f32 v[4:5], v[4:5], v[8:9], v[10:11] neg_lo:[0,0,1] neg_hi:[0,0,1]
	v_mov_b32_e32 v5, v7
	s_cbranch_scc1 .LBB151_731
; %bb.724:
	s_and_b32 s48, 0xffff, s47
	s_delay_alu instid0(SALU_CYCLE_1)
	s_cmp_gt_i32 s48, 25
	s_cbranch_scc0 .LBB151_732
; %bb.725:
	s_cmp_gt_i32 s48, 28
	s_cbranch_scc0 .LBB151_733
; %bb.726:
	;; [unrolled: 3-line block ×4, first 2 shown]
	s_mov_b32 s50, 0
	s_mov_b32 s0, -1
	s_cmp_eq_u32 s48, 46
	s_mov_b32 s49, 0
	s_cbranch_scc0 .LBB151_740
; %bb.729:
	v_dual_lshrrev_b32 v1, 16, v4 :: v_dual_lshrrev_b32 v6, 16, v7
	v_cmp_o_f32_e32 vcc_lo, v4, v4
	s_mov_b32 s49, -1
	s_mov_b32 s0, 0
	s_delay_alu instid0(VALU_DEP_2) | instskip(NEXT) | instid1(VALU_DEP_1)
	v_and_b32_e32 v1, 1, v1
	v_add3_u32 v1, v4, v1, 0x7fff
	s_delay_alu instid0(VALU_DEP_1) | instskip(NEXT) | instid1(VALU_DEP_1)
	v_dual_lshrrev_b32 v1, 16, v1 :: v_dual_bitop2_b32 v6, 1, v6 bitop3:0x40
	v_add3_u32 v6, v7, v6, 0x7fff
	s_delay_alu instid0(VALU_DEP_2) | instskip(NEXT) | instid1(VALU_DEP_2)
	v_cndmask_b32_e32 v1, 0x7fc0, v1, vcc_lo
	v_and_b32_e32 v6, 0xffff0000, v6
	v_cmp_o_f32_e32 vcc_lo, v7, v7
	s_delay_alu instid0(VALU_DEP_2) | instskip(NEXT) | instid1(VALU_DEP_1)
	v_cndmask_b32_e32 v6, 0x7fc00000, v6, vcc_lo
	v_or_b32_e32 v1, v6, v1
	global_store_b32 v[2:3], v1, off
	s_branch .LBB151_740
.LBB151_730:
	s_mov_b32 s0, s42
	s_branch .LBB151_463
.LBB151_731:
	s_mov_b32 s48, -1
	s_mov_b32 s49, 0
	s_mov_b32 s0, s42
	s_branch .LBB151_809
.LBB151_732:
	s_mov_b32 s50, -1
	s_mov_b32 s49, 0
	s_mov_b32 s0, s42
	s_branch .LBB151_767
.LBB151_733:
	s_mov_b32 s50, -1
	s_mov_b32 s49, 0
	s_mov_b32 s0, s42
	s_branch .LBB151_750
.LBB151_734:
	s_mov_b32 s50, -1
	s_mov_b32 s49, 0
	s_mov_b32 s0, s42
	s_branch .LBB151_746
.LBB151_735:
	s_mov_b32 s47, -1
	s_mov_b32 s49, exec_lo
	v_cmpx_eq_u16_e32 0x80, v1
; %bb.736:
	s_xor_b32 s47, exec_lo, -1
; %bb.737:
	s_or_b32 exec_lo, exec_lo, s49
	s_delay_alu instid0(SALU_CYCLE_1)
	s_and_b32 s47, s47, exec_lo
	s_or_saveexec_b32 s48, s48
	v_mov_b32_e32 v8, 0x7f800001
	s_xor_b32 exec_lo, exec_lo, s48
	s_cbranch_execz .LBB151_642
.LBB151_738:
	v_cmp_ne_u16_e32 vcc_lo, 0, v1
	v_mov_b32_e32 v8, 0
	s_and_not1_b32 s47, s47, exec_lo
	s_and_b32 s49, vcc_lo, exec_lo
	s_delay_alu instid0(SALU_CYCLE_1)
	s_or_b32 s47, s47, s49
	s_or_b32 exec_lo, exec_lo, s48
	s_and_saveexec_b32 s48, s47
	s_cbranch_execnz .LBB151_643
	s_branch .LBB151_644
.LBB151_739:
	s_mov_b32 s50, -1
	s_mov_b32 s49, 0
	s_mov_b32 s0, s42
.LBB151_740:
	s_and_b32 vcc_lo, exec_lo, s50
	s_cbranch_vccz .LBB151_745
; %bb.741:
	s_cmp_eq_u32 s48, 44
	s_mov_b32 s0, -1
	s_cbranch_scc0 .LBB151_745
; %bb.742:
	v_bfe_u32 v6, v4, 23, 8
	s_wait_xcnt 0x0
	v_mov_b32_e32 v1, 0xff
	s_mov_b32 s49, exec_lo
	s_delay_alu instid0(VALU_DEP_2)
	v_cmpx_ne_u32_e32 0xff, v6
	s_cbranch_execz .LBB151_744
; %bb.743:
	v_and_b32_e32 v1, 0x400000, v4
	v_and_or_b32 v6, 0x3fffff, v4, v6
	s_delay_alu instid0(VALU_DEP_2) | instskip(NEXT) | instid1(VALU_DEP_2)
	v_cmp_ne_u32_e32 vcc_lo, 0, v1
	v_cmp_ne_u32_e64 s0, 0, v6
	v_lshrrev_b32_e32 v1, 23, v4
	s_and_b32 s0, vcc_lo, s0
	s_delay_alu instid0(SALU_CYCLE_1) | instskip(NEXT) | instid1(VALU_DEP_1)
	v_cndmask_b32_e64 v6, 0, 1, s0
	v_add_nc_u32_e32 v1, v1, v6
.LBB151_744:
	s_or_b32 exec_lo, exec_lo, s49
	s_mov_b32 s49, -1
	s_mov_b32 s0, 0
	global_store_b8 v[2:3], v1, off
.LBB151_745:
	s_mov_b32 s50, 0
.LBB151_746:
	s_delay_alu instid0(SALU_CYCLE_1)
	s_and_b32 vcc_lo, exec_lo, s50
	s_cbranch_vccz .LBB151_749
; %bb.747:
	s_cmp_eq_u32 s48, 29
	s_mov_b32 s0, -1
	s_cbranch_scc0 .LBB151_749
; %bb.748:
	s_wait_xcnt 0x0
	v_trunc_f32_e32 v1, v4
	s_mov_b32 s49, -1
	s_mov_b32 s0, 0
	s_mov_b32 s50, 0
	s_delay_alu instid0(VALU_DEP_1) | instskip(NEXT) | instid1(VALU_DEP_1)
	v_mul_f32_e32 v6, 0x2f800000, v1
	v_floor_f32_e32 v6, v6
	s_delay_alu instid0(VALU_DEP_1) | instskip(SKIP_1) | instid1(VALU_DEP_2)
	v_fmamk_f32 v1, v6, 0xcf800000, v1
	v_cvt_u32_f32_e32 v9, v6
	v_cvt_u32_f32_e32 v8, v1
	global_store_b64 v[2:3], v[8:9], off
	s_branch .LBB151_750
.LBB151_749:
	s_mov_b32 s50, 0
.LBB151_750:
	s_delay_alu instid0(SALU_CYCLE_1)
	s_and_b32 vcc_lo, exec_lo, s50
	s_cbranch_vccz .LBB151_766
; %bb.751:
	s_cmp_lt_i32 s48, 27
	s_mov_b32 s49, -1
	s_cbranch_scc1 .LBB151_757
; %bb.752:
	s_cmp_gt_i32 s48, 27
	s_cbranch_scc0 .LBB151_754
; %bb.753:
	s_wait_xcnt 0x0
	v_cvt_u32_f32_e32 v1, v4
	s_mov_b32 s49, 0
	global_store_b32 v[2:3], v1, off
.LBB151_754:
	s_and_not1_b32 vcc_lo, exec_lo, s49
	s_cbranch_vccnz .LBB151_756
; %bb.755:
	s_wait_xcnt 0x0
	v_cvt_u32_f32_e32 v1, v4
	global_store_b16 v[2:3], v1, off
.LBB151_756:
	s_mov_b32 s49, 0
.LBB151_757:
	s_delay_alu instid0(SALU_CYCLE_1)
	s_and_not1_b32 vcc_lo, exec_lo, s49
	s_cbranch_vccnz .LBB151_765
; %bb.758:
	s_wait_xcnt 0x0
	v_and_b32_e32 v1, 0x7fffffff, v4
	v_mov_b32_e32 v6, 0x80
	s_mov_b32 s49, exec_lo
	s_delay_alu instid0(VALU_DEP_2)
	v_cmpx_gt_u32_e32 0x43800000, v1
	s_cbranch_execz .LBB151_764
; %bb.759:
	v_cmp_lt_u32_e32 vcc_lo, 0x3bffffff, v1
	s_mov_b32 s50, 0
                                        ; implicit-def: $vgpr1
	s_and_saveexec_b32 s52, vcc_lo
	s_delay_alu instid0(SALU_CYCLE_1)
	s_xor_b32 s52, exec_lo, s52
	s_cbranch_execnz .LBB151_1035
; %bb.760:
	s_and_not1_saveexec_b32 s52, s52
	s_cbranch_execnz .LBB151_1036
.LBB151_761:
	s_or_b32 exec_lo, exec_lo, s52
	v_mov_b32_e32 v6, 0
	s_and_saveexec_b32 s52, s50
.LBB151_762:
	v_lshrrev_b32_e32 v6, 24, v4
	s_delay_alu instid0(VALU_DEP_1)
	v_and_or_b32 v6, 0x80, v6, v1
.LBB151_763:
	s_or_b32 exec_lo, exec_lo, s52
.LBB151_764:
	s_delay_alu instid0(SALU_CYCLE_1)
	s_or_b32 exec_lo, exec_lo, s49
	global_store_b8 v[2:3], v6, off
.LBB151_765:
	s_mov_b32 s49, -1
.LBB151_766:
	s_mov_b32 s50, 0
.LBB151_767:
	s_delay_alu instid0(SALU_CYCLE_1)
	s_and_b32 vcc_lo, exec_lo, s50
	s_cbranch_vccz .LBB151_808
; %bb.768:
	s_cmp_gt_i32 s48, 22
	s_mov_b32 s50, -1
	s_cbranch_scc0 .LBB151_800
; %bb.769:
	s_cmp_lt_i32 s48, 24
	s_mov_b32 s49, -1
	s_cbranch_scc1 .LBB151_789
; %bb.770:
	s_cmp_gt_i32 s48, 24
	s_cbranch_scc0 .LBB151_778
; %bb.771:
	s_wait_xcnt 0x0
	v_and_b32_e32 v1, 0x7fffffff, v4
	v_mov_b32_e32 v6, 0x80
	s_mov_b32 s49, exec_lo
	s_delay_alu instid0(VALU_DEP_2)
	v_cmpx_gt_u32_e32 0x47800000, v1
	s_cbranch_execz .LBB151_777
; %bb.772:
	v_cmp_lt_u32_e32 vcc_lo, 0x37ffffff, v1
	s_mov_b32 s50, 0
                                        ; implicit-def: $vgpr1
	s_and_saveexec_b32 s52, vcc_lo
	s_delay_alu instid0(SALU_CYCLE_1)
	s_xor_b32 s52, exec_lo, s52
	s_cbranch_execnz .LBB151_2369
; %bb.773:
	s_and_not1_saveexec_b32 s52, s52
	s_cbranch_execnz .LBB151_2370
.LBB151_774:
	s_or_b32 exec_lo, exec_lo, s52
	v_mov_b32_e32 v6, 0
	s_and_saveexec_b32 s52, s50
.LBB151_775:
	v_lshrrev_b32_e32 v6, 24, v4
	s_delay_alu instid0(VALU_DEP_1)
	v_and_or_b32 v6, 0x80, v6, v1
.LBB151_776:
	s_or_b32 exec_lo, exec_lo, s52
.LBB151_777:
	s_delay_alu instid0(SALU_CYCLE_1)
	s_or_b32 exec_lo, exec_lo, s49
	s_mov_b32 s49, 0
	global_store_b8 v[2:3], v6, off
.LBB151_778:
	s_and_b32 vcc_lo, exec_lo, s49
	s_cbranch_vccz .LBB151_788
; %bb.779:
	s_wait_xcnt 0x0
	v_and_b32_e32 v6, 0x7fffffff, v4
	s_mov_b32 s49, exec_lo
                                        ; implicit-def: $vgpr1
	s_delay_alu instid0(VALU_DEP_1)
	v_cmpx_gt_u32_e32 0x43f00000, v6
	s_xor_b32 s49, exec_lo, s49
	s_cbranch_execz .LBB151_785
; %bb.780:
	s_mov_b32 s50, exec_lo
                                        ; implicit-def: $vgpr1
	v_cmpx_lt_u32_e32 0x3c7fffff, v6
	s_xor_b32 s50, exec_lo, s50
; %bb.781:
	v_bfe_u32 v1, v4, 20, 1
	s_delay_alu instid0(VALU_DEP_1) | instskip(NEXT) | instid1(VALU_DEP_1)
	v_add3_u32 v1, v4, v1, 0x407ffff
	v_and_b32_e32 v6, 0xff00000, v1
	v_lshrrev_b32_e32 v1, 20, v1
	s_delay_alu instid0(VALU_DEP_2) | instskip(NEXT) | instid1(VALU_DEP_2)
	v_cmp_ne_u32_e32 vcc_lo, 0x7f00000, v6
	v_cndmask_b32_e32 v1, 0x7e, v1, vcc_lo
; %bb.782:
	s_and_not1_saveexec_b32 s50, s50
; %bb.783:
	v_add_f32_e64 v1, 0x46800000, |v4|
; %bb.784:
	s_or_b32 exec_lo, exec_lo, s50
                                        ; implicit-def: $vgpr6
.LBB151_785:
	s_and_not1_saveexec_b32 s49, s49
; %bb.786:
	v_mov_b32_e32 v1, 0x7f
	v_cmp_lt_u32_e32 vcc_lo, 0x7f800000, v6
	s_delay_alu instid0(VALU_DEP_2)
	v_cndmask_b32_e32 v1, 0x7e, v1, vcc_lo
; %bb.787:
	s_or_b32 exec_lo, exec_lo, s49
	v_lshrrev_b32_e32 v6, 24, v4
	s_delay_alu instid0(VALU_DEP_1)
	v_and_or_b32 v1, 0x80, v6, v1
	global_store_b8 v[2:3], v1, off
.LBB151_788:
	s_mov_b32 s49, 0
.LBB151_789:
	s_delay_alu instid0(SALU_CYCLE_1)
	s_and_not1_b32 vcc_lo, exec_lo, s49
	s_cbranch_vccnz .LBB151_799
; %bb.790:
	s_wait_xcnt 0x0
	v_and_b32_e32 v6, 0x7fffffff, v4
	s_mov_b32 s49, exec_lo
                                        ; implicit-def: $vgpr1
	s_delay_alu instid0(VALU_DEP_1)
	v_cmpx_gt_u32_e32 0x47800000, v6
	s_xor_b32 s49, exec_lo, s49
	s_cbranch_execz .LBB151_796
; %bb.791:
	s_mov_b32 s50, exec_lo
                                        ; implicit-def: $vgpr1
	v_cmpx_lt_u32_e32 0x387fffff, v6
	s_xor_b32 s50, exec_lo, s50
; %bb.792:
	v_bfe_u32 v1, v4, 21, 1
	s_delay_alu instid0(VALU_DEP_1) | instskip(NEXT) | instid1(VALU_DEP_1)
	v_add3_u32 v1, v4, v1, 0x80fffff
	v_lshrrev_b32_e32 v1, 21, v1
; %bb.793:
	s_and_not1_saveexec_b32 s50, s50
; %bb.794:
	v_add_f32_e64 v1, 0x43000000, |v4|
; %bb.795:
	s_or_b32 exec_lo, exec_lo, s50
                                        ; implicit-def: $vgpr6
.LBB151_796:
	s_and_not1_saveexec_b32 s49, s49
; %bb.797:
	v_mov_b32_e32 v1, 0x7f
	v_cmp_lt_u32_e32 vcc_lo, 0x7f800000, v6
	s_delay_alu instid0(VALU_DEP_2)
	v_cndmask_b32_e32 v1, 0x7c, v1, vcc_lo
; %bb.798:
	s_or_b32 exec_lo, exec_lo, s49
	v_lshrrev_b32_e32 v6, 24, v4
	s_delay_alu instid0(VALU_DEP_1)
	v_and_or_b32 v1, 0x80, v6, v1
	global_store_b8 v[2:3], v1, off
.LBB151_799:
	s_mov_b32 s50, 0
	s_mov_b32 s49, -1
.LBB151_800:
	s_and_not1_b32 vcc_lo, exec_lo, s50
	s_cbranch_vccnz .LBB151_808
; %bb.801:
	s_cmp_gt_i32 s48, 14
	s_mov_b32 s50, -1
	s_cbranch_scc0 .LBB151_805
; %bb.802:
	s_cmp_eq_u32 s48, 15
	s_mov_b32 s0, -1
	s_cbranch_scc0 .LBB151_804
; %bb.803:
	s_wait_xcnt 0x0
	v_bfe_u32 v1, v4, 16, 1
	v_cmp_o_f32_e32 vcc_lo, v4, v4
	s_mov_b32 s49, -1
	s_mov_b32 s0, 0
	s_delay_alu instid0(VALU_DEP_2) | instskip(NEXT) | instid1(VALU_DEP_1)
	v_add3_u32 v1, v4, v1, 0x7fff
	v_lshrrev_b32_e32 v1, 16, v1
	s_delay_alu instid0(VALU_DEP_1)
	v_cndmask_b32_e32 v1, 0x7fc0, v1, vcc_lo
	global_store_b16 v[2:3], v1, off
.LBB151_804:
	s_mov_b32 s50, 0
.LBB151_805:
	s_delay_alu instid0(SALU_CYCLE_1)
	s_and_b32 vcc_lo, exec_lo, s50
	s_cbranch_vccz .LBB151_808
; %bb.806:
	s_cmp_eq_u32 s48, 11
	s_mov_b32 s0, -1
	s_cbranch_scc0 .LBB151_808
; %bb.807:
	v_cmp_neq_f32_e32 vcc_lo, 0, v4
	v_cmp_neq_f32_e64 s0, 0, v7
	s_mov_b32 s49, -1
	s_or_b32 s0, vcc_lo, s0
	s_wait_xcnt 0x0
	v_cndmask_b32_e64 v1, 0, 1, s0
	s_mov_b32 s0, 0
	global_store_b8 v[2:3], v1, off
.LBB151_808:
	s_mov_b32 s48, 0
.LBB151_809:
	s_delay_alu instid0(SALU_CYCLE_1)
	s_and_b32 vcc_lo, exec_lo, s48
	s_cbranch_vccz .LBB151_848
; %bb.810:
	s_and_b32 s47, 0xffff, s47
	s_mov_b32 s48, -1
	s_cmp_lt_i32 s47, 5
	s_cbranch_scc1 .LBB151_831
; %bb.811:
	s_cmp_lt_i32 s47, 8
	s_cbranch_scc1 .LBB151_821
; %bb.812:
	;; [unrolled: 3-line block ×3, first 2 shown]
	s_cmp_gt_i32 s47, 9
	s_cbranch_scc0 .LBB151_815
; %bb.814:
	s_wait_xcnt 0x0
	v_cvt_f64_f32_e32 v[8:9], v4
	v_cvt_f64_f32_e32 v[10:11], v7
	s_mov_b32 s48, 0
	global_store_b128 v[2:3], v[8:11], off
.LBB151_815:
	s_and_not1_b32 vcc_lo, exec_lo, s48
	s_cbranch_vccnz .LBB151_817
; %bb.816:
	global_store_b64 v[2:3], v[4:5], off
.LBB151_817:
	s_mov_b32 s48, 0
.LBB151_818:
	s_delay_alu instid0(SALU_CYCLE_1)
	s_and_not1_b32 vcc_lo, exec_lo, s48
	s_cbranch_vccnz .LBB151_820
; %bb.819:
	s_wait_xcnt 0x0
	v_cvt_f16_f32_e32 v1, v7
	v_cvt_f16_f32_e32 v5, v4
	s_delay_alu instid0(VALU_DEP_2) | instskip(NEXT) | instid1(VALU_DEP_2)
	v_lshlrev_b32_e32 v1, 16, v1
	v_and_b32_e32 v5, 0xffff, v5
	s_delay_alu instid0(VALU_DEP_1)
	v_or_b32_e32 v1, v1, v5
	global_store_b32 v[2:3], v1, off
.LBB151_820:
	s_mov_b32 s48, 0
.LBB151_821:
	s_delay_alu instid0(SALU_CYCLE_1)
	s_and_not1_b32 vcc_lo, exec_lo, s48
	s_cbranch_vccnz .LBB151_830
; %bb.822:
	s_cmp_lt_i32 s47, 6
	s_mov_b32 s48, -1
	s_cbranch_scc1 .LBB151_828
; %bb.823:
	s_cmp_gt_i32 s47, 6
	s_cbranch_scc0 .LBB151_825
; %bb.824:
	s_wait_xcnt 0x0
	v_cvt_f64_f32_e32 v[6:7], v4
	s_mov_b32 s48, 0
	global_store_b64 v[2:3], v[6:7], off
.LBB151_825:
	s_and_not1_b32 vcc_lo, exec_lo, s48
	s_cbranch_vccnz .LBB151_827
; %bb.826:
	global_store_b32 v[2:3], v4, off
.LBB151_827:
	s_mov_b32 s48, 0
.LBB151_828:
	s_delay_alu instid0(SALU_CYCLE_1)
	s_and_not1_b32 vcc_lo, exec_lo, s48
	s_cbranch_vccnz .LBB151_830
; %bb.829:
	s_wait_xcnt 0x0
	v_cvt_f16_f32_e32 v1, v4
	global_store_b16 v[2:3], v1, off
.LBB151_830:
	s_mov_b32 s48, 0
.LBB151_831:
	s_delay_alu instid0(SALU_CYCLE_1)
	s_and_not1_b32 vcc_lo, exec_lo, s48
	s_cbranch_vccnz .LBB151_847
; %bb.832:
	s_cmp_lt_i32 s47, 2
	s_mov_b32 s48, -1
	s_cbranch_scc1 .LBB151_842
; %bb.833:
	s_cmp_lt_i32 s47, 3
	s_cbranch_scc1 .LBB151_839
; %bb.834:
	s_cmp_gt_i32 s47, 3
	s_cbranch_scc0 .LBB151_836
; %bb.835:
	s_wait_xcnt 0x0
	v_trunc_f32_e32 v1, v4
	s_mov_b32 s48, 0
	s_delay_alu instid0(VALU_DEP_1) | instskip(SKIP_1) | instid1(VALU_DEP_2)
	v_mul_f32_e64 v5, 0x2f800000, |v1|
	v_ashrrev_i32_e32 v6, 31, v1
	v_floor_f32_e32 v5, v5
	s_delay_alu instid0(VALU_DEP_1) | instskip(SKIP_1) | instid1(VALU_DEP_2)
	v_fma_f32 v7, 0xcf800000, v5, |v1|
	v_cvt_u32_f32_e32 v1, v5
	v_cvt_u32_f32_e32 v5, v7
	s_delay_alu instid0(VALU_DEP_2) | instskip(NEXT) | instid1(VALU_DEP_2)
	v_dual_mov_b32 v7, v6 :: v_dual_bitop2_b32 v9, v1, v6 bitop3:0x14
	v_xor_b32_e32 v8, v5, v6
	s_delay_alu instid0(VALU_DEP_1)
	v_sub_nc_u64_e32 v[6:7], v[8:9], v[6:7]
	global_store_b64 v[2:3], v[6:7], off
.LBB151_836:
	s_and_not1_b32 vcc_lo, exec_lo, s48
	s_cbranch_vccnz .LBB151_838
; %bb.837:
	s_wait_xcnt 0x0
	v_cvt_i32_f32_e32 v1, v4
	global_store_b32 v[2:3], v1, off
.LBB151_838:
	s_mov_b32 s48, 0
.LBB151_839:
	s_delay_alu instid0(SALU_CYCLE_1)
	s_and_not1_b32 vcc_lo, exec_lo, s48
	s_cbranch_vccnz .LBB151_841
; %bb.840:
	s_wait_xcnt 0x0
	v_cvt_i32_f32_e32 v1, v4
	global_store_b16 v[2:3], v1, off
.LBB151_841:
	s_mov_b32 s48, 0
.LBB151_842:
	s_delay_alu instid0(SALU_CYCLE_1)
	s_and_not1_b32 vcc_lo, exec_lo, s48
	s_cbranch_vccnz .LBB151_847
; %bb.843:
	s_cmp_gt_i32 s47, 0
	s_mov_b32 s47, -1
	s_cbranch_scc0 .LBB151_845
; %bb.844:
	s_wait_xcnt 0x0
	v_cvt_i32_f32_e32 v1, v4
	s_mov_b32 s47, 0
	global_store_b8 v[2:3], v1, off
.LBB151_845:
	s_and_not1_b32 vcc_lo, exec_lo, s47
	s_cbranch_vccnz .LBB151_847
; %bb.846:
	s_wait_xcnt 0x0
	v_trunc_f32_e32 v1, v4
	s_delay_alu instid0(VALU_DEP_1) | instskip(NEXT) | instid1(VALU_DEP_1)
	v_mul_f32_e64 v4, 0x2f800000, |v1|
	v_floor_f32_e32 v4, v4
	s_delay_alu instid0(VALU_DEP_1) | instskip(SKIP_1) | instid1(VALU_DEP_2)
	v_fma_f32 v4, 0xcf800000, v4, |v1|
	v_ashrrev_i32_e32 v1, 31, v1
	v_cvt_u32_f32_e32 v4, v4
	s_delay_alu instid0(VALU_DEP_1) | instskip(NEXT) | instid1(VALU_DEP_1)
	v_xor_b32_e32 v4, v4, v1
	v_sub_nc_u32_e32 v1, v4, v1
	global_store_b8 v[2:3], v1, off
.LBB151_847:
	s_mov_b32 s49, -1
.LBB151_848:
	s_delay_alu instid0(SALU_CYCLE_1)
	s_and_not1_b32 vcc_lo, exec_lo, s49
	s_cbranch_vccnz .LBB151_871
; %bb.849:
	v_add_nc_u32_e32 v0, 0x80, v0
	s_mov_b32 s52, -1
.LBB151_850:
	s_and_not1_b32 s47, s42, exec_lo
	s_and_b32 s0, s0, exec_lo
	s_and_not1_b32 s49, s43, exec_lo
	s_and_b32 s31, s31, exec_lo
	s_or_b32 s48, s47, s0
	s_or_b32 s49, s49, s31
	s_and_not1_b32 s0, s44, exec_lo
	s_and_b32 s1, s1, exec_lo
	s_and_not1_b32 s31, s45, exec_lo
	s_and_b32 s30, s30, exec_lo
	s_or_b32 s50, s0, s1
	s_or_b32 s47, s31, s30
	s_or_not1_b32 s1, s52, exec_lo
.LBB151_851:
	s_wait_xcnt 0x0
	s_or_b32 exec_lo, exec_lo, s51
	s_mov_b32 s0, 0
                                        ; implicit-def: $vgpr4
                                        ; implicit-def: $vgpr8
                                        ; implicit-def: $vgpr2
	s_and_saveexec_b32 s51, s1
	s_cbranch_execz .LBB151_1319
; %bb.852:
	s_mov_b32 s1, -1
	s_mov_b32 s53, s47
	s_mov_b32 s55, s50
	;; [unrolled: 1-line block ×4, first 2 shown]
	s_mov_b32 s52, exec_lo
	v_cmpx_gt_i32_e64 s40, v0
	s_cbranch_execz .LBB151_1283
; %bb.853:
	s_and_not1_b32 vcc_lo, exec_lo, s34
	s_cbranch_vccnz .LBB151_859
; %bb.854:
	s_and_not1_b32 vcc_lo, exec_lo, s41
	s_cbranch_vccnz .LBB151_860
; %bb.855:
	v_dual_mov_b32 v2, 0 :: v_dual_mov_b32 v1, v0
	s_wait_loadcnt 0x0
	v_dual_mov_b32 v4, 0 :: v_dual_mov_b32 v6, 0
	s_add_co_i32 s30, s39, 1
	s_mov_b64 s[0:1], 0xffffffffffffffe0
	s_and_b32 s53, s30, 30
	s_add_nc_u64 s[0:1], s[16:17], s[0:1]
	s_mov_b64 s[30:31], s[16:17]
.LBB151_856:                            ; =>This Inner Loop Header: Depth=1
	s_clause 0x1
	s_load_b128 s[56:59], s[30:31], 0x4
	s_load_b64 s[54:55], s[30:31], 0x14
	s_load_b32 s60, s[0:1], 0xe4
	s_add_co_i32 s53, s53, -2
	s_wait_xcnt 0x0
	s_add_nc_u64 s[30:31], s[30:31], 24
	s_cmp_eq_u32 s53, 0
	s_wait_kmcnt 0x0
	v_mul_hi_u32 v3, s57, v1
	s_delay_alu instid0(VALU_DEP_1) | instskip(NEXT) | instid1(VALU_DEP_1)
	v_add_nc_u32_e32 v3, v1, v3
	v_lshrrev_b32_e32 v3, s58, v3
	s_delay_alu instid0(VALU_DEP_1) | instskip(SKIP_2) | instid1(VALU_DEP_1)
	v_mul_hi_u32 v5, s54, v3
	v_mul_lo_u32 v7, v3, s56
	s_load_b96 s[56:58], s[0:1], 0xec
	v_dual_add_nc_u32 v5, v3, v5 :: v_dual_sub_nc_u32 v7, v1, v7
	s_delay_alu instid0(VALU_DEP_1) | instskip(SKIP_1) | instid1(VALU_DEP_2)
	v_lshrrev_b32_e32 v1, s55, v5
	s_load_b64 s[54:55], s[0:1], 0xfc
	v_mad_u32 v2, v7, s60, v2
	s_wait_xcnt 0x0
	s_add_nc_u64 s[0:1], s[0:1], 32
	v_mul_lo_u32 v5, v1, s59
	s_wait_kmcnt 0x0
	v_mad_u32 v6, v7, s57, v6
	v_mad_u32 v4, v7, s56, v4
	s_delay_alu instid0(VALU_DEP_3) | instskip(NEXT) | instid1(VALU_DEP_1)
	v_sub_nc_u32_e32 v3, v3, v5
	v_mad_u32 v2, v3, s58, v2
	s_delay_alu instid0(VALU_DEP_4) | instskip(NEXT) | instid1(VALU_DEP_4)
	v_mad_u32 v6, v3, s55, v6
	v_mad_u32 v4, v3, s54, v4
	s_cbranch_scc0 .LBB151_856
; %bb.857:
	s_bitcmp1_b32 s39, 0
	s_cselect_b32 s53, -1, 0
	s_delay_alu instid0(SALU_CYCLE_1)
	s_and_b32 vcc_lo, exec_lo, s53
	s_cbranch_vccnz .LBB151_861
; %bb.858:
	s_load_b96 s[56:58], s[30:31], 0x4
	s_load_b32 s53, s[0:1], 0xe4
	s_wait_xcnt 0x0
	s_load_b64 s[30:31], s[0:1], 0xec
	s_wait_kmcnt 0x0
	v_mul_hi_u32 v3, s57, v1
	s_delay_alu instid0(VALU_DEP_1) | instskip(NEXT) | instid1(VALU_DEP_1)
	v_add_nc_u32_e32 v3, v1, v3
	v_lshrrev_b32_e32 v3, s58, v3
	s_delay_alu instid0(VALU_DEP_1) | instskip(NEXT) | instid1(VALU_DEP_1)
	v_mul_lo_u32 v3, v3, s56
	v_sub_nc_u32_e32 v1, v1, v3
	s_delay_alu instid0(VALU_DEP_1)
	v_mad_u32 v2, v1, s53, v2
	v_mad_u32 v4, v1, s30, v4
	;; [unrolled: 1-line block ×3, first 2 shown]
	s_branch .LBB151_861
.LBB151_859:
	s_mov_b32 s0, -1
                                        ; implicit-def: $vgpr6
                                        ; implicit-def: $vgpr4
                                        ; implicit-def: $vgpr2
	s_branch .LBB151_862
.LBB151_860:
	s_wait_loadcnt 0x0
	v_dual_mov_b32 v6, 0 :: v_dual_mov_b32 v4, 0
	v_mov_b32_e32 v2, 0
.LBB151_861:
	s_mov_b32 s0, 0
.LBB151_862:
	s_delay_alu instid0(SALU_CYCLE_1)
	s_and_not1_b32 vcc_lo, exec_lo, s0
	s_cbranch_vccnz .LBB151_865
; %bb.863:
	v_mov_b32_e32 v1, 0
	s_and_not1_b32 vcc_lo, exec_lo, s38
	s_delay_alu instid0(VALU_DEP_1) | instskip(NEXT) | instid1(VALU_DEP_1)
	v_mul_u64_e32 v[2:3], s[22:23], v[0:1]
	v_add_nc_u32_e32 v2, v0, v3
	s_wait_loadcnt 0x0
	s_delay_alu instid0(VALU_DEP_1) | instskip(NEXT) | instid1(VALU_DEP_1)
	v_lshrrev_b32_e32 v8, s10, v2
	v_mul_lo_u32 v2, v8, s8
	s_delay_alu instid0(VALU_DEP_1) | instskip(NEXT) | instid1(VALU_DEP_1)
	v_sub_nc_u32_e32 v3, v0, v2
	v_mul_lo_u32 v2, v3, s37
	v_mul_lo_u32 v6, v3, s13
	v_mul_lo_u32 v4, v3, s12
	s_cbranch_vccnz .LBB151_865
; %bb.864:
	v_mov_b32_e32 v9, v1
	s_delay_alu instid0(VALU_DEP_1) | instskip(NEXT) | instid1(VALU_DEP_1)
	v_mul_u64_e32 v[10:11], s[28:29], v[8:9]
	v_add_nc_u32_e32 v1, v8, v11
	s_delay_alu instid0(VALU_DEP_1) | instskip(NEXT) | instid1(VALU_DEP_1)
	v_lshrrev_b32_e32 v1, s25, v1
	v_mul_lo_u32 v1, v1, s11
	s_delay_alu instid0(VALU_DEP_1) | instskip(NEXT) | instid1(VALU_DEP_1)
	v_sub_nc_u32_e32 v1, v8, v1
	v_mad_u32 v2, v1, s14, v2
	v_mad_u32 v4, v1, s26, v4
	v_mad_u32 v6, v1, s27, v6
.LBB151_865:
	s_and_b32 s1, s36, 0xff
	s_delay_alu instid0(SALU_CYCLE_1)
	s_cmp_lt_i32 s1, 23
	s_cbranch_scc1 .LBB151_869
; %bb.866:
	s_and_b32 s31, 0xffff, s1
	s_delay_alu instid0(SALU_CYCLE_1)
	s_cmp_gt_i32 s31, 43
	s_cbranch_scc0 .LBB151_870
; %bb.867:
	s_cmp_gt_i32 s31, 45
	s_cbranch_scc0 .LBB151_872
; %bb.868:
	s_cmp_eq_u32 s31, 46
	s_mov_b32 s53, 0
	s_cselect_b32 s0, -1, 0
	s_or_b32 s30, s47, exec_lo
	s_branch .LBB151_873
.LBB151_869:
	s_mov_b32 s31, -1
	s_mov_b32 s0, 0
	s_mov_b32 s30, s47
	s_branch .LBB151_879
.LBB151_870:
	s_mov_b32 s53, -1
	s_mov_b32 s0, 0
	s_mov_b32 s30, s47
	s_branch .LBB151_876
.LBB151_871:
	s_mov_b32 s52, 0
	s_branch .LBB151_463
.LBB151_872:
	s_mov_b32 s53, -1
	s_mov_b32 s0, 0
	s_mov_b32 s30, s47
.LBB151_873:
	s_and_not1_b32 vcc_lo, exec_lo, s53
	s_cbranch_vccnz .LBB151_875
; %bb.874:
	s_cmp_eq_u32 s31, 44
	s_cselect_b32 s0, -1, 0
	s_cmp_lg_u32 s31, 44
	s_cselect_b32 s53, -1, 0
	s_and_not1_b32 s30, s30, exec_lo
	s_and_b32 s53, s53, exec_lo
	s_delay_alu instid0(SALU_CYCLE_1)
	s_or_b32 s30, s30, s53
.LBB151_875:
	s_mov_b32 s53, 0
.LBB151_876:
	s_delay_alu instid0(SALU_CYCLE_1)
	s_and_b32 vcc_lo, exec_lo, s53
	s_cbranch_vccz .LBB151_878
; %bb.877:
	s_cmp_lt_i32 s31, 30
	s_cselect_b32 s0, -1, 0
	s_cmp_gt_i32 s31, 29
	s_cselect_b32 s31, -1, 0
	s_and_not1_b32 s30, s30, exec_lo
	s_and_b32 s31, s31, exec_lo
	s_delay_alu instid0(SALU_CYCLE_1)
	s_or_b32 s30, s30, s31
.LBB151_878:
	s_mov_b32 s31, 0
.LBB151_879:
	s_delay_alu instid0(SALU_CYCLE_1)
	s_and_b32 vcc_lo, exec_lo, s31
	s_cbranch_vccz .LBB151_884
; %bb.880:
	s_and_b32 s1, 0xffff, s1
	s_mov_b32 s31, -1
	s_cmp_gt_i32 s1, 14
	s_cbranch_scc0 .LBB151_882
; %bb.881:
	s_cmp_eq_u32 s1, 15
	s_cselect_b32 s0, -1, 0
	s_cmp_lg_u32 s1, 15
	s_cselect_b32 s31, -1, 0
	s_and_not1_b32 s30, s30, exec_lo
	s_and_b32 s53, s31, exec_lo
	s_mov_b32 s31, 0
	s_or_b32 s30, s30, s53
.LBB151_882:
	s_and_not1_b32 vcc_lo, exec_lo, s31
	s_cbranch_vccnz .LBB151_884
; %bb.883:
	s_cmp_lt_i32 s1, 12
	s_cselect_b32 s0, -1, 0
	s_cmp_gt_i32 s1, 11
	s_cselect_b32 s1, -1, 0
	s_and_not1_b32 s30, s30, exec_lo
	s_and_b32 s1, s1, exec_lo
	s_delay_alu instid0(SALU_CYCLE_1)
	s_or_b32 s30, s30, s1
.LBB151_884:
	s_and_b32 vcc_lo, exec_lo, s0
	s_cbranch_vccz .LBB151_892
; %bb.885:
	s_wait_loadcnt 0x0
	v_mov_b32_e32 v5, 0
	s_and_b32 s0, s24, 0xff
	s_delay_alu instid0(SALU_CYCLE_1) | instskip(NEXT) | instid1(VALU_DEP_1)
	s_cmp_lt_i32 s0, 11
	v_add_nc_u64_e32 v[8:9], s[4:5], v[4:5]
	s_cbranch_scc1 .LBB151_894
; %bb.886:
	s_and_b32 s30, 0xffff, s0
	s_delay_alu instid0(SALU_CYCLE_1)
	s_cmp_gt_i32 s30, 25
	s_cbranch_scc0 .LBB151_895
; %bb.887:
	s_cmp_gt_i32 s30, 28
	s_cbranch_scc0 .LBB151_896
; %bb.888:
	;; [unrolled: 3-line block ×4, first 2 shown]
	s_cmp_eq_u32 s30, 46
	s_mov_b32 s53, 0
	s_cbranch_scc0 .LBB151_899
; %bb.891:
	global_load_b32 v1, v[8:9], off
	s_mov_b32 s31, -1
	s_mov_b32 s1, 0
	s_wait_loadcnt 0x0
	v_and_b32_e32 v5, 0xffff0000, v1
	v_lshlrev_b32_e32 v4, 16, v1
	s_branch .LBB151_901
.LBB151_892:
	s_mov_b32 s57, 0
	s_mov_b32 s0, s48
	;; [unrolled: 1-line block ×4, first 2 shown]
.LBB151_893:
                                        ; implicit-def: $vgpr0
	s_branch .LBB151_1282
.LBB151_894:
	s_mov_b32 s30, -1
	s_mov_b32 s31, 0
	s_mov_b32 s1, s50
                                        ; implicit-def: $vgpr5
	s_branch .LBB151_965
.LBB151_895:
	s_mov_b32 s53, -1
	s_mov_b32 s31, 0
	s_mov_b32 s1, s50
                                        ; implicit-def: $vgpr5
	s_branch .LBB151_930
.LBB151_896:
	s_mov_b32 s53, -1
	s_mov_b32 s31, 0
	s_mov_b32 s1, s50
                                        ; implicit-def: $vgpr5
	s_branch .LBB151_913
.LBB151_897:
	s_mov_b32 s53, -1
	s_mov_b32 s31, 0
	s_mov_b32 s1, s50
                                        ; implicit-def: $vgpr5
	s_branch .LBB151_907
.LBB151_898:
	s_mov_b32 s53, -1
	s_mov_b32 s31, 0
	s_mov_b32 s1, s50
	s_branch .LBB151_900
.LBB151_899:
	s_mov_b32 s1, -1
	s_mov_b32 s31, 0
.LBB151_900:
                                        ; implicit-def: $vgpr5
.LBB151_901:
	s_and_b32 vcc_lo, exec_lo, s53
	s_cbranch_vccz .LBB151_906
; %bb.902:
	s_cmp_eq_u32 s30, 44
	s_cbranch_scc0 .LBB151_904
; %bb.903:
	global_load_u8 v1, v[8:9], off
	s_mov_b32 s1, 0
	s_mov_b32 s31, -1
	s_wait_loadcnt 0x0
	v_lshlrev_b32_e32 v3, 23, v1
	v_cmp_ne_u32_e32 vcc_lo, 0xff, v1
	s_delay_alu instid0(VALU_DEP_2) | instskip(SKIP_1) | instid1(VALU_DEP_2)
	v_cndmask_b32_e32 v3, 0x7f800001, v3, vcc_lo
	v_cmp_ne_u32_e32 vcc_lo, 0, v1
	v_cndmask_b32_e32 v4, 0x400000, v3, vcc_lo
	s_branch .LBB151_905
.LBB151_904:
	s_mov_b32 s1, -1
                                        ; implicit-def: $vgpr4
.LBB151_905:
	v_mov_b32_e32 v5, 0
.LBB151_906:
	s_mov_b32 s53, 0
.LBB151_907:
	s_delay_alu instid0(SALU_CYCLE_1)
	s_and_b32 vcc_lo, exec_lo, s53
	s_cbranch_vccz .LBB151_912
; %bb.908:
	s_cmp_eq_u32 s30, 29
	s_cbranch_scc0 .LBB151_910
; %bb.909:
	global_load_b64 v[4:5], v[8:9], off
	s_mov_b32 s31, -1
	s_mov_b32 s1, 0
	s_wait_loadcnt 0x0
	v_clz_i32_u32_e32 v1, v5
	s_delay_alu instid0(VALU_DEP_1) | instskip(NEXT) | instid1(VALU_DEP_1)
	v_min_u32_e32 v1, 32, v1
	v_lshlrev_b64_e32 v[4:5], v1, v[4:5]
	v_sub_nc_u32_e32 v1, 32, v1
	s_delay_alu instid0(VALU_DEP_2) | instskip(NEXT) | instid1(VALU_DEP_1)
	v_min_u32_e32 v3, 1, v4
	v_or_b32_e32 v3, v5, v3
	s_delay_alu instid0(VALU_DEP_1) | instskip(NEXT) | instid1(VALU_DEP_1)
	v_cvt_f32_u32_e32 v3, v3
	v_ldexp_f32 v4, v3, v1
	s_branch .LBB151_911
.LBB151_910:
	s_mov_b32 s1, -1
                                        ; implicit-def: $vgpr4
.LBB151_911:
	v_mov_b32_e32 v5, 0
.LBB151_912:
	s_mov_b32 s53, 0
.LBB151_913:
	s_delay_alu instid0(SALU_CYCLE_1)
	s_and_b32 vcc_lo, exec_lo, s53
	s_cbranch_vccz .LBB151_929
; %bb.914:
	s_cmp_lt_i32 s30, 27
	s_cbranch_scc1 .LBB151_917
; %bb.915:
	s_cmp_gt_i32 s30, 27
	s_cbranch_scc0 .LBB151_918
; %bb.916:
	global_load_b32 v1, v[8:9], off
	s_mov_b32 s31, 0
	s_wait_loadcnt 0x0
	v_cvt_f32_u32_e32 v4, v1
	s_branch .LBB151_919
.LBB151_917:
	s_mov_b32 s31, -1
                                        ; implicit-def: $vgpr4
	s_branch .LBB151_922
.LBB151_918:
	s_mov_b32 s31, -1
                                        ; implicit-def: $vgpr4
.LBB151_919:
	s_delay_alu instid0(SALU_CYCLE_1)
	s_and_not1_b32 vcc_lo, exec_lo, s31
	s_cbranch_vccnz .LBB151_921
; %bb.920:
	global_load_u16 v1, v[8:9], off
	s_wait_loadcnt 0x0
	v_cvt_f32_u32_e32 v4, v1
.LBB151_921:
	s_mov_b32 s31, 0
.LBB151_922:
	s_delay_alu instid0(SALU_CYCLE_1)
	s_and_not1_b32 vcc_lo, exec_lo, s31
	s_cbranch_vccnz .LBB151_928
; %bb.923:
	global_load_u8 v1, v[8:9], off
	s_mov_b32 s31, 0
	s_mov_b32 s53, exec_lo
	s_wait_loadcnt 0x0
	v_cmpx_lt_i16_e32 0x7f, v1
	s_xor_b32 s53, exec_lo, s53
	s_cbranch_execnz .LBB151_941
; %bb.924:
	s_or_saveexec_b32 s53, s53
	v_mov_b32_e32 v4, 0x7f800001
	s_xor_b32 exec_lo, exec_lo, s53
	s_cbranch_execnz .LBB151_944
.LBB151_925:
	s_or_b32 exec_lo, exec_lo, s53
	s_and_saveexec_b32 s53, s31
	s_cbranch_execz .LBB151_927
.LBB151_926:
	v_and_b32_e32 v3, 0xffff, v1
	s_delay_alu instid0(VALU_DEP_1) | instskip(SKIP_1) | instid1(VALU_DEP_2)
	v_and_b32_e32 v4, 7, v3
	v_bfe_u32 v10, v3, 3, 4
	v_clz_i32_u32_e32 v5, v4
	s_delay_alu instid0(VALU_DEP_2) | instskip(NEXT) | instid1(VALU_DEP_2)
	v_cmp_eq_u32_e32 vcc_lo, 0, v10
	v_min_u32_e32 v5, 32, v5
	s_delay_alu instid0(VALU_DEP_1) | instskip(NEXT) | instid1(VALU_DEP_1)
	v_subrev_nc_u32_e32 v7, 28, v5
	v_dual_lshlrev_b32 v3, v7, v3 :: v_dual_sub_nc_u32 v5, 29, v5
	s_delay_alu instid0(VALU_DEP_1) | instskip(NEXT) | instid1(VALU_DEP_1)
	v_dual_lshlrev_b32 v1, 24, v1 :: v_dual_bitop2_b32 v3, 7, v3 bitop3:0x40
	v_dual_cndmask_b32 v3, v4, v3, vcc_lo :: v_dual_cndmask_b32 v5, v10, v5, vcc_lo
	s_delay_alu instid0(VALU_DEP_2) | instskip(NEXT) | instid1(VALU_DEP_2)
	v_and_b32_e32 v1, 0x80000000, v1
	v_lshlrev_b32_e32 v3, 20, v3
	s_delay_alu instid0(VALU_DEP_3) | instskip(NEXT) | instid1(VALU_DEP_1)
	v_lshl_add_u32 v4, v5, 23, 0x3b800000
	v_or3_b32 v4, v1, v4, v3
.LBB151_927:
	s_or_b32 exec_lo, exec_lo, s53
.LBB151_928:
	v_mov_b32_e32 v5, 0
	s_mov_b32 s31, -1
.LBB151_929:
	s_mov_b32 s53, 0
.LBB151_930:
	s_delay_alu instid0(SALU_CYCLE_1)
	s_and_b32 vcc_lo, exec_lo, s53
	s_cbranch_vccz .LBB151_964
; %bb.931:
	s_cmp_gt_i32 s30, 22
	s_cbranch_scc0 .LBB151_939
; %bb.932:
	s_cmp_lt_i32 s30, 24
	s_cbranch_scc1 .LBB151_940
; %bb.933:
	s_cmp_gt_i32 s30, 24
	s_cbranch_scc0 .LBB151_945
; %bb.934:
	global_load_u8 v1, v[8:9], off
	s_mov_b32 s31, 0
	s_mov_b32 s53, exec_lo
	s_wait_loadcnt 0x0
	v_cmpx_lt_i16_e32 0x7f, v1
	s_xor_b32 s53, exec_lo, s53
	s_cbranch_execnz .LBB151_1028
; %bb.935:
	s_or_saveexec_b32 s53, s53
	v_mov_b32_e32 v4, 0x7f800001
	s_xor_b32 exec_lo, exec_lo, s53
	s_cbranch_execnz .LBB151_1031
.LBB151_936:
	s_or_b32 exec_lo, exec_lo, s53
	s_and_saveexec_b32 s53, s31
	s_cbranch_execz .LBB151_938
.LBB151_937:
	v_and_b32_e32 v3, 0xffff, v1
	s_delay_alu instid0(VALU_DEP_1) | instskip(SKIP_1) | instid1(VALU_DEP_2)
	v_and_b32_e32 v4, 3, v3
	v_bfe_u32 v10, v3, 2, 5
	v_clz_i32_u32_e32 v5, v4
	s_delay_alu instid0(VALU_DEP_2) | instskip(NEXT) | instid1(VALU_DEP_2)
	v_cmp_eq_u32_e32 vcc_lo, 0, v10
	v_min_u32_e32 v5, 32, v5
	s_delay_alu instid0(VALU_DEP_1) | instskip(NEXT) | instid1(VALU_DEP_1)
	v_subrev_nc_u32_e32 v7, 29, v5
	v_dual_lshlrev_b32 v3, v7, v3 :: v_dual_sub_nc_u32 v5, 30, v5
	s_delay_alu instid0(VALU_DEP_1) | instskip(NEXT) | instid1(VALU_DEP_1)
	v_dual_lshlrev_b32 v1, 24, v1 :: v_dual_bitop2_b32 v3, 3, v3 bitop3:0x40
	v_dual_cndmask_b32 v3, v4, v3, vcc_lo :: v_dual_cndmask_b32 v5, v10, v5, vcc_lo
	s_delay_alu instid0(VALU_DEP_2) | instskip(NEXT) | instid1(VALU_DEP_2)
	v_and_b32_e32 v1, 0x80000000, v1
	v_lshlrev_b32_e32 v3, 21, v3
	s_delay_alu instid0(VALU_DEP_3) | instskip(NEXT) | instid1(VALU_DEP_1)
	v_lshl_add_u32 v4, v5, 23, 0x37800000
	v_or3_b32 v4, v1, v4, v3
.LBB151_938:
	s_or_b32 exec_lo, exec_lo, s53
	s_mov_b32 s31, 0
	s_branch .LBB151_946
.LBB151_939:
	s_mov_b32 s53, -1
                                        ; implicit-def: $vgpr4
	s_branch .LBB151_952
.LBB151_940:
	s_mov_b32 s31, -1
                                        ; implicit-def: $vgpr4
	s_branch .LBB151_949
.LBB151_941:
	s_mov_b32 s31, -1
	s_mov_b32 s54, exec_lo
	v_cmpx_eq_u16_e32 0x80, v1
; %bb.942:
	s_xor_b32 s31, exec_lo, -1
; %bb.943:
	s_or_b32 exec_lo, exec_lo, s54
	s_delay_alu instid0(SALU_CYCLE_1)
	s_and_b32 s31, s31, exec_lo
	s_or_saveexec_b32 s53, s53
	v_mov_b32_e32 v4, 0x7f800001
	s_xor_b32 exec_lo, exec_lo, s53
	s_cbranch_execz .LBB151_925
.LBB151_944:
	v_cmp_ne_u16_e32 vcc_lo, 0, v1
	v_mov_b32_e32 v4, 0
	s_and_not1_b32 s31, s31, exec_lo
	s_and_b32 s54, vcc_lo, exec_lo
	s_delay_alu instid0(SALU_CYCLE_1)
	s_or_b32 s31, s31, s54
	s_or_b32 exec_lo, exec_lo, s53
	s_and_saveexec_b32 s53, s31
	s_cbranch_execnz .LBB151_926
	s_branch .LBB151_927
.LBB151_945:
	s_mov_b32 s31, -1
                                        ; implicit-def: $vgpr4
.LBB151_946:
	s_delay_alu instid0(SALU_CYCLE_1)
	s_and_b32 vcc_lo, exec_lo, s31
	s_cbranch_vccz .LBB151_948
; %bb.947:
	global_load_u8 v1, v[8:9], off
	s_wait_loadcnt 0x0
	v_lshlrev_b32_e32 v1, 24, v1
	s_delay_alu instid0(VALU_DEP_1) | instskip(NEXT) | instid1(VALU_DEP_1)
	v_and_b32_e32 v3, 0x7f000000, v1
	v_clz_i32_u32_e32 v4, v3
	v_add_nc_u32_e32 v7, 0x1000000, v3
	v_cmp_ne_u32_e32 vcc_lo, 0, v3
	s_delay_alu instid0(VALU_DEP_3) | instskip(NEXT) | instid1(VALU_DEP_1)
	v_min_u32_e32 v4, 32, v4
	v_sub_nc_u32_e64 v4, v4, 4 clamp
	s_delay_alu instid0(VALU_DEP_1) | instskip(NEXT) | instid1(VALU_DEP_1)
	v_dual_lshlrev_b32 v5, v4, v3 :: v_dual_lshlrev_b32 v4, 23, v4
	v_lshrrev_b32_e32 v5, 4, v5
	s_delay_alu instid0(VALU_DEP_1) | instskip(NEXT) | instid1(VALU_DEP_1)
	v_dual_sub_nc_u32 v4, v5, v4 :: v_dual_ashrrev_i32 v5, 8, v7
	v_add_nc_u32_e32 v4, 0x3c000000, v4
	s_delay_alu instid0(VALU_DEP_1) | instskip(NEXT) | instid1(VALU_DEP_1)
	v_and_or_b32 v4, 0x7f800000, v5, v4
	v_cndmask_b32_e32 v3, 0, v4, vcc_lo
	s_delay_alu instid0(VALU_DEP_1)
	v_and_or_b32 v4, 0x80000000, v1, v3
.LBB151_948:
	s_mov_b32 s31, 0
.LBB151_949:
	s_delay_alu instid0(SALU_CYCLE_1)
	s_and_not1_b32 vcc_lo, exec_lo, s31
	s_cbranch_vccnz .LBB151_951
; %bb.950:
	global_load_u8 v1, v[8:9], off
	s_wait_loadcnt 0x0
	v_lshlrev_b32_e32 v3, 25, v1
	v_lshlrev_b16 v1, 8, v1
	s_delay_alu instid0(VALU_DEP_1) | instskip(NEXT) | instid1(VALU_DEP_3)
	v_and_or_b32 v5, 0x7f00, v1, 0.5
	v_lshrrev_b32_e32 v4, 4, v3
	v_bfe_i32 v1, v1, 0, 16
	s_delay_alu instid0(VALU_DEP_3) | instskip(NEXT) | instid1(VALU_DEP_3)
	v_add_f32_e32 v5, -0.5, v5
	v_or_b32_e32 v4, 0x70000000, v4
	s_delay_alu instid0(VALU_DEP_1) | instskip(SKIP_1) | instid1(VALU_DEP_2)
	v_mul_f32_e32 v4, 0x7800000, v4
	v_cmp_gt_u32_e32 vcc_lo, 0x8000000, v3
	v_cndmask_b32_e32 v3, v4, v5, vcc_lo
	s_delay_alu instid0(VALU_DEP_1)
	v_and_or_b32 v4, 0x80000000, v1, v3
.LBB151_951:
	s_mov_b32 s53, 0
	s_mov_b32 s31, -1
.LBB151_952:
	s_and_not1_b32 vcc_lo, exec_lo, s53
	s_cbranch_vccnz .LBB151_963
; %bb.953:
	s_cmp_gt_i32 s30, 14
	s_cbranch_scc0 .LBB151_956
; %bb.954:
	s_cmp_eq_u32 s30, 15
	s_cbranch_scc0 .LBB151_957
; %bb.955:
	global_load_u16 v1, v[8:9], off
	s_mov_b32 s31, -1
	s_mov_b32 s1, 0
	s_wait_loadcnt 0x0
	v_lshlrev_b32_e32 v4, 16, v1
	s_branch .LBB151_958
.LBB151_956:
	s_mov_b32 s53, -1
                                        ; implicit-def: $vgpr4
	s_branch .LBB151_959
.LBB151_957:
	s_mov_b32 s1, -1
                                        ; implicit-def: $vgpr4
.LBB151_958:
	s_mov_b32 s53, 0
.LBB151_959:
	s_delay_alu instid0(SALU_CYCLE_1)
	s_and_b32 vcc_lo, exec_lo, s53
	s_cbranch_vccz .LBB151_963
; %bb.960:
	s_cmp_eq_u32 s30, 11
	s_cbranch_scc0 .LBB151_962
; %bb.961:
	global_load_u8 v1, v[8:9], off
	s_mov_b32 s1, 0
	s_mov_b32 s31, -1
	v_mov_b32_e32 v5, 0
	s_wait_loadcnt 0x0
	v_cmp_ne_u16_e32 vcc_lo, 0, v1
	v_cndmask_b32_e64 v4, 0, 1.0, vcc_lo
	s_branch .LBB151_964
.LBB151_962:
	s_mov_b32 s1, -1
                                        ; implicit-def: $vgpr4
.LBB151_963:
	v_mov_b32_e32 v5, 0
.LBB151_964:
	s_mov_b32 s30, 0
.LBB151_965:
	s_delay_alu instid0(SALU_CYCLE_1)
	s_and_b32 vcc_lo, exec_lo, s30
	s_cbranch_vccz .LBB151_1016
; %bb.966:
	s_and_b32 s0, 0xffff, s0
	s_delay_alu instid0(SALU_CYCLE_1)
	s_cmp_lt_i32 s0, 5
	s_cbranch_scc1 .LBB151_971
; %bb.967:
	s_cmp_lt_i32 s0, 8
	s_cbranch_scc1 .LBB151_972
; %bb.968:
	;; [unrolled: 3-line block ×3, first 2 shown]
	s_cmp_gt_i32 s0, 9
	s_cbranch_scc0 .LBB151_974
; %bb.970:
	global_load_b128 v[10:13], v[8:9], off
	s_mov_b32 s30, 0
	s_wait_loadcnt 0x0
	v_cvt_f32_f64_e32 v4, v[10:11]
	v_cvt_f32_f64_e32 v5, v[12:13]
	s_branch .LBB151_975
.LBB151_971:
	s_mov_b32 s30, -1
                                        ; implicit-def: $vgpr5
	s_branch .LBB151_994
.LBB151_972:
	s_mov_b32 s30, -1
                                        ; implicit-def: $vgpr5
	s_branch .LBB151_981
.LBB151_973:
	s_mov_b32 s30, -1
                                        ; implicit-def: $vgpr5
	s_branch .LBB151_978
.LBB151_974:
	s_mov_b32 s30, -1
                                        ; implicit-def: $vgpr5
.LBB151_975:
	s_delay_alu instid0(SALU_CYCLE_1)
	s_and_not1_b32 vcc_lo, exec_lo, s30
	s_cbranch_vccnz .LBB151_977
; %bb.976:
	global_load_b64 v[4:5], v[8:9], off
.LBB151_977:
	s_mov_b32 s30, 0
.LBB151_978:
	s_delay_alu instid0(SALU_CYCLE_1)
	s_and_not1_b32 vcc_lo, exec_lo, s30
	s_cbranch_vccnz .LBB151_980
; %bb.979:
	global_load_b32 v1, v[8:9], off
	s_wait_loadcnt 0x0
	v_lshrrev_b32_e32 v3, 16, v1
	v_cvt_f32_f16_e32 v4, v1
	s_delay_alu instid0(VALU_DEP_2)
	v_cvt_f32_f16_e32 v5, v3
.LBB151_980:
	s_mov_b32 s30, 0
.LBB151_981:
	s_delay_alu instid0(SALU_CYCLE_1)
	s_and_not1_b32 vcc_lo, exec_lo, s30
	s_cbranch_vccnz .LBB151_993
; %bb.982:
	s_cmp_lt_i32 s0, 6
	s_cbranch_scc1 .LBB151_985
; %bb.983:
	s_cmp_gt_i32 s0, 6
	s_cbranch_scc0 .LBB151_986
; %bb.984:
	s_wait_loadcnt 0x0
	global_load_b64 v[4:5], v[8:9], off
	s_mov_b32 s30, 0
	s_wait_loadcnt 0x0
	v_cvt_f32_f64_e32 v4, v[4:5]
	s_branch .LBB151_987
.LBB151_985:
	s_mov_b32 s30, -1
                                        ; implicit-def: $vgpr4
	s_branch .LBB151_990
.LBB151_986:
	s_mov_b32 s30, -1
                                        ; implicit-def: $vgpr4
.LBB151_987:
	s_delay_alu instid0(SALU_CYCLE_1)
	s_and_not1_b32 vcc_lo, exec_lo, s30
	s_cbranch_vccnz .LBB151_989
; %bb.988:
	s_wait_loadcnt 0x0
	global_load_b32 v4, v[8:9], off
.LBB151_989:
	s_mov_b32 s30, 0
.LBB151_990:
	s_delay_alu instid0(SALU_CYCLE_1)
	s_and_not1_b32 vcc_lo, exec_lo, s30
	s_cbranch_vccnz .LBB151_992
; %bb.991:
	global_load_u16 v1, v[8:9], off
	s_wait_loadcnt 0x0
	v_cvt_f32_f16_e32 v4, v1
.LBB151_992:
	s_wait_loadcnt 0x0
	v_mov_b32_e32 v5, 0
.LBB151_993:
	s_mov_b32 s30, 0
.LBB151_994:
	s_delay_alu instid0(SALU_CYCLE_1)
	s_and_not1_b32 vcc_lo, exec_lo, s30
	s_cbranch_vccnz .LBB151_1015
; %bb.995:
	s_cmp_lt_i32 s0, 2
	s_cbranch_scc1 .LBB151_999
; %bb.996:
	s_cmp_lt_i32 s0, 3
	s_cbranch_scc1 .LBB151_1000
; %bb.997:
	s_cmp_gt_i32 s0, 3
	s_cbranch_scc0 .LBB151_1001
; %bb.998:
	s_wait_loadcnt 0x0
	global_load_b64 v[4:5], v[8:9], off
	s_mov_b32 s30, 0
	s_wait_loadcnt 0x0
	v_xor_b32_e32 v1, v4, v5
	v_cls_i32_e32 v3, v5
	s_delay_alu instid0(VALU_DEP_2) | instskip(NEXT) | instid1(VALU_DEP_1)
	v_ashrrev_i32_e32 v1, 31, v1
	v_add_nc_u32_e32 v1, 32, v1
	s_delay_alu instid0(VALU_DEP_1) | instskip(NEXT) | instid1(VALU_DEP_1)
	v_add_min_u32_e64 v1, v3, -1, v1
	v_lshlrev_b64_e32 v[4:5], v1, v[4:5]
	v_sub_nc_u32_e32 v1, 32, v1
	s_delay_alu instid0(VALU_DEP_2) | instskip(NEXT) | instid1(VALU_DEP_1)
	v_min_u32_e32 v3, 1, v4
	v_or_b32_e32 v3, v5, v3
	s_delay_alu instid0(VALU_DEP_1) | instskip(NEXT) | instid1(VALU_DEP_1)
	v_cvt_f32_i32_e32 v3, v3
	v_ldexp_f32 v4, v3, v1
	s_branch .LBB151_1002
.LBB151_999:
	s_mov_b32 s30, -1
                                        ; implicit-def: $vgpr4
	s_branch .LBB151_1008
.LBB151_1000:
	s_mov_b32 s30, -1
                                        ; implicit-def: $vgpr4
	s_branch .LBB151_1005
.LBB151_1001:
	s_mov_b32 s30, -1
                                        ; implicit-def: $vgpr4
.LBB151_1002:
	s_delay_alu instid0(SALU_CYCLE_1)
	s_and_not1_b32 vcc_lo, exec_lo, s30
	s_cbranch_vccnz .LBB151_1004
; %bb.1003:
	global_load_b32 v1, v[8:9], off
	s_wait_loadcnt 0x0
	v_cvt_f32_i32_e32 v4, v1
.LBB151_1004:
	s_mov_b32 s30, 0
.LBB151_1005:
	s_delay_alu instid0(SALU_CYCLE_1)
	s_and_not1_b32 vcc_lo, exec_lo, s30
	s_cbranch_vccnz .LBB151_1007
; %bb.1006:
	global_load_i16 v1, v[8:9], off
	s_wait_loadcnt 0x0
	v_cvt_f32_i32_e32 v4, v1
.LBB151_1007:
	s_mov_b32 s30, 0
.LBB151_1008:
	s_delay_alu instid0(SALU_CYCLE_1)
	s_and_not1_b32 vcc_lo, exec_lo, s30
	s_cbranch_vccnz .LBB151_1014
; %bb.1009:
	s_cmp_gt_i32 s0, 0
	s_mov_b32 s0, 0
	s_cbranch_scc0 .LBB151_1011
; %bb.1010:
	global_load_i8 v1, v[8:9], off
	s_wait_loadcnt 0x0
	v_cvt_f32_i32_e32 v4, v1
	s_branch .LBB151_1012
.LBB151_1011:
	s_mov_b32 s0, -1
                                        ; implicit-def: $vgpr4
.LBB151_1012:
	s_delay_alu instid0(SALU_CYCLE_1)
	s_and_not1_b32 vcc_lo, exec_lo, s0
	s_cbranch_vccnz .LBB151_1014
; %bb.1013:
	global_load_u8 v1, v[8:9], off
	s_wait_loadcnt 0x0
	v_cvt_f32_ubyte0_e32 v4, v1
.LBB151_1014:
	s_wait_loadcnt 0x0
	v_mov_b32_e32 v5, 0
.LBB151_1015:
	s_mov_b32 s31, -1
.LBB151_1016:
	s_mov_b32 s30, 0
	s_mov_b32 s0, s48
	s_and_not1_b32 vcc_lo, exec_lo, s31
	s_mov_b32 s31, s49
	s_mov_b32 s57, 0
	s_cbranch_vccnz .LBB151_1282
; %bb.1017:
	v_mov_b32_e32 v7, 0
	s_and_b32 s0, 0xffff, s9
	s_delay_alu instid0(SALU_CYCLE_1) | instskip(NEXT) | instid1(VALU_DEP_1)
	s_cmp_lt_i32 s0, 11
	v_add_nc_u64_e32 v[6:7], s[6:7], v[6:7]
	s_cbranch_scc1 .LBB151_1024
; %bb.1018:
	s_cmp_gt_i32 s0, 25
	s_cbranch_scc0 .LBB151_1025
; %bb.1019:
	s_cmp_gt_i32 s0, 28
	s_cbranch_scc0 .LBB151_1026
	;; [unrolled: 3-line block ×4, first 2 shown]
; %bb.1022:
	s_cmp_eq_u32 s0, 46
	s_mov_b32 s54, 0
	s_cbranch_scc0 .LBB151_1037
; %bb.1023:
	global_load_b32 v1, v[6:7], off
	s_mov_b32 s53, -1
	s_mov_b32 s31, 0
	s_wait_loadcnt 0x0
	s_wait_xcnt 0x1
	v_and_b32_e32 v9, 0xffff0000, v1
	v_lshlrev_b32_e32 v8, 16, v1
	s_branch .LBB151_1039
.LBB151_1024:
	s_mov_b32 s54, -1
	s_mov_b32 s53, 0
	s_mov_b32 s31, s49
                                        ; implicit-def: $vgpr9
	s_branch .LBB151_1103
.LBB151_1025:
	s_mov_b32 s54, -1
	s_mov_b32 s53, 0
	s_mov_b32 s31, s49
                                        ; implicit-def: $vgpr9
	s_branch .LBB151_1068
.LBB151_1026:
	s_mov_b32 s54, -1
	s_mov_b32 s53, 0
	s_mov_b32 s31, s49
                                        ; implicit-def: $vgpr9
	s_branch .LBB151_1051
.LBB151_1027:
	s_mov_b32 s54, -1
	s_mov_b32 s53, 0
	s_mov_b32 s31, s49
                                        ; implicit-def: $vgpr9
	s_branch .LBB151_1045
.LBB151_1028:
	s_mov_b32 s31, -1
	s_mov_b32 s54, exec_lo
	v_cmpx_eq_u16_e32 0x80, v1
; %bb.1029:
	s_xor_b32 s31, exec_lo, -1
; %bb.1030:
	s_or_b32 exec_lo, exec_lo, s54
	s_delay_alu instid0(SALU_CYCLE_1)
	s_and_b32 s31, s31, exec_lo
	s_or_saveexec_b32 s53, s53
	v_mov_b32_e32 v4, 0x7f800001
	s_xor_b32 exec_lo, exec_lo, s53
	s_cbranch_execz .LBB151_936
.LBB151_1031:
	v_cmp_ne_u16_e32 vcc_lo, 0, v1
	v_mov_b32_e32 v4, 0
	s_and_not1_b32 s31, s31, exec_lo
	s_and_b32 s54, vcc_lo, exec_lo
	s_delay_alu instid0(SALU_CYCLE_1)
	s_or_b32 s31, s31, s54
	s_or_b32 exec_lo, exec_lo, s53
	s_and_saveexec_b32 s53, s31
	s_cbranch_execnz .LBB151_937
	s_branch .LBB151_938
.LBB151_1032:
	s_mov_b32 s54, -1
	s_mov_b32 s53, 0
	s_mov_b32 s31, s49
	s_branch .LBB151_1038
.LBB151_1033:
	v_bfe_u32 v1, v4, 21, 1
	s_mov_b32 s45, exec_lo
	s_delay_alu instid0(VALU_DEP_1) | instskip(NEXT) | instid1(VALU_DEP_1)
	v_add3_u32 v1, v4, v1, 0x88fffff
	v_lshrrev_b32_e32 v1, 21, v1
	s_and_not1_saveexec_b32 s47, s47
	s_cbranch_execz .LBB151_347
.LBB151_1034:
	v_add_f32_e64 v1, 0x42800000, |v4|
	s_and_not1_b32 s45, s45, exec_lo
	s_delay_alu instid0(VALU_DEP_1) | instskip(NEXT) | instid1(VALU_DEP_1)
	v_and_b32_e32 v1, 0xff, v1
	v_cmp_ne_u32_e32 vcc_lo, 0, v1
	s_and_b32 s48, vcc_lo, exec_lo
	s_delay_alu instid0(SALU_CYCLE_1)
	s_or_b32 s45, s45, s48
	s_or_b32 exec_lo, exec_lo, s47
	v_mov_b32_e32 v6, 0
	s_and_saveexec_b32 s47, s45
	s_cbranch_execnz .LBB151_348
	s_branch .LBB151_349
.LBB151_1035:
	v_bfe_u32 v1, v4, 20, 1
	s_mov_b32 s50, exec_lo
	s_delay_alu instid0(VALU_DEP_1) | instskip(NEXT) | instid1(VALU_DEP_1)
	v_add3_u32 v1, v4, v1, 0x487ffff
	v_lshrrev_b32_e32 v1, 20, v1
	s_and_not1_saveexec_b32 s52, s52
	s_cbranch_execz .LBB151_761
.LBB151_1036:
	v_add_f32_e64 v1, 0x46000000, |v4|
	s_and_not1_b32 s50, s50, exec_lo
	s_delay_alu instid0(VALU_DEP_1) | instskip(NEXT) | instid1(VALU_DEP_1)
	v_and_b32_e32 v1, 0xff, v1
	v_cmp_ne_u32_e32 vcc_lo, 0, v1
	s_and_b32 s53, vcc_lo, exec_lo
	s_delay_alu instid0(SALU_CYCLE_1)
	s_or_b32 s50, s50, s53
	s_or_b32 exec_lo, exec_lo, s52
	v_mov_b32_e32 v6, 0
	s_and_saveexec_b32 s52, s50
	s_cbranch_execnz .LBB151_762
	s_branch .LBB151_763
.LBB151_1037:
	s_mov_b32 s31, -1
	s_mov_b32 s53, 0
.LBB151_1038:
                                        ; implicit-def: $vgpr9
.LBB151_1039:
	s_and_b32 vcc_lo, exec_lo, s54
	s_cbranch_vccz .LBB151_1044
; %bb.1040:
	s_cmp_eq_u32 s0, 44
	s_cbranch_scc0 .LBB151_1042
; %bb.1041:
	global_load_u8 v1, v[6:7], off
	s_mov_b32 s31, 0
	s_mov_b32 s53, -1
	s_wait_loadcnt 0x0
	v_lshlrev_b32_e32 v3, 23, v1
	v_cmp_ne_u32_e32 vcc_lo, 0xff, v1
	s_delay_alu instid0(VALU_DEP_2) | instskip(SKIP_2) | instid1(VALU_DEP_2)
	v_cndmask_b32_e32 v3, 0x7f800001, v3, vcc_lo
	v_cmp_ne_u32_e32 vcc_lo, 0, v1
	s_wait_xcnt 0x1
	v_cndmask_b32_e32 v8, 0x400000, v3, vcc_lo
	s_branch .LBB151_1043
.LBB151_1042:
	s_mov_b32 s31, -1
                                        ; implicit-def: $vgpr8
.LBB151_1043:
	s_wait_xcnt 0x0
	v_mov_b32_e32 v9, 0
.LBB151_1044:
	s_mov_b32 s54, 0
.LBB151_1045:
	s_delay_alu instid0(SALU_CYCLE_1)
	s_and_b32 vcc_lo, exec_lo, s54
	s_cbranch_vccz .LBB151_1050
; %bb.1046:
	s_cmp_eq_u32 s0, 29
	s_cbranch_scc0 .LBB151_1048
; %bb.1047:
	global_load_b64 v[8:9], v[6:7], off
	s_mov_b32 s53, -1
	s_mov_b32 s31, 0
	s_wait_loadcnt 0x0
	v_clz_i32_u32_e32 v1, v9
	s_delay_alu instid0(VALU_DEP_1) | instskip(NEXT) | instid1(VALU_DEP_1)
	v_min_u32_e32 v1, 32, v1
	v_lshlrev_b64_e32 v[8:9], v1, v[8:9]
	v_sub_nc_u32_e32 v1, 32, v1
	s_delay_alu instid0(VALU_DEP_2) | instskip(NEXT) | instid1(VALU_DEP_1)
	v_min_u32_e32 v3, 1, v8
	v_or_b32_e32 v3, v9, v3
	s_delay_alu instid0(VALU_DEP_1) | instskip(NEXT) | instid1(VALU_DEP_1)
	v_cvt_f32_u32_e32 v3, v3
	v_ldexp_f32 v8, v3, v1
	s_branch .LBB151_1049
.LBB151_1048:
	s_mov_b32 s31, -1
                                        ; implicit-def: $vgpr8
.LBB151_1049:
	s_wait_xcnt 0x0
	v_mov_b32_e32 v9, 0
.LBB151_1050:
	s_mov_b32 s54, 0
.LBB151_1051:
	s_delay_alu instid0(SALU_CYCLE_1)
	s_and_b32 vcc_lo, exec_lo, s54
	s_cbranch_vccz .LBB151_1067
; %bb.1052:
	s_cmp_lt_i32 s0, 27
	s_cbranch_scc1 .LBB151_1055
; %bb.1053:
	s_cmp_gt_i32 s0, 27
	s_cbranch_scc0 .LBB151_1056
; %bb.1054:
	global_load_b32 v1, v[6:7], off
	s_mov_b32 s53, 0
	s_wait_loadcnt 0x0
	s_wait_xcnt 0x1
	v_cvt_f32_u32_e32 v8, v1
	s_branch .LBB151_1057
.LBB151_1055:
	s_mov_b32 s53, -1
                                        ; implicit-def: $vgpr8
	s_branch .LBB151_1060
.LBB151_1056:
	s_mov_b32 s53, -1
                                        ; implicit-def: $vgpr8
.LBB151_1057:
	s_delay_alu instid0(SALU_CYCLE_1)
	s_and_not1_b32 vcc_lo, exec_lo, s53
	s_cbranch_vccnz .LBB151_1059
; %bb.1058:
	global_load_u16 v1, v[6:7], off
	s_wait_loadcnt 0x0
	s_wait_xcnt 0x1
	v_cvt_f32_u32_e32 v8, v1
.LBB151_1059:
	s_mov_b32 s53, 0
.LBB151_1060:
	s_delay_alu instid0(SALU_CYCLE_1)
	s_and_not1_b32 vcc_lo, exec_lo, s53
	s_cbranch_vccnz .LBB151_1066
; %bb.1061:
	global_load_u8 v1, v[6:7], off
	s_mov_b32 s53, 0
	s_mov_b32 s54, exec_lo
	s_wait_loadcnt 0x0
	v_cmpx_lt_i16_e32 0x7f, v1
	s_xor_b32 s54, exec_lo, s54
	s_cbranch_execnz .LBB151_1079
; %bb.1062:
	s_or_saveexec_b32 s54, s54
	v_mov_b32_e32 v8, 0x7f800001
	s_xor_b32 exec_lo, exec_lo, s54
	s_cbranch_execnz .LBB151_1082
.LBB151_1063:
	s_or_b32 exec_lo, exec_lo, s54
	s_and_saveexec_b32 s54, s53
	s_cbranch_execz .LBB151_1065
.LBB151_1064:
	v_and_b32_e32 v3, 0xffff, v1
	s_delay_alu instid0(VALU_DEP_1) | instskip(SKIP_1) | instid1(VALU_DEP_2)
	v_and_b32_e32 v8, 7, v3
	v_bfe_u32 v11, v3, 3, 4
	v_clz_i32_u32_e32 v9, v8
	s_delay_alu instid0(VALU_DEP_2) | instskip(NEXT) | instid1(VALU_DEP_2)
	v_cmp_eq_u32_e32 vcc_lo, 0, v11
	v_min_u32_e32 v9, 32, v9
	s_delay_alu instid0(VALU_DEP_1) | instskip(NEXT) | instid1(VALU_DEP_1)
	v_subrev_nc_u32_e32 v10, 28, v9
	v_dual_lshlrev_b32 v3, v10, v3 :: v_dual_sub_nc_u32 v9, 29, v9
	s_delay_alu instid0(VALU_DEP_1) | instskip(NEXT) | instid1(VALU_DEP_1)
	v_dual_lshlrev_b32 v1, 24, v1 :: v_dual_bitop2_b32 v3, 7, v3 bitop3:0x40
	v_dual_cndmask_b32 v3, v8, v3, vcc_lo :: v_dual_cndmask_b32 v9, v11, v9, vcc_lo
	s_delay_alu instid0(VALU_DEP_2) | instskip(NEXT) | instid1(VALU_DEP_2)
	v_and_b32_e32 v1, 0x80000000, v1
	v_lshlrev_b32_e32 v3, 20, v3
	s_delay_alu instid0(VALU_DEP_3) | instskip(NEXT) | instid1(VALU_DEP_1)
	v_lshl_add_u32 v8, v9, 23, 0x3b800000
	v_or3_b32 v8, v1, v8, v3
.LBB151_1065:
	s_or_b32 exec_lo, exec_lo, s54
.LBB151_1066:
	s_wait_xcnt 0x0
	v_mov_b32_e32 v9, 0
	s_mov_b32 s53, -1
.LBB151_1067:
	s_mov_b32 s54, 0
.LBB151_1068:
	s_delay_alu instid0(SALU_CYCLE_1)
	s_and_b32 vcc_lo, exec_lo, s54
	s_cbranch_vccz .LBB151_1102
; %bb.1069:
	s_cmp_gt_i32 s0, 22
	s_cbranch_scc0 .LBB151_1077
; %bb.1070:
	s_cmp_lt_i32 s0, 24
	s_cbranch_scc1 .LBB151_1078
; %bb.1071:
	s_cmp_gt_i32 s0, 24
	s_cbranch_scc0 .LBB151_1083
; %bb.1072:
	global_load_u8 v1, v[6:7], off
	s_mov_b32 s53, 0
	s_mov_b32 s54, exec_lo
	s_wait_loadcnt 0x0
	v_cmpx_lt_i16_e32 0x7f, v1
	s_xor_b32 s54, exec_lo, s54
	s_cbranch_execnz .LBB151_1167
; %bb.1073:
	s_or_saveexec_b32 s54, s54
	v_mov_b32_e32 v8, 0x7f800001
	s_xor_b32 exec_lo, exec_lo, s54
	s_cbranch_execnz .LBB151_1170
.LBB151_1074:
	s_or_b32 exec_lo, exec_lo, s54
	s_and_saveexec_b32 s54, s53
	s_cbranch_execz .LBB151_1076
.LBB151_1075:
	v_and_b32_e32 v3, 0xffff, v1
	s_delay_alu instid0(VALU_DEP_1) | instskip(SKIP_1) | instid1(VALU_DEP_2)
	v_and_b32_e32 v8, 3, v3
	v_bfe_u32 v11, v3, 2, 5
	v_clz_i32_u32_e32 v9, v8
	s_delay_alu instid0(VALU_DEP_2) | instskip(NEXT) | instid1(VALU_DEP_2)
	v_cmp_eq_u32_e32 vcc_lo, 0, v11
	v_min_u32_e32 v9, 32, v9
	s_delay_alu instid0(VALU_DEP_1) | instskip(NEXT) | instid1(VALU_DEP_1)
	v_subrev_nc_u32_e32 v10, 29, v9
	v_dual_lshlrev_b32 v3, v10, v3 :: v_dual_sub_nc_u32 v9, 30, v9
	s_delay_alu instid0(VALU_DEP_1) | instskip(NEXT) | instid1(VALU_DEP_1)
	v_dual_lshlrev_b32 v1, 24, v1 :: v_dual_bitop2_b32 v3, 3, v3 bitop3:0x40
	v_dual_cndmask_b32 v3, v8, v3, vcc_lo :: v_dual_cndmask_b32 v9, v11, v9, vcc_lo
	s_delay_alu instid0(VALU_DEP_2) | instskip(NEXT) | instid1(VALU_DEP_2)
	v_and_b32_e32 v1, 0x80000000, v1
	v_lshlrev_b32_e32 v3, 21, v3
	s_delay_alu instid0(VALU_DEP_3) | instskip(NEXT) | instid1(VALU_DEP_1)
	v_lshl_add_u32 v8, v9, 23, 0x37800000
	v_or3_b32 v8, v1, v8, v3
.LBB151_1076:
	s_or_b32 exec_lo, exec_lo, s54
	s_mov_b32 s53, 0
	s_branch .LBB151_1084
.LBB151_1077:
	s_mov_b32 s54, -1
                                        ; implicit-def: $vgpr8
	s_branch .LBB151_1090
.LBB151_1078:
	s_mov_b32 s53, -1
                                        ; implicit-def: $vgpr8
	s_branch .LBB151_1087
.LBB151_1079:
	s_mov_b32 s53, -1
	s_mov_b32 s55, exec_lo
	v_cmpx_eq_u16_e32 0x80, v1
; %bb.1080:
	s_xor_b32 s53, exec_lo, -1
; %bb.1081:
	s_or_b32 exec_lo, exec_lo, s55
	s_delay_alu instid0(SALU_CYCLE_1)
	s_and_b32 s53, s53, exec_lo
	s_or_saveexec_b32 s54, s54
	v_mov_b32_e32 v8, 0x7f800001
	s_xor_b32 exec_lo, exec_lo, s54
	s_cbranch_execz .LBB151_1063
.LBB151_1082:
	v_cmp_ne_u16_e32 vcc_lo, 0, v1
	v_mov_b32_e32 v8, 0
	s_and_not1_b32 s53, s53, exec_lo
	s_and_b32 s55, vcc_lo, exec_lo
	s_delay_alu instid0(SALU_CYCLE_1)
	s_or_b32 s53, s53, s55
	s_or_b32 exec_lo, exec_lo, s54
	s_and_saveexec_b32 s54, s53
	s_cbranch_execnz .LBB151_1064
	s_branch .LBB151_1065
.LBB151_1083:
	s_mov_b32 s53, -1
                                        ; implicit-def: $vgpr8
.LBB151_1084:
	s_delay_alu instid0(SALU_CYCLE_1)
	s_and_b32 vcc_lo, exec_lo, s53
	s_cbranch_vccz .LBB151_1086
; %bb.1085:
	global_load_u8 v1, v[6:7], off
	s_wait_loadcnt 0x0
	v_lshlrev_b32_e32 v1, 24, v1
	s_delay_alu instid0(VALU_DEP_1) | instskip(SKIP_1) | instid1(VALU_DEP_1)
	v_and_b32_e32 v3, 0x7f000000, v1
	s_wait_xcnt 0x1
	v_clz_i32_u32_e32 v8, v3
	v_cmp_ne_u32_e32 vcc_lo, 0, v3
	v_add_nc_u32_e32 v10, 0x1000000, v3
	s_delay_alu instid0(VALU_DEP_3) | instskip(NEXT) | instid1(VALU_DEP_1)
	v_min_u32_e32 v8, 32, v8
	v_sub_nc_u32_e64 v8, v8, 4 clamp
	s_delay_alu instid0(VALU_DEP_1) | instskip(NEXT) | instid1(VALU_DEP_1)
	v_dual_lshlrev_b32 v9, v8, v3 :: v_dual_lshlrev_b32 v8, 23, v8
	v_lshrrev_b32_e32 v9, 4, v9
	s_delay_alu instid0(VALU_DEP_1) | instskip(NEXT) | instid1(VALU_DEP_1)
	v_dual_sub_nc_u32 v8, v9, v8 :: v_dual_ashrrev_i32 v9, 8, v10
	v_add_nc_u32_e32 v8, 0x3c000000, v8
	s_delay_alu instid0(VALU_DEP_1) | instskip(NEXT) | instid1(VALU_DEP_1)
	v_and_or_b32 v8, 0x7f800000, v9, v8
	v_cndmask_b32_e32 v3, 0, v8, vcc_lo
	s_delay_alu instid0(VALU_DEP_1)
	v_and_or_b32 v8, 0x80000000, v1, v3
.LBB151_1086:
	s_mov_b32 s53, 0
.LBB151_1087:
	s_delay_alu instid0(SALU_CYCLE_1)
	s_and_not1_b32 vcc_lo, exec_lo, s53
	s_cbranch_vccnz .LBB151_1089
; %bb.1088:
	global_load_u8 v1, v[6:7], off
	s_wait_loadcnt 0x0
	v_lshlrev_b32_e32 v3, 25, v1
	v_lshlrev_b16 v1, 8, v1
	s_wait_xcnt 0x1
	s_delay_alu instid0(VALU_DEP_1) | instskip(NEXT) | instid1(VALU_DEP_3)
	v_and_or_b32 v9, 0x7f00, v1, 0.5
	v_lshrrev_b32_e32 v8, 4, v3
	v_bfe_i32 v1, v1, 0, 16
	s_delay_alu instid0(VALU_DEP_3) | instskip(NEXT) | instid1(VALU_DEP_3)
	v_add_f32_e32 v9, -0.5, v9
	v_or_b32_e32 v8, 0x70000000, v8
	s_delay_alu instid0(VALU_DEP_1) | instskip(SKIP_1) | instid1(VALU_DEP_2)
	v_mul_f32_e32 v8, 0x7800000, v8
	v_cmp_gt_u32_e32 vcc_lo, 0x8000000, v3
	v_cndmask_b32_e32 v3, v8, v9, vcc_lo
	s_delay_alu instid0(VALU_DEP_1)
	v_and_or_b32 v8, 0x80000000, v1, v3
.LBB151_1089:
	s_mov_b32 s54, 0
	s_mov_b32 s53, -1
.LBB151_1090:
	s_and_not1_b32 vcc_lo, exec_lo, s54
	s_cbranch_vccnz .LBB151_1101
; %bb.1091:
	s_cmp_gt_i32 s0, 14
	s_cbranch_scc0 .LBB151_1094
; %bb.1092:
	s_cmp_eq_u32 s0, 15
	s_cbranch_scc0 .LBB151_1095
; %bb.1093:
	global_load_u16 v1, v[6:7], off
	s_mov_b32 s53, -1
	s_mov_b32 s31, 0
	s_wait_loadcnt 0x0
	s_wait_xcnt 0x1
	v_lshlrev_b32_e32 v8, 16, v1
	s_branch .LBB151_1096
.LBB151_1094:
	s_mov_b32 s54, -1
                                        ; implicit-def: $vgpr8
	s_branch .LBB151_1097
.LBB151_1095:
	s_mov_b32 s31, -1
                                        ; implicit-def: $vgpr8
.LBB151_1096:
	s_mov_b32 s54, 0
.LBB151_1097:
	s_delay_alu instid0(SALU_CYCLE_1)
	s_and_b32 vcc_lo, exec_lo, s54
	s_cbranch_vccz .LBB151_1101
; %bb.1098:
	s_cmp_eq_u32 s0, 11
	s_cbranch_scc0 .LBB151_1100
; %bb.1099:
	global_load_u8 v1, v[6:7], off
	s_mov_b32 s31, 0
	s_mov_b32 s53, -1
	s_wait_xcnt 0x1
	v_mov_b32_e32 v9, 0
	s_wait_loadcnt 0x0
	v_cmp_ne_u16_e32 vcc_lo, 0, v1
	v_cndmask_b32_e64 v8, 0, 1.0, vcc_lo
	s_branch .LBB151_1102
.LBB151_1100:
	s_mov_b32 s31, -1
                                        ; implicit-def: $vgpr8
.LBB151_1101:
	s_wait_xcnt 0x0
	v_mov_b32_e32 v9, 0
.LBB151_1102:
	s_mov_b32 s54, 0
.LBB151_1103:
	s_delay_alu instid0(SALU_CYCLE_1)
	s_and_b32 vcc_lo, exec_lo, s54
	s_cbranch_vccz .LBB151_1154
; %bb.1104:
	s_cmp_lt_i32 s0, 5
	s_cbranch_scc1 .LBB151_1109
; %bb.1105:
	s_cmp_lt_i32 s0, 8
	s_cbranch_scc1 .LBB151_1110
	;; [unrolled: 3-line block ×3, first 2 shown]
; %bb.1107:
	s_cmp_gt_i32 s0, 9
	s_cbranch_scc0 .LBB151_1112
; %bb.1108:
	global_load_b128 v[8:11], v[6:7], off
	s_mov_b32 s53, 0
	s_wait_loadcnt 0x0
	v_cvt_f32_f64_e32 v8, v[8:9]
	v_cvt_f32_f64_e32 v9, v[10:11]
	s_branch .LBB151_1113
.LBB151_1109:
	s_mov_b32 s53, -1
                                        ; implicit-def: $vgpr9
	s_branch .LBB151_1132
.LBB151_1110:
	s_mov_b32 s53, -1
                                        ; implicit-def: $vgpr9
	s_branch .LBB151_1119
.LBB151_1111:
	s_mov_b32 s53, -1
                                        ; implicit-def: $vgpr9
	s_branch .LBB151_1116
.LBB151_1112:
	s_mov_b32 s53, -1
                                        ; implicit-def: $vgpr9
.LBB151_1113:
	s_delay_alu instid0(SALU_CYCLE_1)
	s_and_not1_b32 vcc_lo, exec_lo, s53
	s_cbranch_vccnz .LBB151_1115
; %bb.1114:
	global_load_b64 v[8:9], v[6:7], off
.LBB151_1115:
	s_mov_b32 s53, 0
.LBB151_1116:
	s_delay_alu instid0(SALU_CYCLE_1)
	s_and_not1_b32 vcc_lo, exec_lo, s53
	s_cbranch_vccnz .LBB151_1118
; %bb.1117:
	global_load_b32 v1, v[6:7], off
	s_wait_loadcnt 0x0
	v_lshrrev_b32_e32 v3, 16, v1
	s_wait_xcnt 0x1
	v_cvt_f32_f16_e32 v8, v1
	s_delay_alu instid0(VALU_DEP_2)
	v_cvt_f32_f16_e32 v9, v3
.LBB151_1118:
	s_mov_b32 s53, 0
.LBB151_1119:
	s_delay_alu instid0(SALU_CYCLE_1)
	s_and_not1_b32 vcc_lo, exec_lo, s53
	s_cbranch_vccnz .LBB151_1131
; %bb.1120:
	s_cmp_lt_i32 s0, 6
	s_cbranch_scc1 .LBB151_1123
; %bb.1121:
	s_cmp_gt_i32 s0, 6
	s_cbranch_scc0 .LBB151_1124
; %bb.1122:
	s_wait_loadcnt 0x0
	global_load_b64 v[8:9], v[6:7], off
	s_mov_b32 s53, 0
	s_wait_loadcnt 0x0
	v_cvt_f32_f64_e32 v8, v[8:9]
	s_branch .LBB151_1125
.LBB151_1123:
	s_mov_b32 s53, -1
                                        ; implicit-def: $vgpr8
	s_branch .LBB151_1128
.LBB151_1124:
	s_mov_b32 s53, -1
                                        ; implicit-def: $vgpr8
.LBB151_1125:
	s_delay_alu instid0(SALU_CYCLE_1)
	s_and_not1_b32 vcc_lo, exec_lo, s53
	s_cbranch_vccnz .LBB151_1127
; %bb.1126:
	s_wait_loadcnt 0x0
	global_load_b32 v8, v[6:7], off
.LBB151_1127:
	s_mov_b32 s53, 0
.LBB151_1128:
	s_delay_alu instid0(SALU_CYCLE_1)
	s_and_not1_b32 vcc_lo, exec_lo, s53
	s_cbranch_vccnz .LBB151_1130
; %bb.1129:
	global_load_u16 v1, v[6:7], off
	s_wait_loadcnt 0x0
	s_wait_xcnt 0x1
	v_cvt_f32_f16_e32 v8, v1
.LBB151_1130:
	s_wait_loadcnt 0x0
	v_mov_b32_e32 v9, 0
.LBB151_1131:
	s_mov_b32 s53, 0
.LBB151_1132:
	s_delay_alu instid0(SALU_CYCLE_1)
	s_and_not1_b32 vcc_lo, exec_lo, s53
	s_cbranch_vccnz .LBB151_1153
; %bb.1133:
	s_cmp_lt_i32 s0, 2
	s_cbranch_scc1 .LBB151_1137
; %bb.1134:
	s_cmp_lt_i32 s0, 3
	s_cbranch_scc1 .LBB151_1138
; %bb.1135:
	s_cmp_gt_i32 s0, 3
	s_cbranch_scc0 .LBB151_1139
; %bb.1136:
	s_wait_loadcnt 0x0
	global_load_b64 v[8:9], v[6:7], off
	s_mov_b32 s53, 0
	s_wait_loadcnt 0x0
	v_xor_b32_e32 v1, v8, v9
	v_cls_i32_e32 v3, v9
	s_delay_alu instid0(VALU_DEP_2) | instskip(NEXT) | instid1(VALU_DEP_1)
	v_ashrrev_i32_e32 v1, 31, v1
	v_add_nc_u32_e32 v1, 32, v1
	s_delay_alu instid0(VALU_DEP_1) | instskip(NEXT) | instid1(VALU_DEP_1)
	v_add_min_u32_e64 v1, v3, -1, v1
	v_lshlrev_b64_e32 v[8:9], v1, v[8:9]
	v_sub_nc_u32_e32 v1, 32, v1
	s_delay_alu instid0(VALU_DEP_2) | instskip(NEXT) | instid1(VALU_DEP_1)
	v_min_u32_e32 v3, 1, v8
	v_or_b32_e32 v3, v9, v3
	s_delay_alu instid0(VALU_DEP_1) | instskip(NEXT) | instid1(VALU_DEP_1)
	v_cvt_f32_i32_e32 v3, v3
	v_ldexp_f32 v8, v3, v1
	s_branch .LBB151_1140
.LBB151_1137:
	s_mov_b32 s53, -1
                                        ; implicit-def: $vgpr8
	s_branch .LBB151_1146
.LBB151_1138:
	s_mov_b32 s53, -1
                                        ; implicit-def: $vgpr8
	s_branch .LBB151_1143
.LBB151_1139:
	s_mov_b32 s53, -1
                                        ; implicit-def: $vgpr8
.LBB151_1140:
	s_delay_alu instid0(SALU_CYCLE_1)
	s_and_not1_b32 vcc_lo, exec_lo, s53
	s_cbranch_vccnz .LBB151_1142
; %bb.1141:
	global_load_b32 v1, v[6:7], off
	s_wait_loadcnt 0x0
	s_wait_xcnt 0x1
	v_cvt_f32_i32_e32 v8, v1
.LBB151_1142:
	s_mov_b32 s53, 0
.LBB151_1143:
	s_delay_alu instid0(SALU_CYCLE_1)
	s_and_not1_b32 vcc_lo, exec_lo, s53
	s_cbranch_vccnz .LBB151_1145
; %bb.1144:
	global_load_i16 v1, v[6:7], off
	s_wait_loadcnt 0x0
	s_wait_xcnt 0x1
	v_cvt_f32_i32_e32 v8, v1
.LBB151_1145:
	s_mov_b32 s53, 0
.LBB151_1146:
	s_delay_alu instid0(SALU_CYCLE_1)
	s_and_not1_b32 vcc_lo, exec_lo, s53
	s_cbranch_vccnz .LBB151_1152
; %bb.1147:
	s_cmp_gt_i32 s0, 0
	s_mov_b32 s0, 0
	s_cbranch_scc0 .LBB151_1149
; %bb.1148:
	global_load_i8 v1, v[6:7], off
	s_wait_loadcnt 0x0
	s_wait_xcnt 0x1
	v_cvt_f32_i32_e32 v8, v1
	s_branch .LBB151_1150
.LBB151_1149:
	s_mov_b32 s0, -1
                                        ; implicit-def: $vgpr8
.LBB151_1150:
	s_delay_alu instid0(SALU_CYCLE_1)
	s_and_not1_b32 vcc_lo, exec_lo, s0
	s_cbranch_vccnz .LBB151_1152
; %bb.1151:
	global_load_u8 v1, v[6:7], off
	s_wait_loadcnt 0x0
	s_wait_xcnt 0x1
	v_cvt_f32_ubyte0_e32 v8, v1
.LBB151_1152:
	s_wait_loadcnt 0x0
	v_mov_b32_e32 v9, 0
.LBB151_1153:
	s_mov_b32 s53, -1
.LBB151_1154:
	s_delay_alu instid0(SALU_CYCLE_1)
	s_and_not1_b32 vcc_lo, exec_lo, s53
	s_cbranch_vccnz .LBB151_1162
; %bb.1155:
	s_wait_xcnt 0x0
	v_mov_b64_e32 v[6:7], s[20:21]
	s_wait_loadcnt 0x0
	s_delay_alu instid0(VALU_DEP_2) | instskip(SKIP_3) | instid1(VALU_DEP_3)
	v_dual_mov_b32 v12, v9 :: v_dual_mov_b32 v13, v8
	s_and_b32 s53, s2, 0xff
	v_mov_b32_e32 v3, 0
	s_cmp_lt_i32 s53, 11
	v_pk_mul_f32 v[10:11], v[4:5], v[6:7]
	v_pk_mul_f32 v[4:5], v[4:5], v[6:7] op_sel:[0,1] op_sel_hi:[1,0]
	s_delay_alu instid0(VALU_DEP_3) | instskip(NEXT) | instid1(VALU_DEP_3)
	v_add_nc_u64_e32 v[2:3], s[18:19], v[2:3]
	v_add_f32_e32 v6, v10, v11
	s_delay_alu instid0(VALU_DEP_3) | instskip(NEXT) | instid1(VALU_DEP_2)
	v_pk_add_f32 v[4:5], v[4:5], v[4:5] op_sel:[0,1] op_sel_hi:[0,1] neg_lo:[0,1] neg_hi:[0,1]
	v_pk_mul_f32 v[10:11], v[6:7], v[12:13] op_sel_hi:[0,1]
	s_delay_alu instid0(VALU_DEP_1) | instskip(SKIP_1) | instid1(VALU_DEP_2)
	v_pk_fma_f32 v[6:7], v[4:5], v[8:9], v[10:11]
	v_pk_fma_f32 v[4:5], v[4:5], v[8:9], v[10:11] neg_lo:[0,0,1] neg_hi:[0,0,1]
	v_mov_b32_e32 v5, v7
	s_cbranch_scc1 .LBB151_1163
; %bb.1156:
	s_and_b32 s54, 0xffff, s53
	s_delay_alu instid0(SALU_CYCLE_1)
	s_cmp_gt_i32 s54, 25
	s_cbranch_scc0 .LBB151_1164
; %bb.1157:
	s_cmp_gt_i32 s54, 28
	s_cbranch_scc0 .LBB151_1165
; %bb.1158:
	;; [unrolled: 3-line block ×4, first 2 shown]
	s_mov_b32 s56, 0
	s_mov_b32 s0, -1
	s_cmp_eq_u32 s54, 46
	s_mov_b32 s55, 0
	s_cbranch_scc0 .LBB151_1172
; %bb.1161:
	v_dual_lshrrev_b32 v1, 16, v4 :: v_dual_lshrrev_b32 v6, 16, v7
	v_cmp_o_f32_e32 vcc_lo, v4, v4
	s_mov_b32 s55, -1
	s_mov_b32 s0, 0
	s_delay_alu instid0(VALU_DEP_2) | instskip(NEXT) | instid1(VALU_DEP_1)
	v_and_b32_e32 v1, 1, v1
	v_add3_u32 v1, v4, v1, 0x7fff
	s_delay_alu instid0(VALU_DEP_1) | instskip(NEXT) | instid1(VALU_DEP_1)
	v_dual_lshrrev_b32 v1, 16, v1 :: v_dual_bitop2_b32 v6, 1, v6 bitop3:0x40
	v_add3_u32 v6, v7, v6, 0x7fff
	s_delay_alu instid0(VALU_DEP_2) | instskip(NEXT) | instid1(VALU_DEP_2)
	v_cndmask_b32_e32 v1, 0x7fc0, v1, vcc_lo
	v_and_b32_e32 v6, 0xffff0000, v6
	v_cmp_o_f32_e32 vcc_lo, v7, v7
	s_delay_alu instid0(VALU_DEP_2) | instskip(NEXT) | instid1(VALU_DEP_1)
	v_cndmask_b32_e32 v6, 0x7fc00000, v6, vcc_lo
	v_or_b32_e32 v1, v6, v1
	global_store_b32 v[2:3], v1, off
	s_branch .LBB151_1172
.LBB151_1162:
	s_mov_b32 s0, s48
	s_branch .LBB151_893
.LBB151_1163:
	s_mov_b32 s54, -1
	s_mov_b32 s55, 0
	s_mov_b32 s0, s48
	s_branch .LBB151_1241
.LBB151_1164:
	s_mov_b32 s56, -1
	s_mov_b32 s55, 0
	s_mov_b32 s0, s48
	s_branch .LBB151_1199
.LBB151_1165:
	s_mov_b32 s56, -1
	s_mov_b32 s55, 0
	s_mov_b32 s0, s48
	s_branch .LBB151_1182
.LBB151_1166:
	s_mov_b32 s56, -1
	s_mov_b32 s55, 0
	s_mov_b32 s0, s48
	s_branch .LBB151_1178
.LBB151_1167:
	s_mov_b32 s53, -1
	s_mov_b32 s55, exec_lo
	v_cmpx_eq_u16_e32 0x80, v1
; %bb.1168:
	s_xor_b32 s53, exec_lo, -1
; %bb.1169:
	s_or_b32 exec_lo, exec_lo, s55
	s_delay_alu instid0(SALU_CYCLE_1)
	s_and_b32 s53, s53, exec_lo
	s_or_saveexec_b32 s54, s54
	v_mov_b32_e32 v8, 0x7f800001
	s_xor_b32 exec_lo, exec_lo, s54
	s_cbranch_execz .LBB151_1074
.LBB151_1170:
	v_cmp_ne_u16_e32 vcc_lo, 0, v1
	v_mov_b32_e32 v8, 0
	s_and_not1_b32 s53, s53, exec_lo
	s_and_b32 s55, vcc_lo, exec_lo
	s_delay_alu instid0(SALU_CYCLE_1)
	s_or_b32 s53, s53, s55
	s_or_b32 exec_lo, exec_lo, s54
	s_and_saveexec_b32 s54, s53
	s_cbranch_execnz .LBB151_1075
	s_branch .LBB151_1076
.LBB151_1171:
	s_mov_b32 s56, -1
	s_mov_b32 s55, 0
	s_mov_b32 s0, s48
.LBB151_1172:
	s_and_b32 vcc_lo, exec_lo, s56
	s_cbranch_vccz .LBB151_1177
; %bb.1173:
	s_cmp_eq_u32 s54, 44
	s_mov_b32 s0, -1
	s_cbranch_scc0 .LBB151_1177
; %bb.1174:
	v_bfe_u32 v6, v4, 23, 8
	s_wait_xcnt 0x0
	v_mov_b32_e32 v1, 0xff
	s_mov_b32 s55, exec_lo
	s_delay_alu instid0(VALU_DEP_2)
	v_cmpx_ne_u32_e32 0xff, v6
	s_cbranch_execz .LBB151_1176
; %bb.1175:
	v_and_b32_e32 v1, 0x400000, v4
	v_and_or_b32 v6, 0x3fffff, v4, v6
	s_delay_alu instid0(VALU_DEP_2) | instskip(NEXT) | instid1(VALU_DEP_2)
	v_cmp_ne_u32_e32 vcc_lo, 0, v1
	v_cmp_ne_u32_e64 s0, 0, v6
	v_lshrrev_b32_e32 v1, 23, v4
	s_and_b32 s0, vcc_lo, s0
	s_delay_alu instid0(SALU_CYCLE_1) | instskip(NEXT) | instid1(VALU_DEP_1)
	v_cndmask_b32_e64 v6, 0, 1, s0
	v_add_nc_u32_e32 v1, v1, v6
.LBB151_1176:
	s_or_b32 exec_lo, exec_lo, s55
	s_mov_b32 s55, -1
	s_mov_b32 s0, 0
	global_store_b8 v[2:3], v1, off
.LBB151_1177:
	s_mov_b32 s56, 0
.LBB151_1178:
	s_delay_alu instid0(SALU_CYCLE_1)
	s_and_b32 vcc_lo, exec_lo, s56
	s_cbranch_vccz .LBB151_1181
; %bb.1179:
	s_cmp_eq_u32 s54, 29
	s_mov_b32 s0, -1
	s_cbranch_scc0 .LBB151_1181
; %bb.1180:
	s_wait_xcnt 0x0
	v_trunc_f32_e32 v1, v4
	s_mov_b32 s55, -1
	s_mov_b32 s0, 0
	s_mov_b32 s56, 0
	s_delay_alu instid0(VALU_DEP_1) | instskip(NEXT) | instid1(VALU_DEP_1)
	v_mul_f32_e32 v6, 0x2f800000, v1
	v_floor_f32_e32 v6, v6
	s_delay_alu instid0(VALU_DEP_1) | instskip(SKIP_1) | instid1(VALU_DEP_2)
	v_fmamk_f32 v1, v6, 0xcf800000, v1
	v_cvt_u32_f32_e32 v9, v6
	v_cvt_u32_f32_e32 v8, v1
	global_store_b64 v[2:3], v[8:9], off
	s_branch .LBB151_1182
.LBB151_1181:
	s_mov_b32 s56, 0
.LBB151_1182:
	s_delay_alu instid0(SALU_CYCLE_1)
	s_and_b32 vcc_lo, exec_lo, s56
	s_cbranch_vccz .LBB151_1198
; %bb.1183:
	s_cmp_lt_i32 s54, 27
	s_mov_b32 s55, -1
	s_cbranch_scc1 .LBB151_1189
; %bb.1184:
	s_cmp_gt_i32 s54, 27
	s_cbranch_scc0 .LBB151_1186
; %bb.1185:
	s_wait_xcnt 0x0
	v_cvt_u32_f32_e32 v1, v4
	s_mov_b32 s55, 0
	global_store_b32 v[2:3], v1, off
.LBB151_1186:
	s_and_not1_b32 vcc_lo, exec_lo, s55
	s_cbranch_vccnz .LBB151_1188
; %bb.1187:
	s_wait_xcnt 0x0
	v_cvt_u32_f32_e32 v1, v4
	global_store_b16 v[2:3], v1, off
.LBB151_1188:
	s_mov_b32 s55, 0
.LBB151_1189:
	s_delay_alu instid0(SALU_CYCLE_1)
	s_and_not1_b32 vcc_lo, exec_lo, s55
	s_cbranch_vccnz .LBB151_1197
; %bb.1190:
	s_wait_xcnt 0x0
	v_and_b32_e32 v1, 0x7fffffff, v4
	v_mov_b32_e32 v6, 0x80
	s_mov_b32 s55, exec_lo
	s_delay_alu instid0(VALU_DEP_2)
	v_cmpx_gt_u32_e32 0x43800000, v1
	s_cbranch_execz .LBB151_1196
; %bb.1191:
	v_cmp_lt_u32_e32 vcc_lo, 0x3bffffff, v1
	s_mov_b32 s56, 0
                                        ; implicit-def: $vgpr1
	s_and_saveexec_b32 s57, vcc_lo
	s_delay_alu instid0(SALU_CYCLE_1)
	s_xor_b32 s57, exec_lo, s57
	s_cbranch_execnz .LBB151_2371
; %bb.1192:
	s_and_not1_saveexec_b32 s57, s57
	s_cbranch_execnz .LBB151_2372
.LBB151_1193:
	s_or_b32 exec_lo, exec_lo, s57
	v_mov_b32_e32 v6, 0
	s_and_saveexec_b32 s57, s56
.LBB151_1194:
	v_lshrrev_b32_e32 v6, 24, v4
	s_delay_alu instid0(VALU_DEP_1)
	v_and_or_b32 v6, 0x80, v6, v1
.LBB151_1195:
	s_or_b32 exec_lo, exec_lo, s57
.LBB151_1196:
	s_delay_alu instid0(SALU_CYCLE_1)
	s_or_b32 exec_lo, exec_lo, s55
	global_store_b8 v[2:3], v6, off
.LBB151_1197:
	s_mov_b32 s55, -1
.LBB151_1198:
	s_mov_b32 s56, 0
.LBB151_1199:
	s_delay_alu instid0(SALU_CYCLE_1)
	s_and_b32 vcc_lo, exec_lo, s56
	s_cbranch_vccz .LBB151_1240
; %bb.1200:
	s_cmp_gt_i32 s54, 22
	s_mov_b32 s56, -1
	s_cbranch_scc0 .LBB151_1232
; %bb.1201:
	s_cmp_lt_i32 s54, 24
	s_mov_b32 s55, -1
	s_cbranch_scc1 .LBB151_1221
; %bb.1202:
	s_cmp_gt_i32 s54, 24
	s_cbranch_scc0 .LBB151_1210
; %bb.1203:
	s_wait_xcnt 0x0
	v_and_b32_e32 v1, 0x7fffffff, v4
	v_mov_b32_e32 v6, 0x80
	s_mov_b32 s55, exec_lo
	s_delay_alu instid0(VALU_DEP_2)
	v_cmpx_gt_u32_e32 0x47800000, v1
	s_cbranch_execz .LBB151_1209
; %bb.1204:
	v_cmp_lt_u32_e32 vcc_lo, 0x37ffffff, v1
	s_mov_b32 s56, 0
                                        ; implicit-def: $vgpr1
	s_and_saveexec_b32 s57, vcc_lo
	s_delay_alu instid0(SALU_CYCLE_1)
	s_xor_b32 s57, exec_lo, s57
	s_cbranch_execnz .LBB151_2374
; %bb.1205:
	s_and_not1_saveexec_b32 s57, s57
	s_cbranch_execnz .LBB151_2375
.LBB151_1206:
	s_or_b32 exec_lo, exec_lo, s57
	v_mov_b32_e32 v6, 0
	s_and_saveexec_b32 s57, s56
.LBB151_1207:
	v_lshrrev_b32_e32 v6, 24, v4
	s_delay_alu instid0(VALU_DEP_1)
	v_and_or_b32 v6, 0x80, v6, v1
.LBB151_1208:
	s_or_b32 exec_lo, exec_lo, s57
.LBB151_1209:
	s_delay_alu instid0(SALU_CYCLE_1)
	s_or_b32 exec_lo, exec_lo, s55
	s_mov_b32 s55, 0
	global_store_b8 v[2:3], v6, off
.LBB151_1210:
	s_and_b32 vcc_lo, exec_lo, s55
	s_cbranch_vccz .LBB151_1220
; %bb.1211:
	s_wait_xcnt 0x0
	v_and_b32_e32 v6, 0x7fffffff, v4
	s_mov_b32 s55, exec_lo
                                        ; implicit-def: $vgpr1
	s_delay_alu instid0(VALU_DEP_1)
	v_cmpx_gt_u32_e32 0x43f00000, v6
	s_xor_b32 s55, exec_lo, s55
	s_cbranch_execz .LBB151_1217
; %bb.1212:
	s_mov_b32 s56, exec_lo
                                        ; implicit-def: $vgpr1
	v_cmpx_lt_u32_e32 0x3c7fffff, v6
	s_xor_b32 s56, exec_lo, s56
; %bb.1213:
	v_bfe_u32 v1, v4, 20, 1
	s_delay_alu instid0(VALU_DEP_1) | instskip(NEXT) | instid1(VALU_DEP_1)
	v_add3_u32 v1, v4, v1, 0x407ffff
	v_and_b32_e32 v6, 0xff00000, v1
	v_lshrrev_b32_e32 v1, 20, v1
	s_delay_alu instid0(VALU_DEP_2) | instskip(NEXT) | instid1(VALU_DEP_2)
	v_cmp_ne_u32_e32 vcc_lo, 0x7f00000, v6
	v_cndmask_b32_e32 v1, 0x7e, v1, vcc_lo
; %bb.1214:
	s_and_not1_saveexec_b32 s56, s56
; %bb.1215:
	v_add_f32_e64 v1, 0x46800000, |v4|
; %bb.1216:
	s_or_b32 exec_lo, exec_lo, s56
                                        ; implicit-def: $vgpr6
.LBB151_1217:
	s_and_not1_saveexec_b32 s55, s55
; %bb.1218:
	v_mov_b32_e32 v1, 0x7f
	v_cmp_lt_u32_e32 vcc_lo, 0x7f800000, v6
	s_delay_alu instid0(VALU_DEP_2)
	v_cndmask_b32_e32 v1, 0x7e, v1, vcc_lo
; %bb.1219:
	s_or_b32 exec_lo, exec_lo, s55
	v_lshrrev_b32_e32 v6, 24, v4
	s_delay_alu instid0(VALU_DEP_1)
	v_and_or_b32 v1, 0x80, v6, v1
	global_store_b8 v[2:3], v1, off
.LBB151_1220:
	s_mov_b32 s55, 0
.LBB151_1221:
	s_delay_alu instid0(SALU_CYCLE_1)
	s_and_not1_b32 vcc_lo, exec_lo, s55
	s_cbranch_vccnz .LBB151_1231
; %bb.1222:
	s_wait_xcnt 0x0
	v_and_b32_e32 v6, 0x7fffffff, v4
	s_mov_b32 s55, exec_lo
                                        ; implicit-def: $vgpr1
	s_delay_alu instid0(VALU_DEP_1)
	v_cmpx_gt_u32_e32 0x47800000, v6
	s_xor_b32 s55, exec_lo, s55
	s_cbranch_execz .LBB151_1228
; %bb.1223:
	s_mov_b32 s56, exec_lo
                                        ; implicit-def: $vgpr1
	v_cmpx_lt_u32_e32 0x387fffff, v6
	s_xor_b32 s56, exec_lo, s56
; %bb.1224:
	v_bfe_u32 v1, v4, 21, 1
	s_delay_alu instid0(VALU_DEP_1) | instskip(NEXT) | instid1(VALU_DEP_1)
	v_add3_u32 v1, v4, v1, 0x80fffff
	v_lshrrev_b32_e32 v1, 21, v1
; %bb.1225:
	s_and_not1_saveexec_b32 s56, s56
; %bb.1226:
	v_add_f32_e64 v1, 0x43000000, |v4|
; %bb.1227:
	s_or_b32 exec_lo, exec_lo, s56
                                        ; implicit-def: $vgpr6
.LBB151_1228:
	s_and_not1_saveexec_b32 s55, s55
; %bb.1229:
	v_mov_b32_e32 v1, 0x7f
	v_cmp_lt_u32_e32 vcc_lo, 0x7f800000, v6
	s_delay_alu instid0(VALU_DEP_2)
	v_cndmask_b32_e32 v1, 0x7c, v1, vcc_lo
; %bb.1230:
	s_or_b32 exec_lo, exec_lo, s55
	v_lshrrev_b32_e32 v6, 24, v4
	s_delay_alu instid0(VALU_DEP_1)
	v_and_or_b32 v1, 0x80, v6, v1
	global_store_b8 v[2:3], v1, off
.LBB151_1231:
	s_mov_b32 s56, 0
	s_mov_b32 s55, -1
.LBB151_1232:
	s_and_not1_b32 vcc_lo, exec_lo, s56
	s_cbranch_vccnz .LBB151_1240
; %bb.1233:
	s_cmp_gt_i32 s54, 14
	s_mov_b32 s56, -1
	s_cbranch_scc0 .LBB151_1237
; %bb.1234:
	s_cmp_eq_u32 s54, 15
	s_mov_b32 s0, -1
	s_cbranch_scc0 .LBB151_1236
; %bb.1235:
	s_wait_xcnt 0x0
	v_bfe_u32 v1, v4, 16, 1
	v_cmp_o_f32_e32 vcc_lo, v4, v4
	s_mov_b32 s55, -1
	s_mov_b32 s0, 0
	s_delay_alu instid0(VALU_DEP_2) | instskip(NEXT) | instid1(VALU_DEP_1)
	v_add3_u32 v1, v4, v1, 0x7fff
	v_lshrrev_b32_e32 v1, 16, v1
	s_delay_alu instid0(VALU_DEP_1)
	v_cndmask_b32_e32 v1, 0x7fc0, v1, vcc_lo
	global_store_b16 v[2:3], v1, off
.LBB151_1236:
	s_mov_b32 s56, 0
.LBB151_1237:
	s_delay_alu instid0(SALU_CYCLE_1)
	s_and_b32 vcc_lo, exec_lo, s56
	s_cbranch_vccz .LBB151_1240
; %bb.1238:
	s_cmp_eq_u32 s54, 11
	s_mov_b32 s0, -1
	s_cbranch_scc0 .LBB151_1240
; %bb.1239:
	v_cmp_neq_f32_e32 vcc_lo, 0, v4
	v_cmp_neq_f32_e64 s0, 0, v7
	s_mov_b32 s55, -1
	s_or_b32 s0, vcc_lo, s0
	s_wait_xcnt 0x0
	v_cndmask_b32_e64 v1, 0, 1, s0
	s_mov_b32 s0, 0
	global_store_b8 v[2:3], v1, off
.LBB151_1240:
	s_mov_b32 s54, 0
.LBB151_1241:
	s_delay_alu instid0(SALU_CYCLE_1)
	s_and_b32 vcc_lo, exec_lo, s54
	s_cbranch_vccz .LBB151_1280
; %bb.1242:
	s_and_b32 s53, 0xffff, s53
	s_mov_b32 s54, -1
	s_cmp_lt_i32 s53, 5
	s_cbranch_scc1 .LBB151_1263
; %bb.1243:
	s_cmp_lt_i32 s53, 8
	s_cbranch_scc1 .LBB151_1253
; %bb.1244:
	;; [unrolled: 3-line block ×3, first 2 shown]
	s_cmp_gt_i32 s53, 9
	s_cbranch_scc0 .LBB151_1247
; %bb.1246:
	s_wait_xcnt 0x0
	v_cvt_f64_f32_e32 v[8:9], v4
	v_cvt_f64_f32_e32 v[10:11], v7
	s_mov_b32 s54, 0
	global_store_b128 v[2:3], v[8:11], off
.LBB151_1247:
	s_and_not1_b32 vcc_lo, exec_lo, s54
	s_cbranch_vccnz .LBB151_1249
; %bb.1248:
	global_store_b64 v[2:3], v[4:5], off
.LBB151_1249:
	s_mov_b32 s54, 0
.LBB151_1250:
	s_delay_alu instid0(SALU_CYCLE_1)
	s_and_not1_b32 vcc_lo, exec_lo, s54
	s_cbranch_vccnz .LBB151_1252
; %bb.1251:
	s_wait_xcnt 0x0
	v_cvt_f16_f32_e32 v1, v7
	v_cvt_f16_f32_e32 v5, v4
	s_delay_alu instid0(VALU_DEP_2) | instskip(NEXT) | instid1(VALU_DEP_2)
	v_lshlrev_b32_e32 v1, 16, v1
	v_and_b32_e32 v5, 0xffff, v5
	s_delay_alu instid0(VALU_DEP_1)
	v_or_b32_e32 v1, v1, v5
	global_store_b32 v[2:3], v1, off
.LBB151_1252:
	s_mov_b32 s54, 0
.LBB151_1253:
	s_delay_alu instid0(SALU_CYCLE_1)
	s_and_not1_b32 vcc_lo, exec_lo, s54
	s_cbranch_vccnz .LBB151_1262
; %bb.1254:
	s_cmp_lt_i32 s53, 6
	s_mov_b32 s54, -1
	s_cbranch_scc1 .LBB151_1260
; %bb.1255:
	s_cmp_gt_i32 s53, 6
	s_cbranch_scc0 .LBB151_1257
; %bb.1256:
	s_wait_xcnt 0x0
	v_cvt_f64_f32_e32 v[6:7], v4
	s_mov_b32 s54, 0
	global_store_b64 v[2:3], v[6:7], off
.LBB151_1257:
	s_and_not1_b32 vcc_lo, exec_lo, s54
	s_cbranch_vccnz .LBB151_1259
; %bb.1258:
	global_store_b32 v[2:3], v4, off
.LBB151_1259:
	s_mov_b32 s54, 0
.LBB151_1260:
	s_delay_alu instid0(SALU_CYCLE_1)
	s_and_not1_b32 vcc_lo, exec_lo, s54
	s_cbranch_vccnz .LBB151_1262
; %bb.1261:
	s_wait_xcnt 0x0
	v_cvt_f16_f32_e32 v1, v4
	global_store_b16 v[2:3], v1, off
.LBB151_1262:
	s_mov_b32 s54, 0
.LBB151_1263:
	s_delay_alu instid0(SALU_CYCLE_1)
	s_and_not1_b32 vcc_lo, exec_lo, s54
	s_cbranch_vccnz .LBB151_1279
; %bb.1264:
	s_cmp_lt_i32 s53, 2
	s_mov_b32 s54, -1
	s_cbranch_scc1 .LBB151_1274
; %bb.1265:
	s_cmp_lt_i32 s53, 3
	s_cbranch_scc1 .LBB151_1271
; %bb.1266:
	s_cmp_gt_i32 s53, 3
	s_cbranch_scc0 .LBB151_1268
; %bb.1267:
	s_wait_xcnt 0x0
	v_trunc_f32_e32 v1, v4
	s_mov_b32 s54, 0
	s_delay_alu instid0(VALU_DEP_1) | instskip(SKIP_1) | instid1(VALU_DEP_2)
	v_mul_f32_e64 v5, 0x2f800000, |v1|
	v_ashrrev_i32_e32 v6, 31, v1
	v_floor_f32_e32 v5, v5
	s_delay_alu instid0(VALU_DEP_1) | instskip(SKIP_1) | instid1(VALU_DEP_2)
	v_fma_f32 v7, 0xcf800000, v5, |v1|
	v_cvt_u32_f32_e32 v1, v5
	v_cvt_u32_f32_e32 v5, v7
	s_delay_alu instid0(VALU_DEP_2) | instskip(NEXT) | instid1(VALU_DEP_2)
	v_dual_mov_b32 v7, v6 :: v_dual_bitop2_b32 v9, v1, v6 bitop3:0x14
	v_xor_b32_e32 v8, v5, v6
	s_delay_alu instid0(VALU_DEP_1)
	v_sub_nc_u64_e32 v[6:7], v[8:9], v[6:7]
	global_store_b64 v[2:3], v[6:7], off
.LBB151_1268:
	s_and_not1_b32 vcc_lo, exec_lo, s54
	s_cbranch_vccnz .LBB151_1270
; %bb.1269:
	s_wait_xcnt 0x0
	v_cvt_i32_f32_e32 v1, v4
	global_store_b32 v[2:3], v1, off
.LBB151_1270:
	s_mov_b32 s54, 0
.LBB151_1271:
	s_delay_alu instid0(SALU_CYCLE_1)
	s_and_not1_b32 vcc_lo, exec_lo, s54
	s_cbranch_vccnz .LBB151_1273
; %bb.1272:
	s_wait_xcnt 0x0
	v_cvt_i32_f32_e32 v1, v4
	global_store_b16 v[2:3], v1, off
.LBB151_1273:
	s_mov_b32 s54, 0
.LBB151_1274:
	s_delay_alu instid0(SALU_CYCLE_1)
	s_and_not1_b32 vcc_lo, exec_lo, s54
	s_cbranch_vccnz .LBB151_1279
; %bb.1275:
	s_cmp_gt_i32 s53, 0
	s_mov_b32 s53, -1
	s_cbranch_scc0 .LBB151_1277
; %bb.1276:
	s_wait_xcnt 0x0
	v_cvt_i32_f32_e32 v1, v4
	s_mov_b32 s53, 0
	global_store_b8 v[2:3], v1, off
.LBB151_1277:
	s_and_not1_b32 vcc_lo, exec_lo, s53
	s_cbranch_vccnz .LBB151_1279
; %bb.1278:
	s_wait_xcnt 0x0
	v_trunc_f32_e32 v1, v4
	s_delay_alu instid0(VALU_DEP_1) | instskip(NEXT) | instid1(VALU_DEP_1)
	v_mul_f32_e64 v4, 0x2f800000, |v1|
	v_floor_f32_e32 v4, v4
	s_delay_alu instid0(VALU_DEP_1) | instskip(SKIP_1) | instid1(VALU_DEP_2)
	v_fma_f32 v4, 0xcf800000, v4, |v1|
	v_ashrrev_i32_e32 v1, 31, v1
	v_cvt_u32_f32_e32 v4, v4
	s_delay_alu instid0(VALU_DEP_1) | instskip(NEXT) | instid1(VALU_DEP_1)
	v_xor_b32_e32 v4, v4, v1
	v_sub_nc_u32_e32 v1, v4, v1
	global_store_b8 v[2:3], v1, off
.LBB151_1279:
	s_mov_b32 s55, -1
.LBB151_1280:
	s_delay_alu instid0(SALU_CYCLE_1)
	s_and_not1_b32 vcc_lo, exec_lo, s55
	s_cbranch_vccnz .LBB151_1303
; %bb.1281:
	v_add_nc_u32_e32 v0, 0x80, v0
	s_mov_b32 s57, -1
.LBB151_1282:
	s_and_not1_b32 s53, s48, exec_lo
	s_and_b32 s0, s0, exec_lo
	s_and_not1_b32 s54, s49, exec_lo
	s_and_b32 s31, s31, exec_lo
	s_or_b32 s56, s53, s0
	s_or_b32 s54, s54, s31
	s_and_not1_b32 s0, s50, exec_lo
	s_and_b32 s1, s1, exec_lo
	s_and_not1_b32 s31, s47, exec_lo
	s_and_b32 s30, s30, exec_lo
	s_or_b32 s55, s0, s1
	s_or_b32 s53, s31, s30
	s_or_not1_b32 s1, s57, exec_lo
.LBB151_1283:
	s_wait_xcnt 0x0
	s_or_b32 exec_lo, exec_lo, s52
	s_mov_b32 s0, 0
                                        ; implicit-def: $vgpr4
                                        ; implicit-def: $vgpr8
                                        ; implicit-def: $vgpr2
	s_and_saveexec_b32 s52, s1
	s_cbranch_execz .LBB151_1318
; %bb.1284:
	v_cmp_gt_i32_e32 vcc_lo, s40, v0
	s_mov_b32 s1, s53
                                        ; implicit-def: $vgpr4
                                        ; implicit-def: $vgpr8
                                        ; implicit-def: $vgpr2
	s_and_saveexec_b32 s40, vcc_lo
	s_cbranch_execz .LBB151_1317
; %bb.1285:
	s_and_not1_b32 vcc_lo, exec_lo, s34
	s_cbranch_vccnz .LBB151_1291
; %bb.1286:
	s_and_not1_b32 vcc_lo, exec_lo, s41
	s_cbranch_vccnz .LBB151_1292
; %bb.1287:
	v_dual_mov_b32 v2, 0 :: v_dual_mov_b32 v1, v0
	s_wait_loadcnt 0x0
	v_dual_mov_b32 v8, 0 :: v_dual_mov_b32 v4, 0
	s_add_co_i32 s30, s39, 1
	s_mov_b64 s[0:1], 0xffffffffffffffe0
	s_and_b32 s41, s30, 30
	s_add_nc_u64 s[0:1], s[16:17], s[0:1]
	s_mov_b64 s[30:31], s[16:17]
.LBB151_1288:                           ; =>This Inner Loop Header: Depth=1
	s_clause 0x1
	s_load_b128 s[60:63], s[30:31], 0x4
	s_load_b64 s[58:59], s[30:31], 0x14
	s_load_b32 s57, s[0:1], 0xe4
	s_add_co_i32 s41, s41, -2
	s_wait_xcnt 0x0
	s_add_nc_u64 s[30:31], s[30:31], 24
	s_cmp_eq_u32 s41, 0
	s_wait_kmcnt 0x0
	v_mul_hi_u32 v3, s61, v1
	s_delay_alu instid0(VALU_DEP_1) | instskip(NEXT) | instid1(VALU_DEP_1)
	v_add_nc_u32_e32 v3, v1, v3
	v_lshrrev_b32_e32 v3, s62, v3
	s_delay_alu instid0(VALU_DEP_1) | instskip(SKIP_2) | instid1(VALU_DEP_1)
	v_mul_hi_u32 v5, s58, v3
	v_mul_lo_u32 v6, v3, s60
	s_load_b96 s[60:62], s[0:1], 0xec
	v_dual_add_nc_u32 v5, v3, v5 :: v_dual_sub_nc_u32 v6, v1, v6
	s_delay_alu instid0(VALU_DEP_1) | instskip(SKIP_1) | instid1(VALU_DEP_2)
	v_lshrrev_b32_e32 v1, s59, v5
	s_load_b64 s[58:59], s[0:1], 0xfc
	v_mad_u32 v2, v6, s57, v2
	s_wait_xcnt 0x0
	s_add_nc_u64 s[0:1], s[0:1], 32
	v_mul_lo_u32 v5, v1, s63
	s_wait_kmcnt 0x0
	v_mad_u32 v4, v6, s61, v4
	v_mad_u32 v6, v6, s60, v8
	s_delay_alu instid0(VALU_DEP_3) | instskip(NEXT) | instid1(VALU_DEP_1)
	v_sub_nc_u32_e32 v3, v3, v5
	v_mad_u32 v2, v3, s62, v2
	s_delay_alu instid0(VALU_DEP_4) | instskip(NEXT) | instid1(VALU_DEP_4)
	v_mad_u32 v4, v3, s59, v4
	v_mad_u32 v8, v3, s58, v6
	s_cbranch_scc0 .LBB151_1288
; %bb.1289:
	s_bitcmp1_b32 s39, 0
	s_cselect_b32 s39, -1, 0
	s_delay_alu instid0(SALU_CYCLE_1)
	s_and_b32 vcc_lo, exec_lo, s39
	s_cbranch_vccnz .LBB151_1293
; %bb.1290:
	s_load_b96 s[60:62], s[30:31], 0x4
	s_load_b32 s39, s[0:1], 0xe4
	s_wait_xcnt 0x0
	s_load_b64 s[30:31], s[0:1], 0xec
	s_wait_kmcnt 0x0
	v_mul_hi_u32 v3, s61, v1
	s_delay_alu instid0(VALU_DEP_1) | instskip(NEXT) | instid1(VALU_DEP_1)
	v_add_nc_u32_e32 v3, v1, v3
	v_lshrrev_b32_e32 v3, s62, v3
	s_delay_alu instid0(VALU_DEP_1) | instskip(NEXT) | instid1(VALU_DEP_1)
	v_mul_lo_u32 v3, v3, s60
	v_sub_nc_u32_e32 v1, v1, v3
	s_delay_alu instid0(VALU_DEP_1)
	v_mad_u32 v2, v1, s39, v2
	v_mad_u32 v8, v1, s30, v8
	;; [unrolled: 1-line block ×3, first 2 shown]
	s_branch .LBB151_1293
.LBB151_1291:
	s_mov_b32 s0, -1
                                        ; implicit-def: $vgpr4
                                        ; implicit-def: $vgpr8
                                        ; implicit-def: $vgpr2
	s_branch .LBB151_1294
.LBB151_1292:
	s_wait_loadcnt 0x0
	v_dual_mov_b32 v4, 0 :: v_dual_mov_b32 v8, 0
	v_mov_b32_e32 v2, 0
.LBB151_1293:
	s_mov_b32 s0, 0
.LBB151_1294:
	s_delay_alu instid0(SALU_CYCLE_1)
	s_and_not1_b32 vcc_lo, exec_lo, s0
	s_cbranch_vccnz .LBB151_1297
; %bb.1295:
	v_mov_b32_e32 v1, 0
	s_and_not1_b32 vcc_lo, exec_lo, s38
	s_delay_alu instid0(VALU_DEP_1) | instskip(NEXT) | instid1(VALU_DEP_1)
	v_mul_u64_e32 v[2:3], s[22:23], v[0:1]
	v_add_nc_u32_e32 v2, v0, v3
	s_delay_alu instid0(VALU_DEP_1) | instskip(NEXT) | instid1(VALU_DEP_1)
	v_lshrrev_b32_e32 v6, s10, v2
	v_mul_lo_u32 v2, v6, s8
	s_delay_alu instid0(VALU_DEP_1) | instskip(NEXT) | instid1(VALU_DEP_1)
	v_sub_nc_u32_e32 v0, v0, v2
	v_mul_lo_u32 v2, v0, s37
	s_wait_loadcnt 0x0
	v_mul_lo_u32 v4, v0, s13
	v_mul_lo_u32 v8, v0, s12
	s_cbranch_vccnz .LBB151_1297
; %bb.1296:
	v_mov_b32_e32 v7, v1
	s_delay_alu instid0(VALU_DEP_1) | instskip(NEXT) | instid1(VALU_DEP_1)
	v_mul_u64_e32 v[0:1], s[28:29], v[6:7]
	v_add_nc_u32_e32 v0, v6, v1
	s_delay_alu instid0(VALU_DEP_1) | instskip(NEXT) | instid1(VALU_DEP_1)
	v_lshrrev_b32_e32 v0, s25, v0
	v_mul_lo_u32 v0, v0, s11
	s_delay_alu instid0(VALU_DEP_1) | instskip(NEXT) | instid1(VALU_DEP_1)
	v_sub_nc_u32_e32 v0, v6, v0
	v_mad_u32 v2, v0, s14, v2
	v_mad_u32 v8, v0, s26, v8
	;; [unrolled: 1-line block ×3, first 2 shown]
.LBB151_1297:
	s_and_b32 s8, s36, 0xff
	s_delay_alu instid0(SALU_CYCLE_1)
	s_cmp_lt_i32 s8, 23
	s_cbranch_scc1 .LBB151_1301
; %bb.1298:
	s_and_b32 s10, 0xffff, s8
	s_delay_alu instid0(SALU_CYCLE_1)
	s_cmp_gt_i32 s10, 43
	s_cbranch_scc0 .LBB151_1302
; %bb.1299:
	s_cmp_gt_i32 s10, 45
	s_cbranch_scc0 .LBB151_1304
; %bb.1300:
	s_cmp_lg_u32 s10, 46
	s_mov_b32 s11, 0
	s_cselect_b32 s0, -1, 0
	s_and_not1_b32 s1, s53, exec_lo
	s_and_b32 s12, s0, exec_lo
	s_mov_b32 s0, -1
	s_or_b32 s1, s1, s12
	s_branch .LBB151_1305
.LBB151_1301:
	s_mov_b32 s10, -1
	s_mov_b32 s0, 0
	s_mov_b32 s1, s53
	s_branch .LBB151_1311
.LBB151_1302:
	s_mov_b32 s11, -1
	s_mov_b32 s0, 0
	s_mov_b32 s1, s53
	s_branch .LBB151_1308
.LBB151_1303:
	s_mov_b32 s57, 0
	s_branch .LBB151_893
.LBB151_1304:
	s_mov_b32 s11, -1
	s_mov_b32 s0, 0
	s_mov_b32 s1, s53
.LBB151_1305:
	s_and_not1_b32 vcc_lo, exec_lo, s11
	s_cbranch_vccnz .LBB151_1307
; %bb.1306:
	s_cmp_eq_u32 s10, 44
	s_cselect_b32 s0, -1, 0
	s_cmp_lg_u32 s10, 44
	s_cselect_b32 s11, -1, 0
	s_and_not1_b32 s1, s1, exec_lo
	s_and_b32 s11, s11, exec_lo
	s_delay_alu instid0(SALU_CYCLE_1)
	s_or_b32 s1, s1, s11
.LBB151_1307:
	s_mov_b32 s11, 0
.LBB151_1308:
	s_delay_alu instid0(SALU_CYCLE_1)
	s_and_b32 vcc_lo, exec_lo, s11
	s_cbranch_vccz .LBB151_1310
; %bb.1309:
	s_cmp_lt_i32 s10, 30
	s_cselect_b32 s0, -1, 0
	s_cmp_gt_i32 s10, 29
	s_cselect_b32 s10, -1, 0
	s_and_not1_b32 s1, s1, exec_lo
	s_and_b32 s10, s10, exec_lo
	s_delay_alu instid0(SALU_CYCLE_1)
	s_or_b32 s1, s1, s10
.LBB151_1310:
	s_mov_b32 s10, 0
.LBB151_1311:
	s_delay_alu instid0(SALU_CYCLE_1)
	s_and_b32 vcc_lo, exec_lo, s10
	s_cbranch_vccz .LBB151_1316
; %bb.1312:
	s_and_b32 s8, 0xffff, s8
	s_mov_b32 s10, -1
	s_cmp_gt_i32 s8, 14
	s_cbranch_scc0 .LBB151_1314
; %bb.1313:
	s_cmp_eq_u32 s8, 15
	s_cselect_b32 s0, -1, 0
	s_cmp_lg_u32 s8, 15
	s_cselect_b32 s10, -1, 0
	s_and_not1_b32 s1, s1, exec_lo
	s_and_b32 s11, s10, exec_lo
	s_mov_b32 s10, 0
	s_or_b32 s1, s1, s11
.LBB151_1314:
	s_and_not1_b32 vcc_lo, exec_lo, s10
	s_cbranch_vccnz .LBB151_1316
; %bb.1315:
	s_cmp_lt_i32 s8, 12
	s_cselect_b32 s0, -1, 0
	s_cmp_gt_i32 s8, 11
	s_cselect_b32 s8, -1, 0
	s_and_not1_b32 s1, s1, exec_lo
	s_and_b32 s8, s8, exec_lo
	s_delay_alu instid0(SALU_CYCLE_1)
	s_or_b32 s1, s1, s8
.LBB151_1316:
	s_and_not1_b32 s8, s53, exec_lo
	s_and_b32 s1, s1, exec_lo
	s_and_b32 s0, s0, exec_lo
	s_or_b32 s1, s8, s1
.LBB151_1317:
	s_or_b32 exec_lo, exec_lo, s40
	s_delay_alu instid0(SALU_CYCLE_1)
	s_and_not1_b32 s8, s53, exec_lo
	s_and_b32 s1, s1, exec_lo
	s_and_b32 s0, s0, exec_lo
	s_or_b32 s53, s8, s1
.LBB151_1318:
	s_or_b32 exec_lo, exec_lo, s52
	s_delay_alu instid0(SALU_CYCLE_1)
	s_and_not1_b32 s1, s48, exec_lo
	s_and_b32 s8, s56, exec_lo
	s_and_not1_b32 s10, s50, exec_lo
	s_or_b32 s48, s1, s8
	s_and_not1_b32 s1, s49, exec_lo
	s_and_b32 s8, s54, exec_lo
	s_and_b32 s11, s55, exec_lo
	s_or_b32 s49, s1, s8
	s_and_not1_b32 s1, s47, exec_lo
	s_and_b32 s8, s53, exec_lo
	s_or_b32 s50, s10, s11
	s_and_b32 s0, s0, exec_lo
	s_or_b32 s47, s1, s8
.LBB151_1319:
	s_or_b32 exec_lo, exec_lo, s51
	s_delay_alu instid0(SALU_CYCLE_1)
	s_and_not1_b32 s1, s42, exec_lo
	s_and_b32 s8, s48, exec_lo
	s_and_not1_b32 s10, s44, exec_lo
	s_or_b32 s42, s1, s8
	s_and_not1_b32 s1, s43, exec_lo
	s_and_b32 s8, s49, exec_lo
	s_and_b32 s11, s50, exec_lo
	s_or_b32 s43, s1, s8
	s_and_not1_b32 s1, s45, exec_lo
	s_and_b32 s8, s47, exec_lo
	s_or_b32 s44, s10, s11
	s_and_b32 s23, s0, exec_lo
	s_or_b32 s45, s1, s8
.LBB151_1320:
	s_or_b32 exec_lo, exec_lo, s46
	s_mov_b32 s11, 0
	s_mov_b32 s1, 0
	s_and_saveexec_b32 s0, s45
	s_cbranch_execnz .LBB151_1335
.LBB151_1321:
	s_or_b32 exec_lo, exec_lo, s0
	s_mov_b32 s12, 0
	s_mov_b32 s10, 0
                                        ; implicit-def: $sgpr0
                                        ; implicit-def: $vgpr6_vgpr7
                                        ; implicit-def: $vgpr1
	s_and_saveexec_b32 s8, s23
	s_cbranch_execnz .LBB151_1325
; %bb.1322:
	s_or_b32 exec_lo, exec_lo, s8
	s_and_saveexec_b32 s4, s44
	s_cbranch_execnz .LBB151_1402
.LBB151_1323:
	s_or_b32 exec_lo, exec_lo, s4
	s_and_saveexec_b32 s4, s11
	s_delay_alu instid0(SALU_CYCLE_1)
	s_xor_b32 s4, exec_lo, s4
	s_cbranch_execnz .LBB151_1403
.LBB151_1324:
	s_or_b32 exec_lo, exec_lo, s4
	s_and_saveexec_b32 s4, s12
	s_cbranch_execnz .LBB151_1404
	s_branch .LBB151_1451
.LBB151_1325:
	s_wait_loadcnt 0x0
	v_mov_b32_e32 v9, 0
	s_and_b32 s0, s24, 0xff
	s_delay_alu instid0(SALU_CYCLE_1) | instskip(NEXT) | instid1(VALU_DEP_1)
	s_cmp_lt_i32 s0, 11
	v_add_nc_u64_e32 v[6:7], s[4:5], v[8:9]
	s_cbranch_scc1 .LBB151_1332
; %bb.1326:
	s_and_b32 s4, 0xffff, s0
	s_delay_alu instid0(SALU_CYCLE_1)
	s_cmp_gt_i32 s4, 25
	s_cbranch_scc0 .LBB151_1333
; %bb.1327:
	s_cmp_gt_i32 s4, 28
	s_cbranch_scc0 .LBB151_1334
; %bb.1328:
	;; [unrolled: 3-line block ×4, first 2 shown]
	s_cmp_eq_u32 s4, 46
	s_cbranch_scc0 .LBB151_1338
; %bb.1331:
	global_load_b32 v0, v[6:7], off
	s_mov_b32 s5, 0
	s_mov_b32 s10, -1
	s_wait_loadcnt 0x0
	v_and_b32_e32 v1, 0xffff0000, v0
	v_lshlrev_b32_e32 v0, 16, v0
	s_branch .LBB151_1340
.LBB151_1332:
	s_mov_b32 s4, -1
	s_mov_b32 s5, s44
                                        ; implicit-def: $vgpr1
	s_branch .LBB151_1401
.LBB151_1333:
	s_mov_b32 s5, s44
                                        ; implicit-def: $vgpr1
	s_cbranch_execnz .LBB151_1369
	s_branch .LBB151_1400
.LBB151_1334:
	s_mov_b32 s12, -1
	s_mov_b32 s5, s44
                                        ; implicit-def: $vgpr1
	s_branch .LBB151_1352
.LBB151_1335:
	s_mov_b32 s1, exec_lo
	s_and_not1_b32 s23, s23, exec_lo
	s_trap 2
	s_branch .LBB151_1321
.LBB151_1336:
	s_mov_b32 s12, -1
	s_mov_b32 s5, s44
                                        ; implicit-def: $vgpr1
	s_branch .LBB151_1346
.LBB151_1337:
	s_mov_b32 s12, -1
	s_mov_b32 s5, s44
	s_branch .LBB151_1339
.LBB151_1338:
	s_mov_b32 s5, -1
.LBB151_1339:
                                        ; implicit-def: $vgpr1
.LBB151_1340:
	s_and_b32 vcc_lo, exec_lo, s12
	s_cbranch_vccz .LBB151_1345
; %bb.1341:
	s_cmp_eq_u32 s4, 44
	s_cbranch_scc0 .LBB151_1343
; %bb.1342:
	global_load_u8 v0, v[6:7], off
	s_mov_b32 s5, 0
	s_mov_b32 s10, -1
	s_wait_loadcnt 0x0
	v_lshlrev_b32_e32 v1, 23, v0
	v_cmp_ne_u32_e32 vcc_lo, 0xff, v0
	s_delay_alu instid0(VALU_DEP_2) | instskip(SKIP_1) | instid1(VALU_DEP_2)
	v_cndmask_b32_e32 v1, 0x7f800001, v1, vcc_lo
	v_cmp_ne_u32_e32 vcc_lo, 0, v0
	v_cndmask_b32_e32 v0, 0x400000, v1, vcc_lo
	s_branch .LBB151_1344
.LBB151_1343:
	s_mov_b32 s5, -1
                                        ; implicit-def: $vgpr0
.LBB151_1344:
	v_mov_b32_e32 v1, 0
.LBB151_1345:
	s_mov_b32 s12, 0
.LBB151_1346:
	s_delay_alu instid0(SALU_CYCLE_1)
	s_and_b32 vcc_lo, exec_lo, s12
	s_cbranch_vccz .LBB151_1351
; %bb.1347:
	s_cmp_eq_u32 s4, 29
	s_cbranch_scc0 .LBB151_1349
; %bb.1348:
	global_load_b64 v[0:1], v[6:7], off
	s_mov_b32 s5, 0
	s_mov_b32 s10, -1
	s_wait_loadcnt 0x0
	v_clz_i32_u32_e32 v3, v1
	s_delay_alu instid0(VALU_DEP_1) | instskip(NEXT) | instid1(VALU_DEP_1)
	v_min_u32_e32 v3, 32, v3
	v_lshlrev_b64_e32 v[0:1], v3, v[0:1]
	s_delay_alu instid0(VALU_DEP_1) | instskip(NEXT) | instid1(VALU_DEP_1)
	v_min_u32_e32 v0, 1, v0
	v_dual_sub_nc_u32 v1, 32, v3 :: v_dual_bitop2_b32 v0, v1, v0 bitop3:0x54
	s_delay_alu instid0(VALU_DEP_1) | instskip(NEXT) | instid1(VALU_DEP_1)
	v_cvt_f32_u32_e32 v0, v0
	v_ldexp_f32 v0, v0, v1
	s_branch .LBB151_1350
.LBB151_1349:
	s_mov_b32 s5, -1
                                        ; implicit-def: $vgpr0
.LBB151_1350:
	v_mov_b32_e32 v1, 0
.LBB151_1351:
	s_mov_b32 s12, 0
.LBB151_1352:
	s_delay_alu instid0(SALU_CYCLE_1)
	s_and_b32 vcc_lo, exec_lo, s12
	s_cbranch_vccz .LBB151_1368
; %bb.1353:
	s_cmp_lt_i32 s4, 27
	s_cbranch_scc1 .LBB151_1356
; %bb.1354:
	s_cmp_gt_i32 s4, 27
	s_cbranch_scc0 .LBB151_1357
; %bb.1355:
	global_load_b32 v0, v[6:7], off
	s_mov_b32 s10, 0
	s_wait_loadcnt 0x0
	v_cvt_f32_u32_e32 v0, v0
	s_branch .LBB151_1358
.LBB151_1356:
	s_mov_b32 s10, -1
                                        ; implicit-def: $vgpr0
	s_branch .LBB151_1361
.LBB151_1357:
	s_mov_b32 s10, -1
                                        ; implicit-def: $vgpr0
.LBB151_1358:
	s_delay_alu instid0(SALU_CYCLE_1)
	s_and_not1_b32 vcc_lo, exec_lo, s10
	s_cbranch_vccnz .LBB151_1360
; %bb.1359:
	global_load_u16 v0, v[6:7], off
	s_wait_loadcnt 0x0
	v_cvt_f32_u32_e32 v0, v0
.LBB151_1360:
	s_mov_b32 s10, 0
.LBB151_1361:
	s_delay_alu instid0(SALU_CYCLE_1)
	s_and_not1_b32 vcc_lo, exec_lo, s10
	s_cbranch_vccnz .LBB151_1367
; %bb.1362:
	global_load_u8 v1, v[6:7], off
	s_mov_b32 s10, 0
	s_mov_b32 s12, exec_lo
	s_wait_loadcnt 0x0
	v_cmpx_lt_i16_e32 0x7f, v1
	s_xor_b32 s12, exec_lo, s12
	s_cbranch_execnz .LBB151_1379
; %bb.1363:
	s_or_saveexec_b32 s12, s12
	v_mov_b32_e32 v0, 0x7f800001
	s_xor_b32 exec_lo, exec_lo, s12
	s_cbranch_execnz .LBB151_1382
.LBB151_1364:
	s_or_b32 exec_lo, exec_lo, s12
	s_and_saveexec_b32 s12, s10
	s_cbranch_execz .LBB151_1366
.LBB151_1365:
	v_and_b32_e32 v0, 0xffff, v1
	s_delay_alu instid0(VALU_DEP_1) | instskip(SKIP_1) | instid1(VALU_DEP_2)
	v_and_b32_e32 v3, 7, v0
	v_bfe_u32 v9, v0, 3, 4
	v_clz_i32_u32_e32 v5, v3
	s_delay_alu instid0(VALU_DEP_2) | instskip(NEXT) | instid1(VALU_DEP_2)
	v_cmp_eq_u32_e32 vcc_lo, 0, v9
	v_min_u32_e32 v5, 32, v5
	s_delay_alu instid0(VALU_DEP_1) | instskip(NEXT) | instid1(VALU_DEP_1)
	v_subrev_nc_u32_e32 v8, 28, v5
	v_dual_lshlrev_b32 v0, v8, v0 :: v_dual_sub_nc_u32 v5, 29, v5
	s_delay_alu instid0(VALU_DEP_1) | instskip(NEXT) | instid1(VALU_DEP_1)
	v_dual_lshlrev_b32 v1, 24, v1 :: v_dual_bitop2_b32 v0, 7, v0 bitop3:0x40
	v_dual_cndmask_b32 v0, v3, v0 :: v_dual_cndmask_b32 v5, v9, v5
	s_delay_alu instid0(VALU_DEP_2) | instskip(NEXT) | instid1(VALU_DEP_2)
	v_and_b32_e32 v1, 0x80000000, v1
	v_lshlrev_b32_e32 v0, 20, v0
	s_delay_alu instid0(VALU_DEP_3) | instskip(NEXT) | instid1(VALU_DEP_1)
	v_lshl_add_u32 v3, v5, 23, 0x3b800000
	v_or3_b32 v0, v1, v3, v0
.LBB151_1366:
	s_or_b32 exec_lo, exec_lo, s12
.LBB151_1367:
	v_mov_b32_e32 v1, 0
	s_mov_b32 s10, -1
.LBB151_1368:
	s_branch .LBB151_1400
.LBB151_1369:
	s_cmp_gt_i32 s4, 22
	s_cbranch_scc0 .LBB151_1377
; %bb.1370:
	s_cmp_lt_i32 s4, 24
	s_cbranch_scc1 .LBB151_1378
; %bb.1371:
	s_cmp_gt_i32 s4, 24
	s_cbranch_scc0 .LBB151_1383
; %bb.1372:
	global_load_u8 v1, v[6:7], off
	s_mov_b32 s10, 0
	s_mov_b32 s11, exec_lo
	s_wait_loadcnt 0x0
	v_cmpx_lt_i16_e32 0x7f, v1
	s_xor_b32 s11, exec_lo, s11
	s_cbranch_execnz .LBB151_1467
; %bb.1373:
	s_or_saveexec_b32 s11, s11
	v_mov_b32_e32 v0, 0x7f800001
	s_xor_b32 exec_lo, exec_lo, s11
	s_cbranch_execnz .LBB151_1470
.LBB151_1374:
	s_or_b32 exec_lo, exec_lo, s11
	s_and_saveexec_b32 s11, s10
	s_cbranch_execz .LBB151_1376
.LBB151_1375:
	v_and_b32_e32 v0, 0xffff, v1
	s_delay_alu instid0(VALU_DEP_1) | instskip(SKIP_1) | instid1(VALU_DEP_2)
	v_and_b32_e32 v3, 3, v0
	v_bfe_u32 v9, v0, 2, 5
	v_clz_i32_u32_e32 v5, v3
	s_delay_alu instid0(VALU_DEP_2) | instskip(NEXT) | instid1(VALU_DEP_2)
	v_cmp_eq_u32_e32 vcc_lo, 0, v9
	v_min_u32_e32 v5, 32, v5
	s_delay_alu instid0(VALU_DEP_1) | instskip(NEXT) | instid1(VALU_DEP_1)
	v_subrev_nc_u32_e32 v8, 29, v5
	v_dual_lshlrev_b32 v0, v8, v0 :: v_dual_sub_nc_u32 v5, 30, v5
	s_delay_alu instid0(VALU_DEP_1) | instskip(NEXT) | instid1(VALU_DEP_1)
	v_dual_lshlrev_b32 v1, 24, v1 :: v_dual_bitop2_b32 v0, 3, v0 bitop3:0x40
	v_dual_cndmask_b32 v0, v3, v0 :: v_dual_cndmask_b32 v5, v9, v5
	s_delay_alu instid0(VALU_DEP_2) | instskip(NEXT) | instid1(VALU_DEP_2)
	v_and_b32_e32 v1, 0x80000000, v1
	v_lshlrev_b32_e32 v0, 21, v0
	s_delay_alu instid0(VALU_DEP_3) | instskip(NEXT) | instid1(VALU_DEP_1)
	v_lshl_add_u32 v3, v5, 23, 0x37800000
	v_or3_b32 v0, v1, v3, v0
.LBB151_1376:
	s_or_b32 exec_lo, exec_lo, s11
	s_mov_b32 s10, 0
	s_branch .LBB151_1384
.LBB151_1377:
	s_mov_b32 s11, -1
                                        ; implicit-def: $vgpr0
	s_branch .LBB151_1390
.LBB151_1378:
	s_mov_b32 s10, -1
                                        ; implicit-def: $vgpr0
	s_branch .LBB151_1387
.LBB151_1379:
	s_mov_b32 s10, -1
	s_mov_b32 s13, exec_lo
	v_cmpx_eq_u16_e32 0x80, v1
; %bb.1380:
	s_xor_b32 s10, exec_lo, -1
; %bb.1381:
	s_or_b32 exec_lo, exec_lo, s13
	s_delay_alu instid0(SALU_CYCLE_1)
	s_and_b32 s10, s10, exec_lo
	s_or_saveexec_b32 s12, s12
	v_mov_b32_e32 v0, 0x7f800001
	s_xor_b32 exec_lo, exec_lo, s12
	s_cbranch_execz .LBB151_1364
.LBB151_1382:
	v_cmp_ne_u16_e32 vcc_lo, 0, v1
	v_mov_b32_e32 v0, 0
	s_and_not1_b32 s10, s10, exec_lo
	s_and_b32 s13, vcc_lo, exec_lo
	s_delay_alu instid0(SALU_CYCLE_1)
	s_or_b32 s10, s10, s13
	s_or_b32 exec_lo, exec_lo, s12
	s_and_saveexec_b32 s12, s10
	s_cbranch_execnz .LBB151_1365
	s_branch .LBB151_1366
.LBB151_1383:
	s_mov_b32 s10, -1
                                        ; implicit-def: $vgpr0
.LBB151_1384:
	s_delay_alu instid0(SALU_CYCLE_1)
	s_and_b32 vcc_lo, exec_lo, s10
	s_cbranch_vccz .LBB151_1386
; %bb.1385:
	global_load_u8 v0, v[6:7], off
	s_wait_loadcnt 0x0
	v_lshlrev_b32_e32 v0, 24, v0
	s_delay_alu instid0(VALU_DEP_1) | instskip(NEXT) | instid1(VALU_DEP_1)
	v_and_b32_e32 v1, 0x7f000000, v0
	v_clz_i32_u32_e32 v3, v1
	v_cmp_ne_u32_e32 vcc_lo, 0, v1
	v_add_nc_u32_e32 v8, 0x1000000, v1
	s_delay_alu instid0(VALU_DEP_3) | instskip(NEXT) | instid1(VALU_DEP_1)
	v_min_u32_e32 v3, 32, v3
	v_sub_nc_u32_e64 v3, v3, 4 clamp
	s_delay_alu instid0(VALU_DEP_1) | instskip(NEXT) | instid1(VALU_DEP_1)
	v_dual_lshlrev_b32 v5, v3, v1 :: v_dual_lshlrev_b32 v3, 23, v3
	v_lshrrev_b32_e32 v5, 4, v5
	s_delay_alu instid0(VALU_DEP_1) | instskip(NEXT) | instid1(VALU_DEP_1)
	v_dual_sub_nc_u32 v3, v5, v3 :: v_dual_ashrrev_i32 v5, 8, v8
	v_add_nc_u32_e32 v3, 0x3c000000, v3
	s_delay_alu instid0(VALU_DEP_1) | instskip(NEXT) | instid1(VALU_DEP_1)
	v_and_or_b32 v3, 0x7f800000, v5, v3
	v_cndmask_b32_e32 v1, 0, v3, vcc_lo
	s_delay_alu instid0(VALU_DEP_1)
	v_and_or_b32 v0, 0x80000000, v0, v1
.LBB151_1386:
	s_mov_b32 s10, 0
.LBB151_1387:
	s_delay_alu instid0(SALU_CYCLE_1)
	s_and_not1_b32 vcc_lo, exec_lo, s10
	s_cbranch_vccnz .LBB151_1389
; %bb.1388:
	global_load_u8 v0, v[6:7], off
	s_wait_loadcnt 0x0
	v_lshlrev_b32_e32 v1, 25, v0
	v_lshlrev_b16 v0, 8, v0
	s_delay_alu instid0(VALU_DEP_1) | instskip(SKIP_1) | instid1(VALU_DEP_2)
	v_and_or_b32 v5, 0x7f00, v0, 0.5
	v_bfe_i32 v0, v0, 0, 16
	v_add_f32_e32 v5, -0.5, v5
	v_lshrrev_b32_e32 v3, 4, v1
	v_cmp_gt_u32_e32 vcc_lo, 0x8000000, v1
	s_delay_alu instid0(VALU_DEP_2) | instskip(NEXT) | instid1(VALU_DEP_1)
	v_or_b32_e32 v3, 0x70000000, v3
	v_mul_f32_e32 v3, 0x7800000, v3
	s_delay_alu instid0(VALU_DEP_1) | instskip(NEXT) | instid1(VALU_DEP_1)
	v_cndmask_b32_e32 v1, v3, v5, vcc_lo
	v_and_or_b32 v0, 0x80000000, v0, v1
.LBB151_1389:
	s_mov_b32 s11, 0
	s_mov_b32 s10, -1
.LBB151_1390:
	s_and_not1_b32 vcc_lo, exec_lo, s11
	s_mov_b32 s11, 0
	s_cbranch_vccnz .LBB151_1399
; %bb.1391:
	s_cmp_gt_i32 s4, 14
	s_cbranch_scc0 .LBB151_1394
; %bb.1392:
	s_cmp_eq_u32 s4, 15
	s_cbranch_scc0 .LBB151_1395
; %bb.1393:
	global_load_u16 v0, v[6:7], off
	s_mov_b32 s5, 0
	s_mov_b32 s10, -1
	s_wait_loadcnt 0x0
	v_lshlrev_b32_e32 v0, 16, v0
	s_branch .LBB151_1397
.LBB151_1394:
	s_mov_b32 s11, -1
	s_branch .LBB151_1396
.LBB151_1395:
	s_mov_b32 s5, -1
.LBB151_1396:
                                        ; implicit-def: $vgpr0
.LBB151_1397:
	s_and_b32 vcc_lo, exec_lo, s11
	s_mov_b32 s11, 0
	s_cbranch_vccz .LBB151_1399
; %bb.1398:
	s_cmp_lg_u32 s4, 11
	s_mov_b32 s11, -1
	s_cselect_b32 s4, -1, 0
	s_and_not1_b32 s5, s5, exec_lo
	s_and_b32 s4, s4, exec_lo
	s_delay_alu instid0(SALU_CYCLE_1)
	s_or_b32 s5, s5, s4
.LBB151_1399:
	v_mov_b32_e32 v1, 0
.LBB151_1400:
	s_mov_b32 s4, 0
.LBB151_1401:
	s_delay_alu instid0(SALU_CYCLE_1)
	s_and_b32 s12, s4, exec_lo
	s_and_not1_b32 s4, s44, exec_lo
	s_and_b32 s5, s5, exec_lo
	s_and_b32 s10, s10, exec_lo
	s_and_b32 s11, s11, exec_lo
	s_or_b32 s44, s4, s5
	s_wait_xcnt 0x0
	s_or_b32 exec_lo, exec_lo, s8
	s_and_saveexec_b32 s4, s44
	s_cbranch_execz .LBB151_1323
.LBB151_1402:
	s_or_b32 s1, s1, exec_lo
	s_and_not1_b32 s11, s11, exec_lo
	s_trap 2
	s_or_b32 exec_lo, exec_lo, s4
	s_and_saveexec_b32 s4, s11
	s_delay_alu instid0(SALU_CYCLE_1)
	s_xor_b32 s4, exec_lo, s4
	s_cbranch_execz .LBB151_1324
.LBB151_1403:
	global_load_u8 v0, v[6:7], off
	v_mov_b32_e32 v1, 0
	s_or_b32 s10, s10, exec_lo
	s_wait_loadcnt 0x0
	v_cmp_ne_u16_e32 vcc_lo, 0, v0
	v_cndmask_b32_e64 v0, 0, 1.0, vcc_lo
	s_wait_xcnt 0x0
	s_or_b32 exec_lo, exec_lo, s4
	s_and_saveexec_b32 s4, s12
	s_cbranch_execz .LBB151_1451
.LBB151_1404:
	s_sext_i32_i16 s5, s0
	s_delay_alu instid0(SALU_CYCLE_1)
	s_cmp_lt_i32 s5, 5
	s_cbranch_scc1 .LBB151_1409
; %bb.1405:
	s_cmp_lt_i32 s5, 8
	s_cbranch_scc1 .LBB151_1410
; %bb.1406:
	s_cmp_lt_i32 s5, 9
	s_cbranch_scc1 .LBB151_1411
; %bb.1407:
	s_cmp_gt_i32 s5, 9
	s_cbranch_scc0 .LBB151_1412
; %bb.1408:
	s_wait_loadcnt 0x0
	global_load_b128 v[8:11], v[6:7], off
	s_mov_b32 s5, 0
	s_wait_loadcnt 0x0
	v_cvt_f32_f64_e32 v0, v[8:9]
	v_cvt_f32_f64_e32 v1, v[10:11]
	s_branch .LBB151_1413
.LBB151_1409:
                                        ; implicit-def: $vgpr1
	s_branch .LBB151_1431
.LBB151_1410:
                                        ; implicit-def: $vgpr1
	s_branch .LBB151_1419
.LBB151_1411:
	s_mov_b32 s5, -1
                                        ; implicit-def: $vgpr1
	s_branch .LBB151_1416
.LBB151_1412:
	s_mov_b32 s5, -1
                                        ; implicit-def: $vgpr1
.LBB151_1413:
	s_delay_alu instid0(SALU_CYCLE_1)
	s_and_not1_b32 vcc_lo, exec_lo, s5
	s_cbranch_vccnz .LBB151_1415
; %bb.1414:
	global_load_b64 v[0:1], v[6:7], off
.LBB151_1415:
	s_mov_b32 s5, 0
.LBB151_1416:
	s_delay_alu instid0(SALU_CYCLE_1)
	s_and_not1_b32 vcc_lo, exec_lo, s5
	s_cbranch_vccnz .LBB151_1418
; %bb.1417:
	s_wait_loadcnt 0x0
	global_load_b32 v0, v[6:7], off
	s_wait_loadcnt 0x0
	v_lshrrev_b32_e32 v1, 16, v0
	v_cvt_f32_f16_e32 v0, v0
	s_delay_alu instid0(VALU_DEP_2)
	v_cvt_f32_f16_e32 v1, v1
.LBB151_1418:
	s_cbranch_execnz .LBB151_1430
.LBB151_1419:
	s_sext_i32_i16 s5, s0
	s_delay_alu instid0(SALU_CYCLE_1)
	s_cmp_lt_i32 s5, 6
	s_cbranch_scc1 .LBB151_1422
; %bb.1420:
	s_cmp_gt_i32 s5, 6
	s_cbranch_scc0 .LBB151_1423
; %bb.1421:
	s_wait_loadcnt 0x0
	global_load_b64 v[0:1], v[6:7], off
	s_mov_b32 s5, 0
	s_wait_loadcnt 0x0
	v_cvt_f32_f64_e32 v0, v[0:1]
	s_branch .LBB151_1424
.LBB151_1422:
	s_mov_b32 s5, -1
                                        ; implicit-def: $vgpr0
	s_branch .LBB151_1427
.LBB151_1423:
	s_mov_b32 s5, -1
                                        ; implicit-def: $vgpr0
.LBB151_1424:
	s_delay_alu instid0(SALU_CYCLE_1)
	s_and_not1_b32 vcc_lo, exec_lo, s5
	s_cbranch_vccnz .LBB151_1426
; %bb.1425:
	s_wait_loadcnt 0x0
	global_load_b32 v0, v[6:7], off
.LBB151_1426:
	s_mov_b32 s5, 0
.LBB151_1427:
	s_delay_alu instid0(SALU_CYCLE_1)
	s_and_not1_b32 vcc_lo, exec_lo, s5
	s_cbranch_vccnz .LBB151_1429
; %bb.1428:
	s_wait_loadcnt 0x0
	global_load_u16 v0, v[6:7], off
	s_wait_loadcnt 0x0
	v_cvt_f32_f16_e32 v0, v0
.LBB151_1429:
	s_wait_loadcnt 0x0
	v_mov_b32_e32 v1, 0
.LBB151_1430:
	s_cbranch_execnz .LBB151_1450
.LBB151_1431:
	s_sext_i32_i16 s5, s0
	s_delay_alu instid0(SALU_CYCLE_1)
	s_cmp_lt_i32 s5, 2
	s_cbranch_scc1 .LBB151_1435
; %bb.1432:
	s_cmp_lt_i32 s5, 3
	s_cbranch_scc1 .LBB151_1436
; %bb.1433:
	s_cmp_gt_i32 s5, 3
	s_cbranch_scc0 .LBB151_1437
; %bb.1434:
	s_wait_loadcnt 0x0
	global_load_b64 v[0:1], v[6:7], off
	s_mov_b32 s5, 0
	s_wait_loadcnt 0x0
	v_xor_b32_e32 v3, v0, v1
	v_cls_i32_e32 v5, v1
	s_delay_alu instid0(VALU_DEP_2) | instskip(NEXT) | instid1(VALU_DEP_1)
	v_ashrrev_i32_e32 v3, 31, v3
	v_add_nc_u32_e32 v3, 32, v3
	s_delay_alu instid0(VALU_DEP_1) | instskip(NEXT) | instid1(VALU_DEP_1)
	v_add_min_u32_e64 v3, v5, -1, v3
	v_lshlrev_b64_e32 v[0:1], v3, v[0:1]
	s_delay_alu instid0(VALU_DEP_1) | instskip(NEXT) | instid1(VALU_DEP_1)
	v_min_u32_e32 v0, 1, v0
	v_dual_sub_nc_u32 v1, 32, v3 :: v_dual_bitop2_b32 v0, v1, v0 bitop3:0x54
	s_delay_alu instid0(VALU_DEP_1) | instskip(NEXT) | instid1(VALU_DEP_1)
	v_cvt_f32_i32_e32 v0, v0
	v_ldexp_f32 v0, v0, v1
	s_branch .LBB151_1438
.LBB151_1435:
                                        ; implicit-def: $vgpr0
	s_branch .LBB151_1444
.LBB151_1436:
	s_mov_b32 s5, -1
                                        ; implicit-def: $vgpr0
	s_branch .LBB151_1441
.LBB151_1437:
	s_mov_b32 s5, -1
                                        ; implicit-def: $vgpr0
.LBB151_1438:
	s_delay_alu instid0(SALU_CYCLE_1)
	s_and_not1_b32 vcc_lo, exec_lo, s5
	s_cbranch_vccnz .LBB151_1440
; %bb.1439:
	s_wait_loadcnt 0x0
	global_load_b32 v0, v[6:7], off
	s_wait_loadcnt 0x0
	v_cvt_f32_i32_e32 v0, v0
.LBB151_1440:
	s_mov_b32 s5, 0
.LBB151_1441:
	s_delay_alu instid0(SALU_CYCLE_1)
	s_and_not1_b32 vcc_lo, exec_lo, s5
	s_cbranch_vccnz .LBB151_1443
; %bb.1442:
	s_wait_loadcnt 0x0
	global_load_i16 v0, v[6:7], off
	s_wait_loadcnt 0x0
	v_cvt_f32_i32_e32 v0, v0
.LBB151_1443:
	s_cbranch_execnz .LBB151_1449
.LBB151_1444:
	s_sext_i32_i16 s0, s0
	s_delay_alu instid0(SALU_CYCLE_1)
	s_cmp_gt_i32 s0, 0
	s_mov_b32 s0, 0
	s_cbranch_scc0 .LBB151_1446
; %bb.1445:
	s_wait_loadcnt 0x0
	global_load_i8 v0, v[6:7], off
	s_wait_loadcnt 0x0
	v_cvt_f32_i32_e32 v0, v0
	s_branch .LBB151_1447
.LBB151_1446:
	s_mov_b32 s0, -1
                                        ; implicit-def: $vgpr0
.LBB151_1447:
	s_delay_alu instid0(SALU_CYCLE_1)
	s_and_not1_b32 vcc_lo, exec_lo, s0
	s_cbranch_vccnz .LBB151_1449
; %bb.1448:
	s_wait_loadcnt 0x0
	global_load_u8 v0, v[6:7], off
	s_wait_loadcnt 0x0
	v_cvt_f32_ubyte0_e32 v0, v0
.LBB151_1449:
	s_wait_loadcnt 0x0
	v_mov_b32_e32 v1, 0
.LBB151_1450:
	s_or_b32 s10, s10, exec_lo
.LBB151_1451:
	s_wait_xcnt 0x0
	s_or_b32 exec_lo, exec_lo, s4
	s_mov_b32 s5, 0
	s_mov_b32 s4, 0
	;; [unrolled: 1-line block ×3, first 2 shown]
                                        ; implicit-def: $vgpr6_vgpr7
                                        ; implicit-def: $vgpr9
	s_and_saveexec_b32 s0, s10
	s_cbranch_execnz .LBB151_1455
; %bb.1452:
	s_or_b32 exec_lo, exec_lo, s0
	s_and_saveexec_b32 s0, s43
	s_cbranch_execnz .LBB151_1535
.LBB151_1453:
	s_or_b32 exec_lo, exec_lo, s0
	s_and_saveexec_b32 s0, s5
	s_delay_alu instid0(SALU_CYCLE_1)
	s_xor_b32 s0, exec_lo, s0
	s_cbranch_execnz .LBB151_1536
.LBB151_1454:
	s_or_b32 exec_lo, exec_lo, s0
	s_and_saveexec_b32 s0, s4
	s_cbranch_execnz .LBB151_1537
	s_branch .LBB151_1584
.LBB151_1455:
	s_wait_loadcnt 0x0
	v_mov_b32_e32 v5, 0
	s_and_b32 s4, 0xffff, s9
	s_delay_alu instid0(SALU_CYCLE_1) | instskip(NEXT) | instid1(VALU_DEP_1)
	s_cmp_lt_i32 s4, 11
	v_add_nc_u64_e32 v[6:7], s[6:7], v[4:5]
	s_cbranch_scc1 .LBB151_1462
; %bb.1456:
	s_cmp_gt_i32 s4, 25
	s_mov_b32 s6, 0
	s_cbranch_scc0 .LBB151_1463
; %bb.1457:
	s_cmp_gt_i32 s4, 28
	s_cbranch_scc0 .LBB151_1464
; %bb.1458:
	s_cmp_gt_i32 s4, 43
	;; [unrolled: 3-line block ×3, first 2 shown]
	s_cbranch_scc0 .LBB151_1466
; %bb.1460:
	s_cmp_eq_u32 s4, 46
	s_cbranch_scc0 .LBB151_1471
; %bb.1461:
	global_load_b32 v3, v[6:7], off
	s_mov_b32 s7, -1
	s_wait_loadcnt 0x0
	v_and_b32_e32 v9, 0xffff0000, v3
	v_lshlrev_b32_e32 v8, 16, v3
	s_branch .LBB151_1473
.LBB151_1462:
	s_mov_b32 s4, -1
	s_mov_b32 s7, 0
	s_mov_b32 s6, 0
	;; [unrolled: 1-line block ×3, first 2 shown]
                                        ; implicit-def: $vgpr9
	s_branch .LBB151_1534
.LBB151_1463:
	s_mov_b32 s7, 0
	s_mov_b32 s5, s43
                                        ; implicit-def: $vgpr9
	s_cbranch_execnz .LBB151_1502
	s_branch .LBB151_1533
.LBB151_1464:
	s_mov_b32 s8, -1
	s_mov_b32 s7, 0
	s_mov_b32 s5, s43
                                        ; implicit-def: $vgpr9
	s_branch .LBB151_1485
.LBB151_1465:
	s_mov_b32 s8, -1
	s_mov_b32 s7, 0
	s_mov_b32 s5, s43
                                        ; implicit-def: $vgpr9
	s_branch .LBB151_1479
.LBB151_1466:
	s_mov_b32 s8, -1
	s_mov_b32 s7, 0
	s_mov_b32 s5, s43
	s_branch .LBB151_1472
.LBB151_1467:
	s_mov_b32 s10, -1
	s_mov_b32 s12, exec_lo
	v_cmpx_eq_u16_e32 0x80, v1
; %bb.1468:
	s_xor_b32 s10, exec_lo, -1
; %bb.1469:
	s_or_b32 exec_lo, exec_lo, s12
	s_delay_alu instid0(SALU_CYCLE_1)
	s_and_b32 s10, s10, exec_lo
	s_or_saveexec_b32 s11, s11
	v_mov_b32_e32 v0, 0x7f800001
	s_xor_b32 exec_lo, exec_lo, s11
	s_cbranch_execz .LBB151_1374
.LBB151_1470:
	v_cmp_ne_u16_e32 vcc_lo, 0, v1
	v_mov_b32_e32 v0, 0
	s_and_not1_b32 s10, s10, exec_lo
	s_and_b32 s12, vcc_lo, exec_lo
	s_delay_alu instid0(SALU_CYCLE_1)
	s_or_b32 s10, s10, s12
	s_or_b32 exec_lo, exec_lo, s11
	s_and_saveexec_b32 s11, s10
	s_cbranch_execnz .LBB151_1375
	s_branch .LBB151_1376
.LBB151_1471:
	s_mov_b32 s5, -1
	s_mov_b32 s7, 0
.LBB151_1472:
                                        ; implicit-def: $vgpr9
.LBB151_1473:
	s_and_b32 vcc_lo, exec_lo, s8
	s_cbranch_vccz .LBB151_1478
; %bb.1474:
	s_cmp_eq_u32 s4, 44
	s_cbranch_scc0 .LBB151_1476
; %bb.1475:
	global_load_u8 v3, v[6:7], off
	s_mov_b32 s5, 0
	s_mov_b32 s7, -1
	s_wait_loadcnt 0x0
	v_lshlrev_b32_e32 v4, 23, v3
	v_cmp_ne_u32_e32 vcc_lo, 0xff, v3
	s_delay_alu instid0(VALU_DEP_2) | instskip(SKIP_1) | instid1(VALU_DEP_2)
	v_cndmask_b32_e32 v4, 0x7f800001, v4, vcc_lo
	v_cmp_ne_u32_e32 vcc_lo, 0, v3
	v_cndmask_b32_e32 v8, 0x400000, v4, vcc_lo
	s_branch .LBB151_1477
.LBB151_1476:
	s_mov_b32 s5, -1
                                        ; implicit-def: $vgpr8
.LBB151_1477:
	v_mov_b32_e32 v9, 0
.LBB151_1478:
	s_mov_b32 s8, 0
.LBB151_1479:
	s_delay_alu instid0(SALU_CYCLE_1)
	s_and_b32 vcc_lo, exec_lo, s8
	s_cbranch_vccz .LBB151_1484
; %bb.1480:
	s_cmp_eq_u32 s4, 29
	s_cbranch_scc0 .LBB151_1482
; %bb.1481:
	global_load_b64 v[4:5], v[6:7], off
	s_mov_b32 s5, 0
	s_mov_b32 s7, -1
	s_wait_loadcnt 0x0
	v_clz_i32_u32_e32 v3, v5
	s_delay_alu instid0(VALU_DEP_1) | instskip(NEXT) | instid1(VALU_DEP_1)
	v_min_u32_e32 v3, 32, v3
	v_lshlrev_b64_e32 v[4:5], v3, v[4:5]
	v_sub_nc_u32_e32 v3, 32, v3
	s_delay_alu instid0(VALU_DEP_2) | instskip(NEXT) | instid1(VALU_DEP_1)
	v_min_u32_e32 v4, 1, v4
	v_or_b32_e32 v4, v5, v4
	s_delay_alu instid0(VALU_DEP_1) | instskip(NEXT) | instid1(VALU_DEP_1)
	v_cvt_f32_u32_e32 v4, v4
	v_ldexp_f32 v8, v4, v3
	s_branch .LBB151_1483
.LBB151_1482:
	s_mov_b32 s5, -1
                                        ; implicit-def: $vgpr8
.LBB151_1483:
	v_mov_b32_e32 v9, 0
.LBB151_1484:
	s_mov_b32 s8, 0
.LBB151_1485:
	s_delay_alu instid0(SALU_CYCLE_1)
	s_and_b32 vcc_lo, exec_lo, s8
	s_cbranch_vccz .LBB151_1501
; %bb.1486:
	s_cmp_lt_i32 s4, 27
	s_cbranch_scc1 .LBB151_1489
; %bb.1487:
	s_cmp_gt_i32 s4, 27
	s_cbranch_scc0 .LBB151_1490
; %bb.1488:
	global_load_b32 v3, v[6:7], off
	s_mov_b32 s7, 0
	s_wait_loadcnt 0x0
	v_cvt_f32_u32_e32 v8, v3
	s_branch .LBB151_1491
.LBB151_1489:
	s_mov_b32 s7, -1
                                        ; implicit-def: $vgpr8
	s_branch .LBB151_1494
.LBB151_1490:
	s_mov_b32 s7, -1
                                        ; implicit-def: $vgpr8
.LBB151_1491:
	s_delay_alu instid0(SALU_CYCLE_1)
	s_and_not1_b32 vcc_lo, exec_lo, s7
	s_cbranch_vccnz .LBB151_1493
; %bb.1492:
	global_load_u16 v3, v[6:7], off
	s_wait_loadcnt 0x0
	v_cvt_f32_u32_e32 v8, v3
.LBB151_1493:
	s_mov_b32 s7, 0
.LBB151_1494:
	s_delay_alu instid0(SALU_CYCLE_1)
	s_and_not1_b32 vcc_lo, exec_lo, s7
	s_cbranch_vccnz .LBB151_1500
; %bb.1495:
	global_load_u8 v3, v[6:7], off
	s_mov_b32 s7, 0
	s_mov_b32 s8, exec_lo
	s_wait_loadcnt 0x0
	v_cmpx_lt_i16_e32 0x7f, v3
	s_xor_b32 s8, exec_lo, s8
	s_cbranch_execnz .LBB151_1512
; %bb.1496:
	s_or_saveexec_b32 s8, s8
	v_mov_b32_e32 v8, 0x7f800001
	s_xor_b32 exec_lo, exec_lo, s8
	s_cbranch_execnz .LBB151_1515
.LBB151_1497:
	s_or_b32 exec_lo, exec_lo, s8
	s_and_saveexec_b32 s8, s7
	s_cbranch_execz .LBB151_1499
.LBB151_1498:
	v_and_b32_e32 v4, 0xffff, v3
	s_delay_alu instid0(VALU_DEP_1) | instskip(SKIP_1) | instid1(VALU_DEP_2)
	v_dual_lshlrev_b32 v3, 24, v3 :: v_dual_bitop2_b32 v5, 7, v4 bitop3:0x40
	v_bfe_u32 v10, v4, 3, 4
	v_and_b32_e32 v3, 0x80000000, v3
	s_delay_alu instid0(VALU_DEP_3) | instskip(NEXT) | instid1(VALU_DEP_3)
	v_clz_i32_u32_e32 v8, v5
	v_cmp_eq_u32_e32 vcc_lo, 0, v10
	s_delay_alu instid0(VALU_DEP_2) | instskip(NEXT) | instid1(VALU_DEP_1)
	v_min_u32_e32 v8, 32, v8
	v_subrev_nc_u32_e32 v9, 28, v8
	v_sub_nc_u32_e32 v8, 29, v8
	s_delay_alu instid0(VALU_DEP_2) | instskip(NEXT) | instid1(VALU_DEP_2)
	v_lshlrev_b32_e32 v4, v9, v4
	v_cndmask_b32_e32 v8, v10, v8, vcc_lo
	s_delay_alu instid0(VALU_DEP_2) | instskip(NEXT) | instid1(VALU_DEP_1)
	v_and_b32_e32 v4, 7, v4
	v_cndmask_b32_e32 v4, v5, v4, vcc_lo
	s_delay_alu instid0(VALU_DEP_3) | instskip(NEXT) | instid1(VALU_DEP_2)
	v_lshl_add_u32 v5, v8, 23, 0x3b800000
	v_lshlrev_b32_e32 v4, 20, v4
	s_delay_alu instid0(VALU_DEP_1)
	v_or3_b32 v8, v3, v5, v4
.LBB151_1499:
	s_or_b32 exec_lo, exec_lo, s8
.LBB151_1500:
	v_mov_b32_e32 v9, 0
	s_mov_b32 s7, -1
.LBB151_1501:
	s_branch .LBB151_1533
.LBB151_1502:
	s_cmp_gt_i32 s4, 22
	s_cbranch_scc0 .LBB151_1510
; %bb.1503:
	s_cmp_lt_i32 s4, 24
	s_cbranch_scc1 .LBB151_1511
; %bb.1504:
	s_cmp_gt_i32 s4, 24
	s_cbranch_scc0 .LBB151_1516
; %bb.1505:
	global_load_u8 v3, v[6:7], off
	s_mov_b32 s7, exec_lo
	s_wait_loadcnt 0x0
	v_cmpx_lt_i16_e32 0x7f, v3
	s_xor_b32 s7, exec_lo, s7
	s_cbranch_execnz .LBB151_1596
; %bb.1506:
	s_or_saveexec_b32 s7, s7
	v_mov_b32_e32 v8, 0x7f800001
	s_xor_b32 exec_lo, exec_lo, s7
	s_cbranch_execnz .LBB151_1599
.LBB151_1507:
	s_or_b32 exec_lo, exec_lo, s7
	s_and_saveexec_b32 s7, s6
	s_cbranch_execz .LBB151_1509
.LBB151_1508:
	v_and_b32_e32 v4, 0xffff, v3
	s_delay_alu instid0(VALU_DEP_1) | instskip(SKIP_1) | instid1(VALU_DEP_2)
	v_dual_lshlrev_b32 v3, 24, v3 :: v_dual_bitop2_b32 v5, 3, v4 bitop3:0x40
	v_bfe_u32 v10, v4, 2, 5
	v_and_b32_e32 v3, 0x80000000, v3
	s_delay_alu instid0(VALU_DEP_3) | instskip(NEXT) | instid1(VALU_DEP_3)
	v_clz_i32_u32_e32 v8, v5
	v_cmp_eq_u32_e32 vcc_lo, 0, v10
	s_delay_alu instid0(VALU_DEP_2) | instskip(NEXT) | instid1(VALU_DEP_1)
	v_min_u32_e32 v8, 32, v8
	v_subrev_nc_u32_e32 v9, 29, v8
	v_sub_nc_u32_e32 v8, 30, v8
	s_delay_alu instid0(VALU_DEP_2) | instskip(NEXT) | instid1(VALU_DEP_2)
	v_lshlrev_b32_e32 v4, v9, v4
	v_cndmask_b32_e32 v8, v10, v8, vcc_lo
	s_delay_alu instid0(VALU_DEP_2) | instskip(NEXT) | instid1(VALU_DEP_1)
	v_and_b32_e32 v4, 3, v4
	v_cndmask_b32_e32 v4, v5, v4, vcc_lo
	s_delay_alu instid0(VALU_DEP_3) | instskip(NEXT) | instid1(VALU_DEP_2)
	v_lshl_add_u32 v5, v8, 23, 0x37800000
	v_lshlrev_b32_e32 v4, 21, v4
	s_delay_alu instid0(VALU_DEP_1)
	v_or3_b32 v8, v3, v5, v4
.LBB151_1509:
	s_or_b32 exec_lo, exec_lo, s7
	s_mov_b32 s6, 0
	s_branch .LBB151_1517
.LBB151_1510:
	s_mov_b32 s6, -1
                                        ; implicit-def: $vgpr8
	s_branch .LBB151_1523
.LBB151_1511:
	s_mov_b32 s6, -1
                                        ; implicit-def: $vgpr8
	s_branch .LBB151_1520
.LBB151_1512:
	s_mov_b32 s7, -1
	s_mov_b32 s10, exec_lo
	v_cmpx_eq_u16_e32 0x80, v3
; %bb.1513:
	s_xor_b32 s7, exec_lo, -1
; %bb.1514:
	s_or_b32 exec_lo, exec_lo, s10
	s_delay_alu instid0(SALU_CYCLE_1)
	s_and_b32 s7, s7, exec_lo
	s_or_saveexec_b32 s8, s8
	v_mov_b32_e32 v8, 0x7f800001
	s_xor_b32 exec_lo, exec_lo, s8
	s_cbranch_execz .LBB151_1497
.LBB151_1515:
	v_cmp_ne_u16_e32 vcc_lo, 0, v3
	v_mov_b32_e32 v8, 0
	s_and_not1_b32 s7, s7, exec_lo
	s_and_b32 s10, vcc_lo, exec_lo
	s_delay_alu instid0(SALU_CYCLE_1)
	s_or_b32 s7, s7, s10
	s_or_b32 exec_lo, exec_lo, s8
	s_and_saveexec_b32 s8, s7
	s_cbranch_execnz .LBB151_1498
	s_branch .LBB151_1499
.LBB151_1516:
	s_mov_b32 s6, -1
                                        ; implicit-def: $vgpr8
.LBB151_1517:
	s_delay_alu instid0(SALU_CYCLE_1)
	s_and_b32 vcc_lo, exec_lo, s6
	s_cbranch_vccz .LBB151_1519
; %bb.1518:
	global_load_u8 v3, v[6:7], off
	s_wait_loadcnt 0x0
	v_lshlrev_b32_e32 v3, 24, v3
	s_delay_alu instid0(VALU_DEP_1) | instskip(NEXT) | instid1(VALU_DEP_1)
	v_and_b32_e32 v4, 0x7f000000, v3
	v_clz_i32_u32_e32 v5, v4
	v_cmp_ne_u32_e32 vcc_lo, 0, v4
	v_add_nc_u32_e32 v9, 0x1000000, v4
	s_delay_alu instid0(VALU_DEP_3) | instskip(NEXT) | instid1(VALU_DEP_1)
	v_min_u32_e32 v5, 32, v5
	v_sub_nc_u32_e64 v5, v5, 4 clamp
	s_delay_alu instid0(VALU_DEP_1) | instskip(NEXT) | instid1(VALU_DEP_1)
	v_dual_lshlrev_b32 v8, v5, v4 :: v_dual_lshlrev_b32 v5, 23, v5
	v_lshrrev_b32_e32 v8, 4, v8
	s_delay_alu instid0(VALU_DEP_1) | instskip(SKIP_1) | instid1(VALU_DEP_2)
	v_sub_nc_u32_e32 v5, v8, v5
	v_ashrrev_i32_e32 v8, 8, v9
	v_add_nc_u32_e32 v5, 0x3c000000, v5
	s_delay_alu instid0(VALU_DEP_1) | instskip(NEXT) | instid1(VALU_DEP_1)
	v_and_or_b32 v5, 0x7f800000, v8, v5
	v_cndmask_b32_e32 v4, 0, v5, vcc_lo
	s_delay_alu instid0(VALU_DEP_1)
	v_and_or_b32 v8, 0x80000000, v3, v4
.LBB151_1519:
	s_mov_b32 s6, 0
.LBB151_1520:
	s_delay_alu instid0(SALU_CYCLE_1)
	s_and_not1_b32 vcc_lo, exec_lo, s6
	s_cbranch_vccnz .LBB151_1522
; %bb.1521:
	global_load_u8 v3, v[6:7], off
	s_wait_loadcnt 0x0
	v_lshlrev_b32_e32 v4, 25, v3
	v_lshlrev_b16 v3, 8, v3
	s_delay_alu instid0(VALU_DEP_1) | instskip(SKIP_1) | instid1(VALU_DEP_2)
	v_and_or_b32 v8, 0x7f00, v3, 0.5
	v_bfe_i32 v3, v3, 0, 16
	v_add_f32_e32 v8, -0.5, v8
	v_lshrrev_b32_e32 v5, 4, v4
	v_cmp_gt_u32_e32 vcc_lo, 0x8000000, v4
	s_delay_alu instid0(VALU_DEP_2) | instskip(NEXT) | instid1(VALU_DEP_1)
	v_or_b32_e32 v5, 0x70000000, v5
	v_mul_f32_e32 v5, 0x7800000, v5
	s_delay_alu instid0(VALU_DEP_1) | instskip(NEXT) | instid1(VALU_DEP_1)
	v_cndmask_b32_e32 v4, v5, v8, vcc_lo
	v_and_or_b32 v8, 0x80000000, v3, v4
.LBB151_1522:
	s_mov_b32 s6, 0
	s_mov_b32 s7, -1
.LBB151_1523:
	s_and_not1_b32 vcc_lo, exec_lo, s6
	s_mov_b32 s6, 0
	s_cbranch_vccnz .LBB151_1532
; %bb.1524:
	s_cmp_gt_i32 s4, 14
	s_cbranch_scc0 .LBB151_1527
; %bb.1525:
	s_cmp_eq_u32 s4, 15
	s_cbranch_scc0 .LBB151_1528
; %bb.1526:
	global_load_u16 v3, v[6:7], off
	s_mov_b32 s5, 0
	s_mov_b32 s7, -1
	s_wait_loadcnt 0x0
	v_lshlrev_b32_e32 v8, 16, v3
	s_branch .LBB151_1530
.LBB151_1527:
	s_mov_b32 s6, -1
	s_branch .LBB151_1529
.LBB151_1528:
	s_mov_b32 s5, -1
.LBB151_1529:
                                        ; implicit-def: $vgpr8
.LBB151_1530:
	s_and_b32 vcc_lo, exec_lo, s6
	s_mov_b32 s6, 0
	s_cbranch_vccz .LBB151_1532
; %bb.1531:
	s_cmp_lg_u32 s4, 11
	s_mov_b32 s6, -1
	s_cselect_b32 s4, -1, 0
	s_and_not1_b32 s5, s5, exec_lo
	s_and_b32 s4, s4, exec_lo
	s_delay_alu instid0(SALU_CYCLE_1)
	s_or_b32 s5, s5, s4
.LBB151_1532:
	v_mov_b32_e32 v9, 0
.LBB151_1533:
	s_mov_b32 s4, 0
.LBB151_1534:
	s_and_b32 s8, s7, exec_lo
	s_and_not1_b32 s7, s43, exec_lo
	s_and_b32 s10, s5, exec_lo
	s_and_b32 s4, s4, exec_lo
	;; [unrolled: 1-line block ×3, first 2 shown]
	s_or_b32 s43, s7, s10
	s_wait_xcnt 0x0
	s_or_b32 exec_lo, exec_lo, s0
	s_and_saveexec_b32 s0, s43
	s_cbranch_execz .LBB151_1453
.LBB151_1535:
	s_or_b32 s1, s1, exec_lo
	s_and_not1_b32 s5, s5, exec_lo
	s_trap 2
	s_or_b32 exec_lo, exec_lo, s0
	s_and_saveexec_b32 s0, s5
	s_delay_alu instid0(SALU_CYCLE_1)
	s_xor_b32 s0, exec_lo, s0
	s_cbranch_execz .LBB151_1454
.LBB151_1536:
	global_load_u8 v3, v[6:7], off
	s_wait_loadcnt 0x1
	v_mov_b32_e32 v9, 0
	s_or_b32 s8, s8, exec_lo
	s_wait_loadcnt 0x0
	v_cmp_ne_u16_e32 vcc_lo, 0, v3
	v_cndmask_b32_e64 v8, 0, 1.0, vcc_lo
	s_wait_xcnt 0x0
	s_or_b32 exec_lo, exec_lo, s0
	s_and_saveexec_b32 s0, s4
	s_cbranch_execz .LBB151_1584
.LBB151_1537:
	s_sext_i32_i16 s4, s9
	s_delay_alu instid0(SALU_CYCLE_1)
	s_cmp_lt_i32 s4, 5
	s_cbranch_scc1 .LBB151_1542
; %bb.1538:
	s_cmp_lt_i32 s4, 8
	s_cbranch_scc1 .LBB151_1543
; %bb.1539:
	;; [unrolled: 3-line block ×3, first 2 shown]
	s_cmp_gt_i32 s4, 9
	s_cbranch_scc0 .LBB151_1545
; %bb.1541:
	s_wait_loadcnt 0x0
	global_load_b128 v[8:11], v[6:7], off
	s_mov_b32 s4, 0
	s_wait_loadcnt 0x0
	v_cvt_f32_f64_e32 v8, v[8:9]
	v_cvt_f32_f64_e32 v9, v[10:11]
	s_branch .LBB151_1546
.LBB151_1542:
                                        ; implicit-def: $vgpr9
	s_branch .LBB151_1564
.LBB151_1543:
                                        ; implicit-def: $vgpr9
	s_branch .LBB151_1552
.LBB151_1544:
	s_mov_b32 s4, -1
                                        ; implicit-def: $vgpr9
	s_branch .LBB151_1549
.LBB151_1545:
	s_mov_b32 s4, -1
                                        ; implicit-def: $vgpr9
.LBB151_1546:
	s_delay_alu instid0(SALU_CYCLE_1)
	s_and_not1_b32 vcc_lo, exec_lo, s4
	s_cbranch_vccnz .LBB151_1548
; %bb.1547:
	s_wait_loadcnt 0x0
	global_load_b64 v[8:9], v[6:7], off
.LBB151_1548:
	s_mov_b32 s4, 0
.LBB151_1549:
	s_delay_alu instid0(SALU_CYCLE_1)
	s_and_not1_b32 vcc_lo, exec_lo, s4
	s_cbranch_vccnz .LBB151_1551
; %bb.1550:
	global_load_b32 v3, v[6:7], off
	s_wait_loadcnt 0x0
	v_lshrrev_b32_e32 v4, 16, v3
	v_cvt_f32_f16_e32 v8, v3
	s_delay_alu instid0(VALU_DEP_2)
	v_cvt_f32_f16_e32 v9, v4
.LBB151_1551:
	s_cbranch_execnz .LBB151_1563
.LBB151_1552:
	s_sext_i32_i16 s4, s9
	s_delay_alu instid0(SALU_CYCLE_1)
	s_cmp_lt_i32 s4, 6
	s_cbranch_scc1 .LBB151_1555
; %bb.1553:
	s_cmp_gt_i32 s4, 6
	s_cbranch_scc0 .LBB151_1556
; %bb.1554:
	s_wait_loadcnt 0x0
	global_load_b64 v[4:5], v[6:7], off
	s_mov_b32 s4, 0
	s_wait_loadcnt 0x0
	v_cvt_f32_f64_e32 v8, v[4:5]
	s_branch .LBB151_1557
.LBB151_1555:
	s_mov_b32 s4, -1
                                        ; implicit-def: $vgpr8
	s_branch .LBB151_1560
.LBB151_1556:
	s_mov_b32 s4, -1
                                        ; implicit-def: $vgpr8
.LBB151_1557:
	s_delay_alu instid0(SALU_CYCLE_1)
	s_and_not1_b32 vcc_lo, exec_lo, s4
	s_cbranch_vccnz .LBB151_1559
; %bb.1558:
	s_wait_loadcnt 0x0
	global_load_b32 v8, v[6:7], off
.LBB151_1559:
	s_mov_b32 s4, 0
.LBB151_1560:
	s_delay_alu instid0(SALU_CYCLE_1)
	s_and_not1_b32 vcc_lo, exec_lo, s4
	s_cbranch_vccnz .LBB151_1562
; %bb.1561:
	global_load_u16 v3, v[6:7], off
	s_wait_loadcnt 0x0
	v_cvt_f32_f16_e32 v8, v3
.LBB151_1562:
	s_wait_loadcnt 0x0
	v_mov_b32_e32 v9, 0
.LBB151_1563:
	s_cbranch_execnz .LBB151_1583
.LBB151_1564:
	s_sext_i32_i16 s4, s9
	s_delay_alu instid0(SALU_CYCLE_1)
	s_cmp_lt_i32 s4, 2
	s_cbranch_scc1 .LBB151_1568
; %bb.1565:
	s_cmp_lt_i32 s4, 3
	s_cbranch_scc1 .LBB151_1569
; %bb.1566:
	s_cmp_gt_i32 s4, 3
	s_cbranch_scc0 .LBB151_1570
; %bb.1567:
	s_wait_loadcnt 0x0
	global_load_b64 v[4:5], v[6:7], off
	s_mov_b32 s4, 0
	s_wait_loadcnt 0x0
	v_xor_b32_e32 v3, v4, v5
	v_cls_i32_e32 v8, v5
	s_delay_alu instid0(VALU_DEP_2) | instskip(NEXT) | instid1(VALU_DEP_1)
	v_ashrrev_i32_e32 v3, 31, v3
	v_add_nc_u32_e32 v3, 32, v3
	s_delay_alu instid0(VALU_DEP_1) | instskip(NEXT) | instid1(VALU_DEP_1)
	v_add_min_u32_e64 v3, v8, -1, v3
	v_lshlrev_b64_e32 v[4:5], v3, v[4:5]
	v_sub_nc_u32_e32 v3, 32, v3
	s_delay_alu instid0(VALU_DEP_2) | instskip(NEXT) | instid1(VALU_DEP_1)
	v_min_u32_e32 v4, 1, v4
	v_or_b32_e32 v4, v5, v4
	s_delay_alu instid0(VALU_DEP_1) | instskip(NEXT) | instid1(VALU_DEP_1)
	v_cvt_f32_i32_e32 v4, v4
	v_ldexp_f32 v8, v4, v3
	s_branch .LBB151_1571
.LBB151_1568:
                                        ; implicit-def: $vgpr8
	s_branch .LBB151_1577
.LBB151_1569:
	s_mov_b32 s4, -1
                                        ; implicit-def: $vgpr8
	s_branch .LBB151_1574
.LBB151_1570:
	s_mov_b32 s4, -1
                                        ; implicit-def: $vgpr8
.LBB151_1571:
	s_delay_alu instid0(SALU_CYCLE_1)
	s_and_not1_b32 vcc_lo, exec_lo, s4
	s_cbranch_vccnz .LBB151_1573
; %bb.1572:
	global_load_b32 v3, v[6:7], off
	s_wait_loadcnt 0x0
	v_cvt_f32_i32_e32 v8, v3
.LBB151_1573:
	s_mov_b32 s4, 0
.LBB151_1574:
	s_delay_alu instid0(SALU_CYCLE_1)
	s_and_not1_b32 vcc_lo, exec_lo, s4
	s_cbranch_vccnz .LBB151_1576
; %bb.1575:
	global_load_i16 v3, v[6:7], off
	s_wait_loadcnt 0x0
	v_cvt_f32_i32_e32 v8, v3
.LBB151_1576:
	s_cbranch_execnz .LBB151_1582
.LBB151_1577:
	s_sext_i32_i16 s4, s9
	s_delay_alu instid0(SALU_CYCLE_1)
	s_cmp_gt_i32 s4, 0
	s_mov_b32 s4, 0
	s_cbranch_scc0 .LBB151_1579
; %bb.1578:
	global_load_i8 v3, v[6:7], off
	s_wait_loadcnt 0x0
	v_cvt_f32_i32_e32 v8, v3
	s_branch .LBB151_1580
.LBB151_1579:
	s_mov_b32 s4, -1
                                        ; implicit-def: $vgpr8
.LBB151_1580:
	s_delay_alu instid0(SALU_CYCLE_1)
	s_and_not1_b32 vcc_lo, exec_lo, s4
	s_cbranch_vccnz .LBB151_1582
; %bb.1581:
	global_load_u8 v3, v[6:7], off
	s_wait_loadcnt 0x0
	v_cvt_f32_ubyte0_e32 v8, v3
.LBB151_1582:
	s_wait_loadcnt 0x0
	v_mov_b32_e32 v9, 0
.LBB151_1583:
	s_or_b32 s8, s8, exec_lo
.LBB151_1584:
	s_wait_xcnt 0x0
	s_or_b32 exec_lo, exec_lo, s0
	s_mov_b32 s0, 0
	s_mov_b32 s6, 0
                                        ; implicit-def: $sgpr4
                                        ; implicit-def: $vgpr4_vgpr5
                                        ; implicit-def: $vgpr6
                                        ; implicit-def: $vgpr10_vgpr11
	s_and_saveexec_b32 s5, s8
	s_cbranch_execnz .LBB151_1588
; %bb.1585:
	s_or_b32 exec_lo, exec_lo, s5
	s_and_saveexec_b32 s2, s42
	s_cbranch_execnz .LBB151_1669
.LBB151_1586:
	s_or_b32 exec_lo, exec_lo, s2
	s_and_saveexec_b32 s2, s0
	s_delay_alu instid0(SALU_CYCLE_1)
	s_xor_b32 s2, exec_lo, s2
	s_cbranch_execnz .LBB151_1670
.LBB151_1587:
	s_or_b32 exec_lo, exec_lo, s2
	s_and_saveexec_b32 s0, s6
	s_delay_alu instid0(SALU_CYCLE_1)
	s_xor_b32 s0, exec_lo, s0
	s_cbranch_execnz .LBB151_1671
	s_branch .LBB151_1708
.LBB151_1588:
	s_wait_loadcnt 0x0
	v_mov_b64_e32 v[4:5], s[20:21]
	s_delay_alu instid0(VALU_DEP_2) | instskip(SKIP_3) | instid1(VALU_DEP_3)
	v_dual_mov_b32 v10, v9 :: v_dual_mov_b32 v11, v8
	s_and_b32 s4, s2, 0xff
	v_mov_b32_e32 v3, 0
	s_cmp_lt_i32 s4, 11
	v_pk_mul_f32 v[6:7], v[0:1], v[4:5]
	v_pk_mul_f32 v[0:1], v[0:1], v[4:5] op_sel:[0,1] op_sel_hi:[1,0]
	s_delay_alu instid0(VALU_DEP_2) | instskip(NEXT) | instid1(VALU_DEP_2)
	v_add_f32_e32 v4, v6, v7
	v_pk_add_f32 v[0:1], v[0:1], v[0:1] op_sel:[0,1] op_sel_hi:[0,1] neg_lo:[0,1] neg_hi:[0,1]
	s_delay_alu instid0(VALU_DEP_2) | instskip(SKIP_1) | instid1(VALU_DEP_2)
	v_pk_mul_f32 v[6:7], v[4:5], v[10:11] op_sel_hi:[0,1]
	v_add_nc_u64_e32 v[4:5], s[18:19], v[2:3]
	v_pk_fma_f32 v[10:11], v[0:1], v[8:9], v[6:7]
	v_pk_fma_f32 v[6:7], v[0:1], v[8:9], v[6:7] neg_lo:[0,0,1] neg_hi:[0,0,1]
	s_delay_alu instid0(VALU_DEP_2)
	v_mov_b32_e32 v7, v11
	s_cbranch_scc1 .LBB151_1595
; %bb.1589:
	s_and_b32 s2, 0xffff, s4
	s_mov_b32 s6, -1
	s_cmp_gt_i32 s2, 25
	s_mov_b32 s0, s42
	s_cbranch_scc0 .LBB151_1627
; %bb.1590:
	s_cmp_gt_i32 s2, 28
	s_mov_b32 s0, s42
	s_cbranch_scc0 .LBB151_1611
; %bb.1591:
	;; [unrolled: 4-line block ×4, first 2 shown]
	s_cmp_eq_u32 s2, 46
	s_mov_b32 s0, -1
	s_cbranch_scc0 .LBB151_1600
; %bb.1594:
	v_dual_lshrrev_b32 v0, 16, v6 :: v_dual_lshrrev_b32 v1, 16, v11
	v_cmp_o_f32_e32 vcc_lo, v6, v6
	s_mov_b32 s0, 0
	s_mov_b32 s6, 0
	s_delay_alu instid0(VALU_DEP_2) | instskip(NEXT) | instid1(VALU_DEP_1)
	v_and_b32_e32 v0, 1, v0
	v_add3_u32 v0, v6, v0, 0x7fff
	s_delay_alu instid0(VALU_DEP_1) | instskip(NEXT) | instid1(VALU_DEP_1)
	v_dual_lshrrev_b32 v0, 16, v0 :: v_dual_bitop2_b32 v1, 1, v1 bitop3:0x40
	v_add3_u32 v1, v11, v1, 0x7fff
	s_delay_alu instid0(VALU_DEP_2) | instskip(NEXT) | instid1(VALU_DEP_2)
	v_cndmask_b32_e32 v0, 0x7fc0, v0, vcc_lo
	v_and_b32_e32 v1, 0xffff0000, v1
	v_cmp_o_f32_e32 vcc_lo, v11, v11
	s_delay_alu instid0(VALU_DEP_2) | instskip(NEXT) | instid1(VALU_DEP_1)
	v_cndmask_b32_e32 v1, 0x7fc00000, v1, vcc_lo
	v_or_b32_e32 v0, v1, v0
	global_store_b32 v[4:5], v0, off
	s_branch .LBB151_1601
.LBB151_1595:
	s_mov_b32 s7, 0
	s_mov_b32 s6, -1
	s_mov_b32 s0, s42
	s_branch .LBB151_1668
.LBB151_1596:
	s_mov_b32 s6, -1
	s_mov_b32 s8, exec_lo
	v_cmpx_eq_u16_e32 0x80, v3
; %bb.1597:
	s_xor_b32 s6, exec_lo, -1
; %bb.1598:
	s_or_b32 exec_lo, exec_lo, s8
	s_delay_alu instid0(SALU_CYCLE_1)
	s_and_b32 s6, s6, exec_lo
	s_or_saveexec_b32 s7, s7
	v_mov_b32_e32 v8, 0x7f800001
	s_xor_b32 exec_lo, exec_lo, s7
	s_cbranch_execz .LBB151_1507
.LBB151_1599:
	v_cmp_ne_u16_e32 vcc_lo, 0, v3
	v_mov_b32_e32 v8, 0
	s_and_not1_b32 s6, s6, exec_lo
	s_and_b32 s8, vcc_lo, exec_lo
	s_delay_alu instid0(SALU_CYCLE_1)
	s_or_b32 s6, s6, s8
	s_or_b32 exec_lo, exec_lo, s7
	s_and_saveexec_b32 s7, s6
	s_cbranch_execnz .LBB151_1508
	s_branch .LBB151_1509
.LBB151_1600:
	s_mov_b32 s6, 0
.LBB151_1601:
	s_delay_alu instid0(SALU_CYCLE_1)
	s_and_b32 vcc_lo, exec_lo, s6
	s_cbranch_vccz .LBB151_1606
; %bb.1602:
	s_cmp_eq_u32 s2, 44
	s_mov_b32 s0, -1
	s_cbranch_scc0 .LBB151_1606
; %bb.1603:
	v_bfe_u32 v1, v6, 23, 8
	s_wait_xcnt 0x0
	v_mov_b32_e32 v0, 0xff
	s_mov_b32 s6, exec_lo
	s_delay_alu instid0(VALU_DEP_2)
	v_cmpx_ne_u32_e32 0xff, v1
	s_cbranch_execz .LBB151_1605
; %bb.1604:
	v_and_b32_e32 v0, 0x400000, v6
	v_and_or_b32 v1, 0x3fffff, v6, v1
	s_delay_alu instid0(VALU_DEP_2) | instskip(NEXT) | instid1(VALU_DEP_2)
	v_cmp_ne_u32_e32 vcc_lo, 0, v0
	v_cmp_ne_u32_e64 s0, 0, v1
	v_lshrrev_b32_e32 v0, 23, v6
	s_and_b32 s0, vcc_lo, s0
	s_delay_alu instid0(SALU_CYCLE_1) | instskip(NEXT) | instid1(VALU_DEP_1)
	v_cndmask_b32_e64 v1, 0, 1, s0
	v_add_nc_u32_e32 v0, v0, v1
.LBB151_1605:
	s_or_b32 exec_lo, exec_lo, s6
	s_mov_b32 s0, 0
	global_store_b8 v[4:5], v0, off
.LBB151_1606:
	s_mov_b32 s6, 0
.LBB151_1607:
	s_delay_alu instid0(SALU_CYCLE_1)
	s_and_b32 vcc_lo, exec_lo, s6
	s_cbranch_vccz .LBB151_1610
; %bb.1608:
	s_cmp_eq_u32 s2, 29
	s_mov_b32 s0, -1
	s_cbranch_scc0 .LBB151_1610
; %bb.1609:
	s_wait_xcnt 0x0
	v_trunc_f32_e32 v0, v6
	s_mov_b32 s0, 0
	s_mov_b32 s6, 0
	s_delay_alu instid0(VALU_DEP_1) | instskip(NEXT) | instid1(VALU_DEP_1)
	v_mul_f32_e32 v1, 0x2f800000, v0
	v_floor_f32_e32 v1, v1
	s_delay_alu instid0(VALU_DEP_1) | instskip(SKIP_1) | instid1(VALU_DEP_2)
	v_fmamk_f32 v0, v1, 0xcf800000, v0
	v_cvt_u32_f32_e32 v1, v1
	v_cvt_u32_f32_e32 v0, v0
	global_store_b64 v[4:5], v[0:1], off
	s_branch .LBB151_1611
.LBB151_1610:
	s_mov_b32 s6, 0
.LBB151_1611:
	s_delay_alu instid0(SALU_CYCLE_1)
	s_and_b32 vcc_lo, exec_lo, s6
	s_cbranch_vccz .LBB151_1626
; %bb.1612:
	s_cmp_lt_i32 s2, 27
	s_mov_b32 s6, -1
	s_cbranch_scc1 .LBB151_1618
; %bb.1613:
	s_cmp_gt_i32 s2, 27
	s_cbranch_scc0 .LBB151_1615
; %bb.1614:
	s_wait_xcnt 0x0
	v_cvt_u32_f32_e32 v0, v6
	s_mov_b32 s6, 0
	global_store_b32 v[4:5], v0, off
.LBB151_1615:
	s_and_not1_b32 vcc_lo, exec_lo, s6
	s_cbranch_vccnz .LBB151_1617
; %bb.1616:
	s_wait_xcnt 0x0
	v_cvt_u32_f32_e32 v0, v6
	global_store_b16 v[4:5], v0, off
.LBB151_1617:
	s_mov_b32 s6, 0
.LBB151_1618:
	s_delay_alu instid0(SALU_CYCLE_1)
	s_and_not1_b32 vcc_lo, exec_lo, s6
	s_cbranch_vccnz .LBB151_1626
; %bb.1619:
	s_wait_xcnt 0x0
	v_and_b32_e32 v0, 0x7fffffff, v6
	v_mov_b32_e32 v1, 0x80
	s_mov_b32 s6, exec_lo
	s_delay_alu instid0(VALU_DEP_2)
	v_cmpx_gt_u32_e32 0x43800000, v0
	s_cbranch_execz .LBB151_1625
; %bb.1620:
	v_cmp_lt_u32_e32 vcc_lo, 0x3bffffff, v0
	s_mov_b32 s7, 0
                                        ; implicit-def: $vgpr0
	s_and_saveexec_b32 s8, vcc_lo
	s_delay_alu instid0(SALU_CYCLE_1)
	s_xor_b32 s8, exec_lo, s8
	s_cbranch_execnz .LBB151_1785
; %bb.1621:
	s_and_not1_saveexec_b32 s8, s8
	s_cbranch_execnz .LBB151_1786
.LBB151_1622:
	s_or_b32 exec_lo, exec_lo, s8
	v_mov_b32_e32 v1, 0
	s_and_saveexec_b32 s8, s7
.LBB151_1623:
	v_lshrrev_b32_e32 v1, 24, v6
	s_delay_alu instid0(VALU_DEP_1)
	v_and_or_b32 v1, 0x80, v1, v0
.LBB151_1624:
	s_or_b32 exec_lo, exec_lo, s8
.LBB151_1625:
	s_delay_alu instid0(SALU_CYCLE_1)
	s_or_b32 exec_lo, exec_lo, s6
	global_store_b8 v[4:5], v1, off
.LBB151_1626:
	s_mov_b32 s6, 0
.LBB151_1627:
	s_delay_alu instid0(SALU_CYCLE_1)
	s_and_b32 vcc_lo, exec_lo, s6
	s_mov_b32 s6, 0
	s_cbranch_vccz .LBB151_1667
; %bb.1628:
	s_cmp_gt_i32 s2, 22
	s_mov_b32 s7, -1
	s_cbranch_scc0 .LBB151_1660
; %bb.1629:
	s_cmp_lt_i32 s2, 24
	s_cbranch_scc1 .LBB151_1649
; %bb.1630:
	s_cmp_gt_i32 s2, 24
	s_cbranch_scc0 .LBB151_1638
; %bb.1631:
	s_wait_xcnt 0x0
	v_and_b32_e32 v0, 0x7fffffff, v6
	v_mov_b32_e32 v1, 0x80
	s_mov_b32 s7, exec_lo
	s_delay_alu instid0(VALU_DEP_2)
	v_cmpx_gt_u32_e32 0x47800000, v0
	s_cbranch_execz .LBB151_1637
; %bb.1632:
	v_cmp_lt_u32_e32 vcc_lo, 0x37ffffff, v0
	s_mov_b32 s8, 0
                                        ; implicit-def: $vgpr0
	s_and_saveexec_b32 s9, vcc_lo
	s_delay_alu instid0(SALU_CYCLE_1)
	s_xor_b32 s9, exec_lo, s9
	s_cbranch_execnz .LBB151_1920
; %bb.1633:
	s_and_not1_saveexec_b32 s9, s9
	s_cbranch_execnz .LBB151_1921
.LBB151_1634:
	s_or_b32 exec_lo, exec_lo, s9
	v_mov_b32_e32 v1, 0
	s_and_saveexec_b32 s9, s8
.LBB151_1635:
	v_lshrrev_b32_e32 v1, 24, v6
	s_delay_alu instid0(VALU_DEP_1)
	v_and_or_b32 v1, 0x80, v1, v0
.LBB151_1636:
	s_or_b32 exec_lo, exec_lo, s9
.LBB151_1637:
	s_delay_alu instid0(SALU_CYCLE_1)
	s_or_b32 exec_lo, exec_lo, s7
	s_mov_b32 s7, 0
	global_store_b8 v[4:5], v1, off
.LBB151_1638:
	s_and_b32 vcc_lo, exec_lo, s7
	s_cbranch_vccz .LBB151_1648
; %bb.1639:
	s_wait_xcnt 0x0
	v_and_b32_e32 v1, 0x7fffffff, v6
	s_mov_b32 s7, exec_lo
                                        ; implicit-def: $vgpr0
	s_delay_alu instid0(VALU_DEP_1)
	v_cmpx_gt_u32_e32 0x43f00000, v1
	s_xor_b32 s7, exec_lo, s7
	s_cbranch_execz .LBB151_1645
; %bb.1640:
	s_mov_b32 s8, exec_lo
                                        ; implicit-def: $vgpr0
	v_cmpx_lt_u32_e32 0x3c7fffff, v1
	s_xor_b32 s8, exec_lo, s8
; %bb.1641:
	v_bfe_u32 v0, v6, 20, 1
	s_delay_alu instid0(VALU_DEP_1) | instskip(NEXT) | instid1(VALU_DEP_1)
	v_add3_u32 v0, v6, v0, 0x407ffff
	v_and_b32_e32 v1, 0xff00000, v0
	v_lshrrev_b32_e32 v0, 20, v0
	s_delay_alu instid0(VALU_DEP_2) | instskip(NEXT) | instid1(VALU_DEP_2)
	v_cmp_ne_u32_e32 vcc_lo, 0x7f00000, v1
	v_cndmask_b32_e32 v0, 0x7e, v0, vcc_lo
; %bb.1642:
	s_and_not1_saveexec_b32 s8, s8
; %bb.1643:
	v_add_f32_e64 v0, 0x46800000, |v6|
; %bb.1644:
	s_or_b32 exec_lo, exec_lo, s8
                                        ; implicit-def: $vgpr1
.LBB151_1645:
	s_and_not1_saveexec_b32 s7, s7
; %bb.1646:
	v_mov_b32_e32 v0, 0x7f
	v_cmp_lt_u32_e32 vcc_lo, 0x7f800000, v1
	s_delay_alu instid0(VALU_DEP_2)
	v_cndmask_b32_e32 v0, 0x7e, v0, vcc_lo
; %bb.1647:
	s_or_b32 exec_lo, exec_lo, s7
	v_lshrrev_b32_e32 v1, 24, v6
	s_delay_alu instid0(VALU_DEP_1)
	v_and_or_b32 v0, 0x80, v1, v0
	global_store_b8 v[4:5], v0, off
.LBB151_1648:
	s_mov_b32 s7, 0
.LBB151_1649:
	s_delay_alu instid0(SALU_CYCLE_1)
	s_and_not1_b32 vcc_lo, exec_lo, s7
	s_cbranch_vccnz .LBB151_1659
; %bb.1650:
	s_wait_xcnt 0x0
	v_and_b32_e32 v1, 0x7fffffff, v6
	s_mov_b32 s7, exec_lo
                                        ; implicit-def: $vgpr0
	s_delay_alu instid0(VALU_DEP_1)
	v_cmpx_gt_u32_e32 0x47800000, v1
	s_xor_b32 s7, exec_lo, s7
	s_cbranch_execz .LBB151_1656
; %bb.1651:
	s_mov_b32 s8, exec_lo
                                        ; implicit-def: $vgpr0
	v_cmpx_lt_u32_e32 0x387fffff, v1
	s_xor_b32 s8, exec_lo, s8
; %bb.1652:
	v_bfe_u32 v0, v6, 21, 1
	s_delay_alu instid0(VALU_DEP_1) | instskip(NEXT) | instid1(VALU_DEP_1)
	v_add3_u32 v0, v6, v0, 0x80fffff
	v_lshrrev_b32_e32 v0, 21, v0
; %bb.1653:
	s_and_not1_saveexec_b32 s8, s8
; %bb.1654:
	v_add_f32_e64 v0, 0x43000000, |v6|
; %bb.1655:
	s_or_b32 exec_lo, exec_lo, s8
                                        ; implicit-def: $vgpr1
.LBB151_1656:
	s_and_not1_saveexec_b32 s7, s7
; %bb.1657:
	v_mov_b32_e32 v0, 0x7f
	v_cmp_lt_u32_e32 vcc_lo, 0x7f800000, v1
	s_delay_alu instid0(VALU_DEP_2)
	v_cndmask_b32_e32 v0, 0x7c, v0, vcc_lo
; %bb.1658:
	s_or_b32 exec_lo, exec_lo, s7
	v_lshrrev_b32_e32 v1, 24, v6
	s_delay_alu instid0(VALU_DEP_1)
	v_and_or_b32 v0, 0x80, v1, v0
	global_store_b8 v[4:5], v0, off
.LBB151_1659:
	s_mov_b32 s7, 0
.LBB151_1660:
	s_delay_alu instid0(SALU_CYCLE_1)
	s_and_not1_b32 vcc_lo, exec_lo, s7
	s_mov_b32 s7, 0
	s_cbranch_vccnz .LBB151_1668
; %bb.1661:
	s_cmp_gt_i32 s2, 14
	s_mov_b32 s7, -1
	s_cbranch_scc0 .LBB151_1665
; %bb.1662:
	s_cmp_eq_u32 s2, 15
	s_mov_b32 s0, -1
	s_cbranch_scc0 .LBB151_1664
; %bb.1663:
	s_wait_xcnt 0x0
	v_bfe_u32 v0, v6, 16, 1
	v_cmp_o_f32_e32 vcc_lo, v6, v6
	s_mov_b32 s0, 0
	s_delay_alu instid0(VALU_DEP_2) | instskip(NEXT) | instid1(VALU_DEP_1)
	v_add3_u32 v0, v6, v0, 0x7fff
	v_lshrrev_b32_e32 v0, 16, v0
	s_delay_alu instid0(VALU_DEP_1)
	v_cndmask_b32_e32 v0, 0x7fc0, v0, vcc_lo
	global_store_b16 v[4:5], v0, off
.LBB151_1664:
	s_mov_b32 s7, 0
.LBB151_1665:
	s_delay_alu instid0(SALU_CYCLE_1)
	s_and_b32 vcc_lo, exec_lo, s7
	s_mov_b32 s7, 0
	s_cbranch_vccz .LBB151_1668
; %bb.1666:
	s_cmp_lg_u32 s2, 11
	s_mov_b32 s7, -1
	s_cselect_b32 s2, -1, 0
	s_and_not1_b32 s0, s0, exec_lo
	s_and_b32 s2, s2, exec_lo
	s_delay_alu instid0(SALU_CYCLE_1)
	s_or_b32 s0, s0, s2
	s_branch .LBB151_1668
.LBB151_1667:
	s_mov_b32 s7, 0
.LBB151_1668:
	s_and_not1_b32 s2, s42, exec_lo
	s_and_b32 s8, s0, exec_lo
	s_and_b32 s6, s6, exec_lo
	;; [unrolled: 1-line block ×3, first 2 shown]
	s_or_b32 s42, s2, s8
	s_wait_xcnt 0x0
	s_or_b32 exec_lo, exec_lo, s5
	s_and_saveexec_b32 s2, s42
	s_cbranch_execz .LBB151_1586
.LBB151_1669:
	s_or_b32 s1, s1, exec_lo
	s_and_not1_b32 s0, s0, exec_lo
	s_trap 2
	s_or_b32 exec_lo, exec_lo, s2
	s_and_saveexec_b32 s2, s0
	s_delay_alu instid0(SALU_CYCLE_1)
	s_xor_b32 s2, exec_lo, s2
	s_cbranch_execz .LBB151_1587
.LBB151_1670:
	v_cmp_neq_f32_e32 vcc_lo, 0, v6
	v_cmp_neq_f32_e64 s0, 0, v11
	s_or_b32 s0, vcc_lo, s0
	s_wait_loadcnt 0x0
	v_cndmask_b32_e64 v0, 0, 1, s0
	global_store_b8 v[4:5], v0, off
	s_wait_xcnt 0x0
	s_or_b32 exec_lo, exec_lo, s2
	s_and_saveexec_b32 s0, s6
	s_delay_alu instid0(SALU_CYCLE_1)
	s_xor_b32 s0, exec_lo, s0
	s_cbranch_execz .LBB151_1708
.LBB151_1671:
	s_sext_i32_i16 s5, s4
	s_mov_b32 s2, -1
	s_cmp_lt_i32 s5, 5
	s_cbranch_scc1 .LBB151_1692
; %bb.1672:
	s_cmp_lt_i32 s5, 8
	s_cbranch_scc1 .LBB151_1682
; %bb.1673:
	;; [unrolled: 3-line block ×3, first 2 shown]
	s_cmp_gt_i32 s5, 9
	s_cbranch_scc0 .LBB151_1676
; %bb.1675:
	s_wait_loadcnt 0x0
	v_cvt_f64_f32_e32 v[0:1], v6
	v_cvt_f64_f32_e32 v[2:3], v11
	s_mov_b32 s2, 0
	global_store_b128 v[4:5], v[0:3], off
.LBB151_1676:
	s_and_not1_b32 vcc_lo, exec_lo, s2
	s_cbranch_vccnz .LBB151_1678
; %bb.1677:
	s_wait_loadcnt 0x0
	global_store_b64 v[4:5], v[6:7], off
.LBB151_1678:
	s_mov_b32 s2, 0
.LBB151_1679:
	s_delay_alu instid0(SALU_CYCLE_1)
	s_and_not1_b32 vcc_lo, exec_lo, s2
	s_cbranch_vccnz .LBB151_1681
; %bb.1680:
	s_wait_loadcnt 0x0
	v_cvt_f16_f32_e32 v0, v11
	v_cvt_f16_f32_e32 v1, v6
	s_delay_alu instid0(VALU_DEP_2) | instskip(NEXT) | instid1(VALU_DEP_2)
	v_lshlrev_b32_e32 v0, 16, v0
	v_and_b32_e32 v1, 0xffff, v1
	s_delay_alu instid0(VALU_DEP_1)
	v_or_b32_e32 v0, v0, v1
	global_store_b32 v[4:5], v0, off
.LBB151_1681:
	s_mov_b32 s2, 0
.LBB151_1682:
	s_delay_alu instid0(SALU_CYCLE_1)
	s_and_not1_b32 vcc_lo, exec_lo, s2
	s_cbranch_vccnz .LBB151_1691
; %bb.1683:
	s_sext_i32_i16 s5, s4
	s_mov_b32 s2, -1
	s_cmp_lt_i32 s5, 6
	s_cbranch_scc1 .LBB151_1689
; %bb.1684:
	s_cmp_gt_i32 s5, 6
	s_cbranch_scc0 .LBB151_1686
; %bb.1685:
	s_wait_loadcnt 0x0
	v_cvt_f64_f32_e32 v[0:1], v6
	s_mov_b32 s2, 0
	global_store_b64 v[4:5], v[0:1], off
.LBB151_1686:
	s_and_not1_b32 vcc_lo, exec_lo, s2
	s_cbranch_vccnz .LBB151_1688
; %bb.1687:
	s_wait_loadcnt 0x0
	global_store_b32 v[4:5], v6, off
.LBB151_1688:
	s_mov_b32 s2, 0
.LBB151_1689:
	s_delay_alu instid0(SALU_CYCLE_1)
	s_and_not1_b32 vcc_lo, exec_lo, s2
	s_cbranch_vccnz .LBB151_1691
; %bb.1690:
	s_wait_loadcnt 0x0
	v_cvt_f16_f32_e32 v0, v6
	global_store_b16 v[4:5], v0, off
.LBB151_1691:
	s_mov_b32 s2, 0
.LBB151_1692:
	s_delay_alu instid0(SALU_CYCLE_1)
	s_and_not1_b32 vcc_lo, exec_lo, s2
	s_cbranch_vccnz .LBB151_1708
; %bb.1693:
	s_sext_i32_i16 s5, s4
	s_mov_b32 s2, -1
	s_cmp_lt_i32 s5, 2
	s_cbranch_scc1 .LBB151_1703
; %bb.1694:
	s_cmp_lt_i32 s5, 3
	s_cbranch_scc1 .LBB151_1700
; %bb.1695:
	s_cmp_gt_i32 s5, 3
	s_cbranch_scc0 .LBB151_1697
; %bb.1696:
	s_wait_loadcnt 0x0
	v_trunc_f32_e32 v0, v6
	s_mov_b32 s2, 0
	s_delay_alu instid0(VALU_DEP_1) | instskip(NEXT) | instid1(VALU_DEP_1)
	v_mul_f32_e64 v1, 0x2f800000, |v0|
	v_floor_f32_e32 v1, v1
	s_delay_alu instid0(VALU_DEP_1) | instskip(SKIP_2) | instid1(VALU_DEP_3)
	v_fma_f32 v2, 0xcf800000, v1, |v0|
	v_ashrrev_i32_e32 v0, 31, v0
	v_cvt_u32_f32_e32 v3, v1
	v_cvt_u32_f32_e32 v2, v2
	s_delay_alu instid0(VALU_DEP_2) | instskip(NEXT) | instid1(VALU_DEP_2)
	v_dual_mov_b32 v1, v0 :: v_dual_bitop2_b32 v3, v3, v0 bitop3:0x14
	v_xor_b32_e32 v2, v2, v0
	s_delay_alu instid0(VALU_DEP_1)
	v_sub_nc_u64_e32 v[0:1], v[2:3], v[0:1]
	global_store_b64 v[4:5], v[0:1], off
.LBB151_1697:
	s_and_not1_b32 vcc_lo, exec_lo, s2
	s_cbranch_vccnz .LBB151_1699
; %bb.1698:
	s_wait_loadcnt 0x0
	v_cvt_i32_f32_e32 v0, v6
	global_store_b32 v[4:5], v0, off
.LBB151_1699:
	s_mov_b32 s2, 0
.LBB151_1700:
	s_delay_alu instid0(SALU_CYCLE_1)
	s_and_not1_b32 vcc_lo, exec_lo, s2
	s_cbranch_vccnz .LBB151_1702
; %bb.1701:
	s_wait_loadcnt 0x0
	v_cvt_i32_f32_e32 v0, v6
	global_store_b16 v[4:5], v0, off
.LBB151_1702:
	s_mov_b32 s2, 0
.LBB151_1703:
	s_delay_alu instid0(SALU_CYCLE_1)
	s_and_not1_b32 vcc_lo, exec_lo, s2
	s_cbranch_vccnz .LBB151_1708
; %bb.1704:
	s_sext_i32_i16 s2, s4
	s_delay_alu instid0(SALU_CYCLE_1)
	s_cmp_gt_i32 s2, 0
	s_mov_b32 s2, -1
	s_cbranch_scc0 .LBB151_1706
; %bb.1705:
	s_wait_loadcnt 0x0
	v_cvt_i32_f32_e32 v0, v6
	s_mov_b32 s2, 0
	global_store_b8 v[4:5], v0, off
.LBB151_1706:
	s_and_not1_b32 vcc_lo, exec_lo, s2
	s_cbranch_vccnz .LBB151_1708
; %bb.1707:
	s_wait_loadcnt 0x0
	v_trunc_f32_e32 v0, v6
	s_delay_alu instid0(VALU_DEP_1) | instskip(NEXT) | instid1(VALU_DEP_1)
	v_mul_f32_e64 v1, 0x2f800000, |v0|
	v_floor_f32_e32 v1, v1
	s_delay_alu instid0(VALU_DEP_1) | instskip(SKIP_1) | instid1(VALU_DEP_2)
	v_fma_f32 v1, 0xcf800000, v1, |v0|
	v_ashrrev_i32_e32 v0, 31, v0
	v_cvt_u32_f32_e32 v1, v1
	s_delay_alu instid0(VALU_DEP_1) | instskip(NEXT) | instid1(VALU_DEP_1)
	v_xor_b32_e32 v1, v1, v0
	v_sub_nc_u32_e32 v0, v1, v0
	global_store_b8 v[4:5], v0, off
.LBB151_1708:
	s_wait_xcnt 0x0
	s_or_b32 exec_lo, exec_lo, s0
	s_delay_alu instid0(SALU_CYCLE_1)
	s_and_b32 s7, s1, exec_lo
                                        ; implicit-def: $vgpr1
                                        ; implicit-def: $vgpr0
.LBB151_1709:
	s_or_saveexec_b32 s10, s35
	s_mov_b32 s4, 0
                                        ; implicit-def: $vgpr2_vgpr3
                                        ; implicit-def: $sgpr1
                                        ; implicit-def: $vgpr4_vgpr5
                                        ; implicit-def: $vgpr6_vgpr7
	s_xor_b32 exec_lo, exec_lo, s10
	s_cbranch_execz .LBB151_3360
; %bb.1710:
	v_cndmask_b32_e64 v3, 0, 1, s34
	s_and_not1_b32 vcc_lo, exec_lo, s34
	s_cbranch_vccnz .LBB151_1716
; %bb.1711:
	s_cmp_lg_u32 s15, 0
	s_cbranch_scc0 .LBB151_1720
; %bb.1712:
	s_min_u32 s5, s33, 15
	s_wait_loadcnt 0x0
	v_dual_mov_b32 v6, 0 :: v_dual_mov_b32 v2, v0
	v_dual_mov_b32 v8, 0 :: v_dual_mov_b32 v12, 0
	s_add_co_i32 s2, s5, 1
	s_mov_b64 s[0:1], 0xffffffffffffffe0
	s_and_b32 s6, s2, 30
	s_add_nc_u64 s[0:1], s[16:17], s[0:1]
	s_mov_b64 s[2:3], s[16:17]
.LBB151_1713:                           ; =>This Inner Loop Header: Depth=1
	s_clause 0x1
	s_load_b128 s[20:23], s[2:3], 0x4
	s_load_b64 s[8:9], s[2:3], 0x14
	s_clause 0x1
	s_load_b32 s11, s[0:1], 0xe4
	s_load_b96 s[12:14], s[0:1], 0xec
	s_add_co_i32 s6, s6, -2
	s_wait_xcnt 0x0
	s_add_nc_u64 s[2:3], s[2:3], 24
	s_cmp_lg_u32 s6, 0
	s_wait_kmcnt 0x0
	v_mul_hi_u32 v4, s21, v2
	s_delay_alu instid0(VALU_DEP_1) | instskip(NEXT) | instid1(VALU_DEP_1)
	v_add_nc_u32_e32 v4, v2, v4
	v_lshrrev_b32_e32 v4, s22, v4
	s_delay_alu instid0(VALU_DEP_1) | instskip(SKIP_1) | instid1(VALU_DEP_1)
	v_mul_hi_u32 v5, s8, v4
	v_mul_lo_u32 v7, v4, s20
	v_dual_add_nc_u32 v5, v4, v5 :: v_dual_sub_nc_u32 v7, v2, v7
	s_delay_alu instid0(VALU_DEP_1) | instskip(SKIP_1) | instid1(VALU_DEP_2)
	v_lshrrev_b32_e32 v2, s9, v5
	s_load_b64 s[8:9], s[0:1], 0xfc
	v_mad_u32 v6, v7, s11, v6
	v_mad_u32 v9, v7, s13, v12
	;; [unrolled: 1-line block ×3, first 2 shown]
	v_mul_lo_u32 v5, v2, s23
	s_wait_xcnt 0x0
	s_add_nc_u64 s[0:1], s[0:1], 32
	s_delay_alu instid0(VALU_DEP_1) | instskip(NEXT) | instid1(VALU_DEP_1)
	v_sub_nc_u32_e32 v4, v4, v5
	v_mad_u32 v6, v4, s14, v6
	s_wait_kmcnt 0x0
	v_mad_u32 v12, v4, s9, v9
	v_mad_u32 v8, v4, s8, v7
	s_cbranch_scc1 .LBB151_1713
; %bb.1714:
	s_bitcmp1_b32 s5, 0
	s_cselect_b32 s5, -1, 0
	s_delay_alu instid0(SALU_CYCLE_1)
	s_and_b32 vcc_lo, exec_lo, s5
	s_cbranch_vccnz .LBB151_1717
; %bb.1715:
	s_load_b96 s[12:14], s[2:3], 0x4
	s_load_b32 s5, s[0:1], 0xe4
	s_wait_xcnt 0x0
	s_load_b64 s[2:3], s[0:1], 0xec
	s_wait_kmcnt 0x0
	v_mul_hi_u32 v4, s13, v2
	s_delay_alu instid0(VALU_DEP_1) | instskip(NEXT) | instid1(VALU_DEP_1)
	v_add_nc_u32_e32 v4, v2, v4
	v_lshrrev_b32_e32 v4, s14, v4
	s_delay_alu instid0(VALU_DEP_1) | instskip(NEXT) | instid1(VALU_DEP_1)
	v_mul_lo_u32 v4, v4, s12
	v_sub_nc_u32_e32 v2, v2, v4
	s_delay_alu instid0(VALU_DEP_1)
	v_mad_u32 v6, v2, s5, v6
	v_mad_u32 v8, v2, s2, v8
	v_mad_u32 v12, v2, s3, v12
	s_and_not1_b32 vcc_lo, exec_lo, s4
	s_cbranch_vccz .LBB151_1718
	s_branch .LBB151_1721
.LBB151_1716:
	s_mov_b32 s4, -1
                                        ; implicit-def: $vgpr12
                                        ; implicit-def: $vgpr8
                                        ; implicit-def: $vgpr6
.LBB151_1717:
	s_delay_alu instid0(SALU_CYCLE_1)
	s_and_not1_b32 vcc_lo, exec_lo, s4
	s_cbranch_vccnz .LBB151_1721
.LBB151_1718:
	s_clause 0x2
	s_load_b96 s[0:2], s[16:17], 0x4
	s_load_b32 s3, s[16:17], 0xc4
	s_load_b64 s[4:5], s[16:17], 0xcc
	s_cmp_lt_u32 s15, 2
	s_wait_loadcnt 0x0
	s_wait_kmcnt 0x0
	v_mul_hi_u32 v2, s1, v0
	s_delay_alu instid0(VALU_DEP_1) | instskip(NEXT) | instid1(VALU_DEP_1)
	v_add_nc_u32_e32 v2, v0, v2
	v_lshrrev_b32_e32 v2, s2, v2
	s_delay_alu instid0(VALU_DEP_1) | instskip(NEXT) | instid1(VALU_DEP_1)
	v_mul_lo_u32 v4, v2, s0
	v_sub_nc_u32_e32 v4, v0, v4
	s_delay_alu instid0(VALU_DEP_1)
	v_mul_lo_u32 v6, v4, s3
	v_mul_lo_u32 v12, v4, s5
	v_mul_lo_u32 v8, v4, s4
	s_cbranch_scc1 .LBB151_1721
; %bb.1719:
	s_clause 0x2
	s_load_b96 s[0:2], s[16:17], 0x10
	s_load_b32 s3, s[16:17], 0xd4
	s_load_b64 s[4:5], s[16:17], 0xdc
	s_wait_kmcnt 0x0
	v_mul_hi_u32 v4, s1, v2
	s_delay_alu instid0(VALU_DEP_1) | instskip(NEXT) | instid1(VALU_DEP_1)
	v_add_nc_u32_e32 v4, v2, v4
	v_lshrrev_b32_e32 v4, s2, v4
	s_delay_alu instid0(VALU_DEP_1) | instskip(NEXT) | instid1(VALU_DEP_1)
	v_mul_lo_u32 v4, v4, s0
	v_sub_nc_u32_e32 v2, v2, v4
	s_delay_alu instid0(VALU_DEP_1)
	v_mad_u32 v6, v2, s3, v6
	v_mad_u32 v8, v2, s4, v8
	;; [unrolled: 1-line block ×3, first 2 shown]
	s_branch .LBB151_1721
.LBB151_1720:
	s_wait_loadcnt 0x0
	v_dual_mov_b32 v12, 0 :: v_dual_mov_b32 v8, 0
	v_mov_b32_e32 v6, 0
	s_and_not1_b32 vcc_lo, exec_lo, s4
	s_cbranch_vccz .LBB151_1718
.LBB151_1721:
	v_cmp_ne_u32_e32 vcc_lo, 1, v3
	s_wait_loadcnt 0x0
	v_add_nc_u32_e32 v2, 0x80, v0
	s_cbranch_vccnz .LBB151_1727
; %bb.1722:
	s_cmp_lg_u32 s15, 0
	s_mov_b32 s4, 0
	s_cbranch_scc0 .LBB151_1731
; %bb.1723:
	s_min_u32 s5, s33, 15
	v_dual_mov_b32 v4, 0 :: v_dual_mov_b32 v5, v2
	v_dual_mov_b32 v14, 0 :: v_dual_mov_b32 v18, 0
	s_add_co_i32 s2, s5, 1
	s_mov_b64 s[0:1], 0xffffffffffffffe0
	s_and_b32 s6, s2, 30
	s_add_nc_u64 s[0:1], s[16:17], s[0:1]
	s_mov_b64 s[2:3], s[16:17]
.LBB151_1724:                           ; =>This Inner Loop Header: Depth=1
	s_clause 0x1
	s_load_b128 s[20:23], s[2:3], 0x4
	s_load_b64 s[8:9], s[2:3], 0x14
	s_clause 0x1
	s_load_b32 s11, s[0:1], 0xe4
	s_load_b96 s[12:14], s[0:1], 0xec
	s_add_co_i32 s6, s6, -2
	s_wait_xcnt 0x0
	s_add_nc_u64 s[2:3], s[2:3], 24
	s_cmp_lg_u32 s6, 0
	s_wait_kmcnt 0x0
	v_mul_hi_u32 v7, s21, v5
	s_delay_alu instid0(VALU_DEP_1) | instskip(NEXT) | instid1(VALU_DEP_1)
	v_add_nc_u32_e32 v7, v5, v7
	v_lshrrev_b32_e32 v7, s22, v7
	s_delay_alu instid0(VALU_DEP_1) | instskip(SKIP_1) | instid1(VALU_DEP_1)
	v_mul_hi_u32 v9, s8, v7
	v_mul_lo_u32 v10, v7, s20
	v_dual_add_nc_u32 v9, v7, v9 :: v_dual_sub_nc_u32 v10, v5, v10
	s_delay_alu instid0(VALU_DEP_1) | instskip(SKIP_1) | instid1(VALU_DEP_2)
	v_lshrrev_b32_e32 v5, s9, v9
	s_load_b64 s[8:9], s[0:1], 0xfc
	v_mad_u32 v4, v10, s11, v4
	v_mad_u32 v11, v10, s13, v18
	;; [unrolled: 1-line block ×3, first 2 shown]
	v_mul_lo_u32 v9, v5, s23
	s_wait_xcnt 0x0
	s_add_nc_u64 s[0:1], s[0:1], 32
	s_delay_alu instid0(VALU_DEP_1) | instskip(NEXT) | instid1(VALU_DEP_1)
	v_sub_nc_u32_e32 v7, v7, v9
	v_mad_u32 v4, v7, s14, v4
	s_wait_kmcnt 0x0
	v_mad_u32 v18, v7, s9, v11
	v_mad_u32 v14, v7, s8, v10
	s_cbranch_scc1 .LBB151_1724
; %bb.1725:
	s_bitcmp1_b32 s5, 0
	s_cselect_b32 s5, -1, 0
	s_delay_alu instid0(SALU_CYCLE_1)
	s_and_b32 vcc_lo, exec_lo, s5
	s_cbranch_vccnz .LBB151_1728
; %bb.1726:
	s_load_b96 s[12:14], s[2:3], 0x4
	s_load_b32 s5, s[0:1], 0xe4
	s_wait_xcnt 0x0
	s_load_b64 s[2:3], s[0:1], 0xec
	s_wait_kmcnt 0x0
	v_mul_hi_u32 v7, s13, v5
	s_delay_alu instid0(VALU_DEP_1) | instskip(NEXT) | instid1(VALU_DEP_1)
	v_add_nc_u32_e32 v7, v5, v7
	v_lshrrev_b32_e32 v7, s14, v7
	s_delay_alu instid0(VALU_DEP_1) | instskip(NEXT) | instid1(VALU_DEP_1)
	v_mul_lo_u32 v7, v7, s12
	v_sub_nc_u32_e32 v5, v5, v7
	s_delay_alu instid0(VALU_DEP_1)
	v_mad_u32 v4, v5, s5, v4
	v_mad_u32 v14, v5, s2, v14
	;; [unrolled: 1-line block ×3, first 2 shown]
	s_and_not1_b32 vcc_lo, exec_lo, s4
	s_cbranch_vccz .LBB151_1729
	s_branch .LBB151_1732
.LBB151_1727:
	s_mov_b32 s4, -1
                                        ; implicit-def: $vgpr18
                                        ; implicit-def: $vgpr14
                                        ; implicit-def: $vgpr4
.LBB151_1728:
	s_delay_alu instid0(SALU_CYCLE_1)
	s_and_not1_b32 vcc_lo, exec_lo, s4
	s_cbranch_vccnz .LBB151_1732
.LBB151_1729:
	s_clause 0x2
	s_load_b96 s[0:2], s[16:17], 0x4
	s_load_b32 s3, s[16:17], 0xc4
	s_load_b64 s[4:5], s[16:17], 0xcc
	s_cmp_lt_u32 s15, 2
	s_wait_kmcnt 0x0
	v_mul_hi_u32 v4, s1, v2
	s_delay_alu instid0(VALU_DEP_1) | instskip(NEXT) | instid1(VALU_DEP_1)
	v_add_nc_u32_e32 v4, v2, v4
	v_lshrrev_b32_e32 v5, s2, v4
	s_delay_alu instid0(VALU_DEP_1) | instskip(NEXT) | instid1(VALU_DEP_1)
	v_mul_lo_u32 v4, v5, s0
	v_sub_nc_u32_e32 v2, v2, v4
	s_delay_alu instid0(VALU_DEP_1)
	v_mul_lo_u32 v4, v2, s3
	v_mul_lo_u32 v18, v2, s5
	;; [unrolled: 1-line block ×3, first 2 shown]
	s_cbranch_scc1 .LBB151_1732
; %bb.1730:
	s_clause 0x2
	s_load_b96 s[0:2], s[16:17], 0x10
	s_load_b32 s3, s[16:17], 0xd4
	s_load_b64 s[4:5], s[16:17], 0xdc
	s_wait_kmcnt 0x0
	v_mul_hi_u32 v2, s1, v5
	s_delay_alu instid0(VALU_DEP_1) | instskip(NEXT) | instid1(VALU_DEP_1)
	v_add_nc_u32_e32 v2, v5, v2
	v_lshrrev_b32_e32 v2, s2, v2
	s_delay_alu instid0(VALU_DEP_1) | instskip(NEXT) | instid1(VALU_DEP_1)
	v_mul_lo_u32 v2, v2, s0
	v_sub_nc_u32_e32 v2, v5, v2
	s_delay_alu instid0(VALU_DEP_1)
	v_mad_u32 v4, v2, s3, v4
	v_mad_u32 v14, v2, s4, v14
	;; [unrolled: 1-line block ×3, first 2 shown]
	s_branch .LBB151_1732
.LBB151_1731:
	v_dual_mov_b32 v18, 0 :: v_dual_mov_b32 v14, 0
	v_mov_b32_e32 v4, 0
	s_and_not1_b32 vcc_lo, exec_lo, s4
	s_cbranch_vccz .LBB151_1729
.LBB151_1732:
	v_cmp_ne_u32_e32 vcc_lo, 1, v3
	v_add_nc_u32_e32 v0, 0x100, v0
	s_cbranch_vccnz .LBB151_1738
; %bb.1733:
	s_cmp_lg_u32 s15, 0
	s_mov_b32 s4, 0
	s_cbranch_scc0 .LBB151_1742
; %bb.1734:
	s_min_u32 s5, s33, 15
	v_dual_mov_b32 v2, 0 :: v_dual_mov_b32 v5, v0
	v_dual_mov_b32 v22, 0 :: v_dual_mov_b32 v20, 0
	s_add_co_i32 s2, s5, 1
	s_mov_b64 s[0:1], 0xffffffffffffffe0
	s_and_b32 s6, s2, 30
	s_add_nc_u64 s[0:1], s[16:17], s[0:1]
	s_mov_b64 s[2:3], s[16:17]
.LBB151_1735:                           ; =>This Inner Loop Header: Depth=1
	s_clause 0x1
	s_load_b128 s[20:23], s[2:3], 0x4
	s_load_b64 s[8:9], s[2:3], 0x14
	s_clause 0x1
	s_load_b32 s11, s[0:1], 0xe4
	s_load_b96 s[12:14], s[0:1], 0xec
	s_add_co_i32 s6, s6, -2
	s_wait_xcnt 0x0
	s_add_nc_u64 s[2:3], s[2:3], 24
	s_cmp_lg_u32 s6, 0
	s_wait_kmcnt 0x0
	v_mul_hi_u32 v7, s21, v5
	s_delay_alu instid0(VALU_DEP_1) | instskip(NEXT) | instid1(VALU_DEP_1)
	v_add_nc_u32_e32 v7, v5, v7
	v_lshrrev_b32_e32 v7, s22, v7
	s_delay_alu instid0(VALU_DEP_1) | instskip(SKIP_1) | instid1(VALU_DEP_1)
	v_mul_hi_u32 v9, s8, v7
	v_mul_lo_u32 v10, v7, s20
	v_dual_add_nc_u32 v9, v7, v9 :: v_dual_sub_nc_u32 v10, v5, v10
	s_delay_alu instid0(VALU_DEP_1) | instskip(SKIP_1) | instid1(VALU_DEP_2)
	v_lshrrev_b32_e32 v5, s9, v9
	s_load_b64 s[8:9], s[0:1], 0xfc
	v_mad_u32 v2, v10, s11, v2
	v_mad_u32 v11, v10, s13, v20
	;; [unrolled: 1-line block ×3, first 2 shown]
	v_mul_lo_u32 v9, v5, s23
	s_wait_xcnt 0x0
	s_add_nc_u64 s[0:1], s[0:1], 32
	s_delay_alu instid0(VALU_DEP_1) | instskip(NEXT) | instid1(VALU_DEP_1)
	v_sub_nc_u32_e32 v7, v7, v9
	v_mad_u32 v2, v7, s14, v2
	s_wait_kmcnt 0x0
	v_mad_u32 v20, v7, s9, v11
	v_mad_u32 v22, v7, s8, v10
	s_cbranch_scc1 .LBB151_1735
; %bb.1736:
	s_bitcmp1_b32 s5, 0
	s_cselect_b32 s5, -1, 0
	s_delay_alu instid0(SALU_CYCLE_1)
	s_and_b32 vcc_lo, exec_lo, s5
	s_cbranch_vccnz .LBB151_1739
; %bb.1737:
	s_load_b96 s[12:14], s[2:3], 0x4
	s_load_b32 s5, s[0:1], 0xe4
	s_wait_xcnt 0x0
	s_load_b64 s[2:3], s[0:1], 0xec
	s_wait_kmcnt 0x0
	v_mul_hi_u32 v7, s13, v5
	s_delay_alu instid0(VALU_DEP_1) | instskip(NEXT) | instid1(VALU_DEP_1)
	v_add_nc_u32_e32 v7, v5, v7
	v_lshrrev_b32_e32 v7, s14, v7
	s_delay_alu instid0(VALU_DEP_1) | instskip(NEXT) | instid1(VALU_DEP_1)
	v_mul_lo_u32 v7, v7, s12
	v_sub_nc_u32_e32 v5, v5, v7
	s_delay_alu instid0(VALU_DEP_1)
	v_mad_u32 v2, v5, s5, v2
	v_mad_u32 v22, v5, s2, v22
	;; [unrolled: 1-line block ×3, first 2 shown]
	s_and_not1_b32 vcc_lo, exec_lo, s4
	s_cbranch_vccz .LBB151_1740
	s_branch .LBB151_1743
.LBB151_1738:
	s_mov_b32 s4, -1
                                        ; implicit-def: $vgpr20
                                        ; implicit-def: $vgpr22
                                        ; implicit-def: $vgpr2
.LBB151_1739:
	s_delay_alu instid0(SALU_CYCLE_1)
	s_and_not1_b32 vcc_lo, exec_lo, s4
	s_cbranch_vccnz .LBB151_1743
.LBB151_1740:
	s_clause 0x2
	s_load_b96 s[0:2], s[16:17], 0x4
	s_load_b32 s3, s[16:17], 0xc4
	s_load_b64 s[4:5], s[16:17], 0xcc
	s_cmp_lt_u32 s15, 2
	s_wait_kmcnt 0x0
	v_mul_hi_u32 v2, s1, v0
	s_delay_alu instid0(VALU_DEP_1) | instskip(NEXT) | instid1(VALU_DEP_1)
	v_add_nc_u32_e32 v2, v0, v2
	v_lshrrev_b32_e32 v5, s2, v2
	s_delay_alu instid0(VALU_DEP_1) | instskip(NEXT) | instid1(VALU_DEP_1)
	v_mul_lo_u32 v2, v5, s0
	v_sub_nc_u32_e32 v0, v0, v2
	s_delay_alu instid0(VALU_DEP_1)
	v_mul_lo_u32 v2, v0, s3
	v_mul_lo_u32 v20, v0, s5
	;; [unrolled: 1-line block ×3, first 2 shown]
	s_cbranch_scc1 .LBB151_1743
; %bb.1741:
	s_clause 0x2
	s_load_b96 s[0:2], s[16:17], 0x10
	s_load_b32 s3, s[16:17], 0xd4
	s_load_b64 s[4:5], s[16:17], 0xdc
	s_wait_kmcnt 0x0
	v_mul_hi_u32 v0, s1, v5
	s_delay_alu instid0(VALU_DEP_1) | instskip(NEXT) | instid1(VALU_DEP_1)
	v_add_nc_u32_e32 v0, v5, v0
	v_lshrrev_b32_e32 v0, s2, v0
	s_delay_alu instid0(VALU_DEP_1) | instskip(NEXT) | instid1(VALU_DEP_1)
	v_mul_lo_u32 v0, v0, s0
	v_sub_nc_u32_e32 v0, v5, v0
	s_delay_alu instid0(VALU_DEP_1)
	v_mad_u32 v2, v0, s3, v2
	v_mad_u32 v22, v0, s4, v22
	;; [unrolled: 1-line block ×3, first 2 shown]
	s_branch .LBB151_1743
.LBB151_1742:
	v_dual_mov_b32 v20, 0 :: v_dual_mov_b32 v22, 0
	v_mov_b32_e32 v2, 0
	s_and_not1_b32 vcc_lo, exec_lo, s4
	s_cbranch_vccz .LBB151_1740
.LBB151_1743:
	v_cmp_ne_u32_e32 vcc_lo, 1, v3
	s_cbranch_vccnz .LBB151_1749
; %bb.1744:
	s_cmp_lg_u32 s15, 0
	s_mov_b32 s4, 0
	s_cbranch_scc0 .LBB151_1753
; %bb.1745:
	s_min_u32 s5, s33, 15
	v_dual_mov_b32 v0, 0 :: v_dual_mov_b32 v3, v1
	v_dual_mov_b32 v16, 0 :: v_dual_mov_b32 v10, 0
	s_add_co_i32 s2, s5, 1
	s_mov_b64 s[0:1], 0xffffffffffffffe0
	s_and_b32 s6, s2, 30
	s_add_nc_u64 s[0:1], s[16:17], s[0:1]
	s_mov_b64 s[2:3], s[16:17]
.LBB151_1746:                           ; =>This Inner Loop Header: Depth=1
	s_clause 0x1
	s_load_b128 s[20:23], s[2:3], 0x4
	s_load_b64 s[8:9], s[2:3], 0x14
	s_clause 0x1
	s_load_b32 s11, s[0:1], 0xe4
	s_load_b96 s[12:14], s[0:1], 0xec
	s_add_co_i32 s6, s6, -2
	s_wait_xcnt 0x0
	s_add_nc_u64 s[2:3], s[2:3], 24
	s_cmp_lg_u32 s6, 0
	s_wait_kmcnt 0x0
	v_mul_hi_u32 v5, s21, v3
	s_delay_alu instid0(VALU_DEP_1) | instskip(NEXT) | instid1(VALU_DEP_1)
	v_add_nc_u32_e32 v5, v3, v5
	v_lshrrev_b32_e32 v5, s22, v5
	s_delay_alu instid0(VALU_DEP_1) | instskip(SKIP_1) | instid1(VALU_DEP_1)
	v_mul_hi_u32 v7, s8, v5
	v_mul_lo_u32 v9, v5, s20
	v_dual_add_nc_u32 v7, v5, v7 :: v_dual_sub_nc_u32 v9, v3, v9
	s_delay_alu instid0(VALU_DEP_1) | instskip(SKIP_1) | instid1(VALU_DEP_2)
	v_lshrrev_b32_e32 v3, s9, v7
	s_load_b64 s[8:9], s[0:1], 0xfc
	v_mad_u32 v0, v9, s11, v0
	v_mad_u32 v10, v9, s13, v10
	v_mad_u32 v9, v9, s12, v16
	v_mul_lo_u32 v7, v3, s23
	s_wait_xcnt 0x0
	s_add_nc_u64 s[0:1], s[0:1], 32
	s_delay_alu instid0(VALU_DEP_1) | instskip(NEXT) | instid1(VALU_DEP_1)
	v_sub_nc_u32_e32 v5, v5, v7
	v_mad_u32 v0, v5, s14, v0
	s_wait_kmcnt 0x0
	v_mad_u32 v10, v5, s9, v10
	v_mad_u32 v16, v5, s8, v9
	s_cbranch_scc1 .LBB151_1746
; %bb.1747:
	s_bitcmp1_b32 s5, 0
	s_cselect_b32 s5, -1, 0
	s_delay_alu instid0(SALU_CYCLE_1)
	s_and_b32 vcc_lo, exec_lo, s5
	s_cbranch_vccnz .LBB151_1750
; %bb.1748:
	s_load_b96 s[12:14], s[2:3], 0x4
	s_load_b32 s5, s[0:1], 0xe4
	s_wait_xcnt 0x0
	s_load_b64 s[2:3], s[0:1], 0xec
	s_wait_kmcnt 0x0
	v_mul_hi_u32 v5, s13, v3
	s_delay_alu instid0(VALU_DEP_1) | instskip(NEXT) | instid1(VALU_DEP_1)
	v_add_nc_u32_e32 v5, v3, v5
	v_lshrrev_b32_e32 v5, s14, v5
	s_delay_alu instid0(VALU_DEP_1) | instskip(NEXT) | instid1(VALU_DEP_1)
	v_mul_lo_u32 v5, v5, s12
	v_sub_nc_u32_e32 v3, v3, v5
	s_delay_alu instid0(VALU_DEP_1)
	v_mad_u32 v0, v3, s5, v0
	v_mad_u32 v16, v3, s2, v16
	;; [unrolled: 1-line block ×3, first 2 shown]
	s_and_not1_b32 vcc_lo, exec_lo, s4
	s_cbranch_vccz .LBB151_1751
	s_branch .LBB151_1754
.LBB151_1749:
	s_mov_b32 s4, -1
                                        ; implicit-def: $vgpr10
                                        ; implicit-def: $vgpr16
                                        ; implicit-def: $vgpr0
.LBB151_1750:
	s_delay_alu instid0(SALU_CYCLE_1)
	s_and_not1_b32 vcc_lo, exec_lo, s4
	s_cbranch_vccnz .LBB151_1754
.LBB151_1751:
	s_clause 0x2
	s_load_b96 s[0:2], s[16:17], 0x4
	s_load_b32 s3, s[16:17], 0xc4
	s_load_b64 s[4:5], s[16:17], 0xcc
	s_cmp_lt_u32 s15, 2
	s_wait_kmcnt 0x0
	v_mul_hi_u32 v0, s1, v1
	s_delay_alu instid0(VALU_DEP_1) | instskip(NEXT) | instid1(VALU_DEP_1)
	v_add_nc_u32_e32 v0, v1, v0
	v_lshrrev_b32_e32 v3, s2, v0
	s_delay_alu instid0(VALU_DEP_1) | instskip(NEXT) | instid1(VALU_DEP_1)
	v_mul_lo_u32 v0, v3, s0
	v_sub_nc_u32_e32 v1, v1, v0
	s_delay_alu instid0(VALU_DEP_1)
	v_mul_lo_u32 v0, v1, s3
	v_mul_lo_u32 v10, v1, s5
	;; [unrolled: 1-line block ×3, first 2 shown]
	s_cbranch_scc1 .LBB151_1754
; %bb.1752:
	s_clause 0x2
	s_load_b96 s[0:2], s[16:17], 0x10
	s_load_b32 s3, s[16:17], 0xd4
	s_load_b64 s[4:5], s[16:17], 0xdc
	s_wait_kmcnt 0x0
	v_mul_hi_u32 v1, s1, v3
	s_delay_alu instid0(VALU_DEP_1) | instskip(NEXT) | instid1(VALU_DEP_1)
	v_add_nc_u32_e32 v1, v3, v1
	v_lshrrev_b32_e32 v1, s2, v1
	s_delay_alu instid0(VALU_DEP_1) | instskip(NEXT) | instid1(VALU_DEP_1)
	v_mul_lo_u32 v1, v1, s0
	v_sub_nc_u32_e32 v1, v3, v1
	s_delay_alu instid0(VALU_DEP_1)
	v_mad_u32 v0, v1, s3, v0
	v_mad_u32 v16, v1, s4, v16
	;; [unrolled: 1-line block ×3, first 2 shown]
	s_branch .LBB151_1754
.LBB151_1753:
	v_dual_mov_b32 v10, 0 :: v_dual_mov_b32 v16, 0
	v_mov_b32_e32 v0, 0
	s_and_not1_b32 vcc_lo, exec_lo, s4
	s_cbranch_vccz .LBB151_1751
.LBB151_1754:
	v_mov_b32_e32 v1, 0
	global_load_u8 v1, v1, s[16:17] offset:497
	s_wait_loadcnt 0x0
	v_and_b32_e32 v3, 0xffff, v1
	v_readfirstlane_b32 s4, v1
	s_delay_alu instid0(VALU_DEP_2)
	v_cmp_gt_i32_e32 vcc_lo, 23, v3
	s_cbranch_vccnz .LBB151_1758
; %bb.1755:
	s_and_b32 s2, 0xffff, s4
	s_delay_alu instid0(SALU_CYCLE_1)
	s_cmp_gt_i32 s2, 43
	s_cbranch_scc0 .LBB151_1759
; %bb.1756:
	s_cmp_gt_i32 s2, 45
	s_cbranch_scc0 .LBB151_1760
; %bb.1757:
	s_cmp_lg_u32 s2, 46
	s_mov_b32 s0, -1
	s_cselect_b32 s1, -1, 0
	s_cbranch_execz .LBB151_1761
	s_branch .LBB151_1762
.LBB151_1758:
	s_mov_b32 s0, 0
	s_mov_b32 s1, 0
	s_cbranch_execnz .LBB151_1765
	s_branch .LBB151_1769
.LBB151_1759:
	s_mov_b32 s0, 0
	s_mov_b32 s1, 0
	s_cbranch_execnz .LBB151_1763
	s_branch .LBB151_1764
.LBB151_1760:
	s_mov_b32 s0, 0
	s_mov_b32 s1, 0
.LBB151_1761:
	s_cmp_eq_u32 s2, 44
	s_cselect_b32 s0, -1, 0
	s_cmp_lg_u32 s2, 44
	s_cselect_b32 s1, -1, 0
.LBB151_1762:
	s_branch .LBB151_1764
.LBB151_1763:
	s_cmp_lt_i32 s2, 30
	s_cselect_b32 s0, -1, 0
	s_cmp_gt_i32 s2, 29
	s_cselect_b32 s1, -1, 0
.LBB151_1764:
	s_branch .LBB151_1769
.LBB151_1765:
	s_and_b32 s2, 0xffff, s4
	s_mov_b32 s3, -1
	s_cmp_gt_i32 s2, 14
	s_cbranch_scc0 .LBB151_1767
; %bb.1766:
	s_cmp_eq_u32 s2, 15
	s_mov_b32 s3, 0
	s_cselect_b32 s0, -1, 0
	s_cmp_lg_u32 s2, 15
	s_cselect_b32 s1, -1, 0
.LBB151_1767:
	s_and_not1_b32 vcc_lo, exec_lo, s3
	s_cbranch_vccnz .LBB151_1769
; %bb.1768:
	s_cmp_lt_i32 s2, 12
	s_cselect_b32 s0, -1, 0
	s_cmp_gt_i32 s2, 11
	s_cselect_b32 s1, -1, 0
.LBB151_1769:
	s_delay_alu instid0(SALU_CYCLE_1)
	s_and_b32 vcc_lo, exec_lo, s1
	s_mov_b32 s11, s7
	s_cbranch_vccnz .LBB151_1782
; %bb.1770:
	s_and_not1_b32 vcc_lo, exec_lo, s0
	s_cbranch_vccnz .LBB151_3358
.LBB151_1771:
	v_mov_b32_e32 v9, 0
	s_load_b64 s[0:1], s[16:17], 0x1d8
	global_load_u8 v1, v9, s[16:17] offset:498
	s_wait_kmcnt 0x0
	v_add_nc_u64_e32 v[24:25], s[0:1], v[8:9]
	s_wait_loadcnt 0x0
	v_and_b32_e32 v3, 0xffff, v1
	v_readfirstlane_b32 s5, v1
	s_delay_alu instid0(VALU_DEP_2)
	v_cmp_gt_i32_e32 vcc_lo, 11, v3
	s_cbranch_vccnz .LBB151_1778
; %bb.1772:
	s_and_b32 s2, 0xffff, s5
	s_mov_b32 s6, 0
	s_cmp_gt_i32 s2, 25
	s_cbranch_scc0 .LBB151_1780
; %bb.1773:
	s_cmp_gt_i32 s2, 28
	s_cbranch_scc0 .LBB151_1781
; %bb.1774:
	;; [unrolled: 3-line block ×4, first 2 shown]
	s_cmp_eq_u32 s2, 46
	s_mov_b32 s9, 0
	s_cbranch_scc0 .LBB151_1787
; %bb.1777:
	global_load_b32 v1, v[24:25], off
	s_mov_b32 s3, 0
	s_mov_b32 s8, -1
	s_wait_loadcnt 0x0
	s_wait_xcnt 0x1
	v_and_b32_e32 v9, 0xffff0000, v1
	v_lshlrev_b32_e32 v8, 16, v1
	s_branch .LBB151_1789
.LBB151_1778:
	s_mov_b32 s8, 0
                                        ; implicit-def: $vgpr9
	s_cbranch_execnz .LBB151_1853
.LBB151_1779:
	s_and_not1_b32 vcc_lo, exec_lo, s8
	s_cbranch_vccz .LBB151_1902
	s_branch .LBB151_3358
.LBB151_1780:
	s_mov_b32 s8, 0
	s_mov_b32 s3, 0
                                        ; implicit-def: $vgpr9
	s_cbranch_execnz .LBB151_1818
	s_branch .LBB151_1849
.LBB151_1781:
	s_mov_b32 s9, -1
	s_mov_b32 s8, 0
	s_mov_b32 s3, 0
                                        ; implicit-def: $vgpr9
	s_branch .LBB151_1801
.LBB151_1782:
	s_or_b32 s11, s7, exec_lo
	s_trap 2
	s_cbranch_execz .LBB151_1771
	s_branch .LBB151_3358
.LBB151_1783:
	s_mov_b32 s9, -1
	s_mov_b32 s8, 0
	s_mov_b32 s3, 0
                                        ; implicit-def: $vgpr9
	s_branch .LBB151_1795
.LBB151_1784:
	s_mov_b32 s9, -1
	s_mov_b32 s8, 0
	s_mov_b32 s3, 0
	s_branch .LBB151_1788
.LBB151_1785:
	v_bfe_u32 v0, v6, 20, 1
	s_mov_b32 s7, exec_lo
	s_delay_alu instid0(VALU_DEP_1) | instskip(NEXT) | instid1(VALU_DEP_1)
	v_add3_u32 v0, v6, v0, 0x487ffff
	v_lshrrev_b32_e32 v0, 20, v0
	s_and_not1_saveexec_b32 s8, s8
	s_cbranch_execz .LBB151_1622
.LBB151_1786:
	v_add_f32_e64 v0, 0x46000000, |v6|
	s_and_not1_b32 s7, s7, exec_lo
	s_delay_alu instid0(VALU_DEP_1) | instskip(NEXT) | instid1(VALU_DEP_1)
	v_and_b32_e32 v0, 0xff, v0
	v_cmp_ne_u32_e32 vcc_lo, 0, v0
	s_and_b32 s9, vcc_lo, exec_lo
	s_delay_alu instid0(SALU_CYCLE_1)
	s_or_b32 s7, s7, s9
	s_or_b32 exec_lo, exec_lo, s8
	v_mov_b32_e32 v1, 0
	s_and_saveexec_b32 s8, s7
	s_cbranch_execnz .LBB151_1623
	s_branch .LBB151_1624
.LBB151_1787:
	s_mov_b32 s3, -1
	s_mov_b32 s8, 0
.LBB151_1788:
                                        ; implicit-def: $vgpr9
.LBB151_1789:
	s_and_b32 vcc_lo, exec_lo, s9
	s_cbranch_vccz .LBB151_1794
; %bb.1790:
	s_cmp_eq_u32 s2, 44
	s_cbranch_scc0 .LBB151_1792
; %bb.1791:
	global_load_u8 v1, v[24:25], off
	s_mov_b32 s3, 0
	s_mov_b32 s8, -1
	s_wait_loadcnt 0x0
	v_lshlrev_b32_e32 v3, 23, v1
	v_cmp_ne_u32_e32 vcc_lo, 0xff, v1
	s_delay_alu instid0(VALU_DEP_2) | instskip(SKIP_1) | instid1(VALU_DEP_2)
	v_cndmask_b32_e32 v3, 0x7f800001, v3, vcc_lo
	v_cmp_ne_u32_e32 vcc_lo, 0, v1
	v_cndmask_b32_e32 v8, 0x400000, v3, vcc_lo
	s_branch .LBB151_1793
.LBB151_1792:
	s_mov_b32 s3, -1
                                        ; implicit-def: $vgpr8
.LBB151_1793:
	s_wait_xcnt 0x0
	v_mov_b32_e32 v9, 0
.LBB151_1794:
	s_mov_b32 s9, 0
.LBB151_1795:
	s_delay_alu instid0(SALU_CYCLE_1)
	s_and_b32 vcc_lo, exec_lo, s9
	s_cbranch_vccz .LBB151_1800
; %bb.1796:
	s_cmp_eq_u32 s2, 29
	s_cbranch_scc0 .LBB151_1798
; %bb.1797:
	global_load_b64 v[8:9], v[24:25], off
	s_mov_b32 s3, 0
	s_mov_b32 s8, -1
	s_wait_loadcnt 0x0
	v_clz_i32_u32_e32 v1, v9
	s_delay_alu instid0(VALU_DEP_1) | instskip(NEXT) | instid1(VALU_DEP_1)
	v_min_u32_e32 v1, 32, v1
	v_lshlrev_b64_e32 v[8:9], v1, v[8:9]
	v_sub_nc_u32_e32 v1, 32, v1
	s_delay_alu instid0(VALU_DEP_2) | instskip(NEXT) | instid1(VALU_DEP_1)
	v_min_u32_e32 v3, 1, v8
	v_or_b32_e32 v3, v9, v3
	s_delay_alu instid0(VALU_DEP_1) | instskip(NEXT) | instid1(VALU_DEP_1)
	v_cvt_f32_u32_e32 v3, v3
	v_ldexp_f32 v8, v3, v1
	s_branch .LBB151_1799
.LBB151_1798:
	s_mov_b32 s3, -1
                                        ; implicit-def: $vgpr8
.LBB151_1799:
	s_wait_xcnt 0x0
	v_mov_b32_e32 v9, 0
.LBB151_1800:
	s_mov_b32 s9, 0
.LBB151_1801:
	s_delay_alu instid0(SALU_CYCLE_1)
	s_and_b32 vcc_lo, exec_lo, s9
	s_cbranch_vccz .LBB151_1817
; %bb.1802:
	s_cmp_lt_i32 s2, 27
	s_cbranch_scc1 .LBB151_1805
; %bb.1803:
	s_cmp_gt_i32 s2, 27
	s_cbranch_scc0 .LBB151_1806
; %bb.1804:
	global_load_b32 v1, v[24:25], off
	s_mov_b32 s8, 0
	s_wait_loadcnt 0x0
	v_cvt_f32_u32_e32 v8, v1
	s_branch .LBB151_1807
.LBB151_1805:
	s_mov_b32 s8, -1
                                        ; implicit-def: $vgpr8
	s_branch .LBB151_1810
.LBB151_1806:
	s_mov_b32 s8, -1
                                        ; implicit-def: $vgpr8
.LBB151_1807:
	s_delay_alu instid0(SALU_CYCLE_1)
	s_and_not1_b32 vcc_lo, exec_lo, s8
	s_cbranch_vccnz .LBB151_1809
; %bb.1808:
	global_load_u16 v1, v[24:25], off
	s_wait_loadcnt 0x0
	v_cvt_f32_u32_e32 v8, v1
.LBB151_1809:
	s_mov_b32 s8, 0
.LBB151_1810:
	s_delay_alu instid0(SALU_CYCLE_1)
	s_and_not1_b32 vcc_lo, exec_lo, s8
	s_cbranch_vccnz .LBB151_1816
; %bb.1811:
	global_load_u8 v1, v[24:25], off
	s_mov_b32 s8, 0
	s_mov_b32 s9, exec_lo
	s_wait_loadcnt 0x0
	v_cmpx_lt_i16_e32 0x7f, v1
	s_xor_b32 s9, exec_lo, s9
	s_cbranch_execnz .LBB151_1828
; %bb.1812:
	s_or_saveexec_b32 s9, s9
	v_mov_b32_e32 v8, 0x7f800001
	s_xor_b32 exec_lo, exec_lo, s9
	s_cbranch_execnz .LBB151_1831
.LBB151_1813:
	s_or_b32 exec_lo, exec_lo, s9
	s_and_saveexec_b32 s9, s8
	s_cbranch_execz .LBB151_1815
.LBB151_1814:
	v_and_b32_e32 v3, 0xffff, v1
	s_delay_alu instid0(VALU_DEP_1) | instskip(SKIP_1) | instid1(VALU_DEP_2)
	v_dual_lshlrev_b32 v1, 24, v1 :: v_dual_bitop2_b32 v5, 7, v3 bitop3:0x40
	v_bfe_u32 v9, v3, 3, 4
	v_and_b32_e32 v1, 0x80000000, v1
	s_delay_alu instid0(VALU_DEP_3) | instskip(NEXT) | instid1(VALU_DEP_3)
	v_clz_i32_u32_e32 v7, v5
	v_cmp_eq_u32_e32 vcc_lo, 0, v9
	s_delay_alu instid0(VALU_DEP_2) | instskip(NEXT) | instid1(VALU_DEP_1)
	v_min_u32_e32 v7, 32, v7
	v_subrev_nc_u32_e32 v8, 28, v7
	v_sub_nc_u32_e32 v7, 29, v7
	s_delay_alu instid0(VALU_DEP_2) | instskip(NEXT) | instid1(VALU_DEP_2)
	v_lshlrev_b32_e32 v3, v8, v3
	v_cndmask_b32_e32 v7, v9, v7, vcc_lo
	s_delay_alu instid0(VALU_DEP_2) | instskip(NEXT) | instid1(VALU_DEP_1)
	v_and_b32_e32 v3, 7, v3
	v_cndmask_b32_e32 v3, v5, v3, vcc_lo
	s_delay_alu instid0(VALU_DEP_3) | instskip(NEXT) | instid1(VALU_DEP_2)
	v_lshl_add_u32 v5, v7, 23, 0x3b800000
	v_lshlrev_b32_e32 v3, 20, v3
	s_delay_alu instid0(VALU_DEP_1)
	v_or3_b32 v8, v1, v5, v3
.LBB151_1815:
	s_or_b32 exec_lo, exec_lo, s9
.LBB151_1816:
	s_wait_xcnt 0x0
	v_mov_b32_e32 v9, 0
	s_mov_b32 s8, -1
.LBB151_1817:
	s_branch .LBB151_1849
.LBB151_1818:
	s_cmp_gt_i32 s2, 22
	s_cbranch_scc0 .LBB151_1826
; %bb.1819:
	s_cmp_lt_i32 s2, 24
	s_cbranch_scc1 .LBB151_1827
; %bb.1820:
	s_cmp_gt_i32 s2, 24
	s_cbranch_scc0 .LBB151_1832
; %bb.1821:
	global_load_u8 v1, v[24:25], off
	s_mov_b32 s8, exec_lo
	s_wait_loadcnt 0x0
	v_cmpx_lt_i16_e32 0x7f, v1
	s_xor_b32 s8, exec_lo, s8
	s_cbranch_execnz .LBB151_1915
; %bb.1822:
	s_or_saveexec_b32 s8, s8
	v_mov_b32_e32 v8, 0x7f800001
	s_xor_b32 exec_lo, exec_lo, s8
	s_cbranch_execnz .LBB151_1918
.LBB151_1823:
	s_or_b32 exec_lo, exec_lo, s8
	s_and_saveexec_b32 s8, s6
	s_cbranch_execz .LBB151_1825
.LBB151_1824:
	v_and_b32_e32 v3, 0xffff, v1
	s_delay_alu instid0(VALU_DEP_1) | instskip(SKIP_1) | instid1(VALU_DEP_2)
	v_dual_lshlrev_b32 v1, 24, v1 :: v_dual_bitop2_b32 v5, 3, v3 bitop3:0x40
	v_bfe_u32 v9, v3, 2, 5
	v_and_b32_e32 v1, 0x80000000, v1
	s_delay_alu instid0(VALU_DEP_3) | instskip(NEXT) | instid1(VALU_DEP_3)
	v_clz_i32_u32_e32 v7, v5
	v_cmp_eq_u32_e32 vcc_lo, 0, v9
	s_delay_alu instid0(VALU_DEP_2) | instskip(NEXT) | instid1(VALU_DEP_1)
	v_min_u32_e32 v7, 32, v7
	v_subrev_nc_u32_e32 v8, 29, v7
	v_sub_nc_u32_e32 v7, 30, v7
	s_delay_alu instid0(VALU_DEP_2) | instskip(NEXT) | instid1(VALU_DEP_2)
	v_lshlrev_b32_e32 v3, v8, v3
	v_cndmask_b32_e32 v7, v9, v7, vcc_lo
	s_delay_alu instid0(VALU_DEP_2) | instskip(NEXT) | instid1(VALU_DEP_1)
	v_and_b32_e32 v3, 3, v3
	v_cndmask_b32_e32 v3, v5, v3, vcc_lo
	s_delay_alu instid0(VALU_DEP_3) | instskip(NEXT) | instid1(VALU_DEP_2)
	v_lshl_add_u32 v5, v7, 23, 0x37800000
	v_lshlrev_b32_e32 v3, 21, v3
	s_delay_alu instid0(VALU_DEP_1)
	v_or3_b32 v8, v1, v5, v3
.LBB151_1825:
	s_or_b32 exec_lo, exec_lo, s8
	s_mov_b32 s6, 0
	s_branch .LBB151_1833
.LBB151_1826:
	s_mov_b32 s6, -1
                                        ; implicit-def: $vgpr8
	s_branch .LBB151_1839
.LBB151_1827:
	s_mov_b32 s6, -1
                                        ; implicit-def: $vgpr8
	s_branch .LBB151_1836
.LBB151_1828:
	s_mov_b32 s8, -1
	s_mov_b32 s12, exec_lo
	v_cmpx_eq_u16_e32 0x80, v1
; %bb.1829:
	s_xor_b32 s8, exec_lo, -1
; %bb.1830:
	s_or_b32 exec_lo, exec_lo, s12
	s_delay_alu instid0(SALU_CYCLE_1)
	s_and_b32 s8, s8, exec_lo
	s_or_saveexec_b32 s9, s9
	v_mov_b32_e32 v8, 0x7f800001
	s_xor_b32 exec_lo, exec_lo, s9
	s_cbranch_execz .LBB151_1813
.LBB151_1831:
	v_cmp_ne_u16_e32 vcc_lo, 0, v1
	v_mov_b32_e32 v8, 0
	s_and_not1_b32 s8, s8, exec_lo
	s_and_b32 s12, vcc_lo, exec_lo
	s_delay_alu instid0(SALU_CYCLE_1)
	s_or_b32 s8, s8, s12
	s_or_b32 exec_lo, exec_lo, s9
	s_and_saveexec_b32 s9, s8
	s_cbranch_execnz .LBB151_1814
	s_branch .LBB151_1815
.LBB151_1832:
	s_mov_b32 s6, -1
                                        ; implicit-def: $vgpr8
.LBB151_1833:
	s_delay_alu instid0(SALU_CYCLE_1)
	s_and_b32 vcc_lo, exec_lo, s6
	s_cbranch_vccz .LBB151_1835
; %bb.1834:
	global_load_u8 v1, v[24:25], off
	s_wait_loadcnt 0x0
	v_lshlrev_b32_e32 v1, 24, v1
	s_delay_alu instid0(VALU_DEP_1) | instskip(NEXT) | instid1(VALU_DEP_1)
	v_and_b32_e32 v3, 0x7f000000, v1
	v_clz_i32_u32_e32 v5, v3
	v_cmp_ne_u32_e32 vcc_lo, 0, v3
	v_add_nc_u32_e32 v8, 0x1000000, v3
	s_delay_alu instid0(VALU_DEP_3) | instskip(NEXT) | instid1(VALU_DEP_1)
	v_min_u32_e32 v5, 32, v5
	v_sub_nc_u32_e64 v5, v5, 4 clamp
	s_delay_alu instid0(VALU_DEP_1) | instskip(NEXT) | instid1(VALU_DEP_1)
	v_dual_lshlrev_b32 v7, v5, v3 :: v_dual_lshlrev_b32 v5, 23, v5
	v_lshrrev_b32_e32 v7, 4, v7
	s_delay_alu instid0(VALU_DEP_1) | instskip(NEXT) | instid1(VALU_DEP_1)
	v_dual_sub_nc_u32 v5, v7, v5 :: v_dual_ashrrev_i32 v7, 8, v8
	v_add_nc_u32_e32 v5, 0x3c000000, v5
	s_delay_alu instid0(VALU_DEP_1) | instskip(NEXT) | instid1(VALU_DEP_1)
	v_and_or_b32 v5, 0x7f800000, v7, v5
	v_cndmask_b32_e32 v3, 0, v5, vcc_lo
	s_delay_alu instid0(VALU_DEP_1)
	v_and_or_b32 v8, 0x80000000, v1, v3
.LBB151_1835:
	s_mov_b32 s6, 0
.LBB151_1836:
	s_delay_alu instid0(SALU_CYCLE_1)
	s_and_not1_b32 vcc_lo, exec_lo, s6
	s_cbranch_vccnz .LBB151_1838
; %bb.1837:
	global_load_u8 v1, v[24:25], off
	s_wait_loadcnt 0x0
	v_lshlrev_b32_e32 v3, 25, v1
	v_lshlrev_b16 v1, 8, v1
	s_delay_alu instid0(VALU_DEP_1) | instskip(SKIP_1) | instid1(VALU_DEP_2)
	v_and_or_b32 v7, 0x7f00, v1, 0.5
	v_bfe_i32 v1, v1, 0, 16
	v_add_f32_e32 v7, -0.5, v7
	v_lshrrev_b32_e32 v5, 4, v3
	v_cmp_gt_u32_e32 vcc_lo, 0x8000000, v3
	s_delay_alu instid0(VALU_DEP_2) | instskip(NEXT) | instid1(VALU_DEP_1)
	v_or_b32_e32 v5, 0x70000000, v5
	v_mul_f32_e32 v5, 0x7800000, v5
	s_delay_alu instid0(VALU_DEP_1) | instskip(NEXT) | instid1(VALU_DEP_1)
	v_cndmask_b32_e32 v3, v5, v7, vcc_lo
	v_and_or_b32 v8, 0x80000000, v1, v3
.LBB151_1838:
	s_mov_b32 s6, 0
	s_mov_b32 s8, -1
.LBB151_1839:
	s_and_not1_b32 vcc_lo, exec_lo, s6
	s_mov_b32 s6, 0
	s_cbranch_vccnz .LBB151_1848
; %bb.1840:
	s_cmp_gt_i32 s2, 14
	s_cbranch_scc0 .LBB151_1843
; %bb.1841:
	s_cmp_eq_u32 s2, 15
	s_cbranch_scc0 .LBB151_1844
; %bb.1842:
	global_load_u16 v1, v[24:25], off
	s_mov_b32 s3, 0
	s_mov_b32 s8, -1
	s_wait_loadcnt 0x0
	v_lshlrev_b32_e32 v8, 16, v1
	s_branch .LBB151_1846
.LBB151_1843:
	s_mov_b32 s6, -1
	s_branch .LBB151_1845
.LBB151_1844:
	s_mov_b32 s3, -1
.LBB151_1845:
                                        ; implicit-def: $vgpr8
.LBB151_1846:
	s_and_b32 vcc_lo, exec_lo, s6
	s_mov_b32 s6, 0
	s_cbranch_vccz .LBB151_1848
; %bb.1847:
	s_cmp_lg_u32 s2, 11
	s_mov_b32 s6, -1
	s_cselect_b32 s3, -1, 0
.LBB151_1848:
	s_wait_xcnt 0x0
	v_mov_b32_e32 v9, 0
.LBB151_1849:
	s_and_b32 vcc_lo, exec_lo, s3
	s_cbranch_vccnz .LBB151_1914
; %bb.1850:
	s_and_not1_b32 vcc_lo, exec_lo, s6
	s_cbranch_vccnz .LBB151_1852
.LBB151_1851:
	global_load_u8 v1, v[24:25], off
	s_wait_xcnt 0x1
	v_mov_b32_e32 v9, 0
	s_mov_b32 s8, -1
	s_wait_loadcnt 0x0
	v_cmp_ne_u16_e32 vcc_lo, 0, v1
	v_cndmask_b32_e64 v8, 0, 1.0, vcc_lo
.LBB151_1852:
	s_branch .LBB151_1779
.LBB151_1853:
	s_and_b32 s2, 0xffff, s5
	s_delay_alu instid0(SALU_CYCLE_1)
	s_cmp_lt_i32 s2, 5
	s_cbranch_scc1 .LBB151_1858
; %bb.1854:
	s_cmp_lt_i32 s2, 8
	s_cbranch_scc1 .LBB151_1860
; %bb.1855:
	;; [unrolled: 3-line block ×3, first 2 shown]
	s_cmp_gt_i32 s2, 9
	s_cbranch_scc0 .LBB151_1862
; %bb.1857:
	global_load_b128 v[26:29], v[24:25], off
	s_mov_b32 s3, 0
	s_wait_loadcnt 0x0
	v_cvt_f32_f64_e32 v8, v[26:27]
	s_wait_xcnt 0x1
	v_cvt_f32_f64_e32 v9, v[28:29]
	s_branch .LBB151_1863
.LBB151_1858:
                                        ; implicit-def: $vgpr9
	s_branch .LBB151_1882
.LBB151_1859:
	s_branch .LBB151_1902
.LBB151_1860:
	s_mov_b32 s3, -1
                                        ; implicit-def: $vgpr9
	s_branch .LBB151_1869
.LBB151_1861:
	s_mov_b32 s3, -1
                                        ; implicit-def: $vgpr9
	s_branch .LBB151_1866
.LBB151_1862:
	s_mov_b32 s3, -1
                                        ; implicit-def: $vgpr9
.LBB151_1863:
	s_delay_alu instid0(SALU_CYCLE_1)
	s_and_not1_b32 vcc_lo, exec_lo, s3
	s_cbranch_vccnz .LBB151_1865
; %bb.1864:
	global_load_b64 v[8:9], v[24:25], off
.LBB151_1865:
	s_mov_b32 s3, 0
.LBB151_1866:
	s_delay_alu instid0(SALU_CYCLE_1)
	s_and_not1_b32 vcc_lo, exec_lo, s3
	s_cbranch_vccnz .LBB151_1868
; %bb.1867:
	global_load_b32 v1, v[24:25], off
	s_wait_loadcnt 0x0
	v_lshrrev_b32_e32 v3, 16, v1
	v_cvt_f32_f16_e32 v8, v1
	s_wait_xcnt 0x1
	s_delay_alu instid0(VALU_DEP_2)
	v_cvt_f32_f16_e32 v9, v3
.LBB151_1868:
	s_mov_b32 s3, 0
.LBB151_1869:
	s_delay_alu instid0(SALU_CYCLE_1)
	s_and_not1_b32 vcc_lo, exec_lo, s3
	s_cbranch_vccnz .LBB151_1881
; %bb.1870:
	s_cmp_lt_i32 s2, 6
	s_cbranch_scc1 .LBB151_1873
; %bb.1871:
	s_cmp_gt_i32 s2, 6
	s_cbranch_scc0 .LBB151_1874
; %bb.1872:
	s_wait_loadcnt 0x0
	global_load_b64 v[8:9], v[24:25], off
	s_mov_b32 s3, 0
	s_wait_loadcnt 0x0
	v_cvt_f32_f64_e32 v8, v[8:9]
	s_branch .LBB151_1875
.LBB151_1873:
	s_mov_b32 s3, -1
                                        ; implicit-def: $vgpr8
	s_branch .LBB151_1878
.LBB151_1874:
	s_mov_b32 s3, -1
                                        ; implicit-def: $vgpr8
.LBB151_1875:
	s_delay_alu instid0(SALU_CYCLE_1)
	s_and_not1_b32 vcc_lo, exec_lo, s3
	s_cbranch_vccnz .LBB151_1877
; %bb.1876:
	s_wait_loadcnt 0x0
	global_load_b32 v8, v[24:25], off
.LBB151_1877:
	s_mov_b32 s3, 0
.LBB151_1878:
	s_delay_alu instid0(SALU_CYCLE_1)
	s_and_not1_b32 vcc_lo, exec_lo, s3
	s_cbranch_vccnz .LBB151_1880
; %bb.1879:
	global_load_u16 v1, v[24:25], off
	s_wait_loadcnt 0x0
	v_cvt_f32_f16_e32 v8, v1
.LBB151_1880:
	s_wait_loadcnt 0x0
	v_mov_b32_e32 v9, 0
.LBB151_1881:
	s_cbranch_execnz .LBB151_1859
.LBB151_1882:
	s_cmp_lt_i32 s2, 2
	s_cbranch_scc1 .LBB151_1886
; %bb.1883:
	s_cmp_lt_i32 s2, 3
	s_cbranch_scc1 .LBB151_1887
; %bb.1884:
	s_cmp_gt_i32 s2, 3
	s_cbranch_scc0 .LBB151_1888
; %bb.1885:
	s_wait_loadcnt 0x0
	global_load_b64 v[8:9], v[24:25], off
	s_mov_b32 s3, 0
	s_wait_loadcnt 0x0
	v_xor_b32_e32 v1, v8, v9
	v_cls_i32_e32 v3, v9
	s_delay_alu instid0(VALU_DEP_2) | instskip(NEXT) | instid1(VALU_DEP_1)
	v_ashrrev_i32_e32 v1, 31, v1
	v_add_nc_u32_e32 v1, 32, v1
	s_delay_alu instid0(VALU_DEP_1) | instskip(NEXT) | instid1(VALU_DEP_1)
	v_add_min_u32_e64 v1, v3, -1, v1
	v_lshlrev_b64_e32 v[8:9], v1, v[8:9]
	v_sub_nc_u32_e32 v1, 32, v1
	s_delay_alu instid0(VALU_DEP_2) | instskip(NEXT) | instid1(VALU_DEP_1)
	v_min_u32_e32 v3, 1, v8
	v_or_b32_e32 v3, v9, v3
	s_delay_alu instid0(VALU_DEP_1) | instskip(NEXT) | instid1(VALU_DEP_1)
	v_cvt_f32_i32_e32 v3, v3
	v_ldexp_f32 v8, v3, v1
	s_branch .LBB151_1889
.LBB151_1886:
	s_mov_b32 s3, -1
                                        ; implicit-def: $vgpr8
	s_branch .LBB151_1895
.LBB151_1887:
	s_mov_b32 s3, -1
                                        ; implicit-def: $vgpr8
	s_branch .LBB151_1892
.LBB151_1888:
	s_mov_b32 s3, -1
                                        ; implicit-def: $vgpr8
.LBB151_1889:
	s_delay_alu instid0(SALU_CYCLE_1)
	s_and_not1_b32 vcc_lo, exec_lo, s3
	s_cbranch_vccnz .LBB151_1891
; %bb.1890:
	global_load_b32 v1, v[24:25], off
	s_wait_loadcnt 0x0
	v_cvt_f32_i32_e32 v8, v1
.LBB151_1891:
	s_mov_b32 s3, 0
.LBB151_1892:
	s_delay_alu instid0(SALU_CYCLE_1)
	s_and_not1_b32 vcc_lo, exec_lo, s3
	s_cbranch_vccnz .LBB151_1894
; %bb.1893:
	global_load_i16 v1, v[24:25], off
	s_wait_loadcnt 0x0
	v_cvt_f32_i32_e32 v8, v1
.LBB151_1894:
	s_mov_b32 s3, 0
.LBB151_1895:
	s_delay_alu instid0(SALU_CYCLE_1)
	s_and_not1_b32 vcc_lo, exec_lo, s3
	s_cbranch_vccnz .LBB151_1901
; %bb.1896:
	s_cmp_gt_i32 s2, 0
	s_mov_b32 s2, 0
	s_cbranch_scc0 .LBB151_1898
; %bb.1897:
	global_load_i8 v1, v[24:25], off
	s_wait_loadcnt 0x0
	v_cvt_f32_i32_e32 v8, v1
	s_branch .LBB151_1899
.LBB151_1898:
	s_mov_b32 s2, -1
                                        ; implicit-def: $vgpr8
.LBB151_1899:
	s_delay_alu instid0(SALU_CYCLE_1)
	s_and_not1_b32 vcc_lo, exec_lo, s2
	s_cbranch_vccnz .LBB151_1901
; %bb.1900:
	global_load_u8 v1, v[24:25], off
	s_wait_loadcnt 0x0
	v_cvt_f32_ubyte0_e32 v8, v1
.LBB151_1901:
	s_wait_loadcnt 0x0
	v_mov_b32_e32 v9, 0
.LBB151_1902:
	v_mov_b32_e32 v13, 0
	s_load_b64 s[2:3], s[16:17], 0x1e0
	global_load_u8 v1, v13, s[16:17] offset:499
	s_wait_kmcnt 0x0
	v_add_nc_u64_e32 v[24:25], s[2:3], v[12:13]
	s_wait_loadcnt 0x0
	v_and_b32_e32 v3, 0xffff, v1
	v_readfirstlane_b32 s8, v1
	s_delay_alu instid0(VALU_DEP_2)
	v_cmp_gt_i32_e32 vcc_lo, 11, v3
	s_cbranch_vccnz .LBB151_1909
; %bb.1903:
	s_and_b32 s6, 0xffff, s8
	s_mov_b32 s12, 0
	s_cmp_gt_i32 s6, 25
	s_cbranch_scc0 .LBB151_1911
; %bb.1904:
	s_cmp_gt_i32 s6, 28
	s_cbranch_scc0 .LBB151_1912
; %bb.1905:
	;; [unrolled: 3-line block ×4, first 2 shown]
	s_cmp_eq_u32 s6, 46
	s_mov_b32 s14, 0
	s_cbranch_scc0 .LBB151_1922
; %bb.1908:
	global_load_b32 v1, v[24:25], off
	s_mov_b32 s9, 0
	s_mov_b32 s13, -1
	s_wait_loadcnt 0x0
	s_wait_xcnt 0x1
	v_and_b32_e32 v13, 0xffff0000, v1
	v_lshlrev_b32_e32 v12, 16, v1
	s_branch .LBB151_1924
.LBB151_1909:
	s_mov_b32 s13, 0
                                        ; implicit-def: $vgpr13
	s_cbranch_execnz .LBB151_1958
.LBB151_1910:
	s_and_not1_b32 vcc_lo, exec_lo, s13
	s_cbranch_vccz .LBB151_2040
	s_branch .LBB151_3358
.LBB151_1911:
	s_mov_b32 s14, -1
	s_mov_b32 s13, 0
	s_mov_b32 s9, 0
                                        ; implicit-def: $vgpr13
	s_branch .LBB151_1953
.LBB151_1912:
	s_mov_b32 s14, -1
	s_mov_b32 s13, 0
	s_mov_b32 s9, 0
                                        ; implicit-def: $vgpr13
	s_branch .LBB151_1936
.LBB151_1913:
	s_mov_b32 s14, -1
	s_mov_b32 s13, 0
	s_mov_b32 s9, 0
                                        ; implicit-def: $vgpr13
	s_branch .LBB151_1930
.LBB151_1914:
	s_or_b32 s11, s11, exec_lo
	s_trap 2
	s_cbranch_execz .LBB151_1851
	s_branch .LBB151_1852
.LBB151_1915:
	s_mov_b32 s6, -1
	s_mov_b32 s9, exec_lo
	v_cmpx_eq_u16_e32 0x80, v1
; %bb.1916:
	s_xor_b32 s6, exec_lo, -1
; %bb.1917:
	s_or_b32 exec_lo, exec_lo, s9
	s_delay_alu instid0(SALU_CYCLE_1)
	s_and_b32 s6, s6, exec_lo
	s_or_saveexec_b32 s8, s8
	v_mov_b32_e32 v8, 0x7f800001
	s_xor_b32 exec_lo, exec_lo, s8
	s_cbranch_execz .LBB151_1823
.LBB151_1918:
	v_cmp_ne_u16_e32 vcc_lo, 0, v1
	v_mov_b32_e32 v8, 0
	s_and_not1_b32 s6, s6, exec_lo
	s_and_b32 s9, vcc_lo, exec_lo
	s_delay_alu instid0(SALU_CYCLE_1)
	s_or_b32 s6, s6, s9
	s_or_b32 exec_lo, exec_lo, s8
	s_and_saveexec_b32 s8, s6
	s_cbranch_execnz .LBB151_1824
	s_branch .LBB151_1825
.LBB151_1919:
	s_mov_b32 s14, -1
	s_mov_b32 s13, 0
	s_mov_b32 s9, 0
	s_branch .LBB151_1923
.LBB151_1920:
	v_bfe_u32 v0, v6, 21, 1
	s_mov_b32 s8, exec_lo
	s_delay_alu instid0(VALU_DEP_1) | instskip(NEXT) | instid1(VALU_DEP_1)
	v_add3_u32 v0, v6, v0, 0x88fffff
	v_lshrrev_b32_e32 v0, 21, v0
	s_and_not1_saveexec_b32 s9, s9
	s_cbranch_execz .LBB151_1634
.LBB151_1921:
	v_add_f32_e64 v0, 0x42800000, |v6|
	s_and_not1_b32 s8, s8, exec_lo
	s_delay_alu instid0(VALU_DEP_1) | instskip(NEXT) | instid1(VALU_DEP_1)
	v_and_b32_e32 v0, 0xff, v0
	v_cmp_ne_u32_e32 vcc_lo, 0, v0
	s_and_b32 s10, vcc_lo, exec_lo
	s_delay_alu instid0(SALU_CYCLE_1)
	s_or_b32 s8, s8, s10
	s_or_b32 exec_lo, exec_lo, s9
	v_mov_b32_e32 v1, 0
	s_and_saveexec_b32 s9, s8
	s_cbranch_execnz .LBB151_1635
	s_branch .LBB151_1636
.LBB151_1922:
	s_mov_b32 s9, -1
	s_mov_b32 s13, 0
.LBB151_1923:
                                        ; implicit-def: $vgpr13
.LBB151_1924:
	s_and_b32 vcc_lo, exec_lo, s14
	s_cbranch_vccz .LBB151_1929
; %bb.1925:
	s_cmp_eq_u32 s6, 44
	s_cbranch_scc0 .LBB151_1927
; %bb.1926:
	global_load_u8 v1, v[24:25], off
	s_mov_b32 s9, 0
	s_mov_b32 s13, -1
	s_wait_loadcnt 0x0
	v_lshlrev_b32_e32 v3, 23, v1
	v_cmp_ne_u32_e32 vcc_lo, 0xff, v1
	s_delay_alu instid0(VALU_DEP_2) | instskip(SKIP_1) | instid1(VALU_DEP_2)
	v_cndmask_b32_e32 v3, 0x7f800001, v3, vcc_lo
	v_cmp_ne_u32_e32 vcc_lo, 0, v1
	v_cndmask_b32_e32 v12, 0x400000, v3, vcc_lo
	s_branch .LBB151_1928
.LBB151_1927:
	s_mov_b32 s9, -1
                                        ; implicit-def: $vgpr12
.LBB151_1928:
	s_wait_xcnt 0x0
	v_mov_b32_e32 v13, 0
.LBB151_1929:
	s_mov_b32 s14, 0
.LBB151_1930:
	s_delay_alu instid0(SALU_CYCLE_1)
	s_and_b32 vcc_lo, exec_lo, s14
	s_cbranch_vccz .LBB151_1935
; %bb.1931:
	s_cmp_eq_u32 s6, 29
	s_cbranch_scc0 .LBB151_1933
; %bb.1932:
	global_load_b64 v[12:13], v[24:25], off
	s_mov_b32 s9, 0
	s_mov_b32 s13, -1
	s_wait_loadcnt 0x0
	v_clz_i32_u32_e32 v1, v13
	s_delay_alu instid0(VALU_DEP_1) | instskip(NEXT) | instid1(VALU_DEP_1)
	v_min_u32_e32 v1, 32, v1
	v_lshlrev_b64_e32 v[12:13], v1, v[12:13]
	v_sub_nc_u32_e32 v1, 32, v1
	s_delay_alu instid0(VALU_DEP_2) | instskip(NEXT) | instid1(VALU_DEP_1)
	v_min_u32_e32 v3, 1, v12
	v_or_b32_e32 v3, v13, v3
	s_delay_alu instid0(VALU_DEP_1) | instskip(NEXT) | instid1(VALU_DEP_1)
	v_cvt_f32_u32_e32 v3, v3
	v_ldexp_f32 v12, v3, v1
	s_branch .LBB151_1934
.LBB151_1933:
	s_mov_b32 s9, -1
                                        ; implicit-def: $vgpr12
.LBB151_1934:
	s_wait_xcnt 0x0
	v_mov_b32_e32 v13, 0
.LBB151_1935:
	s_mov_b32 s14, 0
.LBB151_1936:
	s_delay_alu instid0(SALU_CYCLE_1)
	s_and_b32 vcc_lo, exec_lo, s14
	s_cbranch_vccz .LBB151_1952
; %bb.1937:
	s_cmp_lt_i32 s6, 27
	s_cbranch_scc1 .LBB151_1940
; %bb.1938:
	s_cmp_gt_i32 s6, 27
	s_cbranch_scc0 .LBB151_1941
; %bb.1939:
	global_load_b32 v1, v[24:25], off
	s_mov_b32 s13, 0
	s_wait_loadcnt 0x0
	v_cvt_f32_u32_e32 v12, v1
	s_branch .LBB151_1942
.LBB151_1940:
	s_mov_b32 s13, -1
                                        ; implicit-def: $vgpr12
	s_branch .LBB151_1945
.LBB151_1941:
	s_mov_b32 s13, -1
                                        ; implicit-def: $vgpr12
.LBB151_1942:
	s_delay_alu instid0(SALU_CYCLE_1)
	s_and_not1_b32 vcc_lo, exec_lo, s13
	s_cbranch_vccnz .LBB151_1944
; %bb.1943:
	global_load_u16 v1, v[24:25], off
	s_wait_loadcnt 0x0
	v_cvt_f32_u32_e32 v12, v1
.LBB151_1944:
	s_mov_b32 s13, 0
.LBB151_1945:
	s_delay_alu instid0(SALU_CYCLE_1)
	s_and_not1_b32 vcc_lo, exec_lo, s13
	s_cbranch_vccnz .LBB151_1951
; %bb.1946:
	global_load_u8 v1, v[24:25], off
	s_mov_b32 s13, 0
	s_mov_b32 s14, exec_lo
	s_wait_loadcnt 0x0
	v_cmpx_lt_i16_e32 0x7f, v1
	s_xor_b32 s14, exec_lo, s14
	s_cbranch_execnz .LBB151_1976
; %bb.1947:
	s_or_saveexec_b32 s14, s14
	v_mov_b32_e32 v12, 0x7f800001
	s_xor_b32 exec_lo, exec_lo, s14
	s_cbranch_execnz .LBB151_1979
.LBB151_1948:
	s_or_b32 exec_lo, exec_lo, s14
	s_and_saveexec_b32 s14, s13
	s_cbranch_execz .LBB151_1950
.LBB151_1949:
	v_and_b32_e32 v3, 0xffff, v1
	s_delay_alu instid0(VALU_DEP_1) | instskip(SKIP_1) | instid1(VALU_DEP_2)
	v_dual_lshlrev_b32 v1, 24, v1 :: v_dual_bitop2_b32 v5, 7, v3 bitop3:0x40
	v_bfe_u32 v12, v3, 3, 4
	v_and_b32_e32 v1, 0x80000000, v1
	s_delay_alu instid0(VALU_DEP_3) | instskip(NEXT) | instid1(VALU_DEP_3)
	v_clz_i32_u32_e32 v7, v5
	v_cmp_eq_u32_e32 vcc_lo, 0, v12
	s_delay_alu instid0(VALU_DEP_2) | instskip(NEXT) | instid1(VALU_DEP_1)
	v_min_u32_e32 v7, 32, v7
	v_subrev_nc_u32_e32 v11, 28, v7
	v_sub_nc_u32_e32 v7, 29, v7
	s_delay_alu instid0(VALU_DEP_2) | instskip(NEXT) | instid1(VALU_DEP_2)
	v_lshlrev_b32_e32 v3, v11, v3
	v_cndmask_b32_e32 v7, v12, v7, vcc_lo
	s_delay_alu instid0(VALU_DEP_2) | instskip(NEXT) | instid1(VALU_DEP_1)
	v_and_b32_e32 v3, 7, v3
	v_cndmask_b32_e32 v3, v5, v3, vcc_lo
	s_delay_alu instid0(VALU_DEP_3) | instskip(NEXT) | instid1(VALU_DEP_2)
	v_lshl_add_u32 v5, v7, 23, 0x3b800000
	v_lshlrev_b32_e32 v3, 20, v3
	s_delay_alu instid0(VALU_DEP_1)
	v_or3_b32 v12, v1, v5, v3
.LBB151_1950:
	s_or_b32 exec_lo, exec_lo, s14
.LBB151_1951:
	s_wait_xcnt 0x0
	v_mov_b32_e32 v13, 0
	s_mov_b32 s13, -1
.LBB151_1952:
	s_mov_b32 s14, 0
.LBB151_1953:
	s_delay_alu instid0(SALU_CYCLE_1)
	s_and_b32 vcc_lo, exec_lo, s14
	s_cbranch_vccnz .LBB151_1963
; %bb.1954:
	s_and_b32 vcc_lo, exec_lo, s9
	s_cbranch_vccnz .LBB151_2024
.LBB151_1955:
	s_and_not1_b32 vcc_lo, exec_lo, s12
	s_cbranch_vccnz .LBB151_1957
.LBB151_1956:
	global_load_u8 v1, v[24:25], off
	s_wait_xcnt 0x1
	v_mov_b32_e32 v13, 0
	s_mov_b32 s13, -1
	s_wait_loadcnt 0x0
	v_cmp_ne_u16_e32 vcc_lo, 0, v1
	v_cndmask_b32_e64 v12, 0, 1.0, vcc_lo
.LBB151_1957:
	s_branch .LBB151_1910
.LBB151_1958:
	s_and_b32 s6, 0xffff, s8
	s_delay_alu instid0(SALU_CYCLE_1)
	s_cmp_lt_i32 s6, 5
	s_cbranch_scc1 .LBB151_1971
; %bb.1959:
	s_cmp_lt_i32 s6, 8
	s_cbranch_scc1 .LBB151_1972
; %bb.1960:
	;; [unrolled: 3-line block ×3, first 2 shown]
	s_cmp_gt_i32 s6, 9
	s_cbranch_scc0 .LBB151_1980
; %bb.1962:
	global_load_b128 v[26:29], v[24:25], off
	s_mov_b32 s9, 0
	s_wait_loadcnt 0x0
	v_cvt_f32_f64_e32 v12, v[26:27]
	s_wait_xcnt 0x1
	v_cvt_f32_f64_e32 v13, v[28:29]
	s_branch .LBB151_1981
.LBB151_1963:
	s_cmp_gt_i32 s6, 22
	s_cbranch_scc0 .LBB151_1973
; %bb.1964:
	s_cmp_lt_i32 s6, 24
	s_cbranch_scc1 .LBB151_1975
; %bb.1965:
	s_cmp_gt_i32 s6, 24
	s_cbranch_scc0 .LBB151_1992
; %bb.1966:
	global_load_u8 v1, v[24:25], off
	s_mov_b32 s13, exec_lo
	s_wait_loadcnt 0x0
	v_cmpx_lt_i16_e32 0x7f, v1
	s_xor_b32 s13, exec_lo, s13
	s_cbranch_execnz .LBB151_2071
; %bb.1967:
	s_or_saveexec_b32 s13, s13
	v_mov_b32_e32 v12, 0x7f800001
	s_xor_b32 exec_lo, exec_lo, s13
	s_cbranch_execnz .LBB151_2074
.LBB151_1968:
	s_or_b32 exec_lo, exec_lo, s13
	s_and_saveexec_b32 s13, s12
	s_cbranch_execz .LBB151_1970
.LBB151_1969:
	v_and_b32_e32 v3, 0xffff, v1
	s_delay_alu instid0(VALU_DEP_1) | instskip(SKIP_1) | instid1(VALU_DEP_2)
	v_dual_lshlrev_b32 v1, 24, v1 :: v_dual_bitop2_b32 v5, 3, v3 bitop3:0x40
	v_bfe_u32 v12, v3, 2, 5
	v_and_b32_e32 v1, 0x80000000, v1
	s_delay_alu instid0(VALU_DEP_3) | instskip(NEXT) | instid1(VALU_DEP_3)
	v_clz_i32_u32_e32 v7, v5
	v_cmp_eq_u32_e32 vcc_lo, 0, v12
	s_delay_alu instid0(VALU_DEP_2) | instskip(NEXT) | instid1(VALU_DEP_1)
	v_min_u32_e32 v7, 32, v7
	v_subrev_nc_u32_e32 v11, 29, v7
	v_sub_nc_u32_e32 v7, 30, v7
	s_delay_alu instid0(VALU_DEP_2) | instskip(NEXT) | instid1(VALU_DEP_2)
	v_lshlrev_b32_e32 v3, v11, v3
	v_cndmask_b32_e32 v7, v12, v7, vcc_lo
	s_delay_alu instid0(VALU_DEP_2) | instskip(NEXT) | instid1(VALU_DEP_1)
	v_and_b32_e32 v3, 3, v3
	v_cndmask_b32_e32 v3, v5, v3, vcc_lo
	s_delay_alu instid0(VALU_DEP_3) | instskip(NEXT) | instid1(VALU_DEP_2)
	v_lshl_add_u32 v5, v7, 23, 0x37800000
	v_lshlrev_b32_e32 v3, 21, v3
	s_delay_alu instid0(VALU_DEP_1)
	v_or3_b32 v12, v1, v5, v3
.LBB151_1970:
	s_or_b32 exec_lo, exec_lo, s13
	s_mov_b32 s12, 0
	s_branch .LBB151_1993
.LBB151_1971:
	s_mov_b32 s9, -1
                                        ; implicit-def: $vgpr13
	s_branch .LBB151_2012
.LBB151_1972:
	s_mov_b32 s9, -1
                                        ; implicit-def: $vgpr13
	s_branch .LBB151_1987
.LBB151_1973:
	s_mov_b32 s12, -1
                                        ; implicit-def: $vgpr12
	s_branch .LBB151_1999
.LBB151_1974:
	s_mov_b32 s9, -1
                                        ; implicit-def: $vgpr13
	s_branch .LBB151_1984
.LBB151_1975:
	s_mov_b32 s12, -1
                                        ; implicit-def: $vgpr12
	s_branch .LBB151_1996
.LBB151_1976:
	s_mov_b32 s13, -1
	s_mov_b32 s15, exec_lo
	v_cmpx_eq_u16_e32 0x80, v1
; %bb.1977:
	s_xor_b32 s13, exec_lo, -1
; %bb.1978:
	s_or_b32 exec_lo, exec_lo, s15
	s_delay_alu instid0(SALU_CYCLE_1)
	s_and_b32 s13, s13, exec_lo
	s_or_saveexec_b32 s14, s14
	v_mov_b32_e32 v12, 0x7f800001
	s_xor_b32 exec_lo, exec_lo, s14
	s_cbranch_execz .LBB151_1948
.LBB151_1979:
	v_cmp_ne_u16_e32 vcc_lo, 0, v1
	v_mov_b32_e32 v12, 0
	s_and_not1_b32 s13, s13, exec_lo
	s_and_b32 s15, vcc_lo, exec_lo
	s_delay_alu instid0(SALU_CYCLE_1)
	s_or_b32 s13, s13, s15
	s_or_b32 exec_lo, exec_lo, s14
	s_and_saveexec_b32 s14, s13
	s_cbranch_execnz .LBB151_1949
	s_branch .LBB151_1950
.LBB151_1980:
	s_mov_b32 s9, -1
                                        ; implicit-def: $vgpr13
.LBB151_1981:
	s_delay_alu instid0(SALU_CYCLE_1)
	s_and_not1_b32 vcc_lo, exec_lo, s9
	s_cbranch_vccnz .LBB151_1983
; %bb.1982:
	global_load_b64 v[12:13], v[24:25], off
.LBB151_1983:
	s_mov_b32 s9, 0
.LBB151_1984:
	s_delay_alu instid0(SALU_CYCLE_1)
	s_and_not1_b32 vcc_lo, exec_lo, s9
	s_cbranch_vccnz .LBB151_1986
; %bb.1985:
	global_load_b32 v1, v[24:25], off
	s_wait_loadcnt 0x0
	v_lshrrev_b32_e32 v3, 16, v1
	v_cvt_f32_f16_e32 v12, v1
	s_wait_xcnt 0x1
	s_delay_alu instid0(VALU_DEP_2)
	v_cvt_f32_f16_e32 v13, v3
.LBB151_1986:
	s_mov_b32 s9, 0
.LBB151_1987:
	s_delay_alu instid0(SALU_CYCLE_1)
	s_and_not1_b32 vcc_lo, exec_lo, s9
	s_cbranch_vccnz .LBB151_2011
; %bb.1988:
	s_cmp_lt_i32 s6, 6
	s_cbranch_scc1 .LBB151_1991
; %bb.1989:
	s_cmp_gt_i32 s6, 6
	s_cbranch_scc0 .LBB151_2004
; %bb.1990:
	s_wait_loadcnt 0x0
	global_load_b64 v[12:13], v[24:25], off
	s_mov_b32 s9, 0
	s_wait_loadcnt 0x0
	v_cvt_f32_f64_e32 v12, v[12:13]
	s_branch .LBB151_2005
.LBB151_1991:
	s_mov_b32 s9, -1
                                        ; implicit-def: $vgpr12
	s_branch .LBB151_2008
.LBB151_1992:
	s_mov_b32 s12, -1
                                        ; implicit-def: $vgpr12
.LBB151_1993:
	s_delay_alu instid0(SALU_CYCLE_1)
	s_and_b32 vcc_lo, exec_lo, s12
	s_cbranch_vccz .LBB151_1995
; %bb.1994:
	global_load_u8 v1, v[24:25], off
	s_wait_loadcnt 0x0
	v_lshlrev_b32_e32 v1, 24, v1
	s_delay_alu instid0(VALU_DEP_1) | instskip(NEXT) | instid1(VALU_DEP_1)
	v_and_b32_e32 v3, 0x7f000000, v1
	v_clz_i32_u32_e32 v5, v3
	v_add_nc_u32_e32 v11, 0x1000000, v3
	v_cmp_ne_u32_e32 vcc_lo, 0, v3
	s_delay_alu instid0(VALU_DEP_3) | instskip(NEXT) | instid1(VALU_DEP_1)
	v_min_u32_e32 v5, 32, v5
	v_sub_nc_u32_e64 v5, v5, 4 clamp
	s_delay_alu instid0(VALU_DEP_1) | instskip(NEXT) | instid1(VALU_DEP_1)
	v_dual_lshlrev_b32 v7, v5, v3 :: v_dual_lshlrev_b32 v5, 23, v5
	v_lshrrev_b32_e32 v7, 4, v7
	s_delay_alu instid0(VALU_DEP_1) | instskip(NEXT) | instid1(VALU_DEP_1)
	v_dual_sub_nc_u32 v5, v7, v5 :: v_dual_ashrrev_i32 v7, 8, v11
	v_add_nc_u32_e32 v5, 0x3c000000, v5
	s_delay_alu instid0(VALU_DEP_1) | instskip(NEXT) | instid1(VALU_DEP_1)
	v_and_or_b32 v5, 0x7f800000, v7, v5
	v_cndmask_b32_e32 v3, 0, v5, vcc_lo
	s_delay_alu instid0(VALU_DEP_1)
	v_and_or_b32 v12, 0x80000000, v1, v3
.LBB151_1995:
	s_mov_b32 s12, 0
.LBB151_1996:
	s_delay_alu instid0(SALU_CYCLE_1)
	s_and_not1_b32 vcc_lo, exec_lo, s12
	s_cbranch_vccnz .LBB151_1998
; %bb.1997:
	global_load_u8 v1, v[24:25], off
	s_wait_loadcnt 0x0
	v_lshlrev_b32_e32 v3, 25, v1
	v_lshlrev_b16 v1, 8, v1
	s_delay_alu instid0(VALU_DEP_1) | instskip(SKIP_1) | instid1(VALU_DEP_2)
	v_and_or_b32 v7, 0x7f00, v1, 0.5
	v_bfe_i32 v1, v1, 0, 16
	v_add_f32_e32 v7, -0.5, v7
	v_lshrrev_b32_e32 v5, 4, v3
	v_cmp_gt_u32_e32 vcc_lo, 0x8000000, v3
	s_delay_alu instid0(VALU_DEP_2) | instskip(NEXT) | instid1(VALU_DEP_1)
	v_or_b32_e32 v5, 0x70000000, v5
	v_mul_f32_e32 v5, 0x7800000, v5
	s_delay_alu instid0(VALU_DEP_1) | instskip(NEXT) | instid1(VALU_DEP_1)
	v_cndmask_b32_e32 v3, v5, v7, vcc_lo
	v_and_or_b32 v12, 0x80000000, v1, v3
.LBB151_1998:
	s_mov_b32 s12, 0
	s_mov_b32 s13, -1
.LBB151_1999:
	s_and_not1_b32 vcc_lo, exec_lo, s12
	s_mov_b32 s12, 0
	s_cbranch_vccnz .LBB151_2023
; %bb.2000:
	s_cmp_gt_i32 s6, 14
	s_cbranch_scc0 .LBB151_2003
; %bb.2001:
	s_cmp_eq_u32 s6, 15
	s_cbranch_scc0 .LBB151_2019
; %bb.2002:
	global_load_u16 v1, v[24:25], off
	s_mov_b32 s9, 0
	s_mov_b32 s13, -1
	s_wait_loadcnt 0x0
	v_lshlrev_b32_e32 v12, 16, v1
	s_branch .LBB151_2021
.LBB151_2003:
	s_mov_b32 s12, -1
	s_branch .LBB151_2020
.LBB151_2004:
	s_mov_b32 s9, -1
                                        ; implicit-def: $vgpr12
.LBB151_2005:
	s_delay_alu instid0(SALU_CYCLE_1)
	s_and_not1_b32 vcc_lo, exec_lo, s9
	s_cbranch_vccnz .LBB151_2007
; %bb.2006:
	s_wait_loadcnt 0x0
	global_load_b32 v12, v[24:25], off
.LBB151_2007:
	s_mov_b32 s9, 0
.LBB151_2008:
	s_delay_alu instid0(SALU_CYCLE_1)
	s_and_not1_b32 vcc_lo, exec_lo, s9
	s_cbranch_vccnz .LBB151_2010
; %bb.2009:
	global_load_u16 v1, v[24:25], off
	s_wait_loadcnt 0x0
	v_cvt_f32_f16_e32 v12, v1
.LBB151_2010:
	s_wait_loadcnt 0x0
	v_mov_b32_e32 v13, 0
.LBB151_2011:
	s_mov_b32 s9, 0
.LBB151_2012:
	s_delay_alu instid0(SALU_CYCLE_1)
	s_and_not1_b32 vcc_lo, exec_lo, s9
	s_cbranch_vccnz .LBB151_2039
; %bb.2013:
	s_cmp_lt_i32 s6, 2
	s_cbranch_scc1 .LBB151_2017
; %bb.2014:
	s_cmp_lt_i32 s6, 3
	s_cbranch_scc1 .LBB151_2018
; %bb.2015:
	s_cmp_gt_i32 s6, 3
	s_cbranch_scc0 .LBB151_2025
; %bb.2016:
	s_wait_loadcnt 0x0
	global_load_b64 v[12:13], v[24:25], off
	s_mov_b32 s9, 0
	s_wait_loadcnt 0x0
	v_xor_b32_e32 v1, v12, v13
	v_cls_i32_e32 v3, v13
	s_delay_alu instid0(VALU_DEP_2) | instskip(NEXT) | instid1(VALU_DEP_1)
	v_ashrrev_i32_e32 v1, 31, v1
	v_add_nc_u32_e32 v1, 32, v1
	s_delay_alu instid0(VALU_DEP_1) | instskip(NEXT) | instid1(VALU_DEP_1)
	v_add_min_u32_e64 v1, v3, -1, v1
	v_lshlrev_b64_e32 v[12:13], v1, v[12:13]
	v_sub_nc_u32_e32 v1, 32, v1
	s_delay_alu instid0(VALU_DEP_2) | instskip(NEXT) | instid1(VALU_DEP_1)
	v_min_u32_e32 v3, 1, v12
	v_or_b32_e32 v3, v13, v3
	s_delay_alu instid0(VALU_DEP_1) | instskip(NEXT) | instid1(VALU_DEP_1)
	v_cvt_f32_i32_e32 v3, v3
	v_ldexp_f32 v12, v3, v1
	s_branch .LBB151_2026
.LBB151_2017:
	s_mov_b32 s9, -1
                                        ; implicit-def: $vgpr12
	s_branch .LBB151_2032
.LBB151_2018:
	s_mov_b32 s9, -1
                                        ; implicit-def: $vgpr12
	s_branch .LBB151_2029
.LBB151_2019:
	s_mov_b32 s9, -1
.LBB151_2020:
                                        ; implicit-def: $vgpr12
.LBB151_2021:
	s_and_b32 vcc_lo, exec_lo, s12
	s_mov_b32 s12, 0
	s_cbranch_vccz .LBB151_2023
; %bb.2022:
	s_cmp_lg_u32 s6, 11
	s_mov_b32 s12, -1
	s_cselect_b32 s9, -1, 0
.LBB151_2023:
	s_wait_xcnt 0x0
	v_mov_b32_e32 v13, 0
	s_and_b32 vcc_lo, exec_lo, s9
	s_cbranch_vccz .LBB151_1955
.LBB151_2024:
	s_or_b32 s11, s11, exec_lo
	s_trap 2
	s_cbranch_execz .LBB151_1956
	s_branch .LBB151_1957
.LBB151_2025:
	s_mov_b32 s9, -1
                                        ; implicit-def: $vgpr12
.LBB151_2026:
	s_delay_alu instid0(SALU_CYCLE_1)
	s_and_not1_b32 vcc_lo, exec_lo, s9
	s_cbranch_vccnz .LBB151_2028
; %bb.2027:
	global_load_b32 v1, v[24:25], off
	s_wait_loadcnt 0x0
	v_cvt_f32_i32_e32 v12, v1
.LBB151_2028:
	s_mov_b32 s9, 0
.LBB151_2029:
	s_delay_alu instid0(SALU_CYCLE_1)
	s_and_not1_b32 vcc_lo, exec_lo, s9
	s_cbranch_vccnz .LBB151_2031
; %bb.2030:
	global_load_i16 v1, v[24:25], off
	s_wait_loadcnt 0x0
	v_cvt_f32_i32_e32 v12, v1
.LBB151_2031:
	s_mov_b32 s9, 0
.LBB151_2032:
	s_delay_alu instid0(SALU_CYCLE_1)
	s_and_not1_b32 vcc_lo, exec_lo, s9
	s_cbranch_vccnz .LBB151_2038
; %bb.2033:
	s_cmp_gt_i32 s6, 0
	s_mov_b32 s6, 0
	s_cbranch_scc0 .LBB151_2035
; %bb.2034:
	global_load_i8 v1, v[24:25], off
	s_wait_loadcnt 0x0
	v_cvt_f32_i32_e32 v12, v1
	s_branch .LBB151_2036
.LBB151_2035:
	s_mov_b32 s6, -1
                                        ; implicit-def: $vgpr12
.LBB151_2036:
	s_delay_alu instid0(SALU_CYCLE_1)
	s_and_not1_b32 vcc_lo, exec_lo, s6
	s_cbranch_vccnz .LBB151_2038
; %bb.2037:
	global_load_u8 v1, v[24:25], off
	s_wait_loadcnt 0x0
	v_cvt_f32_ubyte0_e32 v12, v1
.LBB151_2038:
	s_wait_loadcnt 0x0
	v_mov_b32_e32 v13, 0
.LBB151_2039:
.LBB151_2040:
	s_and_b32 s6, 0xffff, s4
	s_delay_alu instid0(SALU_CYCLE_1)
	s_cmp_lt_i32 s6, 23
	s_cbranch_scc1 .LBB151_2044
; %bb.2041:
	s_cmp_gt_i32 s6, 43
	s_cbranch_scc0 .LBB151_2045
; %bb.2042:
	s_cmp_gt_i32 s6, 45
	s_cbranch_scc0 .LBB151_2046
; %bb.2043:
	s_cmp_lg_u32 s6, 46
	s_mov_b32 s12, 0
	s_mov_b32 s4, -1
	s_cselect_b32 s9, -1, 0
	s_branch .LBB151_2047
.LBB151_2044:
	s_mov_b32 s12, -1
	s_mov_b32 s4, 0
	s_mov_b32 s9, 0
	s_branch .LBB151_2053
.LBB151_2045:
	s_mov_b32 s12, -1
	s_mov_b32 s4, 0
	s_mov_b32 s9, 0
	s_branch .LBB151_2050
.LBB151_2046:
	s_mov_b32 s12, -1
	s_mov_b32 s4, 0
	s_mov_b32 s9, 0
.LBB151_2047:
	s_and_not1_b32 vcc_lo, exec_lo, s12
	s_cbranch_vccnz .LBB151_2049
; %bb.2048:
	s_cmp_eq_u32 s6, 44
	s_cselect_b32 s4, -1, 0
	s_cmp_lg_u32 s6, 44
	s_cselect_b32 s9, -1, 0
.LBB151_2049:
	s_mov_b32 s12, 0
.LBB151_2050:
	s_delay_alu instid0(SALU_CYCLE_1)
	s_and_b32 vcc_lo, exec_lo, s12
	s_cbranch_vccz .LBB151_2052
; %bb.2051:
	s_cmp_lt_i32 s6, 30
	s_cselect_b32 s4, -1, 0
	s_cmp_gt_i32 s6, 29
	s_cselect_b32 s9, -1, 0
.LBB151_2052:
	s_mov_b32 s12, 0
.LBB151_2053:
	s_delay_alu instid0(SALU_CYCLE_1)
	s_and_b32 vcc_lo, exec_lo, s12
	s_cbranch_vccz .LBB151_2058
; %bb.2054:
	s_cmp_gt_i32 s6, 14
	s_mov_b32 s12, -1
	s_cbranch_scc0 .LBB151_2056
; %bb.2055:
	s_cmp_eq_u32 s6, 15
	s_mov_b32 s12, 0
	s_cselect_b32 s4, -1, 0
	s_cmp_lg_u32 s6, 15
	s_cselect_b32 s9, -1, 0
.LBB151_2056:
	s_and_not1_b32 vcc_lo, exec_lo, s12
	s_cbranch_vccnz .LBB151_2058
; %bb.2057:
	s_cmp_lt_i32 s6, 12
	s_cselect_b32 s4, -1, 0
	s_cmp_gt_i32 s6, 11
	s_cselect_b32 s9, -1, 0
.LBB151_2058:
	s_delay_alu instid0(SALU_CYCLE_1)
	s_and_b32 vcc_lo, exec_lo, s9
	s_cbranch_vccnz .LBB151_2070
; %bb.2059:
	s_and_not1_b32 vcc_lo, exec_lo, s4
	s_cbranch_vccnz .LBB151_3358
.LBB151_2060:
	v_mov_b32_e32 v15, 0
	s_and_b32 s4, 0xffff, s5
	s_delay_alu instid0(SALU_CYCLE_1) | instskip(SKIP_1) | instid1(VALU_DEP_1)
	s_cmp_lt_i32 s4, 11
	s_wait_xcnt 0x0
	v_add_nc_u64_e32 v[24:25], s[0:1], v[14:15]
	s_cbranch_scc1 .LBB151_2067
; %bb.2061:
	s_cmp_gt_i32 s4, 25
	s_mov_b32 s9, 0
	s_cbranch_scc0 .LBB151_2068
; %bb.2062:
	s_cmp_gt_i32 s4, 28
	s_cbranch_scc0 .LBB151_2069
; %bb.2063:
	s_cmp_gt_i32 s4, 43
	;; [unrolled: 3-line block ×3, first 2 shown]
	s_cbranch_scc0 .LBB151_2076
; %bb.2065:
	s_cmp_eq_u32 s4, 46
	s_mov_b32 s13, 0
	s_cbranch_scc0 .LBB151_2077
; %bb.2066:
	global_load_b32 v1, v[24:25], off
	s_mov_b32 s5, 0
	s_mov_b32 s12, -1
	s_wait_loadcnt 0x0
	v_and_b32_e32 v15, 0xffff0000, v1
	v_lshlrev_b32_e32 v14, 16, v1
	s_branch .LBB151_2079
.LBB151_2067:
	s_mov_b32 s5, -1
	s_mov_b32 s12, 0
                                        ; implicit-def: $vgpr15
	s_branch .LBB151_2113
.LBB151_2068:
	s_mov_b32 s13, -1
	s_mov_b32 s12, 0
	s_mov_b32 s5, 0
                                        ; implicit-def: $vgpr15
	s_branch .LBB151_2108
.LBB151_2069:
	s_mov_b32 s13, -1
	s_mov_b32 s12, 0
	s_mov_b32 s5, 0
                                        ; implicit-def: $vgpr15
	s_branch .LBB151_2091
.LBB151_2070:
	s_or_b32 s11, s11, exec_lo
	s_trap 2
	s_cbranch_execz .LBB151_2060
	s_branch .LBB151_3358
.LBB151_2071:
	s_mov_b32 s12, -1
	s_mov_b32 s14, exec_lo
	v_cmpx_eq_u16_e32 0x80, v1
; %bb.2072:
	s_xor_b32 s12, exec_lo, -1
; %bb.2073:
	s_or_b32 exec_lo, exec_lo, s14
	s_delay_alu instid0(SALU_CYCLE_1)
	s_and_b32 s12, s12, exec_lo
	s_or_saveexec_b32 s13, s13
	v_mov_b32_e32 v12, 0x7f800001
	s_xor_b32 exec_lo, exec_lo, s13
	s_cbranch_execz .LBB151_1968
.LBB151_2074:
	v_cmp_ne_u16_e32 vcc_lo, 0, v1
	v_mov_b32_e32 v12, 0
	s_and_not1_b32 s12, s12, exec_lo
	s_and_b32 s14, vcc_lo, exec_lo
	s_delay_alu instid0(SALU_CYCLE_1)
	s_or_b32 s12, s12, s14
	s_or_b32 exec_lo, exec_lo, s13
	s_and_saveexec_b32 s13, s12
	s_cbranch_execnz .LBB151_1969
	s_branch .LBB151_1970
.LBB151_2075:
	s_mov_b32 s13, -1
	s_mov_b32 s12, 0
	s_mov_b32 s5, 0
                                        ; implicit-def: $vgpr15
	s_branch .LBB151_2085
.LBB151_2076:
	s_mov_b32 s13, -1
	s_mov_b32 s12, 0
	s_mov_b32 s5, 0
	s_branch .LBB151_2078
.LBB151_2077:
	s_mov_b32 s5, -1
	s_mov_b32 s12, 0
.LBB151_2078:
                                        ; implicit-def: $vgpr15
.LBB151_2079:
	s_and_b32 vcc_lo, exec_lo, s13
	s_cbranch_vccz .LBB151_2084
; %bb.2080:
	s_cmp_eq_u32 s4, 44
	s_cbranch_scc0 .LBB151_2082
; %bb.2081:
	global_load_u8 v1, v[24:25], off
	s_mov_b32 s5, 0
	s_mov_b32 s12, -1
	s_wait_loadcnt 0x0
	v_lshlrev_b32_e32 v3, 23, v1
	v_cmp_ne_u32_e32 vcc_lo, 0xff, v1
	s_delay_alu instid0(VALU_DEP_2) | instskip(SKIP_1) | instid1(VALU_DEP_2)
	v_cndmask_b32_e32 v3, 0x7f800001, v3, vcc_lo
	v_cmp_ne_u32_e32 vcc_lo, 0, v1
	v_cndmask_b32_e32 v14, 0x400000, v3, vcc_lo
	s_branch .LBB151_2083
.LBB151_2082:
	s_mov_b32 s5, -1
                                        ; implicit-def: $vgpr14
.LBB151_2083:
	v_mov_b32_e32 v15, 0
.LBB151_2084:
	s_mov_b32 s13, 0
.LBB151_2085:
	s_delay_alu instid0(SALU_CYCLE_1)
	s_and_b32 vcc_lo, exec_lo, s13
	s_cbranch_vccz .LBB151_2090
; %bb.2086:
	s_cmp_eq_u32 s4, 29
	s_cbranch_scc0 .LBB151_2088
; %bb.2087:
	global_load_b64 v[14:15], v[24:25], off
	s_mov_b32 s5, 0
	s_mov_b32 s12, -1
	s_wait_loadcnt 0x0
	v_clz_i32_u32_e32 v1, v15
	s_delay_alu instid0(VALU_DEP_1) | instskip(NEXT) | instid1(VALU_DEP_1)
	v_min_u32_e32 v1, 32, v1
	v_lshlrev_b64_e32 v[14:15], v1, v[14:15]
	v_sub_nc_u32_e32 v1, 32, v1
	s_delay_alu instid0(VALU_DEP_2) | instskip(NEXT) | instid1(VALU_DEP_1)
	v_min_u32_e32 v3, 1, v14
	v_or_b32_e32 v3, v15, v3
	s_delay_alu instid0(VALU_DEP_1) | instskip(NEXT) | instid1(VALU_DEP_1)
	v_cvt_f32_u32_e32 v3, v3
	v_ldexp_f32 v14, v3, v1
	s_branch .LBB151_2089
.LBB151_2088:
	s_mov_b32 s5, -1
                                        ; implicit-def: $vgpr14
.LBB151_2089:
	v_mov_b32_e32 v15, 0
.LBB151_2090:
	s_mov_b32 s13, 0
.LBB151_2091:
	s_delay_alu instid0(SALU_CYCLE_1)
	s_and_b32 vcc_lo, exec_lo, s13
	s_cbranch_vccz .LBB151_2107
; %bb.2092:
	s_cmp_lt_i32 s4, 27
	s_cbranch_scc1 .LBB151_2095
; %bb.2093:
	s_cmp_gt_i32 s4, 27
	s_cbranch_scc0 .LBB151_2096
; %bb.2094:
	global_load_b32 v1, v[24:25], off
	s_mov_b32 s12, 0
	s_wait_loadcnt 0x0
	v_cvt_f32_u32_e32 v14, v1
	s_branch .LBB151_2097
.LBB151_2095:
	s_mov_b32 s12, -1
                                        ; implicit-def: $vgpr14
	s_branch .LBB151_2100
.LBB151_2096:
	s_mov_b32 s12, -1
                                        ; implicit-def: $vgpr14
.LBB151_2097:
	s_delay_alu instid0(SALU_CYCLE_1)
	s_and_not1_b32 vcc_lo, exec_lo, s12
	s_cbranch_vccnz .LBB151_2099
; %bb.2098:
	global_load_u16 v1, v[24:25], off
	s_wait_loadcnt 0x0
	v_cvt_f32_u32_e32 v14, v1
.LBB151_2099:
	s_mov_b32 s12, 0
.LBB151_2100:
	s_delay_alu instid0(SALU_CYCLE_1)
	s_and_not1_b32 vcc_lo, exec_lo, s12
	s_cbranch_vccnz .LBB151_2106
; %bb.2101:
	global_load_u8 v1, v[24:25], off
	s_mov_b32 s12, 0
	s_mov_b32 s13, exec_lo
	s_wait_loadcnt 0x0
	v_cmpx_lt_i16_e32 0x7f, v1
	s_xor_b32 s13, exec_lo, s13
	s_cbranch_execnz .LBB151_2132
; %bb.2102:
	s_or_saveexec_b32 s13, s13
	v_mov_b32_e32 v14, 0x7f800001
	s_xor_b32 exec_lo, exec_lo, s13
	s_cbranch_execnz .LBB151_2135
.LBB151_2103:
	s_or_b32 exec_lo, exec_lo, s13
	s_and_saveexec_b32 s13, s12
	s_cbranch_execz .LBB151_2105
.LBB151_2104:
	v_and_b32_e32 v3, 0xffff, v1
	s_delay_alu instid0(VALU_DEP_1) | instskip(SKIP_1) | instid1(VALU_DEP_2)
	v_dual_lshlrev_b32 v1, 24, v1 :: v_dual_bitop2_b32 v5, 7, v3 bitop3:0x40
	v_bfe_u32 v14, v3, 3, 4
	v_and_b32_e32 v1, 0x80000000, v1
	s_delay_alu instid0(VALU_DEP_3) | instskip(NEXT) | instid1(VALU_DEP_3)
	v_clz_i32_u32_e32 v7, v5
	v_cmp_eq_u32_e32 vcc_lo, 0, v14
	s_delay_alu instid0(VALU_DEP_2) | instskip(NEXT) | instid1(VALU_DEP_1)
	v_min_u32_e32 v7, 32, v7
	v_subrev_nc_u32_e32 v11, 28, v7
	v_sub_nc_u32_e32 v7, 29, v7
	s_delay_alu instid0(VALU_DEP_2) | instskip(NEXT) | instid1(VALU_DEP_2)
	v_lshlrev_b32_e32 v3, v11, v3
	v_cndmask_b32_e32 v7, v14, v7, vcc_lo
	s_delay_alu instid0(VALU_DEP_2) | instskip(NEXT) | instid1(VALU_DEP_1)
	v_and_b32_e32 v3, 7, v3
	v_cndmask_b32_e32 v3, v5, v3, vcc_lo
	s_delay_alu instid0(VALU_DEP_3) | instskip(NEXT) | instid1(VALU_DEP_2)
	v_lshl_add_u32 v5, v7, 23, 0x3b800000
	v_lshlrev_b32_e32 v3, 20, v3
	s_delay_alu instid0(VALU_DEP_1)
	v_or3_b32 v14, v1, v5, v3
.LBB151_2105:
	s_or_b32 exec_lo, exec_lo, s13
.LBB151_2106:
	v_mov_b32_e32 v15, 0
	s_mov_b32 s12, -1
.LBB151_2107:
	s_mov_b32 s13, 0
.LBB151_2108:
	s_delay_alu instid0(SALU_CYCLE_1)
	s_and_b32 vcc_lo, exec_lo, s13
	s_cbranch_vccnz .LBB151_2119
; %bb.2109:
	s_and_b32 vcc_lo, exec_lo, s5
	s_cbranch_vccnz .LBB151_2180
.LBB151_2110:
	s_and_not1_b32 vcc_lo, exec_lo, s9
	s_cbranch_vccnz .LBB151_2112
.LBB151_2111:
	global_load_u8 v1, v[24:25], off
	v_mov_b32_e32 v15, 0
	s_mov_b32 s12, -1
	s_wait_loadcnt 0x0
	v_cmp_ne_u16_e32 vcc_lo, 0, v1
	v_cndmask_b32_e64 v14, 0, 1.0, vcc_lo
.LBB151_2112:
	s_mov_b32 s5, 0
.LBB151_2113:
	s_delay_alu instid0(SALU_CYCLE_1)
	s_and_b32 vcc_lo, exec_lo, s5
	s_cbranch_vccz .LBB151_2196
; %bb.2114:
	s_cmp_lt_i32 s4, 5
	s_cbranch_scc1 .LBB151_2127
; %bb.2115:
	s_cmp_lt_i32 s4, 8
	s_cbranch_scc1 .LBB151_2128
	;; [unrolled: 3-line block ×3, first 2 shown]
; %bb.2117:
	s_cmp_gt_i32 s4, 9
	s_cbranch_scc0 .LBB151_2136
; %bb.2118:
	global_load_b128 v[26:29], v[24:25], off
	s_mov_b32 s5, 0
	s_wait_loadcnt 0x0
	v_cvt_f32_f64_e32 v14, v[26:27]
	v_cvt_f32_f64_e32 v15, v[28:29]
	s_branch .LBB151_2137
.LBB151_2119:
	s_cmp_gt_i32 s4, 22
	s_cbranch_scc0 .LBB151_2129
; %bb.2120:
	s_cmp_lt_i32 s4, 24
	s_cbranch_scc1 .LBB151_2131
; %bb.2121:
	s_cmp_gt_i32 s4, 24
	s_cbranch_scc0 .LBB151_2148
; %bb.2122:
	global_load_u8 v1, v[24:25], off
	s_mov_b32 s12, exec_lo
	s_wait_loadcnt 0x0
	v_cmpx_lt_i16_e32 0x7f, v1
	s_xor_b32 s12, exec_lo, s12
	s_cbranch_execnz .LBB151_2208
; %bb.2123:
	s_or_saveexec_b32 s12, s12
	v_mov_b32_e32 v14, 0x7f800001
	s_xor_b32 exec_lo, exec_lo, s12
	s_cbranch_execnz .LBB151_2211
.LBB151_2124:
	s_or_b32 exec_lo, exec_lo, s12
	s_and_saveexec_b32 s12, s9
	s_cbranch_execz .LBB151_2126
.LBB151_2125:
	v_and_b32_e32 v3, 0xffff, v1
	s_delay_alu instid0(VALU_DEP_1) | instskip(SKIP_1) | instid1(VALU_DEP_2)
	v_dual_lshlrev_b32 v1, 24, v1 :: v_dual_bitop2_b32 v5, 3, v3 bitop3:0x40
	v_bfe_u32 v14, v3, 2, 5
	v_and_b32_e32 v1, 0x80000000, v1
	s_delay_alu instid0(VALU_DEP_3) | instskip(NEXT) | instid1(VALU_DEP_3)
	v_clz_i32_u32_e32 v7, v5
	v_cmp_eq_u32_e32 vcc_lo, 0, v14
	s_delay_alu instid0(VALU_DEP_2) | instskip(NEXT) | instid1(VALU_DEP_1)
	v_min_u32_e32 v7, 32, v7
	v_subrev_nc_u32_e32 v11, 29, v7
	v_sub_nc_u32_e32 v7, 30, v7
	s_delay_alu instid0(VALU_DEP_2) | instskip(NEXT) | instid1(VALU_DEP_2)
	v_lshlrev_b32_e32 v3, v11, v3
	v_cndmask_b32_e32 v7, v14, v7, vcc_lo
	s_delay_alu instid0(VALU_DEP_2) | instskip(NEXT) | instid1(VALU_DEP_1)
	v_and_b32_e32 v3, 3, v3
	v_cndmask_b32_e32 v3, v5, v3, vcc_lo
	s_delay_alu instid0(VALU_DEP_3) | instskip(NEXT) | instid1(VALU_DEP_2)
	v_lshl_add_u32 v5, v7, 23, 0x37800000
	v_lshlrev_b32_e32 v3, 21, v3
	s_delay_alu instid0(VALU_DEP_1)
	v_or3_b32 v14, v1, v5, v3
.LBB151_2126:
	s_or_b32 exec_lo, exec_lo, s12
	s_mov_b32 s9, 0
	s_branch .LBB151_2149
.LBB151_2127:
	s_mov_b32 s5, -1
                                        ; implicit-def: $vgpr15
	s_branch .LBB151_2168
.LBB151_2128:
	s_mov_b32 s5, -1
                                        ; implicit-def: $vgpr15
	s_branch .LBB151_2143
.LBB151_2129:
	s_mov_b32 s9, -1
                                        ; implicit-def: $vgpr14
	s_branch .LBB151_2155
.LBB151_2130:
	s_mov_b32 s5, -1
                                        ; implicit-def: $vgpr15
	s_branch .LBB151_2140
.LBB151_2131:
	s_mov_b32 s9, -1
                                        ; implicit-def: $vgpr14
	s_branch .LBB151_2152
.LBB151_2132:
	s_mov_b32 s12, -1
	s_mov_b32 s14, exec_lo
	v_cmpx_eq_u16_e32 0x80, v1
; %bb.2133:
	s_xor_b32 s12, exec_lo, -1
; %bb.2134:
	s_or_b32 exec_lo, exec_lo, s14
	s_delay_alu instid0(SALU_CYCLE_1)
	s_and_b32 s12, s12, exec_lo
	s_or_saveexec_b32 s13, s13
	v_mov_b32_e32 v14, 0x7f800001
	s_xor_b32 exec_lo, exec_lo, s13
	s_cbranch_execz .LBB151_2103
.LBB151_2135:
	v_cmp_ne_u16_e32 vcc_lo, 0, v1
	v_mov_b32_e32 v14, 0
	s_and_not1_b32 s12, s12, exec_lo
	s_and_b32 s14, vcc_lo, exec_lo
	s_delay_alu instid0(SALU_CYCLE_1)
	s_or_b32 s12, s12, s14
	s_or_b32 exec_lo, exec_lo, s13
	s_and_saveexec_b32 s13, s12
	s_cbranch_execnz .LBB151_2104
	s_branch .LBB151_2105
.LBB151_2136:
	s_mov_b32 s5, -1
                                        ; implicit-def: $vgpr15
.LBB151_2137:
	s_delay_alu instid0(SALU_CYCLE_1)
	s_and_not1_b32 vcc_lo, exec_lo, s5
	s_cbranch_vccnz .LBB151_2139
; %bb.2138:
	global_load_b64 v[14:15], v[24:25], off
.LBB151_2139:
	s_mov_b32 s5, 0
.LBB151_2140:
	s_delay_alu instid0(SALU_CYCLE_1)
	s_and_not1_b32 vcc_lo, exec_lo, s5
	s_cbranch_vccnz .LBB151_2142
; %bb.2141:
	global_load_b32 v1, v[24:25], off
	s_wait_loadcnt 0x0
	v_lshrrev_b32_e32 v3, 16, v1
	v_cvt_f32_f16_e32 v14, v1
	s_delay_alu instid0(VALU_DEP_2)
	v_cvt_f32_f16_e32 v15, v3
.LBB151_2142:
	s_mov_b32 s5, 0
.LBB151_2143:
	s_delay_alu instid0(SALU_CYCLE_1)
	s_and_not1_b32 vcc_lo, exec_lo, s5
	s_cbranch_vccnz .LBB151_2167
; %bb.2144:
	s_cmp_lt_i32 s4, 6
	s_cbranch_scc1 .LBB151_2147
; %bb.2145:
	s_cmp_gt_i32 s4, 6
	s_cbranch_scc0 .LBB151_2160
; %bb.2146:
	s_wait_loadcnt 0x0
	global_load_b64 v[14:15], v[24:25], off
	s_mov_b32 s5, 0
	s_wait_loadcnt 0x0
	v_cvt_f32_f64_e32 v14, v[14:15]
	s_branch .LBB151_2161
.LBB151_2147:
	s_mov_b32 s5, -1
                                        ; implicit-def: $vgpr14
	s_branch .LBB151_2164
.LBB151_2148:
	s_mov_b32 s9, -1
                                        ; implicit-def: $vgpr14
.LBB151_2149:
	s_delay_alu instid0(SALU_CYCLE_1)
	s_and_b32 vcc_lo, exec_lo, s9
	s_cbranch_vccz .LBB151_2151
; %bb.2150:
	global_load_u8 v1, v[24:25], off
	s_wait_loadcnt 0x0
	v_lshlrev_b32_e32 v1, 24, v1
	s_delay_alu instid0(VALU_DEP_1) | instskip(NEXT) | instid1(VALU_DEP_1)
	v_and_b32_e32 v3, 0x7f000000, v1
	v_clz_i32_u32_e32 v5, v3
	v_add_nc_u32_e32 v11, 0x1000000, v3
	v_cmp_ne_u32_e32 vcc_lo, 0, v3
	s_delay_alu instid0(VALU_DEP_3) | instskip(NEXT) | instid1(VALU_DEP_1)
	v_min_u32_e32 v5, 32, v5
	v_sub_nc_u32_e64 v5, v5, 4 clamp
	s_delay_alu instid0(VALU_DEP_1) | instskip(NEXT) | instid1(VALU_DEP_1)
	v_dual_lshlrev_b32 v7, v5, v3 :: v_dual_lshlrev_b32 v5, 23, v5
	v_lshrrev_b32_e32 v7, 4, v7
	s_delay_alu instid0(VALU_DEP_1) | instskip(NEXT) | instid1(VALU_DEP_1)
	v_dual_sub_nc_u32 v5, v7, v5 :: v_dual_ashrrev_i32 v7, 8, v11
	v_add_nc_u32_e32 v5, 0x3c000000, v5
	s_delay_alu instid0(VALU_DEP_1) | instskip(NEXT) | instid1(VALU_DEP_1)
	v_and_or_b32 v5, 0x7f800000, v7, v5
	v_cndmask_b32_e32 v3, 0, v5, vcc_lo
	s_delay_alu instid0(VALU_DEP_1)
	v_and_or_b32 v14, 0x80000000, v1, v3
.LBB151_2151:
	s_mov_b32 s9, 0
.LBB151_2152:
	s_delay_alu instid0(SALU_CYCLE_1)
	s_and_not1_b32 vcc_lo, exec_lo, s9
	s_cbranch_vccnz .LBB151_2154
; %bb.2153:
	global_load_u8 v1, v[24:25], off
	s_wait_loadcnt 0x0
	v_lshlrev_b32_e32 v3, 25, v1
	v_lshlrev_b16 v1, 8, v1
	s_delay_alu instid0(VALU_DEP_1) | instskip(SKIP_1) | instid1(VALU_DEP_2)
	v_and_or_b32 v7, 0x7f00, v1, 0.5
	v_bfe_i32 v1, v1, 0, 16
	v_add_f32_e32 v7, -0.5, v7
	v_lshrrev_b32_e32 v5, 4, v3
	v_cmp_gt_u32_e32 vcc_lo, 0x8000000, v3
	s_delay_alu instid0(VALU_DEP_2) | instskip(NEXT) | instid1(VALU_DEP_1)
	v_or_b32_e32 v5, 0x70000000, v5
	v_mul_f32_e32 v5, 0x7800000, v5
	s_delay_alu instid0(VALU_DEP_1) | instskip(NEXT) | instid1(VALU_DEP_1)
	v_cndmask_b32_e32 v3, v5, v7, vcc_lo
	v_and_or_b32 v14, 0x80000000, v1, v3
.LBB151_2154:
	s_mov_b32 s9, 0
	s_mov_b32 s12, -1
.LBB151_2155:
	s_and_not1_b32 vcc_lo, exec_lo, s9
	s_mov_b32 s9, 0
	s_cbranch_vccnz .LBB151_2179
; %bb.2156:
	s_cmp_gt_i32 s4, 14
	s_cbranch_scc0 .LBB151_2159
; %bb.2157:
	s_cmp_eq_u32 s4, 15
	s_cbranch_scc0 .LBB151_2175
; %bb.2158:
	global_load_u16 v1, v[24:25], off
	s_mov_b32 s5, 0
	s_mov_b32 s12, -1
	s_wait_loadcnt 0x0
	v_lshlrev_b32_e32 v14, 16, v1
	s_branch .LBB151_2177
.LBB151_2159:
	s_mov_b32 s9, -1
	s_branch .LBB151_2176
.LBB151_2160:
	s_mov_b32 s5, -1
                                        ; implicit-def: $vgpr14
.LBB151_2161:
	s_delay_alu instid0(SALU_CYCLE_1)
	s_and_not1_b32 vcc_lo, exec_lo, s5
	s_cbranch_vccnz .LBB151_2163
; %bb.2162:
	s_wait_loadcnt 0x0
	global_load_b32 v14, v[24:25], off
.LBB151_2163:
	s_mov_b32 s5, 0
.LBB151_2164:
	s_delay_alu instid0(SALU_CYCLE_1)
	s_and_not1_b32 vcc_lo, exec_lo, s5
	s_cbranch_vccnz .LBB151_2166
; %bb.2165:
	global_load_u16 v1, v[24:25], off
	s_wait_loadcnt 0x0
	v_cvt_f32_f16_e32 v14, v1
.LBB151_2166:
	s_wait_loadcnt 0x0
	v_mov_b32_e32 v15, 0
.LBB151_2167:
	s_mov_b32 s5, 0
.LBB151_2168:
	s_delay_alu instid0(SALU_CYCLE_1)
	s_and_not1_b32 vcc_lo, exec_lo, s5
	s_cbranch_vccnz .LBB151_2195
; %bb.2169:
	s_cmp_lt_i32 s4, 2
	s_cbranch_scc1 .LBB151_2173
; %bb.2170:
	s_cmp_lt_i32 s4, 3
	s_cbranch_scc1 .LBB151_2174
; %bb.2171:
	s_cmp_gt_i32 s4, 3
	s_cbranch_scc0 .LBB151_2181
; %bb.2172:
	s_wait_loadcnt 0x0
	global_load_b64 v[14:15], v[24:25], off
	s_mov_b32 s5, 0
	s_wait_loadcnt 0x0
	v_xor_b32_e32 v1, v14, v15
	v_cls_i32_e32 v3, v15
	s_delay_alu instid0(VALU_DEP_2) | instskip(NEXT) | instid1(VALU_DEP_1)
	v_ashrrev_i32_e32 v1, 31, v1
	v_add_nc_u32_e32 v1, 32, v1
	s_delay_alu instid0(VALU_DEP_1) | instskip(NEXT) | instid1(VALU_DEP_1)
	v_add_min_u32_e64 v1, v3, -1, v1
	v_lshlrev_b64_e32 v[14:15], v1, v[14:15]
	v_sub_nc_u32_e32 v1, 32, v1
	s_delay_alu instid0(VALU_DEP_2) | instskip(NEXT) | instid1(VALU_DEP_1)
	v_min_u32_e32 v3, 1, v14
	v_or_b32_e32 v3, v15, v3
	s_delay_alu instid0(VALU_DEP_1) | instskip(NEXT) | instid1(VALU_DEP_1)
	v_cvt_f32_i32_e32 v3, v3
	v_ldexp_f32 v14, v3, v1
	s_branch .LBB151_2182
.LBB151_2173:
	s_mov_b32 s5, -1
                                        ; implicit-def: $vgpr14
	s_branch .LBB151_2188
.LBB151_2174:
	s_mov_b32 s5, -1
                                        ; implicit-def: $vgpr14
	s_branch .LBB151_2185
.LBB151_2175:
	s_mov_b32 s5, -1
.LBB151_2176:
                                        ; implicit-def: $vgpr14
.LBB151_2177:
	s_and_b32 vcc_lo, exec_lo, s9
	s_mov_b32 s9, 0
	s_cbranch_vccz .LBB151_2179
; %bb.2178:
	s_cmp_lg_u32 s4, 11
	s_mov_b32 s9, -1
	s_cselect_b32 s5, -1, 0
.LBB151_2179:
	v_mov_b32_e32 v15, 0
	s_and_b32 vcc_lo, exec_lo, s5
	s_cbranch_vccz .LBB151_2110
.LBB151_2180:
	s_or_b32 s11, s11, exec_lo
	s_trap 2
	s_cbranch_execz .LBB151_2111
	s_branch .LBB151_2112
.LBB151_2181:
	s_mov_b32 s5, -1
                                        ; implicit-def: $vgpr14
.LBB151_2182:
	s_delay_alu instid0(SALU_CYCLE_1)
	s_and_not1_b32 vcc_lo, exec_lo, s5
	s_cbranch_vccnz .LBB151_2184
; %bb.2183:
	global_load_b32 v1, v[24:25], off
	s_wait_loadcnt 0x0
	v_cvt_f32_i32_e32 v14, v1
.LBB151_2184:
	s_mov_b32 s5, 0
.LBB151_2185:
	s_delay_alu instid0(SALU_CYCLE_1)
	s_and_not1_b32 vcc_lo, exec_lo, s5
	s_cbranch_vccnz .LBB151_2187
; %bb.2186:
	global_load_i16 v1, v[24:25], off
	s_wait_loadcnt 0x0
	v_cvt_f32_i32_e32 v14, v1
.LBB151_2187:
	s_mov_b32 s5, 0
.LBB151_2188:
	s_delay_alu instid0(SALU_CYCLE_1)
	s_and_not1_b32 vcc_lo, exec_lo, s5
	s_cbranch_vccnz .LBB151_2194
; %bb.2189:
	s_cmp_gt_i32 s4, 0
	s_mov_b32 s5, 0
	s_cbranch_scc0 .LBB151_2191
; %bb.2190:
	global_load_i8 v1, v[24:25], off
	s_wait_loadcnt 0x0
	v_cvt_f32_i32_e32 v14, v1
	s_branch .LBB151_2192
.LBB151_2191:
	s_mov_b32 s5, -1
                                        ; implicit-def: $vgpr14
.LBB151_2192:
	s_delay_alu instid0(SALU_CYCLE_1)
	s_and_not1_b32 vcc_lo, exec_lo, s5
	s_cbranch_vccnz .LBB151_2194
; %bb.2193:
	global_load_u8 v1, v[24:25], off
	s_wait_loadcnt 0x0
	v_cvt_f32_ubyte0_e32 v14, v1
.LBB151_2194:
	s_wait_loadcnt 0x0
	v_mov_b32_e32 v15, 0
.LBB151_2195:
	s_mov_b32 s12, -1
.LBB151_2196:
	s_delay_alu instid0(SALU_CYCLE_1)
	s_and_not1_b32 vcc_lo, exec_lo, s12
	s_cbranch_vccnz .LBB151_3358
; %bb.2197:
	v_mov_b32_e32 v19, 0
	s_and_b32 s5, 0xffff, s8
	s_delay_alu instid0(SALU_CYCLE_1) | instskip(SKIP_1) | instid1(VALU_DEP_1)
	s_cmp_lt_i32 s5, 11
	s_wait_xcnt 0x0
	v_add_nc_u64_e32 v[24:25], s[2:3], v[18:19]
	s_cbranch_scc1 .LBB151_2204
; %bb.2198:
	s_cmp_gt_i32 s5, 25
	s_mov_b32 s9, 0
	s_cbranch_scc0 .LBB151_2205
; %bb.2199:
	s_cmp_gt_i32 s5, 28
	s_cbranch_scc0 .LBB151_2206
; %bb.2200:
	s_cmp_gt_i32 s5, 43
	;; [unrolled: 3-line block ×3, first 2 shown]
	s_cbranch_scc0 .LBB151_2212
; %bb.2202:
	s_cmp_eq_u32 s5, 46
	s_mov_b32 s13, 0
	s_cbranch_scc0 .LBB151_2213
; %bb.2203:
	global_load_b32 v1, v[24:25], off
	s_mov_b32 s8, 0
	s_mov_b32 s12, -1
	s_wait_loadcnt 0x0
	v_and_b32_e32 v19, 0xffff0000, v1
	v_lshlrev_b32_e32 v18, 16, v1
	s_branch .LBB151_2215
.LBB151_2204:
	s_mov_b32 s8, -1
	s_mov_b32 s12, 0
                                        ; implicit-def: $vgpr19
	s_branch .LBB151_2249
.LBB151_2205:
	s_mov_b32 s13, -1
	s_mov_b32 s12, 0
	s_mov_b32 s8, 0
                                        ; implicit-def: $vgpr19
	s_branch .LBB151_2244
.LBB151_2206:
	s_mov_b32 s13, -1
	s_mov_b32 s12, 0
	s_mov_b32 s8, 0
                                        ; implicit-def: $vgpr19
	s_branch .LBB151_2227
.LBB151_2207:
	s_mov_b32 s13, -1
	s_mov_b32 s12, 0
	s_mov_b32 s8, 0
                                        ; implicit-def: $vgpr19
	s_branch .LBB151_2221
.LBB151_2208:
	s_mov_b32 s9, -1
	s_mov_b32 s13, exec_lo
	v_cmpx_eq_u16_e32 0x80, v1
; %bb.2209:
	s_xor_b32 s9, exec_lo, -1
; %bb.2210:
	s_or_b32 exec_lo, exec_lo, s13
	s_delay_alu instid0(SALU_CYCLE_1)
	s_and_b32 s9, s9, exec_lo
	s_or_saveexec_b32 s12, s12
	v_mov_b32_e32 v14, 0x7f800001
	s_xor_b32 exec_lo, exec_lo, s12
	s_cbranch_execz .LBB151_2124
.LBB151_2211:
	v_cmp_ne_u16_e32 vcc_lo, 0, v1
	v_mov_b32_e32 v14, 0
	s_and_not1_b32 s9, s9, exec_lo
	s_and_b32 s13, vcc_lo, exec_lo
	s_delay_alu instid0(SALU_CYCLE_1)
	s_or_b32 s9, s9, s13
	s_or_b32 exec_lo, exec_lo, s12
	s_and_saveexec_b32 s12, s9
	s_cbranch_execnz .LBB151_2125
	s_branch .LBB151_2126
.LBB151_2212:
	s_mov_b32 s13, -1
	s_mov_b32 s12, 0
	s_mov_b32 s8, 0
	s_branch .LBB151_2214
.LBB151_2213:
	s_mov_b32 s8, -1
	s_mov_b32 s12, 0
.LBB151_2214:
                                        ; implicit-def: $vgpr19
.LBB151_2215:
	s_and_b32 vcc_lo, exec_lo, s13
	s_cbranch_vccz .LBB151_2220
; %bb.2216:
	s_cmp_eq_u32 s5, 44
	s_cbranch_scc0 .LBB151_2218
; %bb.2217:
	global_load_u8 v1, v[24:25], off
	s_mov_b32 s8, 0
	s_mov_b32 s12, -1
	s_wait_loadcnt 0x0
	v_lshlrev_b32_e32 v3, 23, v1
	v_cmp_ne_u32_e32 vcc_lo, 0xff, v1
	s_delay_alu instid0(VALU_DEP_2) | instskip(SKIP_1) | instid1(VALU_DEP_2)
	v_cndmask_b32_e32 v3, 0x7f800001, v3, vcc_lo
	v_cmp_ne_u32_e32 vcc_lo, 0, v1
	v_cndmask_b32_e32 v18, 0x400000, v3, vcc_lo
	s_branch .LBB151_2219
.LBB151_2218:
	s_mov_b32 s8, -1
                                        ; implicit-def: $vgpr18
.LBB151_2219:
	v_mov_b32_e32 v19, 0
.LBB151_2220:
	s_mov_b32 s13, 0
.LBB151_2221:
	s_delay_alu instid0(SALU_CYCLE_1)
	s_and_b32 vcc_lo, exec_lo, s13
	s_cbranch_vccz .LBB151_2226
; %bb.2222:
	s_cmp_eq_u32 s5, 29
	s_cbranch_scc0 .LBB151_2224
; %bb.2223:
	global_load_b64 v[18:19], v[24:25], off
	s_mov_b32 s8, 0
	s_mov_b32 s12, -1
	s_wait_loadcnt 0x0
	v_clz_i32_u32_e32 v1, v19
	s_delay_alu instid0(VALU_DEP_1) | instskip(NEXT) | instid1(VALU_DEP_1)
	v_min_u32_e32 v1, 32, v1
	v_lshlrev_b64_e32 v[18:19], v1, v[18:19]
	v_sub_nc_u32_e32 v1, 32, v1
	s_delay_alu instid0(VALU_DEP_2) | instskip(NEXT) | instid1(VALU_DEP_1)
	v_min_u32_e32 v3, 1, v18
	v_or_b32_e32 v3, v19, v3
	s_delay_alu instid0(VALU_DEP_1) | instskip(NEXT) | instid1(VALU_DEP_1)
	v_cvt_f32_u32_e32 v3, v3
	v_ldexp_f32 v18, v3, v1
	s_branch .LBB151_2225
.LBB151_2224:
	s_mov_b32 s8, -1
                                        ; implicit-def: $vgpr18
.LBB151_2225:
	v_mov_b32_e32 v19, 0
.LBB151_2226:
	s_mov_b32 s13, 0
.LBB151_2227:
	s_delay_alu instid0(SALU_CYCLE_1)
	s_and_b32 vcc_lo, exec_lo, s13
	s_cbranch_vccz .LBB151_2243
; %bb.2228:
	s_cmp_lt_i32 s5, 27
	s_cbranch_scc1 .LBB151_2231
; %bb.2229:
	s_cmp_gt_i32 s5, 27
	s_cbranch_scc0 .LBB151_2232
; %bb.2230:
	global_load_b32 v1, v[24:25], off
	s_mov_b32 s12, 0
	s_wait_loadcnt 0x0
	v_cvt_f32_u32_e32 v18, v1
	s_branch .LBB151_2233
.LBB151_2231:
	s_mov_b32 s12, -1
                                        ; implicit-def: $vgpr18
	s_branch .LBB151_2236
.LBB151_2232:
	s_mov_b32 s12, -1
                                        ; implicit-def: $vgpr18
.LBB151_2233:
	s_delay_alu instid0(SALU_CYCLE_1)
	s_and_not1_b32 vcc_lo, exec_lo, s12
	s_cbranch_vccnz .LBB151_2235
; %bb.2234:
	global_load_u16 v1, v[24:25], off
	s_wait_loadcnt 0x0
	v_cvt_f32_u32_e32 v18, v1
.LBB151_2235:
	s_mov_b32 s12, 0
.LBB151_2236:
	s_delay_alu instid0(SALU_CYCLE_1)
	s_and_not1_b32 vcc_lo, exec_lo, s12
	s_cbranch_vccnz .LBB151_2242
; %bb.2237:
	global_load_u8 v1, v[24:25], off
	s_mov_b32 s12, 0
	s_mov_b32 s13, exec_lo
	s_wait_loadcnt 0x0
	v_cmpx_lt_i16_e32 0x7f, v1
	s_xor_b32 s13, exec_lo, s13
	s_cbranch_execnz .LBB151_2268
; %bb.2238:
	s_or_saveexec_b32 s13, s13
	v_mov_b32_e32 v18, 0x7f800001
	s_xor_b32 exec_lo, exec_lo, s13
	s_cbranch_execnz .LBB151_2271
.LBB151_2239:
	s_or_b32 exec_lo, exec_lo, s13
	s_and_saveexec_b32 s13, s12
	s_cbranch_execz .LBB151_2241
.LBB151_2240:
	v_and_b32_e32 v3, 0xffff, v1
	s_delay_alu instid0(VALU_DEP_1) | instskip(SKIP_1) | instid1(VALU_DEP_2)
	v_dual_lshlrev_b32 v1, 24, v1 :: v_dual_bitop2_b32 v5, 7, v3 bitop3:0x40
	v_bfe_u32 v17, v3, 3, 4
	v_and_b32_e32 v1, 0x80000000, v1
	s_delay_alu instid0(VALU_DEP_3) | instskip(NEXT) | instid1(VALU_DEP_3)
	v_clz_i32_u32_e32 v7, v5
	v_cmp_eq_u32_e32 vcc_lo, 0, v17
	s_delay_alu instid0(VALU_DEP_2) | instskip(NEXT) | instid1(VALU_DEP_1)
	v_min_u32_e32 v7, 32, v7
	v_subrev_nc_u32_e32 v11, 28, v7
	v_sub_nc_u32_e32 v7, 29, v7
	s_delay_alu instid0(VALU_DEP_2) | instskip(NEXT) | instid1(VALU_DEP_2)
	v_lshlrev_b32_e32 v3, v11, v3
	v_cndmask_b32_e32 v7, v17, v7, vcc_lo
	s_delay_alu instid0(VALU_DEP_2) | instskip(NEXT) | instid1(VALU_DEP_1)
	v_and_b32_e32 v3, 7, v3
	v_cndmask_b32_e32 v3, v5, v3, vcc_lo
	s_delay_alu instid0(VALU_DEP_3) | instskip(NEXT) | instid1(VALU_DEP_2)
	v_lshl_add_u32 v5, v7, 23, 0x3b800000
	v_lshlrev_b32_e32 v3, 20, v3
	s_delay_alu instid0(VALU_DEP_1)
	v_or3_b32 v18, v1, v5, v3
.LBB151_2241:
	s_or_b32 exec_lo, exec_lo, s13
.LBB151_2242:
	v_mov_b32_e32 v19, 0
	s_mov_b32 s12, -1
.LBB151_2243:
	s_mov_b32 s13, 0
.LBB151_2244:
	s_delay_alu instid0(SALU_CYCLE_1)
	s_and_b32 vcc_lo, exec_lo, s13
	s_cbranch_vccnz .LBB151_2255
; %bb.2245:
	s_and_b32 vcc_lo, exec_lo, s8
	s_cbranch_vccnz .LBB151_2316
.LBB151_2246:
	s_and_not1_b32 vcc_lo, exec_lo, s9
	s_cbranch_vccnz .LBB151_2248
.LBB151_2247:
	global_load_u8 v1, v[24:25], off
	v_mov_b32_e32 v19, 0
	s_mov_b32 s12, -1
	s_wait_loadcnt 0x0
	v_cmp_ne_u16_e32 vcc_lo, 0, v1
	v_cndmask_b32_e64 v18, 0, 1.0, vcc_lo
.LBB151_2248:
	s_mov_b32 s8, 0
.LBB151_2249:
	s_delay_alu instid0(SALU_CYCLE_1)
	s_and_b32 vcc_lo, exec_lo, s8
	s_cbranch_vccz .LBB151_2332
; %bb.2250:
	s_cmp_lt_i32 s5, 5
	s_cbranch_scc1 .LBB151_2263
; %bb.2251:
	s_cmp_lt_i32 s5, 8
	s_cbranch_scc1 .LBB151_2264
	;; [unrolled: 3-line block ×3, first 2 shown]
; %bb.2253:
	s_cmp_gt_i32 s5, 9
	s_cbranch_scc0 .LBB151_2272
; %bb.2254:
	global_load_b128 v[26:29], v[24:25], off
	s_mov_b32 s8, 0
	s_wait_loadcnt 0x0
	v_cvt_f32_f64_e32 v18, v[26:27]
	v_cvt_f32_f64_e32 v19, v[28:29]
	s_branch .LBB151_2273
.LBB151_2255:
	s_cmp_gt_i32 s5, 22
	s_cbranch_scc0 .LBB151_2265
; %bb.2256:
	s_cmp_lt_i32 s5, 24
	s_cbranch_scc1 .LBB151_2267
; %bb.2257:
	s_cmp_gt_i32 s5, 24
	s_cbranch_scc0 .LBB151_2284
; %bb.2258:
	global_load_u8 v1, v[24:25], off
	s_mov_b32 s12, exec_lo
	s_wait_loadcnt 0x0
	v_cmpx_lt_i16_e32 0x7f, v1
	s_xor_b32 s12, exec_lo, s12
	s_cbranch_execnz .LBB151_2364
; %bb.2259:
	s_or_saveexec_b32 s12, s12
	v_mov_b32_e32 v18, 0x7f800001
	s_xor_b32 exec_lo, exec_lo, s12
	s_cbranch_execnz .LBB151_2367
.LBB151_2260:
	s_or_b32 exec_lo, exec_lo, s12
	s_and_saveexec_b32 s12, s9
	s_cbranch_execz .LBB151_2262
.LBB151_2261:
	v_and_b32_e32 v3, 0xffff, v1
	s_delay_alu instid0(VALU_DEP_1) | instskip(SKIP_1) | instid1(VALU_DEP_2)
	v_dual_lshlrev_b32 v1, 24, v1 :: v_dual_bitop2_b32 v5, 3, v3 bitop3:0x40
	v_bfe_u32 v17, v3, 2, 5
	v_and_b32_e32 v1, 0x80000000, v1
	s_delay_alu instid0(VALU_DEP_3) | instskip(NEXT) | instid1(VALU_DEP_3)
	v_clz_i32_u32_e32 v7, v5
	v_cmp_eq_u32_e32 vcc_lo, 0, v17
	s_delay_alu instid0(VALU_DEP_2) | instskip(NEXT) | instid1(VALU_DEP_1)
	v_min_u32_e32 v7, 32, v7
	v_subrev_nc_u32_e32 v11, 29, v7
	v_sub_nc_u32_e32 v7, 30, v7
	s_delay_alu instid0(VALU_DEP_2) | instskip(NEXT) | instid1(VALU_DEP_2)
	v_lshlrev_b32_e32 v3, v11, v3
	v_cndmask_b32_e32 v7, v17, v7, vcc_lo
	s_delay_alu instid0(VALU_DEP_2) | instskip(NEXT) | instid1(VALU_DEP_1)
	v_and_b32_e32 v3, 3, v3
	v_cndmask_b32_e32 v3, v5, v3, vcc_lo
	s_delay_alu instid0(VALU_DEP_3) | instskip(NEXT) | instid1(VALU_DEP_2)
	v_lshl_add_u32 v5, v7, 23, 0x37800000
	v_lshlrev_b32_e32 v3, 21, v3
	s_delay_alu instid0(VALU_DEP_1)
	v_or3_b32 v18, v1, v5, v3
.LBB151_2262:
	s_or_b32 exec_lo, exec_lo, s12
	s_mov_b32 s9, 0
	s_branch .LBB151_2285
.LBB151_2263:
	s_mov_b32 s8, -1
                                        ; implicit-def: $vgpr19
	s_branch .LBB151_2304
.LBB151_2264:
	s_mov_b32 s8, -1
                                        ; implicit-def: $vgpr19
	s_branch .LBB151_2279
.LBB151_2265:
	s_mov_b32 s9, -1
                                        ; implicit-def: $vgpr18
	s_branch .LBB151_2291
.LBB151_2266:
	s_mov_b32 s8, -1
                                        ; implicit-def: $vgpr19
	s_branch .LBB151_2276
.LBB151_2267:
	s_mov_b32 s9, -1
                                        ; implicit-def: $vgpr18
	s_branch .LBB151_2288
.LBB151_2268:
	s_mov_b32 s12, -1
	s_mov_b32 s14, exec_lo
	v_cmpx_eq_u16_e32 0x80, v1
; %bb.2269:
	s_xor_b32 s12, exec_lo, -1
; %bb.2270:
	s_or_b32 exec_lo, exec_lo, s14
	s_delay_alu instid0(SALU_CYCLE_1)
	s_and_b32 s12, s12, exec_lo
	s_or_saveexec_b32 s13, s13
	v_mov_b32_e32 v18, 0x7f800001
	s_xor_b32 exec_lo, exec_lo, s13
	s_cbranch_execz .LBB151_2239
.LBB151_2271:
	v_cmp_ne_u16_e32 vcc_lo, 0, v1
	v_mov_b32_e32 v18, 0
	s_and_not1_b32 s12, s12, exec_lo
	s_and_b32 s14, vcc_lo, exec_lo
	s_delay_alu instid0(SALU_CYCLE_1)
	s_or_b32 s12, s12, s14
	s_or_b32 exec_lo, exec_lo, s13
	s_and_saveexec_b32 s13, s12
	s_cbranch_execnz .LBB151_2240
	s_branch .LBB151_2241
.LBB151_2272:
	s_mov_b32 s8, -1
                                        ; implicit-def: $vgpr19
.LBB151_2273:
	s_delay_alu instid0(SALU_CYCLE_1)
	s_and_not1_b32 vcc_lo, exec_lo, s8
	s_cbranch_vccnz .LBB151_2275
; %bb.2274:
	global_load_b64 v[18:19], v[24:25], off
.LBB151_2275:
	s_mov_b32 s8, 0
.LBB151_2276:
	s_delay_alu instid0(SALU_CYCLE_1)
	s_and_not1_b32 vcc_lo, exec_lo, s8
	s_cbranch_vccnz .LBB151_2278
; %bb.2277:
	global_load_b32 v1, v[24:25], off
	s_wait_loadcnt 0x0
	v_lshrrev_b32_e32 v3, 16, v1
	v_cvt_f32_f16_e32 v18, v1
	s_delay_alu instid0(VALU_DEP_2)
	v_cvt_f32_f16_e32 v19, v3
.LBB151_2278:
	s_mov_b32 s8, 0
.LBB151_2279:
	s_delay_alu instid0(SALU_CYCLE_1)
	s_and_not1_b32 vcc_lo, exec_lo, s8
	s_cbranch_vccnz .LBB151_2303
; %bb.2280:
	s_cmp_lt_i32 s5, 6
	s_cbranch_scc1 .LBB151_2283
; %bb.2281:
	s_cmp_gt_i32 s5, 6
	s_cbranch_scc0 .LBB151_2296
; %bb.2282:
	s_wait_loadcnt 0x0
	global_load_b64 v[18:19], v[24:25], off
	s_mov_b32 s8, 0
	s_wait_loadcnt 0x0
	v_cvt_f32_f64_e32 v18, v[18:19]
	s_branch .LBB151_2297
.LBB151_2283:
	s_mov_b32 s8, -1
                                        ; implicit-def: $vgpr18
	s_branch .LBB151_2300
.LBB151_2284:
	s_mov_b32 s9, -1
                                        ; implicit-def: $vgpr18
.LBB151_2285:
	s_delay_alu instid0(SALU_CYCLE_1)
	s_and_b32 vcc_lo, exec_lo, s9
	s_cbranch_vccz .LBB151_2287
; %bb.2286:
	global_load_u8 v1, v[24:25], off
	s_wait_loadcnt 0x0
	v_lshlrev_b32_e32 v1, 24, v1
	s_delay_alu instid0(VALU_DEP_1) | instskip(NEXT) | instid1(VALU_DEP_1)
	v_and_b32_e32 v3, 0x7f000000, v1
	v_clz_i32_u32_e32 v5, v3
	v_add_nc_u32_e32 v11, 0x1000000, v3
	v_cmp_ne_u32_e32 vcc_lo, 0, v3
	s_delay_alu instid0(VALU_DEP_3) | instskip(NEXT) | instid1(VALU_DEP_1)
	v_min_u32_e32 v5, 32, v5
	v_sub_nc_u32_e64 v5, v5, 4 clamp
	s_delay_alu instid0(VALU_DEP_1) | instskip(NEXT) | instid1(VALU_DEP_1)
	v_dual_lshlrev_b32 v7, v5, v3 :: v_dual_lshlrev_b32 v5, 23, v5
	v_lshrrev_b32_e32 v7, 4, v7
	s_delay_alu instid0(VALU_DEP_1) | instskip(NEXT) | instid1(VALU_DEP_1)
	v_dual_sub_nc_u32 v5, v7, v5 :: v_dual_ashrrev_i32 v7, 8, v11
	v_add_nc_u32_e32 v5, 0x3c000000, v5
	s_delay_alu instid0(VALU_DEP_1) | instskip(NEXT) | instid1(VALU_DEP_1)
	v_and_or_b32 v5, 0x7f800000, v7, v5
	v_cndmask_b32_e32 v3, 0, v5, vcc_lo
	s_delay_alu instid0(VALU_DEP_1)
	v_and_or_b32 v18, 0x80000000, v1, v3
.LBB151_2287:
	s_mov_b32 s9, 0
.LBB151_2288:
	s_delay_alu instid0(SALU_CYCLE_1)
	s_and_not1_b32 vcc_lo, exec_lo, s9
	s_cbranch_vccnz .LBB151_2290
; %bb.2289:
	global_load_u8 v1, v[24:25], off
	s_wait_loadcnt 0x0
	v_lshlrev_b32_e32 v3, 25, v1
	v_lshlrev_b16 v1, 8, v1
	s_delay_alu instid0(VALU_DEP_1) | instskip(SKIP_1) | instid1(VALU_DEP_2)
	v_and_or_b32 v7, 0x7f00, v1, 0.5
	v_bfe_i32 v1, v1, 0, 16
	v_add_f32_e32 v7, -0.5, v7
	v_lshrrev_b32_e32 v5, 4, v3
	v_cmp_gt_u32_e32 vcc_lo, 0x8000000, v3
	s_delay_alu instid0(VALU_DEP_2) | instskip(NEXT) | instid1(VALU_DEP_1)
	v_or_b32_e32 v5, 0x70000000, v5
	v_mul_f32_e32 v5, 0x7800000, v5
	s_delay_alu instid0(VALU_DEP_1) | instskip(NEXT) | instid1(VALU_DEP_1)
	v_cndmask_b32_e32 v3, v5, v7, vcc_lo
	v_and_or_b32 v18, 0x80000000, v1, v3
.LBB151_2290:
	s_mov_b32 s9, 0
	s_mov_b32 s12, -1
.LBB151_2291:
	s_and_not1_b32 vcc_lo, exec_lo, s9
	s_mov_b32 s9, 0
	s_cbranch_vccnz .LBB151_2315
; %bb.2292:
	s_cmp_gt_i32 s5, 14
	s_cbranch_scc0 .LBB151_2295
; %bb.2293:
	s_cmp_eq_u32 s5, 15
	s_cbranch_scc0 .LBB151_2311
; %bb.2294:
	global_load_u16 v1, v[24:25], off
	s_mov_b32 s8, 0
	s_mov_b32 s12, -1
	s_wait_loadcnt 0x0
	v_lshlrev_b32_e32 v18, 16, v1
	s_branch .LBB151_2313
.LBB151_2295:
	s_mov_b32 s9, -1
	s_branch .LBB151_2312
.LBB151_2296:
	s_mov_b32 s8, -1
                                        ; implicit-def: $vgpr18
.LBB151_2297:
	s_delay_alu instid0(SALU_CYCLE_1)
	s_and_not1_b32 vcc_lo, exec_lo, s8
	s_cbranch_vccnz .LBB151_2299
; %bb.2298:
	s_wait_loadcnt 0x0
	global_load_b32 v18, v[24:25], off
.LBB151_2299:
	s_mov_b32 s8, 0
.LBB151_2300:
	s_delay_alu instid0(SALU_CYCLE_1)
	s_and_not1_b32 vcc_lo, exec_lo, s8
	s_cbranch_vccnz .LBB151_2302
; %bb.2301:
	global_load_u16 v1, v[24:25], off
	s_wait_loadcnt 0x0
	v_cvt_f32_f16_e32 v18, v1
.LBB151_2302:
	s_wait_loadcnt 0x0
	v_mov_b32_e32 v19, 0
.LBB151_2303:
	s_mov_b32 s8, 0
.LBB151_2304:
	s_delay_alu instid0(SALU_CYCLE_1)
	s_and_not1_b32 vcc_lo, exec_lo, s8
	s_cbranch_vccnz .LBB151_2331
; %bb.2305:
	s_cmp_lt_i32 s5, 2
	s_cbranch_scc1 .LBB151_2309
; %bb.2306:
	s_cmp_lt_i32 s5, 3
	s_cbranch_scc1 .LBB151_2310
; %bb.2307:
	s_cmp_gt_i32 s5, 3
	s_cbranch_scc0 .LBB151_2317
; %bb.2308:
	s_wait_loadcnt 0x0
	global_load_b64 v[18:19], v[24:25], off
	s_mov_b32 s8, 0
	s_wait_loadcnt 0x0
	v_xor_b32_e32 v1, v18, v19
	v_cls_i32_e32 v3, v19
	s_delay_alu instid0(VALU_DEP_2) | instskip(NEXT) | instid1(VALU_DEP_1)
	v_ashrrev_i32_e32 v1, 31, v1
	v_add_nc_u32_e32 v1, 32, v1
	s_delay_alu instid0(VALU_DEP_1) | instskip(NEXT) | instid1(VALU_DEP_1)
	v_add_min_u32_e64 v1, v3, -1, v1
	v_lshlrev_b64_e32 v[18:19], v1, v[18:19]
	v_sub_nc_u32_e32 v1, 32, v1
	s_delay_alu instid0(VALU_DEP_2) | instskip(NEXT) | instid1(VALU_DEP_1)
	v_min_u32_e32 v3, 1, v18
	v_or_b32_e32 v3, v19, v3
	s_delay_alu instid0(VALU_DEP_1) | instskip(NEXT) | instid1(VALU_DEP_1)
	v_cvt_f32_i32_e32 v3, v3
	v_ldexp_f32 v18, v3, v1
	s_branch .LBB151_2318
.LBB151_2309:
	s_mov_b32 s8, -1
                                        ; implicit-def: $vgpr18
	s_branch .LBB151_2324
.LBB151_2310:
	s_mov_b32 s8, -1
                                        ; implicit-def: $vgpr18
	s_branch .LBB151_2321
.LBB151_2311:
	s_mov_b32 s8, -1
.LBB151_2312:
                                        ; implicit-def: $vgpr18
.LBB151_2313:
	s_and_b32 vcc_lo, exec_lo, s9
	s_mov_b32 s9, 0
	s_cbranch_vccz .LBB151_2315
; %bb.2314:
	s_cmp_lg_u32 s5, 11
	s_mov_b32 s9, -1
	s_cselect_b32 s8, -1, 0
.LBB151_2315:
	v_mov_b32_e32 v19, 0
	s_and_b32 vcc_lo, exec_lo, s8
	s_cbranch_vccz .LBB151_2246
.LBB151_2316:
	s_or_b32 s11, s11, exec_lo
	s_trap 2
	s_cbranch_execz .LBB151_2247
	s_branch .LBB151_2248
.LBB151_2317:
	s_mov_b32 s8, -1
                                        ; implicit-def: $vgpr18
.LBB151_2318:
	s_delay_alu instid0(SALU_CYCLE_1)
	s_and_not1_b32 vcc_lo, exec_lo, s8
	s_cbranch_vccnz .LBB151_2320
; %bb.2319:
	global_load_b32 v1, v[24:25], off
	s_wait_loadcnt 0x0
	v_cvt_f32_i32_e32 v18, v1
.LBB151_2320:
	s_mov_b32 s8, 0
.LBB151_2321:
	s_delay_alu instid0(SALU_CYCLE_1)
	s_and_not1_b32 vcc_lo, exec_lo, s8
	s_cbranch_vccnz .LBB151_2323
; %bb.2322:
	global_load_i16 v1, v[24:25], off
	s_wait_loadcnt 0x0
	v_cvt_f32_i32_e32 v18, v1
.LBB151_2323:
	s_mov_b32 s8, 0
.LBB151_2324:
	s_delay_alu instid0(SALU_CYCLE_1)
	s_and_not1_b32 vcc_lo, exec_lo, s8
	s_cbranch_vccnz .LBB151_2330
; %bb.2325:
	s_cmp_gt_i32 s5, 0
	s_mov_b32 s8, 0
	s_cbranch_scc0 .LBB151_2327
; %bb.2326:
	global_load_i8 v1, v[24:25], off
	s_wait_loadcnt 0x0
	v_cvt_f32_i32_e32 v18, v1
	s_branch .LBB151_2328
.LBB151_2327:
	s_mov_b32 s8, -1
                                        ; implicit-def: $vgpr18
.LBB151_2328:
	s_delay_alu instid0(SALU_CYCLE_1)
	s_and_not1_b32 vcc_lo, exec_lo, s8
	s_cbranch_vccnz .LBB151_2330
; %bb.2329:
	global_load_u8 v1, v[24:25], off
	s_wait_loadcnt 0x0
	v_cvt_f32_ubyte0_e32 v18, v1
.LBB151_2330:
	s_wait_loadcnt 0x0
	v_mov_b32_e32 v19, 0
.LBB151_2331:
	s_mov_b32 s12, -1
.LBB151_2332:
	s_delay_alu instid0(SALU_CYCLE_1)
	s_and_not1_b32 vcc_lo, exec_lo, s12
	s_cbranch_vccnz .LBB151_3358
; %bb.2333:
	s_cmp_lt_i32 s6, 23
	s_cbranch_scc1 .LBB151_2337
; %bb.2334:
	s_cmp_gt_i32 s6, 43
	s_cbranch_scc0 .LBB151_2338
; %bb.2335:
	s_cmp_gt_i32 s6, 45
	s_cbranch_scc0 .LBB151_2339
; %bb.2336:
	s_cmp_lg_u32 s6, 46
	s_mov_b32 s12, 0
	s_mov_b32 s8, -1
	s_cselect_b32 s9, -1, 0
	s_branch .LBB151_2340
.LBB151_2337:
	s_mov_b32 s12, -1
	s_mov_b32 s8, 0
	s_mov_b32 s9, 0
	s_branch .LBB151_2346
.LBB151_2338:
	s_mov_b32 s12, -1
	s_mov_b32 s8, 0
	s_mov_b32 s9, 0
	s_branch .LBB151_2343
.LBB151_2339:
	s_mov_b32 s12, -1
	s_mov_b32 s8, 0
	s_mov_b32 s9, 0
.LBB151_2340:
	s_and_not1_b32 vcc_lo, exec_lo, s12
	s_cbranch_vccnz .LBB151_2342
; %bb.2341:
	s_cmp_eq_u32 s6, 44
	s_cselect_b32 s8, -1, 0
	s_cmp_lg_u32 s6, 44
	s_cselect_b32 s9, -1, 0
.LBB151_2342:
	s_mov_b32 s12, 0
.LBB151_2343:
	s_delay_alu instid0(SALU_CYCLE_1)
	s_and_b32 vcc_lo, exec_lo, s12
	s_cbranch_vccz .LBB151_2345
; %bb.2344:
	s_cmp_lt_i32 s6, 30
	s_cselect_b32 s8, -1, 0
	s_cmp_gt_i32 s6, 29
	s_cselect_b32 s9, -1, 0
.LBB151_2345:
	s_mov_b32 s12, 0
.LBB151_2346:
	s_delay_alu instid0(SALU_CYCLE_1)
	s_and_b32 vcc_lo, exec_lo, s12
	s_cbranch_vccz .LBB151_2351
; %bb.2347:
	s_cmp_gt_i32 s6, 14
	s_mov_b32 s12, -1
	s_cbranch_scc0 .LBB151_2349
; %bb.2348:
	s_cmp_eq_u32 s6, 15
	s_mov_b32 s12, 0
	s_cselect_b32 s8, -1, 0
	s_cmp_lg_u32 s6, 15
	s_cselect_b32 s9, -1, 0
.LBB151_2349:
	s_and_not1_b32 vcc_lo, exec_lo, s12
	s_cbranch_vccnz .LBB151_2351
; %bb.2350:
	s_cmp_lt_i32 s6, 12
	s_cselect_b32 s8, -1, 0
	s_cmp_gt_i32 s6, 11
	s_cselect_b32 s9, -1, 0
.LBB151_2351:
	s_delay_alu instid0(SALU_CYCLE_1)
	s_and_b32 vcc_lo, exec_lo, s9
	s_cbranch_vccnz .LBB151_2363
; %bb.2352:
	s_and_not1_b32 vcc_lo, exec_lo, s8
	s_cbranch_vccnz .LBB151_3358
.LBB151_2353:
	v_mov_b32_e32 v23, 0
	s_cmp_lt_i32 s4, 11
	s_wait_xcnt 0x0
	s_delay_alu instid0(VALU_DEP_1)
	v_add_nc_u64_e32 v[24:25], s[0:1], v[22:23]
	s_cbranch_scc1 .LBB151_2360
; %bb.2354:
	s_cmp_gt_i32 s4, 25
	s_mov_b32 s9, 0
	s_cbranch_scc0 .LBB151_2361
; %bb.2355:
	s_cmp_gt_i32 s4, 28
	s_cbranch_scc0 .LBB151_2362
; %bb.2356:
	s_cmp_gt_i32 s4, 43
	;; [unrolled: 3-line block ×3, first 2 shown]
	s_cbranch_scc0 .LBB151_2373
; %bb.2358:
	s_cmp_eq_u32 s4, 46
	s_mov_b32 s13, 0
	s_cbranch_scc0 .LBB151_2376
; %bb.2359:
	global_load_b32 v1, v[24:25], off
	s_mov_b32 s8, 0
	s_mov_b32 s12, -1
	s_wait_loadcnt 0x0
	v_and_b32_e32 v23, 0xffff0000, v1
	v_lshlrev_b32_e32 v22, 16, v1
	s_branch .LBB151_2378
.LBB151_2360:
	s_mov_b32 s8, -1
	s_mov_b32 s12, 0
                                        ; implicit-def: $vgpr23
	s_branch .LBB151_2412
.LBB151_2361:
	s_mov_b32 s13, -1
	s_mov_b32 s12, 0
	s_mov_b32 s8, 0
                                        ; implicit-def: $vgpr23
	s_branch .LBB151_2407
.LBB151_2362:
	s_mov_b32 s13, -1
	s_mov_b32 s12, 0
	s_mov_b32 s8, 0
                                        ; implicit-def: $vgpr23
	s_branch .LBB151_2390
.LBB151_2363:
	s_or_b32 s11, s11, exec_lo
	s_trap 2
	s_cbranch_execz .LBB151_2353
	s_branch .LBB151_3358
.LBB151_2364:
	s_mov_b32 s9, -1
	s_mov_b32 s13, exec_lo
	v_cmpx_eq_u16_e32 0x80, v1
; %bb.2365:
	s_xor_b32 s9, exec_lo, -1
; %bb.2366:
	s_or_b32 exec_lo, exec_lo, s13
	s_delay_alu instid0(SALU_CYCLE_1)
	s_and_b32 s9, s9, exec_lo
	s_or_saveexec_b32 s12, s12
	v_mov_b32_e32 v18, 0x7f800001
	s_xor_b32 exec_lo, exec_lo, s12
	s_cbranch_execz .LBB151_2260
.LBB151_2367:
	v_cmp_ne_u16_e32 vcc_lo, 0, v1
	v_mov_b32_e32 v18, 0
	s_and_not1_b32 s9, s9, exec_lo
	s_and_b32 s13, vcc_lo, exec_lo
	s_delay_alu instid0(SALU_CYCLE_1)
	s_or_b32 s9, s9, s13
	s_or_b32 exec_lo, exec_lo, s12
	s_and_saveexec_b32 s12, s9
	s_cbranch_execnz .LBB151_2261
	s_branch .LBB151_2262
.LBB151_2368:
	s_mov_b32 s13, -1
	s_mov_b32 s12, 0
	s_mov_b32 s8, 0
                                        ; implicit-def: $vgpr23
	s_branch .LBB151_2384
.LBB151_2369:
	v_bfe_u32 v1, v4, 21, 1
	s_mov_b32 s50, exec_lo
	s_delay_alu instid0(VALU_DEP_1) | instskip(NEXT) | instid1(VALU_DEP_1)
	v_add3_u32 v1, v4, v1, 0x88fffff
	v_lshrrev_b32_e32 v1, 21, v1
	s_and_not1_saveexec_b32 s52, s52
	s_cbranch_execz .LBB151_774
.LBB151_2370:
	v_add_f32_e64 v1, 0x42800000, |v4|
	s_and_not1_b32 s50, s50, exec_lo
	s_delay_alu instid0(VALU_DEP_1) | instskip(NEXT) | instid1(VALU_DEP_1)
	v_and_b32_e32 v1, 0xff, v1
	v_cmp_ne_u32_e32 vcc_lo, 0, v1
	s_and_b32 s53, vcc_lo, exec_lo
	s_delay_alu instid0(SALU_CYCLE_1)
	s_or_b32 s50, s50, s53
	s_or_b32 exec_lo, exec_lo, s52
	v_mov_b32_e32 v6, 0
	s_and_saveexec_b32 s52, s50
	s_cbranch_execnz .LBB151_775
	s_branch .LBB151_776
.LBB151_2371:
	v_bfe_u32 v1, v4, 20, 1
	s_mov_b32 s56, exec_lo
	s_delay_alu instid0(VALU_DEP_1) | instskip(NEXT) | instid1(VALU_DEP_1)
	v_add3_u32 v1, v4, v1, 0x487ffff
	v_lshrrev_b32_e32 v1, 20, v1
	s_and_not1_saveexec_b32 s57, s57
	s_cbranch_execz .LBB151_1193
.LBB151_2372:
	v_add_f32_e64 v1, 0x46000000, |v4|
	s_and_not1_b32 s56, s56, exec_lo
	s_delay_alu instid0(VALU_DEP_1) | instskip(NEXT) | instid1(VALU_DEP_1)
	v_and_b32_e32 v1, 0xff, v1
	v_cmp_ne_u32_e32 vcc_lo, 0, v1
	s_and_b32 s58, vcc_lo, exec_lo
	s_delay_alu instid0(SALU_CYCLE_1)
	s_or_b32 s56, s56, s58
	s_or_b32 exec_lo, exec_lo, s57
	v_mov_b32_e32 v6, 0
	s_and_saveexec_b32 s57, s56
	s_cbranch_execnz .LBB151_1194
	s_branch .LBB151_1195
.LBB151_2373:
	s_mov_b32 s13, -1
	s_mov_b32 s12, 0
	s_mov_b32 s8, 0
	s_branch .LBB151_2377
.LBB151_2374:
	v_bfe_u32 v1, v4, 21, 1
	s_mov_b32 s56, exec_lo
	s_delay_alu instid0(VALU_DEP_1) | instskip(NEXT) | instid1(VALU_DEP_1)
	v_add3_u32 v1, v4, v1, 0x88fffff
	v_lshrrev_b32_e32 v1, 21, v1
	s_and_not1_saveexec_b32 s57, s57
	s_cbranch_execz .LBB151_1206
.LBB151_2375:
	v_add_f32_e64 v1, 0x42800000, |v4|
	s_and_not1_b32 s56, s56, exec_lo
	s_delay_alu instid0(VALU_DEP_1) | instskip(NEXT) | instid1(VALU_DEP_1)
	v_and_b32_e32 v1, 0xff, v1
	v_cmp_ne_u32_e32 vcc_lo, 0, v1
	s_and_b32 s58, vcc_lo, exec_lo
	s_delay_alu instid0(SALU_CYCLE_1)
	s_or_b32 s56, s56, s58
	s_or_b32 exec_lo, exec_lo, s57
	v_mov_b32_e32 v6, 0
	s_and_saveexec_b32 s57, s56
	s_cbranch_execnz .LBB151_1207
	s_branch .LBB151_1208
.LBB151_2376:
	s_mov_b32 s8, -1
	s_mov_b32 s12, 0
.LBB151_2377:
                                        ; implicit-def: $vgpr23
.LBB151_2378:
	s_and_b32 vcc_lo, exec_lo, s13
	s_cbranch_vccz .LBB151_2383
; %bb.2379:
	s_cmp_eq_u32 s4, 44
	s_cbranch_scc0 .LBB151_2381
; %bb.2380:
	global_load_u8 v1, v[24:25], off
	s_mov_b32 s8, 0
	s_mov_b32 s12, -1
	s_wait_loadcnt 0x0
	v_lshlrev_b32_e32 v3, 23, v1
	v_cmp_ne_u32_e32 vcc_lo, 0xff, v1
	s_delay_alu instid0(VALU_DEP_2) | instskip(SKIP_1) | instid1(VALU_DEP_2)
	v_cndmask_b32_e32 v3, 0x7f800001, v3, vcc_lo
	v_cmp_ne_u32_e32 vcc_lo, 0, v1
	v_cndmask_b32_e32 v22, 0x400000, v3, vcc_lo
	s_branch .LBB151_2382
.LBB151_2381:
	s_mov_b32 s8, -1
                                        ; implicit-def: $vgpr22
.LBB151_2382:
	v_mov_b32_e32 v23, 0
.LBB151_2383:
	s_mov_b32 s13, 0
.LBB151_2384:
	s_delay_alu instid0(SALU_CYCLE_1)
	s_and_b32 vcc_lo, exec_lo, s13
	s_cbranch_vccz .LBB151_2389
; %bb.2385:
	s_cmp_eq_u32 s4, 29
	s_cbranch_scc0 .LBB151_2387
; %bb.2386:
	global_load_b64 v[22:23], v[24:25], off
	s_mov_b32 s8, 0
	s_mov_b32 s12, -1
	s_wait_loadcnt 0x0
	v_clz_i32_u32_e32 v1, v23
	s_delay_alu instid0(VALU_DEP_1) | instskip(NEXT) | instid1(VALU_DEP_1)
	v_min_u32_e32 v1, 32, v1
	v_lshlrev_b64_e32 v[22:23], v1, v[22:23]
	v_sub_nc_u32_e32 v1, 32, v1
	s_delay_alu instid0(VALU_DEP_2) | instskip(NEXT) | instid1(VALU_DEP_1)
	v_min_u32_e32 v3, 1, v22
	v_or_b32_e32 v3, v23, v3
	s_delay_alu instid0(VALU_DEP_1) | instskip(NEXT) | instid1(VALU_DEP_1)
	v_cvt_f32_u32_e32 v3, v3
	v_ldexp_f32 v22, v3, v1
	s_branch .LBB151_2388
.LBB151_2387:
	s_mov_b32 s8, -1
                                        ; implicit-def: $vgpr22
.LBB151_2388:
	v_mov_b32_e32 v23, 0
.LBB151_2389:
	s_mov_b32 s13, 0
.LBB151_2390:
	s_delay_alu instid0(SALU_CYCLE_1)
	s_and_b32 vcc_lo, exec_lo, s13
	s_cbranch_vccz .LBB151_2406
; %bb.2391:
	s_cmp_lt_i32 s4, 27
	s_cbranch_scc1 .LBB151_2394
; %bb.2392:
	s_cmp_gt_i32 s4, 27
	s_cbranch_scc0 .LBB151_2395
; %bb.2393:
	global_load_b32 v1, v[24:25], off
	s_mov_b32 s12, 0
	s_wait_loadcnt 0x0
	v_cvt_f32_u32_e32 v22, v1
	s_branch .LBB151_2396
.LBB151_2394:
	s_mov_b32 s12, -1
                                        ; implicit-def: $vgpr22
	s_branch .LBB151_2399
.LBB151_2395:
	s_mov_b32 s12, -1
                                        ; implicit-def: $vgpr22
.LBB151_2396:
	s_delay_alu instid0(SALU_CYCLE_1)
	s_and_not1_b32 vcc_lo, exec_lo, s12
	s_cbranch_vccnz .LBB151_2398
; %bb.2397:
	global_load_u16 v1, v[24:25], off
	s_wait_loadcnt 0x0
	v_cvt_f32_u32_e32 v22, v1
.LBB151_2398:
	s_mov_b32 s12, 0
.LBB151_2399:
	s_delay_alu instid0(SALU_CYCLE_1)
	s_and_not1_b32 vcc_lo, exec_lo, s12
	s_cbranch_vccnz .LBB151_2405
; %bb.2400:
	global_load_u8 v1, v[24:25], off
	s_mov_b32 s12, 0
	s_mov_b32 s13, exec_lo
	s_wait_loadcnt 0x0
	v_cmpx_lt_i16_e32 0x7f, v1
	s_xor_b32 s13, exec_lo, s13
	s_cbranch_execnz .LBB151_2431
; %bb.2401:
	s_or_saveexec_b32 s13, s13
	v_mov_b32_e32 v22, 0x7f800001
	s_xor_b32 exec_lo, exec_lo, s13
	s_cbranch_execnz .LBB151_2434
.LBB151_2402:
	s_or_b32 exec_lo, exec_lo, s13
	s_and_saveexec_b32 s13, s12
	s_cbranch_execz .LBB151_2404
.LBB151_2403:
	v_and_b32_e32 v3, 0xffff, v1
	s_delay_alu instid0(VALU_DEP_1) | instskip(SKIP_1) | instid1(VALU_DEP_2)
	v_dual_lshlrev_b32 v1, 24, v1 :: v_dual_bitop2_b32 v5, 7, v3 bitop3:0x40
	v_bfe_u32 v17, v3, 3, 4
	v_and_b32_e32 v1, 0x80000000, v1
	s_delay_alu instid0(VALU_DEP_3) | instskip(NEXT) | instid1(VALU_DEP_3)
	v_clz_i32_u32_e32 v7, v5
	v_cmp_eq_u32_e32 vcc_lo, 0, v17
	s_delay_alu instid0(VALU_DEP_2) | instskip(NEXT) | instid1(VALU_DEP_1)
	v_min_u32_e32 v7, 32, v7
	v_subrev_nc_u32_e32 v11, 28, v7
	v_sub_nc_u32_e32 v7, 29, v7
	s_delay_alu instid0(VALU_DEP_2) | instskip(NEXT) | instid1(VALU_DEP_2)
	v_lshlrev_b32_e32 v3, v11, v3
	v_cndmask_b32_e32 v7, v17, v7, vcc_lo
	s_delay_alu instid0(VALU_DEP_2) | instskip(NEXT) | instid1(VALU_DEP_1)
	v_and_b32_e32 v3, 7, v3
	v_cndmask_b32_e32 v3, v5, v3, vcc_lo
	s_delay_alu instid0(VALU_DEP_3) | instskip(NEXT) | instid1(VALU_DEP_2)
	v_lshl_add_u32 v5, v7, 23, 0x3b800000
	v_lshlrev_b32_e32 v3, 20, v3
	s_delay_alu instid0(VALU_DEP_1)
	v_or3_b32 v22, v1, v5, v3
.LBB151_2404:
	s_or_b32 exec_lo, exec_lo, s13
.LBB151_2405:
	v_mov_b32_e32 v23, 0
	s_mov_b32 s12, -1
.LBB151_2406:
	s_mov_b32 s13, 0
.LBB151_2407:
	s_delay_alu instid0(SALU_CYCLE_1)
	s_and_b32 vcc_lo, exec_lo, s13
	s_cbranch_vccnz .LBB151_2418
; %bb.2408:
	s_and_b32 vcc_lo, exec_lo, s8
	s_cbranch_vccnz .LBB151_2479
.LBB151_2409:
	s_and_not1_b32 vcc_lo, exec_lo, s9
	s_cbranch_vccnz .LBB151_2411
.LBB151_2410:
	global_load_u8 v1, v[24:25], off
	v_mov_b32_e32 v23, 0
	s_mov_b32 s12, -1
	s_wait_loadcnt 0x0
	v_cmp_ne_u16_e32 vcc_lo, 0, v1
	v_cndmask_b32_e64 v22, 0, 1.0, vcc_lo
.LBB151_2411:
	s_mov_b32 s8, 0
.LBB151_2412:
	s_delay_alu instid0(SALU_CYCLE_1)
	s_and_b32 vcc_lo, exec_lo, s8
	s_cbranch_vccz .LBB151_2495
; %bb.2413:
	s_cmp_lt_i32 s4, 5
	s_cbranch_scc1 .LBB151_2426
; %bb.2414:
	s_cmp_lt_i32 s4, 8
	s_cbranch_scc1 .LBB151_2427
	;; [unrolled: 3-line block ×3, first 2 shown]
; %bb.2416:
	s_cmp_gt_i32 s4, 9
	s_cbranch_scc0 .LBB151_2435
; %bb.2417:
	global_load_b128 v[26:29], v[24:25], off
	s_mov_b32 s8, 0
	s_wait_loadcnt 0x0
	v_cvt_f32_f64_e32 v22, v[26:27]
	v_cvt_f32_f64_e32 v23, v[28:29]
	s_branch .LBB151_2436
.LBB151_2418:
	s_cmp_gt_i32 s4, 22
	s_cbranch_scc0 .LBB151_2428
; %bb.2419:
	s_cmp_lt_i32 s4, 24
	s_cbranch_scc1 .LBB151_2430
; %bb.2420:
	s_cmp_gt_i32 s4, 24
	s_cbranch_scc0 .LBB151_2447
; %bb.2421:
	global_load_u8 v1, v[24:25], off
	s_mov_b32 s12, exec_lo
	s_wait_loadcnt 0x0
	v_cmpx_lt_i16_e32 0x7f, v1
	s_xor_b32 s12, exec_lo, s12
	s_cbranch_execnz .LBB151_2507
; %bb.2422:
	s_or_saveexec_b32 s12, s12
	v_mov_b32_e32 v22, 0x7f800001
	s_xor_b32 exec_lo, exec_lo, s12
	s_cbranch_execnz .LBB151_2510
.LBB151_2423:
	s_or_b32 exec_lo, exec_lo, s12
	s_and_saveexec_b32 s12, s9
	s_cbranch_execz .LBB151_2425
.LBB151_2424:
	v_and_b32_e32 v3, 0xffff, v1
	s_delay_alu instid0(VALU_DEP_1) | instskip(SKIP_1) | instid1(VALU_DEP_2)
	v_dual_lshlrev_b32 v1, 24, v1 :: v_dual_bitop2_b32 v5, 3, v3 bitop3:0x40
	v_bfe_u32 v17, v3, 2, 5
	v_and_b32_e32 v1, 0x80000000, v1
	s_delay_alu instid0(VALU_DEP_3) | instskip(NEXT) | instid1(VALU_DEP_3)
	v_clz_i32_u32_e32 v7, v5
	v_cmp_eq_u32_e32 vcc_lo, 0, v17
	s_delay_alu instid0(VALU_DEP_2) | instskip(NEXT) | instid1(VALU_DEP_1)
	v_min_u32_e32 v7, 32, v7
	v_subrev_nc_u32_e32 v11, 29, v7
	v_sub_nc_u32_e32 v7, 30, v7
	s_delay_alu instid0(VALU_DEP_2) | instskip(NEXT) | instid1(VALU_DEP_2)
	v_lshlrev_b32_e32 v3, v11, v3
	v_cndmask_b32_e32 v7, v17, v7, vcc_lo
	s_delay_alu instid0(VALU_DEP_2) | instskip(NEXT) | instid1(VALU_DEP_1)
	v_and_b32_e32 v3, 3, v3
	v_cndmask_b32_e32 v3, v5, v3, vcc_lo
	s_delay_alu instid0(VALU_DEP_3) | instskip(NEXT) | instid1(VALU_DEP_2)
	v_lshl_add_u32 v5, v7, 23, 0x37800000
	v_lshlrev_b32_e32 v3, 21, v3
	s_delay_alu instid0(VALU_DEP_1)
	v_or3_b32 v22, v1, v5, v3
.LBB151_2425:
	s_or_b32 exec_lo, exec_lo, s12
	s_mov_b32 s9, 0
	s_branch .LBB151_2448
.LBB151_2426:
	s_mov_b32 s8, -1
                                        ; implicit-def: $vgpr23
	s_branch .LBB151_2467
.LBB151_2427:
	s_mov_b32 s8, -1
                                        ; implicit-def: $vgpr23
	s_branch .LBB151_2442
.LBB151_2428:
	s_mov_b32 s9, -1
                                        ; implicit-def: $vgpr22
	s_branch .LBB151_2454
.LBB151_2429:
	s_mov_b32 s8, -1
                                        ; implicit-def: $vgpr23
	s_branch .LBB151_2439
.LBB151_2430:
	s_mov_b32 s9, -1
                                        ; implicit-def: $vgpr22
	s_branch .LBB151_2451
.LBB151_2431:
	s_mov_b32 s12, -1
	s_mov_b32 s14, exec_lo
	v_cmpx_eq_u16_e32 0x80, v1
; %bb.2432:
	s_xor_b32 s12, exec_lo, -1
; %bb.2433:
	s_or_b32 exec_lo, exec_lo, s14
	s_delay_alu instid0(SALU_CYCLE_1)
	s_and_b32 s12, s12, exec_lo
	s_or_saveexec_b32 s13, s13
	v_mov_b32_e32 v22, 0x7f800001
	s_xor_b32 exec_lo, exec_lo, s13
	s_cbranch_execz .LBB151_2402
.LBB151_2434:
	v_cmp_ne_u16_e32 vcc_lo, 0, v1
	v_mov_b32_e32 v22, 0
	s_and_not1_b32 s12, s12, exec_lo
	s_and_b32 s14, vcc_lo, exec_lo
	s_delay_alu instid0(SALU_CYCLE_1)
	s_or_b32 s12, s12, s14
	s_or_b32 exec_lo, exec_lo, s13
	s_and_saveexec_b32 s13, s12
	s_cbranch_execnz .LBB151_2403
	s_branch .LBB151_2404
.LBB151_2435:
	s_mov_b32 s8, -1
                                        ; implicit-def: $vgpr23
.LBB151_2436:
	s_delay_alu instid0(SALU_CYCLE_1)
	s_and_not1_b32 vcc_lo, exec_lo, s8
	s_cbranch_vccnz .LBB151_2438
; %bb.2437:
	global_load_b64 v[22:23], v[24:25], off
.LBB151_2438:
	s_mov_b32 s8, 0
.LBB151_2439:
	s_delay_alu instid0(SALU_CYCLE_1)
	s_and_not1_b32 vcc_lo, exec_lo, s8
	s_cbranch_vccnz .LBB151_2441
; %bb.2440:
	global_load_b32 v1, v[24:25], off
	s_wait_loadcnt 0x0
	v_lshrrev_b32_e32 v3, 16, v1
	v_cvt_f32_f16_e32 v22, v1
	s_delay_alu instid0(VALU_DEP_2)
	v_cvt_f32_f16_e32 v23, v3
.LBB151_2441:
	s_mov_b32 s8, 0
.LBB151_2442:
	s_delay_alu instid0(SALU_CYCLE_1)
	s_and_not1_b32 vcc_lo, exec_lo, s8
	s_cbranch_vccnz .LBB151_2466
; %bb.2443:
	s_cmp_lt_i32 s4, 6
	s_cbranch_scc1 .LBB151_2446
; %bb.2444:
	s_cmp_gt_i32 s4, 6
	s_cbranch_scc0 .LBB151_2459
; %bb.2445:
	s_wait_loadcnt 0x0
	global_load_b64 v[22:23], v[24:25], off
	s_mov_b32 s8, 0
	s_wait_loadcnt 0x0
	v_cvt_f32_f64_e32 v22, v[22:23]
	s_branch .LBB151_2460
.LBB151_2446:
	s_mov_b32 s8, -1
                                        ; implicit-def: $vgpr22
	s_branch .LBB151_2463
.LBB151_2447:
	s_mov_b32 s9, -1
                                        ; implicit-def: $vgpr22
.LBB151_2448:
	s_delay_alu instid0(SALU_CYCLE_1)
	s_and_b32 vcc_lo, exec_lo, s9
	s_cbranch_vccz .LBB151_2450
; %bb.2449:
	global_load_u8 v1, v[24:25], off
	s_wait_loadcnt 0x0
	v_lshlrev_b32_e32 v1, 24, v1
	s_delay_alu instid0(VALU_DEP_1) | instskip(NEXT) | instid1(VALU_DEP_1)
	v_and_b32_e32 v3, 0x7f000000, v1
	v_clz_i32_u32_e32 v5, v3
	v_add_nc_u32_e32 v11, 0x1000000, v3
	v_cmp_ne_u32_e32 vcc_lo, 0, v3
	s_delay_alu instid0(VALU_DEP_3) | instskip(NEXT) | instid1(VALU_DEP_1)
	v_min_u32_e32 v5, 32, v5
	v_sub_nc_u32_e64 v5, v5, 4 clamp
	s_delay_alu instid0(VALU_DEP_1) | instskip(NEXT) | instid1(VALU_DEP_1)
	v_dual_lshlrev_b32 v7, v5, v3 :: v_dual_lshlrev_b32 v5, 23, v5
	v_lshrrev_b32_e32 v7, 4, v7
	s_delay_alu instid0(VALU_DEP_1) | instskip(NEXT) | instid1(VALU_DEP_1)
	v_dual_sub_nc_u32 v5, v7, v5 :: v_dual_ashrrev_i32 v7, 8, v11
	v_add_nc_u32_e32 v5, 0x3c000000, v5
	s_delay_alu instid0(VALU_DEP_1) | instskip(NEXT) | instid1(VALU_DEP_1)
	v_and_or_b32 v5, 0x7f800000, v7, v5
	v_cndmask_b32_e32 v3, 0, v5, vcc_lo
	s_delay_alu instid0(VALU_DEP_1)
	v_and_or_b32 v22, 0x80000000, v1, v3
.LBB151_2450:
	s_mov_b32 s9, 0
.LBB151_2451:
	s_delay_alu instid0(SALU_CYCLE_1)
	s_and_not1_b32 vcc_lo, exec_lo, s9
	s_cbranch_vccnz .LBB151_2453
; %bb.2452:
	global_load_u8 v1, v[24:25], off
	s_wait_loadcnt 0x0
	v_lshlrev_b32_e32 v3, 25, v1
	v_lshlrev_b16 v1, 8, v1
	s_delay_alu instid0(VALU_DEP_1) | instskip(SKIP_1) | instid1(VALU_DEP_2)
	v_and_or_b32 v7, 0x7f00, v1, 0.5
	v_bfe_i32 v1, v1, 0, 16
	v_add_f32_e32 v7, -0.5, v7
	v_lshrrev_b32_e32 v5, 4, v3
	v_cmp_gt_u32_e32 vcc_lo, 0x8000000, v3
	s_delay_alu instid0(VALU_DEP_2) | instskip(NEXT) | instid1(VALU_DEP_1)
	v_or_b32_e32 v5, 0x70000000, v5
	v_mul_f32_e32 v5, 0x7800000, v5
	s_delay_alu instid0(VALU_DEP_1) | instskip(NEXT) | instid1(VALU_DEP_1)
	v_cndmask_b32_e32 v3, v5, v7, vcc_lo
	v_and_or_b32 v22, 0x80000000, v1, v3
.LBB151_2453:
	s_mov_b32 s9, 0
	s_mov_b32 s12, -1
.LBB151_2454:
	s_and_not1_b32 vcc_lo, exec_lo, s9
	s_mov_b32 s9, 0
	s_cbranch_vccnz .LBB151_2478
; %bb.2455:
	s_cmp_gt_i32 s4, 14
	s_cbranch_scc0 .LBB151_2458
; %bb.2456:
	s_cmp_eq_u32 s4, 15
	s_cbranch_scc0 .LBB151_2474
; %bb.2457:
	global_load_u16 v1, v[24:25], off
	s_mov_b32 s8, 0
	s_mov_b32 s12, -1
	s_wait_loadcnt 0x0
	v_lshlrev_b32_e32 v22, 16, v1
	s_branch .LBB151_2476
.LBB151_2458:
	s_mov_b32 s9, -1
	s_branch .LBB151_2475
.LBB151_2459:
	s_mov_b32 s8, -1
                                        ; implicit-def: $vgpr22
.LBB151_2460:
	s_delay_alu instid0(SALU_CYCLE_1)
	s_and_not1_b32 vcc_lo, exec_lo, s8
	s_cbranch_vccnz .LBB151_2462
; %bb.2461:
	s_wait_loadcnt 0x0
	global_load_b32 v22, v[24:25], off
.LBB151_2462:
	s_mov_b32 s8, 0
.LBB151_2463:
	s_delay_alu instid0(SALU_CYCLE_1)
	s_and_not1_b32 vcc_lo, exec_lo, s8
	s_cbranch_vccnz .LBB151_2465
; %bb.2464:
	global_load_u16 v1, v[24:25], off
	s_wait_loadcnt 0x0
	v_cvt_f32_f16_e32 v22, v1
.LBB151_2465:
	s_wait_loadcnt 0x0
	v_mov_b32_e32 v23, 0
.LBB151_2466:
	s_mov_b32 s8, 0
.LBB151_2467:
	s_delay_alu instid0(SALU_CYCLE_1)
	s_and_not1_b32 vcc_lo, exec_lo, s8
	s_cbranch_vccnz .LBB151_2494
; %bb.2468:
	s_cmp_lt_i32 s4, 2
	s_cbranch_scc1 .LBB151_2472
; %bb.2469:
	s_cmp_lt_i32 s4, 3
	s_cbranch_scc1 .LBB151_2473
; %bb.2470:
	s_cmp_gt_i32 s4, 3
	s_cbranch_scc0 .LBB151_2480
; %bb.2471:
	s_wait_loadcnt 0x0
	global_load_b64 v[22:23], v[24:25], off
	s_mov_b32 s8, 0
	s_wait_loadcnt 0x0
	v_xor_b32_e32 v1, v22, v23
	v_cls_i32_e32 v3, v23
	s_delay_alu instid0(VALU_DEP_2) | instskip(NEXT) | instid1(VALU_DEP_1)
	v_ashrrev_i32_e32 v1, 31, v1
	v_add_nc_u32_e32 v1, 32, v1
	s_delay_alu instid0(VALU_DEP_1) | instskip(NEXT) | instid1(VALU_DEP_1)
	v_add_min_u32_e64 v1, v3, -1, v1
	v_lshlrev_b64_e32 v[22:23], v1, v[22:23]
	v_sub_nc_u32_e32 v1, 32, v1
	s_delay_alu instid0(VALU_DEP_2) | instskip(NEXT) | instid1(VALU_DEP_1)
	v_min_u32_e32 v3, 1, v22
	v_or_b32_e32 v3, v23, v3
	s_delay_alu instid0(VALU_DEP_1) | instskip(NEXT) | instid1(VALU_DEP_1)
	v_cvt_f32_i32_e32 v3, v3
	v_ldexp_f32 v22, v3, v1
	s_branch .LBB151_2481
.LBB151_2472:
	s_mov_b32 s8, -1
                                        ; implicit-def: $vgpr22
	s_branch .LBB151_2487
.LBB151_2473:
	s_mov_b32 s8, -1
                                        ; implicit-def: $vgpr22
	s_branch .LBB151_2484
.LBB151_2474:
	s_mov_b32 s8, -1
.LBB151_2475:
                                        ; implicit-def: $vgpr22
.LBB151_2476:
	s_and_b32 vcc_lo, exec_lo, s9
	s_mov_b32 s9, 0
	s_cbranch_vccz .LBB151_2478
; %bb.2477:
	s_cmp_lg_u32 s4, 11
	s_mov_b32 s9, -1
	s_cselect_b32 s8, -1, 0
.LBB151_2478:
	v_mov_b32_e32 v23, 0
	s_and_b32 vcc_lo, exec_lo, s8
	s_cbranch_vccz .LBB151_2409
.LBB151_2479:
	s_or_b32 s11, s11, exec_lo
	s_trap 2
	s_cbranch_execz .LBB151_2410
	s_branch .LBB151_2411
.LBB151_2480:
	s_mov_b32 s8, -1
                                        ; implicit-def: $vgpr22
.LBB151_2481:
	s_delay_alu instid0(SALU_CYCLE_1)
	s_and_not1_b32 vcc_lo, exec_lo, s8
	s_cbranch_vccnz .LBB151_2483
; %bb.2482:
	global_load_b32 v1, v[24:25], off
	s_wait_loadcnt 0x0
	v_cvt_f32_i32_e32 v22, v1
.LBB151_2483:
	s_mov_b32 s8, 0
.LBB151_2484:
	s_delay_alu instid0(SALU_CYCLE_1)
	s_and_not1_b32 vcc_lo, exec_lo, s8
	s_cbranch_vccnz .LBB151_2486
; %bb.2485:
	global_load_i16 v1, v[24:25], off
	s_wait_loadcnt 0x0
	v_cvt_f32_i32_e32 v22, v1
.LBB151_2486:
	s_mov_b32 s8, 0
.LBB151_2487:
	s_delay_alu instid0(SALU_CYCLE_1)
	s_and_not1_b32 vcc_lo, exec_lo, s8
	s_cbranch_vccnz .LBB151_2493
; %bb.2488:
	s_cmp_gt_i32 s4, 0
	s_mov_b32 s8, 0
	s_cbranch_scc0 .LBB151_2490
; %bb.2489:
	global_load_i8 v1, v[24:25], off
	s_wait_loadcnt 0x0
	v_cvt_f32_i32_e32 v22, v1
	s_branch .LBB151_2491
.LBB151_2490:
	s_mov_b32 s8, -1
                                        ; implicit-def: $vgpr22
.LBB151_2491:
	s_delay_alu instid0(SALU_CYCLE_1)
	s_and_not1_b32 vcc_lo, exec_lo, s8
	s_cbranch_vccnz .LBB151_2493
; %bb.2492:
	global_load_u8 v1, v[24:25], off
	s_wait_loadcnt 0x0
	v_cvt_f32_ubyte0_e32 v22, v1
.LBB151_2493:
	s_wait_loadcnt 0x0
	v_mov_b32_e32 v23, 0
.LBB151_2494:
	s_mov_b32 s12, -1
.LBB151_2495:
	s_delay_alu instid0(SALU_CYCLE_1)
	s_and_not1_b32 vcc_lo, exec_lo, s12
	s_cbranch_vccnz .LBB151_3358
; %bb.2496:
	v_mov_b32_e32 v21, 0
	s_cmp_lt_i32 s5, 11
	s_wait_xcnt 0x0
	s_delay_alu instid0(VALU_DEP_1)
	v_add_nc_u64_e32 v[24:25], s[2:3], v[20:21]
	s_cbranch_scc1 .LBB151_2503
; %bb.2497:
	s_cmp_gt_i32 s5, 25
	s_mov_b32 s9, 0
	s_cbranch_scc0 .LBB151_2504
; %bb.2498:
	s_cmp_gt_i32 s5, 28
	s_cbranch_scc0 .LBB151_2505
; %bb.2499:
	s_cmp_gt_i32 s5, 43
	;; [unrolled: 3-line block ×3, first 2 shown]
	s_cbranch_scc0 .LBB151_2511
; %bb.2501:
	s_cmp_eq_u32 s5, 46
	s_mov_b32 s13, 0
	s_cbranch_scc0 .LBB151_2512
; %bb.2502:
	global_load_b32 v1, v[24:25], off
	s_mov_b32 s8, 0
	s_mov_b32 s12, -1
	s_wait_loadcnt 0x0
	v_and_b32_e32 v21, 0xffff0000, v1
	v_lshlrev_b32_e32 v20, 16, v1
	s_branch .LBB151_2514
.LBB151_2503:
	s_mov_b32 s8, -1
	s_mov_b32 s12, 0
                                        ; implicit-def: $vgpr21
	s_branch .LBB151_2548
.LBB151_2504:
	s_mov_b32 s13, -1
	s_mov_b32 s12, 0
	s_mov_b32 s8, 0
                                        ; implicit-def: $vgpr21
	s_branch .LBB151_2543
.LBB151_2505:
	s_mov_b32 s13, -1
	s_mov_b32 s12, 0
	s_mov_b32 s8, 0
                                        ; implicit-def: $vgpr21
	s_branch .LBB151_2526
.LBB151_2506:
	s_mov_b32 s13, -1
	s_mov_b32 s12, 0
	s_mov_b32 s8, 0
                                        ; implicit-def: $vgpr21
	s_branch .LBB151_2520
.LBB151_2507:
	s_mov_b32 s9, -1
	s_mov_b32 s13, exec_lo
	v_cmpx_eq_u16_e32 0x80, v1
; %bb.2508:
	s_xor_b32 s9, exec_lo, -1
; %bb.2509:
	s_or_b32 exec_lo, exec_lo, s13
	s_delay_alu instid0(SALU_CYCLE_1)
	s_and_b32 s9, s9, exec_lo
	s_or_saveexec_b32 s12, s12
	v_mov_b32_e32 v22, 0x7f800001
	s_xor_b32 exec_lo, exec_lo, s12
	s_cbranch_execz .LBB151_2423
.LBB151_2510:
	v_cmp_ne_u16_e32 vcc_lo, 0, v1
	v_mov_b32_e32 v22, 0
	s_and_not1_b32 s9, s9, exec_lo
	s_and_b32 s13, vcc_lo, exec_lo
	s_delay_alu instid0(SALU_CYCLE_1)
	s_or_b32 s9, s9, s13
	s_or_b32 exec_lo, exec_lo, s12
	s_and_saveexec_b32 s12, s9
	s_cbranch_execnz .LBB151_2424
	s_branch .LBB151_2425
.LBB151_2511:
	s_mov_b32 s13, -1
	s_mov_b32 s12, 0
	s_mov_b32 s8, 0
	s_branch .LBB151_2513
.LBB151_2512:
	s_mov_b32 s8, -1
	s_mov_b32 s12, 0
.LBB151_2513:
                                        ; implicit-def: $vgpr21
.LBB151_2514:
	s_and_b32 vcc_lo, exec_lo, s13
	s_cbranch_vccz .LBB151_2519
; %bb.2515:
	s_cmp_eq_u32 s5, 44
	s_cbranch_scc0 .LBB151_2517
; %bb.2516:
	global_load_u8 v1, v[24:25], off
	s_mov_b32 s8, 0
	s_mov_b32 s12, -1
	s_wait_loadcnt 0x0
	v_lshlrev_b32_e32 v3, 23, v1
	v_cmp_ne_u32_e32 vcc_lo, 0xff, v1
	s_delay_alu instid0(VALU_DEP_2) | instskip(SKIP_1) | instid1(VALU_DEP_2)
	v_cndmask_b32_e32 v3, 0x7f800001, v3, vcc_lo
	v_cmp_ne_u32_e32 vcc_lo, 0, v1
	v_cndmask_b32_e32 v20, 0x400000, v3, vcc_lo
	s_branch .LBB151_2518
.LBB151_2517:
	s_mov_b32 s8, -1
                                        ; implicit-def: $vgpr20
.LBB151_2518:
	v_mov_b32_e32 v21, 0
.LBB151_2519:
	s_mov_b32 s13, 0
.LBB151_2520:
	s_delay_alu instid0(SALU_CYCLE_1)
	s_and_b32 vcc_lo, exec_lo, s13
	s_cbranch_vccz .LBB151_2525
; %bb.2521:
	s_cmp_eq_u32 s5, 29
	s_cbranch_scc0 .LBB151_2523
; %bb.2522:
	global_load_b64 v[20:21], v[24:25], off
	s_mov_b32 s8, 0
	s_mov_b32 s12, -1
	s_wait_loadcnt 0x0
	v_clz_i32_u32_e32 v1, v21
	s_delay_alu instid0(VALU_DEP_1) | instskip(NEXT) | instid1(VALU_DEP_1)
	v_min_u32_e32 v1, 32, v1
	v_lshlrev_b64_e32 v[20:21], v1, v[20:21]
	v_sub_nc_u32_e32 v1, 32, v1
	s_delay_alu instid0(VALU_DEP_2) | instskip(NEXT) | instid1(VALU_DEP_1)
	v_min_u32_e32 v3, 1, v20
	v_or_b32_e32 v3, v21, v3
	s_delay_alu instid0(VALU_DEP_1) | instskip(NEXT) | instid1(VALU_DEP_1)
	v_cvt_f32_u32_e32 v3, v3
	v_ldexp_f32 v20, v3, v1
	s_branch .LBB151_2524
.LBB151_2523:
	s_mov_b32 s8, -1
                                        ; implicit-def: $vgpr20
.LBB151_2524:
	v_mov_b32_e32 v21, 0
.LBB151_2525:
	s_mov_b32 s13, 0
.LBB151_2526:
	s_delay_alu instid0(SALU_CYCLE_1)
	s_and_b32 vcc_lo, exec_lo, s13
	s_cbranch_vccz .LBB151_2542
; %bb.2527:
	s_cmp_lt_i32 s5, 27
	s_cbranch_scc1 .LBB151_2530
; %bb.2528:
	s_cmp_gt_i32 s5, 27
	s_cbranch_scc0 .LBB151_2531
; %bb.2529:
	global_load_b32 v1, v[24:25], off
	s_mov_b32 s12, 0
	s_wait_loadcnt 0x0
	v_cvt_f32_u32_e32 v20, v1
	s_branch .LBB151_2532
.LBB151_2530:
	s_mov_b32 s12, -1
                                        ; implicit-def: $vgpr20
	s_branch .LBB151_2535
.LBB151_2531:
	s_mov_b32 s12, -1
                                        ; implicit-def: $vgpr20
.LBB151_2532:
	s_delay_alu instid0(SALU_CYCLE_1)
	s_and_not1_b32 vcc_lo, exec_lo, s12
	s_cbranch_vccnz .LBB151_2534
; %bb.2533:
	global_load_u16 v1, v[24:25], off
	s_wait_loadcnt 0x0
	v_cvt_f32_u32_e32 v20, v1
.LBB151_2534:
	s_mov_b32 s12, 0
.LBB151_2535:
	s_delay_alu instid0(SALU_CYCLE_1)
	s_and_not1_b32 vcc_lo, exec_lo, s12
	s_cbranch_vccnz .LBB151_2541
; %bb.2536:
	global_load_u8 v1, v[24:25], off
	s_mov_b32 s12, 0
	s_mov_b32 s13, exec_lo
	s_wait_loadcnt 0x0
	v_cmpx_lt_i16_e32 0x7f, v1
	s_xor_b32 s13, exec_lo, s13
	s_cbranch_execnz .LBB151_2567
; %bb.2537:
	s_or_saveexec_b32 s13, s13
	v_mov_b32_e32 v20, 0x7f800001
	s_xor_b32 exec_lo, exec_lo, s13
	s_cbranch_execnz .LBB151_2570
.LBB151_2538:
	s_or_b32 exec_lo, exec_lo, s13
	s_and_saveexec_b32 s13, s12
	s_cbranch_execz .LBB151_2540
.LBB151_2539:
	v_and_b32_e32 v3, 0xffff, v1
	s_delay_alu instid0(VALU_DEP_1) | instskip(SKIP_1) | instid1(VALU_DEP_2)
	v_dual_lshlrev_b32 v1, 24, v1 :: v_dual_bitop2_b32 v5, 7, v3 bitop3:0x40
	v_bfe_u32 v17, v3, 3, 4
	v_and_b32_e32 v1, 0x80000000, v1
	s_delay_alu instid0(VALU_DEP_3) | instskip(NEXT) | instid1(VALU_DEP_3)
	v_clz_i32_u32_e32 v7, v5
	v_cmp_eq_u32_e32 vcc_lo, 0, v17
	s_delay_alu instid0(VALU_DEP_2) | instskip(NEXT) | instid1(VALU_DEP_1)
	v_min_u32_e32 v7, 32, v7
	v_subrev_nc_u32_e32 v11, 28, v7
	v_sub_nc_u32_e32 v7, 29, v7
	s_delay_alu instid0(VALU_DEP_2) | instskip(NEXT) | instid1(VALU_DEP_2)
	v_lshlrev_b32_e32 v3, v11, v3
	v_cndmask_b32_e32 v7, v17, v7, vcc_lo
	s_delay_alu instid0(VALU_DEP_2) | instskip(NEXT) | instid1(VALU_DEP_1)
	v_and_b32_e32 v3, 7, v3
	v_cndmask_b32_e32 v3, v5, v3, vcc_lo
	s_delay_alu instid0(VALU_DEP_3) | instskip(NEXT) | instid1(VALU_DEP_2)
	v_lshl_add_u32 v5, v7, 23, 0x3b800000
	v_lshlrev_b32_e32 v3, 20, v3
	s_delay_alu instid0(VALU_DEP_1)
	v_or3_b32 v20, v1, v5, v3
.LBB151_2540:
	s_or_b32 exec_lo, exec_lo, s13
.LBB151_2541:
	v_mov_b32_e32 v21, 0
	s_mov_b32 s12, -1
.LBB151_2542:
	s_mov_b32 s13, 0
.LBB151_2543:
	s_delay_alu instid0(SALU_CYCLE_1)
	s_and_b32 vcc_lo, exec_lo, s13
	s_cbranch_vccnz .LBB151_2554
; %bb.2544:
	s_and_b32 vcc_lo, exec_lo, s8
	s_cbranch_vccnz .LBB151_2615
.LBB151_2545:
	s_and_not1_b32 vcc_lo, exec_lo, s9
	s_cbranch_vccnz .LBB151_2547
.LBB151_2546:
	global_load_u8 v1, v[24:25], off
	v_mov_b32_e32 v21, 0
	s_mov_b32 s12, -1
	s_wait_loadcnt 0x0
	v_cmp_ne_u16_e32 vcc_lo, 0, v1
	v_cndmask_b32_e64 v20, 0, 1.0, vcc_lo
.LBB151_2547:
	s_mov_b32 s8, 0
.LBB151_2548:
	s_delay_alu instid0(SALU_CYCLE_1)
	s_and_b32 vcc_lo, exec_lo, s8
	s_cbranch_vccz .LBB151_2631
; %bb.2549:
	s_cmp_lt_i32 s5, 5
	s_cbranch_scc1 .LBB151_2562
; %bb.2550:
	s_cmp_lt_i32 s5, 8
	s_cbranch_scc1 .LBB151_2563
	;; [unrolled: 3-line block ×3, first 2 shown]
; %bb.2552:
	s_cmp_gt_i32 s5, 9
	s_cbranch_scc0 .LBB151_2571
; %bb.2553:
	global_load_b128 v[26:29], v[24:25], off
	s_mov_b32 s8, 0
	s_wait_loadcnt 0x0
	v_cvt_f32_f64_e32 v20, v[26:27]
	v_cvt_f32_f64_e32 v21, v[28:29]
	s_branch .LBB151_2572
.LBB151_2554:
	s_cmp_gt_i32 s5, 22
	s_cbranch_scc0 .LBB151_2564
; %bb.2555:
	s_cmp_lt_i32 s5, 24
	s_cbranch_scc1 .LBB151_2566
; %bb.2556:
	s_cmp_gt_i32 s5, 24
	s_cbranch_scc0 .LBB151_2583
; %bb.2557:
	global_load_u8 v1, v[24:25], off
	s_mov_b32 s12, exec_lo
	s_wait_loadcnt 0x0
	v_cmpx_lt_i16_e32 0x7f, v1
	s_xor_b32 s12, exec_lo, s12
	s_cbranch_execnz .LBB151_2663
; %bb.2558:
	s_or_saveexec_b32 s12, s12
	v_mov_b32_e32 v20, 0x7f800001
	s_xor_b32 exec_lo, exec_lo, s12
	s_cbranch_execnz .LBB151_2666
.LBB151_2559:
	s_or_b32 exec_lo, exec_lo, s12
	s_and_saveexec_b32 s12, s9
	s_cbranch_execz .LBB151_2561
.LBB151_2560:
	v_and_b32_e32 v3, 0xffff, v1
	s_delay_alu instid0(VALU_DEP_1) | instskip(SKIP_1) | instid1(VALU_DEP_2)
	v_dual_lshlrev_b32 v1, 24, v1 :: v_dual_bitop2_b32 v5, 3, v3 bitop3:0x40
	v_bfe_u32 v17, v3, 2, 5
	v_and_b32_e32 v1, 0x80000000, v1
	s_delay_alu instid0(VALU_DEP_3) | instskip(NEXT) | instid1(VALU_DEP_3)
	v_clz_i32_u32_e32 v7, v5
	v_cmp_eq_u32_e32 vcc_lo, 0, v17
	s_delay_alu instid0(VALU_DEP_2) | instskip(NEXT) | instid1(VALU_DEP_1)
	v_min_u32_e32 v7, 32, v7
	v_subrev_nc_u32_e32 v11, 29, v7
	v_sub_nc_u32_e32 v7, 30, v7
	s_delay_alu instid0(VALU_DEP_2) | instskip(NEXT) | instid1(VALU_DEP_2)
	v_lshlrev_b32_e32 v3, v11, v3
	v_cndmask_b32_e32 v7, v17, v7, vcc_lo
	s_delay_alu instid0(VALU_DEP_2) | instskip(NEXT) | instid1(VALU_DEP_1)
	v_and_b32_e32 v3, 3, v3
	v_cndmask_b32_e32 v3, v5, v3, vcc_lo
	s_delay_alu instid0(VALU_DEP_3) | instskip(NEXT) | instid1(VALU_DEP_2)
	v_lshl_add_u32 v5, v7, 23, 0x37800000
	v_lshlrev_b32_e32 v3, 21, v3
	s_delay_alu instid0(VALU_DEP_1)
	v_or3_b32 v20, v1, v5, v3
.LBB151_2561:
	s_or_b32 exec_lo, exec_lo, s12
	s_mov_b32 s9, 0
	s_branch .LBB151_2584
.LBB151_2562:
	s_mov_b32 s8, -1
                                        ; implicit-def: $vgpr21
	s_branch .LBB151_2603
.LBB151_2563:
	s_mov_b32 s8, -1
                                        ; implicit-def: $vgpr21
	s_branch .LBB151_2578
.LBB151_2564:
	s_mov_b32 s9, -1
                                        ; implicit-def: $vgpr20
	s_branch .LBB151_2590
.LBB151_2565:
	s_mov_b32 s8, -1
                                        ; implicit-def: $vgpr21
	s_branch .LBB151_2575
.LBB151_2566:
	s_mov_b32 s9, -1
                                        ; implicit-def: $vgpr20
	s_branch .LBB151_2587
.LBB151_2567:
	s_mov_b32 s12, -1
	s_mov_b32 s14, exec_lo
	v_cmpx_eq_u16_e32 0x80, v1
; %bb.2568:
	s_xor_b32 s12, exec_lo, -1
; %bb.2569:
	s_or_b32 exec_lo, exec_lo, s14
	s_delay_alu instid0(SALU_CYCLE_1)
	s_and_b32 s12, s12, exec_lo
	s_or_saveexec_b32 s13, s13
	v_mov_b32_e32 v20, 0x7f800001
	s_xor_b32 exec_lo, exec_lo, s13
	s_cbranch_execz .LBB151_2538
.LBB151_2570:
	v_cmp_ne_u16_e32 vcc_lo, 0, v1
	v_mov_b32_e32 v20, 0
	s_and_not1_b32 s12, s12, exec_lo
	s_and_b32 s14, vcc_lo, exec_lo
	s_delay_alu instid0(SALU_CYCLE_1)
	s_or_b32 s12, s12, s14
	s_or_b32 exec_lo, exec_lo, s13
	s_and_saveexec_b32 s13, s12
	s_cbranch_execnz .LBB151_2539
	s_branch .LBB151_2540
.LBB151_2571:
	s_mov_b32 s8, -1
                                        ; implicit-def: $vgpr21
.LBB151_2572:
	s_delay_alu instid0(SALU_CYCLE_1)
	s_and_not1_b32 vcc_lo, exec_lo, s8
	s_cbranch_vccnz .LBB151_2574
; %bb.2573:
	global_load_b64 v[20:21], v[24:25], off
.LBB151_2574:
	s_mov_b32 s8, 0
.LBB151_2575:
	s_delay_alu instid0(SALU_CYCLE_1)
	s_and_not1_b32 vcc_lo, exec_lo, s8
	s_cbranch_vccnz .LBB151_2577
; %bb.2576:
	global_load_b32 v1, v[24:25], off
	s_wait_loadcnt 0x0
	v_lshrrev_b32_e32 v3, 16, v1
	v_cvt_f32_f16_e32 v20, v1
	s_delay_alu instid0(VALU_DEP_2)
	v_cvt_f32_f16_e32 v21, v3
.LBB151_2577:
	s_mov_b32 s8, 0
.LBB151_2578:
	s_delay_alu instid0(SALU_CYCLE_1)
	s_and_not1_b32 vcc_lo, exec_lo, s8
	s_cbranch_vccnz .LBB151_2602
; %bb.2579:
	s_cmp_lt_i32 s5, 6
	s_cbranch_scc1 .LBB151_2582
; %bb.2580:
	s_cmp_gt_i32 s5, 6
	s_cbranch_scc0 .LBB151_2595
; %bb.2581:
	s_wait_loadcnt 0x0
	global_load_b64 v[20:21], v[24:25], off
	s_mov_b32 s8, 0
	s_wait_loadcnt 0x0
	v_cvt_f32_f64_e32 v20, v[20:21]
	s_branch .LBB151_2596
.LBB151_2582:
	s_mov_b32 s8, -1
                                        ; implicit-def: $vgpr20
	s_branch .LBB151_2599
.LBB151_2583:
	s_mov_b32 s9, -1
                                        ; implicit-def: $vgpr20
.LBB151_2584:
	s_delay_alu instid0(SALU_CYCLE_1)
	s_and_b32 vcc_lo, exec_lo, s9
	s_cbranch_vccz .LBB151_2586
; %bb.2585:
	global_load_u8 v1, v[24:25], off
	s_wait_loadcnt 0x0
	v_lshlrev_b32_e32 v1, 24, v1
	s_delay_alu instid0(VALU_DEP_1) | instskip(NEXT) | instid1(VALU_DEP_1)
	v_and_b32_e32 v3, 0x7f000000, v1
	v_clz_i32_u32_e32 v5, v3
	v_add_nc_u32_e32 v11, 0x1000000, v3
	v_cmp_ne_u32_e32 vcc_lo, 0, v3
	s_delay_alu instid0(VALU_DEP_3) | instskip(NEXT) | instid1(VALU_DEP_1)
	v_min_u32_e32 v5, 32, v5
	v_sub_nc_u32_e64 v5, v5, 4 clamp
	s_delay_alu instid0(VALU_DEP_1) | instskip(NEXT) | instid1(VALU_DEP_1)
	v_dual_lshlrev_b32 v7, v5, v3 :: v_dual_lshlrev_b32 v5, 23, v5
	v_lshrrev_b32_e32 v7, 4, v7
	s_delay_alu instid0(VALU_DEP_1) | instskip(NEXT) | instid1(VALU_DEP_1)
	v_dual_sub_nc_u32 v5, v7, v5 :: v_dual_ashrrev_i32 v7, 8, v11
	v_add_nc_u32_e32 v5, 0x3c000000, v5
	s_delay_alu instid0(VALU_DEP_1) | instskip(NEXT) | instid1(VALU_DEP_1)
	v_and_or_b32 v5, 0x7f800000, v7, v5
	v_cndmask_b32_e32 v3, 0, v5, vcc_lo
	s_delay_alu instid0(VALU_DEP_1)
	v_and_or_b32 v20, 0x80000000, v1, v3
.LBB151_2586:
	s_mov_b32 s9, 0
.LBB151_2587:
	s_delay_alu instid0(SALU_CYCLE_1)
	s_and_not1_b32 vcc_lo, exec_lo, s9
	s_cbranch_vccnz .LBB151_2589
; %bb.2588:
	global_load_u8 v1, v[24:25], off
	s_wait_loadcnt 0x0
	v_lshlrev_b32_e32 v3, 25, v1
	v_lshlrev_b16 v1, 8, v1
	s_delay_alu instid0(VALU_DEP_1) | instskip(SKIP_1) | instid1(VALU_DEP_2)
	v_and_or_b32 v7, 0x7f00, v1, 0.5
	v_bfe_i32 v1, v1, 0, 16
	v_add_f32_e32 v7, -0.5, v7
	v_lshrrev_b32_e32 v5, 4, v3
	v_cmp_gt_u32_e32 vcc_lo, 0x8000000, v3
	s_delay_alu instid0(VALU_DEP_2) | instskip(NEXT) | instid1(VALU_DEP_1)
	v_or_b32_e32 v5, 0x70000000, v5
	v_mul_f32_e32 v5, 0x7800000, v5
	s_delay_alu instid0(VALU_DEP_1) | instskip(NEXT) | instid1(VALU_DEP_1)
	v_cndmask_b32_e32 v3, v5, v7, vcc_lo
	v_and_or_b32 v20, 0x80000000, v1, v3
.LBB151_2589:
	s_mov_b32 s9, 0
	s_mov_b32 s12, -1
.LBB151_2590:
	s_and_not1_b32 vcc_lo, exec_lo, s9
	s_mov_b32 s9, 0
	s_cbranch_vccnz .LBB151_2614
; %bb.2591:
	s_cmp_gt_i32 s5, 14
	s_cbranch_scc0 .LBB151_2594
; %bb.2592:
	s_cmp_eq_u32 s5, 15
	s_cbranch_scc0 .LBB151_2610
; %bb.2593:
	global_load_u16 v1, v[24:25], off
	s_mov_b32 s8, 0
	s_mov_b32 s12, -1
	s_wait_loadcnt 0x0
	v_lshlrev_b32_e32 v20, 16, v1
	s_branch .LBB151_2612
.LBB151_2594:
	s_mov_b32 s9, -1
	s_branch .LBB151_2611
.LBB151_2595:
	s_mov_b32 s8, -1
                                        ; implicit-def: $vgpr20
.LBB151_2596:
	s_delay_alu instid0(SALU_CYCLE_1)
	s_and_not1_b32 vcc_lo, exec_lo, s8
	s_cbranch_vccnz .LBB151_2598
; %bb.2597:
	s_wait_loadcnt 0x0
	global_load_b32 v20, v[24:25], off
.LBB151_2598:
	s_mov_b32 s8, 0
.LBB151_2599:
	s_delay_alu instid0(SALU_CYCLE_1)
	s_and_not1_b32 vcc_lo, exec_lo, s8
	s_cbranch_vccnz .LBB151_2601
; %bb.2600:
	global_load_u16 v1, v[24:25], off
	s_wait_loadcnt 0x0
	v_cvt_f32_f16_e32 v20, v1
.LBB151_2601:
	s_wait_loadcnt 0x0
	v_mov_b32_e32 v21, 0
.LBB151_2602:
	s_mov_b32 s8, 0
.LBB151_2603:
	s_delay_alu instid0(SALU_CYCLE_1)
	s_and_not1_b32 vcc_lo, exec_lo, s8
	s_cbranch_vccnz .LBB151_2630
; %bb.2604:
	s_cmp_lt_i32 s5, 2
	s_cbranch_scc1 .LBB151_2608
; %bb.2605:
	s_cmp_lt_i32 s5, 3
	s_cbranch_scc1 .LBB151_2609
; %bb.2606:
	s_cmp_gt_i32 s5, 3
	s_cbranch_scc0 .LBB151_2616
; %bb.2607:
	s_wait_loadcnt 0x0
	global_load_b64 v[20:21], v[24:25], off
	s_mov_b32 s8, 0
	s_wait_loadcnt 0x0
	v_xor_b32_e32 v1, v20, v21
	v_cls_i32_e32 v3, v21
	s_delay_alu instid0(VALU_DEP_2) | instskip(NEXT) | instid1(VALU_DEP_1)
	v_ashrrev_i32_e32 v1, 31, v1
	v_add_nc_u32_e32 v1, 32, v1
	s_delay_alu instid0(VALU_DEP_1) | instskip(NEXT) | instid1(VALU_DEP_1)
	v_add_min_u32_e64 v1, v3, -1, v1
	v_lshlrev_b64_e32 v[20:21], v1, v[20:21]
	v_sub_nc_u32_e32 v1, 32, v1
	s_delay_alu instid0(VALU_DEP_2) | instskip(NEXT) | instid1(VALU_DEP_1)
	v_min_u32_e32 v3, 1, v20
	v_or_b32_e32 v3, v21, v3
	s_delay_alu instid0(VALU_DEP_1) | instskip(NEXT) | instid1(VALU_DEP_1)
	v_cvt_f32_i32_e32 v3, v3
	v_ldexp_f32 v20, v3, v1
	s_branch .LBB151_2617
.LBB151_2608:
	s_mov_b32 s8, -1
                                        ; implicit-def: $vgpr20
	s_branch .LBB151_2623
.LBB151_2609:
	s_mov_b32 s8, -1
                                        ; implicit-def: $vgpr20
	s_branch .LBB151_2620
.LBB151_2610:
	s_mov_b32 s8, -1
.LBB151_2611:
                                        ; implicit-def: $vgpr20
.LBB151_2612:
	s_and_b32 vcc_lo, exec_lo, s9
	s_mov_b32 s9, 0
	s_cbranch_vccz .LBB151_2614
; %bb.2613:
	s_cmp_lg_u32 s5, 11
	s_mov_b32 s9, -1
	s_cselect_b32 s8, -1, 0
.LBB151_2614:
	v_mov_b32_e32 v21, 0
	s_and_b32 vcc_lo, exec_lo, s8
	s_cbranch_vccz .LBB151_2545
.LBB151_2615:
	s_or_b32 s11, s11, exec_lo
	s_trap 2
	s_cbranch_execz .LBB151_2546
	s_branch .LBB151_2547
.LBB151_2616:
	s_mov_b32 s8, -1
                                        ; implicit-def: $vgpr20
.LBB151_2617:
	s_delay_alu instid0(SALU_CYCLE_1)
	s_and_not1_b32 vcc_lo, exec_lo, s8
	s_cbranch_vccnz .LBB151_2619
; %bb.2618:
	global_load_b32 v1, v[24:25], off
	s_wait_loadcnt 0x0
	v_cvt_f32_i32_e32 v20, v1
.LBB151_2619:
	s_mov_b32 s8, 0
.LBB151_2620:
	s_delay_alu instid0(SALU_CYCLE_1)
	s_and_not1_b32 vcc_lo, exec_lo, s8
	s_cbranch_vccnz .LBB151_2622
; %bb.2621:
	global_load_i16 v1, v[24:25], off
	s_wait_loadcnt 0x0
	v_cvt_f32_i32_e32 v20, v1
.LBB151_2622:
	s_mov_b32 s8, 0
.LBB151_2623:
	s_delay_alu instid0(SALU_CYCLE_1)
	s_and_not1_b32 vcc_lo, exec_lo, s8
	s_cbranch_vccnz .LBB151_2629
; %bb.2624:
	s_cmp_gt_i32 s5, 0
	s_mov_b32 s8, 0
	s_cbranch_scc0 .LBB151_2626
; %bb.2625:
	global_load_i8 v1, v[24:25], off
	s_wait_loadcnt 0x0
	v_cvt_f32_i32_e32 v20, v1
	s_branch .LBB151_2627
.LBB151_2626:
	s_mov_b32 s8, -1
                                        ; implicit-def: $vgpr20
.LBB151_2627:
	s_delay_alu instid0(SALU_CYCLE_1)
	s_and_not1_b32 vcc_lo, exec_lo, s8
	s_cbranch_vccnz .LBB151_2629
; %bb.2628:
	global_load_u8 v1, v[24:25], off
	s_wait_loadcnt 0x0
	v_cvt_f32_ubyte0_e32 v20, v1
.LBB151_2629:
	s_wait_loadcnt 0x0
	v_mov_b32_e32 v21, 0
.LBB151_2630:
	s_mov_b32 s12, -1
.LBB151_2631:
	s_delay_alu instid0(SALU_CYCLE_1)
	s_and_not1_b32 vcc_lo, exec_lo, s12
	s_cbranch_vccnz .LBB151_3358
; %bb.2632:
	s_cmp_lt_i32 s6, 23
	s_cbranch_scc1 .LBB151_2636
; %bb.2633:
	s_cmp_gt_i32 s6, 43
	s_cbranch_scc0 .LBB151_2637
; %bb.2634:
	s_cmp_gt_i32 s6, 45
	s_cbranch_scc0 .LBB151_2638
; %bb.2635:
	s_cmp_lg_u32 s6, 46
	s_mov_b32 s12, 0
	s_mov_b32 s8, -1
	s_cselect_b32 s9, -1, 0
	s_branch .LBB151_2639
.LBB151_2636:
	s_mov_b32 s12, -1
	s_mov_b32 s8, 0
	s_mov_b32 s9, 0
	s_branch .LBB151_2645
.LBB151_2637:
	s_mov_b32 s12, -1
	s_mov_b32 s8, 0
	s_mov_b32 s9, 0
	s_branch .LBB151_2642
.LBB151_2638:
	s_mov_b32 s12, -1
	s_mov_b32 s8, 0
	s_mov_b32 s9, 0
.LBB151_2639:
	s_and_not1_b32 vcc_lo, exec_lo, s12
	s_cbranch_vccnz .LBB151_2641
; %bb.2640:
	s_cmp_eq_u32 s6, 44
	s_cselect_b32 s8, -1, 0
	s_cmp_lg_u32 s6, 44
	s_cselect_b32 s9, -1, 0
.LBB151_2641:
	s_mov_b32 s12, 0
.LBB151_2642:
	s_delay_alu instid0(SALU_CYCLE_1)
	s_and_b32 vcc_lo, exec_lo, s12
	s_cbranch_vccz .LBB151_2644
; %bb.2643:
	s_cmp_lt_i32 s6, 30
	s_cselect_b32 s8, -1, 0
	s_cmp_gt_i32 s6, 29
	s_cselect_b32 s9, -1, 0
.LBB151_2644:
	s_mov_b32 s12, 0
.LBB151_2645:
	s_delay_alu instid0(SALU_CYCLE_1)
	s_and_b32 vcc_lo, exec_lo, s12
	s_cbranch_vccz .LBB151_2650
; %bb.2646:
	s_cmp_gt_i32 s6, 14
	s_mov_b32 s12, -1
	s_cbranch_scc0 .LBB151_2648
; %bb.2647:
	s_cmp_eq_u32 s6, 15
	s_mov_b32 s12, 0
	s_cselect_b32 s8, -1, 0
	s_cmp_lg_u32 s6, 15
	s_cselect_b32 s9, -1, 0
.LBB151_2648:
	s_and_not1_b32 vcc_lo, exec_lo, s12
	s_cbranch_vccnz .LBB151_2650
; %bb.2649:
	s_cmp_lt_i32 s6, 12
	s_cselect_b32 s8, -1, 0
	s_cmp_gt_i32 s6, 11
	s_cselect_b32 s9, -1, 0
.LBB151_2650:
	s_delay_alu instid0(SALU_CYCLE_1)
	s_and_b32 vcc_lo, exec_lo, s9
	s_cbranch_vccnz .LBB151_2662
; %bb.2651:
	s_and_not1_b32 vcc_lo, exec_lo, s8
	s_cbranch_vccnz .LBB151_3358
.LBB151_2652:
	v_mov_b32_e32 v17, 0
	s_cmp_lt_i32 s4, 11
	s_wait_xcnt 0x0
	s_delay_alu instid0(VALU_DEP_1)
	v_add_nc_u64_e32 v[24:25], s[0:1], v[16:17]
	s_cbranch_scc1 .LBB151_2659
; %bb.2653:
	s_cmp_gt_i32 s4, 25
	s_mov_b32 s1, 0
	s_cbranch_scc0 .LBB151_2660
; %bb.2654:
	s_cmp_gt_i32 s4, 28
	s_cbranch_scc0 .LBB151_2661
; %bb.2655:
	s_cmp_gt_i32 s4, 43
	;; [unrolled: 3-line block ×3, first 2 shown]
	s_cbranch_scc0 .LBB151_2668
; %bb.2657:
	s_cmp_eq_u32 s4, 46
	s_mov_b32 s8, 0
	s_cbranch_scc0 .LBB151_2669
; %bb.2658:
	global_load_b32 v1, v[24:25], off
	s_mov_b32 s0, 0
	s_mov_b32 s6, -1
	s_wait_loadcnt 0x0
	v_and_b32_e32 v17, 0xffff0000, v1
	v_lshlrev_b32_e32 v16, 16, v1
	s_branch .LBB151_2671
.LBB151_2659:
	s_mov_b32 s0, -1
	s_mov_b32 s6, 0
                                        ; implicit-def: $vgpr17
	s_branch .LBB151_2705
.LBB151_2660:
	s_mov_b32 s8, -1
	s_mov_b32 s6, 0
	s_mov_b32 s0, 0
                                        ; implicit-def: $vgpr17
	s_branch .LBB151_2700
.LBB151_2661:
	s_mov_b32 s8, -1
	s_mov_b32 s6, 0
	s_mov_b32 s0, 0
                                        ; implicit-def: $vgpr17
	s_branch .LBB151_2683
.LBB151_2662:
	s_or_b32 s11, s11, exec_lo
	s_trap 2
	s_cbranch_execz .LBB151_2652
	s_branch .LBB151_3358
.LBB151_2663:
	s_mov_b32 s9, -1
	s_mov_b32 s13, exec_lo
	v_cmpx_eq_u16_e32 0x80, v1
; %bb.2664:
	s_xor_b32 s9, exec_lo, -1
; %bb.2665:
	s_or_b32 exec_lo, exec_lo, s13
	s_delay_alu instid0(SALU_CYCLE_1)
	s_and_b32 s9, s9, exec_lo
	s_or_saveexec_b32 s12, s12
	v_mov_b32_e32 v20, 0x7f800001
	s_xor_b32 exec_lo, exec_lo, s12
	s_cbranch_execz .LBB151_2559
.LBB151_2666:
	v_cmp_ne_u16_e32 vcc_lo, 0, v1
	v_mov_b32_e32 v20, 0
	s_and_not1_b32 s9, s9, exec_lo
	s_and_b32 s13, vcc_lo, exec_lo
	s_delay_alu instid0(SALU_CYCLE_1)
	s_or_b32 s9, s9, s13
	s_or_b32 exec_lo, exec_lo, s12
	s_and_saveexec_b32 s12, s9
	s_cbranch_execnz .LBB151_2560
	s_branch .LBB151_2561
.LBB151_2667:
	s_mov_b32 s8, -1
	s_mov_b32 s6, 0
	s_mov_b32 s0, 0
                                        ; implicit-def: $vgpr17
	s_branch .LBB151_2677
.LBB151_2668:
	s_mov_b32 s8, -1
	s_mov_b32 s6, 0
	s_mov_b32 s0, 0
	s_branch .LBB151_2670
.LBB151_2669:
	s_mov_b32 s0, -1
	s_mov_b32 s6, 0
.LBB151_2670:
                                        ; implicit-def: $vgpr17
.LBB151_2671:
	s_and_b32 vcc_lo, exec_lo, s8
	s_cbranch_vccz .LBB151_2676
; %bb.2672:
	s_cmp_eq_u32 s4, 44
	s_cbranch_scc0 .LBB151_2674
; %bb.2673:
	global_load_u8 v1, v[24:25], off
	s_mov_b32 s0, 0
	s_mov_b32 s6, -1
	s_wait_loadcnt 0x0
	v_lshlrev_b32_e32 v3, 23, v1
	v_cmp_ne_u32_e32 vcc_lo, 0xff, v1
	s_delay_alu instid0(VALU_DEP_2) | instskip(SKIP_1) | instid1(VALU_DEP_2)
	v_cndmask_b32_e32 v3, 0x7f800001, v3, vcc_lo
	v_cmp_ne_u32_e32 vcc_lo, 0, v1
	v_cndmask_b32_e32 v16, 0x400000, v3, vcc_lo
	s_branch .LBB151_2675
.LBB151_2674:
	s_mov_b32 s0, -1
                                        ; implicit-def: $vgpr16
.LBB151_2675:
	v_mov_b32_e32 v17, 0
.LBB151_2676:
	s_mov_b32 s8, 0
.LBB151_2677:
	s_delay_alu instid0(SALU_CYCLE_1)
	s_and_b32 vcc_lo, exec_lo, s8
	s_cbranch_vccz .LBB151_2682
; %bb.2678:
	s_cmp_eq_u32 s4, 29
	s_cbranch_scc0 .LBB151_2680
; %bb.2679:
	global_load_b64 v[16:17], v[24:25], off
	s_mov_b32 s0, 0
	s_mov_b32 s6, -1
	s_wait_loadcnt 0x0
	v_clz_i32_u32_e32 v1, v17
	s_delay_alu instid0(VALU_DEP_1) | instskip(NEXT) | instid1(VALU_DEP_1)
	v_min_u32_e32 v1, 32, v1
	v_lshlrev_b64_e32 v[16:17], v1, v[16:17]
	v_sub_nc_u32_e32 v1, 32, v1
	s_delay_alu instid0(VALU_DEP_2) | instskip(NEXT) | instid1(VALU_DEP_1)
	v_min_u32_e32 v3, 1, v16
	v_or_b32_e32 v3, v17, v3
	s_delay_alu instid0(VALU_DEP_1) | instskip(NEXT) | instid1(VALU_DEP_1)
	v_cvt_f32_u32_e32 v3, v3
	v_ldexp_f32 v16, v3, v1
	s_branch .LBB151_2681
.LBB151_2680:
	s_mov_b32 s0, -1
                                        ; implicit-def: $vgpr16
.LBB151_2681:
	v_mov_b32_e32 v17, 0
.LBB151_2682:
	s_mov_b32 s8, 0
.LBB151_2683:
	s_delay_alu instid0(SALU_CYCLE_1)
	s_and_b32 vcc_lo, exec_lo, s8
	s_cbranch_vccz .LBB151_2699
; %bb.2684:
	s_cmp_lt_i32 s4, 27
	s_cbranch_scc1 .LBB151_2687
; %bb.2685:
	s_cmp_gt_i32 s4, 27
	s_cbranch_scc0 .LBB151_2688
; %bb.2686:
	global_load_b32 v1, v[24:25], off
	s_mov_b32 s6, 0
	s_wait_loadcnt 0x0
	v_cvt_f32_u32_e32 v16, v1
	s_branch .LBB151_2689
.LBB151_2687:
	s_mov_b32 s6, -1
                                        ; implicit-def: $vgpr16
	s_branch .LBB151_2692
.LBB151_2688:
	s_mov_b32 s6, -1
                                        ; implicit-def: $vgpr16
.LBB151_2689:
	s_delay_alu instid0(SALU_CYCLE_1)
	s_and_not1_b32 vcc_lo, exec_lo, s6
	s_cbranch_vccnz .LBB151_2691
; %bb.2690:
	global_load_u16 v1, v[24:25], off
	s_wait_loadcnt 0x0
	v_cvt_f32_u32_e32 v16, v1
.LBB151_2691:
	s_mov_b32 s6, 0
.LBB151_2692:
	s_delay_alu instid0(SALU_CYCLE_1)
	s_and_not1_b32 vcc_lo, exec_lo, s6
	s_cbranch_vccnz .LBB151_2698
; %bb.2693:
	global_load_u8 v1, v[24:25], off
	s_mov_b32 s6, 0
	s_mov_b32 s8, exec_lo
	s_wait_loadcnt 0x0
	v_cmpx_lt_i16_e32 0x7f, v1
	s_xor_b32 s8, exec_lo, s8
	s_cbranch_execnz .LBB151_2724
; %bb.2694:
	s_or_saveexec_b32 s8, s8
	v_mov_b32_e32 v16, 0x7f800001
	s_xor_b32 exec_lo, exec_lo, s8
	s_cbranch_execnz .LBB151_2727
.LBB151_2695:
	s_or_b32 exec_lo, exec_lo, s8
	s_and_saveexec_b32 s8, s6
	s_cbranch_execz .LBB151_2697
.LBB151_2696:
	v_and_b32_e32 v3, 0xffff, v1
	s_delay_alu instid0(VALU_DEP_1) | instskip(SKIP_1) | instid1(VALU_DEP_2)
	v_dual_lshlrev_b32 v1, 24, v1 :: v_dual_bitop2_b32 v5, 7, v3 bitop3:0x40
	v_bfe_u32 v16, v3, 3, 4
	v_and_b32_e32 v1, 0x80000000, v1
	s_delay_alu instid0(VALU_DEP_3) | instskip(NEXT) | instid1(VALU_DEP_3)
	v_clz_i32_u32_e32 v7, v5
	v_cmp_eq_u32_e32 vcc_lo, 0, v16
	s_delay_alu instid0(VALU_DEP_2) | instskip(NEXT) | instid1(VALU_DEP_1)
	v_min_u32_e32 v7, 32, v7
	v_subrev_nc_u32_e32 v11, 28, v7
	v_sub_nc_u32_e32 v7, 29, v7
	s_delay_alu instid0(VALU_DEP_2) | instskip(NEXT) | instid1(VALU_DEP_2)
	v_lshlrev_b32_e32 v3, v11, v3
	v_cndmask_b32_e32 v7, v16, v7, vcc_lo
	s_delay_alu instid0(VALU_DEP_2) | instskip(NEXT) | instid1(VALU_DEP_1)
	v_and_b32_e32 v3, 7, v3
	v_cndmask_b32_e32 v3, v5, v3, vcc_lo
	s_delay_alu instid0(VALU_DEP_3) | instskip(NEXT) | instid1(VALU_DEP_2)
	v_lshl_add_u32 v5, v7, 23, 0x3b800000
	v_lshlrev_b32_e32 v3, 20, v3
	s_delay_alu instid0(VALU_DEP_1)
	v_or3_b32 v16, v1, v5, v3
.LBB151_2697:
	s_or_b32 exec_lo, exec_lo, s8
.LBB151_2698:
	v_mov_b32_e32 v17, 0
	s_mov_b32 s6, -1
.LBB151_2699:
	s_mov_b32 s8, 0
.LBB151_2700:
	s_delay_alu instid0(SALU_CYCLE_1)
	s_and_b32 vcc_lo, exec_lo, s8
	s_cbranch_vccnz .LBB151_2711
; %bb.2701:
	s_and_b32 vcc_lo, exec_lo, s0
	s_cbranch_vccnz .LBB151_2772
.LBB151_2702:
	s_and_not1_b32 vcc_lo, exec_lo, s1
	s_cbranch_vccnz .LBB151_2704
.LBB151_2703:
	global_load_u8 v1, v[24:25], off
	v_mov_b32_e32 v17, 0
	s_mov_b32 s6, -1
	s_wait_loadcnt 0x0
	v_cmp_ne_u16_e32 vcc_lo, 0, v1
	v_cndmask_b32_e64 v16, 0, 1.0, vcc_lo
.LBB151_2704:
	s_mov_b32 s0, 0
.LBB151_2705:
	s_delay_alu instid0(SALU_CYCLE_1)
	s_and_b32 vcc_lo, exec_lo, s0
	s_cbranch_vccz .LBB151_2788
; %bb.2706:
	s_cmp_lt_i32 s4, 5
	s_cbranch_scc1 .LBB151_2719
; %bb.2707:
	s_cmp_lt_i32 s4, 8
	s_cbranch_scc1 .LBB151_2720
	;; [unrolled: 3-line block ×3, first 2 shown]
; %bb.2709:
	s_cmp_gt_i32 s4, 9
	s_cbranch_scc0 .LBB151_2728
; %bb.2710:
	global_load_b128 v[26:29], v[24:25], off
	s_mov_b32 s0, 0
	s_wait_loadcnt 0x0
	v_cvt_f32_f64_e32 v16, v[26:27]
	v_cvt_f32_f64_e32 v17, v[28:29]
	s_branch .LBB151_2729
.LBB151_2711:
	s_cmp_gt_i32 s4, 22
	s_cbranch_scc0 .LBB151_2721
; %bb.2712:
	s_cmp_lt_i32 s4, 24
	s_cbranch_scc1 .LBB151_2723
; %bb.2713:
	s_cmp_gt_i32 s4, 24
	s_cbranch_scc0 .LBB151_2740
; %bb.2714:
	global_load_u8 v1, v[24:25], off
	s_mov_b32 s6, exec_lo
	s_wait_loadcnt 0x0
	v_cmpx_lt_i16_e32 0x7f, v1
	s_xor_b32 s6, exec_lo, s6
	s_cbranch_execnz .LBB151_2800
; %bb.2715:
	s_or_saveexec_b32 s6, s6
	v_mov_b32_e32 v16, 0x7f800001
	s_xor_b32 exec_lo, exec_lo, s6
	s_cbranch_execnz .LBB151_2803
.LBB151_2716:
	s_or_b32 exec_lo, exec_lo, s6
	s_and_saveexec_b32 s6, s1
	s_cbranch_execz .LBB151_2718
.LBB151_2717:
	v_and_b32_e32 v3, 0xffff, v1
	s_delay_alu instid0(VALU_DEP_1) | instskip(SKIP_1) | instid1(VALU_DEP_2)
	v_dual_lshlrev_b32 v1, 24, v1 :: v_dual_bitop2_b32 v5, 3, v3 bitop3:0x40
	v_bfe_u32 v16, v3, 2, 5
	v_and_b32_e32 v1, 0x80000000, v1
	s_delay_alu instid0(VALU_DEP_3) | instskip(NEXT) | instid1(VALU_DEP_3)
	v_clz_i32_u32_e32 v7, v5
	v_cmp_eq_u32_e32 vcc_lo, 0, v16
	s_delay_alu instid0(VALU_DEP_2) | instskip(NEXT) | instid1(VALU_DEP_1)
	v_min_u32_e32 v7, 32, v7
	v_subrev_nc_u32_e32 v11, 29, v7
	v_sub_nc_u32_e32 v7, 30, v7
	s_delay_alu instid0(VALU_DEP_2) | instskip(NEXT) | instid1(VALU_DEP_2)
	v_lshlrev_b32_e32 v3, v11, v3
	v_cndmask_b32_e32 v7, v16, v7, vcc_lo
	s_delay_alu instid0(VALU_DEP_2) | instskip(NEXT) | instid1(VALU_DEP_1)
	v_and_b32_e32 v3, 3, v3
	v_cndmask_b32_e32 v3, v5, v3, vcc_lo
	s_delay_alu instid0(VALU_DEP_3) | instskip(NEXT) | instid1(VALU_DEP_2)
	v_lshl_add_u32 v5, v7, 23, 0x37800000
	v_lshlrev_b32_e32 v3, 21, v3
	s_delay_alu instid0(VALU_DEP_1)
	v_or3_b32 v16, v1, v5, v3
.LBB151_2718:
	s_or_b32 exec_lo, exec_lo, s6
	s_mov_b32 s1, 0
	s_branch .LBB151_2741
.LBB151_2719:
	s_mov_b32 s0, -1
                                        ; implicit-def: $vgpr17
	s_branch .LBB151_2760
.LBB151_2720:
	s_mov_b32 s0, -1
                                        ; implicit-def: $vgpr17
	s_branch .LBB151_2735
.LBB151_2721:
	s_mov_b32 s1, -1
                                        ; implicit-def: $vgpr16
	s_branch .LBB151_2747
.LBB151_2722:
	s_mov_b32 s0, -1
                                        ; implicit-def: $vgpr17
	s_branch .LBB151_2732
.LBB151_2723:
	s_mov_b32 s1, -1
                                        ; implicit-def: $vgpr16
	s_branch .LBB151_2744
.LBB151_2724:
	s_mov_b32 s6, -1
	s_mov_b32 s9, exec_lo
	v_cmpx_eq_u16_e32 0x80, v1
; %bb.2725:
	s_xor_b32 s6, exec_lo, -1
; %bb.2726:
	s_or_b32 exec_lo, exec_lo, s9
	s_delay_alu instid0(SALU_CYCLE_1)
	s_and_b32 s6, s6, exec_lo
	s_or_saveexec_b32 s8, s8
	v_mov_b32_e32 v16, 0x7f800001
	s_xor_b32 exec_lo, exec_lo, s8
	s_cbranch_execz .LBB151_2695
.LBB151_2727:
	v_cmp_ne_u16_e32 vcc_lo, 0, v1
	v_mov_b32_e32 v16, 0
	s_and_not1_b32 s6, s6, exec_lo
	s_and_b32 s9, vcc_lo, exec_lo
	s_delay_alu instid0(SALU_CYCLE_1)
	s_or_b32 s6, s6, s9
	s_or_b32 exec_lo, exec_lo, s8
	s_and_saveexec_b32 s8, s6
	s_cbranch_execnz .LBB151_2696
	s_branch .LBB151_2697
.LBB151_2728:
	s_mov_b32 s0, -1
                                        ; implicit-def: $vgpr17
.LBB151_2729:
	s_delay_alu instid0(SALU_CYCLE_1)
	s_and_not1_b32 vcc_lo, exec_lo, s0
	s_cbranch_vccnz .LBB151_2731
; %bb.2730:
	global_load_b64 v[16:17], v[24:25], off
.LBB151_2731:
	s_mov_b32 s0, 0
.LBB151_2732:
	s_delay_alu instid0(SALU_CYCLE_1)
	s_and_not1_b32 vcc_lo, exec_lo, s0
	s_cbranch_vccnz .LBB151_2734
; %bb.2733:
	global_load_b32 v1, v[24:25], off
	s_wait_loadcnt 0x0
	v_lshrrev_b32_e32 v3, 16, v1
	v_cvt_f32_f16_e32 v16, v1
	s_delay_alu instid0(VALU_DEP_2)
	v_cvt_f32_f16_e32 v17, v3
.LBB151_2734:
	s_mov_b32 s0, 0
.LBB151_2735:
	s_delay_alu instid0(SALU_CYCLE_1)
	s_and_not1_b32 vcc_lo, exec_lo, s0
	s_cbranch_vccnz .LBB151_2759
; %bb.2736:
	s_cmp_lt_i32 s4, 6
	s_cbranch_scc1 .LBB151_2739
; %bb.2737:
	s_cmp_gt_i32 s4, 6
	s_cbranch_scc0 .LBB151_2752
; %bb.2738:
	s_wait_loadcnt 0x0
	global_load_b64 v[16:17], v[24:25], off
	s_mov_b32 s0, 0
	s_wait_loadcnt 0x0
	v_cvt_f32_f64_e32 v16, v[16:17]
	s_branch .LBB151_2753
.LBB151_2739:
	s_mov_b32 s0, -1
                                        ; implicit-def: $vgpr16
	s_branch .LBB151_2756
.LBB151_2740:
	s_mov_b32 s1, -1
                                        ; implicit-def: $vgpr16
.LBB151_2741:
	s_delay_alu instid0(SALU_CYCLE_1)
	s_and_b32 vcc_lo, exec_lo, s1
	s_cbranch_vccz .LBB151_2743
; %bb.2742:
	global_load_u8 v1, v[24:25], off
	s_wait_loadcnt 0x0
	v_lshlrev_b32_e32 v1, 24, v1
	s_delay_alu instid0(VALU_DEP_1) | instskip(NEXT) | instid1(VALU_DEP_1)
	v_and_b32_e32 v3, 0x7f000000, v1
	v_clz_i32_u32_e32 v5, v3
	v_add_nc_u32_e32 v11, 0x1000000, v3
	v_cmp_ne_u32_e32 vcc_lo, 0, v3
	s_delay_alu instid0(VALU_DEP_3) | instskip(NEXT) | instid1(VALU_DEP_1)
	v_min_u32_e32 v5, 32, v5
	v_sub_nc_u32_e64 v5, v5, 4 clamp
	s_delay_alu instid0(VALU_DEP_1) | instskip(NEXT) | instid1(VALU_DEP_1)
	v_dual_lshlrev_b32 v7, v5, v3 :: v_dual_lshlrev_b32 v5, 23, v5
	v_lshrrev_b32_e32 v7, 4, v7
	s_delay_alu instid0(VALU_DEP_1) | instskip(NEXT) | instid1(VALU_DEP_1)
	v_dual_sub_nc_u32 v5, v7, v5 :: v_dual_ashrrev_i32 v7, 8, v11
	v_add_nc_u32_e32 v5, 0x3c000000, v5
	s_delay_alu instid0(VALU_DEP_1) | instskip(NEXT) | instid1(VALU_DEP_1)
	v_and_or_b32 v5, 0x7f800000, v7, v5
	v_cndmask_b32_e32 v3, 0, v5, vcc_lo
	s_delay_alu instid0(VALU_DEP_1)
	v_and_or_b32 v16, 0x80000000, v1, v3
.LBB151_2743:
	s_mov_b32 s1, 0
.LBB151_2744:
	s_delay_alu instid0(SALU_CYCLE_1)
	s_and_not1_b32 vcc_lo, exec_lo, s1
	s_cbranch_vccnz .LBB151_2746
; %bb.2745:
	global_load_u8 v1, v[24:25], off
	s_wait_loadcnt 0x0
	v_lshlrev_b32_e32 v3, 25, v1
	v_lshlrev_b16 v1, 8, v1
	s_delay_alu instid0(VALU_DEP_1) | instskip(SKIP_1) | instid1(VALU_DEP_2)
	v_and_or_b32 v7, 0x7f00, v1, 0.5
	v_bfe_i32 v1, v1, 0, 16
	v_add_f32_e32 v7, -0.5, v7
	v_lshrrev_b32_e32 v5, 4, v3
	v_cmp_gt_u32_e32 vcc_lo, 0x8000000, v3
	s_delay_alu instid0(VALU_DEP_2) | instskip(NEXT) | instid1(VALU_DEP_1)
	v_or_b32_e32 v5, 0x70000000, v5
	v_mul_f32_e32 v5, 0x7800000, v5
	s_delay_alu instid0(VALU_DEP_1) | instskip(NEXT) | instid1(VALU_DEP_1)
	v_cndmask_b32_e32 v3, v5, v7, vcc_lo
	v_and_or_b32 v16, 0x80000000, v1, v3
.LBB151_2746:
	s_mov_b32 s1, 0
	s_mov_b32 s6, -1
.LBB151_2747:
	s_and_not1_b32 vcc_lo, exec_lo, s1
	s_mov_b32 s1, 0
	s_cbranch_vccnz .LBB151_2771
; %bb.2748:
	s_cmp_gt_i32 s4, 14
	s_cbranch_scc0 .LBB151_2751
; %bb.2749:
	s_cmp_eq_u32 s4, 15
	s_cbranch_scc0 .LBB151_2767
; %bb.2750:
	global_load_u16 v1, v[24:25], off
	s_mov_b32 s0, 0
	s_mov_b32 s6, -1
	s_wait_loadcnt 0x0
	v_lshlrev_b32_e32 v16, 16, v1
	s_branch .LBB151_2769
.LBB151_2751:
	s_mov_b32 s1, -1
	s_branch .LBB151_2768
.LBB151_2752:
	s_mov_b32 s0, -1
                                        ; implicit-def: $vgpr16
.LBB151_2753:
	s_delay_alu instid0(SALU_CYCLE_1)
	s_and_not1_b32 vcc_lo, exec_lo, s0
	s_cbranch_vccnz .LBB151_2755
; %bb.2754:
	s_wait_loadcnt 0x0
	global_load_b32 v16, v[24:25], off
.LBB151_2755:
	s_mov_b32 s0, 0
.LBB151_2756:
	s_delay_alu instid0(SALU_CYCLE_1)
	s_and_not1_b32 vcc_lo, exec_lo, s0
	s_cbranch_vccnz .LBB151_2758
; %bb.2757:
	global_load_u16 v1, v[24:25], off
	s_wait_loadcnt 0x0
	v_cvt_f32_f16_e32 v16, v1
.LBB151_2758:
	s_wait_loadcnt 0x0
	v_mov_b32_e32 v17, 0
.LBB151_2759:
	s_mov_b32 s0, 0
.LBB151_2760:
	s_delay_alu instid0(SALU_CYCLE_1)
	s_and_not1_b32 vcc_lo, exec_lo, s0
	s_cbranch_vccnz .LBB151_2787
; %bb.2761:
	s_cmp_lt_i32 s4, 2
	s_cbranch_scc1 .LBB151_2765
; %bb.2762:
	s_cmp_lt_i32 s4, 3
	s_cbranch_scc1 .LBB151_2766
; %bb.2763:
	s_cmp_gt_i32 s4, 3
	s_cbranch_scc0 .LBB151_2773
; %bb.2764:
	s_wait_loadcnt 0x0
	global_load_b64 v[16:17], v[24:25], off
	s_mov_b32 s0, 0
	s_wait_loadcnt 0x0
	v_xor_b32_e32 v1, v16, v17
	v_cls_i32_e32 v3, v17
	s_delay_alu instid0(VALU_DEP_2) | instskip(NEXT) | instid1(VALU_DEP_1)
	v_ashrrev_i32_e32 v1, 31, v1
	v_add_nc_u32_e32 v1, 32, v1
	s_delay_alu instid0(VALU_DEP_1) | instskip(NEXT) | instid1(VALU_DEP_1)
	v_add_min_u32_e64 v1, v3, -1, v1
	v_lshlrev_b64_e32 v[16:17], v1, v[16:17]
	v_sub_nc_u32_e32 v1, 32, v1
	s_delay_alu instid0(VALU_DEP_2) | instskip(NEXT) | instid1(VALU_DEP_1)
	v_min_u32_e32 v3, 1, v16
	v_or_b32_e32 v3, v17, v3
	s_delay_alu instid0(VALU_DEP_1) | instskip(NEXT) | instid1(VALU_DEP_1)
	v_cvt_f32_i32_e32 v3, v3
	v_ldexp_f32 v16, v3, v1
	s_branch .LBB151_2774
.LBB151_2765:
	s_mov_b32 s0, -1
                                        ; implicit-def: $vgpr16
	s_branch .LBB151_2780
.LBB151_2766:
	s_mov_b32 s0, -1
                                        ; implicit-def: $vgpr16
	s_branch .LBB151_2777
.LBB151_2767:
	s_mov_b32 s0, -1
.LBB151_2768:
                                        ; implicit-def: $vgpr16
.LBB151_2769:
	s_and_b32 vcc_lo, exec_lo, s1
	s_mov_b32 s1, 0
	s_cbranch_vccz .LBB151_2771
; %bb.2770:
	s_cmp_lg_u32 s4, 11
	s_mov_b32 s1, -1
	s_cselect_b32 s0, -1, 0
.LBB151_2771:
	v_mov_b32_e32 v17, 0
	s_and_b32 vcc_lo, exec_lo, s0
	s_cbranch_vccz .LBB151_2702
.LBB151_2772:
	s_or_b32 s11, s11, exec_lo
	s_trap 2
	s_cbranch_execz .LBB151_2703
	s_branch .LBB151_2704
.LBB151_2773:
	s_mov_b32 s0, -1
                                        ; implicit-def: $vgpr16
.LBB151_2774:
	s_delay_alu instid0(SALU_CYCLE_1)
	s_and_not1_b32 vcc_lo, exec_lo, s0
	s_cbranch_vccnz .LBB151_2776
; %bb.2775:
	global_load_b32 v1, v[24:25], off
	s_wait_loadcnt 0x0
	v_cvt_f32_i32_e32 v16, v1
.LBB151_2776:
	s_mov_b32 s0, 0
.LBB151_2777:
	s_delay_alu instid0(SALU_CYCLE_1)
	s_and_not1_b32 vcc_lo, exec_lo, s0
	s_cbranch_vccnz .LBB151_2779
; %bb.2778:
	global_load_i16 v1, v[24:25], off
	s_wait_loadcnt 0x0
	v_cvt_f32_i32_e32 v16, v1
.LBB151_2779:
	s_mov_b32 s0, 0
.LBB151_2780:
	s_delay_alu instid0(SALU_CYCLE_1)
	s_and_not1_b32 vcc_lo, exec_lo, s0
	s_cbranch_vccnz .LBB151_2786
; %bb.2781:
	s_cmp_gt_i32 s4, 0
	s_mov_b32 s0, 0
	s_cbranch_scc0 .LBB151_2783
; %bb.2782:
	global_load_i8 v1, v[24:25], off
	s_wait_loadcnt 0x0
	v_cvt_f32_i32_e32 v16, v1
	s_branch .LBB151_2784
.LBB151_2783:
	s_mov_b32 s0, -1
                                        ; implicit-def: $vgpr16
.LBB151_2784:
	s_delay_alu instid0(SALU_CYCLE_1)
	s_and_not1_b32 vcc_lo, exec_lo, s0
	s_cbranch_vccnz .LBB151_2786
; %bb.2785:
	global_load_u8 v1, v[24:25], off
	s_wait_loadcnt 0x0
	v_cvt_f32_ubyte0_e32 v16, v1
.LBB151_2786:
	s_wait_loadcnt 0x0
	v_mov_b32_e32 v17, 0
.LBB151_2787:
	s_mov_b32 s6, -1
.LBB151_2788:
	s_delay_alu instid0(SALU_CYCLE_1)
	s_and_not1_b32 vcc_lo, exec_lo, s6
	s_cbranch_vccnz .LBB151_3358
; %bb.2789:
	v_mov_b32_e32 v11, 0
	s_cmp_lt_i32 s5, 11
	s_wait_xcnt 0x0
	s_delay_alu instid0(VALU_DEP_1)
	v_add_nc_u64_e32 v[24:25], s[2:3], v[10:11]
	s_cbranch_scc1 .LBB151_2796
; %bb.2790:
	s_cmp_gt_i32 s5, 25
	s_mov_b32 s1, 0
	s_cbranch_scc0 .LBB151_2797
; %bb.2791:
	s_cmp_gt_i32 s5, 28
	s_cbranch_scc0 .LBB151_2798
; %bb.2792:
	s_cmp_gt_i32 s5, 43
	;; [unrolled: 3-line block ×3, first 2 shown]
	s_cbranch_scc0 .LBB151_2804
; %bb.2794:
	s_cmp_eq_u32 s5, 46
	s_mov_b32 s3, 0
	s_cbranch_scc0 .LBB151_2805
; %bb.2795:
	global_load_b32 v1, v[24:25], off
	s_mov_b32 s0, 0
	s_mov_b32 s2, -1
	s_wait_loadcnt 0x0
	v_and_b32_e32 v11, 0xffff0000, v1
	v_lshlrev_b32_e32 v10, 16, v1
	s_branch .LBB151_2807
.LBB151_2796:
	s_mov_b32 s0, -1
	s_mov_b32 s2, 0
                                        ; implicit-def: $vgpr11
	s_branch .LBB151_2841
.LBB151_2797:
	s_mov_b32 s3, -1
	s_mov_b32 s2, 0
	s_mov_b32 s0, 0
                                        ; implicit-def: $vgpr11
	s_branch .LBB151_2836
.LBB151_2798:
	s_mov_b32 s3, -1
	s_mov_b32 s2, 0
	s_mov_b32 s0, 0
                                        ; implicit-def: $vgpr11
	s_branch .LBB151_2819
.LBB151_2799:
	s_mov_b32 s3, -1
	s_mov_b32 s2, 0
	s_mov_b32 s0, 0
                                        ; implicit-def: $vgpr11
	s_branch .LBB151_2813
.LBB151_2800:
	s_mov_b32 s1, -1
	s_mov_b32 s8, exec_lo
	v_cmpx_eq_u16_e32 0x80, v1
; %bb.2801:
	s_xor_b32 s1, exec_lo, -1
; %bb.2802:
	s_or_b32 exec_lo, exec_lo, s8
	s_delay_alu instid0(SALU_CYCLE_1)
	s_and_b32 s1, s1, exec_lo
	s_or_saveexec_b32 s6, s6
	v_mov_b32_e32 v16, 0x7f800001
	s_xor_b32 exec_lo, exec_lo, s6
	s_cbranch_execz .LBB151_2716
.LBB151_2803:
	v_cmp_ne_u16_e32 vcc_lo, 0, v1
	v_mov_b32_e32 v16, 0
	s_and_not1_b32 s1, s1, exec_lo
	s_and_b32 s8, vcc_lo, exec_lo
	s_delay_alu instid0(SALU_CYCLE_1)
	s_or_b32 s1, s1, s8
	s_or_b32 exec_lo, exec_lo, s6
	s_and_saveexec_b32 s6, s1
	s_cbranch_execnz .LBB151_2717
	s_branch .LBB151_2718
.LBB151_2804:
	s_mov_b32 s3, -1
	s_mov_b32 s2, 0
	s_mov_b32 s0, 0
	s_branch .LBB151_2806
.LBB151_2805:
	s_mov_b32 s0, -1
	s_mov_b32 s2, 0
.LBB151_2806:
                                        ; implicit-def: $vgpr11
.LBB151_2807:
	s_and_b32 vcc_lo, exec_lo, s3
	s_cbranch_vccz .LBB151_2812
; %bb.2808:
	s_cmp_eq_u32 s5, 44
	s_cbranch_scc0 .LBB151_2810
; %bb.2809:
	global_load_u8 v1, v[24:25], off
	s_mov_b32 s0, 0
	s_mov_b32 s2, -1
	s_wait_loadcnt 0x0
	v_lshlrev_b32_e32 v3, 23, v1
	v_cmp_ne_u32_e32 vcc_lo, 0xff, v1
	s_delay_alu instid0(VALU_DEP_2) | instskip(SKIP_1) | instid1(VALU_DEP_2)
	v_cndmask_b32_e32 v3, 0x7f800001, v3, vcc_lo
	v_cmp_ne_u32_e32 vcc_lo, 0, v1
	v_cndmask_b32_e32 v10, 0x400000, v3, vcc_lo
	s_branch .LBB151_2811
.LBB151_2810:
	s_mov_b32 s0, -1
                                        ; implicit-def: $vgpr10
.LBB151_2811:
	v_mov_b32_e32 v11, 0
.LBB151_2812:
	s_mov_b32 s3, 0
.LBB151_2813:
	s_delay_alu instid0(SALU_CYCLE_1)
	s_and_b32 vcc_lo, exec_lo, s3
	s_cbranch_vccz .LBB151_2818
; %bb.2814:
	s_cmp_eq_u32 s5, 29
	s_cbranch_scc0 .LBB151_2816
; %bb.2815:
	global_load_b64 v[10:11], v[24:25], off
	s_mov_b32 s0, 0
	s_mov_b32 s2, -1
	s_wait_loadcnt 0x0
	v_clz_i32_u32_e32 v1, v11
	s_delay_alu instid0(VALU_DEP_1) | instskip(NEXT) | instid1(VALU_DEP_1)
	v_min_u32_e32 v1, 32, v1
	v_lshlrev_b64_e32 v[10:11], v1, v[10:11]
	v_sub_nc_u32_e32 v1, 32, v1
	s_delay_alu instid0(VALU_DEP_2) | instskip(NEXT) | instid1(VALU_DEP_1)
	v_min_u32_e32 v3, 1, v10
	v_or_b32_e32 v3, v11, v3
	s_delay_alu instid0(VALU_DEP_1) | instskip(NEXT) | instid1(VALU_DEP_1)
	v_cvt_f32_u32_e32 v3, v3
	v_ldexp_f32 v10, v3, v1
	s_branch .LBB151_2817
.LBB151_2816:
	s_mov_b32 s0, -1
                                        ; implicit-def: $vgpr10
.LBB151_2817:
	v_mov_b32_e32 v11, 0
.LBB151_2818:
	s_mov_b32 s3, 0
.LBB151_2819:
	s_delay_alu instid0(SALU_CYCLE_1)
	s_and_b32 vcc_lo, exec_lo, s3
	s_cbranch_vccz .LBB151_2835
; %bb.2820:
	s_cmp_lt_i32 s5, 27
	s_cbranch_scc1 .LBB151_2823
; %bb.2821:
	s_cmp_gt_i32 s5, 27
	s_cbranch_scc0 .LBB151_2824
; %bb.2822:
	global_load_b32 v1, v[24:25], off
	s_mov_b32 s2, 0
	s_wait_loadcnt 0x0
	v_cvt_f32_u32_e32 v10, v1
	s_branch .LBB151_2825
.LBB151_2823:
	s_mov_b32 s2, -1
                                        ; implicit-def: $vgpr10
	s_branch .LBB151_2828
.LBB151_2824:
	s_mov_b32 s2, -1
                                        ; implicit-def: $vgpr10
.LBB151_2825:
	s_delay_alu instid0(SALU_CYCLE_1)
	s_and_not1_b32 vcc_lo, exec_lo, s2
	s_cbranch_vccnz .LBB151_2827
; %bb.2826:
	global_load_u16 v1, v[24:25], off
	s_wait_loadcnt 0x0
	v_cvt_f32_u32_e32 v10, v1
.LBB151_2827:
	s_mov_b32 s2, 0
.LBB151_2828:
	s_delay_alu instid0(SALU_CYCLE_1)
	s_and_not1_b32 vcc_lo, exec_lo, s2
	s_cbranch_vccnz .LBB151_2834
; %bb.2829:
	global_load_u8 v1, v[24:25], off
	s_mov_b32 s2, 0
	s_mov_b32 s3, exec_lo
	s_wait_loadcnt 0x0
	v_cmpx_lt_i16_e32 0x7f, v1
	s_xor_b32 s3, exec_lo, s3
	s_cbranch_execnz .LBB151_2860
; %bb.2830:
	s_or_saveexec_b32 s3, s3
	v_mov_b32_e32 v10, 0x7f800001
	s_xor_b32 exec_lo, exec_lo, s3
	s_cbranch_execnz .LBB151_2863
.LBB151_2831:
	s_or_b32 exec_lo, exec_lo, s3
	s_and_saveexec_b32 s3, s2
	s_cbranch_execz .LBB151_2833
.LBB151_2832:
	v_and_b32_e32 v3, 0xffff, v1
	s_delay_alu instid0(VALU_DEP_1) | instskip(SKIP_1) | instid1(VALU_DEP_2)
	v_dual_lshlrev_b32 v1, 24, v1 :: v_dual_bitop2_b32 v5, 7, v3 bitop3:0x40
	v_bfe_u32 v11, v3, 3, 4
	v_and_b32_e32 v1, 0x80000000, v1
	s_delay_alu instid0(VALU_DEP_3) | instskip(NEXT) | instid1(VALU_DEP_3)
	v_clz_i32_u32_e32 v7, v5
	v_cmp_eq_u32_e32 vcc_lo, 0, v11
	s_delay_alu instid0(VALU_DEP_2) | instskip(NEXT) | instid1(VALU_DEP_1)
	v_min_u32_e32 v7, 32, v7
	v_subrev_nc_u32_e32 v10, 28, v7
	v_sub_nc_u32_e32 v7, 29, v7
	s_delay_alu instid0(VALU_DEP_2) | instskip(NEXT) | instid1(VALU_DEP_2)
	v_lshlrev_b32_e32 v3, v10, v3
	v_cndmask_b32_e32 v7, v11, v7, vcc_lo
	s_delay_alu instid0(VALU_DEP_2) | instskip(NEXT) | instid1(VALU_DEP_1)
	v_and_b32_e32 v3, 7, v3
	v_cndmask_b32_e32 v3, v5, v3, vcc_lo
	s_delay_alu instid0(VALU_DEP_3) | instskip(NEXT) | instid1(VALU_DEP_2)
	v_lshl_add_u32 v5, v7, 23, 0x3b800000
	v_lshlrev_b32_e32 v3, 20, v3
	s_delay_alu instid0(VALU_DEP_1)
	v_or3_b32 v10, v1, v5, v3
.LBB151_2833:
	s_or_b32 exec_lo, exec_lo, s3
.LBB151_2834:
	v_mov_b32_e32 v11, 0
	s_mov_b32 s2, -1
.LBB151_2835:
	s_mov_b32 s3, 0
.LBB151_2836:
	s_delay_alu instid0(SALU_CYCLE_1)
	s_and_b32 vcc_lo, exec_lo, s3
	s_cbranch_vccnz .LBB151_2847
; %bb.2837:
	s_and_b32 vcc_lo, exec_lo, s0
	s_cbranch_vccnz .LBB151_2908
.LBB151_2838:
	s_and_not1_b32 vcc_lo, exec_lo, s1
	s_cbranch_vccnz .LBB151_2840
.LBB151_2839:
	global_load_u8 v1, v[24:25], off
	v_mov_b32_e32 v11, 0
	s_mov_b32 s2, -1
	s_wait_loadcnt 0x0
	v_cmp_ne_u16_e32 vcc_lo, 0, v1
	v_cndmask_b32_e64 v10, 0, 1.0, vcc_lo
.LBB151_2840:
	s_mov_b32 s0, 0
.LBB151_2841:
	s_delay_alu instid0(SALU_CYCLE_1)
	s_and_b32 vcc_lo, exec_lo, s0
	s_cbranch_vccz .LBB151_2924
; %bb.2842:
	s_cmp_lt_i32 s5, 5
	s_cbranch_scc1 .LBB151_2855
; %bb.2843:
	s_cmp_lt_i32 s5, 8
	s_cbranch_scc1 .LBB151_2856
	;; [unrolled: 3-line block ×3, first 2 shown]
; %bb.2845:
	s_cmp_gt_i32 s5, 9
	s_cbranch_scc0 .LBB151_2864
; %bb.2846:
	global_load_b128 v[26:29], v[24:25], off
	s_mov_b32 s0, 0
	s_wait_loadcnt 0x0
	v_cvt_f32_f64_e32 v10, v[26:27]
	v_cvt_f32_f64_e32 v11, v[28:29]
	s_branch .LBB151_2865
.LBB151_2847:
	s_cmp_gt_i32 s5, 22
	s_cbranch_scc0 .LBB151_2857
; %bb.2848:
	s_cmp_lt_i32 s5, 24
	s_cbranch_scc1 .LBB151_2859
; %bb.2849:
	s_cmp_gt_i32 s5, 24
	s_cbranch_scc0 .LBB151_2876
; %bb.2850:
	global_load_u8 v1, v[24:25], off
	s_mov_b32 s2, exec_lo
	s_wait_loadcnt 0x0
	v_cmpx_lt_i16_e32 0x7f, v1
	s_xor_b32 s2, exec_lo, s2
	s_cbranch_execnz .LBB151_3404
; %bb.2851:
	s_or_saveexec_b32 s2, s2
	v_mov_b32_e32 v10, 0x7f800001
	s_xor_b32 exec_lo, exec_lo, s2
	s_cbranch_execnz .LBB151_3407
.LBB151_2852:
	s_or_b32 exec_lo, exec_lo, s2
	s_and_saveexec_b32 s2, s1
	s_cbranch_execz .LBB151_2854
.LBB151_2853:
	v_and_b32_e32 v3, 0xffff, v1
	s_delay_alu instid0(VALU_DEP_1) | instskip(SKIP_1) | instid1(VALU_DEP_2)
	v_dual_lshlrev_b32 v1, 24, v1 :: v_dual_bitop2_b32 v5, 3, v3 bitop3:0x40
	v_bfe_u32 v11, v3, 2, 5
	v_and_b32_e32 v1, 0x80000000, v1
	s_delay_alu instid0(VALU_DEP_3) | instskip(NEXT) | instid1(VALU_DEP_3)
	v_clz_i32_u32_e32 v7, v5
	v_cmp_eq_u32_e32 vcc_lo, 0, v11
	s_delay_alu instid0(VALU_DEP_2) | instskip(NEXT) | instid1(VALU_DEP_1)
	v_min_u32_e32 v7, 32, v7
	v_subrev_nc_u32_e32 v10, 29, v7
	v_sub_nc_u32_e32 v7, 30, v7
	s_delay_alu instid0(VALU_DEP_2) | instskip(NEXT) | instid1(VALU_DEP_2)
	v_lshlrev_b32_e32 v3, v10, v3
	v_cndmask_b32_e32 v7, v11, v7, vcc_lo
	s_delay_alu instid0(VALU_DEP_2) | instskip(NEXT) | instid1(VALU_DEP_1)
	v_and_b32_e32 v3, 3, v3
	v_cndmask_b32_e32 v3, v5, v3, vcc_lo
	s_delay_alu instid0(VALU_DEP_3) | instskip(NEXT) | instid1(VALU_DEP_2)
	v_lshl_add_u32 v5, v7, 23, 0x37800000
	v_lshlrev_b32_e32 v3, 21, v3
	s_delay_alu instid0(VALU_DEP_1)
	v_or3_b32 v10, v1, v5, v3
.LBB151_2854:
	s_or_b32 exec_lo, exec_lo, s2
	s_mov_b32 s1, 0
	s_branch .LBB151_2877
.LBB151_2855:
	s_mov_b32 s0, -1
                                        ; implicit-def: $vgpr11
	s_branch .LBB151_2896
.LBB151_2856:
	s_mov_b32 s0, -1
                                        ; implicit-def: $vgpr11
	s_branch .LBB151_2871
.LBB151_2857:
	s_mov_b32 s1, -1
                                        ; implicit-def: $vgpr10
	s_branch .LBB151_2883
.LBB151_2858:
	s_mov_b32 s0, -1
                                        ; implicit-def: $vgpr11
	s_branch .LBB151_2868
.LBB151_2859:
	s_mov_b32 s1, -1
                                        ; implicit-def: $vgpr10
	s_branch .LBB151_2880
.LBB151_2860:
	s_mov_b32 s2, -1
	s_mov_b32 s4, exec_lo
	v_cmpx_eq_u16_e32 0x80, v1
; %bb.2861:
	s_xor_b32 s2, exec_lo, -1
; %bb.2862:
	s_or_b32 exec_lo, exec_lo, s4
	s_delay_alu instid0(SALU_CYCLE_1)
	s_and_b32 s2, s2, exec_lo
	s_or_saveexec_b32 s3, s3
	v_mov_b32_e32 v10, 0x7f800001
	s_xor_b32 exec_lo, exec_lo, s3
	s_cbranch_execz .LBB151_2831
.LBB151_2863:
	v_cmp_ne_u16_e32 vcc_lo, 0, v1
	v_mov_b32_e32 v10, 0
	s_and_not1_b32 s2, s2, exec_lo
	s_and_b32 s4, vcc_lo, exec_lo
	s_delay_alu instid0(SALU_CYCLE_1)
	s_or_b32 s2, s2, s4
	s_or_b32 exec_lo, exec_lo, s3
	s_and_saveexec_b32 s3, s2
	s_cbranch_execnz .LBB151_2832
	s_branch .LBB151_2833
.LBB151_2864:
	s_mov_b32 s0, -1
                                        ; implicit-def: $vgpr11
.LBB151_2865:
	s_delay_alu instid0(SALU_CYCLE_1)
	s_and_not1_b32 vcc_lo, exec_lo, s0
	s_cbranch_vccnz .LBB151_2867
; %bb.2866:
	global_load_b64 v[10:11], v[24:25], off
.LBB151_2867:
	s_mov_b32 s0, 0
.LBB151_2868:
	s_delay_alu instid0(SALU_CYCLE_1)
	s_and_not1_b32 vcc_lo, exec_lo, s0
	s_cbranch_vccnz .LBB151_2870
; %bb.2869:
	global_load_b32 v1, v[24:25], off
	s_wait_loadcnt 0x0
	v_lshrrev_b32_e32 v3, 16, v1
	v_cvt_f32_f16_e32 v10, v1
	s_delay_alu instid0(VALU_DEP_2)
	v_cvt_f32_f16_e32 v11, v3
.LBB151_2870:
	s_mov_b32 s0, 0
.LBB151_2871:
	s_delay_alu instid0(SALU_CYCLE_1)
	s_and_not1_b32 vcc_lo, exec_lo, s0
	s_cbranch_vccnz .LBB151_2895
; %bb.2872:
	s_cmp_lt_i32 s5, 6
	s_cbranch_scc1 .LBB151_2875
; %bb.2873:
	s_cmp_gt_i32 s5, 6
	s_cbranch_scc0 .LBB151_2888
; %bb.2874:
	s_wait_loadcnt 0x0
	global_load_b64 v[10:11], v[24:25], off
	s_mov_b32 s0, 0
	s_wait_loadcnt 0x0
	v_cvt_f32_f64_e32 v10, v[10:11]
	s_branch .LBB151_2889
.LBB151_2875:
	s_mov_b32 s0, -1
                                        ; implicit-def: $vgpr10
	s_branch .LBB151_2892
.LBB151_2876:
	s_mov_b32 s1, -1
                                        ; implicit-def: $vgpr10
.LBB151_2877:
	s_delay_alu instid0(SALU_CYCLE_1)
	s_and_b32 vcc_lo, exec_lo, s1
	s_cbranch_vccz .LBB151_2879
; %bb.2878:
	global_load_u8 v1, v[24:25], off
	s_wait_loadcnt 0x0
	v_lshlrev_b32_e32 v1, 24, v1
	s_delay_alu instid0(VALU_DEP_1) | instskip(NEXT) | instid1(VALU_DEP_1)
	v_and_b32_e32 v3, 0x7f000000, v1
	v_clz_i32_u32_e32 v5, v3
	v_cmp_ne_u32_e32 vcc_lo, 0, v3
	v_add_nc_u32_e32 v10, 0x1000000, v3
	s_delay_alu instid0(VALU_DEP_3) | instskip(NEXT) | instid1(VALU_DEP_1)
	v_min_u32_e32 v5, 32, v5
	v_sub_nc_u32_e64 v5, v5, 4 clamp
	s_delay_alu instid0(VALU_DEP_1) | instskip(NEXT) | instid1(VALU_DEP_1)
	v_dual_lshlrev_b32 v7, v5, v3 :: v_dual_lshlrev_b32 v5, 23, v5
	v_lshrrev_b32_e32 v7, 4, v7
	s_delay_alu instid0(VALU_DEP_1) | instskip(NEXT) | instid1(VALU_DEP_1)
	v_dual_sub_nc_u32 v5, v7, v5 :: v_dual_ashrrev_i32 v7, 8, v10
	v_add_nc_u32_e32 v5, 0x3c000000, v5
	s_delay_alu instid0(VALU_DEP_1) | instskip(NEXT) | instid1(VALU_DEP_1)
	v_and_or_b32 v5, 0x7f800000, v7, v5
	v_cndmask_b32_e32 v3, 0, v5, vcc_lo
	s_delay_alu instid0(VALU_DEP_1)
	v_and_or_b32 v10, 0x80000000, v1, v3
.LBB151_2879:
	s_mov_b32 s1, 0
.LBB151_2880:
	s_delay_alu instid0(SALU_CYCLE_1)
	s_and_not1_b32 vcc_lo, exec_lo, s1
	s_cbranch_vccnz .LBB151_2882
; %bb.2881:
	global_load_u8 v1, v[24:25], off
	s_wait_loadcnt 0x0
	v_lshlrev_b32_e32 v3, 25, v1
	v_lshlrev_b16 v1, 8, v1
	s_delay_alu instid0(VALU_DEP_1) | instskip(SKIP_1) | instid1(VALU_DEP_2)
	v_and_or_b32 v7, 0x7f00, v1, 0.5
	v_bfe_i32 v1, v1, 0, 16
	v_add_f32_e32 v7, -0.5, v7
	v_lshrrev_b32_e32 v5, 4, v3
	v_cmp_gt_u32_e32 vcc_lo, 0x8000000, v3
	s_delay_alu instid0(VALU_DEP_2) | instskip(NEXT) | instid1(VALU_DEP_1)
	v_or_b32_e32 v5, 0x70000000, v5
	v_mul_f32_e32 v5, 0x7800000, v5
	s_delay_alu instid0(VALU_DEP_1) | instskip(NEXT) | instid1(VALU_DEP_1)
	v_cndmask_b32_e32 v3, v5, v7, vcc_lo
	v_and_or_b32 v10, 0x80000000, v1, v3
.LBB151_2882:
	s_mov_b32 s1, 0
	s_mov_b32 s2, -1
.LBB151_2883:
	s_and_not1_b32 vcc_lo, exec_lo, s1
	s_mov_b32 s1, 0
	s_cbranch_vccnz .LBB151_2907
; %bb.2884:
	s_cmp_gt_i32 s5, 14
	s_cbranch_scc0 .LBB151_2887
; %bb.2885:
	s_cmp_eq_u32 s5, 15
	s_cbranch_scc0 .LBB151_2903
; %bb.2886:
	global_load_u16 v1, v[24:25], off
	s_mov_b32 s0, 0
	s_mov_b32 s2, -1
	s_wait_loadcnt 0x0
	v_lshlrev_b32_e32 v10, 16, v1
	s_branch .LBB151_2905
.LBB151_2887:
	s_mov_b32 s1, -1
	s_branch .LBB151_2904
.LBB151_2888:
	s_mov_b32 s0, -1
                                        ; implicit-def: $vgpr10
.LBB151_2889:
	s_delay_alu instid0(SALU_CYCLE_1)
	s_and_not1_b32 vcc_lo, exec_lo, s0
	s_cbranch_vccnz .LBB151_2891
; %bb.2890:
	s_wait_loadcnt 0x0
	global_load_b32 v10, v[24:25], off
.LBB151_2891:
	s_mov_b32 s0, 0
.LBB151_2892:
	s_delay_alu instid0(SALU_CYCLE_1)
	s_and_not1_b32 vcc_lo, exec_lo, s0
	s_cbranch_vccnz .LBB151_2894
; %bb.2893:
	global_load_u16 v1, v[24:25], off
	s_wait_loadcnt 0x0
	v_cvt_f32_f16_e32 v10, v1
.LBB151_2894:
	s_wait_loadcnt 0x0
	v_mov_b32_e32 v11, 0
.LBB151_2895:
	s_mov_b32 s0, 0
.LBB151_2896:
	s_delay_alu instid0(SALU_CYCLE_1)
	s_and_not1_b32 vcc_lo, exec_lo, s0
	s_cbranch_vccnz .LBB151_2923
; %bb.2897:
	s_cmp_lt_i32 s5, 2
	s_cbranch_scc1 .LBB151_2901
; %bb.2898:
	s_cmp_lt_i32 s5, 3
	s_cbranch_scc1 .LBB151_2902
; %bb.2899:
	s_cmp_gt_i32 s5, 3
	s_cbranch_scc0 .LBB151_2909
; %bb.2900:
	s_wait_loadcnt 0x0
	global_load_b64 v[10:11], v[24:25], off
	s_mov_b32 s0, 0
	s_wait_loadcnt 0x0
	v_xor_b32_e32 v1, v10, v11
	v_cls_i32_e32 v3, v11
	s_delay_alu instid0(VALU_DEP_2) | instskip(NEXT) | instid1(VALU_DEP_1)
	v_ashrrev_i32_e32 v1, 31, v1
	v_add_nc_u32_e32 v1, 32, v1
	s_delay_alu instid0(VALU_DEP_1) | instskip(NEXT) | instid1(VALU_DEP_1)
	v_add_min_u32_e64 v1, v3, -1, v1
	v_lshlrev_b64_e32 v[10:11], v1, v[10:11]
	v_sub_nc_u32_e32 v1, 32, v1
	s_delay_alu instid0(VALU_DEP_2) | instskip(NEXT) | instid1(VALU_DEP_1)
	v_min_u32_e32 v3, 1, v10
	v_or_b32_e32 v3, v11, v3
	s_delay_alu instid0(VALU_DEP_1) | instskip(NEXT) | instid1(VALU_DEP_1)
	v_cvt_f32_i32_e32 v3, v3
	v_ldexp_f32 v10, v3, v1
	s_branch .LBB151_2910
.LBB151_2901:
	s_mov_b32 s0, -1
                                        ; implicit-def: $vgpr10
	s_branch .LBB151_2916
.LBB151_2902:
	s_mov_b32 s0, -1
                                        ; implicit-def: $vgpr10
	s_branch .LBB151_2913
.LBB151_2903:
	s_mov_b32 s0, -1
.LBB151_2904:
                                        ; implicit-def: $vgpr10
.LBB151_2905:
	s_and_b32 vcc_lo, exec_lo, s1
	s_mov_b32 s1, 0
	s_cbranch_vccz .LBB151_2907
; %bb.2906:
	s_cmp_lg_u32 s5, 11
	s_mov_b32 s1, -1
	s_cselect_b32 s0, -1, 0
.LBB151_2907:
	v_mov_b32_e32 v11, 0
	s_and_b32 vcc_lo, exec_lo, s0
	s_cbranch_vccz .LBB151_2838
.LBB151_2908:
	s_or_b32 s11, s11, exec_lo
	s_trap 2
	s_cbranch_execz .LBB151_2839
	s_branch .LBB151_2840
.LBB151_2909:
	s_mov_b32 s0, -1
                                        ; implicit-def: $vgpr10
.LBB151_2910:
	s_delay_alu instid0(SALU_CYCLE_1)
	s_and_not1_b32 vcc_lo, exec_lo, s0
	s_cbranch_vccnz .LBB151_2912
; %bb.2911:
	global_load_b32 v1, v[24:25], off
	s_wait_loadcnt 0x0
	v_cvt_f32_i32_e32 v10, v1
.LBB151_2912:
	s_mov_b32 s0, 0
.LBB151_2913:
	s_delay_alu instid0(SALU_CYCLE_1)
	s_and_not1_b32 vcc_lo, exec_lo, s0
	s_cbranch_vccnz .LBB151_2915
; %bb.2914:
	global_load_i16 v1, v[24:25], off
	s_wait_loadcnt 0x0
	v_cvt_f32_i32_e32 v10, v1
.LBB151_2915:
	s_mov_b32 s0, 0
.LBB151_2916:
	s_delay_alu instid0(SALU_CYCLE_1)
	s_and_not1_b32 vcc_lo, exec_lo, s0
	s_cbranch_vccnz .LBB151_2922
; %bb.2917:
	s_cmp_gt_i32 s5, 0
	s_mov_b32 s0, 0
	s_cbranch_scc0 .LBB151_2919
; %bb.2918:
	global_load_i8 v1, v[24:25], off
	s_wait_loadcnt 0x0
	v_cvt_f32_i32_e32 v10, v1
	s_branch .LBB151_2920
.LBB151_2919:
	s_mov_b32 s0, -1
                                        ; implicit-def: $vgpr10
.LBB151_2920:
	s_delay_alu instid0(SALU_CYCLE_1)
	s_and_not1_b32 vcc_lo, exec_lo, s0
	s_cbranch_vccnz .LBB151_2922
; %bb.2921:
	global_load_u8 v1, v[24:25], off
	s_wait_loadcnt 0x0
	v_cvt_f32_ubyte0_e32 v10, v1
.LBB151_2922:
	s_wait_loadcnt 0x0
	v_mov_b32_e32 v11, 0
.LBB151_2923:
	s_mov_b32 s2, -1
.LBB151_2924:
	s_delay_alu instid0(SALU_CYCLE_1)
	s_and_not1_b32 vcc_lo, exec_lo, s2
	s_cbranch_vccnz .LBB151_3358
; %bb.2925:
	s_clause 0x1
	s_load_b96 s[4:6], s[16:17], 0x1e8
	s_load_b64 s[2:3], s[16:17], 0x1c8
	s_wait_loadcnt 0x0
	v_dual_mov_b32 v29, v12 :: v_dual_mov_b32 v7, 0
	s_wait_kmcnt 0x0
	s_mov_b32 s8, s5
	s_mov_b32 s9, s4
	v_mov_b64_e32 v[26:27], s[4:5]
	v_mov_b64_e32 v[24:25], s[8:9]
	v_add_nc_u64_e32 v[6:7], s[2:3], v[6:7]
	s_and_b32 s1, s6, 0xff
	s_delay_alu instid0(SALU_CYCLE_1) | instskip(NEXT) | instid1(VALU_DEP_2)
	s_cmp_lt_i32 s1, 11
	v_pk_mul_f32 v[24:25], v[8:9], v[24:25]
	v_mov_b32_e32 v28, v13
	v_pk_mul_f32 v[8:9], v[8:9], v[26:27]
	s_delay_alu instid0(VALU_DEP_3) | instskip(NEXT) | instid1(VALU_DEP_2)
	v_add_f32_e32 v24, v24, v25
	v_pk_add_f32 v[8:9], v[8:9], v[8:9] op_sel:[0,1] op_sel_hi:[0,1] neg_lo:[0,1] neg_hi:[0,1]
	s_delay_alu instid0(VALU_DEP_2) | instskip(NEXT) | instid1(VALU_DEP_1)
	v_pk_mul_f32 v[26:27], v[24:25], v[28:29] op_sel_hi:[0,1]
	v_pk_fma_f32 v[24:25], v[8:9], v[12:13], v[26:27]
	v_pk_fma_f32 v[8:9], v[8:9], v[12:13], v[26:27] neg_lo:[0,0,1] neg_hi:[0,0,1]
	s_delay_alu instid0(VALU_DEP_2)
	v_mov_b32_e32 v9, v25
	s_cbranch_scc1 .LBB151_3003
; %bb.2926:
	s_and_b32 s6, 0xffff, s1
	s_mov_b32 s14, -1
	s_mov_b32 s12, 0
	s_cmp_gt_i32 s6, 25
	s_mov_b32 s13, 0
	s_mov_b32 s0, 0
	s_cbranch_scc0 .LBB151_2959
; %bb.2927:
	s_cmp_gt_i32 s6, 28
	s_cbranch_scc0 .LBB151_2942
; %bb.2928:
	s_cmp_gt_i32 s6, 43
	;; [unrolled: 3-line block ×3, first 2 shown]
	s_cbranch_scc0 .LBB151_2932
; %bb.2930:
	s_mov_b32 s0, -1
	s_mov_b32 s14, 0
	s_cmp_eq_u32 s6, 46
	s_cbranch_scc0 .LBB151_2932
; %bb.2931:
	v_dual_lshrrev_b32 v1, 16, v8 :: v_dual_lshrrev_b32 v3, 16, v9
	v_cmp_o_f32_e32 vcc_lo, v8, v8
	s_mov_b32 s0, 0
	s_mov_b32 s13, -1
	s_delay_alu instid0(VALU_DEP_2) | instskip(NEXT) | instid1(VALU_DEP_1)
	v_and_b32_e32 v1, 1, v1
	v_add3_u32 v1, v8, v1, 0x7fff
	s_delay_alu instid0(VALU_DEP_1) | instskip(NEXT) | instid1(VALU_DEP_1)
	v_dual_lshrrev_b32 v1, 16, v1 :: v_dual_bitop2_b32 v3, 1, v3 bitop3:0x40
	v_add3_u32 v3, v9, v3, 0x7fff
	s_delay_alu instid0(VALU_DEP_2) | instskip(NEXT) | instid1(VALU_DEP_2)
	v_cndmask_b32_e32 v1, 0x7fc0, v1, vcc_lo
	v_and_b32_e32 v3, 0xffff0000, v3
	v_cmp_o_f32_e32 vcc_lo, v25, v25
	s_delay_alu instid0(VALU_DEP_2) | instskip(NEXT) | instid1(VALU_DEP_1)
	v_cndmask_b32_e32 v3, 0x7fc00000, v3, vcc_lo
	v_or_b32_e32 v1, v3, v1
	global_store_b32 v[6:7], v1, off
.LBB151_2932:
	s_and_b32 vcc_lo, exec_lo, s14
	s_cbranch_vccz .LBB151_2937
; %bb.2933:
	s_cmp_eq_u32 s6, 44
	s_mov_b32 s0, -1
	s_cbranch_scc0 .LBB151_2937
; %bb.2934:
	v_bfe_u32 v3, v8, 23, 8
	s_wait_xcnt 0x0
	v_mov_b32_e32 v1, 0xff
	s_mov_b32 s13, exec_lo
	s_delay_alu instid0(VALU_DEP_2)
	v_cmpx_ne_u32_e32 0xff, v3
	s_cbranch_execz .LBB151_2936
; %bb.2935:
	v_and_b32_e32 v1, 0x400000, v8
	v_and_or_b32 v3, 0x3fffff, v8, v3
	s_delay_alu instid0(VALU_DEP_2) | instskip(NEXT) | instid1(VALU_DEP_2)
	v_cmp_ne_u32_e32 vcc_lo, 0, v1
	v_cmp_ne_u32_e64 s0, 0, v3
	v_lshrrev_b32_e32 v1, 23, v8
	s_and_b32 s0, vcc_lo, s0
	s_delay_alu instid0(SALU_CYCLE_1) | instskip(NEXT) | instid1(VALU_DEP_1)
	v_cndmask_b32_e64 v3, 0, 1, s0
	v_add_nc_u32_e32 v1, v1, v3
.LBB151_2936:
	s_or_b32 exec_lo, exec_lo, s13
	s_mov_b32 s0, 0
	s_mov_b32 s13, -1
	global_store_b8 v[6:7], v1, off
.LBB151_2937:
	s_mov_b32 s14, 0
.LBB151_2938:
	s_delay_alu instid0(SALU_CYCLE_1)
	s_and_b32 vcc_lo, exec_lo, s14
	s_cbranch_vccz .LBB151_2941
; %bb.2939:
	s_cmp_eq_u32 s6, 29
	s_mov_b32 s0, -1
	s_cbranch_scc0 .LBB151_2941
; %bb.2940:
	s_wait_xcnt 0x0
	v_trunc_f32_e32 v1, v8
	s_mov_b32 s0, 0
	s_mov_b32 s13, -1
	s_delay_alu instid0(VALU_DEP_1) | instskip(NEXT) | instid1(VALU_DEP_1)
	v_mul_f32_e32 v3, 0x2f800000, v1
	v_floor_f32_e32 v3, v3
	s_delay_alu instid0(VALU_DEP_1) | instskip(SKIP_1) | instid1(VALU_DEP_2)
	v_fmamk_f32 v1, v3, 0xcf800000, v1
	v_cvt_u32_f32_e32 v13, v3
	v_cvt_u32_f32_e32 v12, v1
	global_store_b64 v[6:7], v[12:13], off
.LBB151_2941:
	s_mov_b32 s14, 0
.LBB151_2942:
	s_delay_alu instid0(SALU_CYCLE_1)
	s_and_b32 vcc_lo, exec_lo, s14
	s_cbranch_vccz .LBB151_2958
; %bb.2943:
	s_cmp_lt_i32 s6, 27
	s_mov_b32 s13, -1
	s_cbranch_scc1 .LBB151_2949
; %bb.2944:
	s_wait_xcnt 0x0
	v_cvt_u32_f32_e32 v1, v8
	s_cmp_gt_i32 s6, 27
	s_cbranch_scc0 .LBB151_2946
; %bb.2945:
	s_mov_b32 s13, 0
	global_store_b32 v[6:7], v1, off
.LBB151_2946:
	s_and_not1_b32 vcc_lo, exec_lo, s13
	s_cbranch_vccnz .LBB151_2948
; %bb.2947:
	global_store_b16 v[6:7], v1, off
.LBB151_2948:
	s_mov_b32 s13, 0
.LBB151_2949:
	s_delay_alu instid0(SALU_CYCLE_1)
	s_and_not1_b32 vcc_lo, exec_lo, s13
	s_cbranch_vccnz .LBB151_2957
; %bb.2950:
	s_wait_xcnt 0x0
	v_and_b32_e32 v1, 0x7fffffff, v8
	v_mov_b32_e32 v3, 0x80
	s_mov_b32 s13, exec_lo
	s_delay_alu instid0(VALU_DEP_2)
	v_cmpx_gt_u32_e32 0x43800000, v1
	s_cbranch_execz .LBB151_2956
; %bb.2951:
	v_cmp_lt_u32_e32 vcc_lo, 0x3bffffff, v1
	s_mov_b32 s14, 0
                                        ; implicit-def: $vgpr1
	s_and_saveexec_b32 s15, vcc_lo
	s_delay_alu instid0(SALU_CYCLE_1)
	s_xor_b32 s15, exec_lo, s15
	s_cbranch_execnz .LBB151_3409
; %bb.2952:
	s_and_not1_saveexec_b32 s15, s15
	s_cbranch_execnz .LBB151_3410
.LBB151_2953:
	s_or_b32 exec_lo, exec_lo, s15
	v_mov_b32_e32 v3, 0
	s_and_saveexec_b32 s15, s14
.LBB151_2954:
	v_lshrrev_b32_e32 v3, 24, v8
	s_delay_alu instid0(VALU_DEP_1)
	v_and_or_b32 v3, 0x80, v3, v1
.LBB151_2955:
	s_or_b32 exec_lo, exec_lo, s15
.LBB151_2956:
	s_delay_alu instid0(SALU_CYCLE_1)
	s_or_b32 exec_lo, exec_lo, s13
	global_store_b8 v[6:7], v3, off
.LBB151_2957:
	s_mov_b32 s13, -1
.LBB151_2958:
	s_mov_b32 s14, 0
.LBB151_2959:
	s_delay_alu instid0(SALU_CYCLE_1)
	s_and_b32 vcc_lo, exec_lo, s14
	s_cbranch_vccz .LBB151_2999
; %bb.2960:
	s_cmp_gt_i32 s6, 22
	s_mov_b32 s12, -1
	s_cbranch_scc0 .LBB151_2992
; %bb.2961:
	s_cmp_lt_i32 s6, 24
	s_cbranch_scc1 .LBB151_2981
; %bb.2962:
	s_cmp_gt_i32 s6, 24
	s_cbranch_scc0 .LBB151_2970
; %bb.2963:
	s_wait_xcnt 0x0
	v_and_b32_e32 v1, 0x7fffffff, v8
	v_mov_b32_e32 v3, 0x80
	s_mov_b32 s12, exec_lo
	s_delay_alu instid0(VALU_DEP_2)
	v_cmpx_gt_u32_e32 0x47800000, v1
	s_cbranch_execz .LBB151_2969
; %bb.2964:
	v_cmp_lt_u32_e32 vcc_lo, 0x37ffffff, v1
	s_mov_b32 s13, 0
                                        ; implicit-def: $vgpr1
	s_and_saveexec_b32 s14, vcc_lo
	s_delay_alu instid0(SALU_CYCLE_1)
	s_xor_b32 s14, exec_lo, s14
	s_cbranch_execnz .LBB151_3414
; %bb.2965:
	s_and_not1_saveexec_b32 s14, s14
	s_cbranch_execnz .LBB151_3415
.LBB151_2966:
	s_or_b32 exec_lo, exec_lo, s14
	v_mov_b32_e32 v3, 0
	s_and_saveexec_b32 s14, s13
.LBB151_2967:
	v_lshrrev_b32_e32 v3, 24, v8
	s_delay_alu instid0(VALU_DEP_1)
	v_and_or_b32 v3, 0x80, v3, v1
.LBB151_2968:
	s_or_b32 exec_lo, exec_lo, s14
.LBB151_2969:
	s_delay_alu instid0(SALU_CYCLE_1)
	s_or_b32 exec_lo, exec_lo, s12
	s_mov_b32 s12, 0
	global_store_b8 v[6:7], v3, off
.LBB151_2970:
	s_and_b32 vcc_lo, exec_lo, s12
	s_cbranch_vccz .LBB151_2980
; %bb.2971:
	s_wait_xcnt 0x0
	v_and_b32_e32 v3, 0x7fffffff, v8
	s_mov_b32 s12, exec_lo
                                        ; implicit-def: $vgpr1
	s_delay_alu instid0(VALU_DEP_1)
	v_cmpx_gt_u32_e32 0x43f00000, v3
	s_xor_b32 s12, exec_lo, s12
	s_cbranch_execz .LBB151_2977
; %bb.2972:
	s_mov_b32 s13, exec_lo
                                        ; implicit-def: $vgpr1
	v_cmpx_lt_u32_e32 0x3c7fffff, v3
	s_xor_b32 s13, exec_lo, s13
; %bb.2973:
	v_bfe_u32 v1, v8, 20, 1
	s_delay_alu instid0(VALU_DEP_1) | instskip(NEXT) | instid1(VALU_DEP_1)
	v_add3_u32 v1, v8, v1, 0x407ffff
	v_and_b32_e32 v3, 0xff00000, v1
	v_lshrrev_b32_e32 v1, 20, v1
	s_delay_alu instid0(VALU_DEP_2) | instskip(NEXT) | instid1(VALU_DEP_2)
	v_cmp_ne_u32_e32 vcc_lo, 0x7f00000, v3
	v_cndmask_b32_e32 v1, 0x7e, v1, vcc_lo
; %bb.2974:
	s_and_not1_saveexec_b32 s13, s13
; %bb.2975:
	v_add_f32_e64 v1, 0x46800000, |v8|
; %bb.2976:
	s_or_b32 exec_lo, exec_lo, s13
                                        ; implicit-def: $vgpr3
.LBB151_2977:
	s_and_not1_saveexec_b32 s12, s12
; %bb.2978:
	v_mov_b32_e32 v1, 0x7f
	v_cmp_lt_u32_e32 vcc_lo, 0x7f800000, v3
	s_delay_alu instid0(VALU_DEP_2)
	v_cndmask_b32_e32 v1, 0x7e, v1, vcc_lo
; %bb.2979:
	s_or_b32 exec_lo, exec_lo, s12
	v_lshrrev_b32_e32 v3, 24, v8
	s_delay_alu instid0(VALU_DEP_1)
	v_and_or_b32 v1, 0x80, v3, v1
	global_store_b8 v[6:7], v1, off
.LBB151_2980:
	s_mov_b32 s12, 0
.LBB151_2981:
	s_delay_alu instid0(SALU_CYCLE_1)
	s_and_not1_b32 vcc_lo, exec_lo, s12
	s_cbranch_vccnz .LBB151_2991
; %bb.2982:
	s_wait_xcnt 0x0
	v_and_b32_e32 v3, 0x7fffffff, v8
	s_mov_b32 s12, exec_lo
                                        ; implicit-def: $vgpr1
	s_delay_alu instid0(VALU_DEP_1)
	v_cmpx_gt_u32_e32 0x47800000, v3
	s_xor_b32 s12, exec_lo, s12
	s_cbranch_execz .LBB151_2988
; %bb.2983:
	s_mov_b32 s13, exec_lo
                                        ; implicit-def: $vgpr1
	v_cmpx_lt_u32_e32 0x387fffff, v3
	s_xor_b32 s13, exec_lo, s13
; %bb.2984:
	v_bfe_u32 v1, v8, 21, 1
	s_delay_alu instid0(VALU_DEP_1) | instskip(NEXT) | instid1(VALU_DEP_1)
	v_add3_u32 v1, v8, v1, 0x80fffff
	v_lshrrev_b32_e32 v1, 21, v1
; %bb.2985:
	s_and_not1_saveexec_b32 s13, s13
; %bb.2986:
	v_add_f32_e64 v1, 0x43000000, |v8|
; %bb.2987:
	s_or_b32 exec_lo, exec_lo, s13
                                        ; implicit-def: $vgpr3
.LBB151_2988:
	s_and_not1_saveexec_b32 s12, s12
; %bb.2989:
	v_mov_b32_e32 v1, 0x7f
	v_cmp_lt_u32_e32 vcc_lo, 0x7f800000, v3
	s_delay_alu instid0(VALU_DEP_2)
	v_cndmask_b32_e32 v1, 0x7c, v1, vcc_lo
; %bb.2990:
	s_or_b32 exec_lo, exec_lo, s12
	v_lshrrev_b32_e32 v3, 24, v8
	s_delay_alu instid0(VALU_DEP_1)
	v_and_or_b32 v1, 0x80, v3, v1
	global_store_b8 v[6:7], v1, off
.LBB151_2991:
	s_mov_b32 s12, 0
	s_mov_b32 s13, -1
.LBB151_2992:
	s_and_not1_b32 vcc_lo, exec_lo, s12
	s_mov_b32 s12, 0
	s_cbranch_vccnz .LBB151_2999
; %bb.2993:
	s_cmp_gt_i32 s6, 14
	s_mov_b32 s12, -1
	s_cbranch_scc0 .LBB151_2997
; %bb.2994:
	s_cmp_eq_u32 s6, 15
	s_mov_b32 s0, -1
	s_cbranch_scc0 .LBB151_2996
; %bb.2995:
	s_wait_xcnt 0x0
	v_bfe_u32 v1, v8, 16, 1
	v_cmp_o_f32_e32 vcc_lo, v8, v8
	s_mov_b32 s0, 0
	s_mov_b32 s13, -1
	s_delay_alu instid0(VALU_DEP_2) | instskip(NEXT) | instid1(VALU_DEP_1)
	v_add3_u32 v1, v8, v1, 0x7fff
	v_lshrrev_b32_e32 v1, 16, v1
	s_delay_alu instid0(VALU_DEP_1)
	v_cndmask_b32_e32 v1, 0x7fc0, v1, vcc_lo
	global_store_b16 v[6:7], v1, off
.LBB151_2996:
	s_mov_b32 s12, 0
.LBB151_2997:
	s_delay_alu instid0(SALU_CYCLE_1)
	s_and_b32 vcc_lo, exec_lo, s12
	s_mov_b32 s12, 0
	s_cbranch_vccz .LBB151_2999
; %bb.2998:
	s_cmp_lg_u32 s6, 11
	s_mov_b32 s12, -1
	s_cselect_b32 s0, -1, 0
.LBB151_2999:
	s_delay_alu instid0(SALU_CYCLE_1)
	s_and_b32 vcc_lo, exec_lo, s0
	s_cbranch_vccnz .LBB151_3408
; %bb.3000:
	s_and_not1_b32 vcc_lo, exec_lo, s12
	s_cbranch_vccnz .LBB151_3002
.LBB151_3001:
	v_cmp_neq_f32_e32 vcc_lo, 0, v8
	v_cmp_neq_f32_e64 s0, 0, v25
	s_mov_b32 s13, -1
	s_or_b32 s0, vcc_lo, s0
	s_wait_xcnt 0x0
	v_cndmask_b32_e64 v1, 0, 1, s0
	global_store_b8 v[6:7], v1, off
.LBB151_3002:
	s_mov_b32 s0, 0
	s_branch .LBB151_3004
.LBB151_3003:
	s_mov_b32 s0, -1
	s_mov_b32 s13, 0
.LBB151_3004:
	s_and_b32 vcc_lo, exec_lo, s0
	s_cbranch_vccz .LBB151_3043
; %bb.3005:
	s_and_b32 s0, 0xffff, s1
	s_mov_b32 s6, -1
	s_cmp_lt_i32 s0, 5
	s_cbranch_scc1 .LBB151_3026
; %bb.3006:
	s_cmp_lt_i32 s0, 8
	s_cbranch_scc1 .LBB151_3016
; %bb.3007:
	;; [unrolled: 3-line block ×3, first 2 shown]
	s_cmp_gt_i32 s0, 9
	s_cbranch_scc0 .LBB151_3010
; %bb.3009:
	v_cvt_f64_f32_e32 v[26:27], v8
	v_cvt_f64_f32_e32 v[28:29], v25
	s_mov_b32 s6, 0
	global_store_b128 v[6:7], v[26:29], off
.LBB151_3010:
	s_and_not1_b32 vcc_lo, exec_lo, s6
	s_cbranch_vccnz .LBB151_3012
; %bb.3011:
	global_store_b64 v[6:7], v[8:9], off
.LBB151_3012:
	s_mov_b32 s6, 0
.LBB151_3013:
	s_delay_alu instid0(SALU_CYCLE_1)
	s_and_not1_b32 vcc_lo, exec_lo, s6
	s_cbranch_vccnz .LBB151_3015
; %bb.3014:
	s_wait_xcnt 0x0
	v_cvt_f16_f32_e32 v1, v25
	v_cvt_f16_f32_e32 v3, v8
	s_delay_alu instid0(VALU_DEP_2) | instskip(NEXT) | instid1(VALU_DEP_2)
	v_lshlrev_b32_e32 v1, 16, v1
	v_and_b32_e32 v3, 0xffff, v3
	s_delay_alu instid0(VALU_DEP_1)
	v_or_b32_e32 v1, v1, v3
	global_store_b32 v[6:7], v1, off
.LBB151_3015:
	s_mov_b32 s6, 0
.LBB151_3016:
	s_delay_alu instid0(SALU_CYCLE_1)
	s_and_not1_b32 vcc_lo, exec_lo, s6
	s_cbranch_vccnz .LBB151_3025
; %bb.3017:
	s_cmp_lt_i32 s0, 6
	s_mov_b32 s6, -1
	s_cbranch_scc1 .LBB151_3023
; %bb.3018:
	s_cmp_gt_i32 s0, 6
	s_cbranch_scc0 .LBB151_3020
; %bb.3019:
	s_wait_xcnt 0x0
	v_cvt_f64_f32_e32 v[12:13], v8
	s_mov_b32 s6, 0
	global_store_b64 v[6:7], v[12:13], off
.LBB151_3020:
	s_and_not1_b32 vcc_lo, exec_lo, s6
	s_cbranch_vccnz .LBB151_3022
; %bb.3021:
	global_store_b32 v[6:7], v8, off
.LBB151_3022:
	s_mov_b32 s6, 0
.LBB151_3023:
	s_delay_alu instid0(SALU_CYCLE_1)
	s_and_not1_b32 vcc_lo, exec_lo, s6
	s_cbranch_vccnz .LBB151_3025
; %bb.3024:
	s_wait_xcnt 0x0
	v_cvt_f16_f32_e32 v1, v8
	global_store_b16 v[6:7], v1, off
.LBB151_3025:
	s_mov_b32 s6, 0
.LBB151_3026:
	s_delay_alu instid0(SALU_CYCLE_1)
	s_and_not1_b32 vcc_lo, exec_lo, s6
	s_cbranch_vccnz .LBB151_3042
; %bb.3027:
	s_cmp_lt_i32 s0, 2
	s_mov_b32 s6, -1
	s_cbranch_scc1 .LBB151_3037
; %bb.3028:
	s_cmp_lt_i32 s0, 3
	s_cbranch_scc1 .LBB151_3034
; %bb.3029:
	s_cmp_gt_i32 s0, 3
	s_cbranch_scc0 .LBB151_3031
; %bb.3030:
	s_wait_xcnt 0x0
	v_trunc_f32_e32 v1, v8
	s_mov_b32 s6, 0
	s_delay_alu instid0(VALU_DEP_1) | instskip(SKIP_1) | instid1(VALU_DEP_2)
	v_mul_f32_e64 v3, 0x2f800000, |v1|
	v_ashrrev_i32_e32 v12, 31, v1
	v_floor_f32_e32 v3, v3
	s_delay_alu instid0(VALU_DEP_1) | instskip(SKIP_1) | instid1(VALU_DEP_4)
	v_fma_f32 v5, 0xcf800000, v3, |v1|
	v_cvt_u32_f32_e32 v1, v3
	v_mov_b32_e32 v13, v12
	s_delay_alu instid0(VALU_DEP_3) | instskip(NEXT) | instid1(VALU_DEP_3)
	v_cvt_u32_f32_e32 v3, v5
	v_xor_b32_e32 v25, v1, v12
	s_delay_alu instid0(VALU_DEP_2) | instskip(NEXT) | instid1(VALU_DEP_1)
	v_xor_b32_e32 v24, v3, v12
	v_sub_nc_u64_e32 v[12:13], v[24:25], v[12:13]
	global_store_b64 v[6:7], v[12:13], off
.LBB151_3031:
	s_and_not1_b32 vcc_lo, exec_lo, s6
	s_cbranch_vccnz .LBB151_3033
; %bb.3032:
	s_wait_xcnt 0x0
	v_cvt_i32_f32_e32 v1, v8
	global_store_b32 v[6:7], v1, off
.LBB151_3033:
	s_mov_b32 s6, 0
.LBB151_3034:
	s_delay_alu instid0(SALU_CYCLE_1)
	s_and_not1_b32 vcc_lo, exec_lo, s6
	s_cbranch_vccnz .LBB151_3036
; %bb.3035:
	s_wait_xcnt 0x0
	v_cvt_i32_f32_e32 v1, v8
	global_store_b16 v[6:7], v1, off
.LBB151_3036:
	s_mov_b32 s6, 0
.LBB151_3037:
	s_delay_alu instid0(SALU_CYCLE_1)
	s_and_not1_b32 vcc_lo, exec_lo, s6
	s_cbranch_vccnz .LBB151_3042
; %bb.3038:
	s_cmp_gt_i32 s0, 0
	s_mov_b32 s0, -1
	s_cbranch_scc0 .LBB151_3040
; %bb.3039:
	s_wait_xcnt 0x0
	v_cvt_i32_f32_e32 v1, v8
	s_mov_b32 s0, 0
	global_store_b8 v[6:7], v1, off
.LBB151_3040:
	s_and_not1_b32 vcc_lo, exec_lo, s0
	s_cbranch_vccnz .LBB151_3042
; %bb.3041:
	s_wait_xcnt 0x0
	v_trunc_f32_e32 v1, v8
	s_delay_alu instid0(VALU_DEP_1) | instskip(NEXT) | instid1(VALU_DEP_1)
	v_mul_f32_e64 v3, 0x2f800000, |v1|
	v_floor_f32_e32 v3, v3
	s_delay_alu instid0(VALU_DEP_1) | instskip(SKIP_1) | instid1(VALU_DEP_2)
	v_fma_f32 v3, 0xcf800000, v3, |v1|
	v_ashrrev_i32_e32 v1, 31, v1
	v_cvt_u32_f32_e32 v3, v3
	s_delay_alu instid0(VALU_DEP_1) | instskip(NEXT) | instid1(VALU_DEP_1)
	v_xor_b32_e32 v3, v3, v1
	v_sub_nc_u32_e32 v1, v3, v1
	global_store_b8 v[6:7], v1, off
.LBB151_3042:
	s_mov_b32 s13, -1
.LBB151_3043:
	s_delay_alu instid0(SALU_CYCLE_1)
	s_and_not1_b32 vcc_lo, exec_lo, s13
	s_cbranch_vccnz .LBB151_3358
; %bb.3044:
	s_wait_xcnt 0x0
	v_mov_b64_e32 v[6:7], s[8:9]
	v_mov_b64_e32 v[8:9], s[4:5]
	v_dual_mov_b32 v12, v19 :: v_dual_mov_b32 v13, v18
	s_and_b32 s6, 0xffff, s1
	v_mov_b32_e32 v5, 0
	s_cmp_lt_i32 s6, 11
	s_delay_alu instid0(VALU_DEP_4) | instskip(NEXT) | instid1(VALU_DEP_4)
	v_pk_mul_f32 v[6:7], v[14:15], v[6:7]
	v_pk_mul_f32 v[8:9], v[14:15], v[8:9]
	s_delay_alu instid0(VALU_DEP_3) | instskip(NEXT) | instid1(VALU_DEP_3)
	v_add_nc_u64_e32 v[4:5], s[2:3], v[4:5]
	v_add_f32_e32 v6, v6, v7
	s_delay_alu instid0(VALU_DEP_3) | instskip(NEXT) | instid1(VALU_DEP_2)
	v_pk_add_f32 v[14:15], v[8:9], v[8:9] op_sel:[0,1] op_sel_hi:[0,1] neg_lo:[0,1] neg_hi:[0,1]
	v_pk_mul_f32 v[6:7], v[6:7], v[12:13] op_sel_hi:[0,1]
	s_delay_alu instid0(VALU_DEP_1) | instskip(SKIP_1) | instid1(VALU_DEP_2)
	v_pk_fma_f32 v[8:9], v[14:15], v[18:19], v[6:7]
	v_pk_fma_f32 v[6:7], v[14:15], v[18:19], v[6:7] neg_lo:[0,0,1] neg_hi:[0,0,1]
	v_mov_b32_e32 v7, v9
	s_cbranch_scc1 .LBB151_3122
; %bb.3045:
	s_mov_b32 s14, -1
	s_mov_b32 s12, 0
	s_cmp_gt_i32 s6, 25
	s_mov_b32 s13, 0
	s_mov_b32 s0, 0
	s_cbranch_scc0 .LBB151_3078
; %bb.3046:
	s_cmp_gt_i32 s6, 28
	s_cbranch_scc0 .LBB151_3061
; %bb.3047:
	s_cmp_gt_i32 s6, 43
	;; [unrolled: 3-line block ×3, first 2 shown]
	s_cbranch_scc0 .LBB151_3051
; %bb.3049:
	s_mov_b32 s0, -1
	s_mov_b32 s14, 0
	s_cmp_eq_u32 s6, 46
	s_cbranch_scc0 .LBB151_3051
; %bb.3050:
	v_dual_lshrrev_b32 v1, 16, v6 :: v_dual_lshrrev_b32 v3, 16, v7
	v_cmp_o_f32_e32 vcc_lo, v6, v6
	s_mov_b32 s0, 0
	s_mov_b32 s13, -1
	s_delay_alu instid0(VALU_DEP_2) | instskip(NEXT) | instid1(VALU_DEP_1)
	v_and_b32_e32 v1, 1, v1
	v_add3_u32 v1, v6, v1, 0x7fff
	s_delay_alu instid0(VALU_DEP_1) | instskip(NEXT) | instid1(VALU_DEP_1)
	v_dual_lshrrev_b32 v1, 16, v1 :: v_dual_bitop2_b32 v3, 1, v3 bitop3:0x40
	v_add3_u32 v3, v7, v3, 0x7fff
	s_delay_alu instid0(VALU_DEP_2) | instskip(NEXT) | instid1(VALU_DEP_2)
	v_cndmask_b32_e32 v1, 0x7fc0, v1, vcc_lo
	v_and_b32_e32 v3, 0xffff0000, v3
	v_cmp_o_f32_e32 vcc_lo, v9, v9
	s_delay_alu instid0(VALU_DEP_2) | instskip(NEXT) | instid1(VALU_DEP_1)
	v_cndmask_b32_e32 v3, 0x7fc00000, v3, vcc_lo
	v_or_b32_e32 v1, v3, v1
	global_store_b32 v[4:5], v1, off
.LBB151_3051:
	s_and_b32 vcc_lo, exec_lo, s14
	s_cbranch_vccz .LBB151_3056
; %bb.3052:
	s_cmp_eq_u32 s6, 44
	s_mov_b32 s0, -1
	s_cbranch_scc0 .LBB151_3056
; %bb.3053:
	v_bfe_u32 v3, v6, 23, 8
	s_wait_xcnt 0x0
	v_mov_b32_e32 v1, 0xff
	s_mov_b32 s13, exec_lo
	s_delay_alu instid0(VALU_DEP_2)
	v_cmpx_ne_u32_e32 0xff, v3
	s_cbranch_execz .LBB151_3055
; %bb.3054:
	v_and_b32_e32 v1, 0x400000, v6
	v_and_or_b32 v3, 0x3fffff, v6, v3
	s_delay_alu instid0(VALU_DEP_2) | instskip(NEXT) | instid1(VALU_DEP_2)
	v_cmp_ne_u32_e32 vcc_lo, 0, v1
	v_cmp_ne_u32_e64 s0, 0, v3
	v_lshrrev_b32_e32 v1, 23, v6
	s_and_b32 s0, vcc_lo, s0
	s_delay_alu instid0(SALU_CYCLE_1) | instskip(NEXT) | instid1(VALU_DEP_1)
	v_cndmask_b32_e64 v3, 0, 1, s0
	v_add_nc_u32_e32 v1, v1, v3
.LBB151_3055:
	s_or_b32 exec_lo, exec_lo, s13
	s_mov_b32 s0, 0
	s_mov_b32 s13, -1
	global_store_b8 v[4:5], v1, off
.LBB151_3056:
	s_mov_b32 s14, 0
.LBB151_3057:
	s_delay_alu instid0(SALU_CYCLE_1)
	s_and_b32 vcc_lo, exec_lo, s14
	s_cbranch_vccz .LBB151_3060
; %bb.3058:
	s_cmp_eq_u32 s6, 29
	s_mov_b32 s0, -1
	s_cbranch_scc0 .LBB151_3060
; %bb.3059:
	s_wait_xcnt 0x0
	v_trunc_f32_e32 v1, v6
	s_mov_b32 s0, 0
	s_mov_b32 s13, -1
	s_delay_alu instid0(VALU_DEP_1) | instskip(NEXT) | instid1(VALU_DEP_1)
	v_mul_f32_e32 v3, 0x2f800000, v1
	v_floor_f32_e32 v3, v3
	s_delay_alu instid0(VALU_DEP_1) | instskip(SKIP_1) | instid1(VALU_DEP_2)
	v_fmamk_f32 v1, v3, 0xcf800000, v1
	v_cvt_u32_f32_e32 v13, v3
	v_cvt_u32_f32_e32 v12, v1
	global_store_b64 v[4:5], v[12:13], off
.LBB151_3060:
	s_mov_b32 s14, 0
.LBB151_3061:
	s_delay_alu instid0(SALU_CYCLE_1)
	s_and_b32 vcc_lo, exec_lo, s14
	s_cbranch_vccz .LBB151_3077
; %bb.3062:
	s_cmp_lt_i32 s6, 27
	s_mov_b32 s13, -1
	s_cbranch_scc1 .LBB151_3068
; %bb.3063:
	s_cmp_gt_i32 s6, 27
	s_cbranch_scc0 .LBB151_3065
; %bb.3064:
	s_wait_xcnt 0x0
	v_cvt_u32_f32_e32 v1, v6
	s_mov_b32 s13, 0
	global_store_b32 v[4:5], v1, off
.LBB151_3065:
	s_and_not1_b32 vcc_lo, exec_lo, s13
	s_cbranch_vccnz .LBB151_3067
; %bb.3066:
	s_wait_xcnt 0x0
	v_cvt_u32_f32_e32 v1, v6
	global_store_b16 v[4:5], v1, off
.LBB151_3067:
	s_mov_b32 s13, 0
.LBB151_3068:
	s_delay_alu instid0(SALU_CYCLE_1)
	s_and_not1_b32 vcc_lo, exec_lo, s13
	s_cbranch_vccnz .LBB151_3076
; %bb.3069:
	s_wait_xcnt 0x0
	v_and_b32_e32 v1, 0x7fffffff, v6
	v_mov_b32_e32 v3, 0x80
	s_mov_b32 s13, exec_lo
	s_delay_alu instid0(VALU_DEP_2)
	v_cmpx_gt_u32_e32 0x43800000, v1
	s_cbranch_execz .LBB151_3075
; %bb.3070:
	v_cmp_lt_u32_e32 vcc_lo, 0x3bffffff, v1
	s_mov_b32 s14, 0
                                        ; implicit-def: $vgpr1
	s_and_saveexec_b32 s15, vcc_lo
	s_delay_alu instid0(SALU_CYCLE_1)
	s_xor_b32 s15, exec_lo, s15
	s_cbranch_execnz .LBB151_3418
; %bb.3071:
	s_and_not1_saveexec_b32 s15, s15
	s_cbranch_execnz .LBB151_3419
.LBB151_3072:
	s_or_b32 exec_lo, exec_lo, s15
	v_mov_b32_e32 v3, 0
	s_and_saveexec_b32 s15, s14
.LBB151_3073:
	v_lshrrev_b32_e32 v3, 24, v6
	s_delay_alu instid0(VALU_DEP_1)
	v_and_or_b32 v3, 0x80, v3, v1
.LBB151_3074:
	s_or_b32 exec_lo, exec_lo, s15
.LBB151_3075:
	s_delay_alu instid0(SALU_CYCLE_1)
	s_or_b32 exec_lo, exec_lo, s13
	global_store_b8 v[4:5], v3, off
.LBB151_3076:
	s_mov_b32 s13, -1
.LBB151_3077:
	s_mov_b32 s14, 0
.LBB151_3078:
	s_delay_alu instid0(SALU_CYCLE_1)
	s_and_b32 vcc_lo, exec_lo, s14
	s_cbranch_vccz .LBB151_3118
; %bb.3079:
	s_cmp_gt_i32 s6, 22
	s_mov_b32 s12, -1
	s_cbranch_scc0 .LBB151_3111
; %bb.3080:
	s_cmp_lt_i32 s6, 24
	s_cbranch_scc1 .LBB151_3100
; %bb.3081:
	s_cmp_gt_i32 s6, 24
	s_cbranch_scc0 .LBB151_3089
; %bb.3082:
	s_wait_xcnt 0x0
	v_and_b32_e32 v1, 0x7fffffff, v6
	v_mov_b32_e32 v3, 0x80
	s_mov_b32 s12, exec_lo
	s_delay_alu instid0(VALU_DEP_2)
	v_cmpx_gt_u32_e32 0x47800000, v1
	s_cbranch_execz .LBB151_3088
; %bb.3083:
	v_cmp_lt_u32_e32 vcc_lo, 0x37ffffff, v1
	s_mov_b32 s13, 0
                                        ; implicit-def: $vgpr1
	s_and_saveexec_b32 s14, vcc_lo
	s_delay_alu instid0(SALU_CYCLE_1)
	s_xor_b32 s14, exec_lo, s14
	s_cbranch_execnz .LBB151_3423
; %bb.3084:
	s_and_not1_saveexec_b32 s14, s14
	s_cbranch_execnz .LBB151_3424
.LBB151_3085:
	s_or_b32 exec_lo, exec_lo, s14
	v_mov_b32_e32 v3, 0
	s_and_saveexec_b32 s14, s13
.LBB151_3086:
	v_lshrrev_b32_e32 v3, 24, v6
	s_delay_alu instid0(VALU_DEP_1)
	v_and_or_b32 v3, 0x80, v3, v1
.LBB151_3087:
	s_or_b32 exec_lo, exec_lo, s14
.LBB151_3088:
	s_delay_alu instid0(SALU_CYCLE_1)
	s_or_b32 exec_lo, exec_lo, s12
	s_mov_b32 s12, 0
	global_store_b8 v[4:5], v3, off
.LBB151_3089:
	s_and_b32 vcc_lo, exec_lo, s12
	s_cbranch_vccz .LBB151_3099
; %bb.3090:
	s_wait_xcnt 0x0
	v_and_b32_e32 v3, 0x7fffffff, v6
	s_mov_b32 s12, exec_lo
                                        ; implicit-def: $vgpr1
	s_delay_alu instid0(VALU_DEP_1)
	v_cmpx_gt_u32_e32 0x43f00000, v3
	s_xor_b32 s12, exec_lo, s12
	s_cbranch_execz .LBB151_3096
; %bb.3091:
	s_mov_b32 s13, exec_lo
                                        ; implicit-def: $vgpr1
	v_cmpx_lt_u32_e32 0x3c7fffff, v3
	s_xor_b32 s13, exec_lo, s13
; %bb.3092:
	v_bfe_u32 v1, v6, 20, 1
	s_delay_alu instid0(VALU_DEP_1) | instskip(NEXT) | instid1(VALU_DEP_1)
	v_add3_u32 v1, v6, v1, 0x407ffff
	v_and_b32_e32 v3, 0xff00000, v1
	v_lshrrev_b32_e32 v1, 20, v1
	s_delay_alu instid0(VALU_DEP_2) | instskip(NEXT) | instid1(VALU_DEP_2)
	v_cmp_ne_u32_e32 vcc_lo, 0x7f00000, v3
	v_cndmask_b32_e32 v1, 0x7e, v1, vcc_lo
; %bb.3093:
	s_and_not1_saveexec_b32 s13, s13
; %bb.3094:
	v_add_f32_e64 v1, 0x46800000, |v6|
; %bb.3095:
	s_or_b32 exec_lo, exec_lo, s13
                                        ; implicit-def: $vgpr3
.LBB151_3096:
	s_and_not1_saveexec_b32 s12, s12
; %bb.3097:
	v_mov_b32_e32 v1, 0x7f
	v_cmp_lt_u32_e32 vcc_lo, 0x7f800000, v3
	s_delay_alu instid0(VALU_DEP_2)
	v_cndmask_b32_e32 v1, 0x7e, v1, vcc_lo
; %bb.3098:
	s_or_b32 exec_lo, exec_lo, s12
	v_lshrrev_b32_e32 v3, 24, v6
	s_delay_alu instid0(VALU_DEP_1)
	v_and_or_b32 v1, 0x80, v3, v1
	global_store_b8 v[4:5], v1, off
.LBB151_3099:
	s_mov_b32 s12, 0
.LBB151_3100:
	s_delay_alu instid0(SALU_CYCLE_1)
	s_and_not1_b32 vcc_lo, exec_lo, s12
	s_cbranch_vccnz .LBB151_3110
; %bb.3101:
	s_wait_xcnt 0x0
	v_and_b32_e32 v3, 0x7fffffff, v6
	s_mov_b32 s12, exec_lo
                                        ; implicit-def: $vgpr1
	s_delay_alu instid0(VALU_DEP_1)
	v_cmpx_gt_u32_e32 0x47800000, v3
	s_xor_b32 s12, exec_lo, s12
	s_cbranch_execz .LBB151_3107
; %bb.3102:
	s_mov_b32 s13, exec_lo
                                        ; implicit-def: $vgpr1
	v_cmpx_lt_u32_e32 0x387fffff, v3
	s_xor_b32 s13, exec_lo, s13
; %bb.3103:
	v_bfe_u32 v1, v6, 21, 1
	s_delay_alu instid0(VALU_DEP_1) | instskip(NEXT) | instid1(VALU_DEP_1)
	v_add3_u32 v1, v6, v1, 0x80fffff
	v_lshrrev_b32_e32 v1, 21, v1
; %bb.3104:
	s_and_not1_saveexec_b32 s13, s13
; %bb.3105:
	v_add_f32_e64 v1, 0x43000000, |v6|
; %bb.3106:
	s_or_b32 exec_lo, exec_lo, s13
                                        ; implicit-def: $vgpr3
.LBB151_3107:
	s_and_not1_saveexec_b32 s12, s12
; %bb.3108:
	v_mov_b32_e32 v1, 0x7f
	v_cmp_lt_u32_e32 vcc_lo, 0x7f800000, v3
	s_delay_alu instid0(VALU_DEP_2)
	v_cndmask_b32_e32 v1, 0x7c, v1, vcc_lo
; %bb.3109:
	s_or_b32 exec_lo, exec_lo, s12
	v_lshrrev_b32_e32 v3, 24, v6
	s_delay_alu instid0(VALU_DEP_1)
	v_and_or_b32 v1, 0x80, v3, v1
	global_store_b8 v[4:5], v1, off
.LBB151_3110:
	s_mov_b32 s12, 0
	s_mov_b32 s13, -1
.LBB151_3111:
	s_and_not1_b32 vcc_lo, exec_lo, s12
	s_mov_b32 s12, 0
	s_cbranch_vccnz .LBB151_3118
; %bb.3112:
	s_cmp_gt_i32 s6, 14
	s_mov_b32 s12, -1
	s_cbranch_scc0 .LBB151_3116
; %bb.3113:
	s_cmp_eq_u32 s6, 15
	s_mov_b32 s0, -1
	s_cbranch_scc0 .LBB151_3115
; %bb.3114:
	s_wait_xcnt 0x0
	v_bfe_u32 v1, v6, 16, 1
	v_cmp_o_f32_e32 vcc_lo, v6, v6
	s_mov_b32 s0, 0
	s_mov_b32 s13, -1
	s_delay_alu instid0(VALU_DEP_2) | instskip(NEXT) | instid1(VALU_DEP_1)
	v_add3_u32 v1, v6, v1, 0x7fff
	v_lshrrev_b32_e32 v1, 16, v1
	s_delay_alu instid0(VALU_DEP_1)
	v_cndmask_b32_e32 v1, 0x7fc0, v1, vcc_lo
	global_store_b16 v[4:5], v1, off
.LBB151_3115:
	s_mov_b32 s12, 0
.LBB151_3116:
	s_delay_alu instid0(SALU_CYCLE_1)
	s_and_b32 vcc_lo, exec_lo, s12
	s_mov_b32 s12, 0
	s_cbranch_vccz .LBB151_3118
; %bb.3117:
	s_cmp_lg_u32 s6, 11
	s_mov_b32 s12, -1
	s_cselect_b32 s0, -1, 0
.LBB151_3118:
	s_delay_alu instid0(SALU_CYCLE_1)
	s_and_b32 vcc_lo, exec_lo, s0
	s_cbranch_vccnz .LBB151_3413
; %bb.3119:
	s_and_not1_b32 vcc_lo, exec_lo, s12
	s_cbranch_vccnz .LBB151_3121
.LBB151_3120:
	v_cmp_neq_f32_e32 vcc_lo, 0, v6
	v_cmp_neq_f32_e64 s0, 0, v9
	s_mov_b32 s13, -1
	s_or_b32 s0, vcc_lo, s0
	s_wait_xcnt 0x0
	v_cndmask_b32_e64 v1, 0, 1, s0
	global_store_b8 v[4:5], v1, off
.LBB151_3121:
	s_mov_b32 s0, 0
	s_branch .LBB151_3123
.LBB151_3122:
	s_mov_b32 s0, -1
	s_mov_b32 s13, 0
.LBB151_3123:
	s_and_b32 vcc_lo, exec_lo, s0
	s_cbranch_vccz .LBB151_3162
; %bb.3124:
	s_cmp_lt_i32 s6, 5
	s_mov_b32 s0, -1
	s_cbranch_scc1 .LBB151_3145
; %bb.3125:
	s_cmp_lt_i32 s6, 8
	s_cbranch_scc1 .LBB151_3135
; %bb.3126:
	s_cmp_lt_i32 s6, 9
	s_cbranch_scc1 .LBB151_3132
; %bb.3127:
	s_cmp_gt_i32 s6, 9
	s_cbranch_scc0 .LBB151_3129
; %bb.3128:
	s_wait_xcnt 0x0
	v_cvt_f64_f32_e32 v[12:13], v6
	v_cvt_f64_f32_e32 v[14:15], v9
	s_mov_b32 s0, 0
	global_store_b128 v[4:5], v[12:15], off
.LBB151_3129:
	s_and_not1_b32 vcc_lo, exec_lo, s0
	s_cbranch_vccnz .LBB151_3131
; %bb.3130:
	global_store_b64 v[4:5], v[6:7], off
.LBB151_3131:
	s_mov_b32 s0, 0
.LBB151_3132:
	s_delay_alu instid0(SALU_CYCLE_1)
	s_and_not1_b32 vcc_lo, exec_lo, s0
	s_cbranch_vccnz .LBB151_3134
; %bb.3133:
	s_wait_xcnt 0x0
	v_cvt_f16_f32_e32 v1, v9
	v_cvt_f16_f32_e32 v3, v6
	s_delay_alu instid0(VALU_DEP_2) | instskip(NEXT) | instid1(VALU_DEP_2)
	v_lshlrev_b32_e32 v1, 16, v1
	v_and_b32_e32 v3, 0xffff, v3
	s_delay_alu instid0(VALU_DEP_1)
	v_or_b32_e32 v1, v1, v3
	global_store_b32 v[4:5], v1, off
.LBB151_3134:
	s_mov_b32 s0, 0
.LBB151_3135:
	s_delay_alu instid0(SALU_CYCLE_1)
	s_and_not1_b32 vcc_lo, exec_lo, s0
	s_cbranch_vccnz .LBB151_3144
; %bb.3136:
	s_cmp_lt_i32 s6, 6
	s_mov_b32 s0, -1
	s_cbranch_scc1 .LBB151_3142
; %bb.3137:
	s_cmp_gt_i32 s6, 6
	s_cbranch_scc0 .LBB151_3139
; %bb.3138:
	v_cvt_f64_f32_e32 v[8:9], v6
	s_mov_b32 s0, 0
	global_store_b64 v[4:5], v[8:9], off
.LBB151_3139:
	s_and_not1_b32 vcc_lo, exec_lo, s0
	s_cbranch_vccnz .LBB151_3141
; %bb.3140:
	global_store_b32 v[4:5], v6, off
.LBB151_3141:
	s_mov_b32 s0, 0
.LBB151_3142:
	s_delay_alu instid0(SALU_CYCLE_1)
	s_and_not1_b32 vcc_lo, exec_lo, s0
	s_cbranch_vccnz .LBB151_3144
; %bb.3143:
	s_wait_xcnt 0x0
	v_cvt_f16_f32_e32 v1, v6
	global_store_b16 v[4:5], v1, off
.LBB151_3144:
	s_mov_b32 s0, 0
.LBB151_3145:
	s_delay_alu instid0(SALU_CYCLE_1)
	s_and_not1_b32 vcc_lo, exec_lo, s0
	s_cbranch_vccnz .LBB151_3161
; %bb.3146:
	s_cmp_lt_i32 s6, 2
	s_mov_b32 s0, -1
	s_cbranch_scc1 .LBB151_3156
; %bb.3147:
	s_cmp_lt_i32 s6, 3
	s_cbranch_scc1 .LBB151_3153
; %bb.3148:
	s_cmp_gt_i32 s6, 3
	s_cbranch_scc0 .LBB151_3150
; %bb.3149:
	s_wait_xcnt 0x0
	v_trunc_f32_e32 v1, v6
	s_mov_b32 s0, 0
	s_delay_alu instid0(VALU_DEP_1) | instskip(SKIP_1) | instid1(VALU_DEP_2)
	v_mul_f32_e64 v3, 0x2f800000, |v1|
	v_ashrrev_i32_e32 v8, 31, v1
	v_floor_f32_e32 v3, v3
	s_delay_alu instid0(VALU_DEP_1) | instskip(SKIP_1) | instid1(VALU_DEP_4)
	v_fma_f32 v7, 0xcf800000, v3, |v1|
	v_cvt_u32_f32_e32 v1, v3
	v_mov_b32_e32 v9, v8
	s_delay_alu instid0(VALU_DEP_3) | instskip(NEXT) | instid1(VALU_DEP_3)
	v_cvt_u32_f32_e32 v3, v7
	v_xor_b32_e32 v13, v1, v8
	s_delay_alu instid0(VALU_DEP_2) | instskip(NEXT) | instid1(VALU_DEP_1)
	v_xor_b32_e32 v12, v3, v8
	v_sub_nc_u64_e32 v[8:9], v[12:13], v[8:9]
	global_store_b64 v[4:5], v[8:9], off
.LBB151_3150:
	s_and_not1_b32 vcc_lo, exec_lo, s0
	s_cbranch_vccnz .LBB151_3152
; %bb.3151:
	s_wait_xcnt 0x0
	v_cvt_i32_f32_e32 v1, v6
	global_store_b32 v[4:5], v1, off
.LBB151_3152:
	s_mov_b32 s0, 0
.LBB151_3153:
	s_delay_alu instid0(SALU_CYCLE_1)
	s_and_not1_b32 vcc_lo, exec_lo, s0
	s_cbranch_vccnz .LBB151_3155
; %bb.3154:
	s_wait_xcnt 0x0
	v_cvt_i32_f32_e32 v1, v6
	global_store_b16 v[4:5], v1, off
.LBB151_3155:
	s_mov_b32 s0, 0
.LBB151_3156:
	s_delay_alu instid0(SALU_CYCLE_1)
	s_and_not1_b32 vcc_lo, exec_lo, s0
	s_cbranch_vccnz .LBB151_3161
; %bb.3157:
	s_cmp_gt_i32 s6, 0
	s_mov_b32 s0, -1
	s_cbranch_scc0 .LBB151_3159
; %bb.3158:
	s_wait_xcnt 0x0
	v_cvt_i32_f32_e32 v1, v6
	s_mov_b32 s0, 0
	global_store_b8 v[4:5], v1, off
.LBB151_3159:
	s_and_not1_b32 vcc_lo, exec_lo, s0
	s_cbranch_vccnz .LBB151_3161
; %bb.3160:
	s_wait_xcnt 0x0
	v_trunc_f32_e32 v1, v6
	s_delay_alu instid0(VALU_DEP_1) | instskip(NEXT) | instid1(VALU_DEP_1)
	v_mul_f32_e64 v3, 0x2f800000, |v1|
	v_floor_f32_e32 v3, v3
	s_delay_alu instid0(VALU_DEP_1) | instskip(SKIP_1) | instid1(VALU_DEP_2)
	v_fma_f32 v3, 0xcf800000, v3, |v1|
	v_ashrrev_i32_e32 v1, 31, v1
	v_cvt_u32_f32_e32 v3, v3
	s_delay_alu instid0(VALU_DEP_1) | instskip(NEXT) | instid1(VALU_DEP_1)
	v_xor_b32_e32 v3, v3, v1
	v_sub_nc_u32_e32 v1, v3, v1
	global_store_b8 v[4:5], v1, off
.LBB151_3161:
	s_mov_b32 s13, -1
.LBB151_3162:
	s_delay_alu instid0(SALU_CYCLE_1)
	s_and_not1_b32 vcc_lo, exec_lo, s13
	s_cbranch_vccnz .LBB151_3358
; %bb.3163:
	s_wait_xcnt 0x0
	v_mov_b64_e32 v[4:5], s[8:9]
	v_mov_b64_e32 v[6:7], s[4:5]
	v_dual_mov_b32 v9, v20 :: v_dual_mov_b32 v3, 0
	s_cmp_lt_i32 s6, 11
	s_delay_alu instid0(VALU_DEP_3) | instskip(SKIP_1) | instid1(VALU_DEP_4)
	v_pk_mul_f32 v[4:5], v[22:23], v[4:5]
	v_mov_b32_e32 v8, v21
	v_pk_mul_f32 v[6:7], v[22:23], v[6:7]
	v_add_nc_u64_e32 v[2:3], s[2:3], v[2:3]
	s_delay_alu instid0(VALU_DEP_4) | instskip(NEXT) | instid1(VALU_DEP_3)
	v_add_f32_e32 v4, v4, v5
	v_pk_add_f32 v[12:13], v[6:7], v[6:7] op_sel:[0,1] op_sel_hi:[0,1] neg_lo:[0,1] neg_hi:[0,1]
	s_delay_alu instid0(VALU_DEP_2) | instskip(NEXT) | instid1(VALU_DEP_1)
	v_pk_mul_f32 v[4:5], v[4:5], v[8:9] op_sel_hi:[0,1]
	v_pk_fma_f32 v[6:7], v[12:13], v[20:21], v[4:5]
	v_pk_fma_f32 v[4:5], v[12:13], v[20:21], v[4:5] neg_lo:[0,0,1] neg_hi:[0,0,1]
	s_delay_alu instid0(VALU_DEP_2)
	v_mov_b32_e32 v5, v7
	s_cbranch_scc1 .LBB151_3241
; %bb.3164:
	s_mov_b32 s14, -1
	s_mov_b32 s12, 0
	s_cmp_gt_i32 s6, 25
	s_mov_b32 s13, 0
	s_mov_b32 s0, 0
	s_cbranch_scc0 .LBB151_3197
; %bb.3165:
	s_cmp_gt_i32 s6, 28
	s_cbranch_scc0 .LBB151_3180
; %bb.3166:
	s_cmp_gt_i32 s6, 43
	;; [unrolled: 3-line block ×3, first 2 shown]
	s_cbranch_scc0 .LBB151_3170
; %bb.3168:
	s_mov_b32 s0, -1
	s_mov_b32 s14, 0
	s_cmp_eq_u32 s6, 46
	s_cbranch_scc0 .LBB151_3170
; %bb.3169:
	v_dual_lshrrev_b32 v1, 16, v4 :: v_dual_lshrrev_b32 v6, 16, v5
	v_cmp_o_f32_e32 vcc_lo, v4, v4
	s_mov_b32 s0, 0
	s_mov_b32 s13, -1
	s_delay_alu instid0(VALU_DEP_2) | instskip(NEXT) | instid1(VALU_DEP_1)
	v_and_b32_e32 v1, 1, v1
	v_add3_u32 v1, v4, v1, 0x7fff
	s_delay_alu instid0(VALU_DEP_1) | instskip(NEXT) | instid1(VALU_DEP_1)
	v_dual_lshrrev_b32 v1, 16, v1 :: v_dual_bitop2_b32 v6, 1, v6 bitop3:0x40
	v_add3_u32 v6, v5, v6, 0x7fff
	s_delay_alu instid0(VALU_DEP_2) | instskip(NEXT) | instid1(VALU_DEP_2)
	v_cndmask_b32_e32 v1, 0x7fc0, v1, vcc_lo
	v_and_b32_e32 v6, 0xffff0000, v6
	v_cmp_o_f32_e32 vcc_lo, v7, v7
	s_delay_alu instid0(VALU_DEP_2) | instskip(NEXT) | instid1(VALU_DEP_1)
	v_cndmask_b32_e32 v6, 0x7fc00000, v6, vcc_lo
	v_or_b32_e32 v1, v6, v1
	global_store_b32 v[2:3], v1, off
.LBB151_3170:
	s_and_b32 vcc_lo, exec_lo, s14
	s_cbranch_vccz .LBB151_3175
; %bb.3171:
	s_cmp_eq_u32 s6, 44
	s_mov_b32 s0, -1
	s_cbranch_scc0 .LBB151_3175
; %bb.3172:
	v_bfe_u32 v6, v4, 23, 8
	s_wait_xcnt 0x0
	v_mov_b32_e32 v1, 0xff
	s_mov_b32 s13, exec_lo
	s_delay_alu instid0(VALU_DEP_2)
	v_cmpx_ne_u32_e32 0xff, v6
	s_cbranch_execz .LBB151_3174
; %bb.3173:
	v_and_b32_e32 v1, 0x400000, v4
	v_and_or_b32 v6, 0x3fffff, v4, v6
	s_delay_alu instid0(VALU_DEP_2) | instskip(NEXT) | instid1(VALU_DEP_2)
	v_cmp_ne_u32_e32 vcc_lo, 0, v1
	v_cmp_ne_u32_e64 s0, 0, v6
	v_lshrrev_b32_e32 v1, 23, v4
	s_and_b32 s0, vcc_lo, s0
	s_delay_alu instid0(SALU_CYCLE_1) | instskip(NEXT) | instid1(VALU_DEP_1)
	v_cndmask_b32_e64 v6, 0, 1, s0
	v_add_nc_u32_e32 v1, v1, v6
.LBB151_3174:
	s_or_b32 exec_lo, exec_lo, s13
	s_mov_b32 s0, 0
	s_mov_b32 s13, -1
	global_store_b8 v[2:3], v1, off
.LBB151_3175:
	s_mov_b32 s14, 0
.LBB151_3176:
	s_delay_alu instid0(SALU_CYCLE_1)
	s_and_b32 vcc_lo, exec_lo, s14
	s_cbranch_vccz .LBB151_3179
; %bb.3177:
	s_cmp_eq_u32 s6, 29
	s_mov_b32 s0, -1
	s_cbranch_scc0 .LBB151_3179
; %bb.3178:
	s_wait_xcnt 0x0
	v_trunc_f32_e32 v1, v4
	s_mov_b32 s0, 0
	s_mov_b32 s13, -1
	s_delay_alu instid0(VALU_DEP_1) | instskip(NEXT) | instid1(VALU_DEP_1)
	v_mul_f32_e32 v6, 0x2f800000, v1
	v_floor_f32_e32 v6, v6
	s_delay_alu instid0(VALU_DEP_1) | instskip(SKIP_1) | instid1(VALU_DEP_2)
	v_fmamk_f32 v1, v6, 0xcf800000, v1
	v_cvt_u32_f32_e32 v9, v6
	v_cvt_u32_f32_e32 v8, v1
	global_store_b64 v[2:3], v[8:9], off
.LBB151_3179:
	s_mov_b32 s14, 0
.LBB151_3180:
	s_delay_alu instid0(SALU_CYCLE_1)
	s_and_b32 vcc_lo, exec_lo, s14
	s_cbranch_vccz .LBB151_3196
; %bb.3181:
	s_cmp_lt_i32 s6, 27
	s_mov_b32 s13, -1
	s_cbranch_scc1 .LBB151_3187
; %bb.3182:
	s_cmp_gt_i32 s6, 27
	s_cbranch_scc0 .LBB151_3184
; %bb.3183:
	s_wait_xcnt 0x0
	v_cvt_u32_f32_e32 v1, v4
	s_mov_b32 s13, 0
	global_store_b32 v[2:3], v1, off
.LBB151_3184:
	s_and_not1_b32 vcc_lo, exec_lo, s13
	s_cbranch_vccnz .LBB151_3186
; %bb.3185:
	s_wait_xcnt 0x0
	v_cvt_u32_f32_e32 v1, v4
	global_store_b16 v[2:3], v1, off
.LBB151_3186:
	s_mov_b32 s13, 0
.LBB151_3187:
	s_delay_alu instid0(SALU_CYCLE_1)
	s_and_not1_b32 vcc_lo, exec_lo, s13
	s_cbranch_vccnz .LBB151_3195
; %bb.3188:
	s_wait_xcnt 0x0
	v_and_b32_e32 v1, 0x7fffffff, v4
	v_mov_b32_e32 v6, 0x80
	s_mov_b32 s13, exec_lo
	s_delay_alu instid0(VALU_DEP_2)
	v_cmpx_gt_u32_e32 0x43800000, v1
	s_cbranch_execz .LBB151_3194
; %bb.3189:
	v_cmp_lt_u32_e32 vcc_lo, 0x3bffffff, v1
	s_mov_b32 s14, 0
                                        ; implicit-def: $vgpr1
	s_and_saveexec_b32 s15, vcc_lo
	s_delay_alu instid0(SALU_CYCLE_1)
	s_xor_b32 s15, exec_lo, s15
	s_cbranch_execnz .LBB151_3427
; %bb.3190:
	s_and_not1_saveexec_b32 s15, s15
	s_cbranch_execnz .LBB151_3428
.LBB151_3191:
	s_or_b32 exec_lo, exec_lo, s15
	v_mov_b32_e32 v6, 0
	s_and_saveexec_b32 s15, s14
.LBB151_3192:
	v_lshrrev_b32_e32 v6, 24, v4
	s_delay_alu instid0(VALU_DEP_1)
	v_and_or_b32 v6, 0x80, v6, v1
.LBB151_3193:
	s_or_b32 exec_lo, exec_lo, s15
.LBB151_3194:
	s_delay_alu instid0(SALU_CYCLE_1)
	s_or_b32 exec_lo, exec_lo, s13
	global_store_b8 v[2:3], v6, off
.LBB151_3195:
	s_mov_b32 s13, -1
.LBB151_3196:
	s_mov_b32 s14, 0
.LBB151_3197:
	s_delay_alu instid0(SALU_CYCLE_1)
	s_and_b32 vcc_lo, exec_lo, s14
	s_cbranch_vccz .LBB151_3237
; %bb.3198:
	s_cmp_gt_i32 s6, 22
	s_mov_b32 s12, -1
	s_cbranch_scc0 .LBB151_3230
; %bb.3199:
	s_cmp_lt_i32 s6, 24
	s_cbranch_scc1 .LBB151_3219
; %bb.3200:
	s_cmp_gt_i32 s6, 24
	s_cbranch_scc0 .LBB151_3208
; %bb.3201:
	s_wait_xcnt 0x0
	v_and_b32_e32 v1, 0x7fffffff, v4
	v_mov_b32_e32 v6, 0x80
	s_mov_b32 s12, exec_lo
	s_delay_alu instid0(VALU_DEP_2)
	v_cmpx_gt_u32_e32 0x47800000, v1
	s_cbranch_execz .LBB151_3207
; %bb.3202:
	v_cmp_lt_u32_e32 vcc_lo, 0x37ffffff, v1
	s_mov_b32 s13, 0
                                        ; implicit-def: $vgpr1
	s_and_saveexec_b32 s14, vcc_lo
	s_delay_alu instid0(SALU_CYCLE_1)
	s_xor_b32 s14, exec_lo, s14
	s_cbranch_execnz .LBB151_3432
; %bb.3203:
	s_and_not1_saveexec_b32 s14, s14
	s_cbranch_execnz .LBB151_3433
.LBB151_3204:
	s_or_b32 exec_lo, exec_lo, s14
	v_mov_b32_e32 v6, 0
	s_and_saveexec_b32 s14, s13
.LBB151_3205:
	v_lshrrev_b32_e32 v6, 24, v4
	s_delay_alu instid0(VALU_DEP_1)
	v_and_or_b32 v6, 0x80, v6, v1
.LBB151_3206:
	s_or_b32 exec_lo, exec_lo, s14
.LBB151_3207:
	s_delay_alu instid0(SALU_CYCLE_1)
	s_or_b32 exec_lo, exec_lo, s12
	s_mov_b32 s12, 0
	global_store_b8 v[2:3], v6, off
.LBB151_3208:
	s_and_b32 vcc_lo, exec_lo, s12
	s_cbranch_vccz .LBB151_3218
; %bb.3209:
	s_wait_xcnt 0x0
	v_and_b32_e32 v6, 0x7fffffff, v4
	s_mov_b32 s12, exec_lo
                                        ; implicit-def: $vgpr1
	s_delay_alu instid0(VALU_DEP_1)
	v_cmpx_gt_u32_e32 0x43f00000, v6
	s_xor_b32 s12, exec_lo, s12
	s_cbranch_execz .LBB151_3215
; %bb.3210:
	s_mov_b32 s13, exec_lo
                                        ; implicit-def: $vgpr1
	v_cmpx_lt_u32_e32 0x3c7fffff, v6
	s_xor_b32 s13, exec_lo, s13
; %bb.3211:
	v_bfe_u32 v1, v4, 20, 1
	s_delay_alu instid0(VALU_DEP_1) | instskip(NEXT) | instid1(VALU_DEP_1)
	v_add3_u32 v1, v4, v1, 0x407ffff
	v_and_b32_e32 v6, 0xff00000, v1
	v_lshrrev_b32_e32 v1, 20, v1
	s_delay_alu instid0(VALU_DEP_2) | instskip(NEXT) | instid1(VALU_DEP_2)
	v_cmp_ne_u32_e32 vcc_lo, 0x7f00000, v6
	v_cndmask_b32_e32 v1, 0x7e, v1, vcc_lo
; %bb.3212:
	s_and_not1_saveexec_b32 s13, s13
; %bb.3213:
	v_add_f32_e64 v1, 0x46800000, |v4|
; %bb.3214:
	s_or_b32 exec_lo, exec_lo, s13
                                        ; implicit-def: $vgpr6
.LBB151_3215:
	s_and_not1_saveexec_b32 s12, s12
; %bb.3216:
	v_mov_b32_e32 v1, 0x7f
	v_cmp_lt_u32_e32 vcc_lo, 0x7f800000, v6
	s_delay_alu instid0(VALU_DEP_2)
	v_cndmask_b32_e32 v1, 0x7e, v1, vcc_lo
; %bb.3217:
	s_or_b32 exec_lo, exec_lo, s12
	v_lshrrev_b32_e32 v6, 24, v4
	s_delay_alu instid0(VALU_DEP_1)
	v_and_or_b32 v1, 0x80, v6, v1
	global_store_b8 v[2:3], v1, off
.LBB151_3218:
	s_mov_b32 s12, 0
.LBB151_3219:
	s_delay_alu instid0(SALU_CYCLE_1)
	s_and_not1_b32 vcc_lo, exec_lo, s12
	s_cbranch_vccnz .LBB151_3229
; %bb.3220:
	s_wait_xcnt 0x0
	v_and_b32_e32 v6, 0x7fffffff, v4
	s_mov_b32 s12, exec_lo
                                        ; implicit-def: $vgpr1
	s_delay_alu instid0(VALU_DEP_1)
	v_cmpx_gt_u32_e32 0x47800000, v6
	s_xor_b32 s12, exec_lo, s12
	s_cbranch_execz .LBB151_3226
; %bb.3221:
	s_mov_b32 s13, exec_lo
                                        ; implicit-def: $vgpr1
	v_cmpx_lt_u32_e32 0x387fffff, v6
	s_xor_b32 s13, exec_lo, s13
; %bb.3222:
	v_bfe_u32 v1, v4, 21, 1
	s_delay_alu instid0(VALU_DEP_1) | instskip(NEXT) | instid1(VALU_DEP_1)
	v_add3_u32 v1, v4, v1, 0x80fffff
	v_lshrrev_b32_e32 v1, 21, v1
; %bb.3223:
	s_and_not1_saveexec_b32 s13, s13
; %bb.3224:
	v_add_f32_e64 v1, 0x43000000, |v4|
; %bb.3225:
	s_or_b32 exec_lo, exec_lo, s13
                                        ; implicit-def: $vgpr6
.LBB151_3226:
	s_and_not1_saveexec_b32 s12, s12
; %bb.3227:
	v_mov_b32_e32 v1, 0x7f
	v_cmp_lt_u32_e32 vcc_lo, 0x7f800000, v6
	s_delay_alu instid0(VALU_DEP_2)
	v_cndmask_b32_e32 v1, 0x7c, v1, vcc_lo
; %bb.3228:
	s_or_b32 exec_lo, exec_lo, s12
	v_lshrrev_b32_e32 v6, 24, v4
	s_delay_alu instid0(VALU_DEP_1)
	v_and_or_b32 v1, 0x80, v6, v1
	global_store_b8 v[2:3], v1, off
.LBB151_3229:
	s_mov_b32 s12, 0
	s_mov_b32 s13, -1
.LBB151_3230:
	s_and_not1_b32 vcc_lo, exec_lo, s12
	s_mov_b32 s12, 0
	s_cbranch_vccnz .LBB151_3237
; %bb.3231:
	s_cmp_gt_i32 s6, 14
	s_mov_b32 s12, -1
	s_cbranch_scc0 .LBB151_3235
; %bb.3232:
	s_cmp_eq_u32 s6, 15
	s_mov_b32 s0, -1
	s_cbranch_scc0 .LBB151_3234
; %bb.3233:
	s_wait_xcnt 0x0
	v_bfe_u32 v1, v4, 16, 1
	v_cmp_o_f32_e32 vcc_lo, v4, v4
	s_mov_b32 s0, 0
	s_mov_b32 s13, -1
	s_delay_alu instid0(VALU_DEP_2) | instskip(NEXT) | instid1(VALU_DEP_1)
	v_add3_u32 v1, v4, v1, 0x7fff
	v_lshrrev_b32_e32 v1, 16, v1
	s_delay_alu instid0(VALU_DEP_1)
	v_cndmask_b32_e32 v1, 0x7fc0, v1, vcc_lo
	global_store_b16 v[2:3], v1, off
.LBB151_3234:
	s_mov_b32 s12, 0
.LBB151_3235:
	s_delay_alu instid0(SALU_CYCLE_1)
	s_and_b32 vcc_lo, exec_lo, s12
	s_mov_b32 s12, 0
	s_cbranch_vccz .LBB151_3237
; %bb.3236:
	s_cmp_lg_u32 s6, 11
	s_mov_b32 s12, -1
	s_cselect_b32 s0, -1, 0
.LBB151_3237:
	s_delay_alu instid0(SALU_CYCLE_1)
	s_and_b32 vcc_lo, exec_lo, s0
	s_cbranch_vccnz .LBB151_3422
; %bb.3238:
	s_and_not1_b32 vcc_lo, exec_lo, s12
	s_cbranch_vccnz .LBB151_3240
.LBB151_3239:
	v_cmp_neq_f32_e32 vcc_lo, 0, v4
	v_cmp_neq_f32_e64 s0, 0, v7
	s_mov_b32 s13, -1
	s_or_b32 s0, vcc_lo, s0
	s_wait_xcnt 0x0
	v_cndmask_b32_e64 v1, 0, 1, s0
	global_store_b8 v[2:3], v1, off
.LBB151_3240:
	s_mov_b32 s0, 0
	s_branch .LBB151_3242
.LBB151_3241:
	s_mov_b32 s0, -1
	s_mov_b32 s13, 0
.LBB151_3242:
	s_and_b32 vcc_lo, exec_lo, s0
	s_cbranch_vccz .LBB151_3281
; %bb.3243:
	s_cmp_lt_i32 s6, 5
	s_mov_b32 s0, -1
	s_cbranch_scc1 .LBB151_3264
; %bb.3244:
	s_cmp_lt_i32 s6, 8
	s_cbranch_scc1 .LBB151_3254
; %bb.3245:
	s_cmp_lt_i32 s6, 9
	s_cbranch_scc1 .LBB151_3251
; %bb.3246:
	s_cmp_gt_i32 s6, 9
	s_cbranch_scc0 .LBB151_3248
; %bb.3247:
	v_cvt_f64_f32_e32 v[12:13], v4
	v_cvt_f64_f32_e32 v[14:15], v7
	s_mov_b32 s0, 0
	global_store_b128 v[2:3], v[12:15], off
.LBB151_3248:
	s_and_not1_b32 vcc_lo, exec_lo, s0
	s_cbranch_vccnz .LBB151_3250
; %bb.3249:
	global_store_b64 v[2:3], v[4:5], off
.LBB151_3250:
	s_mov_b32 s0, 0
.LBB151_3251:
	s_delay_alu instid0(SALU_CYCLE_1)
	s_and_not1_b32 vcc_lo, exec_lo, s0
	s_cbranch_vccnz .LBB151_3253
; %bb.3252:
	s_wait_xcnt 0x0
	v_cvt_f16_f32_e32 v1, v7
	v_cvt_f16_f32_e32 v5, v4
	s_delay_alu instid0(VALU_DEP_2) | instskip(NEXT) | instid1(VALU_DEP_2)
	v_lshlrev_b32_e32 v1, 16, v1
	v_and_b32_e32 v5, 0xffff, v5
	s_delay_alu instid0(VALU_DEP_1)
	v_or_b32_e32 v1, v1, v5
	global_store_b32 v[2:3], v1, off
.LBB151_3253:
	s_mov_b32 s0, 0
.LBB151_3254:
	s_delay_alu instid0(SALU_CYCLE_1)
	s_and_not1_b32 vcc_lo, exec_lo, s0
	s_cbranch_vccnz .LBB151_3263
; %bb.3255:
	s_cmp_lt_i32 s6, 6
	s_mov_b32 s0, -1
	s_cbranch_scc1 .LBB151_3261
; %bb.3256:
	s_cmp_gt_i32 s6, 6
	s_cbranch_scc0 .LBB151_3258
; %bb.3257:
	s_wait_xcnt 0x0
	v_cvt_f64_f32_e32 v[6:7], v4
	s_mov_b32 s0, 0
	global_store_b64 v[2:3], v[6:7], off
.LBB151_3258:
	s_and_not1_b32 vcc_lo, exec_lo, s0
	s_cbranch_vccnz .LBB151_3260
; %bb.3259:
	global_store_b32 v[2:3], v4, off
.LBB151_3260:
	s_mov_b32 s0, 0
.LBB151_3261:
	s_delay_alu instid0(SALU_CYCLE_1)
	s_and_not1_b32 vcc_lo, exec_lo, s0
	s_cbranch_vccnz .LBB151_3263
; %bb.3262:
	s_wait_xcnt 0x0
	v_cvt_f16_f32_e32 v1, v4
	global_store_b16 v[2:3], v1, off
.LBB151_3263:
	s_mov_b32 s0, 0
.LBB151_3264:
	s_delay_alu instid0(SALU_CYCLE_1)
	s_and_not1_b32 vcc_lo, exec_lo, s0
	s_cbranch_vccnz .LBB151_3280
; %bb.3265:
	s_cmp_lt_i32 s6, 2
	s_mov_b32 s0, -1
	s_cbranch_scc1 .LBB151_3275
; %bb.3266:
	s_cmp_lt_i32 s6, 3
	s_cbranch_scc1 .LBB151_3272
; %bb.3267:
	s_cmp_gt_i32 s6, 3
	s_cbranch_scc0 .LBB151_3269
; %bb.3268:
	s_wait_xcnt 0x0
	v_trunc_f32_e32 v1, v4
	s_mov_b32 s0, 0
	s_delay_alu instid0(VALU_DEP_1) | instskip(SKIP_1) | instid1(VALU_DEP_2)
	v_mul_f32_e64 v5, 0x2f800000, |v1|
	v_ashrrev_i32_e32 v6, 31, v1
	v_floor_f32_e32 v5, v5
	s_delay_alu instid0(VALU_DEP_1) | instskip(SKIP_1) | instid1(VALU_DEP_2)
	v_fma_f32 v7, 0xcf800000, v5, |v1|
	v_cvt_u32_f32_e32 v1, v5
	v_cvt_u32_f32_e32 v5, v7
	s_delay_alu instid0(VALU_DEP_2) | instskip(NEXT) | instid1(VALU_DEP_2)
	v_dual_mov_b32 v7, v6 :: v_dual_bitop2_b32 v9, v1, v6 bitop3:0x14
	v_xor_b32_e32 v8, v5, v6
	s_delay_alu instid0(VALU_DEP_1)
	v_sub_nc_u64_e32 v[6:7], v[8:9], v[6:7]
	global_store_b64 v[2:3], v[6:7], off
.LBB151_3269:
	s_and_not1_b32 vcc_lo, exec_lo, s0
	s_cbranch_vccnz .LBB151_3271
; %bb.3270:
	s_wait_xcnt 0x0
	v_cvt_i32_f32_e32 v1, v4
	global_store_b32 v[2:3], v1, off
.LBB151_3271:
	s_mov_b32 s0, 0
.LBB151_3272:
	s_delay_alu instid0(SALU_CYCLE_1)
	s_and_not1_b32 vcc_lo, exec_lo, s0
	s_cbranch_vccnz .LBB151_3274
; %bb.3273:
	s_wait_xcnt 0x0
	v_cvt_i32_f32_e32 v1, v4
	global_store_b16 v[2:3], v1, off
.LBB151_3274:
	s_mov_b32 s0, 0
.LBB151_3275:
	s_delay_alu instid0(SALU_CYCLE_1)
	s_and_not1_b32 vcc_lo, exec_lo, s0
	s_cbranch_vccnz .LBB151_3280
; %bb.3276:
	s_cmp_gt_i32 s6, 0
	s_mov_b32 s0, -1
	s_cbranch_scc0 .LBB151_3278
; %bb.3277:
	s_wait_xcnt 0x0
	v_cvt_i32_f32_e32 v1, v4
	s_mov_b32 s0, 0
	global_store_b8 v[2:3], v1, off
.LBB151_3278:
	s_and_not1_b32 vcc_lo, exec_lo, s0
	s_cbranch_vccnz .LBB151_3280
; %bb.3279:
	s_wait_xcnt 0x0
	v_trunc_f32_e32 v1, v4
	s_delay_alu instid0(VALU_DEP_1) | instskip(NEXT) | instid1(VALU_DEP_1)
	v_mul_f32_e64 v4, 0x2f800000, |v1|
	v_floor_f32_e32 v4, v4
	s_delay_alu instid0(VALU_DEP_1) | instskip(SKIP_1) | instid1(VALU_DEP_2)
	v_fma_f32 v4, 0xcf800000, v4, |v1|
	v_ashrrev_i32_e32 v1, 31, v1
	v_cvt_u32_f32_e32 v4, v4
	s_delay_alu instid0(VALU_DEP_1) | instskip(NEXT) | instid1(VALU_DEP_1)
	v_xor_b32_e32 v4, v4, v1
	v_sub_nc_u32_e32 v1, v4, v1
	global_store_b8 v[2:3], v1, off
.LBB151_3280:
	s_mov_b32 s13, -1
.LBB151_3281:
	s_delay_alu instid0(SALU_CYCLE_1)
	s_and_not1_b32 vcc_lo, exec_lo, s13
	s_cbranch_vccnz .LBB151_3358
; %bb.3282:
	s_wait_xcnt 0x0
	v_mov_b64_e32 v[2:3], s[8:9]
	v_mov_b64_e32 v[4:5], s[4:5]
	v_dual_mov_b32 v7, v10 :: v_dual_mov_b32 v1, 0
	s_cmp_lt_i32 s6, 11
	s_delay_alu instid0(VALU_DEP_3) | instskip(SKIP_1) | instid1(VALU_DEP_4)
	v_pk_mul_f32 v[2:3], v[16:17], v[2:3]
	v_mov_b32_e32 v6, v11
	v_pk_mul_f32 v[4:5], v[16:17], v[4:5]
	s_delay_alu instid0(VALU_DEP_3) | instskip(NEXT) | instid1(VALU_DEP_2)
	v_add_f32_e32 v2, v2, v3
	v_pk_add_f32 v[4:5], v[4:5], v[4:5] op_sel:[0,1] op_sel_hi:[0,1] neg_lo:[0,1] neg_hi:[0,1]
	s_delay_alu instid0(VALU_DEP_2) | instskip(SKIP_1) | instid1(VALU_DEP_2)
	v_pk_mul_f32 v[8:9], v[2:3], v[6:7] op_sel_hi:[0,1]
	v_add_nc_u64_e32 v[2:3], s[2:3], v[0:1]
	v_pk_fma_f32 v[6:7], v[4:5], v[10:11], v[8:9]
	v_pk_fma_f32 v[4:5], v[4:5], v[10:11], v[8:9] neg_lo:[0,0,1] neg_hi:[0,0,1]
	s_delay_alu instid0(VALU_DEP_2)
	v_mov_b32_e32 v5, v7
	s_cbranch_scc1 .LBB151_3403
; %bb.3283:
	s_mov_b32 s3, -1
	s_mov_b32 s2, 0
	s_cmp_gt_i32 s6, 25
	s_mov_b32 s0, 0
	s_cbranch_scc0 .LBB151_3316
; %bb.3284:
	s_cmp_gt_i32 s6, 28
	s_cbranch_scc0 .LBB151_3300
; %bb.3285:
	s_cmp_gt_i32 s6, 43
	;; [unrolled: 3-line block ×3, first 2 shown]
	s_cbranch_scc0 .LBB151_3290
; %bb.3287:
	s_cmp_eq_u32 s6, 46
	s_mov_b32 s0, -1
	s_cbranch_scc0 .LBB151_3289
; %bb.3288:
	v_dual_lshrrev_b32 v0, 16, v4 :: v_dual_lshrrev_b32 v1, 16, v5
	v_cmp_o_f32_e32 vcc_lo, v4, v4
	s_mov_b32 s0, 0
	s_delay_alu instid0(VALU_DEP_2) | instskip(NEXT) | instid1(VALU_DEP_1)
	v_and_b32_e32 v0, 1, v0
	v_add3_u32 v0, v4, v0, 0x7fff
	s_delay_alu instid0(VALU_DEP_1) | instskip(NEXT) | instid1(VALU_DEP_1)
	v_dual_lshrrev_b32 v0, 16, v0 :: v_dual_bitop2_b32 v1, 1, v1 bitop3:0x40
	v_add3_u32 v1, v5, v1, 0x7fff
	s_delay_alu instid0(VALU_DEP_2) | instskip(NEXT) | instid1(VALU_DEP_2)
	v_cndmask_b32_e32 v0, 0x7fc0, v0, vcc_lo
	v_and_b32_e32 v1, 0xffff0000, v1
	v_cmp_o_f32_e32 vcc_lo, v7, v7
	s_delay_alu instid0(VALU_DEP_2) | instskip(NEXT) | instid1(VALU_DEP_1)
	v_cndmask_b32_e32 v1, 0x7fc00000, v1, vcc_lo
	v_or_b32_e32 v0, v1, v0
	global_store_b32 v[2:3], v0, off
.LBB151_3289:
	s_mov_b32 s3, 0
.LBB151_3290:
	s_delay_alu instid0(SALU_CYCLE_1)
	s_and_b32 vcc_lo, exec_lo, s3
	s_cbranch_vccz .LBB151_3295
; %bb.3291:
	s_cmp_eq_u32 s6, 44
	s_mov_b32 s0, -1
	s_cbranch_scc0 .LBB151_3295
; %bb.3292:
	v_bfe_u32 v1, v4, 23, 8
	s_wait_xcnt 0x0
	v_mov_b32_e32 v0, 0xff
	s_mov_b32 s3, exec_lo
	s_delay_alu instid0(VALU_DEP_2)
	v_cmpx_ne_u32_e32 0xff, v1
	s_cbranch_execz .LBB151_3294
; %bb.3293:
	v_and_b32_e32 v0, 0x400000, v4
	v_and_or_b32 v1, 0x3fffff, v4, v1
	s_delay_alu instid0(VALU_DEP_2) | instskip(NEXT) | instid1(VALU_DEP_2)
	v_cmp_ne_u32_e32 vcc_lo, 0, v0
	v_cmp_ne_u32_e64 s0, 0, v1
	v_lshrrev_b32_e32 v0, 23, v4
	s_and_b32 s0, vcc_lo, s0
	s_delay_alu instid0(SALU_CYCLE_1) | instskip(NEXT) | instid1(VALU_DEP_1)
	v_cndmask_b32_e64 v1, 0, 1, s0
	v_add_nc_u32_e32 v0, v0, v1
.LBB151_3294:
	s_or_b32 exec_lo, exec_lo, s3
	s_mov_b32 s0, 0
	global_store_b8 v[2:3], v0, off
.LBB151_3295:
	s_mov_b32 s3, 0
.LBB151_3296:
	s_delay_alu instid0(SALU_CYCLE_1)
	s_and_b32 vcc_lo, exec_lo, s3
	s_cbranch_vccz .LBB151_3299
; %bb.3297:
	s_cmp_eq_u32 s6, 29
	s_mov_b32 s0, -1
	s_cbranch_scc0 .LBB151_3299
; %bb.3298:
	s_wait_xcnt 0x0
	v_trunc_f32_e32 v0, v4
	s_mov_b32 s0, 0
	s_delay_alu instid0(VALU_DEP_1) | instskip(NEXT) | instid1(VALU_DEP_1)
	v_mul_f32_e32 v1, 0x2f800000, v0
	v_floor_f32_e32 v1, v1
	s_delay_alu instid0(VALU_DEP_1) | instskip(SKIP_1) | instid1(VALU_DEP_2)
	v_fmamk_f32 v0, v1, 0xcf800000, v0
	v_cvt_u32_f32_e32 v1, v1
	v_cvt_u32_f32_e32 v0, v0
	global_store_b64 v[2:3], v[0:1], off
.LBB151_3299:
	s_mov_b32 s3, 0
.LBB151_3300:
	s_delay_alu instid0(SALU_CYCLE_1)
	s_and_b32 vcc_lo, exec_lo, s3
	s_cbranch_vccz .LBB151_3315
; %bb.3301:
	s_cmp_lt_i32 s6, 27
	s_mov_b32 s3, -1
	s_cbranch_scc1 .LBB151_3307
; %bb.3302:
	s_wait_xcnt 0x0
	v_cvt_u32_f32_e32 v0, v4
	s_cmp_gt_i32 s6, 27
	s_cbranch_scc0 .LBB151_3304
; %bb.3303:
	s_mov_b32 s3, 0
	global_store_b32 v[2:3], v0, off
.LBB151_3304:
	s_and_not1_b32 vcc_lo, exec_lo, s3
	s_cbranch_vccnz .LBB151_3306
; %bb.3305:
	global_store_b16 v[2:3], v0, off
.LBB151_3306:
	s_mov_b32 s3, 0
.LBB151_3307:
	s_delay_alu instid0(SALU_CYCLE_1)
	s_and_not1_b32 vcc_lo, exec_lo, s3
	s_cbranch_vccnz .LBB151_3315
; %bb.3308:
	s_wait_xcnt 0x0
	v_and_b32_e32 v0, 0x7fffffff, v4
	v_mov_b32_e32 v1, 0x80
	s_mov_b32 s3, exec_lo
	s_delay_alu instid0(VALU_DEP_2)
	v_cmpx_gt_u32_e32 0x43800000, v0
	s_cbranch_execz .LBB151_3314
; %bb.3309:
	v_cmp_lt_u32_e32 vcc_lo, 0x3bffffff, v0
	s_mov_b32 s4, 0
                                        ; implicit-def: $vgpr0
	s_and_saveexec_b32 s5, vcc_lo
	s_delay_alu instid0(SALU_CYCLE_1)
	s_xor_b32 s5, exec_lo, s5
	s_cbranch_execnz .LBB151_3436
; %bb.3310:
	s_and_not1_saveexec_b32 s5, s5
	s_cbranch_execnz .LBB151_3437
.LBB151_3311:
	s_or_b32 exec_lo, exec_lo, s5
	v_mov_b32_e32 v1, 0
	s_and_saveexec_b32 s5, s4
.LBB151_3312:
	v_lshrrev_b32_e32 v1, 24, v4
	s_delay_alu instid0(VALU_DEP_1)
	v_and_or_b32 v1, 0x80, v1, v0
.LBB151_3313:
	s_or_b32 exec_lo, exec_lo, s5
.LBB151_3314:
	s_delay_alu instid0(SALU_CYCLE_1)
	s_or_b32 exec_lo, exec_lo, s3
	global_store_b8 v[2:3], v1, off
.LBB151_3315:
	s_mov_b32 s3, 0
.LBB151_3316:
	s_delay_alu instid0(SALU_CYCLE_1)
	s_and_b32 vcc_lo, exec_lo, s3
	s_cbranch_vccz .LBB151_3356
; %bb.3317:
	s_cmp_gt_i32 s6, 22
	s_mov_b32 s2, -1
	s_cbranch_scc0 .LBB151_3349
; %bb.3318:
	s_cmp_lt_i32 s6, 24
	s_cbranch_scc1 .LBB151_3338
; %bb.3319:
	s_cmp_gt_i32 s6, 24
	s_cbranch_scc0 .LBB151_3327
; %bb.3320:
	s_wait_xcnt 0x0
	v_and_b32_e32 v0, 0x7fffffff, v4
	v_mov_b32_e32 v1, 0x80
	s_mov_b32 s2, exec_lo
	s_delay_alu instid0(VALU_DEP_2)
	v_cmpx_gt_u32_e32 0x47800000, v0
	s_cbranch_execz .LBB151_3326
; %bb.3321:
	v_cmp_lt_u32_e32 vcc_lo, 0x37ffffff, v0
	s_mov_b32 s3, 0
                                        ; implicit-def: $vgpr0
	s_and_saveexec_b32 s4, vcc_lo
	s_delay_alu instid0(SALU_CYCLE_1)
	s_xor_b32 s4, exec_lo, s4
	s_cbranch_execnz .LBB151_3440
; %bb.3322:
	s_and_not1_saveexec_b32 s4, s4
	s_cbranch_execnz .LBB151_3441
.LBB151_3323:
	s_or_b32 exec_lo, exec_lo, s4
	v_mov_b32_e32 v1, 0
	s_and_saveexec_b32 s4, s3
.LBB151_3324:
	v_lshrrev_b32_e32 v1, 24, v4
	s_delay_alu instid0(VALU_DEP_1)
	v_and_or_b32 v1, 0x80, v1, v0
.LBB151_3325:
	s_or_b32 exec_lo, exec_lo, s4
.LBB151_3326:
	s_delay_alu instid0(SALU_CYCLE_1)
	s_or_b32 exec_lo, exec_lo, s2
	s_mov_b32 s2, 0
	global_store_b8 v[2:3], v1, off
.LBB151_3327:
	s_and_b32 vcc_lo, exec_lo, s2
	s_cbranch_vccz .LBB151_3337
; %bb.3328:
	s_wait_xcnt 0x0
	v_and_b32_e32 v1, 0x7fffffff, v4
	s_mov_b32 s2, exec_lo
                                        ; implicit-def: $vgpr0
	s_delay_alu instid0(VALU_DEP_1)
	v_cmpx_gt_u32_e32 0x43f00000, v1
	s_xor_b32 s2, exec_lo, s2
	s_cbranch_execz .LBB151_3334
; %bb.3329:
	s_mov_b32 s3, exec_lo
                                        ; implicit-def: $vgpr0
	v_cmpx_lt_u32_e32 0x3c7fffff, v1
	s_xor_b32 s3, exec_lo, s3
; %bb.3330:
	v_bfe_u32 v0, v4, 20, 1
	s_delay_alu instid0(VALU_DEP_1) | instskip(NEXT) | instid1(VALU_DEP_1)
	v_add3_u32 v0, v4, v0, 0x407ffff
	v_and_b32_e32 v1, 0xff00000, v0
	v_lshrrev_b32_e32 v0, 20, v0
	s_delay_alu instid0(VALU_DEP_2) | instskip(NEXT) | instid1(VALU_DEP_2)
	v_cmp_ne_u32_e32 vcc_lo, 0x7f00000, v1
	v_cndmask_b32_e32 v0, 0x7e, v0, vcc_lo
; %bb.3331:
	s_and_not1_saveexec_b32 s3, s3
; %bb.3332:
	v_add_f32_e64 v0, 0x46800000, |v4|
; %bb.3333:
	s_or_b32 exec_lo, exec_lo, s3
                                        ; implicit-def: $vgpr1
.LBB151_3334:
	s_and_not1_saveexec_b32 s2, s2
; %bb.3335:
	v_mov_b32_e32 v0, 0x7f
	v_cmp_lt_u32_e32 vcc_lo, 0x7f800000, v1
	s_delay_alu instid0(VALU_DEP_2)
	v_cndmask_b32_e32 v0, 0x7e, v0, vcc_lo
; %bb.3336:
	s_or_b32 exec_lo, exec_lo, s2
	v_lshrrev_b32_e32 v1, 24, v4
	s_delay_alu instid0(VALU_DEP_1)
	v_and_or_b32 v0, 0x80, v1, v0
	global_store_b8 v[2:3], v0, off
.LBB151_3337:
	s_mov_b32 s2, 0
.LBB151_3338:
	s_delay_alu instid0(SALU_CYCLE_1)
	s_and_not1_b32 vcc_lo, exec_lo, s2
	s_cbranch_vccnz .LBB151_3348
; %bb.3339:
	s_wait_xcnt 0x0
	v_and_b32_e32 v1, 0x7fffffff, v4
	s_mov_b32 s2, exec_lo
                                        ; implicit-def: $vgpr0
	s_delay_alu instid0(VALU_DEP_1)
	v_cmpx_gt_u32_e32 0x47800000, v1
	s_xor_b32 s2, exec_lo, s2
	s_cbranch_execz .LBB151_3345
; %bb.3340:
	s_mov_b32 s3, exec_lo
                                        ; implicit-def: $vgpr0
	v_cmpx_lt_u32_e32 0x387fffff, v1
	s_xor_b32 s3, exec_lo, s3
; %bb.3341:
	v_bfe_u32 v0, v4, 21, 1
	s_delay_alu instid0(VALU_DEP_1) | instskip(NEXT) | instid1(VALU_DEP_1)
	v_add3_u32 v0, v4, v0, 0x80fffff
	v_lshrrev_b32_e32 v0, 21, v0
; %bb.3342:
	s_and_not1_saveexec_b32 s3, s3
; %bb.3343:
	v_add_f32_e64 v0, 0x43000000, |v4|
; %bb.3344:
	s_or_b32 exec_lo, exec_lo, s3
                                        ; implicit-def: $vgpr1
.LBB151_3345:
	s_and_not1_saveexec_b32 s2, s2
; %bb.3346:
	v_mov_b32_e32 v0, 0x7f
	v_cmp_lt_u32_e32 vcc_lo, 0x7f800000, v1
	s_delay_alu instid0(VALU_DEP_2)
	v_cndmask_b32_e32 v0, 0x7c, v0, vcc_lo
; %bb.3347:
	s_or_b32 exec_lo, exec_lo, s2
	v_lshrrev_b32_e32 v1, 24, v4
	s_delay_alu instid0(VALU_DEP_1)
	v_and_or_b32 v0, 0x80, v1, v0
	global_store_b8 v[2:3], v0, off
.LBB151_3348:
	s_mov_b32 s2, 0
.LBB151_3349:
	s_delay_alu instid0(SALU_CYCLE_1)
	s_and_not1_b32 vcc_lo, exec_lo, s2
	s_mov_b32 s2, 0
	s_cbranch_vccnz .LBB151_3356
; %bb.3350:
	s_cmp_gt_i32 s6, 14
	s_mov_b32 s2, -1
	s_cbranch_scc0 .LBB151_3354
; %bb.3351:
	s_cmp_eq_u32 s6, 15
	s_mov_b32 s0, -1
	s_cbranch_scc0 .LBB151_3353
; %bb.3352:
	s_wait_xcnt 0x0
	v_bfe_u32 v0, v4, 16, 1
	v_cmp_o_f32_e32 vcc_lo, v4, v4
	s_mov_b32 s0, 0
	s_delay_alu instid0(VALU_DEP_2) | instskip(NEXT) | instid1(VALU_DEP_1)
	v_add3_u32 v0, v4, v0, 0x7fff
	v_lshrrev_b32_e32 v0, 16, v0
	s_delay_alu instid0(VALU_DEP_1)
	v_cndmask_b32_e32 v0, 0x7fc0, v0, vcc_lo
	global_store_b16 v[2:3], v0, off
.LBB151_3353:
	s_mov_b32 s2, 0
.LBB151_3354:
	s_delay_alu instid0(SALU_CYCLE_1)
	s_and_b32 vcc_lo, exec_lo, s2
	s_mov_b32 s2, 0
	s_cbranch_vccz .LBB151_3356
; %bb.3355:
	s_cmp_lg_u32 s6, 11
	s_mov_b32 s2, -1
	s_cselect_b32 s0, -1, 0
.LBB151_3356:
	s_delay_alu instid0(SALU_CYCLE_1)
	s_and_b32 vcc_lo, exec_lo, s0
	s_cbranch_vccnz .LBB151_3431
.LBB151_3357:
	s_mov_b32 s0, 0
	s_branch .LBB151_3359
.LBB151_3358:
	s_mov_b32 s0, 0
	s_mov_b32 s2, 0
                                        ; implicit-def: $vgpr2_vgpr3
                                        ; implicit-def: $sgpr1
                                        ; implicit-def: $vgpr4_vgpr5
                                        ; implicit-def: $vgpr6_vgpr7
.LBB151_3359:
	s_and_b32 s4, s0, exec_lo
	s_and_not1_b32 s0, s7, exec_lo
	s_and_b32 s5, s11, exec_lo
	s_and_b32 s3, s2, exec_lo
	s_or_b32 s7, s0, s5
.LBB151_3360:
	s_wait_xcnt 0x0
	s_or_b32 exec_lo, exec_lo, s10
	s_and_saveexec_b32 s0, s7
	s_cbranch_execnz .LBB151_3364
; %bb.3361:
	s_or_b32 exec_lo, exec_lo, s0
	s_and_saveexec_b32 s0, s3
	s_delay_alu instid0(SALU_CYCLE_1)
	s_xor_b32 s2, exec_lo, s0
	s_cbranch_execnz .LBB151_3365
.LBB151_3362:
	s_or_b32 exec_lo, exec_lo, s2
	s_and_saveexec_b32 s0, s4
	s_cbranch_execnz .LBB151_3366
.LBB151_3363:
	s_endpgm
.LBB151_3364:
	; divergent unreachable
	s_or_b32 exec_lo, exec_lo, s0
	s_and_saveexec_b32 s0, s3
	s_delay_alu instid0(SALU_CYCLE_1)
	s_xor_b32 s2, exec_lo, s0
	s_cbranch_execz .LBB151_3362
.LBB151_3365:
	s_wait_loadcnt 0x0
	v_cmp_neq_f32_e32 vcc_lo, 0, v4
	v_cmp_neq_f32_e64 s0, 0, v7
	s_or_b32 s0, vcc_lo, s0
	s_delay_alu instid0(SALU_CYCLE_1)
	v_cndmask_b32_e64 v0, 0, 1, s0
	global_store_b8 v[2:3], v0, off
	s_wait_xcnt 0x0
	s_or_b32 exec_lo, exec_lo, s2
	s_and_saveexec_b32 s0, s4
	s_cbranch_execz .LBB151_3363
.LBB151_3366:
	s_sext_i32_i16 s2, s1
	s_mov_b32 s0, -1
	s_cmp_lt_i32 s2, 5
	s_cbranch_scc1 .LBB151_3387
; %bb.3367:
	s_cmp_lt_i32 s2, 8
	s_cbranch_scc1 .LBB151_3377
; %bb.3368:
	;; [unrolled: 3-line block ×3, first 2 shown]
	s_cmp_gt_i32 s2, 9
	s_cbranch_scc0 .LBB151_3371
; %bb.3370:
	s_wait_loadcnt 0x0
	v_cvt_f64_f32_e32 v[8:9], v4
	v_cvt_f64_f32_e32 v[10:11], v7
	s_mov_b32 s0, 0
	global_store_b128 v[2:3], v[8:11], off
.LBB151_3371:
	s_and_not1_b32 vcc_lo, exec_lo, s0
	s_cbranch_vccnz .LBB151_3373
; %bb.3372:
	s_wait_loadcnt 0x0
	global_store_b64 v[2:3], v[4:5], off
.LBB151_3373:
	s_mov_b32 s0, 0
.LBB151_3374:
	s_delay_alu instid0(SALU_CYCLE_1)
	s_and_not1_b32 vcc_lo, exec_lo, s0
	s_cbranch_vccnz .LBB151_3376
; %bb.3375:
	s_wait_loadcnt 0x0
	v_cvt_f16_f32_e32 v0, v7
	v_cvt_f16_f32_e32 v1, v4
	s_delay_alu instid0(VALU_DEP_2) | instskip(NEXT) | instid1(VALU_DEP_2)
	v_lshlrev_b32_e32 v0, 16, v0
	v_and_b32_e32 v1, 0xffff, v1
	s_delay_alu instid0(VALU_DEP_1)
	v_or_b32_e32 v0, v0, v1
	global_store_b32 v[2:3], v0, off
.LBB151_3376:
	s_mov_b32 s0, 0
.LBB151_3377:
	s_delay_alu instid0(SALU_CYCLE_1)
	s_and_not1_b32 vcc_lo, exec_lo, s0
	s_cbranch_vccnz .LBB151_3386
; %bb.3378:
	s_sext_i32_i16 s2, s1
	s_mov_b32 s0, -1
	s_cmp_lt_i32 s2, 6
	s_cbranch_scc1 .LBB151_3384
; %bb.3379:
	s_cmp_gt_i32 s2, 6
	s_cbranch_scc0 .LBB151_3381
; %bb.3380:
	s_wait_loadcnt 0x0
	v_cvt_f64_f32_e32 v[0:1], v4
	s_mov_b32 s0, 0
	global_store_b64 v[2:3], v[0:1], off
.LBB151_3381:
	s_and_not1_b32 vcc_lo, exec_lo, s0
	s_cbranch_vccnz .LBB151_3383
; %bb.3382:
	s_wait_loadcnt 0x0
	global_store_b32 v[2:3], v4, off
.LBB151_3383:
	s_mov_b32 s0, 0
.LBB151_3384:
	s_delay_alu instid0(SALU_CYCLE_1)
	s_and_not1_b32 vcc_lo, exec_lo, s0
	s_cbranch_vccnz .LBB151_3386
; %bb.3385:
	s_wait_loadcnt 0x0
	v_cvt_f16_f32_e32 v0, v4
	global_store_b16 v[2:3], v0, off
.LBB151_3386:
	s_mov_b32 s0, 0
.LBB151_3387:
	s_delay_alu instid0(SALU_CYCLE_1)
	s_and_not1_b32 vcc_lo, exec_lo, s0
	s_cbranch_vccnz .LBB151_3363
; %bb.3388:
	s_sext_i32_i16 s2, s1
	s_mov_b32 s0, -1
	s_cmp_lt_i32 s2, 2
	s_cbranch_scc1 .LBB151_3398
; %bb.3389:
	s_cmp_lt_i32 s2, 3
	s_cbranch_scc1 .LBB151_3395
; %bb.3390:
	s_cmp_gt_i32 s2, 3
	s_cbranch_scc0 .LBB151_3392
; %bb.3391:
	s_wait_loadcnt 0x0
	v_trunc_f32_e32 v0, v4
	s_mov_b32 s0, 0
	s_delay_alu instid0(VALU_DEP_1) | instskip(NEXT) | instid1(VALU_DEP_1)
	v_mul_f32_e64 v1, 0x2f800000, |v0|
	v_floor_f32_e32 v1, v1
	s_delay_alu instid0(VALU_DEP_1) | instskip(SKIP_2) | instid1(VALU_DEP_3)
	v_fma_f32 v5, 0xcf800000, v1, |v0|
	v_ashrrev_i32_e32 v0, 31, v0
	v_cvt_u32_f32_e32 v6, v1
	v_cvt_u32_f32_e32 v5, v5
	s_delay_alu instid0(VALU_DEP_2) | instskip(NEXT) | instid1(VALU_DEP_2)
	v_dual_mov_b32 v1, v0 :: v_dual_bitop2_b32 v7, v6, v0 bitop3:0x14
	v_xor_b32_e32 v6, v5, v0
	s_delay_alu instid0(VALU_DEP_1)
	v_sub_nc_u64_e32 v[0:1], v[6:7], v[0:1]
	global_store_b64 v[2:3], v[0:1], off
.LBB151_3392:
	s_and_not1_b32 vcc_lo, exec_lo, s0
	s_cbranch_vccnz .LBB151_3394
; %bb.3393:
	s_wait_loadcnt 0x0
	v_cvt_i32_f32_e32 v0, v4
	global_store_b32 v[2:3], v0, off
.LBB151_3394:
	s_mov_b32 s0, 0
.LBB151_3395:
	s_delay_alu instid0(SALU_CYCLE_1)
	s_and_not1_b32 vcc_lo, exec_lo, s0
	s_cbranch_vccnz .LBB151_3397
; %bb.3396:
	s_wait_loadcnt 0x0
	v_cvt_i32_f32_e32 v0, v4
	global_store_b16 v[2:3], v0, off
.LBB151_3397:
	s_mov_b32 s0, 0
.LBB151_3398:
	s_delay_alu instid0(SALU_CYCLE_1)
	s_and_not1_b32 vcc_lo, exec_lo, s0
	s_cbranch_vccnz .LBB151_3363
; %bb.3399:
	s_sext_i32_i16 s0, s1
	s_delay_alu instid0(SALU_CYCLE_1)
	s_cmp_gt_i32 s0, 0
	s_mov_b32 s0, -1
	s_cbranch_scc0 .LBB151_3401
; %bb.3400:
	s_wait_loadcnt 0x0
	v_cvt_i32_f32_e32 v0, v4
	s_mov_b32 s0, 0
	global_store_b8 v[2:3], v0, off
.LBB151_3401:
	s_and_not1_b32 vcc_lo, exec_lo, s0
	s_cbranch_vccnz .LBB151_3363
; %bb.3402:
	s_wait_loadcnt 0x0
	v_trunc_f32_e32 v0, v4
	s_delay_alu instid0(VALU_DEP_1) | instskip(NEXT) | instid1(VALU_DEP_1)
	v_mul_f32_e64 v1, 0x2f800000, |v0|
	v_floor_f32_e32 v1, v1
	s_delay_alu instid0(VALU_DEP_1) | instskip(SKIP_1) | instid1(VALU_DEP_2)
	v_fma_f32 v1, 0xcf800000, v1, |v0|
	v_ashrrev_i32_e32 v0, 31, v0
	v_cvt_u32_f32_e32 v1, v1
	s_delay_alu instid0(VALU_DEP_1) | instskip(NEXT) | instid1(VALU_DEP_1)
	v_xor_b32_e32 v1, v1, v0
	v_sub_nc_u32_e32 v0, v1, v0
	global_store_b8 v[2:3], v0, off
	s_endpgm
.LBB151_3403:
	s_mov_b32 s2, 0
	s_mov_b32 s0, -1
	s_branch .LBB151_3359
.LBB151_3404:
	s_mov_b32 s1, -1
	s_mov_b32 s3, exec_lo
	v_cmpx_eq_u16_e32 0x80, v1
; %bb.3405:
	s_xor_b32 s1, exec_lo, -1
; %bb.3406:
	s_or_b32 exec_lo, exec_lo, s3
	s_delay_alu instid0(SALU_CYCLE_1)
	s_and_b32 s1, s1, exec_lo
	s_or_saveexec_b32 s2, s2
	v_mov_b32_e32 v10, 0x7f800001
	s_xor_b32 exec_lo, exec_lo, s2
	s_cbranch_execz .LBB151_2852
.LBB151_3407:
	v_cmp_ne_u16_e32 vcc_lo, 0, v1
	v_mov_b32_e32 v10, 0
	s_and_not1_b32 s1, s1, exec_lo
	s_and_b32 s3, vcc_lo, exec_lo
	s_delay_alu instid0(SALU_CYCLE_1)
	s_or_b32 s1, s1, s3
	s_or_b32 exec_lo, exec_lo, s2
	s_and_saveexec_b32 s2, s1
	s_cbranch_execnz .LBB151_2853
	s_branch .LBB151_2854
.LBB151_3408:
	s_or_b32 s11, s11, exec_lo
	s_trap 2
	s_cbranch_execz .LBB151_3001
	s_branch .LBB151_3002
.LBB151_3409:
	v_bfe_u32 v1, v8, 20, 1
	s_mov_b32 s14, exec_lo
	s_delay_alu instid0(VALU_DEP_1) | instskip(NEXT) | instid1(VALU_DEP_1)
	v_add3_u32 v1, v8, v1, 0x487ffff
	v_lshrrev_b32_e32 v1, 20, v1
	s_and_not1_saveexec_b32 s15, s15
	s_cbranch_execz .LBB151_2953
.LBB151_3410:
	v_add_f32_e64 v1, 0x46000000, |v8|
	s_mov_b32 s16, s14
	s_mov_b32 s17, exec_lo
	s_delay_alu instid0(VALU_DEP_1) | instskip(NEXT) | instid1(VALU_DEP_1)
	v_and_b32_e32 v1, 0xff, v1
	v_cmpx_ne_u32_e32 0, v1
; %bb.3411:
	s_or_b32 s16, s14, exec_lo
; %bb.3412:
	s_or_b32 exec_lo, exec_lo, s17
	s_delay_alu instid0(SALU_CYCLE_1) | instskip(SKIP_1) | instid1(SALU_CYCLE_1)
	s_and_not1_b32 s14, s14, exec_lo
	s_and_b32 s16, s16, exec_lo
	s_or_b32 s14, s14, s16
	s_or_b32 exec_lo, exec_lo, s15
	v_mov_b32_e32 v3, 0
	s_and_saveexec_b32 s15, s14
	s_cbranch_execnz .LBB151_2954
	s_branch .LBB151_2955
.LBB151_3413:
	s_or_b32 s11, s11, exec_lo
	s_trap 2
	s_cbranch_execz .LBB151_3120
	s_branch .LBB151_3121
.LBB151_3414:
	v_bfe_u32 v1, v8, 21, 1
	s_mov_b32 s13, exec_lo
	s_delay_alu instid0(VALU_DEP_1) | instskip(NEXT) | instid1(VALU_DEP_1)
	v_add3_u32 v1, v8, v1, 0x88fffff
	v_lshrrev_b32_e32 v1, 21, v1
	s_and_not1_saveexec_b32 s14, s14
	s_cbranch_execz .LBB151_2966
.LBB151_3415:
	v_add_f32_e64 v1, 0x42800000, |v8|
	s_mov_b32 s15, s13
	s_mov_b32 s16, exec_lo
	s_delay_alu instid0(VALU_DEP_1) | instskip(NEXT) | instid1(VALU_DEP_1)
	v_and_b32_e32 v1, 0xff, v1
	v_cmpx_ne_u32_e32 0, v1
; %bb.3416:
	s_or_b32 s15, s13, exec_lo
; %bb.3417:
	s_or_b32 exec_lo, exec_lo, s16
	s_delay_alu instid0(SALU_CYCLE_1) | instskip(SKIP_1) | instid1(SALU_CYCLE_1)
	s_and_not1_b32 s13, s13, exec_lo
	s_and_b32 s15, s15, exec_lo
	s_or_b32 s13, s13, s15
	s_or_b32 exec_lo, exec_lo, s14
	v_mov_b32_e32 v3, 0
	s_and_saveexec_b32 s14, s13
	s_cbranch_execnz .LBB151_2967
	s_branch .LBB151_2968
.LBB151_3418:
	v_bfe_u32 v1, v6, 20, 1
	s_mov_b32 s14, exec_lo
	s_delay_alu instid0(VALU_DEP_1) | instskip(NEXT) | instid1(VALU_DEP_1)
	v_add3_u32 v1, v6, v1, 0x487ffff
	v_lshrrev_b32_e32 v1, 20, v1
	s_and_not1_saveexec_b32 s15, s15
	s_cbranch_execz .LBB151_3072
.LBB151_3419:
	v_add_f32_e64 v1, 0x46000000, |v6|
	s_mov_b32 s16, s14
	s_mov_b32 s17, exec_lo
	s_delay_alu instid0(VALU_DEP_1) | instskip(NEXT) | instid1(VALU_DEP_1)
	v_and_b32_e32 v1, 0xff, v1
	v_cmpx_ne_u32_e32 0, v1
; %bb.3420:
	s_or_b32 s16, s14, exec_lo
; %bb.3421:
	s_or_b32 exec_lo, exec_lo, s17
	s_delay_alu instid0(SALU_CYCLE_1) | instskip(SKIP_1) | instid1(SALU_CYCLE_1)
	s_and_not1_b32 s14, s14, exec_lo
	s_and_b32 s16, s16, exec_lo
	s_or_b32 s14, s14, s16
	s_or_b32 exec_lo, exec_lo, s15
	v_mov_b32_e32 v3, 0
	s_and_saveexec_b32 s15, s14
	s_cbranch_execnz .LBB151_3073
	s_branch .LBB151_3074
.LBB151_3422:
	s_or_b32 s11, s11, exec_lo
	s_trap 2
	s_cbranch_execz .LBB151_3239
	s_branch .LBB151_3240
.LBB151_3423:
	v_bfe_u32 v1, v6, 21, 1
	s_mov_b32 s13, exec_lo
	s_delay_alu instid0(VALU_DEP_1) | instskip(NEXT) | instid1(VALU_DEP_1)
	v_add3_u32 v1, v6, v1, 0x88fffff
	v_lshrrev_b32_e32 v1, 21, v1
	s_and_not1_saveexec_b32 s14, s14
	s_cbranch_execz .LBB151_3085
.LBB151_3424:
	v_add_f32_e64 v1, 0x42800000, |v6|
	s_mov_b32 s15, s13
	s_mov_b32 s16, exec_lo
	s_delay_alu instid0(VALU_DEP_1) | instskip(NEXT) | instid1(VALU_DEP_1)
	v_and_b32_e32 v1, 0xff, v1
	v_cmpx_ne_u32_e32 0, v1
; %bb.3425:
	s_or_b32 s15, s13, exec_lo
; %bb.3426:
	s_or_b32 exec_lo, exec_lo, s16
	s_delay_alu instid0(SALU_CYCLE_1) | instskip(SKIP_1) | instid1(SALU_CYCLE_1)
	s_and_not1_b32 s13, s13, exec_lo
	s_and_b32 s15, s15, exec_lo
	s_or_b32 s13, s13, s15
	s_or_b32 exec_lo, exec_lo, s14
	v_mov_b32_e32 v3, 0
	s_and_saveexec_b32 s14, s13
	s_cbranch_execnz .LBB151_3086
	s_branch .LBB151_3087
.LBB151_3427:
	v_bfe_u32 v1, v4, 20, 1
	s_mov_b32 s14, exec_lo
	s_delay_alu instid0(VALU_DEP_1) | instskip(NEXT) | instid1(VALU_DEP_1)
	v_add3_u32 v1, v4, v1, 0x487ffff
	v_lshrrev_b32_e32 v1, 20, v1
	s_and_not1_saveexec_b32 s15, s15
	s_cbranch_execz .LBB151_3191
.LBB151_3428:
	v_add_f32_e64 v1, 0x46000000, |v4|
	s_mov_b32 s16, s14
	s_mov_b32 s17, exec_lo
	s_delay_alu instid0(VALU_DEP_1) | instskip(NEXT) | instid1(VALU_DEP_1)
	v_and_b32_e32 v1, 0xff, v1
	v_cmpx_ne_u32_e32 0, v1
; %bb.3429:
	s_or_b32 s16, s14, exec_lo
; %bb.3430:
	s_or_b32 exec_lo, exec_lo, s17
	s_delay_alu instid0(SALU_CYCLE_1) | instskip(SKIP_1) | instid1(SALU_CYCLE_1)
	s_and_not1_b32 s14, s14, exec_lo
	s_and_b32 s16, s16, exec_lo
	s_or_b32 s14, s14, s16
	s_or_b32 exec_lo, exec_lo, s15
	v_mov_b32_e32 v6, 0
	s_and_saveexec_b32 s15, s14
	s_cbranch_execnz .LBB151_3192
	s_branch .LBB151_3193
.LBB151_3431:
	s_mov_b32 s2, 0
	s_or_b32 s11, s11, exec_lo
	s_trap 2
	s_branch .LBB151_3357
.LBB151_3432:
	v_bfe_u32 v1, v4, 21, 1
	s_mov_b32 s13, exec_lo
	s_delay_alu instid0(VALU_DEP_1) | instskip(NEXT) | instid1(VALU_DEP_1)
	v_add3_u32 v1, v4, v1, 0x88fffff
	v_lshrrev_b32_e32 v1, 21, v1
	s_and_not1_saveexec_b32 s14, s14
	s_cbranch_execz .LBB151_3204
.LBB151_3433:
	v_add_f32_e64 v1, 0x42800000, |v4|
	s_mov_b32 s15, s13
	s_mov_b32 s16, exec_lo
	s_delay_alu instid0(VALU_DEP_1) | instskip(NEXT) | instid1(VALU_DEP_1)
	v_and_b32_e32 v1, 0xff, v1
	v_cmpx_ne_u32_e32 0, v1
; %bb.3434:
	s_or_b32 s15, s13, exec_lo
; %bb.3435:
	s_or_b32 exec_lo, exec_lo, s16
	s_delay_alu instid0(SALU_CYCLE_1) | instskip(SKIP_1) | instid1(SALU_CYCLE_1)
	s_and_not1_b32 s13, s13, exec_lo
	s_and_b32 s15, s15, exec_lo
	s_or_b32 s13, s13, s15
	s_or_b32 exec_lo, exec_lo, s14
	v_mov_b32_e32 v6, 0
	s_and_saveexec_b32 s14, s13
	s_cbranch_execnz .LBB151_3205
	s_branch .LBB151_3206
.LBB151_3436:
	v_bfe_u32 v0, v4, 20, 1
	s_mov_b32 s4, exec_lo
	s_delay_alu instid0(VALU_DEP_1) | instskip(NEXT) | instid1(VALU_DEP_1)
	v_add3_u32 v0, v4, v0, 0x487ffff
	v_lshrrev_b32_e32 v0, 20, v0
	s_and_not1_saveexec_b32 s5, s5
	s_cbranch_execz .LBB151_3311
.LBB151_3437:
	v_add_f32_e64 v0, 0x46000000, |v4|
	s_mov_b32 s8, s4
	s_mov_b32 s9, exec_lo
	s_delay_alu instid0(VALU_DEP_1) | instskip(NEXT) | instid1(VALU_DEP_1)
	v_and_b32_e32 v0, 0xff, v0
	v_cmpx_ne_u32_e32 0, v0
; %bb.3438:
	s_or_b32 s8, s4, exec_lo
; %bb.3439:
	s_or_b32 exec_lo, exec_lo, s9
	s_delay_alu instid0(SALU_CYCLE_1) | instskip(SKIP_1) | instid1(SALU_CYCLE_1)
	s_and_not1_b32 s4, s4, exec_lo
	s_and_b32 s8, s8, exec_lo
	s_or_b32 s4, s4, s8
	s_or_b32 exec_lo, exec_lo, s5
	v_mov_b32_e32 v1, 0
	s_and_saveexec_b32 s5, s4
	s_cbranch_execnz .LBB151_3312
	s_branch .LBB151_3313
.LBB151_3440:
	v_bfe_u32 v0, v4, 21, 1
	s_mov_b32 s3, exec_lo
	s_delay_alu instid0(VALU_DEP_1) | instskip(NEXT) | instid1(VALU_DEP_1)
	v_add3_u32 v0, v4, v0, 0x88fffff
	v_lshrrev_b32_e32 v0, 21, v0
	s_and_not1_saveexec_b32 s4, s4
	s_cbranch_execz .LBB151_3323
.LBB151_3441:
	v_add_f32_e64 v0, 0x42800000, |v4|
	s_mov_b32 s5, s3
	s_mov_b32 s8, exec_lo
	s_delay_alu instid0(VALU_DEP_1) | instskip(NEXT) | instid1(VALU_DEP_1)
	v_and_b32_e32 v0, 0xff, v0
	v_cmpx_ne_u32_e32 0, v0
; %bb.3442:
	s_or_b32 s5, s3, exec_lo
; %bb.3443:
	s_or_b32 exec_lo, exec_lo, s8
	s_delay_alu instid0(SALU_CYCLE_1) | instskip(SKIP_1) | instid1(SALU_CYCLE_1)
	s_and_not1_b32 s3, s3, exec_lo
	s_and_b32 s5, s5, exec_lo
	s_or_b32 s3, s3, s5
	s_or_b32 exec_lo, exec_lo, s4
	v_mov_b32_e32 v1, 0
	s_and_saveexec_b32 s4, s3
	s_cbranch_execnz .LBB151_3324
	s_branch .LBB151_3325
	.section	.rodata,"a",@progbits
	.p2align	6, 0x0
	.amdhsa_kernel _ZN2at6native32elementwise_kernel_manual_unrollILi128ELi4EZNS0_15gpu_kernel_implIZZZNS0_12_GLOBAL__N_116addr_kernel_cudaERNS_14TensorIteratorERKN3c106ScalarES9_ENKUlvE_clEvENKUlvE7_clEvEUlNS6_7complexIfEESD_SD_E_EEvRNS_18TensorIteratorBaseERKT_EUlibE0_EEviT1_
		.amdhsa_group_segment_fixed_size 0
		.amdhsa_private_segment_fixed_size 0
		.amdhsa_kernarg_size 512
		.amdhsa_user_sgpr_count 2
		.amdhsa_user_sgpr_dispatch_ptr 0
		.amdhsa_user_sgpr_queue_ptr 0
		.amdhsa_user_sgpr_kernarg_segment_ptr 1
		.amdhsa_user_sgpr_dispatch_id 0
		.amdhsa_user_sgpr_kernarg_preload_length 0
		.amdhsa_user_sgpr_kernarg_preload_offset 0
		.amdhsa_user_sgpr_private_segment_size 0
		.amdhsa_wavefront_size32 1
		.amdhsa_uses_dynamic_stack 0
		.amdhsa_enable_private_segment 0
		.amdhsa_system_sgpr_workgroup_id_x 1
		.amdhsa_system_sgpr_workgroup_id_y 0
		.amdhsa_system_sgpr_workgroup_id_z 0
		.amdhsa_system_sgpr_workgroup_info 0
		.amdhsa_system_vgpr_workitem_id 0
		.amdhsa_next_free_vgpr 30
		.amdhsa_next_free_sgpr 64
		.amdhsa_named_barrier_count 0
		.amdhsa_reserve_vcc 1
		.amdhsa_float_round_mode_32 0
		.amdhsa_float_round_mode_16_64 0
		.amdhsa_float_denorm_mode_32 3
		.amdhsa_float_denorm_mode_16_64 3
		.amdhsa_fp16_overflow 0
		.amdhsa_memory_ordered 1
		.amdhsa_forward_progress 1
		.amdhsa_inst_pref_size 255
		.amdhsa_round_robin_scheduling 0
		.amdhsa_exception_fp_ieee_invalid_op 0
		.amdhsa_exception_fp_denorm_src 0
		.amdhsa_exception_fp_ieee_div_zero 0
		.amdhsa_exception_fp_ieee_overflow 0
		.amdhsa_exception_fp_ieee_underflow 0
		.amdhsa_exception_fp_ieee_inexact 0
		.amdhsa_exception_int_div_zero 0
	.end_amdhsa_kernel
	.section	.text._ZN2at6native32elementwise_kernel_manual_unrollILi128ELi4EZNS0_15gpu_kernel_implIZZZNS0_12_GLOBAL__N_116addr_kernel_cudaERNS_14TensorIteratorERKN3c106ScalarES9_ENKUlvE_clEvENKUlvE7_clEvEUlNS6_7complexIfEESD_SD_E_EEvRNS_18TensorIteratorBaseERKT_EUlibE0_EEviT1_,"axG",@progbits,_ZN2at6native32elementwise_kernel_manual_unrollILi128ELi4EZNS0_15gpu_kernel_implIZZZNS0_12_GLOBAL__N_116addr_kernel_cudaERNS_14TensorIteratorERKN3c106ScalarES9_ENKUlvE_clEvENKUlvE7_clEvEUlNS6_7complexIfEESD_SD_E_EEvRNS_18TensorIteratorBaseERKT_EUlibE0_EEviT1_,comdat
.Lfunc_end151:
	.size	_ZN2at6native32elementwise_kernel_manual_unrollILi128ELi4EZNS0_15gpu_kernel_implIZZZNS0_12_GLOBAL__N_116addr_kernel_cudaERNS_14TensorIteratorERKN3c106ScalarES9_ENKUlvE_clEvENKUlvE7_clEvEUlNS6_7complexIfEESD_SD_E_EEvRNS_18TensorIteratorBaseERKT_EUlibE0_EEviT1_, .Lfunc_end151-_ZN2at6native32elementwise_kernel_manual_unrollILi128ELi4EZNS0_15gpu_kernel_implIZZZNS0_12_GLOBAL__N_116addr_kernel_cudaERNS_14TensorIteratorERKN3c106ScalarES9_ENKUlvE_clEvENKUlvE7_clEvEUlNS6_7complexIfEESD_SD_E_EEvRNS_18TensorIteratorBaseERKT_EUlibE0_EEviT1_
                                        ; -- End function
	.set _ZN2at6native32elementwise_kernel_manual_unrollILi128ELi4EZNS0_15gpu_kernel_implIZZZNS0_12_GLOBAL__N_116addr_kernel_cudaERNS_14TensorIteratorERKN3c106ScalarES9_ENKUlvE_clEvENKUlvE7_clEvEUlNS6_7complexIfEESD_SD_E_EEvRNS_18TensorIteratorBaseERKT_EUlibE0_EEviT1_.num_vgpr, 30
	.set _ZN2at6native32elementwise_kernel_manual_unrollILi128ELi4EZNS0_15gpu_kernel_implIZZZNS0_12_GLOBAL__N_116addr_kernel_cudaERNS_14TensorIteratorERKN3c106ScalarES9_ENKUlvE_clEvENKUlvE7_clEvEUlNS6_7complexIfEESD_SD_E_EEvRNS_18TensorIteratorBaseERKT_EUlibE0_EEviT1_.num_agpr, 0
	.set _ZN2at6native32elementwise_kernel_manual_unrollILi128ELi4EZNS0_15gpu_kernel_implIZZZNS0_12_GLOBAL__N_116addr_kernel_cudaERNS_14TensorIteratorERKN3c106ScalarES9_ENKUlvE_clEvENKUlvE7_clEvEUlNS6_7complexIfEESD_SD_E_EEvRNS_18TensorIteratorBaseERKT_EUlibE0_EEviT1_.numbered_sgpr, 64
	.set _ZN2at6native32elementwise_kernel_manual_unrollILi128ELi4EZNS0_15gpu_kernel_implIZZZNS0_12_GLOBAL__N_116addr_kernel_cudaERNS_14TensorIteratorERKN3c106ScalarES9_ENKUlvE_clEvENKUlvE7_clEvEUlNS6_7complexIfEESD_SD_E_EEvRNS_18TensorIteratorBaseERKT_EUlibE0_EEviT1_.num_named_barrier, 0
	.set _ZN2at6native32elementwise_kernel_manual_unrollILi128ELi4EZNS0_15gpu_kernel_implIZZZNS0_12_GLOBAL__N_116addr_kernel_cudaERNS_14TensorIteratorERKN3c106ScalarES9_ENKUlvE_clEvENKUlvE7_clEvEUlNS6_7complexIfEESD_SD_E_EEvRNS_18TensorIteratorBaseERKT_EUlibE0_EEviT1_.private_seg_size, 0
	.set _ZN2at6native32elementwise_kernel_manual_unrollILi128ELi4EZNS0_15gpu_kernel_implIZZZNS0_12_GLOBAL__N_116addr_kernel_cudaERNS_14TensorIteratorERKN3c106ScalarES9_ENKUlvE_clEvENKUlvE7_clEvEUlNS6_7complexIfEESD_SD_E_EEvRNS_18TensorIteratorBaseERKT_EUlibE0_EEviT1_.uses_vcc, 1
	.set _ZN2at6native32elementwise_kernel_manual_unrollILi128ELi4EZNS0_15gpu_kernel_implIZZZNS0_12_GLOBAL__N_116addr_kernel_cudaERNS_14TensorIteratorERKN3c106ScalarES9_ENKUlvE_clEvENKUlvE7_clEvEUlNS6_7complexIfEESD_SD_E_EEvRNS_18TensorIteratorBaseERKT_EUlibE0_EEviT1_.uses_flat_scratch, 0
	.set _ZN2at6native32elementwise_kernel_manual_unrollILi128ELi4EZNS0_15gpu_kernel_implIZZZNS0_12_GLOBAL__N_116addr_kernel_cudaERNS_14TensorIteratorERKN3c106ScalarES9_ENKUlvE_clEvENKUlvE7_clEvEUlNS6_7complexIfEESD_SD_E_EEvRNS_18TensorIteratorBaseERKT_EUlibE0_EEviT1_.has_dyn_sized_stack, 0
	.set _ZN2at6native32elementwise_kernel_manual_unrollILi128ELi4EZNS0_15gpu_kernel_implIZZZNS0_12_GLOBAL__N_116addr_kernel_cudaERNS_14TensorIteratorERKN3c106ScalarES9_ENKUlvE_clEvENKUlvE7_clEvEUlNS6_7complexIfEESD_SD_E_EEvRNS_18TensorIteratorBaseERKT_EUlibE0_EEviT1_.has_recursion, 0
	.set _ZN2at6native32elementwise_kernel_manual_unrollILi128ELi4EZNS0_15gpu_kernel_implIZZZNS0_12_GLOBAL__N_116addr_kernel_cudaERNS_14TensorIteratorERKN3c106ScalarES9_ENKUlvE_clEvENKUlvE7_clEvEUlNS6_7complexIfEESD_SD_E_EEvRNS_18TensorIteratorBaseERKT_EUlibE0_EEviT1_.has_indirect_call, 0
	.section	.AMDGPU.csdata,"",@progbits
; Kernel info:
; codeLenInByte = 65256
; TotalNumSgprs: 66
; NumVgprs: 30
; ScratchSize: 0
; MemoryBound: 1
; FloatMode: 240
; IeeeMode: 1
; LDSByteSize: 0 bytes/workgroup (compile time only)
; SGPRBlocks: 0
; VGPRBlocks: 1
; NumSGPRsForWavesPerEU: 66
; NumVGPRsForWavesPerEU: 30
; NamedBarCnt: 0
; Occupancy: 16
; WaveLimiterHint : 1
; COMPUTE_PGM_RSRC2:SCRATCH_EN: 0
; COMPUTE_PGM_RSRC2:USER_SGPR: 2
; COMPUTE_PGM_RSRC2:TRAP_HANDLER: 0
; COMPUTE_PGM_RSRC2:TGID_X_EN: 1
; COMPUTE_PGM_RSRC2:TGID_Y_EN: 0
; COMPUTE_PGM_RSRC2:TGID_Z_EN: 0
; COMPUTE_PGM_RSRC2:TIDIG_COMP_CNT: 0
	.section	.text._ZN2at6native29vectorized_elementwise_kernelILi16EZZZNS0_12_GLOBAL__N_116addr_kernel_cudaERNS_14TensorIteratorERKN3c106ScalarES8_ENKUlvE_clEvENKUlvE7_clEvEUlNS5_7complexIfEESC_SC_E0_St5arrayIPcLm4EEEEviT0_T1_,"axG",@progbits,_ZN2at6native29vectorized_elementwise_kernelILi16EZZZNS0_12_GLOBAL__N_116addr_kernel_cudaERNS_14TensorIteratorERKN3c106ScalarES8_ENKUlvE_clEvENKUlvE7_clEvEUlNS5_7complexIfEESC_SC_E0_St5arrayIPcLm4EEEEviT0_T1_,comdat
	.globl	_ZN2at6native29vectorized_elementwise_kernelILi16EZZZNS0_12_GLOBAL__N_116addr_kernel_cudaERNS_14TensorIteratorERKN3c106ScalarES8_ENKUlvE_clEvENKUlvE7_clEvEUlNS5_7complexIfEESC_SC_E0_St5arrayIPcLm4EEEEviT0_T1_ ; -- Begin function _ZN2at6native29vectorized_elementwise_kernelILi16EZZZNS0_12_GLOBAL__N_116addr_kernel_cudaERNS_14TensorIteratorERKN3c106ScalarES8_ENKUlvE_clEvENKUlvE7_clEvEUlNS5_7complexIfEESC_SC_E0_St5arrayIPcLm4EEEEviT0_T1_
	.p2align	8
	.type	_ZN2at6native29vectorized_elementwise_kernelILi16EZZZNS0_12_GLOBAL__N_116addr_kernel_cudaERNS_14TensorIteratorERKN3c106ScalarES8_ENKUlvE_clEvENKUlvE7_clEvEUlNS5_7complexIfEESC_SC_E0_St5arrayIPcLm4EEEEviT0_T1_,@function
_ZN2at6native29vectorized_elementwise_kernelILi16EZZZNS0_12_GLOBAL__N_116addr_kernel_cudaERNS_14TensorIteratorERKN3c106ScalarES8_ENKUlvE_clEvENKUlvE7_clEvEUlNS5_7complexIfEESC_SC_E0_St5arrayIPcLm4EEEEviT0_T1_: ; @_ZN2at6native29vectorized_elementwise_kernelILi16EZZZNS0_12_GLOBAL__N_116addr_kernel_cudaERNS_14TensorIteratorERKN3c106ScalarES8_ENKUlvE_clEvENKUlvE7_clEvEUlNS5_7complexIfEESC_SC_E0_St5arrayIPcLm4EEEEviT0_T1_
; %bb.0:
	s_clause 0x2
	s_load_b32 s3, s[0:1], 0x0
	s_load_b128 s[12:15], s[0:1], 0x8
	s_load_b256 s[4:11], s[0:1], 0x18
	s_wait_xcnt 0x0
	s_bfe_u32 s0, ttmp6, 0x4000c
	s_and_b32 s1, ttmp6, 15
	s_add_co_i32 s0, s0, 1
	s_getreg_b32 s2, hwreg(HW_REG_IB_STS2, 6, 4)
	s_mul_i32 s0, ttmp9, s0
	s_delay_alu instid0(SALU_CYCLE_1) | instskip(SKIP_2) | instid1(SALU_CYCLE_1)
	s_add_co_i32 s1, s1, s0
	s_cmp_eq_u32 s2, 0
	s_cselect_b32 s0, ttmp9, s1
	s_lshl_b32 s2, s0, 10
	s_mov_b32 s0, -1
	s_wait_kmcnt 0x0
	s_sub_co_i32 s16, s3, s2
	s_delay_alu instid0(SALU_CYCLE_1)
	s_cmp_gt_i32 s16, 0x3ff
	s_cbranch_scc0 .LBB152_2
; %bb.1:
	s_ashr_i32 s3, s2, 31
	v_lshlrev_b32_e32 v1, 5, v0
	s_lshl_b64 s[0:1], s[2:3], 3
	v_mov_b64_e32 v[26:27], s[14:15]
	s_add_nc_u64 s[18:19], s[8:9], s[0:1]
	s_add_nc_u64 s[20:21], s[10:11], s[0:1]
	s_clause 0x1
	global_load_b128 v[2:5], v1, s[18:19]
	global_load_b128 v[6:9], v1, s[18:19] offset:16
	s_wait_xcnt 0x0
	s_add_nc_u64 s[18:19], s[6:7], s[0:1]
	s_clause 0x3
	global_load_b128 v[10:13], v1, s[18:19]
	global_load_b128 v[14:17], v1, s[20:21]
	global_load_b128 v[18:21], v1, s[18:19] offset:16
	global_load_b128 v[22:25], v1, s[20:21] offset:16
	v_mov_b64_e32 v[28:29], s[12:13]
	s_wait_xcnt 0x1
	s_add_nc_u64 s[18:19], s[4:5], s[0:1]
	s_mov_b32 s0, 0
	s_wait_loadcnt 0x5
	v_pk_mul_f32 v[30:31], v[26:27], v[2:3]
	v_pk_mul_f32 v[2:3], v[26:27], v[2:3] op_sel:[1,0] op_sel_hi:[0,1]
	v_pk_mul_f32 v[32:33], v[26:27], v[4:5]
	v_pk_mul_f32 v[4:5], v[26:27], v[4:5] op_sel:[1,0] op_sel_hi:[0,1]
	s_wait_loadcnt 0x4
	v_pk_mul_f32 v[34:35], v[26:27], v[6:7]
	v_pk_mul_f32 v[6:7], v[26:27], v[6:7] op_sel:[1,0] op_sel_hi:[0,1]
	v_pk_mul_f32 v[36:37], v[26:27], v[8:9]
	v_pk_mul_f32 v[8:9], v[26:27], v[8:9] op_sel:[1,0] op_sel_hi:[0,1]
	s_wait_loadcnt 0x3
	v_pk_mul_f32 v[26:27], v[28:29], v[10:11] op_sel:[1,1] op_sel_hi:[0,1]
	s_wait_loadcnt 0x2
	v_dual_mov_b32 v38, v13 :: v_dual_mov_b32 v40, v17
	v_mov_b32_e32 v41, v16
	s_wait_loadcnt 0x1
	v_pk_mul_f32 v[42:43], v[28:29], v[18:19] op_sel:[1,1] op_sel_hi:[0,1]
	s_wait_loadcnt 0x0
	v_dual_mov_b32 v44, v21 :: v_dual_mov_b32 v46, v25
	v_dual_mov_b32 v47, v24 :: v_dual_add_f32 v2, v2, v3
	v_pk_fma_f32 v[48:49], v[28:29], v[10:11], v[26:27] neg_lo:[0,0,1] neg_hi:[0,0,1]
	v_pk_fma_f32 v[10:11], v[28:29], v[10:11], v[26:27] op_sel_hi:[1,0,1]
	v_pk_add_f32 v[26:27], v[30:31], v[30:31] op_sel:[0,1] op_sel_hi:[0,1] neg_lo:[0,1] neg_hi:[0,1]
	v_pk_mul_f32 v[30:31], v[28:29], v[38:39] op_sel:[1,0] op_sel_hi:[0,0]
	v_dual_add_f32 v4, v4, v5 :: v_dual_add_f32 v6, v6, v7
	s_delay_alu instid0(VALU_DEP_4)
	v_dual_add_f32 v8, v8, v9 :: v_dual_mov_b32 v49, v11
	v_pk_add_f32 v[32:33], v[32:33], v[32:33] op_sel:[0,1] op_sel_hi:[0,1] neg_lo:[0,1] neg_hi:[0,1]
	v_pk_fma_f32 v[38:39], v[28:29], v[18:19], v[42:43] neg_lo:[0,0,1] neg_hi:[0,0,1]
	v_pk_fma_f32 v[18:19], v[28:29], v[18:19], v[42:43] op_sel_hi:[1,0,1]
	v_pk_mul_f32 v[42:43], v[28:29], v[44:45] op_sel:[1,0] op_sel_hi:[0,0]
	v_pk_mul_f32 v[2:3], v[2:3], v[14:15] op_sel:[0,1] op_sel_hi:[0,0]
	v_pk_fma_f32 v[10:11], v[28:29], v[12:13], v[30:31] neg_lo:[0,0,1] neg_hi:[0,0,1]
	v_pk_fma_f32 v[12:13], v[28:29], v[12:13], v[30:31] op_sel_hi:[1,0,1]
	v_pk_mul_f32 v[4:5], v[4:5], v[40:41] op_sel_hi:[0,1]
	v_pk_add_f32 v[34:35], v[34:35], v[34:35] op_sel:[0,1] op_sel_hi:[0,1] neg_lo:[0,1] neg_hi:[0,1]
	v_pk_add_f32 v[36:37], v[36:37], v[36:37] op_sel:[0,1] op_sel_hi:[0,1] neg_lo:[0,1] neg_hi:[0,1]
	v_pk_mul_f32 v[6:7], v[6:7], v[22:23] op_sel:[0,1] op_sel_hi:[0,0]
	v_pk_mul_f32 v[8:9], v[8:9], v[46:47] op_sel_hi:[0,1]
	v_dual_mov_b32 v39, v19 :: v_dual_mov_b32 v11, v13
	v_pk_fma_f32 v[18:19], v[28:29], v[20:21], v[42:43] neg_lo:[0,0,1] neg_hi:[0,0,1]
	v_pk_fma_f32 v[20:21], v[28:29], v[20:21], v[42:43] op_sel_hi:[1,0,1]
	v_pk_fma_f32 v[28:29], v[26:27], v[14:15], v[2:3] neg_lo:[0,0,1] neg_hi:[0,0,1]
	v_pk_fma_f32 v[2:3], v[26:27], v[14:15], v[2:3]
	v_pk_fma_f32 v[12:13], v[32:33], v[16:17], v[4:5] neg_lo:[0,0,1] neg_hi:[0,0,1]
	v_pk_fma_f32 v[4:5], v[32:33], v[16:17], v[4:5]
	;; [unrolled: 2-line block ×3, first 2 shown]
	v_pk_fma_f32 v[16:17], v[36:37], v[24:25], v[8:9]
	v_dual_mov_b32 v19, v21 :: v_dual_mov_b32 v29, v3
	v_pk_fma_f32 v[8:9], v[36:37], v[24:25], v[8:9] neg_lo:[0,0,1] neg_hi:[0,0,1]
	s_delay_alu instid0(VALU_DEP_4) | instskip(NEXT) | instid1(VALU_DEP_4)
	v_dual_mov_b32 v13, v5 :: v_dual_mov_b32 v15, v7
	v_mov_b32_e32 v9, v17
	s_delay_alu instid0(VALU_DEP_4) | instskip(NEXT) | instid1(VALU_DEP_3)
	v_pk_add_f32 v[2:3], v[48:49], v[28:29]
	v_pk_add_f32 v[4:5], v[10:11], v[12:13]
	s_delay_alu instid0(VALU_DEP_4) | instskip(NEXT) | instid1(VALU_DEP_4)
	v_pk_add_f32 v[6:7], v[38:39], v[14:15]
	v_pk_add_f32 v[8:9], v[18:19], v[8:9]
	s_clause 0x1
	global_store_b128 v1, v[2:5], s[18:19]
	global_store_b128 v1, v[6:9], s[18:19] offset:16
.LBB152_2:
	s_and_not1_b32 vcc_lo, exec_lo, s0
	s_cbranch_vccnz .LBB152_23
; %bb.3:
	v_cmp_gt_i32_e32 vcc_lo, s16, v0
	s_wait_xcnt 0x0
	v_dual_mov_b32 v4, 0 :: v_dual_bitop2_b32 v1, s2, v0 bitop3:0x54
	v_or_b32_e32 v30, 0x100, v0
	v_dual_mov_b32 v14, v0 :: v_dual_mov_b32 v20, 0
	v_dual_mov_b32 v21, 0 :: v_dual_mov_b32 v28, 0
	;; [unrolled: 1-line block ×3, first 2 shown]
	v_mov_b32_e32 v23, 0
	s_and_saveexec_b32 s0, vcc_lo
	s_cbranch_execz .LBB152_5
; %bb.4:
	s_clause 0x2
	global_load_b64 v[22:23], v1, s[6:7] scale_offset
	global_load_b64 v[28:29], v1, s[8:9] scale_offset
	;; [unrolled: 1-line block ×3, first 2 shown]
	v_or_b32_e32 v14, 0x100, v0
.LBB152_5:
	s_wait_xcnt 0x0
	s_or_b32 exec_lo, exec_lo, s0
	v_dual_mov_b32 v5, 0 :: v_dual_mov_b32 v26, 0
	v_dual_mov_b32 v27, 0 :: v_dual_mov_b32 v16, 0
	v_mov_b32_e32 v17, 0
	s_mov_b32 s1, exec_lo
	v_cmpx_gt_i32_e64 s16, v14
	s_cbranch_execz .LBB152_7
; %bb.6:
	v_add_nc_u32_e32 v2, s2, v14
	v_add_nc_u32_e32 v14, 0x100, v14
	s_clause 0x2
	global_load_b64 v[16:17], v2, s[6:7] scale_offset
	global_load_b64 v[26:27], v2, s[8:9] scale_offset
	;; [unrolled: 1-line block ×3, first 2 shown]
.LBB152_7:
	s_wait_xcnt 0x0
	s_or_b32 exec_lo, exec_lo, s1
	v_dual_mov_b32 v2, 0 :: v_dual_mov_b32 v8, 0
	v_dual_mov_b32 v9, 0 :: v_dual_mov_b32 v18, 0
	;; [unrolled: 1-line block ×3, first 2 shown]
	v_mov_b32_e32 v13, 0
	s_mov_b32 s1, exec_lo
	v_cmpx_gt_i32_e64 s16, v14
	s_cbranch_execz .LBB152_9
; %bb.8:
	v_add_nc_u32_e32 v3, s2, v14
	v_add_nc_u32_e32 v14, 0x100, v14
	s_clause 0x2
	global_load_b64 v[12:13], v3, s[6:7] scale_offset
	global_load_b64 v[18:19], v3, s[8:9] scale_offset
	;; [unrolled: 1-line block ×3, first 2 shown]
.LBB152_9:
	s_wait_xcnt 0x0
	s_or_b32 exec_lo, exec_lo, s1
	v_dual_mov_b32 v3, 0 :: v_dual_mov_b32 v10, 0
	v_dual_mov_b32 v11, 0 :: v_dual_mov_b32 v6, 0
	v_mov_b32_e32 v7, 0
	s_mov_b32 s1, exec_lo
	v_cmpx_gt_i32_e64 s16, v14
	s_cbranch_execz .LBB152_11
; %bb.10:
	v_add_nc_u32_e32 v14, s2, v14
	s_clause 0x2
	global_load_b64 v[6:7], v14, s[6:7] scale_offset
	global_load_b64 v[10:11], v14, s[8:9] scale_offset
	;; [unrolled: 1-line block ×3, first 2 shown]
.LBB152_11:
	s_wait_xcnt 0x0
	s_or_b32 exec_lo, exec_lo, s1
	v_dual_mov_b32 v14, 0 :: v_dual_mov_b32 v24, 0
	v_mov_b32_e32 v25, 0
	s_and_saveexec_b32 s0, vcc_lo
	s_cbranch_execz .LBB152_13
; %bb.12:
	v_mov_b64_e32 v[32:33], s[14:15]
	s_wait_loadcnt 0x1
	v_dual_mov_b32 v24, v29 :: v_dual_mov_b32 v25, v28
	v_mov_b64_e32 v[34:35], s[12:13]
	s_wait_loadcnt 0x0
	v_dual_mov_b32 v37, v20 :: v_dual_mov_b32 v36, v21
	s_delay_alu instid0(VALU_DEP_3) | instskip(SKIP_1) | instid1(VALU_DEP_2)
	v_pk_mul_f32 v[24:25], v[32:33], v[24:25]
	v_pk_mul_f32 v[28:29], v[32:33], v[28:29]
	v_dual_mov_b32 v32, v23 :: v_dual_add_f32 v24, v24, v25
	s_delay_alu instid0(VALU_DEP_2) | instskip(NEXT) | instid1(VALU_DEP_2)
	v_pk_add_f32 v[28:29], v[28:29], v[28:29] op_sel:[0,1] op_sel_hi:[0,1] neg_lo:[0,1] neg_hi:[0,1]
	v_pk_mul_f32 v[32:33], v[34:35], v[32:33] op_sel:[1,0] op_sel_hi:[0,0]
	s_delay_alu instid0(VALU_DEP_3) | instskip(NEXT) | instid1(VALU_DEP_2)
	v_pk_mul_f32 v[24:25], v[36:37], v[24:25] op_sel_hi:[1,0]
	v_pk_fma_f32 v[36:37], v[34:35], v[22:23], v[32:33] op_sel_hi:[1,0,1]
	v_pk_fma_f32 v[22:23], v[34:35], v[22:23], v[32:33] neg_lo:[0,0,1] neg_hi:[0,0,1]
	s_delay_alu instid0(VALU_DEP_3) | instskip(SKIP_1) | instid1(VALU_DEP_2)
	v_pk_fma_f32 v[38:39], v[20:21], v[28:29], v[24:25]
	v_pk_fma_f32 v[20:21], v[20:21], v[28:29], v[24:25] neg_lo:[0,0,1] neg_hi:[0,0,1]
	v_dual_mov_b32 v23, v37 :: v_dual_mov_b32 v21, v39
	s_delay_alu instid0(VALU_DEP_1)
	v_pk_add_f32 v[24:25], v[22:23], v[20:21]
.LBB152_13:
	s_or_b32 exec_lo, exec_lo, s0
	v_mov_b32_e32 v15, 0
	s_mov_b32 s1, exec_lo
	v_cmpx_gt_i32_e64 s16, v30
	s_cbranch_execz .LBB152_15
; %bb.14:
	s_wait_loadcnt 0x0
	v_mov_b64_e32 v[20:21], s[14:15]
	v_dual_mov_b32 v14, v27 :: v_dual_mov_b32 v15, v26
	v_mov_b32_e32 v28, v5
	s_delay_alu instid0(VALU_DEP_2) | instskip(SKIP_3) | instid1(VALU_DEP_4)
	v_pk_mul_f32 v[14:15], v[20:21], v[14:15]
	v_pk_mul_f32 v[22:23], v[20:21], v[26:27]
	v_mov_b64_e32 v[26:27], s[12:13]
	v_dual_mov_b32 v20, v17 :: v_dual_mov_b32 v29, v4
	v_add_f32_e32 v14, v14, v15
	s_delay_alu instid0(VALU_DEP_4) | instskip(NEXT) | instid1(VALU_DEP_3)
	v_pk_add_f32 v[22:23], v[22:23], v[22:23] op_sel:[0,1] op_sel_hi:[0,1] neg_lo:[0,1] neg_hi:[0,1]
	v_pk_mul_f32 v[20:21], v[26:27], v[20:21] op_sel:[1,0] op_sel_hi:[0,0]
	s_delay_alu instid0(VALU_DEP_3) | instskip(NEXT) | instid1(VALU_DEP_2)
	v_pk_mul_f32 v[14:15], v[28:29], v[14:15] op_sel_hi:[1,0]
	v_pk_fma_f32 v[28:29], v[26:27], v[16:17], v[20:21] op_sel_hi:[1,0,1]
	s_delay_alu instid0(VALU_DEP_2) | instskip(SKIP_2) | instid1(VALU_DEP_3)
	v_pk_fma_f32 v[32:33], v[4:5], v[22:23], v[14:15]
	v_pk_fma_f32 v[16:17], v[26:27], v[16:17], v[20:21] neg_lo:[0,0,1] neg_hi:[0,0,1]
	v_pk_fma_f32 v[4:5], v[4:5], v[22:23], v[14:15] neg_lo:[0,0,1] neg_hi:[0,0,1]
	v_dual_mov_b32 v17, v29 :: v_dual_mov_b32 v5, v33
	s_delay_alu instid0(VALU_DEP_1)
	v_pk_add_f32 v[14:15], v[16:17], v[4:5]
.LBB152_15:
	s_or_b32 exec_lo, exec_lo, s1
	s_wait_loadcnt 0x0
	v_or_b32_e32 v5, 0x200, v0
	v_dual_mov_b32 v4, 0 :: v_dual_mov_b32 v16, 0
	v_mov_b32_e32 v17, 0
	s_mov_b32 s1, exec_lo
	s_delay_alu instid0(VALU_DEP_3)
	v_cmpx_gt_i32_e64 s16, v5
	s_cbranch_execz .LBB152_17
; %bb.16:
	v_mov_b64_e32 v[20:21], s[14:15]
	v_dual_mov_b32 v16, v19 :: v_dual_mov_b32 v17, v18
	v_mov_b64_e32 v[22:23], s[12:13]
	v_dual_mov_b32 v27, v8 :: v_dual_mov_b32 v26, v9
	s_delay_alu instid0(VALU_DEP_3) | instskip(SKIP_1) | instid1(VALU_DEP_2)
	v_pk_mul_f32 v[16:17], v[20:21], v[16:17]
	v_pk_mul_f32 v[18:19], v[20:21], v[18:19]
	v_dual_mov_b32 v20, v13 :: v_dual_add_f32 v16, v16, v17
	s_delay_alu instid0(VALU_DEP_2) | instskip(NEXT) | instid1(VALU_DEP_2)
	v_pk_add_f32 v[18:19], v[18:19], v[18:19] op_sel:[0,1] op_sel_hi:[0,1] neg_lo:[0,1] neg_hi:[0,1]
	v_pk_mul_f32 v[20:21], v[22:23], v[20:21] op_sel:[1,0] op_sel_hi:[0,0]
	s_delay_alu instid0(VALU_DEP_3) | instskip(NEXT) | instid1(VALU_DEP_2)
	v_pk_mul_f32 v[16:17], v[26:27], v[16:17] op_sel_hi:[1,0]
	v_pk_fma_f32 v[26:27], v[22:23], v[12:13], v[20:21] op_sel_hi:[1,0,1]
	v_pk_fma_f32 v[12:13], v[22:23], v[12:13], v[20:21] neg_lo:[0,0,1] neg_hi:[0,0,1]
	s_delay_alu instid0(VALU_DEP_3) | instskip(SKIP_1) | instid1(VALU_DEP_2)
	v_pk_fma_f32 v[28:29], v[8:9], v[18:19], v[16:17]
	v_pk_fma_f32 v[8:9], v[8:9], v[18:19], v[16:17] neg_lo:[0,0,1] neg_hi:[0,0,1]
	v_dual_mov_b32 v13, v27 :: v_dual_mov_b32 v9, v29
	s_delay_alu instid0(VALU_DEP_1)
	v_pk_add_f32 v[16:17], v[12:13], v[8:9]
.LBB152_17:
	s_or_b32 exec_lo, exec_lo, s1
	v_or_b32_e32 v5, 0x300, v0
	s_delay_alu instid0(VALU_DEP_1)
	v_cmp_gt_i32_e64 s0, s16, v5
	v_mov_b32_e32 v5, 0
	s_and_saveexec_b32 s1, s0
	s_cbranch_execnz .LBB152_24
; %bb.18:
	s_or_b32 exec_lo, exec_lo, s1
	s_and_saveexec_b32 s0, vcc_lo
	s_delay_alu instid0(SALU_CYCLE_1)
	s_xor_b32 s0, exec_lo, s0
	s_cbranch_execnz .LBB152_25
.LBB152_19:
	s_or_b32 exec_lo, exec_lo, s0
	s_delay_alu instid0(SALU_CYCLE_1)
	s_mov_b32 s0, exec_lo
	v_cmpx_gt_i32_e64 s16, v0
	s_cbranch_execnz .LBB152_26
.LBB152_20:
	s_or_b32 exec_lo, exec_lo, s0
	s_delay_alu instid0(SALU_CYCLE_1)
	s_mov_b32 s0, exec_lo
	v_cmpx_gt_i32_e64 s16, v0
	s_cbranch_execnz .LBB152_27
.LBB152_21:
	s_or_b32 exec_lo, exec_lo, s0
	s_delay_alu instid0(SALU_CYCLE_1)
	s_mov_b32 s0, exec_lo
	v_cmpx_gt_i32_e64 s16, v0
	s_cbranch_execz .LBB152_23
.LBB152_22:
	v_add_nc_u32_e32 v0, s2, v0
	global_store_b64 v0, v[4:5], s[4:5] scale_offset
.LBB152_23:
	s_endpgm
.LBB152_24:
	v_mov_b64_e32 v[8:9], s[14:15]
	v_dual_mov_b32 v4, v11 :: v_dual_mov_b32 v5, v10
	v_mov_b64_e32 v[18:19], s[12:13]
	v_mov_b32_e32 v12, v7
	s_delay_alu instid0(VALU_DEP_3) | instskip(SKIP_2) | instid1(VALU_DEP_4)
	v_pk_mul_f32 v[4:5], v[8:9], v[4:5]
	v_pk_mul_f32 v[8:9], v[8:9], v[10:11]
	v_dual_mov_b32 v10, v3 :: v_dual_mov_b32 v11, v2
	v_pk_mul_f32 v[12:13], v[18:19], v[12:13] op_sel:[1,0] op_sel_hi:[0,0]
	s_delay_alu instid0(VALU_DEP_4) | instskip(NEXT) | instid1(VALU_DEP_4)
	v_add_f32_e32 v4, v4, v5
	v_pk_add_f32 v[8:9], v[8:9], v[8:9] op_sel:[0,1] op_sel_hi:[0,1] neg_lo:[0,1] neg_hi:[0,1]
	s_delay_alu instid0(VALU_DEP_2) | instskip(NEXT) | instid1(VALU_DEP_4)
	v_pk_mul_f32 v[4:5], v[10:11], v[4:5] op_sel_hi:[1,0]
	v_pk_fma_f32 v[10:11], v[18:19], v[6:7], v[12:13] op_sel_hi:[1,0,1]
	v_pk_fma_f32 v[6:7], v[18:19], v[6:7], v[12:13] neg_lo:[0,0,1] neg_hi:[0,0,1]
	s_delay_alu instid0(VALU_DEP_3) | instskip(SKIP_1) | instid1(VALU_DEP_2)
	v_pk_fma_f32 v[20:21], v[2:3], v[8:9], v[4:5]
	v_pk_fma_f32 v[2:3], v[2:3], v[8:9], v[4:5] neg_lo:[0,0,1] neg_hi:[0,0,1]
	v_dual_mov_b32 v7, v11 :: v_dual_mov_b32 v3, v21
	s_delay_alu instid0(VALU_DEP_1) | instskip(SKIP_2) | instid1(SALU_CYCLE_1)
	v_pk_add_f32 v[4:5], v[6:7], v[2:3]
	s_or_b32 exec_lo, exec_lo, s1
	s_and_saveexec_b32 s0, vcc_lo
	s_xor_b32 s0, exec_lo, s0
	s_cbranch_execz .LBB152_19
.LBB152_25:
	v_mov_b32_e32 v0, v30
	global_store_b64 v1, v[24:25], s[4:5] scale_offset
	s_wait_xcnt 0x0
	s_or_b32 exec_lo, exec_lo, s0
	s_delay_alu instid0(SALU_CYCLE_1)
	s_mov_b32 s0, exec_lo
	v_cmpx_gt_i32_e64 s16, v0
	s_cbranch_execz .LBB152_20
.LBB152_26:
	v_add_nc_u32_e32 v1, 0x100, v0
	s_delay_alu instid0(VALU_DEP_1) | instskip(SKIP_3) | instid1(SALU_CYCLE_1)
	v_dual_add_nc_u32 v2, s2, v0 :: v_dual_mov_b32 v0, v1
	global_store_b64 v2, v[14:15], s[4:5] scale_offset
	s_wait_xcnt 0x0
	s_or_b32 exec_lo, exec_lo, s0
	s_mov_b32 s0, exec_lo
	v_cmpx_gt_i32_e64 s16, v0
	s_cbranch_execz .LBB152_21
.LBB152_27:
	v_add_nc_u32_e32 v1, 0x100, v0
	s_delay_alu instid0(VALU_DEP_1) | instskip(SKIP_3) | instid1(SALU_CYCLE_1)
	v_dual_add_nc_u32 v2, s2, v0 :: v_dual_mov_b32 v0, v1
	global_store_b64 v2, v[16:17], s[4:5] scale_offset
	s_wait_xcnt 0x0
	s_or_b32 exec_lo, exec_lo, s0
	s_mov_b32 s0, exec_lo
	v_cmpx_gt_i32_e64 s16, v0
	s_cbranch_execnz .LBB152_22
	s_branch .LBB152_23
	.section	.rodata,"a",@progbits
	.p2align	6, 0x0
	.amdhsa_kernel _ZN2at6native29vectorized_elementwise_kernelILi16EZZZNS0_12_GLOBAL__N_116addr_kernel_cudaERNS_14TensorIteratorERKN3c106ScalarES8_ENKUlvE_clEvENKUlvE7_clEvEUlNS5_7complexIfEESC_SC_E0_St5arrayIPcLm4EEEEviT0_T1_
		.amdhsa_group_segment_fixed_size 0
		.amdhsa_private_segment_fixed_size 0
		.amdhsa_kernarg_size 56
		.amdhsa_user_sgpr_count 2
		.amdhsa_user_sgpr_dispatch_ptr 0
		.amdhsa_user_sgpr_queue_ptr 0
		.amdhsa_user_sgpr_kernarg_segment_ptr 1
		.amdhsa_user_sgpr_dispatch_id 0
		.amdhsa_user_sgpr_kernarg_preload_length 0
		.amdhsa_user_sgpr_kernarg_preload_offset 0
		.amdhsa_user_sgpr_private_segment_size 0
		.amdhsa_wavefront_size32 1
		.amdhsa_uses_dynamic_stack 0
		.amdhsa_enable_private_segment 0
		.amdhsa_system_sgpr_workgroup_id_x 1
		.amdhsa_system_sgpr_workgroup_id_y 0
		.amdhsa_system_sgpr_workgroup_id_z 0
		.amdhsa_system_sgpr_workgroup_info 0
		.amdhsa_system_vgpr_workitem_id 0
		.amdhsa_next_free_vgpr 50
		.amdhsa_next_free_sgpr 22
		.amdhsa_named_barrier_count 0
		.amdhsa_reserve_vcc 1
		.amdhsa_float_round_mode_32 0
		.amdhsa_float_round_mode_16_64 0
		.amdhsa_float_denorm_mode_32 3
		.amdhsa_float_denorm_mode_16_64 3
		.amdhsa_fp16_overflow 0
		.amdhsa_memory_ordered 1
		.amdhsa_forward_progress 1
		.amdhsa_inst_pref_size 17
		.amdhsa_round_robin_scheduling 0
		.amdhsa_exception_fp_ieee_invalid_op 0
		.amdhsa_exception_fp_denorm_src 0
		.amdhsa_exception_fp_ieee_div_zero 0
		.amdhsa_exception_fp_ieee_overflow 0
		.amdhsa_exception_fp_ieee_underflow 0
		.amdhsa_exception_fp_ieee_inexact 0
		.amdhsa_exception_int_div_zero 0
	.end_amdhsa_kernel
	.section	.text._ZN2at6native29vectorized_elementwise_kernelILi16EZZZNS0_12_GLOBAL__N_116addr_kernel_cudaERNS_14TensorIteratorERKN3c106ScalarES8_ENKUlvE_clEvENKUlvE7_clEvEUlNS5_7complexIfEESC_SC_E0_St5arrayIPcLm4EEEEviT0_T1_,"axG",@progbits,_ZN2at6native29vectorized_elementwise_kernelILi16EZZZNS0_12_GLOBAL__N_116addr_kernel_cudaERNS_14TensorIteratorERKN3c106ScalarES8_ENKUlvE_clEvENKUlvE7_clEvEUlNS5_7complexIfEESC_SC_E0_St5arrayIPcLm4EEEEviT0_T1_,comdat
.Lfunc_end152:
	.size	_ZN2at6native29vectorized_elementwise_kernelILi16EZZZNS0_12_GLOBAL__N_116addr_kernel_cudaERNS_14TensorIteratorERKN3c106ScalarES8_ENKUlvE_clEvENKUlvE7_clEvEUlNS5_7complexIfEESC_SC_E0_St5arrayIPcLm4EEEEviT0_T1_, .Lfunc_end152-_ZN2at6native29vectorized_elementwise_kernelILi16EZZZNS0_12_GLOBAL__N_116addr_kernel_cudaERNS_14TensorIteratorERKN3c106ScalarES8_ENKUlvE_clEvENKUlvE7_clEvEUlNS5_7complexIfEESC_SC_E0_St5arrayIPcLm4EEEEviT0_T1_
                                        ; -- End function
	.set _ZN2at6native29vectorized_elementwise_kernelILi16EZZZNS0_12_GLOBAL__N_116addr_kernel_cudaERNS_14TensorIteratorERKN3c106ScalarES8_ENKUlvE_clEvENKUlvE7_clEvEUlNS5_7complexIfEESC_SC_E0_St5arrayIPcLm4EEEEviT0_T1_.num_vgpr, 50
	.set _ZN2at6native29vectorized_elementwise_kernelILi16EZZZNS0_12_GLOBAL__N_116addr_kernel_cudaERNS_14TensorIteratorERKN3c106ScalarES8_ENKUlvE_clEvENKUlvE7_clEvEUlNS5_7complexIfEESC_SC_E0_St5arrayIPcLm4EEEEviT0_T1_.num_agpr, 0
	.set _ZN2at6native29vectorized_elementwise_kernelILi16EZZZNS0_12_GLOBAL__N_116addr_kernel_cudaERNS_14TensorIteratorERKN3c106ScalarES8_ENKUlvE_clEvENKUlvE7_clEvEUlNS5_7complexIfEESC_SC_E0_St5arrayIPcLm4EEEEviT0_T1_.numbered_sgpr, 22
	.set _ZN2at6native29vectorized_elementwise_kernelILi16EZZZNS0_12_GLOBAL__N_116addr_kernel_cudaERNS_14TensorIteratorERKN3c106ScalarES8_ENKUlvE_clEvENKUlvE7_clEvEUlNS5_7complexIfEESC_SC_E0_St5arrayIPcLm4EEEEviT0_T1_.num_named_barrier, 0
	.set _ZN2at6native29vectorized_elementwise_kernelILi16EZZZNS0_12_GLOBAL__N_116addr_kernel_cudaERNS_14TensorIteratorERKN3c106ScalarES8_ENKUlvE_clEvENKUlvE7_clEvEUlNS5_7complexIfEESC_SC_E0_St5arrayIPcLm4EEEEviT0_T1_.private_seg_size, 0
	.set _ZN2at6native29vectorized_elementwise_kernelILi16EZZZNS0_12_GLOBAL__N_116addr_kernel_cudaERNS_14TensorIteratorERKN3c106ScalarES8_ENKUlvE_clEvENKUlvE7_clEvEUlNS5_7complexIfEESC_SC_E0_St5arrayIPcLm4EEEEviT0_T1_.uses_vcc, 1
	.set _ZN2at6native29vectorized_elementwise_kernelILi16EZZZNS0_12_GLOBAL__N_116addr_kernel_cudaERNS_14TensorIteratorERKN3c106ScalarES8_ENKUlvE_clEvENKUlvE7_clEvEUlNS5_7complexIfEESC_SC_E0_St5arrayIPcLm4EEEEviT0_T1_.uses_flat_scratch, 0
	.set _ZN2at6native29vectorized_elementwise_kernelILi16EZZZNS0_12_GLOBAL__N_116addr_kernel_cudaERNS_14TensorIteratorERKN3c106ScalarES8_ENKUlvE_clEvENKUlvE7_clEvEUlNS5_7complexIfEESC_SC_E0_St5arrayIPcLm4EEEEviT0_T1_.has_dyn_sized_stack, 0
	.set _ZN2at6native29vectorized_elementwise_kernelILi16EZZZNS0_12_GLOBAL__N_116addr_kernel_cudaERNS_14TensorIteratorERKN3c106ScalarES8_ENKUlvE_clEvENKUlvE7_clEvEUlNS5_7complexIfEESC_SC_E0_St5arrayIPcLm4EEEEviT0_T1_.has_recursion, 0
	.set _ZN2at6native29vectorized_elementwise_kernelILi16EZZZNS0_12_GLOBAL__N_116addr_kernel_cudaERNS_14TensorIteratorERKN3c106ScalarES8_ENKUlvE_clEvENKUlvE7_clEvEUlNS5_7complexIfEESC_SC_E0_St5arrayIPcLm4EEEEviT0_T1_.has_indirect_call, 0
	.section	.AMDGPU.csdata,"",@progbits
; Kernel info:
; codeLenInByte = 2168
; TotalNumSgprs: 24
; NumVgprs: 50
; ScratchSize: 0
; MemoryBound: 0
; FloatMode: 240
; IeeeMode: 1
; LDSByteSize: 0 bytes/workgroup (compile time only)
; SGPRBlocks: 0
; VGPRBlocks: 3
; NumSGPRsForWavesPerEU: 24
; NumVGPRsForWavesPerEU: 50
; NamedBarCnt: 0
; Occupancy: 16
; WaveLimiterHint : 0
; COMPUTE_PGM_RSRC2:SCRATCH_EN: 0
; COMPUTE_PGM_RSRC2:USER_SGPR: 2
; COMPUTE_PGM_RSRC2:TRAP_HANDLER: 0
; COMPUTE_PGM_RSRC2:TGID_X_EN: 1
; COMPUTE_PGM_RSRC2:TGID_Y_EN: 0
; COMPUTE_PGM_RSRC2:TGID_Z_EN: 0
; COMPUTE_PGM_RSRC2:TIDIG_COMP_CNT: 0
	.section	.text._ZN2at6native29vectorized_elementwise_kernelILi8EZZZNS0_12_GLOBAL__N_116addr_kernel_cudaERNS_14TensorIteratorERKN3c106ScalarES8_ENKUlvE_clEvENKUlvE7_clEvEUlNS5_7complexIfEESC_SC_E0_St5arrayIPcLm4EEEEviT0_T1_,"axG",@progbits,_ZN2at6native29vectorized_elementwise_kernelILi8EZZZNS0_12_GLOBAL__N_116addr_kernel_cudaERNS_14TensorIteratorERKN3c106ScalarES8_ENKUlvE_clEvENKUlvE7_clEvEUlNS5_7complexIfEESC_SC_E0_St5arrayIPcLm4EEEEviT0_T1_,comdat
	.globl	_ZN2at6native29vectorized_elementwise_kernelILi8EZZZNS0_12_GLOBAL__N_116addr_kernel_cudaERNS_14TensorIteratorERKN3c106ScalarES8_ENKUlvE_clEvENKUlvE7_clEvEUlNS5_7complexIfEESC_SC_E0_St5arrayIPcLm4EEEEviT0_T1_ ; -- Begin function _ZN2at6native29vectorized_elementwise_kernelILi8EZZZNS0_12_GLOBAL__N_116addr_kernel_cudaERNS_14TensorIteratorERKN3c106ScalarES8_ENKUlvE_clEvENKUlvE7_clEvEUlNS5_7complexIfEESC_SC_E0_St5arrayIPcLm4EEEEviT0_T1_
	.p2align	8
	.type	_ZN2at6native29vectorized_elementwise_kernelILi8EZZZNS0_12_GLOBAL__N_116addr_kernel_cudaERNS_14TensorIteratorERKN3c106ScalarES8_ENKUlvE_clEvENKUlvE7_clEvEUlNS5_7complexIfEESC_SC_E0_St5arrayIPcLm4EEEEviT0_T1_,@function
_ZN2at6native29vectorized_elementwise_kernelILi8EZZZNS0_12_GLOBAL__N_116addr_kernel_cudaERNS_14TensorIteratorERKN3c106ScalarES8_ENKUlvE_clEvENKUlvE7_clEvEUlNS5_7complexIfEESC_SC_E0_St5arrayIPcLm4EEEEviT0_T1_: ; @_ZN2at6native29vectorized_elementwise_kernelILi8EZZZNS0_12_GLOBAL__N_116addr_kernel_cudaERNS_14TensorIteratorERKN3c106ScalarES8_ENKUlvE_clEvENKUlvE7_clEvEUlNS5_7complexIfEESC_SC_E0_St5arrayIPcLm4EEEEviT0_T1_
; %bb.0:
	s_clause 0x2
	s_load_b32 s3, s[0:1], 0x0
	s_load_b128 s[12:15], s[0:1], 0x8
	s_load_b256 s[4:11], s[0:1], 0x18
	s_wait_xcnt 0x0
	s_bfe_u32 s0, ttmp6, 0x4000c
	s_and_b32 s1, ttmp6, 15
	s_add_co_i32 s0, s0, 1
	s_getreg_b32 s2, hwreg(HW_REG_IB_STS2, 6, 4)
	s_mul_i32 s0, ttmp9, s0
	s_delay_alu instid0(SALU_CYCLE_1) | instskip(SKIP_2) | instid1(SALU_CYCLE_1)
	s_add_co_i32 s1, s1, s0
	s_cmp_eq_u32 s2, 0
	s_cselect_b32 s0, ttmp9, s1
	s_lshl_b32 s2, s0, 10
	s_mov_b32 s0, -1
	s_wait_kmcnt 0x0
	s_sub_co_i32 s16, s3, s2
	s_delay_alu instid0(SALU_CYCLE_1)
	s_cmp_gt_i32 s16, 0x3ff
	s_cbranch_scc0 .LBB153_2
; %bb.1:
	s_ashr_i32 s3, s2, 31
	v_lshlrev_b32_e32 v1, 5, v0
	s_lshl_b64 s[0:1], s[2:3], 3
	v_mov_b64_e32 v[26:27], s[14:15]
	s_add_nc_u64 s[18:19], s[8:9], s[0:1]
	s_add_nc_u64 s[20:21], s[10:11], s[0:1]
	s_clause 0x1
	global_load_b128 v[2:5], v1, s[18:19]
	global_load_b128 v[6:9], v1, s[18:19] offset:16
	s_wait_xcnt 0x0
	s_add_nc_u64 s[18:19], s[6:7], s[0:1]
	s_clause 0x3
	global_load_b128 v[10:13], v1, s[18:19]
	global_load_b128 v[14:17], v1, s[20:21]
	global_load_b128 v[18:21], v1, s[18:19] offset:16
	global_load_b128 v[22:25], v1, s[20:21] offset:16
	v_mov_b64_e32 v[28:29], s[12:13]
	s_wait_xcnt 0x1
	s_add_nc_u64 s[18:19], s[4:5], s[0:1]
	s_mov_b32 s0, 0
	s_wait_loadcnt 0x5
	v_pk_mul_f32 v[30:31], v[26:27], v[2:3]
	v_pk_mul_f32 v[2:3], v[26:27], v[2:3] op_sel:[1,0] op_sel_hi:[0,1]
	v_pk_mul_f32 v[32:33], v[26:27], v[4:5]
	v_pk_mul_f32 v[4:5], v[26:27], v[4:5] op_sel:[1,0] op_sel_hi:[0,1]
	s_wait_loadcnt 0x4
	v_pk_mul_f32 v[34:35], v[26:27], v[6:7]
	v_pk_mul_f32 v[6:7], v[26:27], v[6:7] op_sel:[1,0] op_sel_hi:[0,1]
	v_pk_mul_f32 v[36:37], v[26:27], v[8:9]
	v_pk_mul_f32 v[8:9], v[26:27], v[8:9] op_sel:[1,0] op_sel_hi:[0,1]
	s_wait_loadcnt 0x3
	v_pk_mul_f32 v[26:27], v[28:29], v[10:11] op_sel:[1,1] op_sel_hi:[0,1]
	s_wait_loadcnt 0x2
	v_dual_mov_b32 v38, v13 :: v_dual_mov_b32 v40, v17
	v_mov_b32_e32 v41, v16
	s_wait_loadcnt 0x1
	v_pk_mul_f32 v[42:43], v[28:29], v[18:19] op_sel:[1,1] op_sel_hi:[0,1]
	s_wait_loadcnt 0x0
	v_dual_mov_b32 v44, v21 :: v_dual_mov_b32 v46, v25
	v_dual_mov_b32 v47, v24 :: v_dual_add_f32 v2, v2, v3
	v_pk_fma_f32 v[48:49], v[28:29], v[10:11], v[26:27] neg_lo:[0,0,1] neg_hi:[0,0,1]
	v_pk_fma_f32 v[10:11], v[28:29], v[10:11], v[26:27] op_sel_hi:[1,0,1]
	v_pk_add_f32 v[26:27], v[30:31], v[30:31] op_sel:[0,1] op_sel_hi:[0,1] neg_lo:[0,1] neg_hi:[0,1]
	v_pk_mul_f32 v[30:31], v[28:29], v[38:39] op_sel:[1,0] op_sel_hi:[0,0]
	v_dual_add_f32 v4, v4, v5 :: v_dual_add_f32 v6, v6, v7
	s_delay_alu instid0(VALU_DEP_4)
	v_dual_add_f32 v8, v8, v9 :: v_dual_mov_b32 v49, v11
	v_pk_add_f32 v[32:33], v[32:33], v[32:33] op_sel:[0,1] op_sel_hi:[0,1] neg_lo:[0,1] neg_hi:[0,1]
	v_pk_fma_f32 v[38:39], v[28:29], v[18:19], v[42:43] neg_lo:[0,0,1] neg_hi:[0,0,1]
	v_pk_fma_f32 v[18:19], v[28:29], v[18:19], v[42:43] op_sel_hi:[1,0,1]
	v_pk_mul_f32 v[42:43], v[28:29], v[44:45] op_sel:[1,0] op_sel_hi:[0,0]
	v_pk_mul_f32 v[2:3], v[2:3], v[14:15] op_sel:[0,1] op_sel_hi:[0,0]
	v_pk_fma_f32 v[10:11], v[28:29], v[12:13], v[30:31] neg_lo:[0,0,1] neg_hi:[0,0,1]
	v_pk_fma_f32 v[12:13], v[28:29], v[12:13], v[30:31] op_sel_hi:[1,0,1]
	v_pk_mul_f32 v[4:5], v[4:5], v[40:41] op_sel_hi:[0,1]
	v_pk_add_f32 v[34:35], v[34:35], v[34:35] op_sel:[0,1] op_sel_hi:[0,1] neg_lo:[0,1] neg_hi:[0,1]
	v_pk_add_f32 v[36:37], v[36:37], v[36:37] op_sel:[0,1] op_sel_hi:[0,1] neg_lo:[0,1] neg_hi:[0,1]
	v_pk_mul_f32 v[6:7], v[6:7], v[22:23] op_sel:[0,1] op_sel_hi:[0,0]
	v_pk_mul_f32 v[8:9], v[8:9], v[46:47] op_sel_hi:[0,1]
	v_dual_mov_b32 v39, v19 :: v_dual_mov_b32 v11, v13
	v_pk_fma_f32 v[18:19], v[28:29], v[20:21], v[42:43] neg_lo:[0,0,1] neg_hi:[0,0,1]
	v_pk_fma_f32 v[20:21], v[28:29], v[20:21], v[42:43] op_sel_hi:[1,0,1]
	v_pk_fma_f32 v[28:29], v[26:27], v[14:15], v[2:3] neg_lo:[0,0,1] neg_hi:[0,0,1]
	v_pk_fma_f32 v[2:3], v[26:27], v[14:15], v[2:3]
	v_pk_fma_f32 v[12:13], v[32:33], v[16:17], v[4:5] neg_lo:[0,0,1] neg_hi:[0,0,1]
	v_pk_fma_f32 v[4:5], v[32:33], v[16:17], v[4:5]
	;; [unrolled: 2-line block ×3, first 2 shown]
	v_pk_fma_f32 v[16:17], v[36:37], v[24:25], v[8:9]
	v_dual_mov_b32 v19, v21 :: v_dual_mov_b32 v29, v3
	v_pk_fma_f32 v[8:9], v[36:37], v[24:25], v[8:9] neg_lo:[0,0,1] neg_hi:[0,0,1]
	s_delay_alu instid0(VALU_DEP_4) | instskip(NEXT) | instid1(VALU_DEP_4)
	v_dual_mov_b32 v13, v5 :: v_dual_mov_b32 v15, v7
	v_mov_b32_e32 v9, v17
	s_delay_alu instid0(VALU_DEP_4) | instskip(NEXT) | instid1(VALU_DEP_3)
	v_pk_add_f32 v[2:3], v[48:49], v[28:29]
	v_pk_add_f32 v[4:5], v[10:11], v[12:13]
	s_delay_alu instid0(VALU_DEP_4) | instskip(NEXT) | instid1(VALU_DEP_4)
	v_pk_add_f32 v[6:7], v[38:39], v[14:15]
	v_pk_add_f32 v[8:9], v[18:19], v[8:9]
	s_clause 0x1
	global_store_b128 v1, v[2:5], s[18:19]
	global_store_b128 v1, v[6:9], s[18:19] offset:16
.LBB153_2:
	s_and_not1_b32 vcc_lo, exec_lo, s0
	s_cbranch_vccnz .LBB153_23
; %bb.3:
	v_cmp_gt_i32_e32 vcc_lo, s16, v0
	s_wait_xcnt 0x0
	v_dual_mov_b32 v4, 0 :: v_dual_bitop2_b32 v1, s2, v0 bitop3:0x54
	v_or_b32_e32 v30, 0x100, v0
	v_dual_mov_b32 v14, v0 :: v_dual_mov_b32 v20, 0
	v_dual_mov_b32 v21, 0 :: v_dual_mov_b32 v28, 0
	;; [unrolled: 1-line block ×3, first 2 shown]
	v_mov_b32_e32 v23, 0
	s_and_saveexec_b32 s0, vcc_lo
	s_cbranch_execz .LBB153_5
; %bb.4:
	s_clause 0x2
	global_load_b64 v[22:23], v1, s[6:7] scale_offset
	global_load_b64 v[28:29], v1, s[8:9] scale_offset
	;; [unrolled: 1-line block ×3, first 2 shown]
	v_or_b32_e32 v14, 0x100, v0
.LBB153_5:
	s_wait_xcnt 0x0
	s_or_b32 exec_lo, exec_lo, s0
	v_dual_mov_b32 v5, 0 :: v_dual_mov_b32 v26, 0
	v_dual_mov_b32 v27, 0 :: v_dual_mov_b32 v16, 0
	v_mov_b32_e32 v17, 0
	s_mov_b32 s1, exec_lo
	v_cmpx_gt_i32_e64 s16, v14
	s_cbranch_execz .LBB153_7
; %bb.6:
	v_add_nc_u32_e32 v2, s2, v14
	v_add_nc_u32_e32 v14, 0x100, v14
	s_clause 0x2
	global_load_b64 v[16:17], v2, s[6:7] scale_offset
	global_load_b64 v[26:27], v2, s[8:9] scale_offset
	;; [unrolled: 1-line block ×3, first 2 shown]
.LBB153_7:
	s_wait_xcnt 0x0
	s_or_b32 exec_lo, exec_lo, s1
	v_dual_mov_b32 v2, 0 :: v_dual_mov_b32 v8, 0
	v_dual_mov_b32 v9, 0 :: v_dual_mov_b32 v18, 0
	;; [unrolled: 1-line block ×3, first 2 shown]
	v_mov_b32_e32 v13, 0
	s_mov_b32 s1, exec_lo
	v_cmpx_gt_i32_e64 s16, v14
	s_cbranch_execz .LBB153_9
; %bb.8:
	v_add_nc_u32_e32 v3, s2, v14
	v_add_nc_u32_e32 v14, 0x100, v14
	s_clause 0x2
	global_load_b64 v[12:13], v3, s[6:7] scale_offset
	global_load_b64 v[18:19], v3, s[8:9] scale_offset
	;; [unrolled: 1-line block ×3, first 2 shown]
.LBB153_9:
	s_wait_xcnt 0x0
	s_or_b32 exec_lo, exec_lo, s1
	v_dual_mov_b32 v3, 0 :: v_dual_mov_b32 v10, 0
	v_dual_mov_b32 v11, 0 :: v_dual_mov_b32 v6, 0
	v_mov_b32_e32 v7, 0
	s_mov_b32 s1, exec_lo
	v_cmpx_gt_i32_e64 s16, v14
	s_cbranch_execz .LBB153_11
; %bb.10:
	v_add_nc_u32_e32 v14, s2, v14
	s_clause 0x2
	global_load_b64 v[6:7], v14, s[6:7] scale_offset
	global_load_b64 v[10:11], v14, s[8:9] scale_offset
	;; [unrolled: 1-line block ×3, first 2 shown]
.LBB153_11:
	s_wait_xcnt 0x0
	s_or_b32 exec_lo, exec_lo, s1
	v_dual_mov_b32 v14, 0 :: v_dual_mov_b32 v24, 0
	v_mov_b32_e32 v25, 0
	s_and_saveexec_b32 s0, vcc_lo
	s_cbranch_execz .LBB153_13
; %bb.12:
	v_mov_b64_e32 v[32:33], s[14:15]
	s_wait_loadcnt 0x1
	v_dual_mov_b32 v24, v29 :: v_dual_mov_b32 v25, v28
	v_mov_b64_e32 v[34:35], s[12:13]
	s_wait_loadcnt 0x0
	v_dual_mov_b32 v37, v20 :: v_dual_mov_b32 v36, v21
	s_delay_alu instid0(VALU_DEP_3) | instskip(SKIP_1) | instid1(VALU_DEP_2)
	v_pk_mul_f32 v[24:25], v[32:33], v[24:25]
	v_pk_mul_f32 v[28:29], v[32:33], v[28:29]
	v_dual_mov_b32 v32, v23 :: v_dual_add_f32 v24, v24, v25
	s_delay_alu instid0(VALU_DEP_2) | instskip(NEXT) | instid1(VALU_DEP_2)
	v_pk_add_f32 v[28:29], v[28:29], v[28:29] op_sel:[0,1] op_sel_hi:[0,1] neg_lo:[0,1] neg_hi:[0,1]
	v_pk_mul_f32 v[32:33], v[34:35], v[32:33] op_sel:[1,0] op_sel_hi:[0,0]
	s_delay_alu instid0(VALU_DEP_3) | instskip(NEXT) | instid1(VALU_DEP_2)
	v_pk_mul_f32 v[24:25], v[36:37], v[24:25] op_sel_hi:[1,0]
	v_pk_fma_f32 v[36:37], v[34:35], v[22:23], v[32:33] op_sel_hi:[1,0,1]
	v_pk_fma_f32 v[22:23], v[34:35], v[22:23], v[32:33] neg_lo:[0,0,1] neg_hi:[0,0,1]
	s_delay_alu instid0(VALU_DEP_3) | instskip(SKIP_1) | instid1(VALU_DEP_2)
	v_pk_fma_f32 v[38:39], v[20:21], v[28:29], v[24:25]
	v_pk_fma_f32 v[20:21], v[20:21], v[28:29], v[24:25] neg_lo:[0,0,1] neg_hi:[0,0,1]
	v_dual_mov_b32 v23, v37 :: v_dual_mov_b32 v21, v39
	s_delay_alu instid0(VALU_DEP_1)
	v_pk_add_f32 v[24:25], v[22:23], v[20:21]
.LBB153_13:
	s_or_b32 exec_lo, exec_lo, s0
	v_mov_b32_e32 v15, 0
	s_mov_b32 s1, exec_lo
	v_cmpx_gt_i32_e64 s16, v30
	s_cbranch_execz .LBB153_15
; %bb.14:
	s_wait_loadcnt 0x0
	v_mov_b64_e32 v[20:21], s[14:15]
	v_dual_mov_b32 v14, v27 :: v_dual_mov_b32 v15, v26
	v_mov_b32_e32 v28, v5
	s_delay_alu instid0(VALU_DEP_2) | instskip(SKIP_3) | instid1(VALU_DEP_4)
	v_pk_mul_f32 v[14:15], v[20:21], v[14:15]
	v_pk_mul_f32 v[22:23], v[20:21], v[26:27]
	v_mov_b64_e32 v[26:27], s[12:13]
	v_dual_mov_b32 v20, v17 :: v_dual_mov_b32 v29, v4
	v_add_f32_e32 v14, v14, v15
	s_delay_alu instid0(VALU_DEP_4) | instskip(NEXT) | instid1(VALU_DEP_3)
	v_pk_add_f32 v[22:23], v[22:23], v[22:23] op_sel:[0,1] op_sel_hi:[0,1] neg_lo:[0,1] neg_hi:[0,1]
	v_pk_mul_f32 v[20:21], v[26:27], v[20:21] op_sel:[1,0] op_sel_hi:[0,0]
	s_delay_alu instid0(VALU_DEP_3) | instskip(NEXT) | instid1(VALU_DEP_2)
	v_pk_mul_f32 v[14:15], v[28:29], v[14:15] op_sel_hi:[1,0]
	v_pk_fma_f32 v[28:29], v[26:27], v[16:17], v[20:21] op_sel_hi:[1,0,1]
	s_delay_alu instid0(VALU_DEP_2) | instskip(SKIP_2) | instid1(VALU_DEP_3)
	v_pk_fma_f32 v[32:33], v[4:5], v[22:23], v[14:15]
	v_pk_fma_f32 v[16:17], v[26:27], v[16:17], v[20:21] neg_lo:[0,0,1] neg_hi:[0,0,1]
	v_pk_fma_f32 v[4:5], v[4:5], v[22:23], v[14:15] neg_lo:[0,0,1] neg_hi:[0,0,1]
	v_dual_mov_b32 v17, v29 :: v_dual_mov_b32 v5, v33
	s_delay_alu instid0(VALU_DEP_1)
	v_pk_add_f32 v[14:15], v[16:17], v[4:5]
.LBB153_15:
	s_or_b32 exec_lo, exec_lo, s1
	s_wait_loadcnt 0x0
	v_or_b32_e32 v5, 0x200, v0
	v_dual_mov_b32 v4, 0 :: v_dual_mov_b32 v16, 0
	v_mov_b32_e32 v17, 0
	s_mov_b32 s1, exec_lo
	s_delay_alu instid0(VALU_DEP_3)
	v_cmpx_gt_i32_e64 s16, v5
	s_cbranch_execz .LBB153_17
; %bb.16:
	v_mov_b64_e32 v[20:21], s[14:15]
	v_dual_mov_b32 v16, v19 :: v_dual_mov_b32 v17, v18
	v_mov_b64_e32 v[22:23], s[12:13]
	v_dual_mov_b32 v27, v8 :: v_dual_mov_b32 v26, v9
	s_delay_alu instid0(VALU_DEP_3) | instskip(SKIP_1) | instid1(VALU_DEP_2)
	v_pk_mul_f32 v[16:17], v[20:21], v[16:17]
	v_pk_mul_f32 v[18:19], v[20:21], v[18:19]
	v_dual_mov_b32 v20, v13 :: v_dual_add_f32 v16, v16, v17
	s_delay_alu instid0(VALU_DEP_2) | instskip(NEXT) | instid1(VALU_DEP_2)
	v_pk_add_f32 v[18:19], v[18:19], v[18:19] op_sel:[0,1] op_sel_hi:[0,1] neg_lo:[0,1] neg_hi:[0,1]
	v_pk_mul_f32 v[20:21], v[22:23], v[20:21] op_sel:[1,0] op_sel_hi:[0,0]
	s_delay_alu instid0(VALU_DEP_3) | instskip(NEXT) | instid1(VALU_DEP_2)
	v_pk_mul_f32 v[16:17], v[26:27], v[16:17] op_sel_hi:[1,0]
	v_pk_fma_f32 v[26:27], v[22:23], v[12:13], v[20:21] op_sel_hi:[1,0,1]
	v_pk_fma_f32 v[12:13], v[22:23], v[12:13], v[20:21] neg_lo:[0,0,1] neg_hi:[0,0,1]
	s_delay_alu instid0(VALU_DEP_3) | instskip(SKIP_1) | instid1(VALU_DEP_2)
	v_pk_fma_f32 v[28:29], v[8:9], v[18:19], v[16:17]
	v_pk_fma_f32 v[8:9], v[8:9], v[18:19], v[16:17] neg_lo:[0,0,1] neg_hi:[0,0,1]
	v_dual_mov_b32 v13, v27 :: v_dual_mov_b32 v9, v29
	s_delay_alu instid0(VALU_DEP_1)
	v_pk_add_f32 v[16:17], v[12:13], v[8:9]
.LBB153_17:
	s_or_b32 exec_lo, exec_lo, s1
	v_or_b32_e32 v5, 0x300, v0
	s_delay_alu instid0(VALU_DEP_1)
	v_cmp_gt_i32_e64 s0, s16, v5
	v_mov_b32_e32 v5, 0
	s_and_saveexec_b32 s1, s0
	s_cbranch_execnz .LBB153_24
; %bb.18:
	s_or_b32 exec_lo, exec_lo, s1
	s_and_saveexec_b32 s0, vcc_lo
	s_delay_alu instid0(SALU_CYCLE_1)
	s_xor_b32 s0, exec_lo, s0
	s_cbranch_execnz .LBB153_25
.LBB153_19:
	s_or_b32 exec_lo, exec_lo, s0
	s_delay_alu instid0(SALU_CYCLE_1)
	s_mov_b32 s0, exec_lo
	v_cmpx_gt_i32_e64 s16, v0
	s_cbranch_execnz .LBB153_26
.LBB153_20:
	s_or_b32 exec_lo, exec_lo, s0
	s_delay_alu instid0(SALU_CYCLE_1)
	s_mov_b32 s0, exec_lo
	v_cmpx_gt_i32_e64 s16, v0
	s_cbranch_execnz .LBB153_27
.LBB153_21:
	s_or_b32 exec_lo, exec_lo, s0
	s_delay_alu instid0(SALU_CYCLE_1)
	s_mov_b32 s0, exec_lo
	v_cmpx_gt_i32_e64 s16, v0
	s_cbranch_execz .LBB153_23
.LBB153_22:
	v_add_nc_u32_e32 v0, s2, v0
	global_store_b64 v0, v[4:5], s[4:5] scale_offset
.LBB153_23:
	s_endpgm
.LBB153_24:
	v_mov_b64_e32 v[8:9], s[14:15]
	v_dual_mov_b32 v4, v11 :: v_dual_mov_b32 v5, v10
	v_mov_b64_e32 v[18:19], s[12:13]
	v_mov_b32_e32 v12, v7
	s_delay_alu instid0(VALU_DEP_3) | instskip(SKIP_2) | instid1(VALU_DEP_4)
	v_pk_mul_f32 v[4:5], v[8:9], v[4:5]
	v_pk_mul_f32 v[8:9], v[8:9], v[10:11]
	v_dual_mov_b32 v10, v3 :: v_dual_mov_b32 v11, v2
	v_pk_mul_f32 v[12:13], v[18:19], v[12:13] op_sel:[1,0] op_sel_hi:[0,0]
	s_delay_alu instid0(VALU_DEP_4) | instskip(NEXT) | instid1(VALU_DEP_4)
	v_add_f32_e32 v4, v4, v5
	v_pk_add_f32 v[8:9], v[8:9], v[8:9] op_sel:[0,1] op_sel_hi:[0,1] neg_lo:[0,1] neg_hi:[0,1]
	s_delay_alu instid0(VALU_DEP_2) | instskip(NEXT) | instid1(VALU_DEP_4)
	v_pk_mul_f32 v[4:5], v[10:11], v[4:5] op_sel_hi:[1,0]
	v_pk_fma_f32 v[10:11], v[18:19], v[6:7], v[12:13] op_sel_hi:[1,0,1]
	v_pk_fma_f32 v[6:7], v[18:19], v[6:7], v[12:13] neg_lo:[0,0,1] neg_hi:[0,0,1]
	s_delay_alu instid0(VALU_DEP_3) | instskip(SKIP_1) | instid1(VALU_DEP_2)
	v_pk_fma_f32 v[20:21], v[2:3], v[8:9], v[4:5]
	v_pk_fma_f32 v[2:3], v[2:3], v[8:9], v[4:5] neg_lo:[0,0,1] neg_hi:[0,0,1]
	v_dual_mov_b32 v7, v11 :: v_dual_mov_b32 v3, v21
	s_delay_alu instid0(VALU_DEP_1) | instskip(SKIP_2) | instid1(SALU_CYCLE_1)
	v_pk_add_f32 v[4:5], v[6:7], v[2:3]
	s_or_b32 exec_lo, exec_lo, s1
	s_and_saveexec_b32 s0, vcc_lo
	s_xor_b32 s0, exec_lo, s0
	s_cbranch_execz .LBB153_19
.LBB153_25:
	v_mov_b32_e32 v0, v30
	global_store_b64 v1, v[24:25], s[4:5] scale_offset
	s_wait_xcnt 0x0
	s_or_b32 exec_lo, exec_lo, s0
	s_delay_alu instid0(SALU_CYCLE_1)
	s_mov_b32 s0, exec_lo
	v_cmpx_gt_i32_e64 s16, v0
	s_cbranch_execz .LBB153_20
.LBB153_26:
	v_add_nc_u32_e32 v1, 0x100, v0
	s_delay_alu instid0(VALU_DEP_1) | instskip(SKIP_3) | instid1(SALU_CYCLE_1)
	v_dual_add_nc_u32 v2, s2, v0 :: v_dual_mov_b32 v0, v1
	global_store_b64 v2, v[14:15], s[4:5] scale_offset
	s_wait_xcnt 0x0
	s_or_b32 exec_lo, exec_lo, s0
	s_mov_b32 s0, exec_lo
	v_cmpx_gt_i32_e64 s16, v0
	s_cbranch_execz .LBB153_21
.LBB153_27:
	v_add_nc_u32_e32 v1, 0x100, v0
	s_delay_alu instid0(VALU_DEP_1) | instskip(SKIP_3) | instid1(SALU_CYCLE_1)
	v_dual_add_nc_u32 v2, s2, v0 :: v_dual_mov_b32 v0, v1
	global_store_b64 v2, v[16:17], s[4:5] scale_offset
	s_wait_xcnt 0x0
	s_or_b32 exec_lo, exec_lo, s0
	s_mov_b32 s0, exec_lo
	v_cmpx_gt_i32_e64 s16, v0
	s_cbranch_execnz .LBB153_22
	s_branch .LBB153_23
	.section	.rodata,"a",@progbits
	.p2align	6, 0x0
	.amdhsa_kernel _ZN2at6native29vectorized_elementwise_kernelILi8EZZZNS0_12_GLOBAL__N_116addr_kernel_cudaERNS_14TensorIteratorERKN3c106ScalarES8_ENKUlvE_clEvENKUlvE7_clEvEUlNS5_7complexIfEESC_SC_E0_St5arrayIPcLm4EEEEviT0_T1_
		.amdhsa_group_segment_fixed_size 0
		.amdhsa_private_segment_fixed_size 0
		.amdhsa_kernarg_size 56
		.amdhsa_user_sgpr_count 2
		.amdhsa_user_sgpr_dispatch_ptr 0
		.amdhsa_user_sgpr_queue_ptr 0
		.amdhsa_user_sgpr_kernarg_segment_ptr 1
		.amdhsa_user_sgpr_dispatch_id 0
		.amdhsa_user_sgpr_kernarg_preload_length 0
		.amdhsa_user_sgpr_kernarg_preload_offset 0
		.amdhsa_user_sgpr_private_segment_size 0
		.amdhsa_wavefront_size32 1
		.amdhsa_uses_dynamic_stack 0
		.amdhsa_enable_private_segment 0
		.amdhsa_system_sgpr_workgroup_id_x 1
		.amdhsa_system_sgpr_workgroup_id_y 0
		.amdhsa_system_sgpr_workgroup_id_z 0
		.amdhsa_system_sgpr_workgroup_info 0
		.amdhsa_system_vgpr_workitem_id 0
		.amdhsa_next_free_vgpr 50
		.amdhsa_next_free_sgpr 22
		.amdhsa_named_barrier_count 0
		.amdhsa_reserve_vcc 1
		.amdhsa_float_round_mode_32 0
		.amdhsa_float_round_mode_16_64 0
		.amdhsa_float_denorm_mode_32 3
		.amdhsa_float_denorm_mode_16_64 3
		.amdhsa_fp16_overflow 0
		.amdhsa_memory_ordered 1
		.amdhsa_forward_progress 1
		.amdhsa_inst_pref_size 17
		.amdhsa_round_robin_scheduling 0
		.amdhsa_exception_fp_ieee_invalid_op 0
		.amdhsa_exception_fp_denorm_src 0
		.amdhsa_exception_fp_ieee_div_zero 0
		.amdhsa_exception_fp_ieee_overflow 0
		.amdhsa_exception_fp_ieee_underflow 0
		.amdhsa_exception_fp_ieee_inexact 0
		.amdhsa_exception_int_div_zero 0
	.end_amdhsa_kernel
	.section	.text._ZN2at6native29vectorized_elementwise_kernelILi8EZZZNS0_12_GLOBAL__N_116addr_kernel_cudaERNS_14TensorIteratorERKN3c106ScalarES8_ENKUlvE_clEvENKUlvE7_clEvEUlNS5_7complexIfEESC_SC_E0_St5arrayIPcLm4EEEEviT0_T1_,"axG",@progbits,_ZN2at6native29vectorized_elementwise_kernelILi8EZZZNS0_12_GLOBAL__N_116addr_kernel_cudaERNS_14TensorIteratorERKN3c106ScalarES8_ENKUlvE_clEvENKUlvE7_clEvEUlNS5_7complexIfEESC_SC_E0_St5arrayIPcLm4EEEEviT0_T1_,comdat
.Lfunc_end153:
	.size	_ZN2at6native29vectorized_elementwise_kernelILi8EZZZNS0_12_GLOBAL__N_116addr_kernel_cudaERNS_14TensorIteratorERKN3c106ScalarES8_ENKUlvE_clEvENKUlvE7_clEvEUlNS5_7complexIfEESC_SC_E0_St5arrayIPcLm4EEEEviT0_T1_, .Lfunc_end153-_ZN2at6native29vectorized_elementwise_kernelILi8EZZZNS0_12_GLOBAL__N_116addr_kernel_cudaERNS_14TensorIteratorERKN3c106ScalarES8_ENKUlvE_clEvENKUlvE7_clEvEUlNS5_7complexIfEESC_SC_E0_St5arrayIPcLm4EEEEviT0_T1_
                                        ; -- End function
	.set _ZN2at6native29vectorized_elementwise_kernelILi8EZZZNS0_12_GLOBAL__N_116addr_kernel_cudaERNS_14TensorIteratorERKN3c106ScalarES8_ENKUlvE_clEvENKUlvE7_clEvEUlNS5_7complexIfEESC_SC_E0_St5arrayIPcLm4EEEEviT0_T1_.num_vgpr, 50
	.set _ZN2at6native29vectorized_elementwise_kernelILi8EZZZNS0_12_GLOBAL__N_116addr_kernel_cudaERNS_14TensorIteratorERKN3c106ScalarES8_ENKUlvE_clEvENKUlvE7_clEvEUlNS5_7complexIfEESC_SC_E0_St5arrayIPcLm4EEEEviT0_T1_.num_agpr, 0
	.set _ZN2at6native29vectorized_elementwise_kernelILi8EZZZNS0_12_GLOBAL__N_116addr_kernel_cudaERNS_14TensorIteratorERKN3c106ScalarES8_ENKUlvE_clEvENKUlvE7_clEvEUlNS5_7complexIfEESC_SC_E0_St5arrayIPcLm4EEEEviT0_T1_.numbered_sgpr, 22
	.set _ZN2at6native29vectorized_elementwise_kernelILi8EZZZNS0_12_GLOBAL__N_116addr_kernel_cudaERNS_14TensorIteratorERKN3c106ScalarES8_ENKUlvE_clEvENKUlvE7_clEvEUlNS5_7complexIfEESC_SC_E0_St5arrayIPcLm4EEEEviT0_T1_.num_named_barrier, 0
	.set _ZN2at6native29vectorized_elementwise_kernelILi8EZZZNS0_12_GLOBAL__N_116addr_kernel_cudaERNS_14TensorIteratorERKN3c106ScalarES8_ENKUlvE_clEvENKUlvE7_clEvEUlNS5_7complexIfEESC_SC_E0_St5arrayIPcLm4EEEEviT0_T1_.private_seg_size, 0
	.set _ZN2at6native29vectorized_elementwise_kernelILi8EZZZNS0_12_GLOBAL__N_116addr_kernel_cudaERNS_14TensorIteratorERKN3c106ScalarES8_ENKUlvE_clEvENKUlvE7_clEvEUlNS5_7complexIfEESC_SC_E0_St5arrayIPcLm4EEEEviT0_T1_.uses_vcc, 1
	.set _ZN2at6native29vectorized_elementwise_kernelILi8EZZZNS0_12_GLOBAL__N_116addr_kernel_cudaERNS_14TensorIteratorERKN3c106ScalarES8_ENKUlvE_clEvENKUlvE7_clEvEUlNS5_7complexIfEESC_SC_E0_St5arrayIPcLm4EEEEviT0_T1_.uses_flat_scratch, 0
	.set _ZN2at6native29vectorized_elementwise_kernelILi8EZZZNS0_12_GLOBAL__N_116addr_kernel_cudaERNS_14TensorIteratorERKN3c106ScalarES8_ENKUlvE_clEvENKUlvE7_clEvEUlNS5_7complexIfEESC_SC_E0_St5arrayIPcLm4EEEEviT0_T1_.has_dyn_sized_stack, 0
	.set _ZN2at6native29vectorized_elementwise_kernelILi8EZZZNS0_12_GLOBAL__N_116addr_kernel_cudaERNS_14TensorIteratorERKN3c106ScalarES8_ENKUlvE_clEvENKUlvE7_clEvEUlNS5_7complexIfEESC_SC_E0_St5arrayIPcLm4EEEEviT0_T1_.has_recursion, 0
	.set _ZN2at6native29vectorized_elementwise_kernelILi8EZZZNS0_12_GLOBAL__N_116addr_kernel_cudaERNS_14TensorIteratorERKN3c106ScalarES8_ENKUlvE_clEvENKUlvE7_clEvEUlNS5_7complexIfEESC_SC_E0_St5arrayIPcLm4EEEEviT0_T1_.has_indirect_call, 0
	.section	.AMDGPU.csdata,"",@progbits
; Kernel info:
; codeLenInByte = 2168
; TotalNumSgprs: 24
; NumVgprs: 50
; ScratchSize: 0
; MemoryBound: 0
; FloatMode: 240
; IeeeMode: 1
; LDSByteSize: 0 bytes/workgroup (compile time only)
; SGPRBlocks: 0
; VGPRBlocks: 3
; NumSGPRsForWavesPerEU: 24
; NumVGPRsForWavesPerEU: 50
; NamedBarCnt: 0
; Occupancy: 16
; WaveLimiterHint : 0
; COMPUTE_PGM_RSRC2:SCRATCH_EN: 0
; COMPUTE_PGM_RSRC2:USER_SGPR: 2
; COMPUTE_PGM_RSRC2:TRAP_HANDLER: 0
; COMPUTE_PGM_RSRC2:TGID_X_EN: 1
; COMPUTE_PGM_RSRC2:TGID_Y_EN: 0
; COMPUTE_PGM_RSRC2:TGID_Z_EN: 0
; COMPUTE_PGM_RSRC2:TIDIG_COMP_CNT: 0
	.section	.text._ZN2at6native29vectorized_elementwise_kernelILi4EZZZNS0_12_GLOBAL__N_116addr_kernel_cudaERNS_14TensorIteratorERKN3c106ScalarES8_ENKUlvE_clEvENKUlvE7_clEvEUlNS5_7complexIfEESC_SC_E0_St5arrayIPcLm4EEEEviT0_T1_,"axG",@progbits,_ZN2at6native29vectorized_elementwise_kernelILi4EZZZNS0_12_GLOBAL__N_116addr_kernel_cudaERNS_14TensorIteratorERKN3c106ScalarES8_ENKUlvE_clEvENKUlvE7_clEvEUlNS5_7complexIfEESC_SC_E0_St5arrayIPcLm4EEEEviT0_T1_,comdat
	.globl	_ZN2at6native29vectorized_elementwise_kernelILi4EZZZNS0_12_GLOBAL__N_116addr_kernel_cudaERNS_14TensorIteratorERKN3c106ScalarES8_ENKUlvE_clEvENKUlvE7_clEvEUlNS5_7complexIfEESC_SC_E0_St5arrayIPcLm4EEEEviT0_T1_ ; -- Begin function _ZN2at6native29vectorized_elementwise_kernelILi4EZZZNS0_12_GLOBAL__N_116addr_kernel_cudaERNS_14TensorIteratorERKN3c106ScalarES8_ENKUlvE_clEvENKUlvE7_clEvEUlNS5_7complexIfEESC_SC_E0_St5arrayIPcLm4EEEEviT0_T1_
	.p2align	8
	.type	_ZN2at6native29vectorized_elementwise_kernelILi4EZZZNS0_12_GLOBAL__N_116addr_kernel_cudaERNS_14TensorIteratorERKN3c106ScalarES8_ENKUlvE_clEvENKUlvE7_clEvEUlNS5_7complexIfEESC_SC_E0_St5arrayIPcLm4EEEEviT0_T1_,@function
_ZN2at6native29vectorized_elementwise_kernelILi4EZZZNS0_12_GLOBAL__N_116addr_kernel_cudaERNS_14TensorIteratorERKN3c106ScalarES8_ENKUlvE_clEvENKUlvE7_clEvEUlNS5_7complexIfEESC_SC_E0_St5arrayIPcLm4EEEEviT0_T1_: ; @_ZN2at6native29vectorized_elementwise_kernelILi4EZZZNS0_12_GLOBAL__N_116addr_kernel_cudaERNS_14TensorIteratorERKN3c106ScalarES8_ENKUlvE_clEvENKUlvE7_clEvEUlNS5_7complexIfEESC_SC_E0_St5arrayIPcLm4EEEEviT0_T1_
; %bb.0:
	s_clause 0x2
	s_load_b32 s3, s[0:1], 0x0
	s_load_b128 s[12:15], s[0:1], 0x8
	s_load_b256 s[4:11], s[0:1], 0x18
	s_wait_xcnt 0x0
	s_bfe_u32 s0, ttmp6, 0x4000c
	s_and_b32 s1, ttmp6, 15
	s_add_co_i32 s0, s0, 1
	s_getreg_b32 s2, hwreg(HW_REG_IB_STS2, 6, 4)
	s_mul_i32 s0, ttmp9, s0
	s_delay_alu instid0(SALU_CYCLE_1) | instskip(SKIP_2) | instid1(SALU_CYCLE_1)
	s_add_co_i32 s1, s1, s0
	s_cmp_eq_u32 s2, 0
	s_cselect_b32 s0, ttmp9, s1
	s_lshl_b32 s2, s0, 10
	s_mov_b32 s0, -1
	s_wait_kmcnt 0x0
	s_sub_co_i32 s16, s3, s2
	s_delay_alu instid0(SALU_CYCLE_1)
	s_cmp_gt_i32 s16, 0x3ff
	s_cbranch_scc0 .LBB154_2
; %bb.1:
	s_ashr_i32 s3, s2, 31
	v_lshlrev_b32_e32 v1, 5, v0
	s_lshl_b64 s[0:1], s[2:3], 3
	v_mov_b64_e32 v[26:27], s[14:15]
	s_add_nc_u64 s[18:19], s[8:9], s[0:1]
	s_add_nc_u64 s[20:21], s[10:11], s[0:1]
	s_clause 0x1
	global_load_b128 v[2:5], v1, s[18:19]
	global_load_b128 v[6:9], v1, s[18:19] offset:16
	s_wait_xcnt 0x0
	s_add_nc_u64 s[18:19], s[6:7], s[0:1]
	s_clause 0x3
	global_load_b128 v[10:13], v1, s[18:19]
	global_load_b128 v[14:17], v1, s[20:21]
	global_load_b128 v[18:21], v1, s[18:19] offset:16
	global_load_b128 v[22:25], v1, s[20:21] offset:16
	v_mov_b64_e32 v[28:29], s[12:13]
	s_wait_xcnt 0x1
	s_add_nc_u64 s[18:19], s[4:5], s[0:1]
	s_mov_b32 s0, 0
	s_wait_loadcnt 0x5
	v_pk_mul_f32 v[30:31], v[26:27], v[2:3]
	v_pk_mul_f32 v[2:3], v[26:27], v[2:3] op_sel:[1,0] op_sel_hi:[0,1]
	v_pk_mul_f32 v[32:33], v[26:27], v[4:5]
	v_pk_mul_f32 v[4:5], v[26:27], v[4:5] op_sel:[1,0] op_sel_hi:[0,1]
	s_wait_loadcnt 0x4
	v_pk_mul_f32 v[34:35], v[26:27], v[6:7]
	v_pk_mul_f32 v[6:7], v[26:27], v[6:7] op_sel:[1,0] op_sel_hi:[0,1]
	v_pk_mul_f32 v[36:37], v[26:27], v[8:9]
	v_pk_mul_f32 v[8:9], v[26:27], v[8:9] op_sel:[1,0] op_sel_hi:[0,1]
	s_wait_loadcnt 0x3
	v_pk_mul_f32 v[26:27], v[28:29], v[10:11] op_sel:[1,1] op_sel_hi:[0,1]
	s_wait_loadcnt 0x2
	v_dual_mov_b32 v38, v13 :: v_dual_mov_b32 v40, v17
	v_mov_b32_e32 v41, v16
	s_wait_loadcnt 0x1
	v_pk_mul_f32 v[42:43], v[28:29], v[18:19] op_sel:[1,1] op_sel_hi:[0,1]
	s_wait_loadcnt 0x0
	v_dual_mov_b32 v44, v21 :: v_dual_mov_b32 v46, v25
	v_dual_mov_b32 v47, v24 :: v_dual_add_f32 v2, v2, v3
	v_pk_fma_f32 v[48:49], v[28:29], v[10:11], v[26:27] neg_lo:[0,0,1] neg_hi:[0,0,1]
	v_pk_fma_f32 v[10:11], v[28:29], v[10:11], v[26:27] op_sel_hi:[1,0,1]
	v_pk_add_f32 v[26:27], v[30:31], v[30:31] op_sel:[0,1] op_sel_hi:[0,1] neg_lo:[0,1] neg_hi:[0,1]
	v_pk_mul_f32 v[30:31], v[28:29], v[38:39] op_sel:[1,0] op_sel_hi:[0,0]
	v_dual_add_f32 v4, v4, v5 :: v_dual_add_f32 v6, v6, v7
	s_delay_alu instid0(VALU_DEP_4)
	v_dual_add_f32 v8, v8, v9 :: v_dual_mov_b32 v49, v11
	v_pk_add_f32 v[32:33], v[32:33], v[32:33] op_sel:[0,1] op_sel_hi:[0,1] neg_lo:[0,1] neg_hi:[0,1]
	v_pk_fma_f32 v[38:39], v[28:29], v[18:19], v[42:43] neg_lo:[0,0,1] neg_hi:[0,0,1]
	v_pk_fma_f32 v[18:19], v[28:29], v[18:19], v[42:43] op_sel_hi:[1,0,1]
	v_pk_mul_f32 v[42:43], v[28:29], v[44:45] op_sel:[1,0] op_sel_hi:[0,0]
	v_pk_mul_f32 v[2:3], v[2:3], v[14:15] op_sel:[0,1] op_sel_hi:[0,0]
	v_pk_fma_f32 v[10:11], v[28:29], v[12:13], v[30:31] neg_lo:[0,0,1] neg_hi:[0,0,1]
	v_pk_fma_f32 v[12:13], v[28:29], v[12:13], v[30:31] op_sel_hi:[1,0,1]
	v_pk_mul_f32 v[4:5], v[4:5], v[40:41] op_sel_hi:[0,1]
	v_pk_add_f32 v[34:35], v[34:35], v[34:35] op_sel:[0,1] op_sel_hi:[0,1] neg_lo:[0,1] neg_hi:[0,1]
	v_pk_add_f32 v[36:37], v[36:37], v[36:37] op_sel:[0,1] op_sel_hi:[0,1] neg_lo:[0,1] neg_hi:[0,1]
	v_pk_mul_f32 v[6:7], v[6:7], v[22:23] op_sel:[0,1] op_sel_hi:[0,0]
	v_pk_mul_f32 v[8:9], v[8:9], v[46:47] op_sel_hi:[0,1]
	v_dual_mov_b32 v39, v19 :: v_dual_mov_b32 v11, v13
	v_pk_fma_f32 v[18:19], v[28:29], v[20:21], v[42:43] neg_lo:[0,0,1] neg_hi:[0,0,1]
	v_pk_fma_f32 v[20:21], v[28:29], v[20:21], v[42:43] op_sel_hi:[1,0,1]
	v_pk_fma_f32 v[28:29], v[26:27], v[14:15], v[2:3] neg_lo:[0,0,1] neg_hi:[0,0,1]
	v_pk_fma_f32 v[2:3], v[26:27], v[14:15], v[2:3]
	v_pk_fma_f32 v[12:13], v[32:33], v[16:17], v[4:5] neg_lo:[0,0,1] neg_hi:[0,0,1]
	v_pk_fma_f32 v[4:5], v[32:33], v[16:17], v[4:5]
	;; [unrolled: 2-line block ×3, first 2 shown]
	v_pk_fma_f32 v[16:17], v[36:37], v[24:25], v[8:9]
	v_dual_mov_b32 v19, v21 :: v_dual_mov_b32 v29, v3
	v_pk_fma_f32 v[8:9], v[36:37], v[24:25], v[8:9] neg_lo:[0,0,1] neg_hi:[0,0,1]
	s_delay_alu instid0(VALU_DEP_4) | instskip(NEXT) | instid1(VALU_DEP_4)
	v_dual_mov_b32 v13, v5 :: v_dual_mov_b32 v15, v7
	v_mov_b32_e32 v9, v17
	s_delay_alu instid0(VALU_DEP_4) | instskip(NEXT) | instid1(VALU_DEP_3)
	v_pk_add_f32 v[2:3], v[48:49], v[28:29]
	v_pk_add_f32 v[4:5], v[10:11], v[12:13]
	s_delay_alu instid0(VALU_DEP_4) | instskip(NEXT) | instid1(VALU_DEP_4)
	v_pk_add_f32 v[6:7], v[38:39], v[14:15]
	v_pk_add_f32 v[8:9], v[18:19], v[8:9]
	s_clause 0x1
	global_store_b128 v1, v[2:5], s[18:19]
	global_store_b128 v1, v[6:9], s[18:19] offset:16
.LBB154_2:
	s_and_not1_b32 vcc_lo, exec_lo, s0
	s_cbranch_vccnz .LBB154_23
; %bb.3:
	v_cmp_gt_i32_e32 vcc_lo, s16, v0
	s_wait_xcnt 0x0
	v_dual_mov_b32 v4, 0 :: v_dual_bitop2_b32 v1, s2, v0 bitop3:0x54
	v_or_b32_e32 v30, 0x100, v0
	v_dual_mov_b32 v14, v0 :: v_dual_mov_b32 v20, 0
	v_dual_mov_b32 v21, 0 :: v_dual_mov_b32 v28, 0
	;; [unrolled: 1-line block ×3, first 2 shown]
	v_mov_b32_e32 v23, 0
	s_and_saveexec_b32 s0, vcc_lo
	s_cbranch_execz .LBB154_5
; %bb.4:
	s_clause 0x2
	global_load_b64 v[22:23], v1, s[6:7] scale_offset
	global_load_b64 v[28:29], v1, s[8:9] scale_offset
	;; [unrolled: 1-line block ×3, first 2 shown]
	v_or_b32_e32 v14, 0x100, v0
.LBB154_5:
	s_wait_xcnt 0x0
	s_or_b32 exec_lo, exec_lo, s0
	v_dual_mov_b32 v5, 0 :: v_dual_mov_b32 v26, 0
	v_dual_mov_b32 v27, 0 :: v_dual_mov_b32 v16, 0
	v_mov_b32_e32 v17, 0
	s_mov_b32 s1, exec_lo
	v_cmpx_gt_i32_e64 s16, v14
	s_cbranch_execz .LBB154_7
; %bb.6:
	v_add_nc_u32_e32 v2, s2, v14
	v_add_nc_u32_e32 v14, 0x100, v14
	s_clause 0x2
	global_load_b64 v[16:17], v2, s[6:7] scale_offset
	global_load_b64 v[26:27], v2, s[8:9] scale_offset
	;; [unrolled: 1-line block ×3, first 2 shown]
.LBB154_7:
	s_wait_xcnt 0x0
	s_or_b32 exec_lo, exec_lo, s1
	v_dual_mov_b32 v2, 0 :: v_dual_mov_b32 v8, 0
	v_dual_mov_b32 v9, 0 :: v_dual_mov_b32 v18, 0
	v_dual_mov_b32 v19, 0 :: v_dual_mov_b32 v12, 0
	v_mov_b32_e32 v13, 0
	s_mov_b32 s1, exec_lo
	v_cmpx_gt_i32_e64 s16, v14
	s_cbranch_execz .LBB154_9
; %bb.8:
	v_add_nc_u32_e32 v3, s2, v14
	v_add_nc_u32_e32 v14, 0x100, v14
	s_clause 0x2
	global_load_b64 v[12:13], v3, s[6:7] scale_offset
	global_load_b64 v[18:19], v3, s[8:9] scale_offset
	;; [unrolled: 1-line block ×3, first 2 shown]
.LBB154_9:
	s_wait_xcnt 0x0
	s_or_b32 exec_lo, exec_lo, s1
	v_dual_mov_b32 v3, 0 :: v_dual_mov_b32 v10, 0
	v_dual_mov_b32 v11, 0 :: v_dual_mov_b32 v6, 0
	v_mov_b32_e32 v7, 0
	s_mov_b32 s1, exec_lo
	v_cmpx_gt_i32_e64 s16, v14
	s_cbranch_execz .LBB154_11
; %bb.10:
	v_add_nc_u32_e32 v14, s2, v14
	s_clause 0x2
	global_load_b64 v[6:7], v14, s[6:7] scale_offset
	global_load_b64 v[10:11], v14, s[8:9] scale_offset
	;; [unrolled: 1-line block ×3, first 2 shown]
.LBB154_11:
	s_wait_xcnt 0x0
	s_or_b32 exec_lo, exec_lo, s1
	v_dual_mov_b32 v14, 0 :: v_dual_mov_b32 v24, 0
	v_mov_b32_e32 v25, 0
	s_and_saveexec_b32 s0, vcc_lo
	s_cbranch_execz .LBB154_13
; %bb.12:
	v_mov_b64_e32 v[32:33], s[14:15]
	s_wait_loadcnt 0x1
	v_dual_mov_b32 v24, v29 :: v_dual_mov_b32 v25, v28
	v_mov_b64_e32 v[34:35], s[12:13]
	s_wait_loadcnt 0x0
	v_dual_mov_b32 v37, v20 :: v_dual_mov_b32 v36, v21
	s_delay_alu instid0(VALU_DEP_3) | instskip(SKIP_1) | instid1(VALU_DEP_2)
	v_pk_mul_f32 v[24:25], v[32:33], v[24:25]
	v_pk_mul_f32 v[28:29], v[32:33], v[28:29]
	v_dual_mov_b32 v32, v23 :: v_dual_add_f32 v24, v24, v25
	s_delay_alu instid0(VALU_DEP_2) | instskip(NEXT) | instid1(VALU_DEP_2)
	v_pk_add_f32 v[28:29], v[28:29], v[28:29] op_sel:[0,1] op_sel_hi:[0,1] neg_lo:[0,1] neg_hi:[0,1]
	v_pk_mul_f32 v[32:33], v[34:35], v[32:33] op_sel:[1,0] op_sel_hi:[0,0]
	s_delay_alu instid0(VALU_DEP_3) | instskip(NEXT) | instid1(VALU_DEP_2)
	v_pk_mul_f32 v[24:25], v[36:37], v[24:25] op_sel_hi:[1,0]
	v_pk_fma_f32 v[36:37], v[34:35], v[22:23], v[32:33] op_sel_hi:[1,0,1]
	v_pk_fma_f32 v[22:23], v[34:35], v[22:23], v[32:33] neg_lo:[0,0,1] neg_hi:[0,0,1]
	s_delay_alu instid0(VALU_DEP_3) | instskip(SKIP_1) | instid1(VALU_DEP_2)
	v_pk_fma_f32 v[38:39], v[20:21], v[28:29], v[24:25]
	v_pk_fma_f32 v[20:21], v[20:21], v[28:29], v[24:25] neg_lo:[0,0,1] neg_hi:[0,0,1]
	v_dual_mov_b32 v23, v37 :: v_dual_mov_b32 v21, v39
	s_delay_alu instid0(VALU_DEP_1)
	v_pk_add_f32 v[24:25], v[22:23], v[20:21]
.LBB154_13:
	s_or_b32 exec_lo, exec_lo, s0
	v_mov_b32_e32 v15, 0
	s_mov_b32 s1, exec_lo
	v_cmpx_gt_i32_e64 s16, v30
	s_cbranch_execz .LBB154_15
; %bb.14:
	s_wait_loadcnt 0x0
	v_mov_b64_e32 v[20:21], s[14:15]
	v_dual_mov_b32 v14, v27 :: v_dual_mov_b32 v15, v26
	v_mov_b32_e32 v28, v5
	s_delay_alu instid0(VALU_DEP_2) | instskip(SKIP_3) | instid1(VALU_DEP_4)
	v_pk_mul_f32 v[14:15], v[20:21], v[14:15]
	v_pk_mul_f32 v[22:23], v[20:21], v[26:27]
	v_mov_b64_e32 v[26:27], s[12:13]
	v_dual_mov_b32 v20, v17 :: v_dual_mov_b32 v29, v4
	v_add_f32_e32 v14, v14, v15
	s_delay_alu instid0(VALU_DEP_4) | instskip(NEXT) | instid1(VALU_DEP_3)
	v_pk_add_f32 v[22:23], v[22:23], v[22:23] op_sel:[0,1] op_sel_hi:[0,1] neg_lo:[0,1] neg_hi:[0,1]
	v_pk_mul_f32 v[20:21], v[26:27], v[20:21] op_sel:[1,0] op_sel_hi:[0,0]
	s_delay_alu instid0(VALU_DEP_3) | instskip(NEXT) | instid1(VALU_DEP_2)
	v_pk_mul_f32 v[14:15], v[28:29], v[14:15] op_sel_hi:[1,0]
	v_pk_fma_f32 v[28:29], v[26:27], v[16:17], v[20:21] op_sel_hi:[1,0,1]
	s_delay_alu instid0(VALU_DEP_2) | instskip(SKIP_2) | instid1(VALU_DEP_3)
	v_pk_fma_f32 v[32:33], v[4:5], v[22:23], v[14:15]
	v_pk_fma_f32 v[16:17], v[26:27], v[16:17], v[20:21] neg_lo:[0,0,1] neg_hi:[0,0,1]
	v_pk_fma_f32 v[4:5], v[4:5], v[22:23], v[14:15] neg_lo:[0,0,1] neg_hi:[0,0,1]
	v_dual_mov_b32 v17, v29 :: v_dual_mov_b32 v5, v33
	s_delay_alu instid0(VALU_DEP_1)
	v_pk_add_f32 v[14:15], v[16:17], v[4:5]
.LBB154_15:
	s_or_b32 exec_lo, exec_lo, s1
	s_wait_loadcnt 0x0
	v_or_b32_e32 v5, 0x200, v0
	v_dual_mov_b32 v4, 0 :: v_dual_mov_b32 v16, 0
	v_mov_b32_e32 v17, 0
	s_mov_b32 s1, exec_lo
	s_delay_alu instid0(VALU_DEP_3)
	v_cmpx_gt_i32_e64 s16, v5
	s_cbranch_execz .LBB154_17
; %bb.16:
	v_mov_b64_e32 v[20:21], s[14:15]
	v_dual_mov_b32 v16, v19 :: v_dual_mov_b32 v17, v18
	v_mov_b64_e32 v[22:23], s[12:13]
	v_dual_mov_b32 v27, v8 :: v_dual_mov_b32 v26, v9
	s_delay_alu instid0(VALU_DEP_3) | instskip(SKIP_1) | instid1(VALU_DEP_2)
	v_pk_mul_f32 v[16:17], v[20:21], v[16:17]
	v_pk_mul_f32 v[18:19], v[20:21], v[18:19]
	v_dual_mov_b32 v20, v13 :: v_dual_add_f32 v16, v16, v17
	s_delay_alu instid0(VALU_DEP_2) | instskip(NEXT) | instid1(VALU_DEP_2)
	v_pk_add_f32 v[18:19], v[18:19], v[18:19] op_sel:[0,1] op_sel_hi:[0,1] neg_lo:[0,1] neg_hi:[0,1]
	v_pk_mul_f32 v[20:21], v[22:23], v[20:21] op_sel:[1,0] op_sel_hi:[0,0]
	s_delay_alu instid0(VALU_DEP_3) | instskip(NEXT) | instid1(VALU_DEP_2)
	v_pk_mul_f32 v[16:17], v[26:27], v[16:17] op_sel_hi:[1,0]
	v_pk_fma_f32 v[26:27], v[22:23], v[12:13], v[20:21] op_sel_hi:[1,0,1]
	v_pk_fma_f32 v[12:13], v[22:23], v[12:13], v[20:21] neg_lo:[0,0,1] neg_hi:[0,0,1]
	s_delay_alu instid0(VALU_DEP_3) | instskip(SKIP_1) | instid1(VALU_DEP_2)
	v_pk_fma_f32 v[28:29], v[8:9], v[18:19], v[16:17]
	v_pk_fma_f32 v[8:9], v[8:9], v[18:19], v[16:17] neg_lo:[0,0,1] neg_hi:[0,0,1]
	v_dual_mov_b32 v13, v27 :: v_dual_mov_b32 v9, v29
	s_delay_alu instid0(VALU_DEP_1)
	v_pk_add_f32 v[16:17], v[12:13], v[8:9]
.LBB154_17:
	s_or_b32 exec_lo, exec_lo, s1
	v_or_b32_e32 v5, 0x300, v0
	s_delay_alu instid0(VALU_DEP_1)
	v_cmp_gt_i32_e64 s0, s16, v5
	v_mov_b32_e32 v5, 0
	s_and_saveexec_b32 s1, s0
	s_cbranch_execnz .LBB154_24
; %bb.18:
	s_or_b32 exec_lo, exec_lo, s1
	s_and_saveexec_b32 s0, vcc_lo
	s_delay_alu instid0(SALU_CYCLE_1)
	s_xor_b32 s0, exec_lo, s0
	s_cbranch_execnz .LBB154_25
.LBB154_19:
	s_or_b32 exec_lo, exec_lo, s0
	s_delay_alu instid0(SALU_CYCLE_1)
	s_mov_b32 s0, exec_lo
	v_cmpx_gt_i32_e64 s16, v0
	s_cbranch_execnz .LBB154_26
.LBB154_20:
	s_or_b32 exec_lo, exec_lo, s0
	s_delay_alu instid0(SALU_CYCLE_1)
	s_mov_b32 s0, exec_lo
	v_cmpx_gt_i32_e64 s16, v0
	s_cbranch_execnz .LBB154_27
.LBB154_21:
	s_or_b32 exec_lo, exec_lo, s0
	s_delay_alu instid0(SALU_CYCLE_1)
	s_mov_b32 s0, exec_lo
	v_cmpx_gt_i32_e64 s16, v0
	s_cbranch_execz .LBB154_23
.LBB154_22:
	v_add_nc_u32_e32 v0, s2, v0
	global_store_b64 v0, v[4:5], s[4:5] scale_offset
.LBB154_23:
	s_endpgm
.LBB154_24:
	v_mov_b64_e32 v[8:9], s[14:15]
	v_dual_mov_b32 v4, v11 :: v_dual_mov_b32 v5, v10
	v_mov_b64_e32 v[18:19], s[12:13]
	v_mov_b32_e32 v12, v7
	s_delay_alu instid0(VALU_DEP_3) | instskip(SKIP_2) | instid1(VALU_DEP_4)
	v_pk_mul_f32 v[4:5], v[8:9], v[4:5]
	v_pk_mul_f32 v[8:9], v[8:9], v[10:11]
	v_dual_mov_b32 v10, v3 :: v_dual_mov_b32 v11, v2
	v_pk_mul_f32 v[12:13], v[18:19], v[12:13] op_sel:[1,0] op_sel_hi:[0,0]
	s_delay_alu instid0(VALU_DEP_4) | instskip(NEXT) | instid1(VALU_DEP_4)
	v_add_f32_e32 v4, v4, v5
	v_pk_add_f32 v[8:9], v[8:9], v[8:9] op_sel:[0,1] op_sel_hi:[0,1] neg_lo:[0,1] neg_hi:[0,1]
	s_delay_alu instid0(VALU_DEP_2) | instskip(NEXT) | instid1(VALU_DEP_4)
	v_pk_mul_f32 v[4:5], v[10:11], v[4:5] op_sel_hi:[1,0]
	v_pk_fma_f32 v[10:11], v[18:19], v[6:7], v[12:13] op_sel_hi:[1,0,1]
	v_pk_fma_f32 v[6:7], v[18:19], v[6:7], v[12:13] neg_lo:[0,0,1] neg_hi:[0,0,1]
	s_delay_alu instid0(VALU_DEP_3) | instskip(SKIP_1) | instid1(VALU_DEP_2)
	v_pk_fma_f32 v[20:21], v[2:3], v[8:9], v[4:5]
	v_pk_fma_f32 v[2:3], v[2:3], v[8:9], v[4:5] neg_lo:[0,0,1] neg_hi:[0,0,1]
	v_dual_mov_b32 v7, v11 :: v_dual_mov_b32 v3, v21
	s_delay_alu instid0(VALU_DEP_1) | instskip(SKIP_2) | instid1(SALU_CYCLE_1)
	v_pk_add_f32 v[4:5], v[6:7], v[2:3]
	s_or_b32 exec_lo, exec_lo, s1
	s_and_saveexec_b32 s0, vcc_lo
	s_xor_b32 s0, exec_lo, s0
	s_cbranch_execz .LBB154_19
.LBB154_25:
	v_mov_b32_e32 v0, v30
	global_store_b64 v1, v[24:25], s[4:5] scale_offset
	s_wait_xcnt 0x0
	s_or_b32 exec_lo, exec_lo, s0
	s_delay_alu instid0(SALU_CYCLE_1)
	s_mov_b32 s0, exec_lo
	v_cmpx_gt_i32_e64 s16, v0
	s_cbranch_execz .LBB154_20
.LBB154_26:
	v_add_nc_u32_e32 v1, 0x100, v0
	s_delay_alu instid0(VALU_DEP_1) | instskip(SKIP_3) | instid1(SALU_CYCLE_1)
	v_dual_add_nc_u32 v2, s2, v0 :: v_dual_mov_b32 v0, v1
	global_store_b64 v2, v[14:15], s[4:5] scale_offset
	s_wait_xcnt 0x0
	s_or_b32 exec_lo, exec_lo, s0
	s_mov_b32 s0, exec_lo
	v_cmpx_gt_i32_e64 s16, v0
	s_cbranch_execz .LBB154_21
.LBB154_27:
	v_add_nc_u32_e32 v1, 0x100, v0
	s_delay_alu instid0(VALU_DEP_1) | instskip(SKIP_3) | instid1(SALU_CYCLE_1)
	v_dual_add_nc_u32 v2, s2, v0 :: v_dual_mov_b32 v0, v1
	global_store_b64 v2, v[16:17], s[4:5] scale_offset
	s_wait_xcnt 0x0
	s_or_b32 exec_lo, exec_lo, s0
	s_mov_b32 s0, exec_lo
	v_cmpx_gt_i32_e64 s16, v0
	s_cbranch_execnz .LBB154_22
	s_branch .LBB154_23
	.section	.rodata,"a",@progbits
	.p2align	6, 0x0
	.amdhsa_kernel _ZN2at6native29vectorized_elementwise_kernelILi4EZZZNS0_12_GLOBAL__N_116addr_kernel_cudaERNS_14TensorIteratorERKN3c106ScalarES8_ENKUlvE_clEvENKUlvE7_clEvEUlNS5_7complexIfEESC_SC_E0_St5arrayIPcLm4EEEEviT0_T1_
		.amdhsa_group_segment_fixed_size 0
		.amdhsa_private_segment_fixed_size 0
		.amdhsa_kernarg_size 56
		.amdhsa_user_sgpr_count 2
		.amdhsa_user_sgpr_dispatch_ptr 0
		.amdhsa_user_sgpr_queue_ptr 0
		.amdhsa_user_sgpr_kernarg_segment_ptr 1
		.amdhsa_user_sgpr_dispatch_id 0
		.amdhsa_user_sgpr_kernarg_preload_length 0
		.amdhsa_user_sgpr_kernarg_preload_offset 0
		.amdhsa_user_sgpr_private_segment_size 0
		.amdhsa_wavefront_size32 1
		.amdhsa_uses_dynamic_stack 0
		.amdhsa_enable_private_segment 0
		.amdhsa_system_sgpr_workgroup_id_x 1
		.amdhsa_system_sgpr_workgroup_id_y 0
		.amdhsa_system_sgpr_workgroup_id_z 0
		.amdhsa_system_sgpr_workgroup_info 0
		.amdhsa_system_vgpr_workitem_id 0
		.amdhsa_next_free_vgpr 50
		.amdhsa_next_free_sgpr 22
		.amdhsa_named_barrier_count 0
		.amdhsa_reserve_vcc 1
		.amdhsa_float_round_mode_32 0
		.amdhsa_float_round_mode_16_64 0
		.amdhsa_float_denorm_mode_32 3
		.amdhsa_float_denorm_mode_16_64 3
		.amdhsa_fp16_overflow 0
		.amdhsa_memory_ordered 1
		.amdhsa_forward_progress 1
		.amdhsa_inst_pref_size 17
		.amdhsa_round_robin_scheduling 0
		.amdhsa_exception_fp_ieee_invalid_op 0
		.amdhsa_exception_fp_denorm_src 0
		.amdhsa_exception_fp_ieee_div_zero 0
		.amdhsa_exception_fp_ieee_overflow 0
		.amdhsa_exception_fp_ieee_underflow 0
		.amdhsa_exception_fp_ieee_inexact 0
		.amdhsa_exception_int_div_zero 0
	.end_amdhsa_kernel
	.section	.text._ZN2at6native29vectorized_elementwise_kernelILi4EZZZNS0_12_GLOBAL__N_116addr_kernel_cudaERNS_14TensorIteratorERKN3c106ScalarES8_ENKUlvE_clEvENKUlvE7_clEvEUlNS5_7complexIfEESC_SC_E0_St5arrayIPcLm4EEEEviT0_T1_,"axG",@progbits,_ZN2at6native29vectorized_elementwise_kernelILi4EZZZNS0_12_GLOBAL__N_116addr_kernel_cudaERNS_14TensorIteratorERKN3c106ScalarES8_ENKUlvE_clEvENKUlvE7_clEvEUlNS5_7complexIfEESC_SC_E0_St5arrayIPcLm4EEEEviT0_T1_,comdat
.Lfunc_end154:
	.size	_ZN2at6native29vectorized_elementwise_kernelILi4EZZZNS0_12_GLOBAL__N_116addr_kernel_cudaERNS_14TensorIteratorERKN3c106ScalarES8_ENKUlvE_clEvENKUlvE7_clEvEUlNS5_7complexIfEESC_SC_E0_St5arrayIPcLm4EEEEviT0_T1_, .Lfunc_end154-_ZN2at6native29vectorized_elementwise_kernelILi4EZZZNS0_12_GLOBAL__N_116addr_kernel_cudaERNS_14TensorIteratorERKN3c106ScalarES8_ENKUlvE_clEvENKUlvE7_clEvEUlNS5_7complexIfEESC_SC_E0_St5arrayIPcLm4EEEEviT0_T1_
                                        ; -- End function
	.set _ZN2at6native29vectorized_elementwise_kernelILi4EZZZNS0_12_GLOBAL__N_116addr_kernel_cudaERNS_14TensorIteratorERKN3c106ScalarES8_ENKUlvE_clEvENKUlvE7_clEvEUlNS5_7complexIfEESC_SC_E0_St5arrayIPcLm4EEEEviT0_T1_.num_vgpr, 50
	.set _ZN2at6native29vectorized_elementwise_kernelILi4EZZZNS0_12_GLOBAL__N_116addr_kernel_cudaERNS_14TensorIteratorERKN3c106ScalarES8_ENKUlvE_clEvENKUlvE7_clEvEUlNS5_7complexIfEESC_SC_E0_St5arrayIPcLm4EEEEviT0_T1_.num_agpr, 0
	.set _ZN2at6native29vectorized_elementwise_kernelILi4EZZZNS0_12_GLOBAL__N_116addr_kernel_cudaERNS_14TensorIteratorERKN3c106ScalarES8_ENKUlvE_clEvENKUlvE7_clEvEUlNS5_7complexIfEESC_SC_E0_St5arrayIPcLm4EEEEviT0_T1_.numbered_sgpr, 22
	.set _ZN2at6native29vectorized_elementwise_kernelILi4EZZZNS0_12_GLOBAL__N_116addr_kernel_cudaERNS_14TensorIteratorERKN3c106ScalarES8_ENKUlvE_clEvENKUlvE7_clEvEUlNS5_7complexIfEESC_SC_E0_St5arrayIPcLm4EEEEviT0_T1_.num_named_barrier, 0
	.set _ZN2at6native29vectorized_elementwise_kernelILi4EZZZNS0_12_GLOBAL__N_116addr_kernel_cudaERNS_14TensorIteratorERKN3c106ScalarES8_ENKUlvE_clEvENKUlvE7_clEvEUlNS5_7complexIfEESC_SC_E0_St5arrayIPcLm4EEEEviT0_T1_.private_seg_size, 0
	.set _ZN2at6native29vectorized_elementwise_kernelILi4EZZZNS0_12_GLOBAL__N_116addr_kernel_cudaERNS_14TensorIteratorERKN3c106ScalarES8_ENKUlvE_clEvENKUlvE7_clEvEUlNS5_7complexIfEESC_SC_E0_St5arrayIPcLm4EEEEviT0_T1_.uses_vcc, 1
	.set _ZN2at6native29vectorized_elementwise_kernelILi4EZZZNS0_12_GLOBAL__N_116addr_kernel_cudaERNS_14TensorIteratorERKN3c106ScalarES8_ENKUlvE_clEvENKUlvE7_clEvEUlNS5_7complexIfEESC_SC_E0_St5arrayIPcLm4EEEEviT0_T1_.uses_flat_scratch, 0
	.set _ZN2at6native29vectorized_elementwise_kernelILi4EZZZNS0_12_GLOBAL__N_116addr_kernel_cudaERNS_14TensorIteratorERKN3c106ScalarES8_ENKUlvE_clEvENKUlvE7_clEvEUlNS5_7complexIfEESC_SC_E0_St5arrayIPcLm4EEEEviT0_T1_.has_dyn_sized_stack, 0
	.set _ZN2at6native29vectorized_elementwise_kernelILi4EZZZNS0_12_GLOBAL__N_116addr_kernel_cudaERNS_14TensorIteratorERKN3c106ScalarES8_ENKUlvE_clEvENKUlvE7_clEvEUlNS5_7complexIfEESC_SC_E0_St5arrayIPcLm4EEEEviT0_T1_.has_recursion, 0
	.set _ZN2at6native29vectorized_elementwise_kernelILi4EZZZNS0_12_GLOBAL__N_116addr_kernel_cudaERNS_14TensorIteratorERKN3c106ScalarES8_ENKUlvE_clEvENKUlvE7_clEvEUlNS5_7complexIfEESC_SC_E0_St5arrayIPcLm4EEEEviT0_T1_.has_indirect_call, 0
	.section	.AMDGPU.csdata,"",@progbits
; Kernel info:
; codeLenInByte = 2168
; TotalNumSgprs: 24
; NumVgprs: 50
; ScratchSize: 0
; MemoryBound: 0
; FloatMode: 240
; IeeeMode: 1
; LDSByteSize: 0 bytes/workgroup (compile time only)
; SGPRBlocks: 0
; VGPRBlocks: 3
; NumSGPRsForWavesPerEU: 24
; NumVGPRsForWavesPerEU: 50
; NamedBarCnt: 0
; Occupancy: 16
; WaveLimiterHint : 0
; COMPUTE_PGM_RSRC2:SCRATCH_EN: 0
; COMPUTE_PGM_RSRC2:USER_SGPR: 2
; COMPUTE_PGM_RSRC2:TRAP_HANDLER: 0
; COMPUTE_PGM_RSRC2:TGID_X_EN: 1
; COMPUTE_PGM_RSRC2:TGID_Y_EN: 0
; COMPUTE_PGM_RSRC2:TGID_Z_EN: 0
; COMPUTE_PGM_RSRC2:TIDIG_COMP_CNT: 0
	.section	.text._ZN2at6native29vectorized_elementwise_kernelILi2EZZZNS0_12_GLOBAL__N_116addr_kernel_cudaERNS_14TensorIteratorERKN3c106ScalarES8_ENKUlvE_clEvENKUlvE7_clEvEUlNS5_7complexIfEESC_SC_E0_St5arrayIPcLm4EEEEviT0_T1_,"axG",@progbits,_ZN2at6native29vectorized_elementwise_kernelILi2EZZZNS0_12_GLOBAL__N_116addr_kernel_cudaERNS_14TensorIteratorERKN3c106ScalarES8_ENKUlvE_clEvENKUlvE7_clEvEUlNS5_7complexIfEESC_SC_E0_St5arrayIPcLm4EEEEviT0_T1_,comdat
	.globl	_ZN2at6native29vectorized_elementwise_kernelILi2EZZZNS0_12_GLOBAL__N_116addr_kernel_cudaERNS_14TensorIteratorERKN3c106ScalarES8_ENKUlvE_clEvENKUlvE7_clEvEUlNS5_7complexIfEESC_SC_E0_St5arrayIPcLm4EEEEviT0_T1_ ; -- Begin function _ZN2at6native29vectorized_elementwise_kernelILi2EZZZNS0_12_GLOBAL__N_116addr_kernel_cudaERNS_14TensorIteratorERKN3c106ScalarES8_ENKUlvE_clEvENKUlvE7_clEvEUlNS5_7complexIfEESC_SC_E0_St5arrayIPcLm4EEEEviT0_T1_
	.p2align	8
	.type	_ZN2at6native29vectorized_elementwise_kernelILi2EZZZNS0_12_GLOBAL__N_116addr_kernel_cudaERNS_14TensorIteratorERKN3c106ScalarES8_ENKUlvE_clEvENKUlvE7_clEvEUlNS5_7complexIfEESC_SC_E0_St5arrayIPcLm4EEEEviT0_T1_,@function
_ZN2at6native29vectorized_elementwise_kernelILi2EZZZNS0_12_GLOBAL__N_116addr_kernel_cudaERNS_14TensorIteratorERKN3c106ScalarES8_ENKUlvE_clEvENKUlvE7_clEvEUlNS5_7complexIfEESC_SC_E0_St5arrayIPcLm4EEEEviT0_T1_: ; @_ZN2at6native29vectorized_elementwise_kernelILi2EZZZNS0_12_GLOBAL__N_116addr_kernel_cudaERNS_14TensorIteratorERKN3c106ScalarES8_ENKUlvE_clEvENKUlvE7_clEvEUlNS5_7complexIfEESC_SC_E0_St5arrayIPcLm4EEEEviT0_T1_
; %bb.0:
	s_clause 0x2
	s_load_b32 s3, s[0:1], 0x0
	s_load_b128 s[12:15], s[0:1], 0x8
	s_load_b256 s[4:11], s[0:1], 0x18
	s_wait_xcnt 0x0
	s_bfe_u32 s0, ttmp6, 0x4000c
	s_and_b32 s1, ttmp6, 15
	s_add_co_i32 s0, s0, 1
	s_getreg_b32 s2, hwreg(HW_REG_IB_STS2, 6, 4)
	s_mul_i32 s0, ttmp9, s0
	s_delay_alu instid0(SALU_CYCLE_1) | instskip(SKIP_2) | instid1(SALU_CYCLE_1)
	s_add_co_i32 s1, s1, s0
	s_cmp_eq_u32 s2, 0
	s_cselect_b32 s0, ttmp9, s1
	s_lshl_b32 s2, s0, 10
	s_mov_b32 s0, -1
	s_wait_kmcnt 0x0
	s_sub_co_i32 s16, s3, s2
	s_delay_alu instid0(SALU_CYCLE_1)
	s_cmp_gt_i32 s16, 0x3ff
	s_cbranch_scc0 .LBB155_2
; %bb.1:
	s_ashr_i32 s3, s2, 31
	v_mov_b64_e32 v[26:27], s[14:15]
	s_lshl_b64 s[0:1], s[2:3], 3
	v_mov_b64_e32 v[28:29], s[12:13]
	s_add_nc_u64 s[18:19], s[8:9], s[0:1]
	s_add_nc_u64 s[20:21], s[10:11], s[0:1]
	s_clause 0x1
	global_load_b128 v[2:5], v0, s[18:19] scale_offset
	global_load_b128 v[6:9], v0, s[18:19] offset:4096 scale_offset
	s_wait_xcnt 0x0
	s_add_nc_u64 s[18:19], s[6:7], s[0:1]
	s_clause 0x3
	global_load_b128 v[10:13], v0, s[18:19] scale_offset
	global_load_b128 v[14:17], v0, s[20:21] scale_offset
	global_load_b128 v[18:21], v0, s[18:19] offset:4096 scale_offset
	global_load_b128 v[22:25], v0, s[20:21] offset:4096 scale_offset
	s_wait_xcnt 0x1
	s_add_nc_u64 s[18:19], s[4:5], s[0:1]
	s_mov_b32 s0, 0
	s_wait_loadcnt 0x5
	v_pk_mul_f32 v[30:31], v[26:27], v[2:3]
	v_pk_mul_f32 v[2:3], v[26:27], v[2:3] op_sel:[1,0] op_sel_hi:[0,1]
	v_pk_mul_f32 v[32:33], v[26:27], v[4:5]
	v_pk_mul_f32 v[4:5], v[26:27], v[4:5] op_sel:[1,0] op_sel_hi:[0,1]
	s_wait_loadcnt 0x4
	v_pk_mul_f32 v[34:35], v[26:27], v[6:7]
	v_pk_mul_f32 v[6:7], v[26:27], v[6:7] op_sel:[1,0] op_sel_hi:[0,1]
	v_pk_mul_f32 v[36:37], v[26:27], v[8:9]
	v_pk_mul_f32 v[8:9], v[26:27], v[8:9] op_sel:[1,0] op_sel_hi:[0,1]
	s_wait_loadcnt 0x3
	v_pk_mul_f32 v[26:27], v[28:29], v[10:11] op_sel:[1,1] op_sel_hi:[0,1]
	s_wait_loadcnt 0x2
	v_dual_mov_b32 v38, v13 :: v_dual_mov_b32 v40, v17
	s_wait_loadcnt 0x1
	v_dual_mov_b32 v41, v16 :: v_dual_mov_b32 v44, v21
	v_pk_mul_f32 v[42:43], v[28:29], v[18:19] op_sel:[1,1] op_sel_hi:[0,1]
	v_pk_fma_f32 v[48:49], v[28:29], v[10:11], v[26:27] neg_lo:[0,0,1] neg_hi:[0,0,1]
	v_pk_fma_f32 v[10:11], v[28:29], v[10:11], v[26:27] op_sel_hi:[1,0,1]
	v_pk_add_f32 v[26:27], v[30:31], v[30:31] op_sel:[0,1] op_sel_hi:[0,1] neg_lo:[0,1] neg_hi:[0,1]
	v_dual_add_f32 v2, v2, v3 :: v_dual_add_f32 v4, v4, v5
	v_pk_mul_f32 v[30:31], v[28:29], v[38:39] op_sel:[1,0] op_sel_hi:[0,0]
	s_wait_loadcnt 0x0
	v_dual_mov_b32 v46, v25 :: v_dual_mov_b32 v47, v24
	v_dual_add_f32 v6, v6, v7 :: v_dual_add_f32 v8, v8, v9
	v_pk_add_f32 v[32:33], v[32:33], v[32:33] op_sel:[0,1] op_sel_hi:[0,1] neg_lo:[0,1] neg_hi:[0,1]
	v_pk_fma_f32 v[38:39], v[28:29], v[18:19], v[42:43] neg_lo:[0,0,1] neg_hi:[0,0,1]
	v_pk_fma_f32 v[18:19], v[28:29], v[18:19], v[42:43] op_sel_hi:[1,0,1]
	v_pk_mul_f32 v[42:43], v[28:29], v[44:45] op_sel:[1,0] op_sel_hi:[0,0]
	v_mov_b32_e32 v49, v11
	v_pk_mul_f32 v[2:3], v[2:3], v[14:15] op_sel:[0,1] op_sel_hi:[0,0]
	v_pk_fma_f32 v[10:11], v[28:29], v[12:13], v[30:31] neg_lo:[0,0,1] neg_hi:[0,0,1]
	v_pk_fma_f32 v[12:13], v[28:29], v[12:13], v[30:31] op_sel_hi:[1,0,1]
	v_pk_mul_f32 v[4:5], v[4:5], v[40:41] op_sel_hi:[0,1]
	v_pk_add_f32 v[34:35], v[34:35], v[34:35] op_sel:[0,1] op_sel_hi:[0,1] neg_lo:[0,1] neg_hi:[0,1]
	v_pk_add_f32 v[36:37], v[36:37], v[36:37] op_sel:[0,1] op_sel_hi:[0,1] neg_lo:[0,1] neg_hi:[0,1]
	v_pk_mul_f32 v[6:7], v[6:7], v[22:23] op_sel:[0,1] op_sel_hi:[0,0]
	v_pk_mul_f32 v[8:9], v[8:9], v[46:47] op_sel_hi:[0,1]
	v_mov_b32_e32 v39, v19
	v_pk_fma_f32 v[18:19], v[28:29], v[20:21], v[42:43] neg_lo:[0,0,1] neg_hi:[0,0,1]
	v_pk_fma_f32 v[20:21], v[28:29], v[20:21], v[42:43] op_sel_hi:[1,0,1]
	v_pk_fma_f32 v[28:29], v[26:27], v[14:15], v[2:3] neg_lo:[0,0,1] neg_hi:[0,0,1]
	v_pk_fma_f32 v[2:3], v[26:27], v[14:15], v[2:3]
	v_mov_b32_e32 v11, v13
	v_pk_fma_f32 v[12:13], v[32:33], v[16:17], v[4:5] neg_lo:[0,0,1] neg_hi:[0,0,1]
	v_pk_fma_f32 v[4:5], v[32:33], v[16:17], v[4:5]
	v_pk_fma_f32 v[14:15], v[34:35], v[22:23], v[6:7] neg_lo:[0,0,1] neg_hi:[0,0,1]
	v_pk_fma_f32 v[6:7], v[34:35], v[22:23], v[6:7]
	v_pk_fma_f32 v[16:17], v[36:37], v[24:25], v[8:9]
	v_pk_fma_f32 v[8:9], v[36:37], v[24:25], v[8:9] neg_lo:[0,0,1] neg_hi:[0,0,1]
	v_dual_mov_b32 v29, v3 :: v_dual_mov_b32 v13, v5
	s_delay_alu instid0(VALU_DEP_4) | instskip(NEXT) | instid1(VALU_DEP_4)
	v_dual_mov_b32 v19, v21 :: v_dual_mov_b32 v15, v7
	v_mov_b32_e32 v9, v17
	s_delay_alu instid0(VALU_DEP_3) | instskip(NEXT) | instid1(VALU_DEP_4)
	v_pk_add_f32 v[2:3], v[48:49], v[28:29]
	v_pk_add_f32 v[4:5], v[10:11], v[12:13]
	s_delay_alu instid0(VALU_DEP_4) | instskip(NEXT) | instid1(VALU_DEP_4)
	v_pk_add_f32 v[6:7], v[38:39], v[14:15]
	v_pk_add_f32 v[8:9], v[18:19], v[8:9]
	s_clause 0x1
	global_store_b128 v0, v[2:5], s[18:19] scale_offset
	global_store_b128 v0, v[6:9], s[18:19] offset:4096 scale_offset
.LBB155_2:
	s_and_not1_b32 vcc_lo, exec_lo, s0
	s_cbranch_vccnz .LBB155_23
; %bb.3:
	v_cmp_gt_i32_e32 vcc_lo, s16, v0
	s_wait_xcnt 0x1
	v_dual_mov_b32 v4, 0 :: v_dual_bitop2_b32 v1, s2, v0 bitop3:0x54
	v_or_b32_e32 v30, 0x100, v0
	v_dual_mov_b32 v14, v0 :: v_dual_mov_b32 v20, 0
	v_dual_mov_b32 v21, 0 :: v_dual_mov_b32 v28, 0
	;; [unrolled: 1-line block ×3, first 2 shown]
	v_mov_b32_e32 v23, 0
	s_wait_xcnt 0x0
	s_and_saveexec_b32 s0, vcc_lo
	s_cbranch_execz .LBB155_5
; %bb.4:
	s_clause 0x2
	global_load_b64 v[22:23], v1, s[6:7] scale_offset
	global_load_b64 v[28:29], v1, s[8:9] scale_offset
	;; [unrolled: 1-line block ×3, first 2 shown]
	v_or_b32_e32 v14, 0x100, v0
.LBB155_5:
	s_wait_xcnt 0x0
	s_or_b32 exec_lo, exec_lo, s0
	v_dual_mov_b32 v5, 0 :: v_dual_mov_b32 v26, 0
	v_dual_mov_b32 v27, 0 :: v_dual_mov_b32 v16, 0
	v_mov_b32_e32 v17, 0
	s_mov_b32 s1, exec_lo
	v_cmpx_gt_i32_e64 s16, v14
	s_cbranch_execz .LBB155_7
; %bb.6:
	v_add_nc_u32_e32 v2, s2, v14
	v_add_nc_u32_e32 v14, 0x100, v14
	s_clause 0x2
	global_load_b64 v[16:17], v2, s[6:7] scale_offset
	global_load_b64 v[26:27], v2, s[8:9] scale_offset
	;; [unrolled: 1-line block ×3, first 2 shown]
.LBB155_7:
	s_wait_xcnt 0x0
	s_or_b32 exec_lo, exec_lo, s1
	v_dual_mov_b32 v2, 0 :: v_dual_mov_b32 v8, 0
	v_dual_mov_b32 v9, 0 :: v_dual_mov_b32 v18, 0
	;; [unrolled: 1-line block ×3, first 2 shown]
	v_mov_b32_e32 v13, 0
	s_mov_b32 s1, exec_lo
	v_cmpx_gt_i32_e64 s16, v14
	s_cbranch_execz .LBB155_9
; %bb.8:
	v_add_nc_u32_e32 v3, s2, v14
	v_add_nc_u32_e32 v14, 0x100, v14
	s_clause 0x2
	global_load_b64 v[12:13], v3, s[6:7] scale_offset
	global_load_b64 v[18:19], v3, s[8:9] scale_offset
	;; [unrolled: 1-line block ×3, first 2 shown]
.LBB155_9:
	s_wait_xcnt 0x0
	s_or_b32 exec_lo, exec_lo, s1
	v_dual_mov_b32 v3, 0 :: v_dual_mov_b32 v10, 0
	v_dual_mov_b32 v11, 0 :: v_dual_mov_b32 v6, 0
	v_mov_b32_e32 v7, 0
	s_mov_b32 s1, exec_lo
	v_cmpx_gt_i32_e64 s16, v14
	s_cbranch_execz .LBB155_11
; %bb.10:
	v_add_nc_u32_e32 v14, s2, v14
	s_clause 0x2
	global_load_b64 v[6:7], v14, s[6:7] scale_offset
	global_load_b64 v[10:11], v14, s[8:9] scale_offset
	;; [unrolled: 1-line block ×3, first 2 shown]
.LBB155_11:
	s_wait_xcnt 0x0
	s_or_b32 exec_lo, exec_lo, s1
	v_dual_mov_b32 v14, 0 :: v_dual_mov_b32 v24, 0
	v_mov_b32_e32 v25, 0
	s_and_saveexec_b32 s0, vcc_lo
	s_cbranch_execz .LBB155_13
; %bb.12:
	v_mov_b64_e32 v[32:33], s[14:15]
	s_wait_loadcnt 0x1
	v_dual_mov_b32 v24, v29 :: v_dual_mov_b32 v25, v28
	v_mov_b64_e32 v[34:35], s[12:13]
	s_wait_loadcnt 0x0
	v_dual_mov_b32 v37, v20 :: v_dual_mov_b32 v36, v21
	s_delay_alu instid0(VALU_DEP_3) | instskip(SKIP_1) | instid1(VALU_DEP_2)
	v_pk_mul_f32 v[24:25], v[32:33], v[24:25]
	v_pk_mul_f32 v[28:29], v[32:33], v[28:29]
	v_dual_mov_b32 v32, v23 :: v_dual_add_f32 v24, v24, v25
	s_delay_alu instid0(VALU_DEP_2) | instskip(NEXT) | instid1(VALU_DEP_2)
	v_pk_add_f32 v[28:29], v[28:29], v[28:29] op_sel:[0,1] op_sel_hi:[0,1] neg_lo:[0,1] neg_hi:[0,1]
	v_pk_mul_f32 v[32:33], v[34:35], v[32:33] op_sel:[1,0] op_sel_hi:[0,0]
	s_delay_alu instid0(VALU_DEP_3) | instskip(NEXT) | instid1(VALU_DEP_2)
	v_pk_mul_f32 v[24:25], v[36:37], v[24:25] op_sel_hi:[1,0]
	v_pk_fma_f32 v[36:37], v[34:35], v[22:23], v[32:33] op_sel_hi:[1,0,1]
	v_pk_fma_f32 v[22:23], v[34:35], v[22:23], v[32:33] neg_lo:[0,0,1] neg_hi:[0,0,1]
	s_delay_alu instid0(VALU_DEP_3) | instskip(SKIP_1) | instid1(VALU_DEP_2)
	v_pk_fma_f32 v[38:39], v[20:21], v[28:29], v[24:25]
	v_pk_fma_f32 v[20:21], v[20:21], v[28:29], v[24:25] neg_lo:[0,0,1] neg_hi:[0,0,1]
	v_dual_mov_b32 v23, v37 :: v_dual_mov_b32 v21, v39
	s_delay_alu instid0(VALU_DEP_1)
	v_pk_add_f32 v[24:25], v[22:23], v[20:21]
.LBB155_13:
	s_or_b32 exec_lo, exec_lo, s0
	v_mov_b32_e32 v15, 0
	s_mov_b32 s1, exec_lo
	v_cmpx_gt_i32_e64 s16, v30
	s_cbranch_execz .LBB155_15
; %bb.14:
	s_wait_loadcnt 0x0
	v_mov_b64_e32 v[20:21], s[14:15]
	v_dual_mov_b32 v14, v27 :: v_dual_mov_b32 v15, v26
	v_mov_b32_e32 v28, v5
	s_delay_alu instid0(VALU_DEP_2) | instskip(SKIP_3) | instid1(VALU_DEP_4)
	v_pk_mul_f32 v[14:15], v[20:21], v[14:15]
	v_pk_mul_f32 v[22:23], v[20:21], v[26:27]
	v_mov_b64_e32 v[26:27], s[12:13]
	v_dual_mov_b32 v20, v17 :: v_dual_mov_b32 v29, v4
	v_add_f32_e32 v14, v14, v15
	s_delay_alu instid0(VALU_DEP_4) | instskip(NEXT) | instid1(VALU_DEP_3)
	v_pk_add_f32 v[22:23], v[22:23], v[22:23] op_sel:[0,1] op_sel_hi:[0,1] neg_lo:[0,1] neg_hi:[0,1]
	v_pk_mul_f32 v[20:21], v[26:27], v[20:21] op_sel:[1,0] op_sel_hi:[0,0]
	s_delay_alu instid0(VALU_DEP_3) | instskip(NEXT) | instid1(VALU_DEP_2)
	v_pk_mul_f32 v[14:15], v[28:29], v[14:15] op_sel_hi:[1,0]
	v_pk_fma_f32 v[28:29], v[26:27], v[16:17], v[20:21] op_sel_hi:[1,0,1]
	s_delay_alu instid0(VALU_DEP_2) | instskip(SKIP_2) | instid1(VALU_DEP_3)
	v_pk_fma_f32 v[32:33], v[4:5], v[22:23], v[14:15]
	v_pk_fma_f32 v[16:17], v[26:27], v[16:17], v[20:21] neg_lo:[0,0,1] neg_hi:[0,0,1]
	v_pk_fma_f32 v[4:5], v[4:5], v[22:23], v[14:15] neg_lo:[0,0,1] neg_hi:[0,0,1]
	v_dual_mov_b32 v17, v29 :: v_dual_mov_b32 v5, v33
	s_delay_alu instid0(VALU_DEP_1)
	v_pk_add_f32 v[14:15], v[16:17], v[4:5]
.LBB155_15:
	s_or_b32 exec_lo, exec_lo, s1
	s_wait_loadcnt 0x0
	v_or_b32_e32 v5, 0x200, v0
	v_dual_mov_b32 v4, 0 :: v_dual_mov_b32 v16, 0
	v_mov_b32_e32 v17, 0
	s_mov_b32 s1, exec_lo
	s_delay_alu instid0(VALU_DEP_3)
	v_cmpx_gt_i32_e64 s16, v5
	s_cbranch_execz .LBB155_17
; %bb.16:
	v_mov_b64_e32 v[20:21], s[14:15]
	v_dual_mov_b32 v16, v19 :: v_dual_mov_b32 v17, v18
	v_mov_b64_e32 v[22:23], s[12:13]
	v_dual_mov_b32 v27, v8 :: v_dual_mov_b32 v26, v9
	s_delay_alu instid0(VALU_DEP_3) | instskip(SKIP_1) | instid1(VALU_DEP_2)
	v_pk_mul_f32 v[16:17], v[20:21], v[16:17]
	v_pk_mul_f32 v[18:19], v[20:21], v[18:19]
	v_dual_mov_b32 v20, v13 :: v_dual_add_f32 v16, v16, v17
	s_delay_alu instid0(VALU_DEP_2) | instskip(NEXT) | instid1(VALU_DEP_2)
	v_pk_add_f32 v[18:19], v[18:19], v[18:19] op_sel:[0,1] op_sel_hi:[0,1] neg_lo:[0,1] neg_hi:[0,1]
	v_pk_mul_f32 v[20:21], v[22:23], v[20:21] op_sel:[1,0] op_sel_hi:[0,0]
	s_delay_alu instid0(VALU_DEP_3) | instskip(NEXT) | instid1(VALU_DEP_2)
	v_pk_mul_f32 v[16:17], v[26:27], v[16:17] op_sel_hi:[1,0]
	v_pk_fma_f32 v[26:27], v[22:23], v[12:13], v[20:21] op_sel_hi:[1,0,1]
	v_pk_fma_f32 v[12:13], v[22:23], v[12:13], v[20:21] neg_lo:[0,0,1] neg_hi:[0,0,1]
	s_delay_alu instid0(VALU_DEP_3) | instskip(SKIP_1) | instid1(VALU_DEP_2)
	v_pk_fma_f32 v[28:29], v[8:9], v[18:19], v[16:17]
	v_pk_fma_f32 v[8:9], v[8:9], v[18:19], v[16:17] neg_lo:[0,0,1] neg_hi:[0,0,1]
	v_dual_mov_b32 v13, v27 :: v_dual_mov_b32 v9, v29
	s_delay_alu instid0(VALU_DEP_1)
	v_pk_add_f32 v[16:17], v[12:13], v[8:9]
.LBB155_17:
	s_or_b32 exec_lo, exec_lo, s1
	v_or_b32_e32 v5, 0x300, v0
	s_delay_alu instid0(VALU_DEP_1)
	v_cmp_gt_i32_e64 s0, s16, v5
	v_mov_b32_e32 v5, 0
	s_and_saveexec_b32 s1, s0
	s_cbranch_execnz .LBB155_24
; %bb.18:
	s_or_b32 exec_lo, exec_lo, s1
	s_and_saveexec_b32 s0, vcc_lo
	s_delay_alu instid0(SALU_CYCLE_1)
	s_xor_b32 s0, exec_lo, s0
	s_cbranch_execnz .LBB155_25
.LBB155_19:
	s_or_b32 exec_lo, exec_lo, s0
	s_delay_alu instid0(SALU_CYCLE_1)
	s_mov_b32 s0, exec_lo
	v_cmpx_gt_i32_e64 s16, v0
	s_cbranch_execnz .LBB155_26
.LBB155_20:
	s_or_b32 exec_lo, exec_lo, s0
	s_delay_alu instid0(SALU_CYCLE_1)
	s_mov_b32 s0, exec_lo
	v_cmpx_gt_i32_e64 s16, v0
	s_cbranch_execnz .LBB155_27
.LBB155_21:
	s_or_b32 exec_lo, exec_lo, s0
	s_delay_alu instid0(SALU_CYCLE_1)
	s_mov_b32 s0, exec_lo
	v_cmpx_gt_i32_e64 s16, v0
	s_cbranch_execz .LBB155_23
.LBB155_22:
	v_add_nc_u32_e32 v0, s2, v0
	global_store_b64 v0, v[4:5], s[4:5] scale_offset
.LBB155_23:
	s_endpgm
.LBB155_24:
	v_mov_b64_e32 v[8:9], s[14:15]
	v_dual_mov_b32 v4, v11 :: v_dual_mov_b32 v5, v10
	v_mov_b64_e32 v[18:19], s[12:13]
	v_mov_b32_e32 v12, v7
	s_delay_alu instid0(VALU_DEP_3) | instskip(SKIP_2) | instid1(VALU_DEP_4)
	v_pk_mul_f32 v[4:5], v[8:9], v[4:5]
	v_pk_mul_f32 v[8:9], v[8:9], v[10:11]
	v_dual_mov_b32 v10, v3 :: v_dual_mov_b32 v11, v2
	v_pk_mul_f32 v[12:13], v[18:19], v[12:13] op_sel:[1,0] op_sel_hi:[0,0]
	s_delay_alu instid0(VALU_DEP_4) | instskip(NEXT) | instid1(VALU_DEP_4)
	v_add_f32_e32 v4, v4, v5
	v_pk_add_f32 v[8:9], v[8:9], v[8:9] op_sel:[0,1] op_sel_hi:[0,1] neg_lo:[0,1] neg_hi:[0,1]
	s_delay_alu instid0(VALU_DEP_2) | instskip(NEXT) | instid1(VALU_DEP_4)
	v_pk_mul_f32 v[4:5], v[10:11], v[4:5] op_sel_hi:[1,0]
	v_pk_fma_f32 v[10:11], v[18:19], v[6:7], v[12:13] op_sel_hi:[1,0,1]
	v_pk_fma_f32 v[6:7], v[18:19], v[6:7], v[12:13] neg_lo:[0,0,1] neg_hi:[0,0,1]
	s_delay_alu instid0(VALU_DEP_3) | instskip(SKIP_1) | instid1(VALU_DEP_2)
	v_pk_fma_f32 v[20:21], v[2:3], v[8:9], v[4:5]
	v_pk_fma_f32 v[2:3], v[2:3], v[8:9], v[4:5] neg_lo:[0,0,1] neg_hi:[0,0,1]
	v_dual_mov_b32 v7, v11 :: v_dual_mov_b32 v3, v21
	s_delay_alu instid0(VALU_DEP_1) | instskip(SKIP_2) | instid1(SALU_CYCLE_1)
	v_pk_add_f32 v[4:5], v[6:7], v[2:3]
	s_or_b32 exec_lo, exec_lo, s1
	s_and_saveexec_b32 s0, vcc_lo
	s_xor_b32 s0, exec_lo, s0
	s_cbranch_execz .LBB155_19
.LBB155_25:
	v_mov_b32_e32 v0, v30
	global_store_b64 v1, v[24:25], s[4:5] scale_offset
	s_wait_xcnt 0x0
	s_or_b32 exec_lo, exec_lo, s0
	s_delay_alu instid0(SALU_CYCLE_1)
	s_mov_b32 s0, exec_lo
	v_cmpx_gt_i32_e64 s16, v0
	s_cbranch_execz .LBB155_20
.LBB155_26:
	v_add_nc_u32_e32 v1, 0x100, v0
	s_delay_alu instid0(VALU_DEP_1) | instskip(SKIP_3) | instid1(SALU_CYCLE_1)
	v_dual_add_nc_u32 v2, s2, v0 :: v_dual_mov_b32 v0, v1
	global_store_b64 v2, v[14:15], s[4:5] scale_offset
	s_wait_xcnt 0x0
	s_or_b32 exec_lo, exec_lo, s0
	s_mov_b32 s0, exec_lo
	v_cmpx_gt_i32_e64 s16, v0
	s_cbranch_execz .LBB155_21
.LBB155_27:
	v_add_nc_u32_e32 v1, 0x100, v0
	s_delay_alu instid0(VALU_DEP_1) | instskip(SKIP_3) | instid1(SALU_CYCLE_1)
	v_dual_add_nc_u32 v2, s2, v0 :: v_dual_mov_b32 v0, v1
	global_store_b64 v2, v[16:17], s[4:5] scale_offset
	s_wait_xcnt 0x0
	s_or_b32 exec_lo, exec_lo, s0
	s_mov_b32 s0, exec_lo
	v_cmpx_gt_i32_e64 s16, v0
	s_cbranch_execnz .LBB155_22
	s_branch .LBB155_23
	.section	.rodata,"a",@progbits
	.p2align	6, 0x0
	.amdhsa_kernel _ZN2at6native29vectorized_elementwise_kernelILi2EZZZNS0_12_GLOBAL__N_116addr_kernel_cudaERNS_14TensorIteratorERKN3c106ScalarES8_ENKUlvE_clEvENKUlvE7_clEvEUlNS5_7complexIfEESC_SC_E0_St5arrayIPcLm4EEEEviT0_T1_
		.amdhsa_group_segment_fixed_size 0
		.amdhsa_private_segment_fixed_size 0
		.amdhsa_kernarg_size 56
		.amdhsa_user_sgpr_count 2
		.amdhsa_user_sgpr_dispatch_ptr 0
		.amdhsa_user_sgpr_queue_ptr 0
		.amdhsa_user_sgpr_kernarg_segment_ptr 1
		.amdhsa_user_sgpr_dispatch_id 0
		.amdhsa_user_sgpr_kernarg_preload_length 0
		.amdhsa_user_sgpr_kernarg_preload_offset 0
		.amdhsa_user_sgpr_private_segment_size 0
		.amdhsa_wavefront_size32 1
		.amdhsa_uses_dynamic_stack 0
		.amdhsa_enable_private_segment 0
		.amdhsa_system_sgpr_workgroup_id_x 1
		.amdhsa_system_sgpr_workgroup_id_y 0
		.amdhsa_system_sgpr_workgroup_id_z 0
		.amdhsa_system_sgpr_workgroup_info 0
		.amdhsa_system_vgpr_workitem_id 0
		.amdhsa_next_free_vgpr 50
		.amdhsa_next_free_sgpr 22
		.amdhsa_named_barrier_count 0
		.amdhsa_reserve_vcc 1
		.amdhsa_float_round_mode_32 0
		.amdhsa_float_round_mode_16_64 0
		.amdhsa_float_denorm_mode_32 3
		.amdhsa_float_denorm_mode_16_64 3
		.amdhsa_fp16_overflow 0
		.amdhsa_memory_ordered 1
		.amdhsa_forward_progress 1
		.amdhsa_inst_pref_size 17
		.amdhsa_round_robin_scheduling 0
		.amdhsa_exception_fp_ieee_invalid_op 0
		.amdhsa_exception_fp_denorm_src 0
		.amdhsa_exception_fp_ieee_div_zero 0
		.amdhsa_exception_fp_ieee_overflow 0
		.amdhsa_exception_fp_ieee_underflow 0
		.amdhsa_exception_fp_ieee_inexact 0
		.amdhsa_exception_int_div_zero 0
	.end_amdhsa_kernel
	.section	.text._ZN2at6native29vectorized_elementwise_kernelILi2EZZZNS0_12_GLOBAL__N_116addr_kernel_cudaERNS_14TensorIteratorERKN3c106ScalarES8_ENKUlvE_clEvENKUlvE7_clEvEUlNS5_7complexIfEESC_SC_E0_St5arrayIPcLm4EEEEviT0_T1_,"axG",@progbits,_ZN2at6native29vectorized_elementwise_kernelILi2EZZZNS0_12_GLOBAL__N_116addr_kernel_cudaERNS_14TensorIteratorERKN3c106ScalarES8_ENKUlvE_clEvENKUlvE7_clEvEUlNS5_7complexIfEESC_SC_E0_St5arrayIPcLm4EEEEviT0_T1_,comdat
.Lfunc_end155:
	.size	_ZN2at6native29vectorized_elementwise_kernelILi2EZZZNS0_12_GLOBAL__N_116addr_kernel_cudaERNS_14TensorIteratorERKN3c106ScalarES8_ENKUlvE_clEvENKUlvE7_clEvEUlNS5_7complexIfEESC_SC_E0_St5arrayIPcLm4EEEEviT0_T1_, .Lfunc_end155-_ZN2at6native29vectorized_elementwise_kernelILi2EZZZNS0_12_GLOBAL__N_116addr_kernel_cudaERNS_14TensorIteratorERKN3c106ScalarES8_ENKUlvE_clEvENKUlvE7_clEvEUlNS5_7complexIfEESC_SC_E0_St5arrayIPcLm4EEEEviT0_T1_
                                        ; -- End function
	.set _ZN2at6native29vectorized_elementwise_kernelILi2EZZZNS0_12_GLOBAL__N_116addr_kernel_cudaERNS_14TensorIteratorERKN3c106ScalarES8_ENKUlvE_clEvENKUlvE7_clEvEUlNS5_7complexIfEESC_SC_E0_St5arrayIPcLm4EEEEviT0_T1_.num_vgpr, 50
	.set _ZN2at6native29vectorized_elementwise_kernelILi2EZZZNS0_12_GLOBAL__N_116addr_kernel_cudaERNS_14TensorIteratorERKN3c106ScalarES8_ENKUlvE_clEvENKUlvE7_clEvEUlNS5_7complexIfEESC_SC_E0_St5arrayIPcLm4EEEEviT0_T1_.num_agpr, 0
	.set _ZN2at6native29vectorized_elementwise_kernelILi2EZZZNS0_12_GLOBAL__N_116addr_kernel_cudaERNS_14TensorIteratorERKN3c106ScalarES8_ENKUlvE_clEvENKUlvE7_clEvEUlNS5_7complexIfEESC_SC_E0_St5arrayIPcLm4EEEEviT0_T1_.numbered_sgpr, 22
	.set _ZN2at6native29vectorized_elementwise_kernelILi2EZZZNS0_12_GLOBAL__N_116addr_kernel_cudaERNS_14TensorIteratorERKN3c106ScalarES8_ENKUlvE_clEvENKUlvE7_clEvEUlNS5_7complexIfEESC_SC_E0_St5arrayIPcLm4EEEEviT0_T1_.num_named_barrier, 0
	.set _ZN2at6native29vectorized_elementwise_kernelILi2EZZZNS0_12_GLOBAL__N_116addr_kernel_cudaERNS_14TensorIteratorERKN3c106ScalarES8_ENKUlvE_clEvENKUlvE7_clEvEUlNS5_7complexIfEESC_SC_E0_St5arrayIPcLm4EEEEviT0_T1_.private_seg_size, 0
	.set _ZN2at6native29vectorized_elementwise_kernelILi2EZZZNS0_12_GLOBAL__N_116addr_kernel_cudaERNS_14TensorIteratorERKN3c106ScalarES8_ENKUlvE_clEvENKUlvE7_clEvEUlNS5_7complexIfEESC_SC_E0_St5arrayIPcLm4EEEEviT0_T1_.uses_vcc, 1
	.set _ZN2at6native29vectorized_elementwise_kernelILi2EZZZNS0_12_GLOBAL__N_116addr_kernel_cudaERNS_14TensorIteratorERKN3c106ScalarES8_ENKUlvE_clEvENKUlvE7_clEvEUlNS5_7complexIfEESC_SC_E0_St5arrayIPcLm4EEEEviT0_T1_.uses_flat_scratch, 0
	.set _ZN2at6native29vectorized_elementwise_kernelILi2EZZZNS0_12_GLOBAL__N_116addr_kernel_cudaERNS_14TensorIteratorERKN3c106ScalarES8_ENKUlvE_clEvENKUlvE7_clEvEUlNS5_7complexIfEESC_SC_E0_St5arrayIPcLm4EEEEviT0_T1_.has_dyn_sized_stack, 0
	.set _ZN2at6native29vectorized_elementwise_kernelILi2EZZZNS0_12_GLOBAL__N_116addr_kernel_cudaERNS_14TensorIteratorERKN3c106ScalarES8_ENKUlvE_clEvENKUlvE7_clEvEUlNS5_7complexIfEESC_SC_E0_St5arrayIPcLm4EEEEviT0_T1_.has_recursion, 0
	.set _ZN2at6native29vectorized_elementwise_kernelILi2EZZZNS0_12_GLOBAL__N_116addr_kernel_cudaERNS_14TensorIteratorERKN3c106ScalarES8_ENKUlvE_clEvENKUlvE7_clEvEUlNS5_7complexIfEESC_SC_E0_St5arrayIPcLm4EEEEviT0_T1_.has_indirect_call, 0
	.section	.AMDGPU.csdata,"",@progbits
; Kernel info:
; codeLenInByte = 2160
; TotalNumSgprs: 24
; NumVgprs: 50
; ScratchSize: 0
; MemoryBound: 0
; FloatMode: 240
; IeeeMode: 1
; LDSByteSize: 0 bytes/workgroup (compile time only)
; SGPRBlocks: 0
; VGPRBlocks: 3
; NumSGPRsForWavesPerEU: 24
; NumVGPRsForWavesPerEU: 50
; NamedBarCnt: 0
; Occupancy: 16
; WaveLimiterHint : 1
; COMPUTE_PGM_RSRC2:SCRATCH_EN: 0
; COMPUTE_PGM_RSRC2:USER_SGPR: 2
; COMPUTE_PGM_RSRC2:TRAP_HANDLER: 0
; COMPUTE_PGM_RSRC2:TGID_X_EN: 1
; COMPUTE_PGM_RSRC2:TGID_Y_EN: 0
; COMPUTE_PGM_RSRC2:TGID_Z_EN: 0
; COMPUTE_PGM_RSRC2:TIDIG_COMP_CNT: 0
	.section	.text._ZN2at6native27unrolled_elementwise_kernelIZZZNS0_12_GLOBAL__N_116addr_kernel_cudaERNS_14TensorIteratorERKN3c106ScalarES8_ENKUlvE_clEvENKUlvE7_clEvEUlNS5_7complexIfEESC_SC_E0_St5arrayIPcLm4EELi4E23TrivialOffsetCalculatorILi3EjESH_ILi1EjENS0_6memory15LoadWithoutCastENSK_16StoreWithoutCastEEEviT_T0_T2_T3_T4_T5_,"axG",@progbits,_ZN2at6native27unrolled_elementwise_kernelIZZZNS0_12_GLOBAL__N_116addr_kernel_cudaERNS_14TensorIteratorERKN3c106ScalarES8_ENKUlvE_clEvENKUlvE7_clEvEUlNS5_7complexIfEESC_SC_E0_St5arrayIPcLm4EELi4E23TrivialOffsetCalculatorILi3EjESH_ILi1EjENS0_6memory15LoadWithoutCastENSK_16StoreWithoutCastEEEviT_T0_T2_T3_T4_T5_,comdat
	.globl	_ZN2at6native27unrolled_elementwise_kernelIZZZNS0_12_GLOBAL__N_116addr_kernel_cudaERNS_14TensorIteratorERKN3c106ScalarES8_ENKUlvE_clEvENKUlvE7_clEvEUlNS5_7complexIfEESC_SC_E0_St5arrayIPcLm4EELi4E23TrivialOffsetCalculatorILi3EjESH_ILi1EjENS0_6memory15LoadWithoutCastENSK_16StoreWithoutCastEEEviT_T0_T2_T3_T4_T5_ ; -- Begin function _ZN2at6native27unrolled_elementwise_kernelIZZZNS0_12_GLOBAL__N_116addr_kernel_cudaERNS_14TensorIteratorERKN3c106ScalarES8_ENKUlvE_clEvENKUlvE7_clEvEUlNS5_7complexIfEESC_SC_E0_St5arrayIPcLm4EELi4E23TrivialOffsetCalculatorILi3EjESH_ILi1EjENS0_6memory15LoadWithoutCastENSK_16StoreWithoutCastEEEviT_T0_T2_T3_T4_T5_
	.p2align	8
	.type	_ZN2at6native27unrolled_elementwise_kernelIZZZNS0_12_GLOBAL__N_116addr_kernel_cudaERNS_14TensorIteratorERKN3c106ScalarES8_ENKUlvE_clEvENKUlvE7_clEvEUlNS5_7complexIfEESC_SC_E0_St5arrayIPcLm4EELi4E23TrivialOffsetCalculatorILi3EjESH_ILi1EjENS0_6memory15LoadWithoutCastENSK_16StoreWithoutCastEEEviT_T0_T2_T3_T4_T5_,@function
_ZN2at6native27unrolled_elementwise_kernelIZZZNS0_12_GLOBAL__N_116addr_kernel_cudaERNS_14TensorIteratorERKN3c106ScalarES8_ENKUlvE_clEvENKUlvE7_clEvEUlNS5_7complexIfEESC_SC_E0_St5arrayIPcLm4EELi4E23TrivialOffsetCalculatorILi3EjESH_ILi1EjENS0_6memory15LoadWithoutCastENSK_16StoreWithoutCastEEEviT_T0_T2_T3_T4_T5_: ; @_ZN2at6native27unrolled_elementwise_kernelIZZZNS0_12_GLOBAL__N_116addr_kernel_cudaERNS_14TensorIteratorERKN3c106ScalarES8_ENKUlvE_clEvENKUlvE7_clEvEUlNS5_7complexIfEESC_SC_E0_St5arrayIPcLm4EELi4E23TrivialOffsetCalculatorILi3EjESH_ILi1EjENS0_6memory15LoadWithoutCastENSK_16StoreWithoutCastEEEviT_T0_T2_T3_T4_T5_
; %bb.0:
	s_load_b32 s2, s[0:1], 0x0
	s_bfe_u32 s12, ttmp6, 0x4000c
	s_load_b256 s[4:11], s[0:1], 0x18
	s_add_co_i32 s12, s12, 1
	s_and_b32 s3, ttmp6, 15
	s_mul_i32 s12, ttmp9, s12
	s_getreg_b32 s13, hwreg(HW_REG_IB_STS2, 6, 4)
	s_add_co_i32 s3, s3, s12
	s_cmp_eq_u32 s13, 0
	v_dual_mov_b32 v4, 0 :: v_dual_mov_b32 v14, 0
	s_cselect_b32 s3, ttmp9, s3
	v_dual_mov_b32 v15, 0 :: v_dual_mov_b32 v28, 0
	s_lshl_b32 s3, s3, 10
	v_dual_mov_b32 v29, 0 :: v_dual_mov_b32 v20, 0
	v_or_b32_e32 v1, 0x100, v0
	v_dual_mov_b32 v18, v0 :: v_dual_bitop2_b32 v30, s3, v0 bitop3:0x54
	s_wait_kmcnt 0x0
	s_sub_co_i32 s16, s2, s3
	v_mov_b32_e32 v21, 0
	v_cmp_gt_i32_e32 vcc_lo, s16, v0
	s_and_saveexec_b32 s2, vcc_lo
	s_cbranch_execz .LBB156_2
; %bb.1:
	s_clause 0x2
	global_load_b64 v[20:21], v30, s[6:7] scale_offset
	global_load_b64 v[28:29], v30, s[8:9] scale_offset
	;; [unrolled: 1-line block ×3, first 2 shown]
	v_or_b32_e32 v18, 0x100, v0
.LBB156_2:
	s_wait_xcnt 0x0
	s_or_b32 exec_lo, exec_lo, s2
	v_dual_mov_b32 v5, 0 :: v_dual_mov_b32 v26, 0
	v_dual_mov_b32 v27, 0 :: v_dual_mov_b32 v16, 0
	v_mov_b32_e32 v17, 0
	s_mov_b32 s12, exec_lo
	v_cmpx_gt_i32_e64 s16, v18
	s_cbranch_execz .LBB156_4
; %bb.3:
	v_add_nc_u32_e32 v2, s3, v18
	v_add_nc_u32_e32 v18, 0x100, v18
	s_clause 0x2
	global_load_b64 v[16:17], v2, s[6:7] scale_offset
	global_load_b64 v[26:27], v2, s[8:9] scale_offset
	;; [unrolled: 1-line block ×3, first 2 shown]
.LBB156_4:
	s_wait_xcnt 0x0
	s_or_b32 exec_lo, exec_lo, s12
	v_dual_mov_b32 v2, 0 :: v_dual_mov_b32 v8, 0
	v_dual_mov_b32 v9, 0 :: v_dual_mov_b32 v22, 0
	;; [unrolled: 1-line block ×3, first 2 shown]
	v_mov_b32_e32 v11, 0
	s_mov_b32 s12, exec_lo
	v_cmpx_gt_i32_e64 s16, v18
	s_cbranch_execz .LBB156_6
; %bb.5:
	v_add_nc_u32_e32 v3, s3, v18
	v_add_nc_u32_e32 v18, 0x100, v18
	s_clause 0x2
	global_load_b64 v[10:11], v3, s[6:7] scale_offset
	global_load_b64 v[22:23], v3, s[8:9] scale_offset
	global_load_b64 v[8:9], v3, s[10:11] scale_offset
.LBB156_6:
	s_wait_xcnt 0x0
	s_or_b32 exec_lo, exec_lo, s12
	s_load_b128 s[12:15], s[0:1], 0x8
	v_dual_mov_b32 v3, 0 :: v_dual_mov_b32 v12, 0
	v_dual_mov_b32 v13, 0 :: v_dual_mov_b32 v6, 0
	v_mov_b32_e32 v7, 0
	s_wait_xcnt 0x0
	s_mov_b32 s1, exec_lo
	v_cmpx_gt_i32_e64 s16, v18
	s_cbranch_execz .LBB156_8
; %bb.7:
	v_add_nc_u32_e32 v18, s3, v18
	s_clause 0x2
	global_load_b64 v[6:7], v18, s[6:7] scale_offset
	global_load_b64 v[12:13], v18, s[8:9] scale_offset
	;; [unrolled: 1-line block ×3, first 2 shown]
.LBB156_8:
	s_wait_xcnt 0x0
	s_or_b32 exec_lo, exec_lo, s1
	v_dual_mov_b32 v18, 0 :: v_dual_mov_b32 v24, 0
	v_mov_b32_e32 v25, 0
	s_and_saveexec_b32 s0, vcc_lo
	s_cbranch_execz .LBB156_10
; %bb.9:
	s_wait_kmcnt 0x0
	v_mov_b64_e32 v[32:33], s[14:15]
	s_wait_loadcnt 0x1
	v_dual_mov_b32 v24, v29 :: v_dual_mov_b32 v25, v28
	v_mov_b64_e32 v[34:35], s[12:13]
	s_wait_loadcnt 0x0
	v_mov_b32_e32 v36, v15
	s_delay_alu instid0(VALU_DEP_3) | instskip(SKIP_2) | instid1(VALU_DEP_3)
	v_pk_mul_f32 v[24:25], v[32:33], v[24:25]
	v_pk_mul_f32 v[28:29], v[32:33], v[28:29]
	v_dual_mov_b32 v32, v21 :: v_dual_mov_b32 v37, v14
	v_add_f32_e32 v24, v24, v25
	s_delay_alu instid0(VALU_DEP_3) | instskip(NEXT) | instid1(VALU_DEP_3)
	v_pk_add_f32 v[28:29], v[28:29], v[28:29] op_sel:[0,1] op_sel_hi:[0,1] neg_lo:[0,1] neg_hi:[0,1]
	v_pk_mul_f32 v[32:33], v[34:35], v[32:33] op_sel:[1,0] op_sel_hi:[0,0]
	s_delay_alu instid0(VALU_DEP_3) | instskip(NEXT) | instid1(VALU_DEP_2)
	v_pk_mul_f32 v[24:25], v[36:37], v[24:25] op_sel_hi:[1,0]
	v_pk_fma_f32 v[36:37], v[34:35], v[20:21], v[32:33] op_sel_hi:[1,0,1]
	v_pk_fma_f32 v[20:21], v[34:35], v[20:21], v[32:33] neg_lo:[0,0,1] neg_hi:[0,0,1]
	s_delay_alu instid0(VALU_DEP_3) | instskip(SKIP_1) | instid1(VALU_DEP_2)
	v_pk_fma_f32 v[38:39], v[14:15], v[28:29], v[24:25]
	v_pk_fma_f32 v[14:15], v[14:15], v[28:29], v[24:25] neg_lo:[0,0,1] neg_hi:[0,0,1]
	v_dual_mov_b32 v21, v37 :: v_dual_mov_b32 v15, v39
	s_delay_alu instid0(VALU_DEP_1)
	v_pk_add_f32 v[24:25], v[20:21], v[14:15]
.LBB156_10:
	s_or_b32 exec_lo, exec_lo, s0
	v_mov_b32_e32 v19, 0
	s_mov_b32 s1, exec_lo
	v_cmpx_gt_i32_e64 s16, v1
	s_cbranch_execz .LBB156_12
; %bb.11:
	s_wait_kmcnt 0x0
	v_mov_b64_e32 v[18:19], s[14:15]
	s_wait_loadcnt 0x0
	v_dual_mov_b32 v14, v27 :: v_dual_mov_b32 v15, v26
	v_mov_b32_e32 v28, v5
	s_delay_alu instid0(VALU_DEP_2) | instskip(SKIP_3) | instid1(VALU_DEP_4)
	v_pk_mul_f32 v[14:15], v[18:19], v[14:15]
	v_pk_mul_f32 v[20:21], v[18:19], v[26:27]
	v_mov_b64_e32 v[26:27], s[12:13]
	v_dual_mov_b32 v18, v17 :: v_dual_mov_b32 v29, v4
	v_add_f32_e32 v14, v14, v15
	s_delay_alu instid0(VALU_DEP_4) | instskip(NEXT) | instid1(VALU_DEP_3)
	v_pk_add_f32 v[20:21], v[20:21], v[20:21] op_sel:[0,1] op_sel_hi:[0,1] neg_lo:[0,1] neg_hi:[0,1]
	v_pk_mul_f32 v[18:19], v[26:27], v[18:19] op_sel:[1,0] op_sel_hi:[0,0]
	s_delay_alu instid0(VALU_DEP_3) | instskip(NEXT) | instid1(VALU_DEP_2)
	v_pk_mul_f32 v[14:15], v[28:29], v[14:15] op_sel_hi:[1,0]
	v_pk_fma_f32 v[28:29], v[26:27], v[16:17], v[18:19] op_sel_hi:[1,0,1]
	s_delay_alu instid0(VALU_DEP_2) | instskip(SKIP_2) | instid1(VALU_DEP_3)
	v_pk_fma_f32 v[32:33], v[4:5], v[20:21], v[14:15]
	v_pk_fma_f32 v[16:17], v[26:27], v[16:17], v[18:19] neg_lo:[0,0,1] neg_hi:[0,0,1]
	v_pk_fma_f32 v[4:5], v[4:5], v[20:21], v[14:15] neg_lo:[0,0,1] neg_hi:[0,0,1]
	v_dual_mov_b32 v17, v29 :: v_dual_mov_b32 v5, v33
	s_delay_alu instid0(VALU_DEP_1)
	v_pk_add_f32 v[18:19], v[16:17], v[4:5]
.LBB156_12:
	s_or_b32 exec_lo, exec_lo, s1
	s_wait_loadcnt 0x0
	v_or_b32_e32 v5, 0x200, v0
	v_dual_mov_b32 v4, 0 :: v_dual_mov_b32 v14, 0
	v_mov_b32_e32 v15, 0
	s_mov_b32 s1, exec_lo
	s_delay_alu instid0(VALU_DEP_3)
	v_cmpx_gt_i32_e64 s16, v5
	s_cbranch_execz .LBB156_14
; %bb.13:
	s_wait_kmcnt 0x0
	v_mov_b64_e32 v[16:17], s[14:15]
	v_dual_mov_b32 v14, v23 :: v_dual_mov_b32 v15, v22
	v_mov_b32_e32 v26, v9
	s_delay_alu instid0(VALU_DEP_2) | instskip(SKIP_3) | instid1(VALU_DEP_4)
	v_pk_mul_f32 v[14:15], v[16:17], v[14:15]
	v_pk_mul_f32 v[20:21], v[16:17], v[22:23]
	v_mov_b64_e32 v[22:23], s[12:13]
	v_dual_mov_b32 v16, v11 :: v_dual_mov_b32 v27, v8
	v_add_f32_e32 v14, v14, v15
	s_delay_alu instid0(VALU_DEP_4) | instskip(NEXT) | instid1(VALU_DEP_3)
	v_pk_add_f32 v[20:21], v[20:21], v[20:21] op_sel:[0,1] op_sel_hi:[0,1] neg_lo:[0,1] neg_hi:[0,1]
	v_pk_mul_f32 v[16:17], v[22:23], v[16:17] op_sel:[1,0] op_sel_hi:[0,0]
	s_delay_alu instid0(VALU_DEP_3) | instskip(NEXT) | instid1(VALU_DEP_2)
	v_pk_mul_f32 v[14:15], v[26:27], v[14:15] op_sel_hi:[1,0]
	v_pk_fma_f32 v[26:27], v[22:23], v[10:11], v[16:17] op_sel_hi:[1,0,1]
	s_delay_alu instid0(VALU_DEP_2) | instskip(SKIP_2) | instid1(VALU_DEP_3)
	v_pk_fma_f32 v[28:29], v[8:9], v[20:21], v[14:15]
	v_pk_fma_f32 v[10:11], v[22:23], v[10:11], v[16:17] neg_lo:[0,0,1] neg_hi:[0,0,1]
	v_pk_fma_f32 v[8:9], v[8:9], v[20:21], v[14:15] neg_lo:[0,0,1] neg_hi:[0,0,1]
	v_dual_mov_b32 v11, v27 :: v_dual_mov_b32 v9, v29
	s_delay_alu instid0(VALU_DEP_1)
	v_pk_add_f32 v[14:15], v[10:11], v[8:9]
.LBB156_14:
	s_or_b32 exec_lo, exec_lo, s1
	v_or_b32_e32 v5, 0x300, v0
	s_delay_alu instid0(VALU_DEP_1)
	v_cmp_gt_i32_e64 s0, s16, v5
	v_mov_b32_e32 v5, 0
	s_and_saveexec_b32 s1, s0
	s_cbranch_execnz .LBB156_20
; %bb.15:
	s_or_b32 exec_lo, exec_lo, s1
	s_and_saveexec_b32 s0, vcc_lo
	s_delay_alu instid0(SALU_CYCLE_1)
	s_xor_b32 s0, exec_lo, s0
	s_cbranch_execnz .LBB156_21
.LBB156_16:
	s_or_b32 exec_lo, exec_lo, s0
	s_delay_alu instid0(SALU_CYCLE_1)
	s_mov_b32 s0, exec_lo
	v_cmpx_gt_i32_e64 s16, v0
	s_cbranch_execnz .LBB156_22
.LBB156_17:
	s_or_b32 exec_lo, exec_lo, s0
	s_delay_alu instid0(SALU_CYCLE_1)
	s_mov_b32 s0, exec_lo
	v_cmpx_gt_i32_e64 s16, v0
	s_cbranch_execnz .LBB156_23
.LBB156_18:
	s_or_b32 exec_lo, exec_lo, s0
	s_delay_alu instid0(SALU_CYCLE_1)
	s_mov_b32 s0, exec_lo
	v_cmpx_gt_i32_e64 s16, v0
	s_cbranch_execnz .LBB156_24
.LBB156_19:
	s_endpgm
.LBB156_20:
	s_wait_kmcnt 0x0
	v_mov_b64_e32 v[8:9], s[14:15]
	v_dual_mov_b32 v4, v13 :: v_dual_mov_b32 v5, v12
	v_mov_b64_e32 v[16:17], s[12:13]
	v_mov_b32_e32 v10, v7
	s_delay_alu instid0(VALU_DEP_3) | instskip(SKIP_2) | instid1(VALU_DEP_4)
	v_pk_mul_f32 v[4:5], v[8:9], v[4:5]
	v_pk_mul_f32 v[8:9], v[8:9], v[12:13]
	v_dual_mov_b32 v12, v3 :: v_dual_mov_b32 v13, v2
	v_pk_mul_f32 v[10:11], v[16:17], v[10:11] op_sel:[1,0] op_sel_hi:[0,0]
	s_delay_alu instid0(VALU_DEP_4) | instskip(NEXT) | instid1(VALU_DEP_4)
	v_add_f32_e32 v4, v4, v5
	v_pk_add_f32 v[8:9], v[8:9], v[8:9] op_sel:[0,1] op_sel_hi:[0,1] neg_lo:[0,1] neg_hi:[0,1]
	s_delay_alu instid0(VALU_DEP_2) | instskip(NEXT) | instid1(VALU_DEP_4)
	v_pk_mul_f32 v[4:5], v[12:13], v[4:5] op_sel_hi:[1,0]
	v_pk_fma_f32 v[12:13], v[16:17], v[6:7], v[10:11] op_sel_hi:[1,0,1]
	v_pk_fma_f32 v[6:7], v[16:17], v[6:7], v[10:11] neg_lo:[0,0,1] neg_hi:[0,0,1]
	s_delay_alu instid0(VALU_DEP_3) | instskip(SKIP_1) | instid1(VALU_DEP_2)
	v_pk_fma_f32 v[20:21], v[2:3], v[8:9], v[4:5]
	v_pk_fma_f32 v[2:3], v[2:3], v[8:9], v[4:5] neg_lo:[0,0,1] neg_hi:[0,0,1]
	v_dual_mov_b32 v7, v13 :: v_dual_mov_b32 v3, v21
	s_delay_alu instid0(VALU_DEP_1) | instskip(SKIP_2) | instid1(SALU_CYCLE_1)
	v_pk_add_f32 v[4:5], v[6:7], v[2:3]
	s_or_b32 exec_lo, exec_lo, s1
	s_and_saveexec_b32 s0, vcc_lo
	s_xor_b32 s0, exec_lo, s0
	s_cbranch_execz .LBB156_16
.LBB156_21:
	v_mov_b32_e32 v0, v1
	global_store_b64 v30, v[24:25], s[4:5] scale_offset
	s_wait_xcnt 0x0
	s_or_b32 exec_lo, exec_lo, s0
	s_delay_alu instid0(SALU_CYCLE_1)
	s_mov_b32 s0, exec_lo
	v_cmpx_gt_i32_e64 s16, v0
	s_cbranch_execz .LBB156_17
.LBB156_22:
	v_add_nc_u32_e32 v1, s3, v0
	v_add_nc_u32_e32 v0, 0x100, v0
	global_store_b64 v1, v[18:19], s[4:5] scale_offset
	s_wait_xcnt 0x0
	s_or_b32 exec_lo, exec_lo, s0
	s_delay_alu instid0(SALU_CYCLE_1)
	s_mov_b32 s0, exec_lo
	v_cmpx_gt_i32_e64 s16, v0
	s_cbranch_execz .LBB156_18
.LBB156_23:
	v_add_nc_u32_e32 v1, s3, v0
	v_add_nc_u32_e32 v0, 0x100, v0
	global_store_b64 v1, v[14:15], s[4:5] scale_offset
	s_wait_xcnt 0x0
	s_or_b32 exec_lo, exec_lo, s0
	s_delay_alu instid0(SALU_CYCLE_1)
	s_mov_b32 s0, exec_lo
	v_cmpx_gt_i32_e64 s16, v0
	s_cbranch_execz .LBB156_19
.LBB156_24:
	v_add_nc_u32_e32 v0, s3, v0
	global_store_b64 v0, v[4:5], s[4:5] scale_offset
	s_endpgm
	.section	.rodata,"a",@progbits
	.p2align	6, 0x0
	.amdhsa_kernel _ZN2at6native27unrolled_elementwise_kernelIZZZNS0_12_GLOBAL__N_116addr_kernel_cudaERNS_14TensorIteratorERKN3c106ScalarES8_ENKUlvE_clEvENKUlvE7_clEvEUlNS5_7complexIfEESC_SC_E0_St5arrayIPcLm4EELi4E23TrivialOffsetCalculatorILi3EjESH_ILi1EjENS0_6memory15LoadWithoutCastENSK_16StoreWithoutCastEEEviT_T0_T2_T3_T4_T5_
		.amdhsa_group_segment_fixed_size 0
		.amdhsa_private_segment_fixed_size 0
		.amdhsa_kernarg_size 60
		.amdhsa_user_sgpr_count 2
		.amdhsa_user_sgpr_dispatch_ptr 0
		.amdhsa_user_sgpr_queue_ptr 0
		.amdhsa_user_sgpr_kernarg_segment_ptr 1
		.amdhsa_user_sgpr_dispatch_id 0
		.amdhsa_user_sgpr_kernarg_preload_length 0
		.amdhsa_user_sgpr_kernarg_preload_offset 0
		.amdhsa_user_sgpr_private_segment_size 0
		.amdhsa_wavefront_size32 1
		.amdhsa_uses_dynamic_stack 0
		.amdhsa_enable_private_segment 0
		.amdhsa_system_sgpr_workgroup_id_x 1
		.amdhsa_system_sgpr_workgroup_id_y 0
		.amdhsa_system_sgpr_workgroup_id_z 0
		.amdhsa_system_sgpr_workgroup_info 0
		.amdhsa_system_vgpr_workitem_id 0
		.amdhsa_next_free_vgpr 40
		.amdhsa_next_free_sgpr 17
		.amdhsa_named_barrier_count 0
		.amdhsa_reserve_vcc 1
		.amdhsa_float_round_mode_32 0
		.amdhsa_float_round_mode_16_64 0
		.amdhsa_float_denorm_mode_32 3
		.amdhsa_float_denorm_mode_16_64 3
		.amdhsa_fp16_overflow 0
		.amdhsa_memory_ordered 1
		.amdhsa_forward_progress 1
		.amdhsa_inst_pref_size 12
		.amdhsa_round_robin_scheduling 0
		.amdhsa_exception_fp_ieee_invalid_op 0
		.amdhsa_exception_fp_denorm_src 0
		.amdhsa_exception_fp_ieee_div_zero 0
		.amdhsa_exception_fp_ieee_overflow 0
		.amdhsa_exception_fp_ieee_underflow 0
		.amdhsa_exception_fp_ieee_inexact 0
		.amdhsa_exception_int_div_zero 0
	.end_amdhsa_kernel
	.section	.text._ZN2at6native27unrolled_elementwise_kernelIZZZNS0_12_GLOBAL__N_116addr_kernel_cudaERNS_14TensorIteratorERKN3c106ScalarES8_ENKUlvE_clEvENKUlvE7_clEvEUlNS5_7complexIfEESC_SC_E0_St5arrayIPcLm4EELi4E23TrivialOffsetCalculatorILi3EjESH_ILi1EjENS0_6memory15LoadWithoutCastENSK_16StoreWithoutCastEEEviT_T0_T2_T3_T4_T5_,"axG",@progbits,_ZN2at6native27unrolled_elementwise_kernelIZZZNS0_12_GLOBAL__N_116addr_kernel_cudaERNS_14TensorIteratorERKN3c106ScalarES8_ENKUlvE_clEvENKUlvE7_clEvEUlNS5_7complexIfEESC_SC_E0_St5arrayIPcLm4EELi4E23TrivialOffsetCalculatorILi3EjESH_ILi1EjENS0_6memory15LoadWithoutCastENSK_16StoreWithoutCastEEEviT_T0_T2_T3_T4_T5_,comdat
.Lfunc_end156:
	.size	_ZN2at6native27unrolled_elementwise_kernelIZZZNS0_12_GLOBAL__N_116addr_kernel_cudaERNS_14TensorIteratorERKN3c106ScalarES8_ENKUlvE_clEvENKUlvE7_clEvEUlNS5_7complexIfEESC_SC_E0_St5arrayIPcLm4EELi4E23TrivialOffsetCalculatorILi3EjESH_ILi1EjENS0_6memory15LoadWithoutCastENSK_16StoreWithoutCastEEEviT_T0_T2_T3_T4_T5_, .Lfunc_end156-_ZN2at6native27unrolled_elementwise_kernelIZZZNS0_12_GLOBAL__N_116addr_kernel_cudaERNS_14TensorIteratorERKN3c106ScalarES8_ENKUlvE_clEvENKUlvE7_clEvEUlNS5_7complexIfEESC_SC_E0_St5arrayIPcLm4EELi4E23TrivialOffsetCalculatorILi3EjESH_ILi1EjENS0_6memory15LoadWithoutCastENSK_16StoreWithoutCastEEEviT_T0_T2_T3_T4_T5_
                                        ; -- End function
	.set _ZN2at6native27unrolled_elementwise_kernelIZZZNS0_12_GLOBAL__N_116addr_kernel_cudaERNS_14TensorIteratorERKN3c106ScalarES8_ENKUlvE_clEvENKUlvE7_clEvEUlNS5_7complexIfEESC_SC_E0_St5arrayIPcLm4EELi4E23TrivialOffsetCalculatorILi3EjESH_ILi1EjENS0_6memory15LoadWithoutCastENSK_16StoreWithoutCastEEEviT_T0_T2_T3_T4_T5_.num_vgpr, 40
	.set _ZN2at6native27unrolled_elementwise_kernelIZZZNS0_12_GLOBAL__N_116addr_kernel_cudaERNS_14TensorIteratorERKN3c106ScalarES8_ENKUlvE_clEvENKUlvE7_clEvEUlNS5_7complexIfEESC_SC_E0_St5arrayIPcLm4EELi4E23TrivialOffsetCalculatorILi3EjESH_ILi1EjENS0_6memory15LoadWithoutCastENSK_16StoreWithoutCastEEEviT_T0_T2_T3_T4_T5_.num_agpr, 0
	.set _ZN2at6native27unrolled_elementwise_kernelIZZZNS0_12_GLOBAL__N_116addr_kernel_cudaERNS_14TensorIteratorERKN3c106ScalarES8_ENKUlvE_clEvENKUlvE7_clEvEUlNS5_7complexIfEESC_SC_E0_St5arrayIPcLm4EELi4E23TrivialOffsetCalculatorILi3EjESH_ILi1EjENS0_6memory15LoadWithoutCastENSK_16StoreWithoutCastEEEviT_T0_T2_T3_T4_T5_.numbered_sgpr, 17
	.set _ZN2at6native27unrolled_elementwise_kernelIZZZNS0_12_GLOBAL__N_116addr_kernel_cudaERNS_14TensorIteratorERKN3c106ScalarES8_ENKUlvE_clEvENKUlvE7_clEvEUlNS5_7complexIfEESC_SC_E0_St5arrayIPcLm4EELi4E23TrivialOffsetCalculatorILi3EjESH_ILi1EjENS0_6memory15LoadWithoutCastENSK_16StoreWithoutCastEEEviT_T0_T2_T3_T4_T5_.num_named_barrier, 0
	.set _ZN2at6native27unrolled_elementwise_kernelIZZZNS0_12_GLOBAL__N_116addr_kernel_cudaERNS_14TensorIteratorERKN3c106ScalarES8_ENKUlvE_clEvENKUlvE7_clEvEUlNS5_7complexIfEESC_SC_E0_St5arrayIPcLm4EELi4E23TrivialOffsetCalculatorILi3EjESH_ILi1EjENS0_6memory15LoadWithoutCastENSK_16StoreWithoutCastEEEviT_T0_T2_T3_T4_T5_.private_seg_size, 0
	.set _ZN2at6native27unrolled_elementwise_kernelIZZZNS0_12_GLOBAL__N_116addr_kernel_cudaERNS_14TensorIteratorERKN3c106ScalarES8_ENKUlvE_clEvENKUlvE7_clEvEUlNS5_7complexIfEESC_SC_E0_St5arrayIPcLm4EELi4E23TrivialOffsetCalculatorILi3EjESH_ILi1EjENS0_6memory15LoadWithoutCastENSK_16StoreWithoutCastEEEviT_T0_T2_T3_T4_T5_.uses_vcc, 1
	.set _ZN2at6native27unrolled_elementwise_kernelIZZZNS0_12_GLOBAL__N_116addr_kernel_cudaERNS_14TensorIteratorERKN3c106ScalarES8_ENKUlvE_clEvENKUlvE7_clEvEUlNS5_7complexIfEESC_SC_E0_St5arrayIPcLm4EELi4E23TrivialOffsetCalculatorILi3EjESH_ILi1EjENS0_6memory15LoadWithoutCastENSK_16StoreWithoutCastEEEviT_T0_T2_T3_T4_T5_.uses_flat_scratch, 0
	.set _ZN2at6native27unrolled_elementwise_kernelIZZZNS0_12_GLOBAL__N_116addr_kernel_cudaERNS_14TensorIteratorERKN3c106ScalarES8_ENKUlvE_clEvENKUlvE7_clEvEUlNS5_7complexIfEESC_SC_E0_St5arrayIPcLm4EELi4E23TrivialOffsetCalculatorILi3EjESH_ILi1EjENS0_6memory15LoadWithoutCastENSK_16StoreWithoutCastEEEviT_T0_T2_T3_T4_T5_.has_dyn_sized_stack, 0
	.set _ZN2at6native27unrolled_elementwise_kernelIZZZNS0_12_GLOBAL__N_116addr_kernel_cudaERNS_14TensorIteratorERKN3c106ScalarES8_ENKUlvE_clEvENKUlvE7_clEvEUlNS5_7complexIfEESC_SC_E0_St5arrayIPcLm4EELi4E23TrivialOffsetCalculatorILi3EjESH_ILi1EjENS0_6memory15LoadWithoutCastENSK_16StoreWithoutCastEEEviT_T0_T2_T3_T4_T5_.has_recursion, 0
	.set _ZN2at6native27unrolled_elementwise_kernelIZZZNS0_12_GLOBAL__N_116addr_kernel_cudaERNS_14TensorIteratorERKN3c106ScalarES8_ENKUlvE_clEvENKUlvE7_clEvEUlNS5_7complexIfEESC_SC_E0_St5arrayIPcLm4EELi4E23TrivialOffsetCalculatorILi3EjESH_ILi1EjENS0_6memory15LoadWithoutCastENSK_16StoreWithoutCastEEEviT_T0_T2_T3_T4_T5_.has_indirect_call, 0
	.section	.AMDGPU.csdata,"",@progbits
; Kernel info:
; codeLenInByte = 1508
; TotalNumSgprs: 19
; NumVgprs: 40
; ScratchSize: 0
; MemoryBound: 0
; FloatMode: 240
; IeeeMode: 1
; LDSByteSize: 0 bytes/workgroup (compile time only)
; SGPRBlocks: 0
; VGPRBlocks: 2
; NumSGPRsForWavesPerEU: 19
; NumVGPRsForWavesPerEU: 40
; NamedBarCnt: 0
; Occupancy: 16
; WaveLimiterHint : 0
; COMPUTE_PGM_RSRC2:SCRATCH_EN: 0
; COMPUTE_PGM_RSRC2:USER_SGPR: 2
; COMPUTE_PGM_RSRC2:TRAP_HANDLER: 0
; COMPUTE_PGM_RSRC2:TGID_X_EN: 1
; COMPUTE_PGM_RSRC2:TGID_Y_EN: 0
; COMPUTE_PGM_RSRC2:TGID_Z_EN: 0
; COMPUTE_PGM_RSRC2:TIDIG_COMP_CNT: 0
	.section	.text._ZN2at6native32elementwise_kernel_manual_unrollILi128ELi4EZNS0_22gpu_kernel_impl_nocastIZZZNS0_12_GLOBAL__N_116addr_kernel_cudaERNS_14TensorIteratorERKN3c106ScalarES9_ENKUlvE_clEvENKUlvE7_clEvEUlNS6_7complexIfEESD_SD_E0_EEvRNS_18TensorIteratorBaseERKT_EUlibE_EEviT1_,"axG",@progbits,_ZN2at6native32elementwise_kernel_manual_unrollILi128ELi4EZNS0_22gpu_kernel_impl_nocastIZZZNS0_12_GLOBAL__N_116addr_kernel_cudaERNS_14TensorIteratorERKN3c106ScalarES9_ENKUlvE_clEvENKUlvE7_clEvEUlNS6_7complexIfEESD_SD_E0_EEvRNS_18TensorIteratorBaseERKT_EUlibE_EEviT1_,comdat
	.globl	_ZN2at6native32elementwise_kernel_manual_unrollILi128ELi4EZNS0_22gpu_kernel_impl_nocastIZZZNS0_12_GLOBAL__N_116addr_kernel_cudaERNS_14TensorIteratorERKN3c106ScalarES9_ENKUlvE_clEvENKUlvE7_clEvEUlNS6_7complexIfEESD_SD_E0_EEvRNS_18TensorIteratorBaseERKT_EUlibE_EEviT1_ ; -- Begin function _ZN2at6native32elementwise_kernel_manual_unrollILi128ELi4EZNS0_22gpu_kernel_impl_nocastIZZZNS0_12_GLOBAL__N_116addr_kernel_cudaERNS_14TensorIteratorERKN3c106ScalarES9_ENKUlvE_clEvENKUlvE7_clEvEUlNS6_7complexIfEESD_SD_E0_EEvRNS_18TensorIteratorBaseERKT_EUlibE_EEviT1_
	.p2align	8
	.type	_ZN2at6native32elementwise_kernel_manual_unrollILi128ELi4EZNS0_22gpu_kernel_impl_nocastIZZZNS0_12_GLOBAL__N_116addr_kernel_cudaERNS_14TensorIteratorERKN3c106ScalarES9_ENKUlvE_clEvENKUlvE7_clEvEUlNS6_7complexIfEESD_SD_E0_EEvRNS_18TensorIteratorBaseERKT_EUlibE_EEviT1_,@function
_ZN2at6native32elementwise_kernel_manual_unrollILi128ELi4EZNS0_22gpu_kernel_impl_nocastIZZZNS0_12_GLOBAL__N_116addr_kernel_cudaERNS_14TensorIteratorERKN3c106ScalarES9_ENKUlvE_clEvENKUlvE7_clEvEUlNS6_7complexIfEESD_SD_E0_EEvRNS_18TensorIteratorBaseERKT_EUlibE_EEviT1_: ; @_ZN2at6native32elementwise_kernel_manual_unrollILi128ELi4EZNS0_22gpu_kernel_impl_nocastIZZZNS0_12_GLOBAL__N_116addr_kernel_cudaERNS_14TensorIteratorERKN3c106ScalarES9_ENKUlvE_clEvENKUlvE7_clEvEUlNS6_7complexIfEESD_SD_E0_EEvRNS_18TensorIteratorBaseERKT_EUlibE_EEviT1_
; %bb.0:
	s_clause 0x1
	s_load_b32 s33, s[0:1], 0x8
	s_load_b32 s43, s[0:1], 0x0
	s_bfe_u32 s2, ttmp6, 0x4000c
	s_and_b32 s3, ttmp6, 15
	s_add_co_i32 s2, s2, 1
	s_getreg_b32 s4, hwreg(HW_REG_IB_STS2, 6, 4)
	s_mul_i32 s2, ttmp9, s2
	s_add_nc_u64 s[24:25], s[0:1], 8
	s_add_co_i32 s3, s3, s2
	s_cmp_eq_u32 s4, 0
	s_mov_b32 s8, 0
	s_cselect_b32 s2, ttmp9, s3
                                        ; implicit-def: $vgpr1
                                        ; implicit-def: $vgpr4_vgpr5
	s_wait_xcnt 0x0
	s_mov_b32 s0, exec_lo
	v_lshl_or_b32 v0, s2, 9, v0
	s_delay_alu instid0(VALU_DEP_1) | instskip(SKIP_2) | instid1(SALU_CYCLE_1)
	v_or_b32_e32 v6, 0x180, v0
	s_wait_kmcnt 0x0
	s_add_co_i32 s38, s33, -1
	s_cmp_gt_u32 s38, 1
	s_cselect_b32 s39, -1, 0
	v_cmpx_le_i32_e64 s43, v6
	s_xor_b32 s40, exec_lo, s0
	s_cbranch_execnz .LBB157_4
; %bb.1:
	s_and_not1_saveexec_b32 s9, s40
	s_cbranch_execnz .LBB157_57
.LBB157_2:
	s_or_b32 exec_lo, exec_lo, s9
	s_and_saveexec_b32 s0, s8
	s_cbranch_execnz .LBB157_102
.LBB157_3:
	s_endpgm
.LBB157_4:
	s_clause 0x4
	s_load_b128 s[20:23], s[24:25], 0x4
	s_load_b64 s[26:27], s[24:25], 0x14
	s_load_b256 s[8:15], s[24:25], 0xc4
	s_load_b128 s[16:19], s[24:25], 0x1e8
	s_load_b256 s[0:7], s[24:25], 0x1c8
	s_cmp_lg_u32 s33, 0
	s_mov_b32 s31, 0
	s_cselect_b32 s44, -1, 0
	s_min_u32 s42, s38, 15
	s_cmp_gt_u32 s33, 1
	s_mov_b32 s29, s31
	s_cselect_b32 s41, -1, 0
	s_wait_kmcnt 0x0
	s_mov_b32 s30, s21
	s_mov_b32 s28, s26
	s_mov_b32 s21, exec_lo
	v_cmpx_gt_i32_e64 s43, v0
	s_cbranch_execnz .LBB157_7
; %bb.5:
	s_or_b32 exec_lo, exec_lo, s21
	s_delay_alu instid0(SALU_CYCLE_1)
	s_mov_b32 s21, exec_lo
	v_cmpx_gt_i32_e64 s43, v0
	s_cbranch_execnz .LBB157_19
.LBB157_6:
	s_or_b32 exec_lo, exec_lo, s21
	s_delay_alu instid0(SALU_CYCLE_1)
	s_mov_b32 s21, exec_lo
	v_cmpx_gt_i32_e64 s43, v0
	s_cbranch_execnz .LBB157_31
	s_branch .LBB157_43
.LBB157_7:
	s_and_not1_b32 vcc_lo, exec_lo, s39
	s_cbranch_vccnz .LBB157_13
; %bb.8:
	s_and_not1_b32 vcc_lo, exec_lo, s44
	s_cbranch_vccnz .LBB157_14
; %bb.9:
	v_dual_mov_b32 v6, 0 :: v_dual_mov_b32 v1, v0
	v_dual_mov_b32 v7, 0 :: v_dual_mov_b32 v4, 0
	v_mov_b32_e32 v5, 0
	s_add_co_i32 s26, s42, 1
	s_mov_b64 s[34:35], 0xffffffffffffffe0
	s_and_b32 s26, s26, 30
	s_add_nc_u64 s[34:35], s[24:25], s[34:35]
	s_mov_b64 s[36:37], s[24:25]
.LBB157_10:                             ; =>This Inner Loop Header: Depth=1
	s_clause 0x1
	s_load_b128 s[56:59], s[36:37], 0x4
	s_load_b64 s[46:47], s[36:37], 0x14
	s_load_b256 s[48:55], s[34:35], 0xe4
	s_add_co_i32 s26, s26, -2
	s_wait_xcnt 0x0
	s_add_nc_u64 s[36:37], s[36:37], 24
	s_cmp_lg_u32 s26, 0
	s_add_nc_u64 s[34:35], s[34:35], 32
	s_wait_kmcnt 0x0
	v_mul_hi_u32 v2, s57, v1
	s_delay_alu instid0(VALU_DEP_1) | instskip(NEXT) | instid1(VALU_DEP_1)
	v_add_nc_u32_e32 v2, v1, v2
	v_lshrrev_b32_e32 v2, s58, v2
	s_delay_alu instid0(VALU_DEP_1) | instskip(SKIP_1) | instid1(VALU_DEP_1)
	v_mul_hi_u32 v3, s46, v2
	v_mul_lo_u32 v8, v2, s56
	v_dual_add_nc_u32 v3, v2, v3 :: v_dual_sub_nc_u32 v8, v1, v8
	s_delay_alu instid0(VALU_DEP_1) | instskip(NEXT) | instid1(VALU_DEP_2)
	v_lshrrev_b32_e32 v1, s47, v3
	v_mad_u32 v5, v8, s49, v5
	v_mad_u32 v4, v8, s48, v4
	;; [unrolled: 1-line block ×4, first 2 shown]
	v_mul_lo_u32 v3, v1, s59
	s_delay_alu instid0(VALU_DEP_1) | instskip(NEXT) | instid1(VALU_DEP_1)
	v_sub_nc_u32_e32 v2, v2, v3
	v_mad_u32 v5, v2, s53, v5
	v_mad_u32 v4, v2, s52, v4
	v_mad_u32 v7, v2, s55, v7
	v_mad_u32 v6, v2, s54, v6
	s_cbranch_scc1 .LBB157_10
; %bb.11:
	s_bitcmp1_b32 s42, 0
	s_cselect_b32 s26, -1, 0
	s_delay_alu instid0(SALU_CYCLE_1)
	s_and_b32 vcc_lo, exec_lo, s26
	s_cbranch_vccnz .LBB157_15
; %bb.12:
	s_load_b96 s[52:54], s[36:37], 0x4
	s_load_b128 s[48:51], s[34:35], 0xe4
	s_wait_kmcnt 0x0
	v_mul_hi_u32 v2, s53, v1
	s_delay_alu instid0(VALU_DEP_1) | instskip(NEXT) | instid1(VALU_DEP_1)
	v_add_nc_u32_e32 v2, v1, v2
	v_lshrrev_b32_e32 v2, s54, v2
	s_delay_alu instid0(VALU_DEP_1) | instskip(NEXT) | instid1(VALU_DEP_1)
	v_mul_lo_u32 v2, v2, s52
	v_sub_nc_u32_e32 v1, v1, v2
	s_delay_alu instid0(VALU_DEP_1)
	v_mad_u32 v4, v1, s48, v4
	v_mad_u32 v5, v1, s49, v5
	;; [unrolled: 1-line block ×4, first 2 shown]
	s_cbranch_execz .LBB157_16
	s_branch .LBB157_18
.LBB157_13:
                                        ; implicit-def: $vgpr5
                                        ; implicit-def: $vgpr4
                                        ; implicit-def: $vgpr7
                                        ; implicit-def: $vgpr6
	s_branch .LBB157_16
.LBB157_14:
	v_dual_mov_b32 v5, 0 :: v_dual_mov_b32 v4, 0
	v_dual_mov_b32 v7, 0 :: v_dual_mov_b32 v6, 0
.LBB157_15:
	s_cbranch_execnz .LBB157_18
.LBB157_16:
	v_mov_b32_e32 v1, 0
	s_and_not1_b32 vcc_lo, exec_lo, s41
	s_delay_alu instid0(VALU_DEP_1) | instskip(NEXT) | instid1(VALU_DEP_1)
	v_mul_u64_e32 v[2:3], s[30:31], v[0:1]
	v_add_nc_u32_e32 v2, v0, v3
	s_delay_alu instid0(VALU_DEP_1) | instskip(NEXT) | instid1(VALU_DEP_1)
	v_lshrrev_b32_e32 v2, s22, v2
	v_mul_lo_u32 v3, v2, s20
	s_delay_alu instid0(VALU_DEP_1) | instskip(NEXT) | instid1(VALU_DEP_1)
	v_sub_nc_u32_e32 v3, v0, v3
	v_mul_lo_u32 v5, v3, s9
	v_mul_lo_u32 v4, v3, s8
	;; [unrolled: 1-line block ×4, first 2 shown]
	s_cbranch_vccnz .LBB157_18
; %bb.17:
	v_mov_b32_e32 v3, v1
	s_delay_alu instid0(VALU_DEP_1) | instskip(NEXT) | instid1(VALU_DEP_1)
	v_mul_u64_e32 v[8:9], s[28:29], v[2:3]
	v_add_nc_u32_e32 v1, v2, v9
	s_delay_alu instid0(VALU_DEP_1) | instskip(NEXT) | instid1(VALU_DEP_1)
	v_lshrrev_b32_e32 v1, s27, v1
	v_mul_lo_u32 v1, v1, s23
	s_delay_alu instid0(VALU_DEP_1) | instskip(NEXT) | instid1(VALU_DEP_1)
	v_sub_nc_u32_e32 v1, v2, v1
	v_mad_u32 v4, v1, s12, v4
	v_mad_u32 v5, v1, s13, v5
	;; [unrolled: 1-line block ×4, first 2 shown]
.LBB157_18:
	global_load_b64 v[2:3], v6, s[4:5]
	global_load_b64 v[8:9], v5, s[2:3]
	global_load_b64 v[10:11], v7, s[6:7]
	s_wait_xcnt 0x0
	v_mov_b64_e32 v[6:7], s[18:19]
	s_mov_b32 s26, s17
	v_mov_b64_e32 v[14:15], s[16:17]
	v_add_nc_u32_e32 v0, 0x80, v0
	s_wait_loadcnt 0x2
	s_delay_alu instid0(VALU_DEP_3) | instskip(SKIP_1) | instid1(VALU_DEP_2)
	v_pk_mul_f32 v[12:13], v[2:3], v[6:7] op_sel:[0,1] op_sel_hi:[1,0]
	v_pk_mul_f32 v[2:3], v[2:3], v[6:7]
	v_add_f32_e32 v6, v12, v13
	s_wait_loadcnt 0x1
	v_pk_mul_f32 v[12:13], v[8:9], s[26:27] op_sel:[1,0] op_sel_hi:[0,0]
	s_delay_alu instid0(VALU_DEP_3) | instskip(NEXT) | instid1(VALU_DEP_2)
	v_pk_add_f32 v[2:3], v[2:3], v[2:3] op_sel:[0,1] op_sel_hi:[0,1] neg_lo:[0,1] neg_hi:[0,1]
	v_pk_fma_f32 v[16:17], v[8:9], s[16:17], v[12:13] op_sel_hi:[1,0,1]
	v_pk_fma_f32 v[8:9], v[8:9], v[14:15], v[12:13] neg_lo:[0,0,1] neg_hi:[0,0,1]
	s_delay_alu instid0(VALU_DEP_2) | instskip(SKIP_2) | instid1(VALU_DEP_1)
	v_mov_b32_e32 v9, v17
	s_wait_loadcnt 0x0
	v_pk_mul_f32 v[6:7], v[6:7], v[10:11] op_sel:[0,1] op_sel_hi:[0,0]
	v_pk_fma_f32 v[18:19], v[2:3], v[10:11], v[6:7]
	v_pk_fma_f32 v[2:3], v[2:3], v[10:11], v[6:7] neg_lo:[0,0,1] neg_hi:[0,0,1]
	s_delay_alu instid0(VALU_DEP_2) | instskip(NEXT) | instid1(VALU_DEP_1)
	v_mov_b32_e32 v3, v19
	v_pk_add_f32 v[2:3], v[8:9], v[2:3]
	global_store_b64 v4, v[2:3], s[0:1]
	s_wait_xcnt 0x0
	s_or_b32 exec_lo, exec_lo, s21
	s_delay_alu instid0(SALU_CYCLE_1)
	s_mov_b32 s21, exec_lo
	v_cmpx_gt_i32_e64 s43, v0
	s_cbranch_execz .LBB157_6
.LBB157_19:
	s_and_not1_b32 vcc_lo, exec_lo, s39
	s_cbranch_vccnz .LBB157_25
; %bb.20:
	s_and_not1_b32 vcc_lo, exec_lo, s44
	s_cbranch_vccnz .LBB157_26
; %bb.21:
	v_dual_mov_b32 v5, 0 :: v_dual_mov_b32 v1, v0
	v_dual_mov_b32 v7, 0 :: v_dual_mov_b32 v4, 0
	v_mov_b32_e32 v6, 0
	s_add_co_i32 s26, s42, 1
	s_mov_b64 s[34:35], 0xffffffffffffffe0
	s_and_b32 s26, s26, 30
	s_add_nc_u64 s[34:35], s[24:25], s[34:35]
	s_mov_b64 s[36:37], s[24:25]
.LBB157_22:                             ; =>This Inner Loop Header: Depth=1
	s_clause 0x1
	s_load_b128 s[56:59], s[36:37], 0x4
	s_load_b64 s[46:47], s[36:37], 0x14
	s_load_b256 s[48:55], s[34:35], 0xe4
	s_add_co_i32 s26, s26, -2
	s_wait_xcnt 0x0
	s_add_nc_u64 s[36:37], s[36:37], 24
	s_cmp_eq_u32 s26, 0
	s_add_nc_u64 s[34:35], s[34:35], 32
	s_wait_kmcnt 0x0
	v_mul_hi_u32 v2, s57, v1
	s_delay_alu instid0(VALU_DEP_1) | instskip(NEXT) | instid1(VALU_DEP_1)
	v_add_nc_u32_e32 v2, v1, v2
	v_lshrrev_b32_e32 v2, s58, v2
	s_delay_alu instid0(VALU_DEP_1) | instskip(SKIP_1) | instid1(VALU_DEP_1)
	v_mul_hi_u32 v3, s46, v2
	v_mul_lo_u32 v8, v2, s56
	v_dual_add_nc_u32 v3, v2, v3 :: v_dual_sub_nc_u32 v8, v1, v8
	s_delay_alu instid0(VALU_DEP_1) | instskip(NEXT) | instid1(VALU_DEP_2)
	v_lshrrev_b32_e32 v1, s47, v3
	v_mad_u32 v6, v8, s49, v6
	v_mad_u32 v4, v8, s48, v4
	;; [unrolled: 1-line block ×4, first 2 shown]
	v_mul_lo_u32 v3, v1, s59
	s_delay_alu instid0(VALU_DEP_1) | instskip(NEXT) | instid1(VALU_DEP_1)
	v_sub_nc_u32_e32 v2, v2, v3
	v_mad_u32 v6, v2, s53, v6
	v_mad_u32 v4, v2, s52, v4
	v_mad_u32 v7, v2, s55, v7
	v_mad_u32 v5, v2, s54, v5
	s_cbranch_scc0 .LBB157_22
; %bb.23:
	s_bitcmp1_b32 s42, 0
	s_cselect_b32 s26, -1, 0
	s_delay_alu instid0(SALU_CYCLE_1)
	s_and_b32 vcc_lo, exec_lo, s26
	s_cbranch_vccnz .LBB157_27
; %bb.24:
	s_load_b96 s[52:54], s[36:37], 0x4
	s_load_b128 s[48:51], s[34:35], 0xe4
	s_wait_kmcnt 0x0
	v_mul_hi_u32 v2, s53, v1
	s_delay_alu instid0(VALU_DEP_1) | instskip(NEXT) | instid1(VALU_DEP_1)
	v_add_nc_u32_e32 v2, v1, v2
	v_lshrrev_b32_e32 v2, s54, v2
	s_delay_alu instid0(VALU_DEP_1) | instskip(NEXT) | instid1(VALU_DEP_1)
	v_mul_lo_u32 v2, v2, s52
	v_sub_nc_u32_e32 v1, v1, v2
	s_delay_alu instid0(VALU_DEP_1)
	v_mad_u32 v4, v1, s48, v4
	v_mad_u32 v6, v1, s49, v6
	;; [unrolled: 1-line block ×4, first 2 shown]
	s_branch .LBB157_27
.LBB157_25:
                                        ; implicit-def: $vgpr6
                                        ; implicit-def: $vgpr4
                                        ; implicit-def: $vgpr7
                                        ; implicit-def: $vgpr5
	s_branch .LBB157_28
.LBB157_26:
	v_dual_mov_b32 v6, 0 :: v_dual_mov_b32 v4, 0
	v_dual_mov_b32 v7, 0 :: v_dual_mov_b32 v5, 0
.LBB157_27:
	s_cbranch_execnz .LBB157_30
.LBB157_28:
	v_mov_b32_e32 v1, 0
	s_and_not1_b32 vcc_lo, exec_lo, s41
	s_delay_alu instid0(VALU_DEP_1) | instskip(NEXT) | instid1(VALU_DEP_1)
	v_mul_u64_e32 v[2:3], s[30:31], v[0:1]
	v_add_nc_u32_e32 v2, v0, v3
	s_delay_alu instid0(VALU_DEP_1) | instskip(NEXT) | instid1(VALU_DEP_1)
	v_lshrrev_b32_e32 v2, s22, v2
	v_mul_lo_u32 v3, v2, s20
	s_delay_alu instid0(VALU_DEP_1) | instskip(NEXT) | instid1(VALU_DEP_1)
	v_sub_nc_u32_e32 v3, v0, v3
	v_mul_lo_u32 v6, v3, s9
	v_mul_lo_u32 v4, v3, s8
	;; [unrolled: 1-line block ×4, first 2 shown]
	s_cbranch_vccnz .LBB157_30
; %bb.29:
	v_mov_b32_e32 v3, v1
	s_delay_alu instid0(VALU_DEP_1) | instskip(NEXT) | instid1(VALU_DEP_1)
	v_mul_u64_e32 v[8:9], s[28:29], v[2:3]
	v_add_nc_u32_e32 v1, v2, v9
	s_delay_alu instid0(VALU_DEP_1) | instskip(NEXT) | instid1(VALU_DEP_1)
	v_lshrrev_b32_e32 v1, s27, v1
	v_mul_lo_u32 v1, v1, s23
	s_delay_alu instid0(VALU_DEP_1) | instskip(NEXT) | instid1(VALU_DEP_1)
	v_sub_nc_u32_e32 v1, v2, v1
	v_mad_u32 v4, v1, s12, v4
	v_mad_u32 v6, v1, s13, v6
	;; [unrolled: 1-line block ×4, first 2 shown]
.LBB157_30:
	global_load_b64 v[2:3], v5, s[4:5]
	global_load_b64 v[8:9], v6, s[2:3]
	;; [unrolled: 1-line block ×3, first 2 shown]
	s_wait_xcnt 0x0
	v_mov_b64_e32 v[6:7], s[18:19]
	s_mov_b32 s26, s17
	v_mov_b64_e32 v[14:15], s[16:17]
	v_add_nc_u32_e32 v0, 0x80, v0
	s_wait_loadcnt 0x2
	s_delay_alu instid0(VALU_DEP_3) | instskip(SKIP_1) | instid1(VALU_DEP_2)
	v_pk_mul_f32 v[12:13], v[2:3], v[6:7] op_sel:[0,1] op_sel_hi:[1,0]
	v_pk_mul_f32 v[2:3], v[2:3], v[6:7]
	v_add_f32_e32 v6, v12, v13
	s_wait_loadcnt 0x1
	v_pk_mul_f32 v[12:13], v[8:9], s[26:27] op_sel:[1,0] op_sel_hi:[0,0]
	s_delay_alu instid0(VALU_DEP_3) | instskip(NEXT) | instid1(VALU_DEP_2)
	v_pk_add_f32 v[2:3], v[2:3], v[2:3] op_sel:[0,1] op_sel_hi:[0,1] neg_lo:[0,1] neg_hi:[0,1]
	v_pk_fma_f32 v[16:17], v[8:9], s[16:17], v[12:13] op_sel_hi:[1,0,1]
	v_pk_fma_f32 v[8:9], v[8:9], v[14:15], v[12:13] neg_lo:[0,0,1] neg_hi:[0,0,1]
	s_delay_alu instid0(VALU_DEP_2) | instskip(SKIP_2) | instid1(VALU_DEP_1)
	v_mov_b32_e32 v9, v17
	s_wait_loadcnt 0x0
	v_pk_mul_f32 v[6:7], v[6:7], v[10:11] op_sel:[0,1] op_sel_hi:[0,0]
	v_pk_fma_f32 v[18:19], v[2:3], v[10:11], v[6:7]
	v_pk_fma_f32 v[2:3], v[2:3], v[10:11], v[6:7] neg_lo:[0,0,1] neg_hi:[0,0,1]
	s_delay_alu instid0(VALU_DEP_2) | instskip(NEXT) | instid1(VALU_DEP_1)
	v_mov_b32_e32 v3, v19
	v_pk_add_f32 v[2:3], v[8:9], v[2:3]
	global_store_b64 v4, v[2:3], s[0:1]
	s_wait_xcnt 0x0
	s_or_b32 exec_lo, exec_lo, s21
	s_delay_alu instid0(SALU_CYCLE_1)
	s_mov_b32 s21, exec_lo
	v_cmpx_gt_i32_e64 s43, v0
	s_cbranch_execz .LBB157_43
.LBB157_31:
	s_and_not1_b32 vcc_lo, exec_lo, s39
	s_cbranch_vccnz .LBB157_37
; %bb.32:
	s_and_not1_b32 vcc_lo, exec_lo, s44
	s_cbranch_vccnz .LBB157_38
; %bb.33:
	v_dual_mov_b32 v6, 0 :: v_dual_mov_b32 v1, v0
	v_dual_mov_b32 v7, 0 :: v_dual_mov_b32 v4, 0
	v_mov_b32_e32 v5, 0
	s_add_co_i32 s26, s42, 1
	s_mov_b64 s[34:35], 0xffffffffffffffe0
	s_and_b32 s26, s26, 30
	s_add_nc_u64 s[34:35], s[24:25], s[34:35]
	s_mov_b64 s[36:37], s[24:25]
.LBB157_34:                             ; =>This Inner Loop Header: Depth=1
	s_clause 0x1
	s_load_b128 s[56:59], s[36:37], 0x4
	s_load_b64 s[46:47], s[36:37], 0x14
	s_load_b256 s[48:55], s[34:35], 0xe4
	s_add_co_i32 s26, s26, -2
	s_wait_xcnt 0x0
	s_add_nc_u64 s[36:37], s[36:37], 24
	s_cmp_eq_u32 s26, 0
	s_add_nc_u64 s[34:35], s[34:35], 32
	s_wait_kmcnt 0x0
	v_mul_hi_u32 v2, s57, v1
	s_delay_alu instid0(VALU_DEP_1) | instskip(NEXT) | instid1(VALU_DEP_1)
	v_add_nc_u32_e32 v2, v1, v2
	v_lshrrev_b32_e32 v2, s58, v2
	s_delay_alu instid0(VALU_DEP_1) | instskip(SKIP_1) | instid1(VALU_DEP_1)
	v_mul_hi_u32 v3, s46, v2
	v_mul_lo_u32 v8, v2, s56
	v_dual_add_nc_u32 v3, v2, v3 :: v_dual_sub_nc_u32 v8, v1, v8
	s_delay_alu instid0(VALU_DEP_1) | instskip(NEXT) | instid1(VALU_DEP_2)
	v_lshrrev_b32_e32 v1, s47, v3
	v_mad_u32 v5, v8, s49, v5
	v_mad_u32 v4, v8, s48, v4
	;; [unrolled: 1-line block ×4, first 2 shown]
	v_mul_lo_u32 v3, v1, s59
	s_delay_alu instid0(VALU_DEP_1) | instskip(NEXT) | instid1(VALU_DEP_1)
	v_sub_nc_u32_e32 v2, v2, v3
	v_mad_u32 v5, v2, s53, v5
	v_mad_u32 v4, v2, s52, v4
	;; [unrolled: 1-line block ×4, first 2 shown]
	s_cbranch_scc0 .LBB157_34
; %bb.35:
	s_bitcmp1_b32 s42, 0
	s_cselect_b32 s26, -1, 0
	s_delay_alu instid0(SALU_CYCLE_1)
	s_and_b32 vcc_lo, exec_lo, s26
	s_cbranch_vccnz .LBB157_39
; %bb.36:
	s_load_b96 s[52:54], s[36:37], 0x4
	s_load_b128 s[48:51], s[34:35], 0xe4
	s_wait_kmcnt 0x0
	v_mul_hi_u32 v2, s53, v1
	s_delay_alu instid0(VALU_DEP_1) | instskip(NEXT) | instid1(VALU_DEP_1)
	v_add_nc_u32_e32 v2, v1, v2
	v_lshrrev_b32_e32 v2, s54, v2
	s_delay_alu instid0(VALU_DEP_1) | instskip(NEXT) | instid1(VALU_DEP_1)
	v_mul_lo_u32 v2, v2, s52
	v_sub_nc_u32_e32 v1, v1, v2
	s_delay_alu instid0(VALU_DEP_1)
	v_mad_u32 v4, v1, s48, v4
	v_mad_u32 v5, v1, s49, v5
	;; [unrolled: 1-line block ×4, first 2 shown]
	s_branch .LBB157_39
.LBB157_37:
                                        ; implicit-def: $vgpr5
                                        ; implicit-def: $vgpr4
                                        ; implicit-def: $vgpr7
                                        ; implicit-def: $vgpr6
	s_branch .LBB157_40
.LBB157_38:
	v_dual_mov_b32 v5, 0 :: v_dual_mov_b32 v4, 0
	v_dual_mov_b32 v7, 0 :: v_dual_mov_b32 v6, 0
.LBB157_39:
	s_cbranch_execnz .LBB157_42
.LBB157_40:
	v_mov_b32_e32 v1, 0
	s_and_not1_b32 vcc_lo, exec_lo, s41
	s_delay_alu instid0(VALU_DEP_1) | instskip(NEXT) | instid1(VALU_DEP_1)
	v_mul_u64_e32 v[2:3], s[30:31], v[0:1]
	v_add_nc_u32_e32 v2, v0, v3
	s_delay_alu instid0(VALU_DEP_1) | instskip(NEXT) | instid1(VALU_DEP_1)
	v_lshrrev_b32_e32 v2, s22, v2
	v_mul_lo_u32 v3, v2, s20
	s_delay_alu instid0(VALU_DEP_1) | instskip(NEXT) | instid1(VALU_DEP_1)
	v_sub_nc_u32_e32 v3, v0, v3
	v_mul_lo_u32 v5, v3, s9
	v_mul_lo_u32 v4, v3, s8
	;; [unrolled: 1-line block ×4, first 2 shown]
	s_cbranch_vccnz .LBB157_42
; %bb.41:
	v_mov_b32_e32 v3, v1
	s_delay_alu instid0(VALU_DEP_1) | instskip(NEXT) | instid1(VALU_DEP_1)
	v_mul_u64_e32 v[8:9], s[28:29], v[2:3]
	v_add_nc_u32_e32 v1, v2, v9
	s_delay_alu instid0(VALU_DEP_1) | instskip(NEXT) | instid1(VALU_DEP_1)
	v_lshrrev_b32_e32 v1, s27, v1
	v_mul_lo_u32 v1, v1, s23
	s_delay_alu instid0(VALU_DEP_1) | instskip(NEXT) | instid1(VALU_DEP_1)
	v_sub_nc_u32_e32 v1, v2, v1
	v_mad_u32 v4, v1, s12, v4
	v_mad_u32 v5, v1, s13, v5
	;; [unrolled: 1-line block ×4, first 2 shown]
.LBB157_42:
	global_load_b64 v[2:3], v6, s[4:5]
	global_load_b64 v[8:9], v5, s[2:3]
	;; [unrolled: 1-line block ×3, first 2 shown]
	s_wait_xcnt 0x0
	v_mov_b64_e32 v[6:7], s[18:19]
	s_mov_b32 s26, s17
	v_mov_b64_e32 v[14:15], s[16:17]
	v_add_nc_u32_e32 v0, 0x80, v0
	s_wait_loadcnt 0x2
	s_delay_alu instid0(VALU_DEP_3) | instskip(SKIP_1) | instid1(VALU_DEP_2)
	v_pk_mul_f32 v[12:13], v[2:3], v[6:7] op_sel:[0,1] op_sel_hi:[1,0]
	v_pk_mul_f32 v[2:3], v[2:3], v[6:7]
	v_add_f32_e32 v6, v12, v13
	s_wait_loadcnt 0x1
	v_pk_mul_f32 v[12:13], v[8:9], s[26:27] op_sel:[1,0] op_sel_hi:[0,0]
	s_delay_alu instid0(VALU_DEP_3) | instskip(NEXT) | instid1(VALU_DEP_2)
	v_pk_add_f32 v[2:3], v[2:3], v[2:3] op_sel:[0,1] op_sel_hi:[0,1] neg_lo:[0,1] neg_hi:[0,1]
	v_pk_fma_f32 v[16:17], v[8:9], s[16:17], v[12:13] op_sel_hi:[1,0,1]
	v_pk_fma_f32 v[8:9], v[8:9], v[14:15], v[12:13] neg_lo:[0,0,1] neg_hi:[0,0,1]
	s_delay_alu instid0(VALU_DEP_2) | instskip(SKIP_2) | instid1(VALU_DEP_1)
	v_mov_b32_e32 v9, v17
	s_wait_loadcnt 0x0
	v_pk_mul_f32 v[6:7], v[6:7], v[10:11] op_sel:[0,1] op_sel_hi:[0,0]
	v_pk_fma_f32 v[18:19], v[2:3], v[10:11], v[6:7]
	v_pk_fma_f32 v[2:3], v[2:3], v[10:11], v[6:7] neg_lo:[0,0,1] neg_hi:[0,0,1]
	s_delay_alu instid0(VALU_DEP_2) | instskip(NEXT) | instid1(VALU_DEP_1)
	v_mov_b32_e32 v3, v19
	v_pk_add_f32 v[2:3], v[8:9], v[2:3]
	global_store_b64 v4, v[2:3], s[0:1]
.LBB157_43:
	s_wait_xcnt 0x0
	s_or_b32 exec_lo, exec_lo, s21
	s_mov_b32 s26, 0
	s_mov_b32 s21, exec_lo
                                        ; implicit-def: $vgpr1
                                        ; implicit-def: $vgpr4_vgpr5
	v_cmpx_gt_i32_e64 s43, v0
	s_cbranch_execz .LBB157_56
; %bb.44:
	s_and_not1_b32 vcc_lo, exec_lo, s39
	s_cbranch_vccnz .LBB157_50
; %bb.45:
	s_and_not1_b32 vcc_lo, exec_lo, s44
	s_cbranch_vccnz .LBB157_51
; %bb.46:
	v_dual_mov_b32 v6, 0 :: v_dual_mov_b32 v1, v0
	v_dual_mov_b32 v7, 0 :: v_dual_mov_b32 v2, 0
	v_mov_b32_e32 v3, 0
	s_add_co_i32 s26, s42, 1
	s_mov_b64 s[34:35], 0xffffffffffffffe0
	s_and_b32 s26, s26, 30
	s_add_nc_u64 s[34:35], s[24:25], s[34:35]
	s_mov_b64 s[36:37], s[24:25]
.LBB157_47:                             ; =>This Inner Loop Header: Depth=1
	s_clause 0x1
	s_load_b128 s[52:55], s[36:37], 0x4
	s_load_b64 s[56:57], s[36:37], 0x14
	s_load_b256 s[44:51], s[34:35], 0xe4
	s_add_co_i32 s26, s26, -2
	s_wait_xcnt 0x0
	s_add_nc_u64 s[36:37], s[36:37], 24
	s_cmp_eq_u32 s26, 0
	s_add_nc_u64 s[34:35], s[34:35], 32
	s_wait_kmcnt 0x0
	v_mul_hi_u32 v4, s53, v1
	s_delay_alu instid0(VALU_DEP_1) | instskip(NEXT) | instid1(VALU_DEP_1)
	v_add_nc_u32_e32 v4, v1, v4
	v_lshrrev_b32_e32 v4, s54, v4
	s_delay_alu instid0(VALU_DEP_1) | instskip(SKIP_1) | instid1(VALU_DEP_1)
	v_mul_hi_u32 v5, s56, v4
	v_mul_lo_u32 v8, v4, s52
	v_dual_add_nc_u32 v5, v4, v5 :: v_dual_sub_nc_u32 v8, v1, v8
	s_delay_alu instid0(VALU_DEP_1) | instskip(NEXT) | instid1(VALU_DEP_2)
	v_lshrrev_b32_e32 v1, s57, v5
	v_mad_u32 v3, v8, s45, v3
	v_mad_u32 v2, v8, s44, v2
	;; [unrolled: 1-line block ×4, first 2 shown]
	v_mul_lo_u32 v5, v1, s55
	s_delay_alu instid0(VALU_DEP_1) | instskip(NEXT) | instid1(VALU_DEP_1)
	v_sub_nc_u32_e32 v4, v4, v5
	v_mad_u32 v3, v4, s49, v3
	v_mad_u32 v2, v4, s48, v2
	;; [unrolled: 1-line block ×4, first 2 shown]
	s_cbranch_scc0 .LBB157_47
; %bb.48:
	s_bitcmp1_b32 s42, 0
	s_cselect_b32 s26, -1, 0
	s_delay_alu instid0(SALU_CYCLE_1)
	s_and_b32 vcc_lo, exec_lo, s26
	s_cbranch_vccnz .LBB157_52
; %bb.49:
	s_load_b96 s[48:50], s[36:37], 0x4
	s_load_b128 s[44:47], s[34:35], 0xe4
	s_wait_kmcnt 0x0
	v_mul_hi_u32 v4, s49, v1
	s_delay_alu instid0(VALU_DEP_1) | instskip(NEXT) | instid1(VALU_DEP_1)
	v_add_nc_u32_e32 v4, v1, v4
	v_lshrrev_b32_e32 v4, s50, v4
	s_delay_alu instid0(VALU_DEP_1) | instskip(NEXT) | instid1(VALU_DEP_1)
	v_mul_lo_u32 v4, v4, s48
	v_sub_nc_u32_e32 v1, v1, v4
	s_delay_alu instid0(VALU_DEP_1)
	v_mad_u32 v2, v1, s44, v2
	v_mad_u32 v3, v1, s45, v3
	v_mad_u32 v6, v1, s46, v6
	v_mad_u32 v7, v1, s47, v7
	s_branch .LBB157_52
.LBB157_50:
                                        ; implicit-def: $vgpr3
                                        ; implicit-def: $vgpr2
                                        ; implicit-def: $vgpr7
                                        ; implicit-def: $vgpr6
	s_branch .LBB157_53
.LBB157_51:
	v_dual_mov_b32 v3, 0 :: v_dual_mov_b32 v2, 0
	v_dual_mov_b32 v7, 0 :: v_dual_mov_b32 v6, 0
.LBB157_52:
	s_cbranch_execnz .LBB157_55
.LBB157_53:
	v_mov_b32_e32 v1, 0
	s_and_not1_b32 vcc_lo, exec_lo, s41
	s_delay_alu instid0(VALU_DEP_1) | instskip(NEXT) | instid1(VALU_DEP_1)
	v_mul_u64_e32 v[2:3], s[30:31], v[0:1]
	v_add_nc_u32_e32 v2, v0, v3
	s_delay_alu instid0(VALU_DEP_1) | instskip(NEXT) | instid1(VALU_DEP_1)
	v_lshrrev_b32_e32 v4, s22, v2
	v_mul_lo_u32 v2, v4, s20
	s_delay_alu instid0(VALU_DEP_1) | instskip(NEXT) | instid1(VALU_DEP_1)
	v_sub_nc_u32_e32 v0, v0, v2
	v_mul_lo_u32 v3, v0, s9
	v_mul_lo_u32 v2, v0, s8
	;; [unrolled: 1-line block ×4, first 2 shown]
	s_cbranch_vccnz .LBB157_55
; %bb.54:
	v_mov_b32_e32 v5, v1
	s_delay_alu instid0(VALU_DEP_1) | instskip(NEXT) | instid1(VALU_DEP_1)
	v_mul_u64_e32 v[0:1], s[28:29], v[4:5]
	v_add_nc_u32_e32 v0, v4, v1
	s_delay_alu instid0(VALU_DEP_1) | instskip(NEXT) | instid1(VALU_DEP_1)
	v_lshrrev_b32_e32 v0, s27, v0
	v_mul_lo_u32 v0, v0, s23
	s_delay_alu instid0(VALU_DEP_1) | instskip(NEXT) | instid1(VALU_DEP_1)
	v_sub_nc_u32_e32 v0, v4, v0
	v_mad_u32 v2, v0, s12, v2
	v_mad_u32 v3, v0, s13, v3
	;; [unrolled: 1-line block ×4, first 2 shown]
.LBB157_55:
	global_load_b64 v[0:1], v6, s[4:5]
	global_load_b64 v[4:5], v3, s[2:3]
	;; [unrolled: 1-line block ×3, first 2 shown]
	s_wait_xcnt 0x0
	v_mov_b64_e32 v[6:7], s[18:19]
	v_mov_b32_e32 v14, s17
	s_mov_b32 s26, exec_lo
	s_wait_loadcnt 0x2
	v_dual_mov_b32 v16, s16 :: v_dual_mul_f32 v10, s18, v1
	s_wait_loadcnt 0x0
	v_dual_mul_f32 v12, s19, v1 :: v_dual_mov_b32 v15, v9
	s_delay_alu instid0(VALU_DEP_2) | instskip(NEXT) | instid1(VALU_DEP_2)
	v_pk_fma_f32 v[10:11], v[0:1], v[6:7], v[10:11] op_sel:[0,1,0] op_sel_hi:[1,0,0]
	v_pk_fma_f32 v[0:1], v[0:1], v[6:7], v[12:13] op_sel_hi:[1,1,0] neg_lo:[0,0,1] neg_hi:[0,0,1]
	v_dual_mov_b32 v6, v5 :: v_dual_mul_f32 v11, s16, v5
	s_delay_alu instid0(VALU_DEP_3) | instskip(NEXT) | instid1(VALU_DEP_3)
	v_dual_mov_b32 v12, v4 :: v_dual_mov_b32 v7, v10
	v_dual_mov_b32 v13, v0 :: v_dual_mov_b32 v17, v8
	v_dual_mul_f32 v1, v10, v8 :: v_dual_mov_b32 v3, 0
	s_delay_alu instid0(VALU_DEP_4) | instskip(NEXT) | instid1(VALU_DEP_4)
	v_fmac_f32_e32 v11, s17, v4
	v_pk_mul_f32 v[6:7], v[6:7], v[14:15]
	s_delay_alu instid0(VALU_DEP_3) | instskip(NEXT) | instid1(VALU_DEP_2)
	v_add_nc_u64_e32 v[4:5], s[0:1], v[2:3]
	v_pk_fma_f32 v[6:7], v[12:13], v[16:17], v[6:7] neg_lo:[0,0,1] neg_hi:[0,0,1]
	s_delay_alu instid0(VALU_DEP_1) | instskip(NEXT) | instid1(VALU_DEP_1)
	v_dual_fmac_f32 v1, v0, v9 :: v_dual_add_f32 v0, v6, v7
	v_add_f32_e32 v1, v11, v1
	global_store_b32 v2, v0, s[0:1]
.LBB157_56:
	s_wait_xcnt 0x0
	s_or_b32 exec_lo, exec_lo, s21
	s_delay_alu instid0(SALU_CYCLE_1)
	s_and_b32 s8, s26, exec_lo
                                        ; implicit-def: $vgpr6
                                        ; implicit-def: $vgpr0
	s_and_not1_saveexec_b32 s9, s40
	s_cbranch_execz .LBB157_2
.LBB157_57:
	v_cndmask_b32_e64 v10, 0, 1, s39
	s_and_not1_b32 vcc_lo, exec_lo, s39
	s_cbranch_vccnz .LBB157_63
; %bb.58:
	s_cmp_lg_u32 s33, 0
	s_mov_b32 s4, 0
	s_cbranch_scc0 .LBB157_67
; %bb.59:
	s_min_u32 s5, s38, 15
	v_dual_mov_b32 v1, 0 :: v_dual_mov_b32 v5, v0
	v_dual_mov_b32 v4, 0 :: v_dual_mov_b32 v2, 0
	v_mov_b32_e32 v3, 0
	s_add_co_i32 s2, s5, 1
	s_mov_b64 s[0:1], 0xffffffffffffffe0
	s_and_b32 s6, s2, 30
	s_add_nc_u64 s[0:1], s[24:25], s[0:1]
	s_mov_b64 s[2:3], s[24:25]
.LBB157_60:                             ; =>This Inner Loop Header: Depth=1
	s_clause 0x1
	s_load_b128 s[20:23], s[2:3], 0x4
	s_load_b64 s[10:11], s[2:3], 0x14
	s_load_b256 s[12:19], s[0:1], 0xe4
	s_add_co_i32 s6, s6, -2
	s_wait_xcnt 0x0
	s_add_nc_u64 s[2:3], s[2:3], 24
	s_cmp_lg_u32 s6, 0
	s_add_nc_u64 s[0:1], s[0:1], 32
	s_wait_kmcnt 0x0
	v_mul_hi_u32 v7, s21, v5
	s_delay_alu instid0(VALU_DEP_1) | instskip(NEXT) | instid1(VALU_DEP_1)
	v_add_nc_u32_e32 v7, v5, v7
	v_lshrrev_b32_e32 v7, s22, v7
	s_delay_alu instid0(VALU_DEP_1) | instskip(SKIP_1) | instid1(VALU_DEP_1)
	v_mul_hi_u32 v8, s10, v7
	v_mul_lo_u32 v9, v7, s20
	v_dual_add_nc_u32 v8, v7, v8 :: v_dual_sub_nc_u32 v9, v5, v9
	s_delay_alu instid0(VALU_DEP_1) | instskip(NEXT) | instid1(VALU_DEP_2)
	v_lshrrev_b32_e32 v5, s11, v8
	v_mad_u32 v3, v9, s13, v3
	v_mad_u32 v2, v9, s12, v2
	;; [unrolled: 1-line block ×4, first 2 shown]
	v_mul_lo_u32 v8, v5, s23
	s_delay_alu instid0(VALU_DEP_1) | instskip(NEXT) | instid1(VALU_DEP_1)
	v_sub_nc_u32_e32 v7, v7, v8
	v_mad_u32 v3, v7, s17, v3
	v_mad_u32 v2, v7, s16, v2
	;; [unrolled: 1-line block ×4, first 2 shown]
	s_cbranch_scc1 .LBB157_60
; %bb.61:
	s_bitcmp1_b32 s5, 0
	s_cselect_b32 s5, -1, 0
	s_delay_alu instid0(SALU_CYCLE_1)
	s_and_b32 vcc_lo, exec_lo, s5
	s_cbranch_vccnz .LBB157_64
; %bb.62:
	s_load_b96 s[16:18], s[2:3], 0x4
	s_load_b128 s[12:15], s[0:1], 0xe4
	s_wait_kmcnt 0x0
	v_mul_hi_u32 v7, s17, v5
	s_delay_alu instid0(VALU_DEP_1) | instskip(NEXT) | instid1(VALU_DEP_1)
	v_add_nc_u32_e32 v7, v5, v7
	v_lshrrev_b32_e32 v7, s18, v7
	s_delay_alu instid0(VALU_DEP_1) | instskip(NEXT) | instid1(VALU_DEP_1)
	v_mul_lo_u32 v7, v7, s16
	v_sub_nc_u32_e32 v5, v5, v7
	s_delay_alu instid0(VALU_DEP_1)
	v_mad_u32 v2, v5, s12, v2
	v_mad_u32 v3, v5, s13, v3
	;; [unrolled: 1-line block ×4, first 2 shown]
	s_and_not1_b32 vcc_lo, exec_lo, s4
	s_cbranch_vccz .LBB157_65
	s_branch .LBB157_68
.LBB157_63:
	s_mov_b32 s4, -1
                                        ; implicit-def: $vgpr3
                                        ; implicit-def: $vgpr2
                                        ; implicit-def: $vgpr4
                                        ; implicit-def: $vgpr1
.LBB157_64:
	s_delay_alu instid0(SALU_CYCLE_1)
	s_and_not1_b32 vcc_lo, exec_lo, s4
	s_cbranch_vccnz .LBB157_68
.LBB157_65:
	s_clause 0x1
	s_load_b96 s[4:6], s[24:25], 0x4
	s_load_b128 s[0:3], s[24:25], 0xc4
	s_cmp_lt_u32 s33, 2
	s_wait_kmcnt 0x0
	v_mul_hi_u32 v1, s5, v0
	s_delay_alu instid0(VALU_DEP_1) | instskip(NEXT) | instid1(VALU_DEP_1)
	v_add_nc_u32_e32 v1, v0, v1
	v_lshrrev_b32_e32 v5, s6, v1
	s_delay_alu instid0(VALU_DEP_1) | instskip(NEXT) | instid1(VALU_DEP_1)
	v_mul_lo_u32 v1, v5, s4
	v_sub_nc_u32_e32 v1, v0, v1
	s_delay_alu instid0(VALU_DEP_1)
	v_mul_lo_u32 v3, v1, s1
	v_mul_lo_u32 v2, v1, s0
	;; [unrolled: 1-line block ×4, first 2 shown]
	s_cbranch_scc1 .LBB157_68
; %bb.66:
	s_clause 0x1
	s_load_b96 s[4:6], s[24:25], 0x10
	s_load_b128 s[0:3], s[24:25], 0xd4
	s_wait_kmcnt 0x0
	v_mul_hi_u32 v7, s5, v5
	s_delay_alu instid0(VALU_DEP_1) | instskip(NEXT) | instid1(VALU_DEP_1)
	v_add_nc_u32_e32 v7, v5, v7
	v_lshrrev_b32_e32 v7, s6, v7
	s_delay_alu instid0(VALU_DEP_1) | instskip(NEXT) | instid1(VALU_DEP_1)
	v_mul_lo_u32 v7, v7, s4
	v_sub_nc_u32_e32 v5, v5, v7
	s_delay_alu instid0(VALU_DEP_1)
	v_mad_u32 v2, v5, s0, v2
	v_mad_u32 v3, v5, s1, v3
	;; [unrolled: 1-line block ×4, first 2 shown]
	s_branch .LBB157_68
.LBB157_67:
	v_dual_mov_b32 v3, 0 :: v_dual_mov_b32 v2, 0
	v_dual_mov_b32 v4, 0 :: v_dual_mov_b32 v1, 0
	s_and_not1_b32 vcc_lo, exec_lo, s4
	s_cbranch_vccz .LBB157_65
.LBB157_68:
	v_cmp_ne_u32_e32 vcc_lo, 1, v10
	v_add_nc_u32_e32 v11, 0x80, v0
	s_cbranch_vccnz .LBB157_74
; %bb.69:
	s_cmp_lg_u32 s33, 0
	s_mov_b32 s4, 0
	s_cbranch_scc0 .LBB157_78
; %bb.70:
	s_min_u32 s5, s38, 15
	v_dual_mov_b32 v5, 0 :: v_dual_mov_b32 v12, v11
	v_dual_mov_b32 v9, 0 :: v_dual_mov_b32 v7, 0
	v_mov_b32_e32 v8, 0
	s_add_co_i32 s2, s5, 1
	s_mov_b64 s[0:1], 0xffffffffffffffe0
	s_and_b32 s6, s2, 30
	s_add_nc_u64 s[0:1], s[24:25], s[0:1]
	s_mov_b64 s[2:3], s[24:25]
.LBB157_71:                             ; =>This Inner Loop Header: Depth=1
	s_clause 0x1
	s_load_b128 s[20:23], s[2:3], 0x4
	s_load_b64 s[10:11], s[2:3], 0x14
	s_load_b256 s[12:19], s[0:1], 0xe4
	s_add_co_i32 s6, s6, -2
	s_wait_xcnt 0x0
	s_add_nc_u64 s[2:3], s[2:3], 24
	s_cmp_lg_u32 s6, 0
	s_add_nc_u64 s[0:1], s[0:1], 32
	s_wait_kmcnt 0x0
	v_mul_hi_u32 v13, s21, v12
	s_delay_alu instid0(VALU_DEP_1) | instskip(NEXT) | instid1(VALU_DEP_1)
	v_add_nc_u32_e32 v13, v12, v13
	v_lshrrev_b32_e32 v13, s22, v13
	s_delay_alu instid0(VALU_DEP_1) | instskip(SKIP_1) | instid1(VALU_DEP_1)
	v_mul_hi_u32 v14, s10, v13
	v_mul_lo_u32 v15, v13, s20
	v_dual_add_nc_u32 v14, v13, v14 :: v_dual_sub_nc_u32 v15, v12, v15
	s_delay_alu instid0(VALU_DEP_1) | instskip(NEXT) | instid1(VALU_DEP_2)
	v_lshrrev_b32_e32 v12, s11, v14
	v_mad_u32 v8, v15, s13, v8
	v_mad_u32 v7, v15, s12, v7
	;; [unrolled: 1-line block ×4, first 2 shown]
	v_mul_lo_u32 v14, v12, s23
	s_delay_alu instid0(VALU_DEP_1) | instskip(NEXT) | instid1(VALU_DEP_1)
	v_sub_nc_u32_e32 v13, v13, v14
	v_mad_u32 v8, v13, s17, v8
	v_mad_u32 v7, v13, s16, v7
	;; [unrolled: 1-line block ×4, first 2 shown]
	s_cbranch_scc1 .LBB157_71
; %bb.72:
	s_bitcmp1_b32 s5, 0
	s_cselect_b32 s5, -1, 0
	s_delay_alu instid0(SALU_CYCLE_1)
	s_and_b32 vcc_lo, exec_lo, s5
	s_cbranch_vccnz .LBB157_75
; %bb.73:
	s_load_b96 s[16:18], s[2:3], 0x4
	s_load_b128 s[12:15], s[0:1], 0xe4
	s_wait_kmcnt 0x0
	v_mul_hi_u32 v13, s17, v12
	s_delay_alu instid0(VALU_DEP_1) | instskip(NEXT) | instid1(VALU_DEP_1)
	v_add_nc_u32_e32 v13, v12, v13
	v_lshrrev_b32_e32 v13, s18, v13
	s_delay_alu instid0(VALU_DEP_1) | instskip(NEXT) | instid1(VALU_DEP_1)
	v_mul_lo_u32 v13, v13, s16
	v_sub_nc_u32_e32 v12, v12, v13
	s_delay_alu instid0(VALU_DEP_1)
	v_mad_u32 v7, v12, s12, v7
	v_mad_u32 v8, v12, s13, v8
	v_mad_u32 v5, v12, s14, v5
	v_mad_u32 v9, v12, s15, v9
	s_and_not1_b32 vcc_lo, exec_lo, s4
	s_cbranch_vccz .LBB157_76
	s_branch .LBB157_79
.LBB157_74:
	s_mov_b32 s4, -1
                                        ; implicit-def: $vgpr8
                                        ; implicit-def: $vgpr7
                                        ; implicit-def: $vgpr9
                                        ; implicit-def: $vgpr5
.LBB157_75:
	s_delay_alu instid0(SALU_CYCLE_1)
	s_and_not1_b32 vcc_lo, exec_lo, s4
	s_cbranch_vccnz .LBB157_79
.LBB157_76:
	s_clause 0x1
	s_load_b96 s[4:6], s[24:25], 0x4
	s_load_b128 s[0:3], s[24:25], 0xc4
	s_cmp_lt_u32 s33, 2
	s_wait_kmcnt 0x0
	v_mul_hi_u32 v5, s5, v11
	s_delay_alu instid0(VALU_DEP_1) | instskip(NEXT) | instid1(VALU_DEP_1)
	v_add_nc_u32_e32 v5, v11, v5
	v_lshrrev_b32_e32 v12, s6, v5
	s_delay_alu instid0(VALU_DEP_1) | instskip(NEXT) | instid1(VALU_DEP_1)
	v_mul_lo_u32 v5, v12, s4
	v_sub_nc_u32_e32 v5, v11, v5
	s_delay_alu instid0(VALU_DEP_1)
	v_mul_lo_u32 v8, v5, s1
	v_mul_lo_u32 v7, v5, s0
	;; [unrolled: 1-line block ×4, first 2 shown]
	s_cbranch_scc1 .LBB157_79
; %bb.77:
	s_clause 0x1
	s_load_b96 s[4:6], s[24:25], 0x10
	s_load_b128 s[0:3], s[24:25], 0xd4
	s_wait_kmcnt 0x0
	v_mul_hi_u32 v11, s5, v12
	s_delay_alu instid0(VALU_DEP_1) | instskip(NEXT) | instid1(VALU_DEP_1)
	v_add_nc_u32_e32 v11, v12, v11
	v_lshrrev_b32_e32 v11, s6, v11
	s_delay_alu instid0(VALU_DEP_1) | instskip(NEXT) | instid1(VALU_DEP_1)
	v_mul_lo_u32 v11, v11, s4
	v_sub_nc_u32_e32 v11, v12, v11
	s_delay_alu instid0(VALU_DEP_1)
	v_mad_u32 v7, v11, s0, v7
	v_mad_u32 v8, v11, s1, v8
	;; [unrolled: 1-line block ×4, first 2 shown]
	s_branch .LBB157_79
.LBB157_78:
	v_dual_mov_b32 v8, 0 :: v_dual_mov_b32 v7, 0
	v_dual_mov_b32 v9, 0 :: v_dual_mov_b32 v5, 0
	s_and_not1_b32 vcc_lo, exec_lo, s4
	s_cbranch_vccz .LBB157_76
.LBB157_79:
	v_cmp_ne_u32_e32 vcc_lo, 1, v10
	v_add_nc_u32_e32 v0, 0x100, v0
	s_cbranch_vccnz .LBB157_85
; %bb.80:
	s_cmp_lg_u32 s33, 0
	s_mov_b32 s4, 0
	s_cbranch_scc0 .LBB157_89
; %bb.81:
	s_min_u32 s5, s38, 15
	v_dual_mov_b32 v14, 0 :: v_dual_mov_b32 v15, v0
	v_dual_mov_b32 v13, 0 :: v_dual_mov_b32 v11, 0
	v_mov_b32_e32 v12, 0
	s_add_co_i32 s2, s5, 1
	s_mov_b64 s[0:1], 0xffffffffffffffe0
	s_and_b32 s6, s2, 30
	s_add_nc_u64 s[0:1], s[24:25], s[0:1]
	s_mov_b64 s[2:3], s[24:25]
.LBB157_82:                             ; =>This Inner Loop Header: Depth=1
	s_clause 0x1
	s_load_b128 s[20:23], s[2:3], 0x4
	s_load_b64 s[10:11], s[2:3], 0x14
	s_load_b256 s[12:19], s[0:1], 0xe4
	s_add_co_i32 s6, s6, -2
	s_wait_xcnt 0x0
	s_add_nc_u64 s[2:3], s[2:3], 24
	s_cmp_lg_u32 s6, 0
	s_add_nc_u64 s[0:1], s[0:1], 32
	s_wait_kmcnt 0x0
	v_mul_hi_u32 v16, s21, v15
	s_delay_alu instid0(VALU_DEP_1) | instskip(NEXT) | instid1(VALU_DEP_1)
	v_add_nc_u32_e32 v16, v15, v16
	v_lshrrev_b32_e32 v16, s22, v16
	s_delay_alu instid0(VALU_DEP_1) | instskip(SKIP_1) | instid1(VALU_DEP_1)
	v_mul_hi_u32 v17, s10, v16
	v_mul_lo_u32 v18, v16, s20
	v_dual_add_nc_u32 v17, v16, v17 :: v_dual_sub_nc_u32 v18, v15, v18
	s_delay_alu instid0(VALU_DEP_1) | instskip(NEXT) | instid1(VALU_DEP_2)
	v_lshrrev_b32_e32 v15, s11, v17
	v_mad_u32 v12, v18, s13, v12
	v_mad_u32 v11, v18, s12, v11
	;; [unrolled: 1-line block ×4, first 2 shown]
	v_mul_lo_u32 v17, v15, s23
	s_delay_alu instid0(VALU_DEP_1) | instskip(NEXT) | instid1(VALU_DEP_1)
	v_sub_nc_u32_e32 v16, v16, v17
	v_mad_u32 v12, v16, s17, v12
	v_mad_u32 v11, v16, s16, v11
	;; [unrolled: 1-line block ×4, first 2 shown]
	s_cbranch_scc1 .LBB157_82
; %bb.83:
	s_bitcmp1_b32 s5, 0
	s_cselect_b32 s5, -1, 0
	s_delay_alu instid0(SALU_CYCLE_1)
	s_and_b32 vcc_lo, exec_lo, s5
	s_cbranch_vccnz .LBB157_86
; %bb.84:
	s_load_b96 s[16:18], s[2:3], 0x4
	s_load_b128 s[12:15], s[0:1], 0xe4
	s_wait_kmcnt 0x0
	v_mul_hi_u32 v16, s17, v15
	s_delay_alu instid0(VALU_DEP_1) | instskip(NEXT) | instid1(VALU_DEP_1)
	v_add_nc_u32_e32 v16, v15, v16
	v_lshrrev_b32_e32 v16, s18, v16
	s_delay_alu instid0(VALU_DEP_1) | instskip(NEXT) | instid1(VALU_DEP_1)
	v_mul_lo_u32 v16, v16, s16
	v_sub_nc_u32_e32 v15, v15, v16
	s_delay_alu instid0(VALU_DEP_1)
	v_mad_u32 v11, v15, s12, v11
	v_mad_u32 v12, v15, s13, v12
	;; [unrolled: 1-line block ×4, first 2 shown]
	s_and_not1_b32 vcc_lo, exec_lo, s4
	s_cbranch_vccz .LBB157_87
	s_branch .LBB157_90
.LBB157_85:
	s_mov_b32 s4, -1
                                        ; implicit-def: $vgpr12
                                        ; implicit-def: $vgpr11
                                        ; implicit-def: $vgpr13
                                        ; implicit-def: $vgpr14
.LBB157_86:
	s_delay_alu instid0(SALU_CYCLE_1)
	s_and_not1_b32 vcc_lo, exec_lo, s4
	s_cbranch_vccnz .LBB157_90
.LBB157_87:
	s_clause 0x1
	s_load_b96 s[4:6], s[24:25], 0x4
	s_load_b128 s[0:3], s[24:25], 0xc4
	s_cmp_lt_u32 s33, 2
	s_wait_kmcnt 0x0
	v_mul_hi_u32 v11, s5, v0
	s_delay_alu instid0(VALU_DEP_1) | instskip(NEXT) | instid1(VALU_DEP_1)
	v_add_nc_u32_e32 v11, v0, v11
	v_lshrrev_b32_e32 v15, s6, v11
	s_delay_alu instid0(VALU_DEP_1) | instskip(NEXT) | instid1(VALU_DEP_1)
	v_mul_lo_u32 v11, v15, s4
	v_sub_nc_u32_e32 v0, v0, v11
	s_delay_alu instid0(VALU_DEP_1)
	v_mul_lo_u32 v12, v0, s1
	v_mul_lo_u32 v11, v0, s0
	;; [unrolled: 1-line block ×4, first 2 shown]
	s_cbranch_scc1 .LBB157_90
; %bb.88:
	s_clause 0x1
	s_load_b96 s[4:6], s[24:25], 0x10
	s_load_b128 s[0:3], s[24:25], 0xd4
	s_wait_kmcnt 0x0
	v_mul_hi_u32 v0, s5, v15
	s_delay_alu instid0(VALU_DEP_1) | instskip(NEXT) | instid1(VALU_DEP_1)
	v_add_nc_u32_e32 v0, v15, v0
	v_lshrrev_b32_e32 v0, s6, v0
	s_delay_alu instid0(VALU_DEP_1) | instskip(NEXT) | instid1(VALU_DEP_1)
	v_mul_lo_u32 v0, v0, s4
	v_sub_nc_u32_e32 v0, v15, v0
	s_delay_alu instid0(VALU_DEP_1)
	v_mad_u32 v11, v0, s0, v11
	v_mad_u32 v12, v0, s1, v12
	;; [unrolled: 1-line block ×4, first 2 shown]
	s_branch .LBB157_90
.LBB157_89:
	v_dual_mov_b32 v12, 0 :: v_dual_mov_b32 v11, 0
	v_dual_mov_b32 v13, 0 :: v_dual_mov_b32 v14, 0
	s_and_not1_b32 vcc_lo, exec_lo, s4
	s_cbranch_vccz .LBB157_87
.LBB157_90:
	v_cmp_ne_u32_e32 vcc_lo, 1, v10
	s_cbranch_vccnz .LBB157_96
; %bb.91:
	s_cmp_lg_u32 s33, 0
	s_mov_b32 s4, 0
	s_cbranch_scc0 .LBB157_100
; %bb.92:
	s_min_u32 s5, s38, 15
	v_dual_mov_b32 v16, 0 :: v_dual_mov_b32 v17, v6
	v_dual_mov_b32 v15, 0 :: v_dual_mov_b32 v0, 0
	v_mov_b32_e32 v10, 0
	s_add_co_i32 s2, s5, 1
	s_mov_b64 s[0:1], 0xffffffffffffffe0
	s_and_b32 s6, s2, 30
	s_add_nc_u64 s[0:1], s[24:25], s[0:1]
	s_mov_b64 s[2:3], s[24:25]
.LBB157_93:                             ; =>This Inner Loop Header: Depth=1
	s_clause 0x1
	s_load_b128 s[20:23], s[2:3], 0x4
	s_load_b64 s[10:11], s[2:3], 0x14
	s_load_b256 s[12:19], s[0:1], 0xe4
	s_add_co_i32 s6, s6, -2
	s_wait_xcnt 0x0
	s_add_nc_u64 s[2:3], s[2:3], 24
	s_cmp_lg_u32 s6, 0
	s_add_nc_u64 s[0:1], s[0:1], 32
	s_wait_kmcnt 0x0
	v_mul_hi_u32 v18, s21, v17
	s_delay_alu instid0(VALU_DEP_1) | instskip(NEXT) | instid1(VALU_DEP_1)
	v_add_nc_u32_e32 v18, v17, v18
	v_lshrrev_b32_e32 v18, s22, v18
	s_delay_alu instid0(VALU_DEP_1) | instskip(SKIP_1) | instid1(VALU_DEP_1)
	v_mul_hi_u32 v19, s10, v18
	v_mul_lo_u32 v20, v18, s20
	v_dual_add_nc_u32 v19, v18, v19 :: v_dual_sub_nc_u32 v20, v17, v20
	s_delay_alu instid0(VALU_DEP_1) | instskip(NEXT) | instid1(VALU_DEP_2)
	v_lshrrev_b32_e32 v17, s11, v19
	v_mad_u32 v10, v20, s13, v10
	v_mad_u32 v0, v20, s12, v0
	;; [unrolled: 1-line block ×4, first 2 shown]
	v_mul_lo_u32 v19, v17, s23
	s_delay_alu instid0(VALU_DEP_1) | instskip(NEXT) | instid1(VALU_DEP_1)
	v_sub_nc_u32_e32 v18, v18, v19
	v_mad_u32 v10, v18, s17, v10
	v_mad_u32 v0, v18, s16, v0
	v_mad_u32 v15, v18, s19, v15
	v_mad_u32 v16, v18, s18, v16
	s_cbranch_scc1 .LBB157_93
; %bb.94:
	s_bitcmp1_b32 s5, 0
	s_cselect_b32 s5, -1, 0
	s_delay_alu instid0(SALU_CYCLE_1)
	s_and_b32 vcc_lo, exec_lo, s5
	s_cbranch_vccnz .LBB157_97
; %bb.95:
	s_load_b96 s[16:18], s[2:3], 0x4
	s_load_b128 s[12:15], s[0:1], 0xe4
	s_wait_kmcnt 0x0
	v_mul_hi_u32 v18, s17, v17
	s_delay_alu instid0(VALU_DEP_1) | instskip(NEXT) | instid1(VALU_DEP_1)
	v_add_nc_u32_e32 v18, v17, v18
	v_lshrrev_b32_e32 v18, s18, v18
	s_delay_alu instid0(VALU_DEP_1) | instskip(NEXT) | instid1(VALU_DEP_1)
	v_mul_lo_u32 v18, v18, s16
	v_sub_nc_u32_e32 v17, v17, v18
	s_delay_alu instid0(VALU_DEP_1)
	v_mad_u32 v0, v17, s12, v0
	v_mad_u32 v10, v17, s13, v10
	;; [unrolled: 1-line block ×4, first 2 shown]
	s_and_not1_b32 vcc_lo, exec_lo, s4
	s_cbranch_vccz .LBB157_98
	s_branch .LBB157_101
.LBB157_96:
	s_mov_b32 s4, -1
                                        ; implicit-def: $vgpr10
                                        ; implicit-def: $vgpr0
                                        ; implicit-def: $vgpr15
                                        ; implicit-def: $vgpr16
.LBB157_97:
	s_delay_alu instid0(SALU_CYCLE_1)
	s_and_not1_b32 vcc_lo, exec_lo, s4
	s_cbranch_vccnz .LBB157_101
.LBB157_98:
	s_clause 0x1
	s_load_b96 s[4:6], s[24:25], 0x4
	s_load_b128 s[0:3], s[24:25], 0xc4
	s_cmp_lt_u32 s33, 2
	s_wait_kmcnt 0x0
	v_mul_hi_u32 v0, s5, v6
	s_delay_alu instid0(VALU_DEP_1) | instskip(NEXT) | instid1(VALU_DEP_1)
	v_add_nc_u32_e32 v0, v6, v0
	v_lshrrev_b32_e32 v17, s6, v0
	s_delay_alu instid0(VALU_DEP_1) | instskip(NEXT) | instid1(VALU_DEP_1)
	v_mul_lo_u32 v0, v17, s4
	v_sub_nc_u32_e32 v6, v6, v0
	s_delay_alu instid0(VALU_DEP_1)
	v_mul_lo_u32 v10, v6, s1
	v_mul_lo_u32 v0, v6, s0
	v_mul_lo_u32 v15, v6, s3
	v_mul_lo_u32 v16, v6, s2
	s_cbranch_scc1 .LBB157_101
; %bb.99:
	s_clause 0x1
	s_load_b96 s[4:6], s[24:25], 0x10
	s_load_b128 s[0:3], s[24:25], 0xd4
	s_wait_kmcnt 0x0
	v_mul_hi_u32 v6, s5, v17
	s_delay_alu instid0(VALU_DEP_1) | instskip(NEXT) | instid1(VALU_DEP_1)
	v_add_nc_u32_e32 v6, v17, v6
	v_lshrrev_b32_e32 v6, s6, v6
	s_delay_alu instid0(VALU_DEP_1) | instskip(NEXT) | instid1(VALU_DEP_1)
	v_mul_lo_u32 v6, v6, s4
	v_sub_nc_u32_e32 v6, v17, v6
	s_delay_alu instid0(VALU_DEP_1)
	v_mad_u32 v0, v6, s0, v0
	v_mad_u32 v10, v6, s1, v10
	;; [unrolled: 1-line block ×4, first 2 shown]
	s_branch .LBB157_101
.LBB157_100:
	v_dual_mov_b32 v10, 0 :: v_dual_mov_b32 v0, 0
	v_dual_mov_b32 v15, 0 :: v_dual_mov_b32 v16, 0
	s_and_not1_b32 vcc_lo, exec_lo, s4
	s_cbranch_vccz .LBB157_98
.LBB157_101:
	s_load_b256 s[0:7], s[24:25], 0x1c8
	s_or_b32 s8, s8, exec_lo
	s_wait_kmcnt 0x0
	s_clause 0x2
	global_load_b64 v[18:19], v1, s[4:5]
	global_load_b64 v[20:21], v5, s[4:5]
	global_load_b64 v[22:23], v14, s[4:5]
	global_load_b64 v[24:25], v10, s[2:3]
	global_load_b64 v[26:27], v16, s[4:5]
	s_clause 0x2
	global_load_b64 v[28:29], v12, s[2:3]
	global_load_b64 v[30:31], v8, s[2:3]
	;; [unrolled: 1-line block ×3, first 2 shown]
	s_clause 0x3
	global_load_b64 v[34:35], v15, s[6:7]
	global_load_b64 v[36:37], v13, s[6:7]
	global_load_b64 v[38:39], v4, s[6:7]
	global_load_b64 v[40:41], v9, s[6:7]
	s_wait_xcnt 0x0
	s_load_b128 s[4:7], s[24:25], 0x1e8
	v_mov_b32_e32 v1, 0
	s_wait_kmcnt 0x0
	v_mov_b64_e32 v[8:9], s[4:5]
	s_wait_loadcnt 0xb
	v_mul_f32_e32 v6, s6, v19
	v_add_nc_u64_e32 v[4:5], s[0:1], v[0:1]
	s_wait_loadcnt 0xa
	v_dual_mul_f32 v1, s7, v19 :: v_dual_mul_f32 v3, s7, v21
	s_wait_loadcnt 0x9
	v_dual_mul_f32 v10, s6, v21 :: v_dual_mul_f32 v13, s7, v23
	;; [unrolled: 2-line block ×4, first 2 shown]
	s_wait_loadcnt 0x6
	v_pk_mul_f32 v[14:15], v[28:29], v[8:9] op_sel:[0,1]
	v_dual_mul_f32 v45, s6, v27 :: v_dual_fmac_f32 v6, s7, v18
	s_wait_loadcnt 0x5
	v_pk_mul_f32 v[16:17], v[30:31], v[8:9] op_sel:[0,1]
	s_wait_loadcnt 0x4
	v_pk_mul_f32 v[42:43], v[32:33], v[8:9] op_sel:[0,1]
	v_fma_f32 v44, v18, s6, -v1
	v_fma_f32 v18, v20, s6, -v3
	v_dual_fmac_f32 v10, s7, v20 :: v_dual_fmac_f32 v12, s7, v22
	v_fma_f32 v20, v22, s6, -v13
	v_fma_f32 v3, v26, s6, -v23
	v_pk_fma_f32 v[22:23], v[28:29], v[8:9], v[14:15] op_sel:[0,0,1] op_sel_hi:[1,1,0] neg_lo:[0,0,1] neg_hi:[0,0,1]
	v_pk_fma_f32 v[14:15], v[28:29], s[4:5], v[14:15] op_sel:[0,0,1] op_sel_hi:[1,0,0]
	v_fma_f32 v1, v24, s4, -v19
	v_fmac_f32_e32 v45, s7, v26
	v_fmac_f32_e32 v21, s5, v24
	v_pk_fma_f32 v[24:25], v[30:31], v[8:9], v[16:17] op_sel:[0,0,1] op_sel_hi:[1,1,0] neg_lo:[0,0,1] neg_hi:[0,0,1]
	v_pk_fma_f32 v[16:17], v[30:31], s[4:5], v[16:17] op_sel:[0,0,1] op_sel_hi:[1,0,0]
	v_pk_fma_f32 v[26:27], v[32:33], s[4:5], v[42:43] op_sel:[0,0,1] op_sel_hi:[1,0,0]
	v_mov_b32_e32 v23, v15
	s_wait_loadcnt 0x1
	v_pk_mul_f32 v[14:15], v[6:7], v[38:39] op_sel:[0,1] op_sel_hi:[0,0]
	s_wait_loadcnt 0x0
	v_pk_mul_f32 v[28:29], v[10:11], v[40:41] op_sel:[0,1] op_sel_hi:[0,0]
	v_pk_mul_f32 v[12:13], v[12:13], v[36:37] op_sel:[0,1] op_sel_hi:[0,0]
	v_pk_fma_f32 v[8:9], v[32:33], v[8:9], v[42:43] op_sel:[0,0,1] op_sel_hi:[1,1,0] neg_lo:[0,0,1] neg_hi:[0,0,1]
	v_mul_f32_e32 v33, v3, v35
	v_mov_b32_e32 v9, v27
	v_pk_fma_f32 v[26:27], v[44:45], v[38:39], v[14:15] op_sel_hi:[0,1,1]
	v_pk_fma_f32 v[30:31], v[40:41], v[18:19], v[28:29] op_sel_hi:[1,0,1]
	v_mul_f32_e32 v32, v45, v35
	v_mov_b32_e32 v25, v17
	v_pk_fma_f32 v[16:17], v[36:37], v[20:21], v[12:13] neg_lo:[0,0,1] neg_hi:[0,0,1]
	v_pk_fma_f32 v[12:13], v[36:37], v[20:21], v[12:13] op_sel_hi:[1,0,1]
	v_pk_fma_f32 v[14:15], v[44:45], v[38:39], v[14:15] neg_lo:[0,0,1] neg_hi:[0,0,1]
	v_pk_fma_f32 v[18:19], v[40:41], v[18:19], v[28:29] neg_lo:[0,0,1] neg_hi:[0,0,1]
	v_dual_mov_b32 v15, v27 :: v_dual_mov_b32 v19, v31
	s_delay_alu instid0(VALU_DEP_4) | instskip(SKIP_1) | instid1(VALU_DEP_3)
	v_dual_mov_b32 v17, v13 :: v_dual_fma_f32 v3, v34, v3, -v32
	v_fmac_f32_e32 v33, v34, v45
	v_pk_add_f32 v[8:9], v[8:9], v[14:15]
	s_delay_alu instid0(VALU_DEP_4) | instskip(NEXT) | instid1(VALU_DEP_4)
	v_pk_add_f32 v[12:13], v[24:25], v[18:19]
	v_pk_add_f32 v[14:15], v[22:23], v[16:17]
	v_add_f32_e32 v3, v1, v3
	v_add_f32_e32 v1, v21, v33
	s_clause 0x3
	global_store_b64 v2, v[8:9], s[0:1]
	global_store_b64 v7, v[12:13], s[0:1]
	;; [unrolled: 1-line block ×3, first 2 shown]
	global_store_b32 v0, v3, s[0:1]
	s_wait_xcnt 0x0
	s_or_b32 exec_lo, exec_lo, s9
	s_and_saveexec_b32 s0, s8
	s_cbranch_execz .LBB157_3
.LBB157_102:
	global_store_b32 v[4:5], v1, off offset:4
	s_endpgm
	.section	.rodata,"a",@progbits
	.p2align	6, 0x0
	.amdhsa_kernel _ZN2at6native32elementwise_kernel_manual_unrollILi128ELi4EZNS0_22gpu_kernel_impl_nocastIZZZNS0_12_GLOBAL__N_116addr_kernel_cudaERNS_14TensorIteratorERKN3c106ScalarES9_ENKUlvE_clEvENKUlvE7_clEvEUlNS6_7complexIfEESD_SD_E0_EEvRNS_18TensorIteratorBaseERKT_EUlibE_EEviT1_
		.amdhsa_group_segment_fixed_size 0
		.amdhsa_private_segment_fixed_size 0
		.amdhsa_kernarg_size 512
		.amdhsa_user_sgpr_count 2
		.amdhsa_user_sgpr_dispatch_ptr 0
		.amdhsa_user_sgpr_queue_ptr 0
		.amdhsa_user_sgpr_kernarg_segment_ptr 1
		.amdhsa_user_sgpr_dispatch_id 0
		.amdhsa_user_sgpr_kernarg_preload_length 0
		.amdhsa_user_sgpr_kernarg_preload_offset 0
		.amdhsa_user_sgpr_private_segment_size 0
		.amdhsa_wavefront_size32 1
		.amdhsa_uses_dynamic_stack 0
		.amdhsa_enable_private_segment 0
		.amdhsa_system_sgpr_workgroup_id_x 1
		.amdhsa_system_sgpr_workgroup_id_y 0
		.amdhsa_system_sgpr_workgroup_id_z 0
		.amdhsa_system_sgpr_workgroup_info 0
		.amdhsa_system_vgpr_workitem_id 0
		.amdhsa_next_free_vgpr 46
		.amdhsa_next_free_sgpr 60
		.amdhsa_named_barrier_count 0
		.amdhsa_reserve_vcc 1
		.amdhsa_float_round_mode_32 0
		.amdhsa_float_round_mode_16_64 0
		.amdhsa_float_denorm_mode_32 3
		.amdhsa_float_denorm_mode_16_64 3
		.amdhsa_fp16_overflow 0
		.amdhsa_memory_ordered 1
		.amdhsa_forward_progress 1
		.amdhsa_inst_pref_size 52
		.amdhsa_round_robin_scheduling 0
		.amdhsa_exception_fp_ieee_invalid_op 0
		.amdhsa_exception_fp_denorm_src 0
		.amdhsa_exception_fp_ieee_div_zero 0
		.amdhsa_exception_fp_ieee_overflow 0
		.amdhsa_exception_fp_ieee_underflow 0
		.amdhsa_exception_fp_ieee_inexact 0
		.amdhsa_exception_int_div_zero 0
	.end_amdhsa_kernel
	.section	.text._ZN2at6native32elementwise_kernel_manual_unrollILi128ELi4EZNS0_22gpu_kernel_impl_nocastIZZZNS0_12_GLOBAL__N_116addr_kernel_cudaERNS_14TensorIteratorERKN3c106ScalarES9_ENKUlvE_clEvENKUlvE7_clEvEUlNS6_7complexIfEESD_SD_E0_EEvRNS_18TensorIteratorBaseERKT_EUlibE_EEviT1_,"axG",@progbits,_ZN2at6native32elementwise_kernel_manual_unrollILi128ELi4EZNS0_22gpu_kernel_impl_nocastIZZZNS0_12_GLOBAL__N_116addr_kernel_cudaERNS_14TensorIteratorERKN3c106ScalarES9_ENKUlvE_clEvENKUlvE7_clEvEUlNS6_7complexIfEESD_SD_E0_EEvRNS_18TensorIteratorBaseERKT_EUlibE_EEviT1_,comdat
.Lfunc_end157:
	.size	_ZN2at6native32elementwise_kernel_manual_unrollILi128ELi4EZNS0_22gpu_kernel_impl_nocastIZZZNS0_12_GLOBAL__N_116addr_kernel_cudaERNS_14TensorIteratorERKN3c106ScalarES9_ENKUlvE_clEvENKUlvE7_clEvEUlNS6_7complexIfEESD_SD_E0_EEvRNS_18TensorIteratorBaseERKT_EUlibE_EEviT1_, .Lfunc_end157-_ZN2at6native32elementwise_kernel_manual_unrollILi128ELi4EZNS0_22gpu_kernel_impl_nocastIZZZNS0_12_GLOBAL__N_116addr_kernel_cudaERNS_14TensorIteratorERKN3c106ScalarES9_ENKUlvE_clEvENKUlvE7_clEvEUlNS6_7complexIfEESD_SD_E0_EEvRNS_18TensorIteratorBaseERKT_EUlibE_EEviT1_
                                        ; -- End function
	.set _ZN2at6native32elementwise_kernel_manual_unrollILi128ELi4EZNS0_22gpu_kernel_impl_nocastIZZZNS0_12_GLOBAL__N_116addr_kernel_cudaERNS_14TensorIteratorERKN3c106ScalarES9_ENKUlvE_clEvENKUlvE7_clEvEUlNS6_7complexIfEESD_SD_E0_EEvRNS_18TensorIteratorBaseERKT_EUlibE_EEviT1_.num_vgpr, 46
	.set _ZN2at6native32elementwise_kernel_manual_unrollILi128ELi4EZNS0_22gpu_kernel_impl_nocastIZZZNS0_12_GLOBAL__N_116addr_kernel_cudaERNS_14TensorIteratorERKN3c106ScalarES9_ENKUlvE_clEvENKUlvE7_clEvEUlNS6_7complexIfEESD_SD_E0_EEvRNS_18TensorIteratorBaseERKT_EUlibE_EEviT1_.num_agpr, 0
	.set _ZN2at6native32elementwise_kernel_manual_unrollILi128ELi4EZNS0_22gpu_kernel_impl_nocastIZZZNS0_12_GLOBAL__N_116addr_kernel_cudaERNS_14TensorIteratorERKN3c106ScalarES9_ENKUlvE_clEvENKUlvE7_clEvEUlNS6_7complexIfEESD_SD_E0_EEvRNS_18TensorIteratorBaseERKT_EUlibE_EEviT1_.numbered_sgpr, 60
	.set _ZN2at6native32elementwise_kernel_manual_unrollILi128ELi4EZNS0_22gpu_kernel_impl_nocastIZZZNS0_12_GLOBAL__N_116addr_kernel_cudaERNS_14TensorIteratorERKN3c106ScalarES9_ENKUlvE_clEvENKUlvE7_clEvEUlNS6_7complexIfEESD_SD_E0_EEvRNS_18TensorIteratorBaseERKT_EUlibE_EEviT1_.num_named_barrier, 0
	.set _ZN2at6native32elementwise_kernel_manual_unrollILi128ELi4EZNS0_22gpu_kernel_impl_nocastIZZZNS0_12_GLOBAL__N_116addr_kernel_cudaERNS_14TensorIteratorERKN3c106ScalarES9_ENKUlvE_clEvENKUlvE7_clEvEUlNS6_7complexIfEESD_SD_E0_EEvRNS_18TensorIteratorBaseERKT_EUlibE_EEviT1_.private_seg_size, 0
	.set _ZN2at6native32elementwise_kernel_manual_unrollILi128ELi4EZNS0_22gpu_kernel_impl_nocastIZZZNS0_12_GLOBAL__N_116addr_kernel_cudaERNS_14TensorIteratorERKN3c106ScalarES9_ENKUlvE_clEvENKUlvE7_clEvEUlNS6_7complexIfEESD_SD_E0_EEvRNS_18TensorIteratorBaseERKT_EUlibE_EEviT1_.uses_vcc, 1
	.set _ZN2at6native32elementwise_kernel_manual_unrollILi128ELi4EZNS0_22gpu_kernel_impl_nocastIZZZNS0_12_GLOBAL__N_116addr_kernel_cudaERNS_14TensorIteratorERKN3c106ScalarES9_ENKUlvE_clEvENKUlvE7_clEvEUlNS6_7complexIfEESD_SD_E0_EEvRNS_18TensorIteratorBaseERKT_EUlibE_EEviT1_.uses_flat_scratch, 0
	.set _ZN2at6native32elementwise_kernel_manual_unrollILi128ELi4EZNS0_22gpu_kernel_impl_nocastIZZZNS0_12_GLOBAL__N_116addr_kernel_cudaERNS_14TensorIteratorERKN3c106ScalarES9_ENKUlvE_clEvENKUlvE7_clEvEUlNS6_7complexIfEESD_SD_E0_EEvRNS_18TensorIteratorBaseERKT_EUlibE_EEviT1_.has_dyn_sized_stack, 0
	.set _ZN2at6native32elementwise_kernel_manual_unrollILi128ELi4EZNS0_22gpu_kernel_impl_nocastIZZZNS0_12_GLOBAL__N_116addr_kernel_cudaERNS_14TensorIteratorERKN3c106ScalarES9_ENKUlvE_clEvENKUlvE7_clEvEUlNS6_7complexIfEESD_SD_E0_EEvRNS_18TensorIteratorBaseERKT_EUlibE_EEviT1_.has_recursion, 0
	.set _ZN2at6native32elementwise_kernel_manual_unrollILi128ELi4EZNS0_22gpu_kernel_impl_nocastIZZZNS0_12_GLOBAL__N_116addr_kernel_cudaERNS_14TensorIteratorERKN3c106ScalarES9_ENKUlvE_clEvENKUlvE7_clEvEUlNS6_7complexIfEESD_SD_E0_EEvRNS_18TensorIteratorBaseERKT_EUlibE_EEviT1_.has_indirect_call, 0
	.section	.AMDGPU.csdata,"",@progbits
; Kernel info:
; codeLenInByte = 6640
; TotalNumSgprs: 62
; NumVgprs: 46
; ScratchSize: 0
; MemoryBound: 0
; FloatMode: 240
; IeeeMode: 1
; LDSByteSize: 0 bytes/workgroup (compile time only)
; SGPRBlocks: 0
; VGPRBlocks: 2
; NumSGPRsForWavesPerEU: 62
; NumVGPRsForWavesPerEU: 46
; NamedBarCnt: 0
; Occupancy: 16
; WaveLimiterHint : 1
; COMPUTE_PGM_RSRC2:SCRATCH_EN: 0
; COMPUTE_PGM_RSRC2:USER_SGPR: 2
; COMPUTE_PGM_RSRC2:TRAP_HANDLER: 0
; COMPUTE_PGM_RSRC2:TGID_X_EN: 1
; COMPUTE_PGM_RSRC2:TGID_Y_EN: 0
; COMPUTE_PGM_RSRC2:TGID_Z_EN: 0
; COMPUTE_PGM_RSRC2:TIDIG_COMP_CNT: 0
	.section	.text._ZN2at6native32elementwise_kernel_manual_unrollILi128ELi4EZNS0_15gpu_kernel_implIZZZNS0_12_GLOBAL__N_116addr_kernel_cudaERNS_14TensorIteratorERKN3c106ScalarES9_ENKUlvE_clEvENKUlvE7_clEvEUlNS6_7complexIfEESD_SD_E0_EEvRNS_18TensorIteratorBaseERKT_EUlibE_EEviT1_,"axG",@progbits,_ZN2at6native32elementwise_kernel_manual_unrollILi128ELi4EZNS0_15gpu_kernel_implIZZZNS0_12_GLOBAL__N_116addr_kernel_cudaERNS_14TensorIteratorERKN3c106ScalarES9_ENKUlvE_clEvENKUlvE7_clEvEUlNS6_7complexIfEESD_SD_E0_EEvRNS_18TensorIteratorBaseERKT_EUlibE_EEviT1_,comdat
	.globl	_ZN2at6native32elementwise_kernel_manual_unrollILi128ELi4EZNS0_15gpu_kernel_implIZZZNS0_12_GLOBAL__N_116addr_kernel_cudaERNS_14TensorIteratorERKN3c106ScalarES9_ENKUlvE_clEvENKUlvE7_clEvEUlNS6_7complexIfEESD_SD_E0_EEvRNS_18TensorIteratorBaseERKT_EUlibE_EEviT1_ ; -- Begin function _ZN2at6native32elementwise_kernel_manual_unrollILi128ELi4EZNS0_15gpu_kernel_implIZZZNS0_12_GLOBAL__N_116addr_kernel_cudaERNS_14TensorIteratorERKN3c106ScalarES9_ENKUlvE_clEvENKUlvE7_clEvEUlNS6_7complexIfEESD_SD_E0_EEvRNS_18TensorIteratorBaseERKT_EUlibE_EEviT1_
	.p2align	8
	.type	_ZN2at6native32elementwise_kernel_manual_unrollILi128ELi4EZNS0_15gpu_kernel_implIZZZNS0_12_GLOBAL__N_116addr_kernel_cudaERNS_14TensorIteratorERKN3c106ScalarES9_ENKUlvE_clEvENKUlvE7_clEvEUlNS6_7complexIfEESD_SD_E0_EEvRNS_18TensorIteratorBaseERKT_EUlibE_EEviT1_,@function
_ZN2at6native32elementwise_kernel_manual_unrollILi128ELi4EZNS0_15gpu_kernel_implIZZZNS0_12_GLOBAL__N_116addr_kernel_cudaERNS_14TensorIteratorERKN3c106ScalarES9_ENKUlvE_clEvENKUlvE7_clEvEUlNS6_7complexIfEESD_SD_E0_EEvRNS_18TensorIteratorBaseERKT_EUlibE_EEviT1_: ; @_ZN2at6native32elementwise_kernel_manual_unrollILi128ELi4EZNS0_15gpu_kernel_implIZZZNS0_12_GLOBAL__N_116addr_kernel_cudaERNS_14TensorIteratorERKN3c106ScalarES9_ENKUlvE_clEvENKUlvE7_clEvEUlNS6_7complexIfEESD_SD_E0_EEvRNS_18TensorIteratorBaseERKT_EUlibE_EEviT1_
; %bb.0:
	s_load_b32 s20, s[0:1], 0x48
	s_bfe_u32 s3, ttmp6, 0x4000c
	s_clause 0x2
	s_load_b256 s[12:19], s[0:1], 0x28
	s_load_b32 s26, s[0:1], 0x0
	s_load_b256 s[4:11], s[0:1], 0x8
	s_add_co_i32 s3, s3, 1
	s_and_b32 s2, ttmp6, 15
	s_wait_xcnt 0x0
	s_mul_i32 s0, ttmp9, s3
	s_getreg_b32 s22, hwreg(HW_REG_IB_STS2, 6, 4)
	s_add_co_i32 s2, s2, s0
	s_mov_b32 s25, 0
	s_wait_kmcnt 0x0
	s_lshr_b32 s21, s20, 16
	s_lshr_b32 s23, s20, 8
	;; [unrolled: 1-line block ×3, first 2 shown]
	s_cmp_eq_u32 s22, 0
	s_mov_b32 s22, 0
	s_cselect_b32 s0, ttmp9, s2
	s_delay_alu instid0(SALU_CYCLE_1) | instskip(SKIP_1) | instid1(VALU_DEP_1)
	v_lshl_or_b32 v34, s0, 9, v0
	s_mov_b32 s0, exec_lo
	v_or_b32_e32 v0, 0x180, v34
	s_delay_alu instid0(VALU_DEP_1)
	v_cmpx_le_i32_e64 s26, v0
	s_xor_b32 s24, exec_lo, s0
	s_cbranch_execz .LBB158_2116
; %bb.1:
	s_mov_b32 s2, s19
	s_mov_b32 s3, s18
	s_mov_b32 s35, -1
	s_mov_b32 s31, 0
	s_mov_b32 s29, 0
	;; [unrolled: 1-line block ×4, first 2 shown]
	s_mov_b32 s30, exec_lo
	v_cmpx_gt_i32_e64 s26, v34
	s_cbranch_execz .LBB158_526
; %bb.2:
	v_mul_lo_u32 v0, v34, s13
	s_and_b32 s0, s23, 0xff
	s_delay_alu instid0(SALU_CYCLE_1) | instskip(NEXT) | instid1(VALU_DEP_1)
	s_cmp_lt_i32 s0, 11
	v_ashrrev_i32_e32 v1, 31, v0
	s_delay_alu instid0(VALU_DEP_1)
	v_add_nc_u64_e32 v[4:5], s[6:7], v[0:1]
	s_cbranch_scc1 .LBB158_9
; %bb.3:
	s_and_b32 s25, 0xffff, s0
	s_delay_alu instid0(SALU_CYCLE_1)
	s_cmp_gt_i32 s25, 25
	s_cbranch_scc0 .LBB158_18
; %bb.4:
	s_cmp_gt_i32 s25, 28
	s_cbranch_scc0 .LBB158_28
; %bb.5:
	s_cmp_gt_i32 s25, 43
	s_cbranch_scc0 .LBB158_31
; %bb.6:
	s_cmp_gt_i32 s25, 45
	s_cbranch_scc0 .LBB158_34
; %bb.7:
	s_cmp_eq_u32 s25, 46
	s_cbranch_scc0 .LBB158_37
; %bb.8:
	global_load_b32 v0, v[4:5], off
	s_mov_b32 s27, -1
	s_wait_loadcnt 0x0
	v_and_b32_e32 v2, 0xffff0000, v0
	v_lshlrev_b32_e32 v0, 16, v0
	s_branch .LBB158_39
.LBB158_9:
                                        ; implicit-def: $vgpr2
                                        ; implicit-def: $vgpr0
	s_cbranch_execnz .LBB158_103
.LBB158_10:
	s_and_not1_b32 vcc_lo, exec_lo, s27
	s_cbranch_vccnz .LBB158_152
.LBB158_11:
	s_wait_xcnt 0x0
	v_mul_lo_u32 v4, v34, s14
	s_and_b32 s0, s21, 0xff
	s_delay_alu instid0(SALU_CYCLE_1) | instskip(NEXT) | instid1(VALU_DEP_1)
	s_cmp_lt_i32 s0, 11
	v_ashrrev_i32_e32 v5, 31, v4
	s_delay_alu instid0(VALU_DEP_1)
	v_add_nc_u64_e32 v[6:7], s[8:9], v[4:5]
	s_cbranch_scc1 .LBB158_19
; %bb.12:
	s_and_b32 s25, 0xffff, s0
	s_delay_alu instid0(SALU_CYCLE_1)
	s_cmp_gt_i32 s25, 25
	s_cbranch_scc0 .LBB158_29
; %bb.13:
	s_cmp_gt_i32 s25, 28
	s_cbranch_scc0 .LBB158_32
; %bb.14:
	;; [unrolled: 3-line block ×4, first 2 shown]
	s_cmp_eq_u32 s25, 46
	s_mov_b32 s33, 0
	s_cbranch_scc0 .LBB158_157
; %bb.17:
	global_load_b32 v1, v[6:7], off
	s_mov_b32 s27, -1
	s_mov_b32 s28, 0
	s_wait_loadcnt 0x0
	v_and_b32_e32 v5, 0xffff0000, v1
	v_lshlrev_b32_e32 v4, 16, v1
	s_branch .LBB158_159
.LBB158_18:
                                        ; implicit-def: $vgpr2
                                        ; implicit-def: $vgpr0
	s_cbranch_execnz .LBB158_70
	s_branch .LBB158_102
.LBB158_19:
	s_mov_b32 s28, 0
	s_mov_b32 s27, 0
                                        ; implicit-def: $vgpr5
	s_cbranch_execnz .LBB158_224
.LBB158_20:
	s_and_not1_b32 vcc_lo, exec_lo, s27
	s_cbranch_vccnz .LBB158_274
.LBB158_21:
	s_wait_xcnt 0x0
	v_mul_lo_u32 v6, v34, s15
	s_and_b32 s0, 0xffff, s1
	s_delay_alu instid0(SALU_CYCLE_1) | instskip(NEXT) | instid1(VALU_DEP_1)
	s_cmp_lt_i32 s0, 11
	v_ashrrev_i32_e32 v7, 31, v6
	s_delay_alu instid0(VALU_DEP_1)
	v_add_nc_u64_e32 v[6:7], s[10:11], v[6:7]
	s_cbranch_scc1 .LBB158_30
; %bb.22:
	s_cmp_gt_i32 s0, 25
	s_cbranch_scc0 .LBB158_33
; %bb.23:
	s_cmp_gt_i32 s0, 28
	s_cbranch_scc0 .LBB158_36
	;; [unrolled: 3-line block ×4, first 2 shown]
; %bb.26:
	s_cmp_eq_u32 s0, 46
	s_mov_b32 s33, 0
	s_cbranch_scc0 .LBB158_279
; %bb.27:
	global_load_b32 v1, v[6:7], off
	s_mov_b32 s25, -1
	s_mov_b32 s27, 0
	s_wait_loadcnt 0x0
	v_and_b32_e32 v9, 0xffff0000, v1
	v_lshlrev_b32_e32 v8, 16, v1
	s_branch .LBB158_281
.LBB158_28:
	s_mov_b32 s28, -1
                                        ; implicit-def: $vgpr2
                                        ; implicit-def: $vgpr0
	s_branch .LBB158_53
.LBB158_29:
	s_mov_b32 s33, -1
	s_mov_b32 s28, 0
	s_mov_b32 s27, 0
                                        ; implicit-def: $vgpr5
	s_branch .LBB158_189
.LBB158_30:
	s_mov_b32 s33, -1
	s_mov_b32 s27, 0
	s_mov_b32 s25, 0
                                        ; implicit-def: $vgpr9
	s_branch .LBB158_345
.LBB158_31:
	s_mov_b32 s28, -1
                                        ; implicit-def: $vgpr2
                                        ; implicit-def: $vgpr0
	s_branch .LBB158_47
.LBB158_32:
	s_mov_b32 s33, -1
	s_mov_b32 s28, 0
	s_mov_b32 s27, 0
                                        ; implicit-def: $vgpr5
	s_branch .LBB158_172
.LBB158_33:
	s_mov_b32 s33, -1
	s_mov_b32 s27, 0
	s_mov_b32 s25, 0
                                        ; implicit-def: $vgpr9
	s_branch .LBB158_310
.LBB158_34:
	s_mov_b32 s28, -1
	s_branch .LBB158_38
.LBB158_35:
	s_mov_b32 s33, -1
	s_mov_b32 s28, 0
	s_mov_b32 s27, 0
                                        ; implicit-def: $vgpr5
	s_branch .LBB158_166
.LBB158_36:
	s_mov_b32 s33, -1
	s_mov_b32 s27, 0
	s_mov_b32 s25, 0
                                        ; implicit-def: $vgpr9
	s_branch .LBB158_293
.LBB158_37:
	s_mov_b32 s29, -1
.LBB158_38:
                                        ; implicit-def: $vgpr2
                                        ; implicit-def: $vgpr0
.LBB158_39:
	s_and_b32 vcc_lo, exec_lo, s28
	s_cbranch_vccz .LBB158_46
; %bb.40:
	s_cmp_eq_u32 s25, 44
	s_cbranch_scc0 .LBB158_44
; %bb.41:
	global_load_u8 v0, v[4:5], off
	s_mov_b32 s29, 0
	s_mov_b32 s27, -1
	s_wait_loadcnt 0x0
	v_lshlrev_b32_e32 v1, 23, v0
	v_cmp_ne_u32_e32 vcc_lo, 0xff, v0
	s_delay_alu instid0(VALU_DEP_2) | instskip(SKIP_1) | instid1(VALU_DEP_2)
	v_cndmask_b32_e32 v1, 0x7f800001, v1, vcc_lo
	v_cmp_ne_u32_e32 vcc_lo, 0, v0
	v_cndmask_b32_e32 v0, 0x400000, v1, vcc_lo
	s_branch .LBB158_45
.LBB158_42:
	s_mov_b32 s33, -1
	s_mov_b32 s28, 0
	s_branch .LBB158_158
.LBB158_43:
	s_mov_b32 s33, -1
	s_mov_b32 s27, 0
	s_mov_b32 s25, 0
                                        ; implicit-def: $vgpr9
	s_branch .LBB158_287
.LBB158_44:
	s_mov_b32 s29, -1
                                        ; implicit-def: $vgpr0
.LBB158_45:
	v_mov_b32_e32 v2, 0
.LBB158_46:
	s_mov_b32 s28, 0
.LBB158_47:
	s_delay_alu instid0(SALU_CYCLE_1)
	s_and_b32 vcc_lo, exec_lo, s28
	s_cbranch_vccz .LBB158_52
; %bb.48:
	s_cmp_eq_u32 s25, 29
	s_cbranch_scc0 .LBB158_50
; %bb.49:
	global_load_b64 v[0:1], v[4:5], off
	s_mov_b32 s27, -1
	s_mov_b32 s29, 0
	s_wait_loadcnt 0x0
	v_clz_i32_u32_e32 v2, v1
	s_delay_alu instid0(VALU_DEP_1) | instskip(NEXT) | instid1(VALU_DEP_1)
	v_min_u32_e32 v2, 32, v2
	v_lshlrev_b64_e32 v[0:1], v2, v[0:1]
	s_delay_alu instid0(VALU_DEP_1) | instskip(NEXT) | instid1(VALU_DEP_1)
	v_min_u32_e32 v0, 1, v0
	v_dual_sub_nc_u32 v1, 32, v2 :: v_dual_bitop2_b32 v0, v1, v0 bitop3:0x54
	s_delay_alu instid0(VALU_DEP_1) | instskip(NEXT) | instid1(VALU_DEP_1)
	v_cvt_f32_u32_e32 v0, v0
	v_ldexp_f32 v0, v0, v1
	s_branch .LBB158_51
.LBB158_50:
	s_mov_b32 s29, -1
                                        ; implicit-def: $vgpr0
.LBB158_51:
	v_mov_b32_e32 v2, 0
.LBB158_52:
	s_mov_b32 s28, 0
.LBB158_53:
	s_delay_alu instid0(SALU_CYCLE_1)
	s_and_b32 vcc_lo, exec_lo, s28
	s_cbranch_vccz .LBB158_69
; %bb.54:
	s_cmp_lt_i32 s25, 27
	s_cbranch_scc1 .LBB158_57
; %bb.55:
	s_cmp_gt_i32 s25, 27
	s_cbranch_scc0 .LBB158_58
; %bb.56:
	global_load_b32 v0, v[4:5], off
	s_mov_b32 s27, 0
	s_wait_loadcnt 0x0
	v_cvt_f32_u32_e32 v0, v0
	s_branch .LBB158_59
.LBB158_57:
	s_mov_b32 s27, -1
                                        ; implicit-def: $vgpr0
	s_branch .LBB158_62
.LBB158_58:
	s_mov_b32 s27, -1
                                        ; implicit-def: $vgpr0
.LBB158_59:
	s_delay_alu instid0(SALU_CYCLE_1)
	s_and_not1_b32 vcc_lo, exec_lo, s27
	s_cbranch_vccnz .LBB158_61
; %bb.60:
	global_load_u16 v0, v[4:5], off
	s_wait_loadcnt 0x0
	v_cvt_f32_u32_e32 v0, v0
.LBB158_61:
	s_mov_b32 s27, 0
.LBB158_62:
	s_delay_alu instid0(SALU_CYCLE_1)
	s_and_not1_b32 vcc_lo, exec_lo, s27
	s_cbranch_vccnz .LBB158_68
; %bb.63:
	global_load_u8 v1, v[4:5], off
	s_mov_b32 s27, 0
	s_mov_b32 s28, exec_lo
	s_wait_loadcnt 0x0
	v_cmpx_lt_i16_e32 0x7f, v1
	s_xor_b32 s28, exec_lo, s28
	s_cbranch_execnz .LBB158_80
; %bb.64:
	s_or_saveexec_b32 s28, s28
	v_mov_b32_e32 v0, 0x7f800001
	s_xor_b32 exec_lo, exec_lo, s28
	s_cbranch_execnz .LBB158_83
.LBB158_65:
	s_or_b32 exec_lo, exec_lo, s28
	s_and_saveexec_b32 s28, s27
	s_cbranch_execz .LBB158_67
.LBB158_66:
	v_and_b32_e32 v0, 0xffff, v1
	s_delay_alu instid0(VALU_DEP_1) | instskip(SKIP_1) | instid1(VALU_DEP_2)
	v_and_b32_e32 v2, 7, v0
	v_bfe_u32 v7, v0, 3, 4
	v_clz_i32_u32_e32 v3, v2
	s_delay_alu instid0(VALU_DEP_2) | instskip(NEXT) | instid1(VALU_DEP_2)
	v_cmp_eq_u32_e32 vcc_lo, 0, v7
	v_min_u32_e32 v3, 32, v3
	s_delay_alu instid0(VALU_DEP_1) | instskip(NEXT) | instid1(VALU_DEP_1)
	v_subrev_nc_u32_e32 v6, 28, v3
	v_dual_lshlrev_b32 v0, v6, v0 :: v_dual_sub_nc_u32 v3, 29, v3
	s_delay_alu instid0(VALU_DEP_1) | instskip(NEXT) | instid1(VALU_DEP_1)
	v_dual_lshlrev_b32 v1, 24, v1 :: v_dual_bitop2_b32 v0, 7, v0 bitop3:0x40
	v_dual_cndmask_b32 v3, v7, v3 :: v_dual_cndmask_b32 v0, v2, v0
	s_delay_alu instid0(VALU_DEP_2) | instskip(NEXT) | instid1(VALU_DEP_2)
	v_and_b32_e32 v1, 0x80000000, v1
	v_lshl_add_u32 v2, v3, 23, 0x3b800000
	s_delay_alu instid0(VALU_DEP_3) | instskip(NEXT) | instid1(VALU_DEP_1)
	v_lshlrev_b32_e32 v0, 20, v0
	v_or3_b32 v0, v1, v2, v0
.LBB158_67:
	s_or_b32 exec_lo, exec_lo, s28
.LBB158_68:
	v_mov_b32_e32 v2, 0
	s_mov_b32 s27, -1
.LBB158_69:
	s_branch .LBB158_102
.LBB158_70:
	s_cmp_gt_i32 s25, 22
	s_cbranch_scc0 .LBB158_78
; %bb.71:
	s_cmp_lt_i32 s25, 24
	s_cbranch_scc1 .LBB158_79
; %bb.72:
	s_cmp_gt_i32 s25, 24
	s_cbranch_scc0 .LBB158_84
; %bb.73:
	global_load_u8 v1, v[4:5], off
	s_mov_b32 s27, 0
	s_mov_b32 s28, exec_lo
	s_wait_loadcnt 0x0
	v_cmpx_lt_i16_e32 0x7f, v1
	s_xor_b32 s28, exec_lo, s28
	s_cbranch_execnz .LBB158_153
; %bb.74:
	s_or_saveexec_b32 s28, s28
	v_mov_b32_e32 v0, 0x7f800001
	s_xor_b32 exec_lo, exec_lo, s28
	s_cbranch_execnz .LBB158_156
.LBB158_75:
	s_or_b32 exec_lo, exec_lo, s28
	s_and_saveexec_b32 s28, s27
	s_cbranch_execz .LBB158_77
.LBB158_76:
	v_and_b32_e32 v0, 0xffff, v1
	s_delay_alu instid0(VALU_DEP_1) | instskip(SKIP_1) | instid1(VALU_DEP_2)
	v_and_b32_e32 v2, 3, v0
	v_bfe_u32 v7, v0, 2, 5
	v_clz_i32_u32_e32 v3, v2
	s_delay_alu instid0(VALU_DEP_2) | instskip(NEXT) | instid1(VALU_DEP_2)
	v_cmp_eq_u32_e32 vcc_lo, 0, v7
	v_min_u32_e32 v3, 32, v3
	s_delay_alu instid0(VALU_DEP_1) | instskip(NEXT) | instid1(VALU_DEP_1)
	v_subrev_nc_u32_e32 v6, 29, v3
	v_dual_lshlrev_b32 v0, v6, v0 :: v_dual_sub_nc_u32 v3, 30, v3
	s_delay_alu instid0(VALU_DEP_1) | instskip(NEXT) | instid1(VALU_DEP_1)
	v_dual_lshlrev_b32 v1, 24, v1 :: v_dual_bitop2_b32 v0, 3, v0 bitop3:0x40
	v_dual_cndmask_b32 v3, v7, v3 :: v_dual_cndmask_b32 v0, v2, v0
	s_delay_alu instid0(VALU_DEP_2) | instskip(NEXT) | instid1(VALU_DEP_2)
	v_and_b32_e32 v1, 0x80000000, v1
	v_lshl_add_u32 v2, v3, 23, 0x37800000
	s_delay_alu instid0(VALU_DEP_3) | instskip(NEXT) | instid1(VALU_DEP_1)
	v_lshlrev_b32_e32 v0, 21, v0
	v_or3_b32 v0, v1, v2, v0
.LBB158_77:
	s_or_b32 exec_lo, exec_lo, s28
	s_mov_b32 s27, 0
	s_branch .LBB158_85
.LBB158_78:
                                        ; implicit-def: $vgpr0
	s_branch .LBB158_91
.LBB158_79:
	s_mov_b32 s27, -1
                                        ; implicit-def: $vgpr0
	s_branch .LBB158_88
.LBB158_80:
	s_mov_b32 s27, -1
	s_mov_b32 s33, exec_lo
	v_cmpx_eq_u16_e32 0x80, v1
; %bb.81:
	s_xor_b32 s27, exec_lo, -1
; %bb.82:
	s_or_b32 exec_lo, exec_lo, s33
	s_delay_alu instid0(SALU_CYCLE_1)
	s_and_b32 s27, s27, exec_lo
	s_or_saveexec_b32 s28, s28
	v_mov_b32_e32 v0, 0x7f800001
	s_xor_b32 exec_lo, exec_lo, s28
	s_cbranch_execz .LBB158_65
.LBB158_83:
	v_cmp_ne_u16_e32 vcc_lo, 0, v1
	v_mov_b32_e32 v0, 0
	s_and_not1_b32 s27, s27, exec_lo
	s_and_b32 s33, vcc_lo, exec_lo
	s_delay_alu instid0(SALU_CYCLE_1)
	s_or_b32 s27, s27, s33
	s_or_b32 exec_lo, exec_lo, s28
	s_and_saveexec_b32 s28, s27
	s_cbranch_execnz .LBB158_66
	s_branch .LBB158_67
.LBB158_84:
	s_mov_b32 s27, -1
                                        ; implicit-def: $vgpr0
.LBB158_85:
	s_delay_alu instid0(SALU_CYCLE_1)
	s_and_b32 vcc_lo, exec_lo, s27
	s_cbranch_vccz .LBB158_87
; %bb.86:
	global_load_u8 v0, v[4:5], off
	s_wait_loadcnt 0x0
	v_lshlrev_b32_e32 v0, 24, v0
	s_delay_alu instid0(VALU_DEP_1) | instskip(NEXT) | instid1(VALU_DEP_1)
	v_and_b32_e32 v1, 0x7f000000, v0
	v_clz_i32_u32_e32 v2, v1
	v_cmp_ne_u32_e32 vcc_lo, 0, v1
	v_add_nc_u32_e32 v6, 0x1000000, v1
	s_delay_alu instid0(VALU_DEP_3) | instskip(NEXT) | instid1(VALU_DEP_1)
	v_min_u32_e32 v2, 32, v2
	v_sub_nc_u32_e64 v2, v2, 4 clamp
	s_delay_alu instid0(VALU_DEP_1) | instskip(NEXT) | instid1(VALU_DEP_1)
	v_dual_lshlrev_b32 v3, v2, v1 :: v_dual_lshlrev_b32 v2, 23, v2
	v_lshrrev_b32_e32 v3, 4, v3
	s_delay_alu instid0(VALU_DEP_1) | instskip(SKIP_1) | instid1(VALU_DEP_2)
	v_sub_nc_u32_e32 v2, v3, v2
	v_ashrrev_i32_e32 v3, 8, v6
	v_add_nc_u32_e32 v2, 0x3c000000, v2
	s_delay_alu instid0(VALU_DEP_1) | instskip(NEXT) | instid1(VALU_DEP_1)
	v_and_or_b32 v2, 0x7f800000, v3, v2
	v_cndmask_b32_e32 v1, 0, v2, vcc_lo
	s_delay_alu instid0(VALU_DEP_1)
	v_and_or_b32 v0, 0x80000000, v0, v1
.LBB158_87:
	s_mov_b32 s27, 0
.LBB158_88:
	s_delay_alu instid0(SALU_CYCLE_1)
	s_and_not1_b32 vcc_lo, exec_lo, s27
	s_cbranch_vccnz .LBB158_90
; %bb.89:
	global_load_u8 v0, v[4:5], off
	s_wait_loadcnt 0x0
	v_lshlrev_b32_e32 v1, 25, v0
	v_lshlrev_b16 v0, 8, v0
	s_delay_alu instid0(VALU_DEP_1) | instskip(SKIP_1) | instid1(VALU_DEP_2)
	v_and_or_b32 v3, 0x7f00, v0, 0.5
	v_bfe_i32 v0, v0, 0, 16
	v_dual_add_f32 v3, -0.5, v3 :: v_dual_lshrrev_b32 v2, 4, v1
	v_cmp_gt_u32_e32 vcc_lo, 0x8000000, v1
	s_delay_alu instid0(VALU_DEP_2) | instskip(NEXT) | instid1(VALU_DEP_1)
	v_or_b32_e32 v2, 0x70000000, v2
	v_mul_f32_e32 v2, 0x7800000, v2
	s_delay_alu instid0(VALU_DEP_1) | instskip(NEXT) | instid1(VALU_DEP_1)
	v_cndmask_b32_e32 v1, v2, v3, vcc_lo
	v_and_or_b32 v0, 0x80000000, v0, v1
.LBB158_90:
	s_mov_b32 s27, -1
	s_cbranch_execnz .LBB158_101
.LBB158_91:
	s_cmp_gt_i32 s25, 14
	s_cbranch_scc0 .LBB158_94
; %bb.92:
	s_cmp_eq_u32 s25, 15
	s_cbranch_scc0 .LBB158_95
; %bb.93:
	global_load_u16 v0, v[4:5], off
	s_mov_b32 s27, -1
	s_mov_b32 s29, 0
	s_wait_loadcnt 0x0
	v_lshlrev_b32_e32 v0, 16, v0
	s_branch .LBB158_96
.LBB158_94:
	s_mov_b32 s28, -1
                                        ; implicit-def: $vgpr0
	s_branch .LBB158_97
.LBB158_95:
	s_mov_b32 s29, -1
                                        ; implicit-def: $vgpr0
.LBB158_96:
	s_mov_b32 s28, 0
.LBB158_97:
	s_delay_alu instid0(SALU_CYCLE_1)
	s_and_b32 vcc_lo, exec_lo, s28
	s_cbranch_vccz .LBB158_101
; %bb.98:
	s_cmp_eq_u32 s25, 11
	s_cbranch_scc0 .LBB158_100
; %bb.99:
	global_load_u8 v0, v[4:5], off
	s_mov_b32 s29, 0
	s_mov_b32 s27, -1
	v_mov_b32_e32 v2, 0
	s_wait_loadcnt 0x0
	v_cmp_ne_u16_e32 vcc_lo, 0, v0
	v_cndmask_b32_e64 v0, 0, 1.0, vcc_lo
	s_branch .LBB158_102
.LBB158_100:
	s_mov_b32 s29, -1
                                        ; implicit-def: $vgpr0
.LBB158_101:
	v_mov_b32_e32 v2, 0
.LBB158_102:
	s_branch .LBB158_10
.LBB158_103:
	s_and_b32 s0, 0xffff, s0
	s_delay_alu instid0(SALU_CYCLE_1)
	s_cmp_lt_i32 s0, 5
	s_cbranch_scc1 .LBB158_108
; %bb.104:
	s_cmp_lt_i32 s0, 8
	s_cbranch_scc1 .LBB158_109
; %bb.105:
	;; [unrolled: 3-line block ×3, first 2 shown]
	s_cmp_gt_i32 s0, 9
	s_cbranch_scc0 .LBB158_111
; %bb.107:
	global_load_b128 v[0:3], v[4:5], off
	s_mov_b32 s25, 0
	s_wait_loadcnt 0x0
	v_cvt_f32_f64_e32 v0, v[0:1]
	v_cvt_f32_f64_e32 v2, v[2:3]
	s_branch .LBB158_112
.LBB158_108:
                                        ; implicit-def: $vgpr2
                                        ; implicit-def: $vgpr0
	s_branch .LBB158_131
.LBB158_109:
	s_mov_b32 s25, -1
                                        ; implicit-def: $vgpr2
                                        ; implicit-def: $vgpr0
	s_branch .LBB158_118
.LBB158_110:
	s_mov_b32 s25, -1
                                        ; implicit-def: $vgpr2
                                        ; implicit-def: $vgpr0
	s_branch .LBB158_115
.LBB158_111:
	s_mov_b32 s25, -1
                                        ; implicit-def: $vgpr2
                                        ; implicit-def: $vgpr0
.LBB158_112:
	s_delay_alu instid0(SALU_CYCLE_1)
	s_and_not1_b32 vcc_lo, exec_lo, s25
	s_cbranch_vccnz .LBB158_114
; %bb.113:
	global_load_b64 v[0:1], v[4:5], off
	s_wait_loadcnt 0x0
	v_mov_b32_e32 v2, v1
.LBB158_114:
	s_mov_b32 s25, 0
.LBB158_115:
	s_delay_alu instid0(SALU_CYCLE_1)
	s_and_not1_b32 vcc_lo, exec_lo, s25
	s_cbranch_vccnz .LBB158_117
; %bb.116:
	global_load_b32 v0, v[4:5], off
	s_wait_loadcnt 0x0
	v_lshrrev_b32_e32 v1, 16, v0
	v_cvt_f32_f16_e32 v0, v0
	s_delay_alu instid0(VALU_DEP_2)
	v_cvt_f32_f16_e32 v2, v1
.LBB158_117:
	s_mov_b32 s25, 0
.LBB158_118:
	s_delay_alu instid0(SALU_CYCLE_1)
	s_and_not1_b32 vcc_lo, exec_lo, s25
	s_cbranch_vccnz .LBB158_130
; %bb.119:
	s_cmp_lt_i32 s0, 6
	s_cbranch_scc1 .LBB158_122
; %bb.120:
	s_cmp_gt_i32 s0, 6
	s_cbranch_scc0 .LBB158_123
; %bb.121:
	global_load_b64 v[0:1], v[4:5], off
	s_mov_b32 s25, 0
	s_wait_loadcnt 0x0
	v_cvt_f32_f64_e32 v0, v[0:1]
	s_branch .LBB158_124
.LBB158_122:
	s_mov_b32 s25, -1
                                        ; implicit-def: $vgpr0
	s_branch .LBB158_127
.LBB158_123:
	s_mov_b32 s25, -1
                                        ; implicit-def: $vgpr0
.LBB158_124:
	s_delay_alu instid0(SALU_CYCLE_1)
	s_and_not1_b32 vcc_lo, exec_lo, s25
	s_cbranch_vccnz .LBB158_126
; %bb.125:
	global_load_b32 v0, v[4:5], off
.LBB158_126:
	s_mov_b32 s25, 0
.LBB158_127:
	s_delay_alu instid0(SALU_CYCLE_1)
	s_and_not1_b32 vcc_lo, exec_lo, s25
	s_cbranch_vccnz .LBB158_129
; %bb.128:
	s_wait_loadcnt 0x0
	global_load_u16 v0, v[4:5], off
	s_wait_loadcnt 0x0
	v_cvt_f32_f16_e32 v0, v0
.LBB158_129:
	v_mov_b32_e32 v2, 0
.LBB158_130:
	s_cbranch_execnz .LBB158_151
.LBB158_131:
	s_cmp_lt_i32 s0, 2
	s_cbranch_scc1 .LBB158_135
; %bb.132:
	s_cmp_lt_i32 s0, 3
	s_cbranch_scc1 .LBB158_136
; %bb.133:
	s_cmp_gt_i32 s0, 3
	s_cbranch_scc0 .LBB158_137
; %bb.134:
	s_wait_loadcnt 0x0
	global_load_b64 v[0:1], v[4:5], off
	s_mov_b32 s25, 0
	s_wait_loadcnt 0x0
	v_xor_b32_e32 v2, v0, v1
	v_cls_i32_e32 v3, v1
	s_delay_alu instid0(VALU_DEP_2) | instskip(NEXT) | instid1(VALU_DEP_1)
	v_ashrrev_i32_e32 v2, 31, v2
	v_add_nc_u32_e32 v2, 32, v2
	s_delay_alu instid0(VALU_DEP_1) | instskip(NEXT) | instid1(VALU_DEP_1)
	v_add_min_u32_e64 v2, v3, -1, v2
	v_lshlrev_b64_e32 v[0:1], v2, v[0:1]
	s_delay_alu instid0(VALU_DEP_1) | instskip(NEXT) | instid1(VALU_DEP_1)
	v_min_u32_e32 v0, 1, v0
	v_dual_sub_nc_u32 v1, 32, v2 :: v_dual_bitop2_b32 v0, v1, v0 bitop3:0x54
	s_delay_alu instid0(VALU_DEP_1) | instskip(NEXT) | instid1(VALU_DEP_1)
	v_cvt_f32_i32_e32 v0, v0
	v_ldexp_f32 v0, v0, v1
	s_branch .LBB158_138
.LBB158_135:
	s_mov_b32 s25, -1
                                        ; implicit-def: $vgpr0
	s_branch .LBB158_144
.LBB158_136:
	s_mov_b32 s25, -1
                                        ; implicit-def: $vgpr0
	s_branch .LBB158_141
.LBB158_137:
	s_mov_b32 s25, -1
                                        ; implicit-def: $vgpr0
.LBB158_138:
	s_delay_alu instid0(SALU_CYCLE_1)
	s_and_not1_b32 vcc_lo, exec_lo, s25
	s_cbranch_vccnz .LBB158_140
; %bb.139:
	s_wait_loadcnt 0x0
	global_load_b32 v0, v[4:5], off
	s_wait_loadcnt 0x0
	v_cvt_f32_i32_e32 v0, v0
.LBB158_140:
	s_mov_b32 s25, 0
.LBB158_141:
	s_delay_alu instid0(SALU_CYCLE_1)
	s_and_not1_b32 vcc_lo, exec_lo, s25
	s_cbranch_vccnz .LBB158_143
; %bb.142:
	s_wait_loadcnt 0x0
	global_load_i16 v0, v[4:5], off
	s_wait_loadcnt 0x0
	v_cvt_f32_i32_e32 v0, v0
.LBB158_143:
	s_mov_b32 s25, 0
.LBB158_144:
	s_delay_alu instid0(SALU_CYCLE_1)
	s_and_not1_b32 vcc_lo, exec_lo, s25
	s_cbranch_vccnz .LBB158_150
; %bb.145:
	s_cmp_gt_i32 s0, 0
	s_mov_b32 s0, 0
	s_cbranch_scc0 .LBB158_147
; %bb.146:
	s_wait_loadcnt 0x0
	global_load_i8 v0, v[4:5], off
	s_wait_loadcnt 0x0
	v_cvt_f32_i32_e32 v0, v0
	s_branch .LBB158_148
.LBB158_147:
	s_mov_b32 s0, -1
                                        ; implicit-def: $vgpr0
.LBB158_148:
	s_delay_alu instid0(SALU_CYCLE_1)
	s_and_not1_b32 vcc_lo, exec_lo, s0
	s_cbranch_vccnz .LBB158_150
; %bb.149:
	s_wait_loadcnt 0x0
	global_load_u8 v0, v[4:5], off
	s_wait_loadcnt 0x0
	v_cvt_f32_ubyte0_e32 v0, v0
.LBB158_150:
	v_mov_b32_e32 v2, 0
.LBB158_151:
	s_branch .LBB158_11
.LBB158_152:
	s_mov_b32 s0, 0
	s_mov_b32 s27, 0
	;; [unrolled: 1-line block ×3, first 2 shown]
	s_branch .LBB158_524
.LBB158_153:
	s_mov_b32 s27, -1
	s_mov_b32 s33, exec_lo
	v_cmpx_eq_u16_e32 0x80, v1
; %bb.154:
	s_xor_b32 s27, exec_lo, -1
; %bb.155:
	s_or_b32 exec_lo, exec_lo, s33
	s_delay_alu instid0(SALU_CYCLE_1)
	s_and_b32 s27, s27, exec_lo
	s_or_saveexec_b32 s28, s28
	v_mov_b32_e32 v0, 0x7f800001
	s_xor_b32 exec_lo, exec_lo, s28
	s_cbranch_execz .LBB158_75
.LBB158_156:
	v_cmp_ne_u16_e32 vcc_lo, 0, v1
	v_mov_b32_e32 v0, 0
	s_and_not1_b32 s27, s27, exec_lo
	s_and_b32 s33, vcc_lo, exec_lo
	s_delay_alu instid0(SALU_CYCLE_1)
	s_or_b32 s27, s27, s33
	s_or_b32 exec_lo, exec_lo, s28
	s_and_saveexec_b32 s28, s27
	s_cbranch_execnz .LBB158_76
	s_branch .LBB158_77
.LBB158_157:
	s_mov_b32 s28, -1
.LBB158_158:
	s_mov_b32 s27, 0
                                        ; implicit-def: $vgpr5
.LBB158_159:
	s_and_b32 vcc_lo, exec_lo, s33
	s_cbranch_vccz .LBB158_165
; %bb.160:
	s_cmp_eq_u32 s25, 44
	s_cbranch_scc0 .LBB158_163
; %bb.161:
	global_load_u8 v1, v[6:7], off
	s_mov_b32 s28, 0
	s_mov_b32 s27, -1
	s_wait_loadcnt 0x0
	v_lshlrev_b32_e32 v3, 23, v1
	v_cmp_ne_u32_e32 vcc_lo, 0xff, v1
	s_delay_alu instid0(VALU_DEP_2) | instskip(SKIP_1) | instid1(VALU_DEP_2)
	v_cndmask_b32_e32 v3, 0x7f800001, v3, vcc_lo
	v_cmp_ne_u32_e32 vcc_lo, 0, v1
	v_cndmask_b32_e32 v4, 0x400000, v3, vcc_lo
	s_branch .LBB158_164
.LBB158_162:
	s_mov_b32 s33, -1
	s_mov_b32 s27, 0
	s_branch .LBB158_280
.LBB158_163:
	s_mov_b32 s28, -1
                                        ; implicit-def: $vgpr4
.LBB158_164:
	v_mov_b32_e32 v5, 0
.LBB158_165:
	s_mov_b32 s33, 0
.LBB158_166:
	s_delay_alu instid0(SALU_CYCLE_1)
	s_and_b32 vcc_lo, exec_lo, s33
	s_cbranch_vccz .LBB158_171
; %bb.167:
	s_cmp_eq_u32 s25, 29
	s_cbranch_scc0 .LBB158_169
; %bb.168:
	global_load_b64 v[4:5], v[6:7], off
	s_mov_b32 s27, -1
	s_mov_b32 s28, 0
	s_wait_loadcnt 0x0
	v_clz_i32_u32_e32 v1, v5
	s_delay_alu instid0(VALU_DEP_1) | instskip(NEXT) | instid1(VALU_DEP_1)
	v_min_u32_e32 v1, 32, v1
	v_lshlrev_b64_e32 v[4:5], v1, v[4:5]
	v_sub_nc_u32_e32 v1, 32, v1
	s_delay_alu instid0(VALU_DEP_2) | instskip(NEXT) | instid1(VALU_DEP_1)
	v_min_u32_e32 v3, 1, v4
	v_or_b32_e32 v3, v5, v3
	s_delay_alu instid0(VALU_DEP_1) | instskip(NEXT) | instid1(VALU_DEP_1)
	v_cvt_f32_u32_e32 v3, v3
	v_ldexp_f32 v4, v3, v1
	s_branch .LBB158_170
.LBB158_169:
	s_mov_b32 s28, -1
                                        ; implicit-def: $vgpr4
.LBB158_170:
	v_mov_b32_e32 v5, 0
.LBB158_171:
	s_mov_b32 s33, 0
.LBB158_172:
	s_delay_alu instid0(SALU_CYCLE_1)
	s_and_b32 vcc_lo, exec_lo, s33
	s_cbranch_vccz .LBB158_188
; %bb.173:
	s_cmp_lt_i32 s25, 27
	s_cbranch_scc1 .LBB158_176
; %bb.174:
	s_cmp_gt_i32 s25, 27
	s_cbranch_scc0 .LBB158_177
; %bb.175:
	global_load_b32 v1, v[6:7], off
	s_mov_b32 s27, 0
	s_wait_loadcnt 0x0
	v_cvt_f32_u32_e32 v4, v1
	s_branch .LBB158_178
.LBB158_176:
	s_mov_b32 s27, -1
                                        ; implicit-def: $vgpr4
	s_branch .LBB158_181
.LBB158_177:
	s_mov_b32 s27, -1
                                        ; implicit-def: $vgpr4
.LBB158_178:
	s_delay_alu instid0(SALU_CYCLE_1)
	s_and_not1_b32 vcc_lo, exec_lo, s27
	s_cbranch_vccnz .LBB158_180
; %bb.179:
	global_load_u16 v1, v[6:7], off
	s_wait_loadcnt 0x0
	v_cvt_f32_u32_e32 v4, v1
.LBB158_180:
	s_mov_b32 s27, 0
.LBB158_181:
	s_delay_alu instid0(SALU_CYCLE_1)
	s_and_not1_b32 vcc_lo, exec_lo, s27
	s_cbranch_vccnz .LBB158_187
; %bb.182:
	global_load_u8 v1, v[6:7], off
	s_mov_b32 s27, 0
	s_mov_b32 s33, exec_lo
	s_wait_loadcnt 0x0
	v_cmpx_lt_i16_e32 0x7f, v1
	s_xor_b32 s33, exec_lo, s33
	s_cbranch_execnz .LBB158_200
; %bb.183:
	s_or_saveexec_b32 s33, s33
	v_mov_b32_e32 v4, 0x7f800001
	s_xor_b32 exec_lo, exec_lo, s33
	s_cbranch_execnz .LBB158_203
.LBB158_184:
	s_or_b32 exec_lo, exec_lo, s33
	s_and_saveexec_b32 s33, s27
	s_cbranch_execz .LBB158_186
.LBB158_185:
	v_and_b32_e32 v3, 0xffff, v1
	s_delay_alu instid0(VALU_DEP_1) | instskip(SKIP_1) | instid1(VALU_DEP_2)
	v_and_b32_e32 v4, 7, v3
	v_bfe_u32 v9, v3, 3, 4
	v_clz_i32_u32_e32 v5, v4
	s_delay_alu instid0(VALU_DEP_2) | instskip(NEXT) | instid1(VALU_DEP_2)
	v_cmp_eq_u32_e32 vcc_lo, 0, v9
	v_min_u32_e32 v5, 32, v5
	s_delay_alu instid0(VALU_DEP_1) | instskip(NEXT) | instid1(VALU_DEP_1)
	v_subrev_nc_u32_e32 v8, 28, v5
	v_dual_lshlrev_b32 v3, v8, v3 :: v_dual_sub_nc_u32 v5, 29, v5
	s_delay_alu instid0(VALU_DEP_1) | instskip(NEXT) | instid1(VALU_DEP_1)
	v_dual_lshlrev_b32 v1, 24, v1 :: v_dual_bitop2_b32 v3, 7, v3 bitop3:0x40
	v_dual_cndmask_b32 v3, v4, v3, vcc_lo :: v_dual_cndmask_b32 v5, v9, v5, vcc_lo
	s_delay_alu instid0(VALU_DEP_2) | instskip(NEXT) | instid1(VALU_DEP_2)
	v_and_b32_e32 v1, 0x80000000, v1
	v_lshlrev_b32_e32 v3, 20, v3
	s_delay_alu instid0(VALU_DEP_3) | instskip(NEXT) | instid1(VALU_DEP_1)
	v_lshl_add_u32 v4, v5, 23, 0x3b800000
	v_or3_b32 v4, v1, v4, v3
.LBB158_186:
	s_or_b32 exec_lo, exec_lo, s33
.LBB158_187:
	v_mov_b32_e32 v5, 0
	s_mov_b32 s27, -1
.LBB158_188:
	s_mov_b32 s33, 0
.LBB158_189:
	s_delay_alu instid0(SALU_CYCLE_1)
	s_and_b32 vcc_lo, exec_lo, s33
	s_cbranch_vccz .LBB158_223
; %bb.190:
	s_cmp_gt_i32 s25, 22
	s_cbranch_scc0 .LBB158_198
; %bb.191:
	s_cmp_lt_i32 s25, 24
	s_cbranch_scc1 .LBB158_199
; %bb.192:
	s_cmp_gt_i32 s25, 24
	s_cbranch_scc0 .LBB158_204
; %bb.193:
	global_load_u8 v1, v[6:7], off
	s_mov_b32 s27, 0
	s_mov_b32 s33, exec_lo
	s_wait_loadcnt 0x0
	v_cmpx_lt_i16_e32 0x7f, v1
	s_xor_b32 s33, exec_lo, s33
	s_cbranch_execnz .LBB158_275
; %bb.194:
	s_or_saveexec_b32 s33, s33
	v_mov_b32_e32 v4, 0x7f800001
	s_xor_b32 exec_lo, exec_lo, s33
	s_cbranch_execnz .LBB158_278
.LBB158_195:
	s_or_b32 exec_lo, exec_lo, s33
	s_and_saveexec_b32 s33, s27
	s_cbranch_execz .LBB158_197
.LBB158_196:
	v_and_b32_e32 v3, 0xffff, v1
	s_delay_alu instid0(VALU_DEP_1) | instskip(SKIP_1) | instid1(VALU_DEP_2)
	v_and_b32_e32 v4, 3, v3
	v_bfe_u32 v9, v3, 2, 5
	v_clz_i32_u32_e32 v5, v4
	s_delay_alu instid0(VALU_DEP_2) | instskip(NEXT) | instid1(VALU_DEP_2)
	v_cmp_eq_u32_e32 vcc_lo, 0, v9
	v_min_u32_e32 v5, 32, v5
	s_delay_alu instid0(VALU_DEP_1) | instskip(NEXT) | instid1(VALU_DEP_1)
	v_subrev_nc_u32_e32 v8, 29, v5
	v_dual_lshlrev_b32 v3, v8, v3 :: v_dual_sub_nc_u32 v5, 30, v5
	s_delay_alu instid0(VALU_DEP_1) | instskip(NEXT) | instid1(VALU_DEP_1)
	v_dual_lshlrev_b32 v1, 24, v1 :: v_dual_bitop2_b32 v3, 3, v3 bitop3:0x40
	v_dual_cndmask_b32 v3, v4, v3, vcc_lo :: v_dual_cndmask_b32 v5, v9, v5, vcc_lo
	s_delay_alu instid0(VALU_DEP_2) | instskip(NEXT) | instid1(VALU_DEP_2)
	v_and_b32_e32 v1, 0x80000000, v1
	v_lshlrev_b32_e32 v3, 21, v3
	s_delay_alu instid0(VALU_DEP_3) | instskip(NEXT) | instid1(VALU_DEP_1)
	v_lshl_add_u32 v4, v5, 23, 0x37800000
	v_or3_b32 v4, v1, v4, v3
.LBB158_197:
	s_or_b32 exec_lo, exec_lo, s33
	s_mov_b32 s27, 0
	s_branch .LBB158_205
.LBB158_198:
	s_mov_b32 s33, -1
                                        ; implicit-def: $vgpr4
	s_branch .LBB158_211
.LBB158_199:
	s_mov_b32 s27, -1
                                        ; implicit-def: $vgpr4
	s_branch .LBB158_208
.LBB158_200:
	s_mov_b32 s27, -1
	s_mov_b32 s34, exec_lo
	v_cmpx_eq_u16_e32 0x80, v1
; %bb.201:
	s_xor_b32 s27, exec_lo, -1
; %bb.202:
	s_or_b32 exec_lo, exec_lo, s34
	s_delay_alu instid0(SALU_CYCLE_1)
	s_and_b32 s27, s27, exec_lo
	s_or_saveexec_b32 s33, s33
	v_mov_b32_e32 v4, 0x7f800001
	s_xor_b32 exec_lo, exec_lo, s33
	s_cbranch_execz .LBB158_184
.LBB158_203:
	v_cmp_ne_u16_e32 vcc_lo, 0, v1
	v_mov_b32_e32 v4, 0
	s_and_not1_b32 s27, s27, exec_lo
	s_and_b32 s34, vcc_lo, exec_lo
	s_delay_alu instid0(SALU_CYCLE_1)
	s_or_b32 s27, s27, s34
	s_or_b32 exec_lo, exec_lo, s33
	s_and_saveexec_b32 s33, s27
	s_cbranch_execnz .LBB158_185
	s_branch .LBB158_186
.LBB158_204:
	s_mov_b32 s27, -1
                                        ; implicit-def: $vgpr4
.LBB158_205:
	s_delay_alu instid0(SALU_CYCLE_1)
	s_and_b32 vcc_lo, exec_lo, s27
	s_cbranch_vccz .LBB158_207
; %bb.206:
	global_load_u8 v1, v[6:7], off
	s_wait_loadcnt 0x0
	v_lshlrev_b32_e32 v1, 24, v1
	s_delay_alu instid0(VALU_DEP_1) | instskip(NEXT) | instid1(VALU_DEP_1)
	v_and_b32_e32 v3, 0x7f000000, v1
	v_clz_i32_u32_e32 v4, v3
	v_cmp_ne_u32_e32 vcc_lo, 0, v3
	v_add_nc_u32_e32 v8, 0x1000000, v3
	s_delay_alu instid0(VALU_DEP_3) | instskip(NEXT) | instid1(VALU_DEP_1)
	v_min_u32_e32 v4, 32, v4
	v_sub_nc_u32_e64 v4, v4, 4 clamp
	s_delay_alu instid0(VALU_DEP_1) | instskip(NEXT) | instid1(VALU_DEP_1)
	v_dual_lshlrev_b32 v5, v4, v3 :: v_dual_lshlrev_b32 v4, 23, v4
	v_lshrrev_b32_e32 v5, 4, v5
	s_delay_alu instid0(VALU_DEP_1) | instskip(SKIP_1) | instid1(VALU_DEP_2)
	v_sub_nc_u32_e32 v4, v5, v4
	v_ashrrev_i32_e32 v5, 8, v8
	v_add_nc_u32_e32 v4, 0x3c000000, v4
	s_delay_alu instid0(VALU_DEP_1) | instskip(NEXT) | instid1(VALU_DEP_1)
	v_and_or_b32 v4, 0x7f800000, v5, v4
	v_cndmask_b32_e32 v3, 0, v4, vcc_lo
	s_delay_alu instid0(VALU_DEP_1)
	v_and_or_b32 v4, 0x80000000, v1, v3
.LBB158_207:
	s_mov_b32 s27, 0
.LBB158_208:
	s_delay_alu instid0(SALU_CYCLE_1)
	s_and_not1_b32 vcc_lo, exec_lo, s27
	s_cbranch_vccnz .LBB158_210
; %bb.209:
	global_load_u8 v1, v[6:7], off
	s_wait_loadcnt 0x0
	v_lshlrev_b32_e32 v3, 25, v1
	v_lshlrev_b16 v1, 8, v1
	s_delay_alu instid0(VALU_DEP_1) | instskip(NEXT) | instid1(VALU_DEP_3)
	v_and_or_b32 v5, 0x7f00, v1, 0.5
	v_lshrrev_b32_e32 v4, 4, v3
	v_bfe_i32 v1, v1, 0, 16
	s_delay_alu instid0(VALU_DEP_3) | instskip(NEXT) | instid1(VALU_DEP_3)
	v_add_f32_e32 v5, -0.5, v5
	v_or_b32_e32 v4, 0x70000000, v4
	s_delay_alu instid0(VALU_DEP_1) | instskip(SKIP_1) | instid1(VALU_DEP_2)
	v_mul_f32_e32 v4, 0x7800000, v4
	v_cmp_gt_u32_e32 vcc_lo, 0x8000000, v3
	v_cndmask_b32_e32 v3, v4, v5, vcc_lo
	s_delay_alu instid0(VALU_DEP_1)
	v_and_or_b32 v4, 0x80000000, v1, v3
.LBB158_210:
	s_mov_b32 s33, 0
	s_mov_b32 s27, -1
.LBB158_211:
	s_and_not1_b32 vcc_lo, exec_lo, s33
	s_cbranch_vccnz .LBB158_222
; %bb.212:
	s_cmp_gt_i32 s25, 14
	s_cbranch_scc0 .LBB158_215
; %bb.213:
	s_cmp_eq_u32 s25, 15
	s_cbranch_scc0 .LBB158_216
; %bb.214:
	global_load_u16 v1, v[6:7], off
	s_mov_b32 s27, -1
	s_mov_b32 s28, 0
	s_wait_loadcnt 0x0
	v_lshlrev_b32_e32 v4, 16, v1
	s_branch .LBB158_217
.LBB158_215:
	s_mov_b32 s33, -1
                                        ; implicit-def: $vgpr4
	s_branch .LBB158_218
.LBB158_216:
	s_mov_b32 s28, -1
                                        ; implicit-def: $vgpr4
.LBB158_217:
	s_mov_b32 s33, 0
.LBB158_218:
	s_delay_alu instid0(SALU_CYCLE_1)
	s_and_b32 vcc_lo, exec_lo, s33
	s_cbranch_vccz .LBB158_222
; %bb.219:
	s_cmp_eq_u32 s25, 11
	s_cbranch_scc0 .LBB158_221
; %bb.220:
	global_load_u8 v1, v[6:7], off
	s_mov_b32 s28, 0
	s_mov_b32 s27, -1
	v_mov_b32_e32 v5, 0
	s_wait_loadcnt 0x0
	v_cmp_ne_u16_e32 vcc_lo, 0, v1
	v_cndmask_b32_e64 v4, 0, 1.0, vcc_lo
	s_branch .LBB158_223
.LBB158_221:
	s_mov_b32 s28, -1
                                        ; implicit-def: $vgpr4
.LBB158_222:
	v_mov_b32_e32 v5, 0
.LBB158_223:
	s_branch .LBB158_20
.LBB158_224:
	s_and_b32 s0, 0xffff, s0
	s_delay_alu instid0(SALU_CYCLE_1)
	s_cmp_lt_i32 s0, 5
	s_cbranch_scc1 .LBB158_229
; %bb.225:
	s_cmp_lt_i32 s0, 8
	s_cbranch_scc1 .LBB158_230
; %bb.226:
	;; [unrolled: 3-line block ×3, first 2 shown]
	s_cmp_gt_i32 s0, 9
	s_cbranch_scc0 .LBB158_232
; %bb.228:
	global_load_b128 v[8:11], v[6:7], off
	s_mov_b32 s25, 0
	s_wait_loadcnt 0x0
	v_cvt_f32_f64_e32 v4, v[8:9]
	v_cvt_f32_f64_e32 v5, v[10:11]
	s_branch .LBB158_233
.LBB158_229:
	s_mov_b32 s25, -1
                                        ; implicit-def: $vgpr5
	s_branch .LBB158_252
.LBB158_230:
	s_mov_b32 s25, -1
                                        ; implicit-def: $vgpr5
	s_branch .LBB158_239
.LBB158_231:
	s_mov_b32 s25, -1
                                        ; implicit-def: $vgpr5
	s_branch .LBB158_236
.LBB158_232:
	s_mov_b32 s25, -1
                                        ; implicit-def: $vgpr5
.LBB158_233:
	s_delay_alu instid0(SALU_CYCLE_1)
	s_and_not1_b32 vcc_lo, exec_lo, s25
	s_cbranch_vccnz .LBB158_235
; %bb.234:
	global_load_b64 v[4:5], v[6:7], off
.LBB158_235:
	s_mov_b32 s25, 0
.LBB158_236:
	s_delay_alu instid0(SALU_CYCLE_1)
	s_and_not1_b32 vcc_lo, exec_lo, s25
	s_cbranch_vccnz .LBB158_238
; %bb.237:
	global_load_b32 v1, v[6:7], off
	s_wait_loadcnt 0x0
	v_lshrrev_b32_e32 v3, 16, v1
	v_cvt_f32_f16_e32 v4, v1
	s_delay_alu instid0(VALU_DEP_2)
	v_cvt_f32_f16_e32 v5, v3
.LBB158_238:
	s_mov_b32 s25, 0
.LBB158_239:
	s_delay_alu instid0(SALU_CYCLE_1)
	s_and_not1_b32 vcc_lo, exec_lo, s25
	s_cbranch_vccnz .LBB158_251
; %bb.240:
	s_cmp_lt_i32 s0, 6
	s_cbranch_scc1 .LBB158_243
; %bb.241:
	s_cmp_gt_i32 s0, 6
	s_cbranch_scc0 .LBB158_244
; %bb.242:
	s_wait_loadcnt 0x0
	global_load_b64 v[4:5], v[6:7], off
	s_mov_b32 s25, 0
	s_wait_loadcnt 0x0
	v_cvt_f32_f64_e32 v4, v[4:5]
	s_branch .LBB158_245
.LBB158_243:
	s_mov_b32 s25, -1
                                        ; implicit-def: $vgpr4
	s_branch .LBB158_248
.LBB158_244:
	s_mov_b32 s25, -1
                                        ; implicit-def: $vgpr4
.LBB158_245:
	s_delay_alu instid0(SALU_CYCLE_1)
	s_and_not1_b32 vcc_lo, exec_lo, s25
	s_cbranch_vccnz .LBB158_247
; %bb.246:
	s_wait_loadcnt 0x0
	global_load_b32 v4, v[6:7], off
.LBB158_247:
	s_mov_b32 s25, 0
.LBB158_248:
	s_delay_alu instid0(SALU_CYCLE_1)
	s_and_not1_b32 vcc_lo, exec_lo, s25
	s_cbranch_vccnz .LBB158_250
; %bb.249:
	global_load_u16 v1, v[6:7], off
	s_wait_loadcnt 0x0
	v_cvt_f32_f16_e32 v4, v1
.LBB158_250:
	s_wait_loadcnt 0x0
	v_mov_b32_e32 v5, 0
.LBB158_251:
	s_mov_b32 s25, 0
.LBB158_252:
	s_delay_alu instid0(SALU_CYCLE_1)
	s_and_not1_b32 vcc_lo, exec_lo, s25
	s_cbranch_vccnz .LBB158_273
; %bb.253:
	s_cmp_lt_i32 s0, 2
	s_cbranch_scc1 .LBB158_257
; %bb.254:
	s_cmp_lt_i32 s0, 3
	s_cbranch_scc1 .LBB158_258
; %bb.255:
	s_cmp_gt_i32 s0, 3
	s_cbranch_scc0 .LBB158_259
; %bb.256:
	s_wait_loadcnt 0x0
	global_load_b64 v[4:5], v[6:7], off
	s_mov_b32 s25, 0
	s_wait_loadcnt 0x0
	v_xor_b32_e32 v1, v4, v5
	v_cls_i32_e32 v3, v5
	s_delay_alu instid0(VALU_DEP_2) | instskip(NEXT) | instid1(VALU_DEP_1)
	v_ashrrev_i32_e32 v1, 31, v1
	v_add_nc_u32_e32 v1, 32, v1
	s_delay_alu instid0(VALU_DEP_1) | instskip(NEXT) | instid1(VALU_DEP_1)
	v_add_min_u32_e64 v1, v3, -1, v1
	v_lshlrev_b64_e32 v[4:5], v1, v[4:5]
	v_sub_nc_u32_e32 v1, 32, v1
	s_delay_alu instid0(VALU_DEP_2) | instskip(NEXT) | instid1(VALU_DEP_1)
	v_min_u32_e32 v3, 1, v4
	v_or_b32_e32 v3, v5, v3
	s_delay_alu instid0(VALU_DEP_1) | instskip(NEXT) | instid1(VALU_DEP_1)
	v_cvt_f32_i32_e32 v3, v3
	v_ldexp_f32 v4, v3, v1
	s_branch .LBB158_260
.LBB158_257:
	s_mov_b32 s25, -1
                                        ; implicit-def: $vgpr4
	s_branch .LBB158_266
.LBB158_258:
	s_mov_b32 s25, -1
                                        ; implicit-def: $vgpr4
	s_branch .LBB158_263
.LBB158_259:
	s_mov_b32 s25, -1
                                        ; implicit-def: $vgpr4
.LBB158_260:
	s_delay_alu instid0(SALU_CYCLE_1)
	s_and_not1_b32 vcc_lo, exec_lo, s25
	s_cbranch_vccnz .LBB158_262
; %bb.261:
	global_load_b32 v1, v[6:7], off
	s_wait_loadcnt 0x0
	v_cvt_f32_i32_e32 v4, v1
.LBB158_262:
	s_mov_b32 s25, 0
.LBB158_263:
	s_delay_alu instid0(SALU_CYCLE_1)
	s_and_not1_b32 vcc_lo, exec_lo, s25
	s_cbranch_vccnz .LBB158_265
; %bb.264:
	global_load_i16 v1, v[6:7], off
	s_wait_loadcnt 0x0
	v_cvt_f32_i32_e32 v4, v1
.LBB158_265:
	s_mov_b32 s25, 0
.LBB158_266:
	s_delay_alu instid0(SALU_CYCLE_1)
	s_and_not1_b32 vcc_lo, exec_lo, s25
	s_cbranch_vccnz .LBB158_272
; %bb.267:
	s_cmp_gt_i32 s0, 0
	s_mov_b32 s0, 0
	s_cbranch_scc0 .LBB158_269
; %bb.268:
	global_load_i8 v1, v[6:7], off
	s_wait_loadcnt 0x0
	v_cvt_f32_i32_e32 v4, v1
	s_branch .LBB158_270
.LBB158_269:
	s_mov_b32 s0, -1
                                        ; implicit-def: $vgpr4
.LBB158_270:
	s_delay_alu instid0(SALU_CYCLE_1)
	s_and_not1_b32 vcc_lo, exec_lo, s0
	s_cbranch_vccnz .LBB158_272
; %bb.271:
	global_load_u8 v1, v[6:7], off
	s_wait_loadcnt 0x0
	v_cvt_f32_ubyte0_e32 v4, v1
.LBB158_272:
	s_wait_loadcnt 0x0
	v_mov_b32_e32 v5, 0
.LBB158_273:
	s_branch .LBB158_21
.LBB158_274:
	s_mov_b32 s0, 0
	s_mov_b32 s27, 0
	s_branch .LBB158_524
.LBB158_275:
	s_mov_b32 s27, -1
	s_mov_b32 s34, exec_lo
	v_cmpx_eq_u16_e32 0x80, v1
; %bb.276:
	s_xor_b32 s27, exec_lo, -1
; %bb.277:
	s_or_b32 exec_lo, exec_lo, s34
	s_delay_alu instid0(SALU_CYCLE_1)
	s_and_b32 s27, s27, exec_lo
	s_or_saveexec_b32 s33, s33
	v_mov_b32_e32 v4, 0x7f800001
	s_xor_b32 exec_lo, exec_lo, s33
	s_cbranch_execz .LBB158_195
.LBB158_278:
	v_cmp_ne_u16_e32 vcc_lo, 0, v1
	v_mov_b32_e32 v4, 0
	s_and_not1_b32 s27, s27, exec_lo
	s_and_b32 s34, vcc_lo, exec_lo
	s_delay_alu instid0(SALU_CYCLE_1)
	s_or_b32 s27, s27, s34
	s_or_b32 exec_lo, exec_lo, s33
	s_and_saveexec_b32 s33, s27
	s_cbranch_execnz .LBB158_196
	s_branch .LBB158_197
.LBB158_279:
	s_mov_b32 s27, -1
.LBB158_280:
	s_mov_b32 s25, 0
                                        ; implicit-def: $vgpr9
.LBB158_281:
	s_and_b32 vcc_lo, exec_lo, s33
	s_cbranch_vccz .LBB158_286
; %bb.282:
	s_cmp_eq_u32 s0, 44
	s_cbranch_scc0 .LBB158_284
; %bb.283:
	global_load_u8 v1, v[6:7], off
	s_mov_b32 s27, 0
	s_mov_b32 s25, -1
	s_wait_loadcnt 0x0
	v_lshlrev_b32_e32 v3, 23, v1
	v_cmp_ne_u32_e32 vcc_lo, 0xff, v1
	s_delay_alu instid0(VALU_DEP_2) | instskip(SKIP_1) | instid1(VALU_DEP_2)
	v_cndmask_b32_e32 v3, 0x7f800001, v3, vcc_lo
	v_cmp_ne_u32_e32 vcc_lo, 0, v1
	v_cndmask_b32_e32 v8, 0x400000, v3, vcc_lo
	s_branch .LBB158_285
.LBB158_284:
	s_mov_b32 s27, -1
                                        ; implicit-def: $vgpr8
.LBB158_285:
	v_mov_b32_e32 v9, 0
.LBB158_286:
	s_mov_b32 s33, 0
.LBB158_287:
	s_delay_alu instid0(SALU_CYCLE_1)
	s_and_b32 vcc_lo, exec_lo, s33
	s_cbranch_vccz .LBB158_292
; %bb.288:
	s_cmp_eq_u32 s0, 29
	s_cbranch_scc0 .LBB158_290
; %bb.289:
	global_load_b64 v[8:9], v[6:7], off
	s_mov_b32 s25, -1
	s_mov_b32 s27, 0
	s_wait_loadcnt 0x0
	v_clz_i32_u32_e32 v1, v9
	s_delay_alu instid0(VALU_DEP_1) | instskip(NEXT) | instid1(VALU_DEP_1)
	v_min_u32_e32 v1, 32, v1
	v_lshlrev_b64_e32 v[8:9], v1, v[8:9]
	v_sub_nc_u32_e32 v1, 32, v1
	s_delay_alu instid0(VALU_DEP_2) | instskip(NEXT) | instid1(VALU_DEP_1)
	v_min_u32_e32 v3, 1, v8
	v_or_b32_e32 v3, v9, v3
	s_delay_alu instid0(VALU_DEP_1) | instskip(NEXT) | instid1(VALU_DEP_1)
	v_cvt_f32_u32_e32 v3, v3
	v_ldexp_f32 v8, v3, v1
	s_branch .LBB158_291
.LBB158_290:
	s_mov_b32 s27, -1
                                        ; implicit-def: $vgpr8
.LBB158_291:
	v_mov_b32_e32 v9, 0
.LBB158_292:
	s_mov_b32 s33, 0
.LBB158_293:
	s_delay_alu instid0(SALU_CYCLE_1)
	s_and_b32 vcc_lo, exec_lo, s33
	s_cbranch_vccz .LBB158_309
; %bb.294:
	s_cmp_lt_i32 s0, 27
	s_cbranch_scc1 .LBB158_297
; %bb.295:
	s_cmp_gt_i32 s0, 27
	s_cbranch_scc0 .LBB158_298
; %bb.296:
	global_load_b32 v1, v[6:7], off
	s_mov_b32 s25, 0
	s_wait_loadcnt 0x0
	v_cvt_f32_u32_e32 v8, v1
	s_branch .LBB158_299
.LBB158_297:
	s_mov_b32 s25, -1
                                        ; implicit-def: $vgpr8
	s_branch .LBB158_302
.LBB158_298:
	s_mov_b32 s25, -1
                                        ; implicit-def: $vgpr8
.LBB158_299:
	s_delay_alu instid0(SALU_CYCLE_1)
	s_and_not1_b32 vcc_lo, exec_lo, s25
	s_cbranch_vccnz .LBB158_301
; %bb.300:
	global_load_u16 v1, v[6:7], off
	s_wait_loadcnt 0x0
	v_cvt_f32_u32_e32 v8, v1
.LBB158_301:
	s_mov_b32 s25, 0
.LBB158_302:
	s_delay_alu instid0(SALU_CYCLE_1)
	s_and_not1_b32 vcc_lo, exec_lo, s25
	s_cbranch_vccnz .LBB158_308
; %bb.303:
	global_load_u8 v1, v[6:7], off
	s_mov_b32 s25, 0
	s_mov_b32 s33, exec_lo
	s_wait_loadcnt 0x0
	v_cmpx_lt_i16_e32 0x7f, v1
	s_xor_b32 s33, exec_lo, s33
	s_cbranch_execnz .LBB158_321
; %bb.304:
	s_or_saveexec_b32 s33, s33
	v_mov_b32_e32 v8, 0x7f800001
	s_xor_b32 exec_lo, exec_lo, s33
	s_cbranch_execnz .LBB158_324
.LBB158_305:
	s_or_b32 exec_lo, exec_lo, s33
	s_and_saveexec_b32 s33, s25
	s_cbranch_execz .LBB158_307
.LBB158_306:
	v_and_b32_e32 v3, 0xffff, v1
	s_delay_alu instid0(VALU_DEP_1) | instskip(SKIP_1) | instid1(VALU_DEP_2)
	v_and_b32_e32 v8, 7, v3
	v_bfe_u32 v11, v3, 3, 4
	v_clz_i32_u32_e32 v9, v8
	s_delay_alu instid0(VALU_DEP_2) | instskip(NEXT) | instid1(VALU_DEP_2)
	v_cmp_eq_u32_e32 vcc_lo, 0, v11
	v_min_u32_e32 v9, 32, v9
	s_delay_alu instid0(VALU_DEP_1) | instskip(NEXT) | instid1(VALU_DEP_1)
	v_subrev_nc_u32_e32 v10, 28, v9
	v_dual_lshlrev_b32 v3, v10, v3 :: v_dual_sub_nc_u32 v9, 29, v9
	s_delay_alu instid0(VALU_DEP_1) | instskip(NEXT) | instid1(VALU_DEP_1)
	v_dual_lshlrev_b32 v1, 24, v1 :: v_dual_bitop2_b32 v3, 7, v3 bitop3:0x40
	v_dual_cndmask_b32 v3, v8, v3, vcc_lo :: v_dual_cndmask_b32 v9, v11, v9, vcc_lo
	s_delay_alu instid0(VALU_DEP_2) | instskip(NEXT) | instid1(VALU_DEP_2)
	v_and_b32_e32 v1, 0x80000000, v1
	v_lshlrev_b32_e32 v3, 20, v3
	s_delay_alu instid0(VALU_DEP_3) | instskip(NEXT) | instid1(VALU_DEP_1)
	v_lshl_add_u32 v8, v9, 23, 0x3b800000
	v_or3_b32 v8, v1, v8, v3
.LBB158_307:
	s_or_b32 exec_lo, exec_lo, s33
.LBB158_308:
	v_mov_b32_e32 v9, 0
	s_mov_b32 s25, -1
.LBB158_309:
	s_mov_b32 s33, 0
.LBB158_310:
	s_delay_alu instid0(SALU_CYCLE_1)
	s_and_b32 vcc_lo, exec_lo, s33
	s_cbranch_vccz .LBB158_344
; %bb.311:
	s_cmp_gt_i32 s0, 22
	s_cbranch_scc0 .LBB158_319
; %bb.312:
	s_cmp_lt_i32 s0, 24
	s_cbranch_scc1 .LBB158_320
; %bb.313:
	s_cmp_gt_i32 s0, 24
	s_cbranch_scc0 .LBB158_325
; %bb.314:
	global_load_u8 v1, v[6:7], off
	s_mov_b32 s25, 0
	s_mov_b32 s33, exec_lo
	s_wait_loadcnt 0x0
	v_cmpx_lt_i16_e32 0x7f, v1
	s_xor_b32 s33, exec_lo, s33
	s_cbranch_execnz .LBB158_409
; %bb.315:
	s_or_saveexec_b32 s33, s33
	v_mov_b32_e32 v8, 0x7f800001
	s_xor_b32 exec_lo, exec_lo, s33
	s_cbranch_execnz .LBB158_412
.LBB158_316:
	s_or_b32 exec_lo, exec_lo, s33
	s_and_saveexec_b32 s33, s25
	s_cbranch_execz .LBB158_318
.LBB158_317:
	v_and_b32_e32 v3, 0xffff, v1
	s_delay_alu instid0(VALU_DEP_1) | instskip(SKIP_1) | instid1(VALU_DEP_2)
	v_and_b32_e32 v8, 3, v3
	v_bfe_u32 v11, v3, 2, 5
	v_clz_i32_u32_e32 v9, v8
	s_delay_alu instid0(VALU_DEP_2) | instskip(NEXT) | instid1(VALU_DEP_2)
	v_cmp_eq_u32_e32 vcc_lo, 0, v11
	v_min_u32_e32 v9, 32, v9
	s_delay_alu instid0(VALU_DEP_1) | instskip(NEXT) | instid1(VALU_DEP_1)
	v_subrev_nc_u32_e32 v10, 29, v9
	v_dual_lshlrev_b32 v3, v10, v3 :: v_dual_sub_nc_u32 v9, 30, v9
	s_delay_alu instid0(VALU_DEP_1) | instskip(NEXT) | instid1(VALU_DEP_1)
	v_dual_lshlrev_b32 v1, 24, v1 :: v_dual_bitop2_b32 v3, 3, v3 bitop3:0x40
	v_dual_cndmask_b32 v3, v8, v3, vcc_lo :: v_dual_cndmask_b32 v9, v11, v9, vcc_lo
	s_delay_alu instid0(VALU_DEP_2) | instskip(NEXT) | instid1(VALU_DEP_2)
	v_and_b32_e32 v1, 0x80000000, v1
	v_lshlrev_b32_e32 v3, 21, v3
	s_delay_alu instid0(VALU_DEP_3) | instskip(NEXT) | instid1(VALU_DEP_1)
	v_lshl_add_u32 v8, v9, 23, 0x37800000
	v_or3_b32 v8, v1, v8, v3
.LBB158_318:
	s_or_b32 exec_lo, exec_lo, s33
	s_mov_b32 s25, 0
	s_branch .LBB158_326
.LBB158_319:
	s_mov_b32 s33, -1
                                        ; implicit-def: $vgpr8
	s_branch .LBB158_332
.LBB158_320:
	s_mov_b32 s25, -1
                                        ; implicit-def: $vgpr8
	s_branch .LBB158_329
.LBB158_321:
	s_mov_b32 s25, -1
	s_mov_b32 s34, exec_lo
	v_cmpx_eq_u16_e32 0x80, v1
; %bb.322:
	s_xor_b32 s25, exec_lo, -1
; %bb.323:
	s_or_b32 exec_lo, exec_lo, s34
	s_delay_alu instid0(SALU_CYCLE_1)
	s_and_b32 s25, s25, exec_lo
	s_or_saveexec_b32 s33, s33
	v_mov_b32_e32 v8, 0x7f800001
	s_xor_b32 exec_lo, exec_lo, s33
	s_cbranch_execz .LBB158_305
.LBB158_324:
	v_cmp_ne_u16_e32 vcc_lo, 0, v1
	v_mov_b32_e32 v8, 0
	s_and_not1_b32 s25, s25, exec_lo
	s_and_b32 s34, vcc_lo, exec_lo
	s_delay_alu instid0(SALU_CYCLE_1)
	s_or_b32 s25, s25, s34
	s_or_b32 exec_lo, exec_lo, s33
	s_and_saveexec_b32 s33, s25
	s_cbranch_execnz .LBB158_306
	s_branch .LBB158_307
.LBB158_325:
	s_mov_b32 s25, -1
                                        ; implicit-def: $vgpr8
.LBB158_326:
	s_delay_alu instid0(SALU_CYCLE_1)
	s_and_b32 vcc_lo, exec_lo, s25
	s_cbranch_vccz .LBB158_328
; %bb.327:
	global_load_u8 v1, v[6:7], off
	s_wait_loadcnt 0x0
	v_lshlrev_b32_e32 v1, 24, v1
	s_delay_alu instid0(VALU_DEP_1) | instskip(NEXT) | instid1(VALU_DEP_1)
	v_and_b32_e32 v3, 0x7f000000, v1
	v_clz_i32_u32_e32 v8, v3
	v_cmp_ne_u32_e32 vcc_lo, 0, v3
	v_add_nc_u32_e32 v10, 0x1000000, v3
	s_delay_alu instid0(VALU_DEP_3) | instskip(NEXT) | instid1(VALU_DEP_1)
	v_min_u32_e32 v8, 32, v8
	v_sub_nc_u32_e64 v8, v8, 4 clamp
	s_delay_alu instid0(VALU_DEP_1) | instskip(NEXT) | instid1(VALU_DEP_1)
	v_dual_lshlrev_b32 v9, v8, v3 :: v_dual_lshlrev_b32 v8, 23, v8
	v_lshrrev_b32_e32 v9, 4, v9
	s_delay_alu instid0(VALU_DEP_1) | instskip(NEXT) | instid1(VALU_DEP_1)
	v_dual_sub_nc_u32 v8, v9, v8 :: v_dual_ashrrev_i32 v9, 8, v10
	v_add_nc_u32_e32 v8, 0x3c000000, v8
	s_delay_alu instid0(VALU_DEP_1) | instskip(NEXT) | instid1(VALU_DEP_1)
	v_and_or_b32 v8, 0x7f800000, v9, v8
	v_cndmask_b32_e32 v3, 0, v8, vcc_lo
	s_delay_alu instid0(VALU_DEP_1)
	v_and_or_b32 v8, 0x80000000, v1, v3
.LBB158_328:
	s_mov_b32 s25, 0
.LBB158_329:
	s_delay_alu instid0(SALU_CYCLE_1)
	s_and_not1_b32 vcc_lo, exec_lo, s25
	s_cbranch_vccnz .LBB158_331
; %bb.330:
	global_load_u8 v1, v[6:7], off
	s_wait_loadcnt 0x0
	v_lshlrev_b32_e32 v3, 25, v1
	v_lshlrev_b16 v1, 8, v1
	s_delay_alu instid0(VALU_DEP_1) | instskip(NEXT) | instid1(VALU_DEP_3)
	v_and_or_b32 v9, 0x7f00, v1, 0.5
	v_lshrrev_b32_e32 v8, 4, v3
	v_bfe_i32 v1, v1, 0, 16
	s_delay_alu instid0(VALU_DEP_3) | instskip(NEXT) | instid1(VALU_DEP_3)
	v_add_f32_e32 v9, -0.5, v9
	v_or_b32_e32 v8, 0x70000000, v8
	s_delay_alu instid0(VALU_DEP_1) | instskip(SKIP_1) | instid1(VALU_DEP_2)
	v_mul_f32_e32 v8, 0x7800000, v8
	v_cmp_gt_u32_e32 vcc_lo, 0x8000000, v3
	v_cndmask_b32_e32 v3, v8, v9, vcc_lo
	s_delay_alu instid0(VALU_DEP_1)
	v_and_or_b32 v8, 0x80000000, v1, v3
.LBB158_331:
	s_mov_b32 s33, 0
	s_mov_b32 s25, -1
.LBB158_332:
	s_and_not1_b32 vcc_lo, exec_lo, s33
	s_cbranch_vccnz .LBB158_343
; %bb.333:
	s_cmp_gt_i32 s0, 14
	s_cbranch_scc0 .LBB158_336
; %bb.334:
	s_cmp_eq_u32 s0, 15
	s_cbranch_scc0 .LBB158_337
; %bb.335:
	global_load_u16 v1, v[6:7], off
	s_mov_b32 s25, -1
	s_mov_b32 s27, 0
	s_wait_loadcnt 0x0
	v_lshlrev_b32_e32 v8, 16, v1
	s_branch .LBB158_338
.LBB158_336:
	s_mov_b32 s33, -1
                                        ; implicit-def: $vgpr8
	s_branch .LBB158_339
.LBB158_337:
	s_mov_b32 s27, -1
                                        ; implicit-def: $vgpr8
.LBB158_338:
	s_mov_b32 s33, 0
.LBB158_339:
	s_delay_alu instid0(SALU_CYCLE_1)
	s_and_b32 vcc_lo, exec_lo, s33
	s_cbranch_vccz .LBB158_343
; %bb.340:
	s_cmp_eq_u32 s0, 11
	s_cbranch_scc0 .LBB158_342
; %bb.341:
	global_load_u8 v1, v[6:7], off
	s_mov_b32 s27, 0
	s_mov_b32 s25, -1
	v_mov_b32_e32 v9, 0
	s_wait_loadcnt 0x0
	v_cmp_ne_u16_e32 vcc_lo, 0, v1
	v_cndmask_b32_e64 v8, 0, 1.0, vcc_lo
	s_branch .LBB158_344
.LBB158_342:
	s_mov_b32 s27, -1
                                        ; implicit-def: $vgpr8
.LBB158_343:
	v_mov_b32_e32 v9, 0
.LBB158_344:
	s_mov_b32 s33, 0
.LBB158_345:
	s_delay_alu instid0(SALU_CYCLE_1)
	s_and_b32 vcc_lo, exec_lo, s33
	s_cbranch_vccz .LBB158_396
; %bb.346:
	s_cmp_lt_i32 s0, 5
	s_cbranch_scc1 .LBB158_351
; %bb.347:
	s_cmp_lt_i32 s0, 8
	s_cbranch_scc1 .LBB158_352
	;; [unrolled: 3-line block ×3, first 2 shown]
; %bb.349:
	s_cmp_gt_i32 s0, 9
	s_cbranch_scc0 .LBB158_354
; %bb.350:
	global_load_b128 v[8:11], v[6:7], off
	s_mov_b32 s25, 0
	s_wait_loadcnt 0x0
	v_cvt_f32_f64_e32 v8, v[8:9]
	v_cvt_f32_f64_e32 v9, v[10:11]
	s_branch .LBB158_355
.LBB158_351:
	s_mov_b32 s25, -1
                                        ; implicit-def: $vgpr9
	s_branch .LBB158_374
.LBB158_352:
	s_mov_b32 s25, -1
                                        ; implicit-def: $vgpr9
	s_branch .LBB158_361
.LBB158_353:
	s_mov_b32 s25, -1
                                        ; implicit-def: $vgpr9
	s_branch .LBB158_358
.LBB158_354:
	s_mov_b32 s25, -1
                                        ; implicit-def: $vgpr9
.LBB158_355:
	s_delay_alu instid0(SALU_CYCLE_1)
	s_and_not1_b32 vcc_lo, exec_lo, s25
	s_cbranch_vccnz .LBB158_357
; %bb.356:
	global_load_b64 v[8:9], v[6:7], off
.LBB158_357:
	s_mov_b32 s25, 0
.LBB158_358:
	s_delay_alu instid0(SALU_CYCLE_1)
	s_and_not1_b32 vcc_lo, exec_lo, s25
	s_cbranch_vccnz .LBB158_360
; %bb.359:
	global_load_b32 v1, v[6:7], off
	s_wait_loadcnt 0x0
	v_lshrrev_b32_e32 v3, 16, v1
	v_cvt_f32_f16_e32 v8, v1
	s_delay_alu instid0(VALU_DEP_2)
	v_cvt_f32_f16_e32 v9, v3
.LBB158_360:
	s_mov_b32 s25, 0
.LBB158_361:
	s_delay_alu instid0(SALU_CYCLE_1)
	s_and_not1_b32 vcc_lo, exec_lo, s25
	s_cbranch_vccnz .LBB158_373
; %bb.362:
	s_cmp_lt_i32 s0, 6
	s_cbranch_scc1 .LBB158_365
; %bb.363:
	s_cmp_gt_i32 s0, 6
	s_cbranch_scc0 .LBB158_366
; %bb.364:
	s_wait_loadcnt 0x0
	global_load_b64 v[8:9], v[6:7], off
	s_mov_b32 s25, 0
	s_wait_loadcnt 0x0
	v_cvt_f32_f64_e32 v8, v[8:9]
	s_branch .LBB158_367
.LBB158_365:
	s_mov_b32 s25, -1
                                        ; implicit-def: $vgpr8
	s_branch .LBB158_370
.LBB158_366:
	s_mov_b32 s25, -1
                                        ; implicit-def: $vgpr8
.LBB158_367:
	s_delay_alu instid0(SALU_CYCLE_1)
	s_and_not1_b32 vcc_lo, exec_lo, s25
	s_cbranch_vccnz .LBB158_369
; %bb.368:
	s_wait_loadcnt 0x0
	global_load_b32 v8, v[6:7], off
.LBB158_369:
	s_mov_b32 s25, 0
.LBB158_370:
	s_delay_alu instid0(SALU_CYCLE_1)
	s_and_not1_b32 vcc_lo, exec_lo, s25
	s_cbranch_vccnz .LBB158_372
; %bb.371:
	global_load_u16 v1, v[6:7], off
	s_wait_loadcnt 0x0
	v_cvt_f32_f16_e32 v8, v1
.LBB158_372:
	s_wait_loadcnt 0x0
	v_mov_b32_e32 v9, 0
.LBB158_373:
	s_mov_b32 s25, 0
.LBB158_374:
	s_delay_alu instid0(SALU_CYCLE_1)
	s_and_not1_b32 vcc_lo, exec_lo, s25
	s_cbranch_vccnz .LBB158_395
; %bb.375:
	s_cmp_lt_i32 s0, 2
	s_cbranch_scc1 .LBB158_379
; %bb.376:
	s_cmp_lt_i32 s0, 3
	s_cbranch_scc1 .LBB158_380
; %bb.377:
	s_cmp_gt_i32 s0, 3
	s_cbranch_scc0 .LBB158_381
; %bb.378:
	s_wait_loadcnt 0x0
	global_load_b64 v[8:9], v[6:7], off
	s_mov_b32 s25, 0
	s_wait_loadcnt 0x0
	v_xor_b32_e32 v1, v8, v9
	v_cls_i32_e32 v3, v9
	s_delay_alu instid0(VALU_DEP_2) | instskip(NEXT) | instid1(VALU_DEP_1)
	v_ashrrev_i32_e32 v1, 31, v1
	v_add_nc_u32_e32 v1, 32, v1
	s_delay_alu instid0(VALU_DEP_1) | instskip(NEXT) | instid1(VALU_DEP_1)
	v_add_min_u32_e64 v1, v3, -1, v1
	v_lshlrev_b64_e32 v[8:9], v1, v[8:9]
	v_sub_nc_u32_e32 v1, 32, v1
	s_delay_alu instid0(VALU_DEP_2) | instskip(NEXT) | instid1(VALU_DEP_1)
	v_min_u32_e32 v3, 1, v8
	v_or_b32_e32 v3, v9, v3
	s_delay_alu instid0(VALU_DEP_1) | instskip(NEXT) | instid1(VALU_DEP_1)
	v_cvt_f32_i32_e32 v3, v3
	v_ldexp_f32 v8, v3, v1
	s_branch .LBB158_382
.LBB158_379:
	s_mov_b32 s25, -1
                                        ; implicit-def: $vgpr8
	s_branch .LBB158_388
.LBB158_380:
	s_mov_b32 s25, -1
                                        ; implicit-def: $vgpr8
	s_branch .LBB158_385
.LBB158_381:
	s_mov_b32 s25, -1
                                        ; implicit-def: $vgpr8
.LBB158_382:
	s_delay_alu instid0(SALU_CYCLE_1)
	s_and_not1_b32 vcc_lo, exec_lo, s25
	s_cbranch_vccnz .LBB158_384
; %bb.383:
	global_load_b32 v1, v[6:7], off
	s_wait_loadcnt 0x0
	v_cvt_f32_i32_e32 v8, v1
.LBB158_384:
	s_mov_b32 s25, 0
.LBB158_385:
	s_delay_alu instid0(SALU_CYCLE_1)
	s_and_not1_b32 vcc_lo, exec_lo, s25
	s_cbranch_vccnz .LBB158_387
; %bb.386:
	global_load_i16 v1, v[6:7], off
	s_wait_loadcnt 0x0
	v_cvt_f32_i32_e32 v8, v1
.LBB158_387:
	s_mov_b32 s25, 0
.LBB158_388:
	s_delay_alu instid0(SALU_CYCLE_1)
	s_and_not1_b32 vcc_lo, exec_lo, s25
	s_cbranch_vccnz .LBB158_394
; %bb.389:
	s_cmp_gt_i32 s0, 0
	s_mov_b32 s0, 0
	s_cbranch_scc0 .LBB158_391
; %bb.390:
	global_load_i8 v1, v[6:7], off
	s_wait_loadcnt 0x0
	v_cvt_f32_i32_e32 v8, v1
	s_branch .LBB158_392
.LBB158_391:
	s_mov_b32 s0, -1
                                        ; implicit-def: $vgpr8
.LBB158_392:
	s_delay_alu instid0(SALU_CYCLE_1)
	s_and_not1_b32 vcc_lo, exec_lo, s0
	s_cbranch_vccnz .LBB158_394
; %bb.393:
	global_load_u8 v1, v[6:7], off
	s_wait_loadcnt 0x0
	v_cvt_f32_ubyte0_e32 v8, v1
.LBB158_394:
	s_wait_loadcnt 0x0
	v_mov_b32_e32 v9, 0
.LBB158_395:
	s_mov_b32 s25, -1
.LBB158_396:
	s_delay_alu instid0(SALU_CYCLE_1)
	s_and_not1_b32 vcc_lo, exec_lo, s25
	s_cbranch_vccnz .LBB158_404
; %bb.397:
	s_wait_xcnt 0x0
	v_mov_b64_e32 v[6:7], s[2:3]
	v_mov_b64_e32 v[12:13], s[16:17]
	s_wait_loadcnt 0x0
	s_delay_alu instid0(VALU_DEP_3) | instskip(SKIP_1) | instid1(SALU_CYCLE_1)
	v_dual_mov_b32 v14, v9 :: v_dual_mov_b32 v15, v8
	s_and_b32 s25, s20, 0xff
	s_cmp_lt_i32 s25, 11
	s_delay_alu instid0(VALU_DEP_3) | instskip(SKIP_2) | instid1(VALU_DEP_3)
	v_pk_mul_f32 v[10:11], v[4:5], v[6:7]
	v_pk_mul_f32 v[4:5], v[4:5], v[6:7] op_sel:[0,1] op_sel_hi:[1,0]
	v_pk_mul_f32 v[2:3], v[2:3], v[12:13] op_sel:[0,1] op_sel_hi:[0,0]
	v_add_f32_e32 v6, v10, v11
	v_mul_lo_u32 v10, v34, s12
	s_delay_alu instid0(VALU_DEP_4) | instskip(NEXT) | instid1(VALU_DEP_2)
	v_pk_add_f32 v[4:5], v[4:5], v[4:5] op_sel:[0,1] op_sel_hi:[0,1] neg_lo:[0,1] neg_hi:[0,1]
	v_ashrrev_i32_e32 v11, 31, v10
	s_delay_alu instid0(VALU_DEP_4) | instskip(SKIP_2) | instid1(VALU_DEP_4)
	v_pk_mul_f32 v[6:7], v[6:7], v[14:15] op_sel_hi:[0,1]
	v_pk_fma_f32 v[14:15], v[0:1], v[12:13], v[2:3] op_sel_hi:[0,1,1]
	v_pk_fma_f32 v[2:3], v[0:1], v[12:13], v[2:3] op_sel_hi:[0,1,1] neg_lo:[0,0,1] neg_hi:[0,0,1]
	v_add_nc_u64_e32 v[0:1], s[4:5], v[10:11]
	s_delay_alu instid0(VALU_DEP_4) | instskip(SKIP_1) | instid1(VALU_DEP_2)
	v_pk_fma_f32 v[16:17], v[4:5], v[8:9], v[6:7]
	v_pk_fma_f32 v[4:5], v[4:5], v[8:9], v[6:7] neg_lo:[0,0,1] neg_hi:[0,0,1]
	v_dual_mov_b32 v3, v15 :: v_dual_mov_b32 v5, v17
	s_delay_alu instid0(VALU_DEP_1)
	v_pk_add_f32 v[2:3], v[2:3], v[4:5]
	s_cbranch_scc1 .LBB158_405
; %bb.398:
	s_and_b32 s33, 0xffff, s25
	s_delay_alu instid0(SALU_CYCLE_1)
	s_cmp_gt_i32 s33, 25
	s_cbranch_scc0 .LBB158_406
; %bb.399:
	s_cmp_gt_i32 s33, 28
	s_cbranch_scc0 .LBB158_407
; %bb.400:
	;; [unrolled: 3-line block ×4, first 2 shown]
	s_mov_b32 s35, 0
	s_mov_b32 s0, -1
	s_cmp_eq_u32 s33, 46
	s_mov_b32 s34, 0
	s_cbranch_scc0 .LBB158_414
; %bb.403:
	v_dual_lshrrev_b32 v4, 16, v2 :: v_dual_lshrrev_b32 v5, 16, v3
	v_cmp_o_f32_e32 vcc_lo, v2, v2
	s_mov_b32 s34, -1
	s_mov_b32 s0, 0
	s_delay_alu instid0(VALU_DEP_2) | instskip(NEXT) | instid1(VALU_DEP_1)
	v_and_b32_e32 v4, 1, v4
	v_add3_u32 v4, v2, v4, 0x7fff
	s_delay_alu instid0(VALU_DEP_1) | instskip(NEXT) | instid1(VALU_DEP_1)
	v_dual_lshrrev_b32 v4, 16, v4 :: v_dual_bitop2_b32 v5, 1, v5 bitop3:0x40
	v_add3_u32 v5, v3, v5, 0x7fff
	s_delay_alu instid0(VALU_DEP_2) | instskip(NEXT) | instid1(VALU_DEP_2)
	v_cndmask_b32_e32 v4, 0x7fc0, v4, vcc_lo
	v_and_b32_e32 v5, 0xffff0000, v5
	v_cmp_o_f32_e32 vcc_lo, v3, v3
	s_delay_alu instid0(VALU_DEP_2) | instskip(NEXT) | instid1(VALU_DEP_1)
	v_cndmask_b32_e32 v5, 0x7fc00000, v5, vcc_lo
	v_or_b32_e32 v4, v5, v4
	global_store_b32 v[0:1], v4, off
	s_branch .LBB158_414
.LBB158_404:
	s_mov_b32 s0, 0
	s_branch .LBB158_524
.LBB158_405:
	s_mov_b32 s33, -1
	s_mov_b32 s0, 0
	s_mov_b32 s34, 0
	s_branch .LBB158_483
.LBB158_406:
	s_mov_b32 s0, 0
	s_mov_b32 s34, 0
	s_branch .LBB158_441
.LBB158_407:
	s_mov_b32 s0, 0
	s_mov_b32 s34, 0
	s_branch .LBB158_424
.LBB158_408:
	s_mov_b32 s0, 0
	s_mov_b32 s34, 0
	s_branch .LBB158_420
.LBB158_409:
	s_mov_b32 s25, -1
	s_mov_b32 s34, exec_lo
	v_cmpx_eq_u16_e32 0x80, v1
; %bb.410:
	s_xor_b32 s25, exec_lo, -1
; %bb.411:
	s_or_b32 exec_lo, exec_lo, s34
	s_delay_alu instid0(SALU_CYCLE_1)
	s_and_b32 s25, s25, exec_lo
	s_or_saveexec_b32 s33, s33
	v_mov_b32_e32 v8, 0x7f800001
	s_xor_b32 exec_lo, exec_lo, s33
	s_cbranch_execz .LBB158_316
.LBB158_412:
	v_cmp_ne_u16_e32 vcc_lo, 0, v1
	v_mov_b32_e32 v8, 0
	s_and_not1_b32 s25, s25, exec_lo
	s_and_b32 s34, vcc_lo, exec_lo
	s_delay_alu instid0(SALU_CYCLE_1)
	s_or_b32 s25, s25, s34
	s_or_b32 exec_lo, exec_lo, s33
	s_and_saveexec_b32 s33, s25
	s_cbranch_execnz .LBB158_317
	s_branch .LBB158_318
.LBB158_413:
	s_mov_b32 s0, 0
	s_mov_b32 s34, 0
.LBB158_414:
	s_and_b32 vcc_lo, exec_lo, s35
	s_cbranch_vccz .LBB158_419
; %bb.415:
	s_cmp_eq_u32 s33, 44
	s_mov_b32 s0, -1
	s_cbranch_scc0 .LBB158_419
; %bb.416:
	v_bfe_u32 v5, v2, 23, 8
	s_wait_xcnt 0x0
	v_mov_b32_e32 v4, 0xff
	s_mov_b32 s34, exec_lo
	s_delay_alu instid0(VALU_DEP_2)
	v_cmpx_ne_u32_e32 0xff, v5
	s_cbranch_execz .LBB158_418
; %bb.417:
	v_and_b32_e32 v4, 0x400000, v2
	v_and_or_b32 v5, 0x3fffff, v2, v5
	s_delay_alu instid0(VALU_DEP_2) | instskip(NEXT) | instid1(VALU_DEP_2)
	v_cmp_ne_u32_e32 vcc_lo, 0, v4
	v_cmp_ne_u32_e64 s0, 0, v5
	v_lshrrev_b32_e32 v4, 23, v2
	s_and_b32 s0, vcc_lo, s0
	s_delay_alu instid0(SALU_CYCLE_1) | instskip(NEXT) | instid1(VALU_DEP_1)
	v_cndmask_b32_e64 v5, 0, 1, s0
	v_add_nc_u32_e32 v4, v4, v5
.LBB158_418:
	s_or_b32 exec_lo, exec_lo, s34
	s_mov_b32 s34, -1
	s_mov_b32 s0, 0
	global_store_b8 v[0:1], v4, off
.LBB158_419:
	s_mov_b32 s35, 0
.LBB158_420:
	s_delay_alu instid0(SALU_CYCLE_1)
	s_and_b32 vcc_lo, exec_lo, s35
	s_cbranch_vccz .LBB158_423
; %bb.421:
	s_cmp_eq_u32 s33, 29
	s_mov_b32 s0, -1
	s_cbranch_scc0 .LBB158_423
; %bb.422:
	s_wait_xcnt 0x0
	v_trunc_f32_e32 v4, v2
	s_mov_b32 s34, -1
	s_mov_b32 s0, 0
	s_mov_b32 s35, 0
	s_delay_alu instid0(VALU_DEP_1) | instskip(NEXT) | instid1(VALU_DEP_1)
	v_mul_f32_e32 v5, 0x2f800000, v4
	v_floor_f32_e32 v5, v5
	s_delay_alu instid0(VALU_DEP_1) | instskip(SKIP_1) | instid1(VALU_DEP_2)
	v_fmamk_f32 v4, v5, 0xcf800000, v4
	v_cvt_u32_f32_e32 v5, v5
	v_cvt_u32_f32_e32 v4, v4
	global_store_b64 v[0:1], v[4:5], off
	s_branch .LBB158_424
.LBB158_423:
	s_mov_b32 s35, 0
.LBB158_424:
	s_delay_alu instid0(SALU_CYCLE_1)
	s_and_b32 vcc_lo, exec_lo, s35
	s_cbranch_vccz .LBB158_440
; %bb.425:
	s_cmp_lt_i32 s33, 27
	s_mov_b32 s34, -1
	s_cbranch_scc1 .LBB158_431
; %bb.426:
	s_wait_xcnt 0x0
	v_cvt_u32_f32_e32 v4, v2
	s_cmp_gt_i32 s33, 27
	s_cbranch_scc0 .LBB158_428
; %bb.427:
	s_mov_b32 s34, 0
	global_store_b32 v[0:1], v4, off
.LBB158_428:
	s_and_not1_b32 vcc_lo, exec_lo, s34
	s_cbranch_vccnz .LBB158_430
; %bb.429:
	global_store_b16 v[0:1], v4, off
.LBB158_430:
	s_mov_b32 s34, 0
.LBB158_431:
	s_delay_alu instid0(SALU_CYCLE_1)
	s_and_not1_b32 vcc_lo, exec_lo, s34
	s_cbranch_vccnz .LBB158_439
; %bb.432:
	s_wait_xcnt 0x0
	v_and_b32_e32 v4, 0x7fffffff, v2
	v_mov_b32_e32 v5, 0x80
	s_mov_b32 s34, exec_lo
	s_delay_alu instid0(VALU_DEP_2)
	v_cmpx_gt_u32_e32 0x43800000, v4
	s_cbranch_execz .LBB158_438
; %bb.433:
	v_cmp_lt_u32_e32 vcc_lo, 0x3bffffff, v4
	s_mov_b32 s35, 0
                                        ; implicit-def: $vgpr4
	s_and_saveexec_b32 s36, vcc_lo
	s_delay_alu instid0(SALU_CYCLE_1)
	s_xor_b32 s36, exec_lo, s36
	s_cbranch_execnz .LBB158_812
; %bb.434:
	s_and_not1_saveexec_b32 s36, s36
	s_cbranch_execnz .LBB158_813
.LBB158_435:
	s_or_b32 exec_lo, exec_lo, s36
	v_mov_b32_e32 v5, 0
	s_and_saveexec_b32 s36, s35
.LBB158_436:
	v_lshrrev_b32_e32 v5, 24, v2
	s_delay_alu instid0(VALU_DEP_1)
	v_and_or_b32 v5, 0x80, v5, v4
.LBB158_437:
	s_or_b32 exec_lo, exec_lo, s36
.LBB158_438:
	s_delay_alu instid0(SALU_CYCLE_1)
	s_or_b32 exec_lo, exec_lo, s34
	global_store_b8 v[0:1], v5, off
.LBB158_439:
	s_mov_b32 s34, -1
.LBB158_440:
	s_mov_b32 s35, 0
.LBB158_441:
	s_delay_alu instid0(SALU_CYCLE_1)
	s_and_b32 vcc_lo, exec_lo, s35
	s_cbranch_vccz .LBB158_482
; %bb.442:
	s_cmp_gt_i32 s33, 22
	s_mov_b32 s35, -1
	s_cbranch_scc0 .LBB158_474
; %bb.443:
	s_cmp_lt_i32 s33, 24
	s_mov_b32 s34, -1
	s_cbranch_scc1 .LBB158_463
; %bb.444:
	s_cmp_gt_i32 s33, 24
	s_cbranch_scc0 .LBB158_452
; %bb.445:
	s_wait_xcnt 0x0
	v_and_b32_e32 v4, 0x7fffffff, v2
	v_mov_b32_e32 v5, 0x80
	s_mov_b32 s34, exec_lo
	s_delay_alu instid0(VALU_DEP_2)
	v_cmpx_gt_u32_e32 0x47800000, v4
	s_cbranch_execz .LBB158_451
; %bb.446:
	v_cmp_lt_u32_e32 vcc_lo, 0x37ffffff, v4
	s_mov_b32 s35, 0
                                        ; implicit-def: $vgpr4
	s_and_saveexec_b32 s36, vcc_lo
	s_delay_alu instid0(SALU_CYCLE_1)
	s_xor_b32 s36, exec_lo, s36
	s_cbranch_execnz .LBB158_1346
; %bb.447:
	s_and_not1_saveexec_b32 s36, s36
	s_cbranch_execnz .LBB158_1347
.LBB158_448:
	s_or_b32 exec_lo, exec_lo, s36
	v_mov_b32_e32 v5, 0
	s_and_saveexec_b32 s36, s35
.LBB158_449:
	v_lshrrev_b32_e32 v5, 24, v2
	s_delay_alu instid0(VALU_DEP_1)
	v_and_or_b32 v5, 0x80, v5, v4
.LBB158_450:
	s_or_b32 exec_lo, exec_lo, s36
.LBB158_451:
	s_delay_alu instid0(SALU_CYCLE_1)
	s_or_b32 exec_lo, exec_lo, s34
	s_mov_b32 s34, 0
	global_store_b8 v[0:1], v5, off
.LBB158_452:
	s_and_b32 vcc_lo, exec_lo, s34
	s_cbranch_vccz .LBB158_462
; %bb.453:
	s_wait_xcnt 0x0
	v_and_b32_e32 v5, 0x7fffffff, v2
	s_mov_b32 s34, exec_lo
                                        ; implicit-def: $vgpr4
	s_delay_alu instid0(VALU_DEP_1)
	v_cmpx_gt_u32_e32 0x43f00000, v5
	s_xor_b32 s34, exec_lo, s34
	s_cbranch_execz .LBB158_459
; %bb.454:
	s_mov_b32 s35, exec_lo
                                        ; implicit-def: $vgpr4
	v_cmpx_lt_u32_e32 0x3c7fffff, v5
	s_xor_b32 s35, exec_lo, s35
; %bb.455:
	v_bfe_u32 v4, v2, 20, 1
	s_delay_alu instid0(VALU_DEP_1) | instskip(NEXT) | instid1(VALU_DEP_1)
	v_add3_u32 v4, v2, v4, 0x407ffff
	v_and_b32_e32 v5, 0xff00000, v4
	v_lshrrev_b32_e32 v4, 20, v4
	s_delay_alu instid0(VALU_DEP_2) | instskip(NEXT) | instid1(VALU_DEP_2)
	v_cmp_ne_u32_e32 vcc_lo, 0x7f00000, v5
	v_cndmask_b32_e32 v4, 0x7e, v4, vcc_lo
; %bb.456:
	s_and_not1_saveexec_b32 s35, s35
; %bb.457:
	v_add_f32_e64 v4, 0x46800000, |v2|
; %bb.458:
	s_or_b32 exec_lo, exec_lo, s35
                                        ; implicit-def: $vgpr5
.LBB158_459:
	s_and_not1_saveexec_b32 s34, s34
; %bb.460:
	v_mov_b32_e32 v4, 0x7f
	v_cmp_lt_u32_e32 vcc_lo, 0x7f800000, v5
	s_delay_alu instid0(VALU_DEP_2)
	v_cndmask_b32_e32 v4, 0x7e, v4, vcc_lo
; %bb.461:
	s_or_b32 exec_lo, exec_lo, s34
	v_lshrrev_b32_e32 v5, 24, v2
	s_delay_alu instid0(VALU_DEP_1)
	v_and_or_b32 v4, 0x80, v5, v4
	global_store_b8 v[0:1], v4, off
.LBB158_462:
	s_mov_b32 s34, 0
.LBB158_463:
	s_delay_alu instid0(SALU_CYCLE_1)
	s_and_not1_b32 vcc_lo, exec_lo, s34
	s_cbranch_vccnz .LBB158_473
; %bb.464:
	s_wait_xcnt 0x0
	v_and_b32_e32 v5, 0x7fffffff, v2
	s_mov_b32 s34, exec_lo
                                        ; implicit-def: $vgpr4
	s_delay_alu instid0(VALU_DEP_1)
	v_cmpx_gt_u32_e32 0x47800000, v5
	s_xor_b32 s34, exec_lo, s34
	s_cbranch_execz .LBB158_470
; %bb.465:
	s_mov_b32 s35, exec_lo
                                        ; implicit-def: $vgpr4
	v_cmpx_lt_u32_e32 0x387fffff, v5
	s_xor_b32 s35, exec_lo, s35
; %bb.466:
	v_bfe_u32 v4, v2, 21, 1
	s_delay_alu instid0(VALU_DEP_1) | instskip(NEXT) | instid1(VALU_DEP_1)
	v_add3_u32 v4, v2, v4, 0x80fffff
	v_lshrrev_b32_e32 v4, 21, v4
; %bb.467:
	s_and_not1_saveexec_b32 s35, s35
; %bb.468:
	v_add_f32_e64 v4, 0x43000000, |v2|
; %bb.469:
	s_or_b32 exec_lo, exec_lo, s35
                                        ; implicit-def: $vgpr5
.LBB158_470:
	s_and_not1_saveexec_b32 s34, s34
; %bb.471:
	v_mov_b32_e32 v4, 0x7f
	v_cmp_lt_u32_e32 vcc_lo, 0x7f800000, v5
	s_delay_alu instid0(VALU_DEP_2)
	v_cndmask_b32_e32 v4, 0x7c, v4, vcc_lo
; %bb.472:
	s_or_b32 exec_lo, exec_lo, s34
	v_lshrrev_b32_e32 v5, 24, v2
	s_delay_alu instid0(VALU_DEP_1)
	v_and_or_b32 v4, 0x80, v5, v4
	global_store_b8 v[0:1], v4, off
.LBB158_473:
	s_mov_b32 s35, 0
	s_mov_b32 s34, -1
.LBB158_474:
	s_and_not1_b32 vcc_lo, exec_lo, s35
	s_cbranch_vccnz .LBB158_482
; %bb.475:
	s_cmp_gt_i32 s33, 14
	s_mov_b32 s35, -1
	s_cbranch_scc0 .LBB158_479
; %bb.476:
	s_cmp_eq_u32 s33, 15
	s_mov_b32 s0, -1
	s_cbranch_scc0 .LBB158_478
; %bb.477:
	s_wait_xcnt 0x0
	v_bfe_u32 v4, v2, 16, 1
	v_cmp_o_f32_e32 vcc_lo, v2, v2
	s_mov_b32 s34, -1
	s_mov_b32 s0, 0
	s_delay_alu instid0(VALU_DEP_2) | instskip(NEXT) | instid1(VALU_DEP_1)
	v_add3_u32 v4, v2, v4, 0x7fff
	v_lshrrev_b32_e32 v4, 16, v4
	s_delay_alu instid0(VALU_DEP_1)
	v_cndmask_b32_e32 v4, 0x7fc0, v4, vcc_lo
	global_store_b16 v[0:1], v4, off
.LBB158_478:
	s_mov_b32 s35, 0
.LBB158_479:
	s_delay_alu instid0(SALU_CYCLE_1)
	s_and_b32 vcc_lo, exec_lo, s35
	s_cbranch_vccz .LBB158_482
; %bb.480:
	s_cmp_eq_u32 s33, 11
	s_mov_b32 s0, -1
	s_cbranch_scc0 .LBB158_482
; %bb.481:
	v_cmp_neq_f32_e32 vcc_lo, 0, v2
	v_cmp_neq_f32_e64 s0, 0, v3
	s_mov_b32 s34, -1
	s_or_b32 s0, vcc_lo, s0
	s_wait_xcnt 0x0
	v_cndmask_b32_e64 v4, 0, 1, s0
	s_mov_b32 s0, 0
	global_store_b8 v[0:1], v4, off
.LBB158_482:
	s_mov_b32 s33, 0
.LBB158_483:
	s_delay_alu instid0(SALU_CYCLE_1)
	s_and_b32 vcc_lo, exec_lo, s33
	s_cbranch_vccz .LBB158_522
; %bb.484:
	s_and_b32 s25, 0xffff, s25
	s_mov_b32 s33, -1
	s_cmp_lt_i32 s25, 5
	s_cbranch_scc1 .LBB158_505
; %bb.485:
	s_cmp_lt_i32 s25, 8
	s_cbranch_scc1 .LBB158_495
; %bb.486:
	;; [unrolled: 3-line block ×3, first 2 shown]
	s_cmp_gt_i32 s25, 9
	s_cbranch_scc0 .LBB158_489
; %bb.488:
	s_wait_xcnt 0x0
	v_cvt_f64_f32_e32 v[4:5], v2
	v_cvt_f64_f32_e32 v[6:7], v3
	s_mov_b32 s33, 0
	global_store_b128 v[0:1], v[4:7], off
.LBB158_489:
	s_and_not1_b32 vcc_lo, exec_lo, s33
	s_cbranch_vccnz .LBB158_491
; %bb.490:
	global_store_b64 v[0:1], v[2:3], off
.LBB158_491:
	s_mov_b32 s33, 0
.LBB158_492:
	s_delay_alu instid0(SALU_CYCLE_1)
	s_and_not1_b32 vcc_lo, exec_lo, s33
	s_cbranch_vccnz .LBB158_494
; %bb.493:
	s_wait_xcnt 0x0
	v_cvt_f16_f32_e32 v3, v3
	v_cvt_f16_f32_e32 v4, v2
	s_delay_alu instid0(VALU_DEP_2) | instskip(NEXT) | instid1(VALU_DEP_2)
	v_lshlrev_b32_e32 v3, 16, v3
	v_and_b32_e32 v4, 0xffff, v4
	s_delay_alu instid0(VALU_DEP_1)
	v_or_b32_e32 v3, v3, v4
	global_store_b32 v[0:1], v3, off
.LBB158_494:
	s_mov_b32 s33, 0
.LBB158_495:
	s_delay_alu instid0(SALU_CYCLE_1)
	s_and_not1_b32 vcc_lo, exec_lo, s33
	s_cbranch_vccnz .LBB158_504
; %bb.496:
	s_cmp_lt_i32 s25, 6
	s_mov_b32 s33, -1
	s_cbranch_scc1 .LBB158_502
; %bb.497:
	s_cmp_gt_i32 s25, 6
	s_cbranch_scc0 .LBB158_499
; %bb.498:
	s_wait_xcnt 0x0
	v_cvt_f64_f32_e32 v[4:5], v2
	s_mov_b32 s33, 0
	global_store_b64 v[0:1], v[4:5], off
.LBB158_499:
	s_and_not1_b32 vcc_lo, exec_lo, s33
	s_cbranch_vccnz .LBB158_501
; %bb.500:
	global_store_b32 v[0:1], v2, off
.LBB158_501:
	s_mov_b32 s33, 0
.LBB158_502:
	s_delay_alu instid0(SALU_CYCLE_1)
	s_and_not1_b32 vcc_lo, exec_lo, s33
	s_cbranch_vccnz .LBB158_504
; %bb.503:
	s_wait_xcnt 0x0
	v_cvt_f16_f32_e32 v3, v2
	global_store_b16 v[0:1], v3, off
.LBB158_504:
	s_mov_b32 s33, 0
.LBB158_505:
	s_delay_alu instid0(SALU_CYCLE_1)
	s_and_not1_b32 vcc_lo, exec_lo, s33
	s_cbranch_vccnz .LBB158_521
; %bb.506:
	s_cmp_lt_i32 s25, 2
	s_mov_b32 s33, -1
	s_cbranch_scc1 .LBB158_516
; %bb.507:
	s_cmp_lt_i32 s25, 3
	s_cbranch_scc1 .LBB158_513
; %bb.508:
	s_cmp_gt_i32 s25, 3
	s_cbranch_scc0 .LBB158_510
; %bb.509:
	s_wait_xcnt 0x0
	v_trunc_f32_e32 v3, v2
	s_mov_b32 s33, 0
	s_delay_alu instid0(VALU_DEP_1) | instskip(NEXT) | instid1(VALU_DEP_1)
	v_mul_f32_e64 v4, 0x2f800000, |v3|
	v_floor_f32_e32 v5, v4
	v_ashrrev_i32_e32 v4, 31, v3
	s_delay_alu instid0(VALU_DEP_2) | instskip(SKIP_1) | instid1(VALU_DEP_3)
	v_fma_f32 v6, 0xcf800000, v5, |v3|
	v_cvt_u32_f32_e32 v3, v5
	v_mov_b32_e32 v5, v4
	s_delay_alu instid0(VALU_DEP_3) | instskip(NEXT) | instid1(VALU_DEP_3)
	v_cvt_u32_f32_e32 v6, v6
	v_xor_b32_e32 v7, v3, v4
	s_delay_alu instid0(VALU_DEP_2) | instskip(NEXT) | instid1(VALU_DEP_1)
	v_xor_b32_e32 v6, v6, v4
	v_sub_nc_u64_e32 v[4:5], v[6:7], v[4:5]
	global_store_b64 v[0:1], v[4:5], off
.LBB158_510:
	s_and_not1_b32 vcc_lo, exec_lo, s33
	s_cbranch_vccnz .LBB158_512
; %bb.511:
	s_wait_xcnt 0x0
	v_cvt_i32_f32_e32 v3, v2
	global_store_b32 v[0:1], v3, off
.LBB158_512:
	s_mov_b32 s33, 0
.LBB158_513:
	s_delay_alu instid0(SALU_CYCLE_1)
	s_and_not1_b32 vcc_lo, exec_lo, s33
	s_cbranch_vccnz .LBB158_515
; %bb.514:
	s_wait_xcnt 0x0
	v_cvt_i32_f32_e32 v3, v2
	global_store_b16 v[0:1], v3, off
.LBB158_515:
	s_mov_b32 s33, 0
.LBB158_516:
	s_delay_alu instid0(SALU_CYCLE_1)
	s_and_not1_b32 vcc_lo, exec_lo, s33
	s_cbranch_vccnz .LBB158_521
; %bb.517:
	s_cmp_gt_i32 s25, 0
	s_mov_b32 s25, -1
	s_cbranch_scc0 .LBB158_519
; %bb.518:
	s_wait_xcnt 0x0
	v_cvt_i32_f32_e32 v3, v2
	s_mov_b32 s25, 0
	global_store_b8 v[0:1], v3, off
.LBB158_519:
	s_and_not1_b32 vcc_lo, exec_lo, s25
	s_cbranch_vccnz .LBB158_521
; %bb.520:
	s_wait_xcnt 0x0
	v_trunc_f32_e32 v2, v2
	s_delay_alu instid0(VALU_DEP_1) | instskip(NEXT) | instid1(VALU_DEP_1)
	v_mul_f32_e64 v3, 0x2f800000, |v2|
	v_floor_f32_e32 v3, v3
	s_delay_alu instid0(VALU_DEP_1) | instskip(SKIP_1) | instid1(VALU_DEP_2)
	v_fma_f32 v3, 0xcf800000, v3, |v2|
	v_ashrrev_i32_e32 v2, 31, v2
	v_cvt_u32_f32_e32 v3, v3
	s_delay_alu instid0(VALU_DEP_1) | instskip(NEXT) | instid1(VALU_DEP_1)
	v_xor_b32_e32 v3, v3, v2
	v_sub_nc_u32_e32 v2, v3, v2
	global_store_b8 v[0:1], v2, off
.LBB158_521:
	s_mov_b32 s34, -1
.LBB158_522:
	s_delay_alu instid0(SALU_CYCLE_1)
	s_and_not1_b32 vcc_lo, exec_lo, s34
	s_cbranch_vccnz .LBB158_524
; %bb.523:
	v_add_nc_u32_e32 v34, 0x80, v34
	s_mov_b32 s33, -1
	s_branch .LBB158_525
.LBB158_524:
	s_mov_b32 s33, 0
                                        ; implicit-def: $vgpr34
.LBB158_525:
	s_and_b32 s25, s0, exec_lo
	s_and_b32 s27, s27, exec_lo
	;; [unrolled: 1-line block ×4, first 2 shown]
	s_or_not1_b32 s35, s33, exec_lo
.LBB158_526:
	s_wait_xcnt 0x0
	s_or_b32 exec_lo, exec_lo, s30
	s_mov_b32 s34, 0
	s_mov_b32 s33, 0
                                        ; implicit-def: $sgpr0
                                        ; implicit-def: $vgpr4_vgpr5
                                        ; implicit-def: $vgpr2
                                        ; implicit-def: $vgpr0
	s_and_saveexec_b32 s30, s35
	s_cbranch_execnz .LBB158_530
; %bb.527:
	s_or_b32 exec_lo, exec_lo, s30
	s_mov_b32 s26, 0
	s_and_saveexec_b32 s30, s29
	s_cbranch_execnz .LBB158_1680
.LBB158_528:
	s_or_b32 exec_lo, exec_lo, s30
	s_and_saveexec_b32 s29, s31
	s_delay_alu instid0(SALU_CYCLE_1)
	s_xor_b32 s29, exec_lo, s29
	s_cbranch_execnz .LBB158_1681
.LBB158_529:
	s_or_b32 exec_lo, exec_lo, s29
	s_and_saveexec_b32 s29, s34
	s_cbranch_execnz .LBB158_1682
	s_branch .LBB158_1729
.LBB158_530:
	s_mov_b32 s38, -1
	s_mov_b32 s31, s29
	s_mov_b32 s35, s28
	;; [unrolled: 1-line block ×4, first 2 shown]
	s_mov_b32 s36, exec_lo
	v_cmpx_gt_i32_e64 s26, v34
	s_cbranch_execz .LBB158_1062
; %bb.531:
	s_wait_loadcnt 0x0
	v_mul_lo_u32 v0, v34, s13
	s_and_b32 s0, s23, 0xff
	s_delay_alu instid0(SALU_CYCLE_1) | instskip(NEXT) | instid1(VALU_DEP_1)
	s_cmp_lt_i32 s0, 11
	v_ashrrev_i32_e32 v1, 31, v0
	s_delay_alu instid0(VALU_DEP_1)
	v_add_nc_u64_e32 v[4:5], s[6:7], v[0:1]
	s_cbranch_scc1 .LBB158_538
; %bb.532:
	s_and_b32 s33, 0xffff, s0
	s_delay_alu instid0(SALU_CYCLE_1)
	s_cmp_gt_i32 s33, 25
	s_cbranch_scc0 .LBB158_547
; %bb.533:
	s_cmp_gt_i32 s33, 28
	s_cbranch_scc0 .LBB158_549
; %bb.534:
	;; [unrolled: 3-line block ×4, first 2 shown]
	s_cmp_eq_u32 s33, 46
	s_mov_b32 s35, 0
	s_cbranch_scc0 .LBB158_555
; %bb.537:
	global_load_b32 v0, v[4:5], off
	s_mov_b32 s34, -1
	s_mov_b32 s31, 0
	s_wait_loadcnt 0x0
	v_and_b32_e32 v2, 0xffff0000, v0
	v_lshlrev_b32_e32 v0, 16, v0
	s_branch .LBB158_557
.LBB158_538:
	s_mov_b32 s34, 0
	s_mov_b32 s31, s29
                                        ; implicit-def: $vgpr2
                                        ; implicit-def: $vgpr0
	s_cbranch_execnz .LBB158_622
.LBB158_539:
	s_and_not1_b32 vcc_lo, exec_lo, s34
	s_cbranch_vccnz .LBB158_672
.LBB158_540:
	s_wait_xcnt 0x0
	v_mul_lo_u32 v4, v34, s14
	s_and_b32 s0, s21, 0xff
	s_delay_alu instid0(SALU_CYCLE_1) | instskip(NEXT) | instid1(VALU_DEP_1)
	s_cmp_lt_i32 s0, 11
	v_ashrrev_i32_e32 v5, 31, v4
	s_delay_alu instid0(VALU_DEP_1)
	v_add_nc_u64_e32 v[6:7], s[8:9], v[4:5]
	s_cbranch_scc1 .LBB158_548
; %bb.541:
	s_and_b32 s33, 0xffff, s0
	s_delay_alu instid0(SALU_CYCLE_1)
	s_cmp_gt_i32 s33, 25
	s_cbranch_scc0 .LBB158_550
; %bb.542:
	s_cmp_gt_i32 s33, 28
	s_cbranch_scc0 .LBB158_552
; %bb.543:
	;; [unrolled: 3-line block ×4, first 2 shown]
	s_cmp_eq_u32 s33, 46
	s_mov_b32 s37, 0
	s_cbranch_scc0 .LBB158_677
; %bb.546:
	global_load_b32 v1, v[6:7], off
	s_mov_b32 s34, -1
	s_mov_b32 s35, 0
	s_wait_loadcnt 0x0
	v_and_b32_e32 v5, 0xffff0000, v1
	v_lshlrev_b32_e32 v4, 16, v1
	s_branch .LBB158_679
.LBB158_547:
	s_mov_b32 s35, -1
	s_mov_b32 s34, 0
	s_mov_b32 s31, s29
                                        ; implicit-def: $vgpr2
                                        ; implicit-def: $vgpr0
	s_branch .LBB158_587
.LBB158_548:
	s_mov_b32 s33, -1
	s_mov_b32 s34, 0
	s_mov_b32 s35, s28
                                        ; implicit-def: $vgpr5
	s_branch .LBB158_743
.LBB158_549:
	s_mov_b32 s35, -1
	s_mov_b32 s34, 0
	s_mov_b32 s31, s29
                                        ; implicit-def: $vgpr2
                                        ; implicit-def: $vgpr0
	s_branch .LBB158_570
.LBB158_550:
	s_mov_b32 s37, -1
	s_mov_b32 s34, 0
	s_mov_b32 s35, s28
                                        ; implicit-def: $vgpr5
	s_branch .LBB158_708
.LBB158_551:
	s_mov_b32 s35, -1
	s_mov_b32 s34, 0
	s_mov_b32 s31, s29
                                        ; implicit-def: $vgpr2
                                        ; implicit-def: $vgpr0
	s_branch .LBB158_564
.LBB158_552:
	s_mov_b32 s37, -1
	s_mov_b32 s34, 0
	s_mov_b32 s35, s28
                                        ; implicit-def: $vgpr5
	s_branch .LBB158_691
.LBB158_553:
	s_mov_b32 s35, -1
	s_mov_b32 s34, 0
	s_mov_b32 s31, s29
	s_branch .LBB158_556
.LBB158_554:
	s_mov_b32 s37, -1
	s_mov_b32 s34, 0
	s_mov_b32 s35, s28
                                        ; implicit-def: $vgpr5
	s_branch .LBB158_685
.LBB158_555:
	s_mov_b32 s31, -1
	s_mov_b32 s34, 0
.LBB158_556:
                                        ; implicit-def: $vgpr2
                                        ; implicit-def: $vgpr0
.LBB158_557:
	s_and_b32 vcc_lo, exec_lo, s35
	s_cbranch_vccz .LBB158_563
; %bb.558:
	s_cmp_eq_u32 s33, 44
	s_cbranch_scc0 .LBB158_561
; %bb.559:
	global_load_u8 v0, v[4:5], off
	s_mov_b32 s31, 0
	s_mov_b32 s34, -1
	s_wait_loadcnt 0x0
	v_lshlrev_b32_e32 v1, 23, v0
	v_cmp_ne_u32_e32 vcc_lo, 0xff, v0
	s_delay_alu instid0(VALU_DEP_2) | instskip(SKIP_1) | instid1(VALU_DEP_2)
	v_cndmask_b32_e32 v1, 0x7f800001, v1, vcc_lo
	v_cmp_ne_u32_e32 vcc_lo, 0, v0
	v_cndmask_b32_e32 v0, 0x400000, v1, vcc_lo
	s_branch .LBB158_562
.LBB158_560:
	s_mov_b32 s37, -1
	s_mov_b32 s34, 0
	s_mov_b32 s35, s28
	s_branch .LBB158_678
.LBB158_561:
	s_mov_b32 s31, -1
                                        ; implicit-def: $vgpr0
.LBB158_562:
	v_mov_b32_e32 v2, 0
.LBB158_563:
	s_mov_b32 s35, 0
.LBB158_564:
	s_delay_alu instid0(SALU_CYCLE_1)
	s_and_b32 vcc_lo, exec_lo, s35
	s_cbranch_vccz .LBB158_569
; %bb.565:
	s_cmp_eq_u32 s33, 29
	s_cbranch_scc0 .LBB158_567
; %bb.566:
	global_load_b64 v[0:1], v[4:5], off
	s_mov_b32 s34, -1
	s_mov_b32 s31, 0
	s_wait_loadcnt 0x0
	v_clz_i32_u32_e32 v2, v1
	s_delay_alu instid0(VALU_DEP_1) | instskip(NEXT) | instid1(VALU_DEP_1)
	v_min_u32_e32 v2, 32, v2
	v_lshlrev_b64_e32 v[0:1], v2, v[0:1]
	s_delay_alu instid0(VALU_DEP_1) | instskip(NEXT) | instid1(VALU_DEP_1)
	v_min_u32_e32 v0, 1, v0
	v_dual_sub_nc_u32 v1, 32, v2 :: v_dual_bitop2_b32 v0, v1, v0 bitop3:0x54
	s_delay_alu instid0(VALU_DEP_1) | instskip(NEXT) | instid1(VALU_DEP_1)
	v_cvt_f32_u32_e32 v0, v0
	v_ldexp_f32 v0, v0, v1
	s_branch .LBB158_568
.LBB158_567:
	s_mov_b32 s31, -1
                                        ; implicit-def: $vgpr0
.LBB158_568:
	v_mov_b32_e32 v2, 0
.LBB158_569:
	s_mov_b32 s35, 0
.LBB158_570:
	s_delay_alu instid0(SALU_CYCLE_1)
	s_and_b32 vcc_lo, exec_lo, s35
	s_cbranch_vccz .LBB158_586
; %bb.571:
	s_cmp_lt_i32 s33, 27
	s_cbranch_scc1 .LBB158_574
; %bb.572:
	s_cmp_gt_i32 s33, 27
	s_cbranch_scc0 .LBB158_575
; %bb.573:
	global_load_b32 v0, v[4:5], off
	s_mov_b32 s34, 0
	s_wait_loadcnt 0x0
	v_cvt_f32_u32_e32 v0, v0
	s_branch .LBB158_576
.LBB158_574:
	s_mov_b32 s34, -1
                                        ; implicit-def: $vgpr0
	s_branch .LBB158_579
.LBB158_575:
	s_mov_b32 s34, -1
                                        ; implicit-def: $vgpr0
.LBB158_576:
	s_delay_alu instid0(SALU_CYCLE_1)
	s_and_not1_b32 vcc_lo, exec_lo, s34
	s_cbranch_vccnz .LBB158_578
; %bb.577:
	global_load_u16 v0, v[4:5], off
	s_wait_loadcnt 0x0
	v_cvt_f32_u32_e32 v0, v0
.LBB158_578:
	s_mov_b32 s34, 0
.LBB158_579:
	s_delay_alu instid0(SALU_CYCLE_1)
	s_and_not1_b32 vcc_lo, exec_lo, s34
	s_cbranch_vccnz .LBB158_585
; %bb.580:
	global_load_u8 v1, v[4:5], off
	s_mov_b32 s34, 0
	s_mov_b32 s35, exec_lo
	s_wait_loadcnt 0x0
	v_cmpx_lt_i16_e32 0x7f, v1
	s_xor_b32 s35, exec_lo, s35
	s_cbranch_execnz .LBB158_598
; %bb.581:
	s_or_saveexec_b32 s35, s35
	v_mov_b32_e32 v0, 0x7f800001
	s_xor_b32 exec_lo, exec_lo, s35
	s_cbranch_execnz .LBB158_601
.LBB158_582:
	s_or_b32 exec_lo, exec_lo, s35
	s_and_saveexec_b32 s35, s34
	s_cbranch_execz .LBB158_584
.LBB158_583:
	v_and_b32_e32 v0, 0xffff, v1
	s_delay_alu instid0(VALU_DEP_1) | instskip(SKIP_1) | instid1(VALU_DEP_2)
	v_and_b32_e32 v2, 7, v0
	v_bfe_u32 v7, v0, 3, 4
	v_clz_i32_u32_e32 v3, v2
	s_delay_alu instid0(VALU_DEP_2) | instskip(NEXT) | instid1(VALU_DEP_2)
	v_cmp_eq_u32_e32 vcc_lo, 0, v7
	v_min_u32_e32 v3, 32, v3
	s_delay_alu instid0(VALU_DEP_1) | instskip(NEXT) | instid1(VALU_DEP_1)
	v_subrev_nc_u32_e32 v6, 28, v3
	v_dual_lshlrev_b32 v0, v6, v0 :: v_dual_sub_nc_u32 v3, 29, v3
	s_delay_alu instid0(VALU_DEP_1) | instskip(NEXT) | instid1(VALU_DEP_1)
	v_dual_lshlrev_b32 v1, 24, v1 :: v_dual_bitop2_b32 v0, 7, v0 bitop3:0x40
	v_dual_cndmask_b32 v3, v7, v3 :: v_dual_cndmask_b32 v0, v2, v0
	s_delay_alu instid0(VALU_DEP_2) | instskip(NEXT) | instid1(VALU_DEP_2)
	v_and_b32_e32 v1, 0x80000000, v1
	v_lshl_add_u32 v2, v3, 23, 0x3b800000
	s_delay_alu instid0(VALU_DEP_3) | instskip(NEXT) | instid1(VALU_DEP_1)
	v_lshlrev_b32_e32 v0, 20, v0
	v_or3_b32 v0, v1, v2, v0
.LBB158_584:
	s_or_b32 exec_lo, exec_lo, s35
.LBB158_585:
	v_mov_b32_e32 v2, 0
	s_mov_b32 s34, -1
.LBB158_586:
	s_mov_b32 s35, 0
.LBB158_587:
	s_delay_alu instid0(SALU_CYCLE_1)
	s_and_b32 vcc_lo, exec_lo, s35
	s_cbranch_vccz .LBB158_621
; %bb.588:
	s_cmp_gt_i32 s33, 22
	s_cbranch_scc0 .LBB158_596
; %bb.589:
	s_cmp_lt_i32 s33, 24
	s_cbranch_scc1 .LBB158_597
; %bb.590:
	s_cmp_gt_i32 s33, 24
	s_cbranch_scc0 .LBB158_602
; %bb.591:
	global_load_u8 v1, v[4:5], off
	s_mov_b32 s34, 0
	s_mov_b32 s35, exec_lo
	s_wait_loadcnt 0x0
	v_cmpx_lt_i16_e32 0x7f, v1
	s_xor_b32 s35, exec_lo, s35
	s_cbranch_execnz .LBB158_673
; %bb.592:
	s_or_saveexec_b32 s35, s35
	v_mov_b32_e32 v0, 0x7f800001
	s_xor_b32 exec_lo, exec_lo, s35
	s_cbranch_execnz .LBB158_676
.LBB158_593:
	s_or_b32 exec_lo, exec_lo, s35
	s_and_saveexec_b32 s35, s34
	s_cbranch_execz .LBB158_595
.LBB158_594:
	v_and_b32_e32 v0, 0xffff, v1
	s_delay_alu instid0(VALU_DEP_1) | instskip(SKIP_1) | instid1(VALU_DEP_2)
	v_and_b32_e32 v2, 3, v0
	v_bfe_u32 v7, v0, 2, 5
	v_clz_i32_u32_e32 v3, v2
	s_delay_alu instid0(VALU_DEP_2) | instskip(NEXT) | instid1(VALU_DEP_2)
	v_cmp_eq_u32_e32 vcc_lo, 0, v7
	v_min_u32_e32 v3, 32, v3
	s_delay_alu instid0(VALU_DEP_1) | instskip(NEXT) | instid1(VALU_DEP_1)
	v_subrev_nc_u32_e32 v6, 29, v3
	v_dual_lshlrev_b32 v0, v6, v0 :: v_dual_sub_nc_u32 v3, 30, v3
	s_delay_alu instid0(VALU_DEP_1) | instskip(NEXT) | instid1(VALU_DEP_1)
	v_dual_lshlrev_b32 v1, 24, v1 :: v_dual_bitop2_b32 v0, 3, v0 bitop3:0x40
	v_dual_cndmask_b32 v3, v7, v3 :: v_dual_cndmask_b32 v0, v2, v0
	s_delay_alu instid0(VALU_DEP_2) | instskip(NEXT) | instid1(VALU_DEP_2)
	v_and_b32_e32 v1, 0x80000000, v1
	v_lshl_add_u32 v2, v3, 23, 0x37800000
	s_delay_alu instid0(VALU_DEP_3) | instskip(NEXT) | instid1(VALU_DEP_1)
	v_lshlrev_b32_e32 v0, 21, v0
	v_or3_b32 v0, v1, v2, v0
.LBB158_595:
	s_or_b32 exec_lo, exec_lo, s35
	s_mov_b32 s34, 0
	s_branch .LBB158_603
.LBB158_596:
	s_mov_b32 s35, -1
                                        ; implicit-def: $vgpr0
	s_branch .LBB158_609
.LBB158_597:
	s_mov_b32 s34, -1
                                        ; implicit-def: $vgpr0
	s_branch .LBB158_606
.LBB158_598:
	s_mov_b32 s34, -1
	s_mov_b32 s37, exec_lo
	v_cmpx_eq_u16_e32 0x80, v1
; %bb.599:
	s_xor_b32 s34, exec_lo, -1
; %bb.600:
	s_or_b32 exec_lo, exec_lo, s37
	s_delay_alu instid0(SALU_CYCLE_1)
	s_and_b32 s34, s34, exec_lo
	s_or_saveexec_b32 s35, s35
	v_mov_b32_e32 v0, 0x7f800001
	s_xor_b32 exec_lo, exec_lo, s35
	s_cbranch_execz .LBB158_582
.LBB158_601:
	v_cmp_ne_u16_e32 vcc_lo, 0, v1
	v_mov_b32_e32 v0, 0
	s_and_not1_b32 s34, s34, exec_lo
	s_and_b32 s37, vcc_lo, exec_lo
	s_delay_alu instid0(SALU_CYCLE_1)
	s_or_b32 s34, s34, s37
	s_or_b32 exec_lo, exec_lo, s35
	s_and_saveexec_b32 s35, s34
	s_cbranch_execnz .LBB158_583
	s_branch .LBB158_584
.LBB158_602:
	s_mov_b32 s34, -1
                                        ; implicit-def: $vgpr0
.LBB158_603:
	s_delay_alu instid0(SALU_CYCLE_1)
	s_and_b32 vcc_lo, exec_lo, s34
	s_cbranch_vccz .LBB158_605
; %bb.604:
	global_load_u8 v0, v[4:5], off
	s_wait_loadcnt 0x0
	v_lshlrev_b32_e32 v0, 24, v0
	s_delay_alu instid0(VALU_DEP_1) | instskip(NEXT) | instid1(VALU_DEP_1)
	v_and_b32_e32 v1, 0x7f000000, v0
	v_clz_i32_u32_e32 v2, v1
	v_cmp_ne_u32_e32 vcc_lo, 0, v1
	v_add_nc_u32_e32 v6, 0x1000000, v1
	s_delay_alu instid0(VALU_DEP_3) | instskip(NEXT) | instid1(VALU_DEP_1)
	v_min_u32_e32 v2, 32, v2
	v_sub_nc_u32_e64 v2, v2, 4 clamp
	s_delay_alu instid0(VALU_DEP_1) | instskip(NEXT) | instid1(VALU_DEP_1)
	v_dual_lshlrev_b32 v3, v2, v1 :: v_dual_lshlrev_b32 v2, 23, v2
	v_lshrrev_b32_e32 v3, 4, v3
	s_delay_alu instid0(VALU_DEP_1) | instskip(SKIP_1) | instid1(VALU_DEP_2)
	v_sub_nc_u32_e32 v2, v3, v2
	v_ashrrev_i32_e32 v3, 8, v6
	v_add_nc_u32_e32 v2, 0x3c000000, v2
	s_delay_alu instid0(VALU_DEP_1) | instskip(NEXT) | instid1(VALU_DEP_1)
	v_and_or_b32 v2, 0x7f800000, v3, v2
	v_cndmask_b32_e32 v1, 0, v2, vcc_lo
	s_delay_alu instid0(VALU_DEP_1)
	v_and_or_b32 v0, 0x80000000, v0, v1
.LBB158_605:
	s_mov_b32 s34, 0
.LBB158_606:
	s_delay_alu instid0(SALU_CYCLE_1)
	s_and_not1_b32 vcc_lo, exec_lo, s34
	s_cbranch_vccnz .LBB158_608
; %bb.607:
	global_load_u8 v0, v[4:5], off
	s_wait_loadcnt 0x0
	v_lshlrev_b32_e32 v1, 25, v0
	v_lshlrev_b16 v0, 8, v0
	s_delay_alu instid0(VALU_DEP_1) | instskip(SKIP_1) | instid1(VALU_DEP_2)
	v_and_or_b32 v3, 0x7f00, v0, 0.5
	v_bfe_i32 v0, v0, 0, 16
	v_dual_add_f32 v3, -0.5, v3 :: v_dual_lshrrev_b32 v2, 4, v1
	v_cmp_gt_u32_e32 vcc_lo, 0x8000000, v1
	s_delay_alu instid0(VALU_DEP_2) | instskip(NEXT) | instid1(VALU_DEP_1)
	v_or_b32_e32 v2, 0x70000000, v2
	v_mul_f32_e32 v2, 0x7800000, v2
	s_delay_alu instid0(VALU_DEP_1) | instskip(NEXT) | instid1(VALU_DEP_1)
	v_cndmask_b32_e32 v1, v2, v3, vcc_lo
	v_and_or_b32 v0, 0x80000000, v0, v1
.LBB158_608:
	s_mov_b32 s35, 0
	s_mov_b32 s34, -1
.LBB158_609:
	s_and_not1_b32 vcc_lo, exec_lo, s35
	s_cbranch_vccnz .LBB158_620
; %bb.610:
	s_cmp_gt_i32 s33, 14
	s_cbranch_scc0 .LBB158_613
; %bb.611:
	s_cmp_eq_u32 s33, 15
	s_cbranch_scc0 .LBB158_614
; %bb.612:
	global_load_u16 v0, v[4:5], off
	s_mov_b32 s34, -1
	s_mov_b32 s31, 0
	s_wait_loadcnt 0x0
	v_lshlrev_b32_e32 v0, 16, v0
	s_branch .LBB158_615
.LBB158_613:
	s_mov_b32 s35, -1
                                        ; implicit-def: $vgpr0
	s_branch .LBB158_616
.LBB158_614:
	s_mov_b32 s31, -1
                                        ; implicit-def: $vgpr0
.LBB158_615:
	s_mov_b32 s35, 0
.LBB158_616:
	s_delay_alu instid0(SALU_CYCLE_1)
	s_and_b32 vcc_lo, exec_lo, s35
	s_cbranch_vccz .LBB158_620
; %bb.617:
	s_cmp_eq_u32 s33, 11
	s_cbranch_scc0 .LBB158_619
; %bb.618:
	global_load_u8 v0, v[4:5], off
	s_mov_b32 s31, 0
	s_mov_b32 s34, -1
	v_mov_b32_e32 v2, 0
	s_wait_loadcnt 0x0
	v_cmp_ne_u16_e32 vcc_lo, 0, v0
	v_cndmask_b32_e64 v0, 0, 1.0, vcc_lo
	s_branch .LBB158_621
.LBB158_619:
	s_mov_b32 s31, -1
                                        ; implicit-def: $vgpr0
.LBB158_620:
	v_mov_b32_e32 v2, 0
.LBB158_621:
	s_branch .LBB158_539
.LBB158_622:
	s_and_b32 s0, 0xffff, s0
	s_delay_alu instid0(SALU_CYCLE_1)
	s_cmp_lt_i32 s0, 5
	s_cbranch_scc1 .LBB158_627
; %bb.623:
	s_cmp_lt_i32 s0, 8
	s_cbranch_scc1 .LBB158_628
; %bb.624:
	;; [unrolled: 3-line block ×3, first 2 shown]
	s_cmp_gt_i32 s0, 9
	s_cbranch_scc0 .LBB158_630
; %bb.626:
	global_load_b128 v[0:3], v[4:5], off
	s_mov_b32 s33, 0
	s_wait_loadcnt 0x0
	v_cvt_f32_f64_e32 v0, v[0:1]
	v_cvt_f32_f64_e32 v2, v[2:3]
	s_branch .LBB158_631
.LBB158_627:
	s_mov_b32 s33, -1
                                        ; implicit-def: $vgpr2
                                        ; implicit-def: $vgpr0
	s_branch .LBB158_650
.LBB158_628:
	s_mov_b32 s33, -1
                                        ; implicit-def: $vgpr2
                                        ; implicit-def: $vgpr0
	s_branch .LBB158_637
.LBB158_629:
	s_mov_b32 s33, -1
                                        ; implicit-def: $vgpr2
                                        ; implicit-def: $vgpr0
	s_branch .LBB158_634
.LBB158_630:
	s_mov_b32 s33, -1
                                        ; implicit-def: $vgpr2
                                        ; implicit-def: $vgpr0
.LBB158_631:
	s_delay_alu instid0(SALU_CYCLE_1)
	s_and_not1_b32 vcc_lo, exec_lo, s33
	s_cbranch_vccnz .LBB158_633
; %bb.632:
	global_load_b64 v[0:1], v[4:5], off
	s_wait_loadcnt 0x0
	v_mov_b32_e32 v2, v1
.LBB158_633:
	s_mov_b32 s33, 0
.LBB158_634:
	s_delay_alu instid0(SALU_CYCLE_1)
	s_and_not1_b32 vcc_lo, exec_lo, s33
	s_cbranch_vccnz .LBB158_636
; %bb.635:
	global_load_b32 v0, v[4:5], off
	s_wait_loadcnt 0x0
	v_lshrrev_b32_e32 v1, 16, v0
	v_cvt_f32_f16_e32 v0, v0
	s_delay_alu instid0(VALU_DEP_2)
	v_cvt_f32_f16_e32 v2, v1
.LBB158_636:
	s_mov_b32 s33, 0
.LBB158_637:
	s_delay_alu instid0(SALU_CYCLE_1)
	s_and_not1_b32 vcc_lo, exec_lo, s33
	s_cbranch_vccnz .LBB158_649
; %bb.638:
	s_cmp_lt_i32 s0, 6
	s_cbranch_scc1 .LBB158_641
; %bb.639:
	s_cmp_gt_i32 s0, 6
	s_cbranch_scc0 .LBB158_642
; %bb.640:
	global_load_b64 v[0:1], v[4:5], off
	s_mov_b32 s33, 0
	s_wait_loadcnt 0x0
	v_cvt_f32_f64_e32 v0, v[0:1]
	s_branch .LBB158_643
.LBB158_641:
	s_mov_b32 s33, -1
                                        ; implicit-def: $vgpr0
	s_branch .LBB158_646
.LBB158_642:
	s_mov_b32 s33, -1
                                        ; implicit-def: $vgpr0
.LBB158_643:
	s_delay_alu instid0(SALU_CYCLE_1)
	s_and_not1_b32 vcc_lo, exec_lo, s33
	s_cbranch_vccnz .LBB158_645
; %bb.644:
	global_load_b32 v0, v[4:5], off
.LBB158_645:
	s_mov_b32 s33, 0
.LBB158_646:
	s_delay_alu instid0(SALU_CYCLE_1)
	s_and_not1_b32 vcc_lo, exec_lo, s33
	s_cbranch_vccnz .LBB158_648
; %bb.647:
	s_wait_loadcnt 0x0
	global_load_u16 v0, v[4:5], off
	s_wait_loadcnt 0x0
	v_cvt_f32_f16_e32 v0, v0
.LBB158_648:
	v_mov_b32_e32 v2, 0
.LBB158_649:
	s_mov_b32 s33, 0
.LBB158_650:
	s_delay_alu instid0(SALU_CYCLE_1)
	s_and_not1_b32 vcc_lo, exec_lo, s33
	s_cbranch_vccnz .LBB158_671
; %bb.651:
	s_cmp_lt_i32 s0, 2
	s_cbranch_scc1 .LBB158_655
; %bb.652:
	s_cmp_lt_i32 s0, 3
	s_cbranch_scc1 .LBB158_656
; %bb.653:
	s_cmp_gt_i32 s0, 3
	s_cbranch_scc0 .LBB158_657
; %bb.654:
	s_wait_loadcnt 0x0
	global_load_b64 v[0:1], v[4:5], off
	s_mov_b32 s33, 0
	s_wait_loadcnt 0x0
	v_xor_b32_e32 v2, v0, v1
	v_cls_i32_e32 v3, v1
	s_delay_alu instid0(VALU_DEP_2) | instskip(NEXT) | instid1(VALU_DEP_1)
	v_ashrrev_i32_e32 v2, 31, v2
	v_add_nc_u32_e32 v2, 32, v2
	s_delay_alu instid0(VALU_DEP_1) | instskip(NEXT) | instid1(VALU_DEP_1)
	v_add_min_u32_e64 v2, v3, -1, v2
	v_lshlrev_b64_e32 v[0:1], v2, v[0:1]
	s_delay_alu instid0(VALU_DEP_1) | instskip(NEXT) | instid1(VALU_DEP_1)
	v_min_u32_e32 v0, 1, v0
	v_dual_sub_nc_u32 v1, 32, v2 :: v_dual_bitop2_b32 v0, v1, v0 bitop3:0x54
	s_delay_alu instid0(VALU_DEP_1) | instskip(NEXT) | instid1(VALU_DEP_1)
	v_cvt_f32_i32_e32 v0, v0
	v_ldexp_f32 v0, v0, v1
	s_branch .LBB158_658
.LBB158_655:
	s_mov_b32 s33, -1
                                        ; implicit-def: $vgpr0
	s_branch .LBB158_664
.LBB158_656:
	s_mov_b32 s33, -1
                                        ; implicit-def: $vgpr0
	s_branch .LBB158_661
.LBB158_657:
	s_mov_b32 s33, -1
                                        ; implicit-def: $vgpr0
.LBB158_658:
	s_delay_alu instid0(SALU_CYCLE_1)
	s_and_not1_b32 vcc_lo, exec_lo, s33
	s_cbranch_vccnz .LBB158_660
; %bb.659:
	s_wait_loadcnt 0x0
	global_load_b32 v0, v[4:5], off
	s_wait_loadcnt 0x0
	v_cvt_f32_i32_e32 v0, v0
.LBB158_660:
	s_mov_b32 s33, 0
.LBB158_661:
	s_delay_alu instid0(SALU_CYCLE_1)
	s_and_not1_b32 vcc_lo, exec_lo, s33
	s_cbranch_vccnz .LBB158_663
; %bb.662:
	s_wait_loadcnt 0x0
	global_load_i16 v0, v[4:5], off
	s_wait_loadcnt 0x0
	v_cvt_f32_i32_e32 v0, v0
.LBB158_663:
	s_mov_b32 s33, 0
.LBB158_664:
	s_delay_alu instid0(SALU_CYCLE_1)
	s_and_not1_b32 vcc_lo, exec_lo, s33
	s_cbranch_vccnz .LBB158_670
; %bb.665:
	s_cmp_gt_i32 s0, 0
	s_mov_b32 s0, 0
	s_cbranch_scc0 .LBB158_667
; %bb.666:
	s_wait_loadcnt 0x0
	global_load_i8 v0, v[4:5], off
	s_wait_loadcnt 0x0
	v_cvt_f32_i32_e32 v0, v0
	s_branch .LBB158_668
.LBB158_667:
	s_mov_b32 s0, -1
                                        ; implicit-def: $vgpr0
.LBB158_668:
	s_delay_alu instid0(SALU_CYCLE_1)
	s_and_not1_b32 vcc_lo, exec_lo, s0
	s_cbranch_vccnz .LBB158_670
; %bb.669:
	s_wait_loadcnt 0x0
	global_load_u8 v0, v[4:5], off
	s_wait_loadcnt 0x0
	v_cvt_f32_ubyte0_e32 v0, v0
.LBB158_670:
	v_mov_b32_e32 v2, 0
.LBB158_671:
	s_branch .LBB158_540
.LBB158_672:
	s_mov_b32 s37, 0
	s_mov_b32 s0, s25
	;; [unrolled: 1-line block ×4, first 2 shown]
	s_branch .LBB158_1060
.LBB158_673:
	s_mov_b32 s34, -1
	s_mov_b32 s37, exec_lo
	v_cmpx_eq_u16_e32 0x80, v1
; %bb.674:
	s_xor_b32 s34, exec_lo, -1
; %bb.675:
	s_or_b32 exec_lo, exec_lo, s37
	s_delay_alu instid0(SALU_CYCLE_1)
	s_and_b32 s34, s34, exec_lo
	s_or_saveexec_b32 s35, s35
	v_mov_b32_e32 v0, 0x7f800001
	s_xor_b32 exec_lo, exec_lo, s35
	s_cbranch_execz .LBB158_593
.LBB158_676:
	v_cmp_ne_u16_e32 vcc_lo, 0, v1
	v_mov_b32_e32 v0, 0
	s_and_not1_b32 s34, s34, exec_lo
	s_and_b32 s37, vcc_lo, exec_lo
	s_delay_alu instid0(SALU_CYCLE_1)
	s_or_b32 s34, s34, s37
	s_or_b32 exec_lo, exec_lo, s35
	s_and_saveexec_b32 s35, s34
	s_cbranch_execnz .LBB158_594
	s_branch .LBB158_595
.LBB158_677:
	s_mov_b32 s35, -1
	s_mov_b32 s34, 0
.LBB158_678:
                                        ; implicit-def: $vgpr5
.LBB158_679:
	s_and_b32 vcc_lo, exec_lo, s37
	s_cbranch_vccz .LBB158_684
; %bb.680:
	s_cmp_eq_u32 s33, 44
	s_cbranch_scc0 .LBB158_682
; %bb.681:
	global_load_u8 v1, v[6:7], off
	s_mov_b32 s35, 0
	s_mov_b32 s34, -1
	s_wait_loadcnt 0x0
	v_lshlrev_b32_e32 v3, 23, v1
	v_cmp_ne_u32_e32 vcc_lo, 0xff, v1
	s_delay_alu instid0(VALU_DEP_2) | instskip(SKIP_1) | instid1(VALU_DEP_2)
	v_cndmask_b32_e32 v3, 0x7f800001, v3, vcc_lo
	v_cmp_ne_u32_e32 vcc_lo, 0, v1
	v_cndmask_b32_e32 v4, 0x400000, v3, vcc_lo
	s_branch .LBB158_683
.LBB158_682:
	s_mov_b32 s35, -1
                                        ; implicit-def: $vgpr4
.LBB158_683:
	v_mov_b32_e32 v5, 0
.LBB158_684:
	s_mov_b32 s37, 0
.LBB158_685:
	s_delay_alu instid0(SALU_CYCLE_1)
	s_and_b32 vcc_lo, exec_lo, s37
	s_cbranch_vccz .LBB158_690
; %bb.686:
	s_cmp_eq_u32 s33, 29
	s_cbranch_scc0 .LBB158_688
; %bb.687:
	global_load_b64 v[4:5], v[6:7], off
	s_mov_b32 s34, -1
	s_mov_b32 s35, 0
	s_wait_loadcnt 0x0
	v_clz_i32_u32_e32 v1, v5
	s_delay_alu instid0(VALU_DEP_1) | instskip(NEXT) | instid1(VALU_DEP_1)
	v_min_u32_e32 v1, 32, v1
	v_lshlrev_b64_e32 v[4:5], v1, v[4:5]
	v_sub_nc_u32_e32 v1, 32, v1
	s_delay_alu instid0(VALU_DEP_2) | instskip(NEXT) | instid1(VALU_DEP_1)
	v_min_u32_e32 v3, 1, v4
	v_or_b32_e32 v3, v5, v3
	s_delay_alu instid0(VALU_DEP_1) | instskip(NEXT) | instid1(VALU_DEP_1)
	v_cvt_f32_u32_e32 v3, v3
	v_ldexp_f32 v4, v3, v1
	s_branch .LBB158_689
.LBB158_688:
	s_mov_b32 s35, -1
                                        ; implicit-def: $vgpr4
.LBB158_689:
	v_mov_b32_e32 v5, 0
.LBB158_690:
	s_mov_b32 s37, 0
.LBB158_691:
	s_delay_alu instid0(SALU_CYCLE_1)
	s_and_b32 vcc_lo, exec_lo, s37
	s_cbranch_vccz .LBB158_707
; %bb.692:
	s_cmp_lt_i32 s33, 27
	s_cbranch_scc1 .LBB158_695
; %bb.693:
	s_cmp_gt_i32 s33, 27
	s_cbranch_scc0 .LBB158_696
; %bb.694:
	global_load_b32 v1, v[6:7], off
	s_mov_b32 s34, 0
	s_wait_loadcnt 0x0
	v_cvt_f32_u32_e32 v4, v1
	s_branch .LBB158_697
.LBB158_695:
	s_mov_b32 s34, -1
                                        ; implicit-def: $vgpr4
	s_branch .LBB158_700
.LBB158_696:
	s_mov_b32 s34, -1
                                        ; implicit-def: $vgpr4
.LBB158_697:
	s_delay_alu instid0(SALU_CYCLE_1)
	s_and_not1_b32 vcc_lo, exec_lo, s34
	s_cbranch_vccnz .LBB158_699
; %bb.698:
	global_load_u16 v1, v[6:7], off
	s_wait_loadcnt 0x0
	v_cvt_f32_u32_e32 v4, v1
.LBB158_699:
	s_mov_b32 s34, 0
.LBB158_700:
	s_delay_alu instid0(SALU_CYCLE_1)
	s_and_not1_b32 vcc_lo, exec_lo, s34
	s_cbranch_vccnz .LBB158_706
; %bb.701:
	global_load_u8 v1, v[6:7], off
	s_mov_b32 s34, 0
	s_mov_b32 s37, exec_lo
	s_wait_loadcnt 0x0
	v_cmpx_lt_i16_e32 0x7f, v1
	s_xor_b32 s37, exec_lo, s37
	s_cbranch_execnz .LBB158_719
; %bb.702:
	s_or_saveexec_b32 s37, s37
	v_mov_b32_e32 v4, 0x7f800001
	s_xor_b32 exec_lo, exec_lo, s37
	s_cbranch_execnz .LBB158_722
.LBB158_703:
	s_or_b32 exec_lo, exec_lo, s37
	s_and_saveexec_b32 s37, s34
	s_cbranch_execz .LBB158_705
.LBB158_704:
	v_and_b32_e32 v3, 0xffff, v1
	s_delay_alu instid0(VALU_DEP_1) | instskip(SKIP_1) | instid1(VALU_DEP_2)
	v_and_b32_e32 v4, 7, v3
	v_bfe_u32 v9, v3, 3, 4
	v_clz_i32_u32_e32 v5, v4
	s_delay_alu instid0(VALU_DEP_2) | instskip(NEXT) | instid1(VALU_DEP_2)
	v_cmp_eq_u32_e32 vcc_lo, 0, v9
	v_min_u32_e32 v5, 32, v5
	s_delay_alu instid0(VALU_DEP_1) | instskip(NEXT) | instid1(VALU_DEP_1)
	v_subrev_nc_u32_e32 v8, 28, v5
	v_dual_lshlrev_b32 v3, v8, v3 :: v_dual_sub_nc_u32 v5, 29, v5
	s_delay_alu instid0(VALU_DEP_1) | instskip(NEXT) | instid1(VALU_DEP_1)
	v_dual_lshlrev_b32 v1, 24, v1 :: v_dual_bitop2_b32 v3, 7, v3 bitop3:0x40
	v_dual_cndmask_b32 v3, v4, v3, vcc_lo :: v_dual_cndmask_b32 v5, v9, v5, vcc_lo
	s_delay_alu instid0(VALU_DEP_2) | instskip(NEXT) | instid1(VALU_DEP_2)
	v_and_b32_e32 v1, 0x80000000, v1
	v_lshlrev_b32_e32 v3, 20, v3
	s_delay_alu instid0(VALU_DEP_3) | instskip(NEXT) | instid1(VALU_DEP_1)
	v_lshl_add_u32 v4, v5, 23, 0x3b800000
	v_or3_b32 v4, v1, v4, v3
.LBB158_705:
	s_or_b32 exec_lo, exec_lo, s37
.LBB158_706:
	v_mov_b32_e32 v5, 0
	s_mov_b32 s34, -1
.LBB158_707:
	s_mov_b32 s37, 0
.LBB158_708:
	s_delay_alu instid0(SALU_CYCLE_1)
	s_and_b32 vcc_lo, exec_lo, s37
	s_cbranch_vccz .LBB158_742
; %bb.709:
	s_cmp_gt_i32 s33, 22
	s_cbranch_scc0 .LBB158_717
; %bb.710:
	s_cmp_lt_i32 s33, 24
	s_cbranch_scc1 .LBB158_718
; %bb.711:
	s_cmp_gt_i32 s33, 24
	s_cbranch_scc0 .LBB158_723
; %bb.712:
	global_load_u8 v1, v[6:7], off
	s_mov_b32 s34, 0
	s_mov_b32 s37, exec_lo
	s_wait_loadcnt 0x0
	v_cmpx_lt_i16_e32 0x7f, v1
	s_xor_b32 s37, exec_lo, s37
	s_cbranch_execnz .LBB158_807
; %bb.713:
	s_or_saveexec_b32 s37, s37
	v_mov_b32_e32 v4, 0x7f800001
	s_xor_b32 exec_lo, exec_lo, s37
	s_cbranch_execnz .LBB158_810
.LBB158_714:
	s_or_b32 exec_lo, exec_lo, s37
	s_and_saveexec_b32 s37, s34
	s_cbranch_execz .LBB158_716
.LBB158_715:
	v_and_b32_e32 v3, 0xffff, v1
	s_delay_alu instid0(VALU_DEP_1) | instskip(SKIP_1) | instid1(VALU_DEP_2)
	v_and_b32_e32 v4, 3, v3
	v_bfe_u32 v9, v3, 2, 5
	v_clz_i32_u32_e32 v5, v4
	s_delay_alu instid0(VALU_DEP_2) | instskip(NEXT) | instid1(VALU_DEP_2)
	v_cmp_eq_u32_e32 vcc_lo, 0, v9
	v_min_u32_e32 v5, 32, v5
	s_delay_alu instid0(VALU_DEP_1) | instskip(NEXT) | instid1(VALU_DEP_1)
	v_subrev_nc_u32_e32 v8, 29, v5
	v_dual_lshlrev_b32 v3, v8, v3 :: v_dual_sub_nc_u32 v5, 30, v5
	s_delay_alu instid0(VALU_DEP_1) | instskip(NEXT) | instid1(VALU_DEP_1)
	v_dual_lshlrev_b32 v1, 24, v1 :: v_dual_bitop2_b32 v3, 3, v3 bitop3:0x40
	v_dual_cndmask_b32 v3, v4, v3, vcc_lo :: v_dual_cndmask_b32 v5, v9, v5, vcc_lo
	s_delay_alu instid0(VALU_DEP_2) | instskip(NEXT) | instid1(VALU_DEP_2)
	v_and_b32_e32 v1, 0x80000000, v1
	v_lshlrev_b32_e32 v3, 21, v3
	s_delay_alu instid0(VALU_DEP_3) | instskip(NEXT) | instid1(VALU_DEP_1)
	v_lshl_add_u32 v4, v5, 23, 0x37800000
	v_or3_b32 v4, v1, v4, v3
.LBB158_716:
	s_or_b32 exec_lo, exec_lo, s37
	s_mov_b32 s34, 0
	s_branch .LBB158_724
.LBB158_717:
	s_mov_b32 s37, -1
                                        ; implicit-def: $vgpr4
	s_branch .LBB158_730
.LBB158_718:
	s_mov_b32 s34, -1
                                        ; implicit-def: $vgpr4
	s_branch .LBB158_727
.LBB158_719:
	s_mov_b32 s34, -1
	s_mov_b32 s38, exec_lo
	v_cmpx_eq_u16_e32 0x80, v1
; %bb.720:
	s_xor_b32 s34, exec_lo, -1
; %bb.721:
	s_or_b32 exec_lo, exec_lo, s38
	s_delay_alu instid0(SALU_CYCLE_1)
	s_and_b32 s34, s34, exec_lo
	s_or_saveexec_b32 s37, s37
	v_mov_b32_e32 v4, 0x7f800001
	s_xor_b32 exec_lo, exec_lo, s37
	s_cbranch_execz .LBB158_703
.LBB158_722:
	v_cmp_ne_u16_e32 vcc_lo, 0, v1
	v_mov_b32_e32 v4, 0
	s_and_not1_b32 s34, s34, exec_lo
	s_and_b32 s38, vcc_lo, exec_lo
	s_delay_alu instid0(SALU_CYCLE_1)
	s_or_b32 s34, s34, s38
	s_or_b32 exec_lo, exec_lo, s37
	s_and_saveexec_b32 s37, s34
	s_cbranch_execnz .LBB158_704
	s_branch .LBB158_705
.LBB158_723:
	s_mov_b32 s34, -1
                                        ; implicit-def: $vgpr4
.LBB158_724:
	s_delay_alu instid0(SALU_CYCLE_1)
	s_and_b32 vcc_lo, exec_lo, s34
	s_cbranch_vccz .LBB158_726
; %bb.725:
	global_load_u8 v1, v[6:7], off
	s_wait_loadcnt 0x0
	v_lshlrev_b32_e32 v1, 24, v1
	s_delay_alu instid0(VALU_DEP_1) | instskip(NEXT) | instid1(VALU_DEP_1)
	v_and_b32_e32 v3, 0x7f000000, v1
	v_clz_i32_u32_e32 v4, v3
	v_cmp_ne_u32_e32 vcc_lo, 0, v3
	v_add_nc_u32_e32 v8, 0x1000000, v3
	s_delay_alu instid0(VALU_DEP_3) | instskip(NEXT) | instid1(VALU_DEP_1)
	v_min_u32_e32 v4, 32, v4
	v_sub_nc_u32_e64 v4, v4, 4 clamp
	s_delay_alu instid0(VALU_DEP_1) | instskip(NEXT) | instid1(VALU_DEP_1)
	v_dual_lshlrev_b32 v5, v4, v3 :: v_dual_lshlrev_b32 v4, 23, v4
	v_lshrrev_b32_e32 v5, 4, v5
	s_delay_alu instid0(VALU_DEP_1) | instskip(SKIP_1) | instid1(VALU_DEP_2)
	v_sub_nc_u32_e32 v4, v5, v4
	v_ashrrev_i32_e32 v5, 8, v8
	v_add_nc_u32_e32 v4, 0x3c000000, v4
	s_delay_alu instid0(VALU_DEP_1) | instskip(NEXT) | instid1(VALU_DEP_1)
	v_and_or_b32 v4, 0x7f800000, v5, v4
	v_cndmask_b32_e32 v3, 0, v4, vcc_lo
	s_delay_alu instid0(VALU_DEP_1)
	v_and_or_b32 v4, 0x80000000, v1, v3
.LBB158_726:
	s_mov_b32 s34, 0
.LBB158_727:
	s_delay_alu instid0(SALU_CYCLE_1)
	s_and_not1_b32 vcc_lo, exec_lo, s34
	s_cbranch_vccnz .LBB158_729
; %bb.728:
	global_load_u8 v1, v[6:7], off
	s_wait_loadcnt 0x0
	v_lshlrev_b32_e32 v3, 25, v1
	v_lshlrev_b16 v1, 8, v1
	s_delay_alu instid0(VALU_DEP_1) | instskip(NEXT) | instid1(VALU_DEP_3)
	v_and_or_b32 v5, 0x7f00, v1, 0.5
	v_lshrrev_b32_e32 v4, 4, v3
	v_bfe_i32 v1, v1, 0, 16
	s_delay_alu instid0(VALU_DEP_3) | instskip(NEXT) | instid1(VALU_DEP_3)
	v_add_f32_e32 v5, -0.5, v5
	v_or_b32_e32 v4, 0x70000000, v4
	s_delay_alu instid0(VALU_DEP_1) | instskip(SKIP_1) | instid1(VALU_DEP_2)
	v_mul_f32_e32 v4, 0x7800000, v4
	v_cmp_gt_u32_e32 vcc_lo, 0x8000000, v3
	v_cndmask_b32_e32 v3, v4, v5, vcc_lo
	s_delay_alu instid0(VALU_DEP_1)
	v_and_or_b32 v4, 0x80000000, v1, v3
.LBB158_729:
	s_mov_b32 s37, 0
	s_mov_b32 s34, -1
.LBB158_730:
	s_and_not1_b32 vcc_lo, exec_lo, s37
	s_cbranch_vccnz .LBB158_741
; %bb.731:
	s_cmp_gt_i32 s33, 14
	s_cbranch_scc0 .LBB158_734
; %bb.732:
	s_cmp_eq_u32 s33, 15
	s_cbranch_scc0 .LBB158_735
; %bb.733:
	global_load_u16 v1, v[6:7], off
	s_mov_b32 s34, -1
	s_mov_b32 s35, 0
	s_wait_loadcnt 0x0
	v_lshlrev_b32_e32 v4, 16, v1
	s_branch .LBB158_736
.LBB158_734:
	s_mov_b32 s37, -1
                                        ; implicit-def: $vgpr4
	s_branch .LBB158_737
.LBB158_735:
	s_mov_b32 s35, -1
                                        ; implicit-def: $vgpr4
.LBB158_736:
	s_mov_b32 s37, 0
.LBB158_737:
	s_delay_alu instid0(SALU_CYCLE_1)
	s_and_b32 vcc_lo, exec_lo, s37
	s_cbranch_vccz .LBB158_741
; %bb.738:
	s_cmp_eq_u32 s33, 11
	s_cbranch_scc0 .LBB158_740
; %bb.739:
	global_load_u8 v1, v[6:7], off
	s_mov_b32 s35, 0
	s_mov_b32 s34, -1
	v_mov_b32_e32 v5, 0
	s_wait_loadcnt 0x0
	v_cmp_ne_u16_e32 vcc_lo, 0, v1
	v_cndmask_b32_e64 v4, 0, 1.0, vcc_lo
	s_branch .LBB158_742
.LBB158_740:
	s_mov_b32 s35, -1
                                        ; implicit-def: $vgpr4
.LBB158_741:
	v_mov_b32_e32 v5, 0
.LBB158_742:
	s_mov_b32 s33, 0
.LBB158_743:
	s_delay_alu instid0(SALU_CYCLE_1)
	s_and_b32 vcc_lo, exec_lo, s33
	s_cbranch_vccz .LBB158_794
; %bb.744:
	s_and_b32 s0, 0xffff, s0
	s_delay_alu instid0(SALU_CYCLE_1)
	s_cmp_lt_i32 s0, 5
	s_cbranch_scc1 .LBB158_749
; %bb.745:
	s_cmp_lt_i32 s0, 8
	s_cbranch_scc1 .LBB158_750
; %bb.746:
	;; [unrolled: 3-line block ×3, first 2 shown]
	s_cmp_gt_i32 s0, 9
	s_cbranch_scc0 .LBB158_752
; %bb.748:
	global_load_b128 v[8:11], v[6:7], off
	s_mov_b32 s33, 0
	s_wait_loadcnt 0x0
	v_cvt_f32_f64_e32 v4, v[8:9]
	v_cvt_f32_f64_e32 v5, v[10:11]
	s_branch .LBB158_753
.LBB158_749:
	s_mov_b32 s33, -1
                                        ; implicit-def: $vgpr5
	s_branch .LBB158_772
.LBB158_750:
	s_mov_b32 s33, -1
                                        ; implicit-def: $vgpr5
	s_branch .LBB158_759
.LBB158_751:
	s_mov_b32 s33, -1
                                        ; implicit-def: $vgpr5
	s_branch .LBB158_756
.LBB158_752:
	s_mov_b32 s33, -1
                                        ; implicit-def: $vgpr5
.LBB158_753:
	s_delay_alu instid0(SALU_CYCLE_1)
	s_and_not1_b32 vcc_lo, exec_lo, s33
	s_cbranch_vccnz .LBB158_755
; %bb.754:
	global_load_b64 v[4:5], v[6:7], off
.LBB158_755:
	s_mov_b32 s33, 0
.LBB158_756:
	s_delay_alu instid0(SALU_CYCLE_1)
	s_and_not1_b32 vcc_lo, exec_lo, s33
	s_cbranch_vccnz .LBB158_758
; %bb.757:
	global_load_b32 v1, v[6:7], off
	s_wait_loadcnt 0x0
	v_lshrrev_b32_e32 v3, 16, v1
	v_cvt_f32_f16_e32 v4, v1
	s_delay_alu instid0(VALU_DEP_2)
	v_cvt_f32_f16_e32 v5, v3
.LBB158_758:
	s_mov_b32 s33, 0
.LBB158_759:
	s_delay_alu instid0(SALU_CYCLE_1)
	s_and_not1_b32 vcc_lo, exec_lo, s33
	s_cbranch_vccnz .LBB158_771
; %bb.760:
	s_cmp_lt_i32 s0, 6
	s_cbranch_scc1 .LBB158_763
; %bb.761:
	s_cmp_gt_i32 s0, 6
	s_cbranch_scc0 .LBB158_764
; %bb.762:
	s_wait_loadcnt 0x0
	global_load_b64 v[4:5], v[6:7], off
	s_mov_b32 s33, 0
	s_wait_loadcnt 0x0
	v_cvt_f32_f64_e32 v4, v[4:5]
	s_branch .LBB158_765
.LBB158_763:
	s_mov_b32 s33, -1
                                        ; implicit-def: $vgpr4
	s_branch .LBB158_768
.LBB158_764:
	s_mov_b32 s33, -1
                                        ; implicit-def: $vgpr4
.LBB158_765:
	s_delay_alu instid0(SALU_CYCLE_1)
	s_and_not1_b32 vcc_lo, exec_lo, s33
	s_cbranch_vccnz .LBB158_767
; %bb.766:
	s_wait_loadcnt 0x0
	global_load_b32 v4, v[6:7], off
.LBB158_767:
	s_mov_b32 s33, 0
.LBB158_768:
	s_delay_alu instid0(SALU_CYCLE_1)
	s_and_not1_b32 vcc_lo, exec_lo, s33
	s_cbranch_vccnz .LBB158_770
; %bb.769:
	global_load_u16 v1, v[6:7], off
	s_wait_loadcnt 0x0
	v_cvt_f32_f16_e32 v4, v1
.LBB158_770:
	s_wait_loadcnt 0x0
	v_mov_b32_e32 v5, 0
.LBB158_771:
	s_mov_b32 s33, 0
.LBB158_772:
	s_delay_alu instid0(SALU_CYCLE_1)
	s_and_not1_b32 vcc_lo, exec_lo, s33
	s_cbranch_vccnz .LBB158_793
; %bb.773:
	s_cmp_lt_i32 s0, 2
	s_cbranch_scc1 .LBB158_777
; %bb.774:
	s_cmp_lt_i32 s0, 3
	s_cbranch_scc1 .LBB158_778
; %bb.775:
	s_cmp_gt_i32 s0, 3
	s_cbranch_scc0 .LBB158_779
; %bb.776:
	s_wait_loadcnt 0x0
	global_load_b64 v[4:5], v[6:7], off
	s_mov_b32 s33, 0
	s_wait_loadcnt 0x0
	v_xor_b32_e32 v1, v4, v5
	v_cls_i32_e32 v3, v5
	s_delay_alu instid0(VALU_DEP_2) | instskip(NEXT) | instid1(VALU_DEP_1)
	v_ashrrev_i32_e32 v1, 31, v1
	v_add_nc_u32_e32 v1, 32, v1
	s_delay_alu instid0(VALU_DEP_1) | instskip(NEXT) | instid1(VALU_DEP_1)
	v_add_min_u32_e64 v1, v3, -1, v1
	v_lshlrev_b64_e32 v[4:5], v1, v[4:5]
	v_sub_nc_u32_e32 v1, 32, v1
	s_delay_alu instid0(VALU_DEP_2) | instskip(NEXT) | instid1(VALU_DEP_1)
	v_min_u32_e32 v3, 1, v4
	v_or_b32_e32 v3, v5, v3
	s_delay_alu instid0(VALU_DEP_1) | instskip(NEXT) | instid1(VALU_DEP_1)
	v_cvt_f32_i32_e32 v3, v3
	v_ldexp_f32 v4, v3, v1
	s_branch .LBB158_780
.LBB158_777:
	s_mov_b32 s33, -1
                                        ; implicit-def: $vgpr4
	s_branch .LBB158_786
.LBB158_778:
	s_mov_b32 s33, -1
                                        ; implicit-def: $vgpr4
	s_branch .LBB158_783
.LBB158_779:
	s_mov_b32 s33, -1
                                        ; implicit-def: $vgpr4
.LBB158_780:
	s_delay_alu instid0(SALU_CYCLE_1)
	s_and_not1_b32 vcc_lo, exec_lo, s33
	s_cbranch_vccnz .LBB158_782
; %bb.781:
	global_load_b32 v1, v[6:7], off
	s_wait_loadcnt 0x0
	v_cvt_f32_i32_e32 v4, v1
.LBB158_782:
	s_mov_b32 s33, 0
.LBB158_783:
	s_delay_alu instid0(SALU_CYCLE_1)
	s_and_not1_b32 vcc_lo, exec_lo, s33
	s_cbranch_vccnz .LBB158_785
; %bb.784:
	global_load_i16 v1, v[6:7], off
	s_wait_loadcnt 0x0
	v_cvt_f32_i32_e32 v4, v1
.LBB158_785:
	s_mov_b32 s33, 0
.LBB158_786:
	s_delay_alu instid0(SALU_CYCLE_1)
	s_and_not1_b32 vcc_lo, exec_lo, s33
	s_cbranch_vccnz .LBB158_792
; %bb.787:
	s_cmp_gt_i32 s0, 0
	s_mov_b32 s0, 0
	s_cbranch_scc0 .LBB158_789
; %bb.788:
	global_load_i8 v1, v[6:7], off
	s_wait_loadcnt 0x0
	v_cvt_f32_i32_e32 v4, v1
	s_branch .LBB158_790
.LBB158_789:
	s_mov_b32 s0, -1
                                        ; implicit-def: $vgpr4
.LBB158_790:
	s_delay_alu instid0(SALU_CYCLE_1)
	s_and_not1_b32 vcc_lo, exec_lo, s0
	s_cbranch_vccnz .LBB158_792
; %bb.791:
	global_load_u8 v1, v[6:7], off
	s_wait_loadcnt 0x0
	v_cvt_f32_ubyte0_e32 v4, v1
.LBB158_792:
	s_wait_loadcnt 0x0
	v_mov_b32_e32 v5, 0
.LBB158_793:
	s_mov_b32 s34, -1
.LBB158_794:
	s_delay_alu instid0(SALU_CYCLE_1)
	s_and_not1_b32 vcc_lo, exec_lo, s34
	s_cbranch_vccnz .LBB158_802
; %bb.795:
	s_wait_xcnt 0x0
	v_mul_lo_u32 v6, v34, s15
	s_and_b32 s0, 0xffff, s1
	s_delay_alu instid0(SALU_CYCLE_1) | instskip(NEXT) | instid1(VALU_DEP_1)
	s_cmp_lt_i32 s0, 11
	v_ashrrev_i32_e32 v7, 31, v6
	s_delay_alu instid0(VALU_DEP_1)
	v_add_nc_u64_e32 v[6:7], s[10:11], v[6:7]
	s_cbranch_scc1 .LBB158_803
; %bb.796:
	s_cmp_gt_i32 s0, 25
	s_cbranch_scc0 .LBB158_804
; %bb.797:
	s_cmp_gt_i32 s0, 28
	s_cbranch_scc0 .LBB158_805
	;; [unrolled: 3-line block ×4, first 2 shown]
; %bb.800:
	s_cmp_eq_u32 s0, 46
	s_mov_b32 s37, 0
	s_cbranch_scc0 .LBB158_814
; %bb.801:
	global_load_b32 v1, v[6:7], off
	s_mov_b32 s34, -1
	s_mov_b32 s33, 0
	s_wait_loadcnt 0x0
	v_and_b32_e32 v9, 0xffff0000, v1
	v_lshlrev_b32_e32 v8, 16, v1
	s_branch .LBB158_816
.LBB158_802:
	s_mov_b32 s37, 0
	s_mov_b32 s0, s25
	;; [unrolled: 1-line block ×3, first 2 shown]
	s_branch .LBB158_1060
.LBB158_803:
	s_mov_b32 s37, -1
	s_mov_b32 s34, 0
	s_mov_b32 s33, s27
                                        ; implicit-def: $vgpr9
	s_branch .LBB158_880
.LBB158_804:
	s_mov_b32 s37, -1
	s_mov_b32 s34, 0
	s_mov_b32 s33, s27
                                        ; implicit-def: $vgpr9
	s_branch .LBB158_845
.LBB158_805:
	s_mov_b32 s37, -1
	s_mov_b32 s34, 0
	s_mov_b32 s33, s27
                                        ; implicit-def: $vgpr9
	s_branch .LBB158_828
.LBB158_806:
	s_mov_b32 s37, -1
	s_mov_b32 s34, 0
	s_mov_b32 s33, s27
                                        ; implicit-def: $vgpr9
	s_branch .LBB158_822
.LBB158_807:
	s_mov_b32 s34, -1
	s_mov_b32 s38, exec_lo
	v_cmpx_eq_u16_e32 0x80, v1
; %bb.808:
	s_xor_b32 s34, exec_lo, -1
; %bb.809:
	s_or_b32 exec_lo, exec_lo, s38
	s_delay_alu instid0(SALU_CYCLE_1)
	s_and_b32 s34, s34, exec_lo
	s_or_saveexec_b32 s37, s37
	v_mov_b32_e32 v4, 0x7f800001
	s_xor_b32 exec_lo, exec_lo, s37
	s_cbranch_execz .LBB158_714
.LBB158_810:
	v_cmp_ne_u16_e32 vcc_lo, 0, v1
	v_mov_b32_e32 v4, 0
	s_and_not1_b32 s34, s34, exec_lo
	s_and_b32 s38, vcc_lo, exec_lo
	s_delay_alu instid0(SALU_CYCLE_1)
	s_or_b32 s34, s34, s38
	s_or_b32 exec_lo, exec_lo, s37
	s_and_saveexec_b32 s37, s34
	s_cbranch_execnz .LBB158_715
	s_branch .LBB158_716
.LBB158_811:
	s_mov_b32 s37, -1
	s_mov_b32 s34, 0
	s_mov_b32 s33, s27
	s_branch .LBB158_815
.LBB158_812:
	v_bfe_u32 v4, v2, 20, 1
	s_mov_b32 s35, exec_lo
	s_delay_alu instid0(VALU_DEP_1) | instskip(NEXT) | instid1(VALU_DEP_1)
	v_add3_u32 v4, v2, v4, 0x487ffff
	v_lshrrev_b32_e32 v4, 20, v4
	s_and_not1_saveexec_b32 s36, s36
	s_cbranch_execz .LBB158_435
.LBB158_813:
	v_add_f32_e64 v4, 0x46000000, |v2|
	s_and_not1_b32 s35, s35, exec_lo
	s_delay_alu instid0(VALU_DEP_1) | instskip(NEXT) | instid1(VALU_DEP_1)
	v_and_b32_e32 v4, 0xff, v4
	v_cmp_ne_u32_e32 vcc_lo, 0, v4
	s_and_b32 s37, vcc_lo, exec_lo
	s_delay_alu instid0(SALU_CYCLE_1)
	s_or_b32 s35, s35, s37
	s_or_b32 exec_lo, exec_lo, s36
	v_mov_b32_e32 v5, 0
	s_and_saveexec_b32 s36, s35
	s_cbranch_execnz .LBB158_436
	s_branch .LBB158_437
.LBB158_814:
	s_mov_b32 s33, -1
	s_mov_b32 s34, 0
.LBB158_815:
                                        ; implicit-def: $vgpr9
.LBB158_816:
	s_and_b32 vcc_lo, exec_lo, s37
	s_cbranch_vccz .LBB158_821
; %bb.817:
	s_cmp_eq_u32 s0, 44
	s_cbranch_scc0 .LBB158_819
; %bb.818:
	global_load_u8 v1, v[6:7], off
	s_mov_b32 s33, 0
	s_mov_b32 s34, -1
	s_wait_loadcnt 0x0
	v_lshlrev_b32_e32 v3, 23, v1
	v_cmp_ne_u32_e32 vcc_lo, 0xff, v1
	s_delay_alu instid0(VALU_DEP_2) | instskip(SKIP_1) | instid1(VALU_DEP_2)
	v_cndmask_b32_e32 v3, 0x7f800001, v3, vcc_lo
	v_cmp_ne_u32_e32 vcc_lo, 0, v1
	v_cndmask_b32_e32 v8, 0x400000, v3, vcc_lo
	s_branch .LBB158_820
.LBB158_819:
	s_mov_b32 s33, -1
                                        ; implicit-def: $vgpr8
.LBB158_820:
	v_mov_b32_e32 v9, 0
.LBB158_821:
	s_mov_b32 s37, 0
.LBB158_822:
	s_delay_alu instid0(SALU_CYCLE_1)
	s_and_b32 vcc_lo, exec_lo, s37
	s_cbranch_vccz .LBB158_827
; %bb.823:
	s_cmp_eq_u32 s0, 29
	s_cbranch_scc0 .LBB158_825
; %bb.824:
	global_load_b64 v[8:9], v[6:7], off
	s_mov_b32 s34, -1
	s_mov_b32 s33, 0
	s_wait_loadcnt 0x0
	v_clz_i32_u32_e32 v1, v9
	s_delay_alu instid0(VALU_DEP_1) | instskip(NEXT) | instid1(VALU_DEP_1)
	v_min_u32_e32 v1, 32, v1
	v_lshlrev_b64_e32 v[8:9], v1, v[8:9]
	v_sub_nc_u32_e32 v1, 32, v1
	s_delay_alu instid0(VALU_DEP_2) | instskip(NEXT) | instid1(VALU_DEP_1)
	v_min_u32_e32 v3, 1, v8
	v_or_b32_e32 v3, v9, v3
	s_delay_alu instid0(VALU_DEP_1) | instskip(NEXT) | instid1(VALU_DEP_1)
	v_cvt_f32_u32_e32 v3, v3
	v_ldexp_f32 v8, v3, v1
	s_branch .LBB158_826
.LBB158_825:
	s_mov_b32 s33, -1
                                        ; implicit-def: $vgpr8
.LBB158_826:
	v_mov_b32_e32 v9, 0
.LBB158_827:
	s_mov_b32 s37, 0
.LBB158_828:
	s_delay_alu instid0(SALU_CYCLE_1)
	s_and_b32 vcc_lo, exec_lo, s37
	s_cbranch_vccz .LBB158_844
; %bb.829:
	s_cmp_lt_i32 s0, 27
	s_cbranch_scc1 .LBB158_832
; %bb.830:
	s_cmp_gt_i32 s0, 27
	s_cbranch_scc0 .LBB158_833
; %bb.831:
	global_load_b32 v1, v[6:7], off
	s_mov_b32 s34, 0
	s_wait_loadcnt 0x0
	v_cvt_f32_u32_e32 v8, v1
	s_branch .LBB158_834
.LBB158_832:
	s_mov_b32 s34, -1
                                        ; implicit-def: $vgpr8
	s_branch .LBB158_837
.LBB158_833:
	s_mov_b32 s34, -1
                                        ; implicit-def: $vgpr8
.LBB158_834:
	s_delay_alu instid0(SALU_CYCLE_1)
	s_and_not1_b32 vcc_lo, exec_lo, s34
	s_cbranch_vccnz .LBB158_836
; %bb.835:
	global_load_u16 v1, v[6:7], off
	s_wait_loadcnt 0x0
	v_cvt_f32_u32_e32 v8, v1
.LBB158_836:
	s_mov_b32 s34, 0
.LBB158_837:
	s_delay_alu instid0(SALU_CYCLE_1)
	s_and_not1_b32 vcc_lo, exec_lo, s34
	s_cbranch_vccnz .LBB158_843
; %bb.838:
	global_load_u8 v1, v[6:7], off
	s_mov_b32 s34, 0
	s_mov_b32 s37, exec_lo
	s_wait_loadcnt 0x0
	v_cmpx_lt_i16_e32 0x7f, v1
	s_xor_b32 s37, exec_lo, s37
	s_cbranch_execnz .LBB158_856
; %bb.839:
	s_or_saveexec_b32 s37, s37
	v_mov_b32_e32 v8, 0x7f800001
	s_xor_b32 exec_lo, exec_lo, s37
	s_cbranch_execnz .LBB158_859
.LBB158_840:
	s_or_b32 exec_lo, exec_lo, s37
	s_and_saveexec_b32 s37, s34
	s_cbranch_execz .LBB158_842
.LBB158_841:
	v_and_b32_e32 v3, 0xffff, v1
	s_delay_alu instid0(VALU_DEP_1) | instskip(SKIP_1) | instid1(VALU_DEP_2)
	v_and_b32_e32 v8, 7, v3
	v_bfe_u32 v11, v3, 3, 4
	v_clz_i32_u32_e32 v9, v8
	s_delay_alu instid0(VALU_DEP_2) | instskip(NEXT) | instid1(VALU_DEP_2)
	v_cmp_eq_u32_e32 vcc_lo, 0, v11
	v_min_u32_e32 v9, 32, v9
	s_delay_alu instid0(VALU_DEP_1) | instskip(NEXT) | instid1(VALU_DEP_1)
	v_subrev_nc_u32_e32 v10, 28, v9
	v_dual_lshlrev_b32 v3, v10, v3 :: v_dual_sub_nc_u32 v9, 29, v9
	s_delay_alu instid0(VALU_DEP_1) | instskip(NEXT) | instid1(VALU_DEP_1)
	v_dual_lshlrev_b32 v1, 24, v1 :: v_dual_bitop2_b32 v3, 7, v3 bitop3:0x40
	v_dual_cndmask_b32 v3, v8, v3, vcc_lo :: v_dual_cndmask_b32 v9, v11, v9, vcc_lo
	s_delay_alu instid0(VALU_DEP_2) | instskip(NEXT) | instid1(VALU_DEP_2)
	v_and_b32_e32 v1, 0x80000000, v1
	v_lshlrev_b32_e32 v3, 20, v3
	s_delay_alu instid0(VALU_DEP_3) | instskip(NEXT) | instid1(VALU_DEP_1)
	v_lshl_add_u32 v8, v9, 23, 0x3b800000
	v_or3_b32 v8, v1, v8, v3
.LBB158_842:
	s_or_b32 exec_lo, exec_lo, s37
.LBB158_843:
	v_mov_b32_e32 v9, 0
	s_mov_b32 s34, -1
.LBB158_844:
	s_mov_b32 s37, 0
.LBB158_845:
	s_delay_alu instid0(SALU_CYCLE_1)
	s_and_b32 vcc_lo, exec_lo, s37
	s_cbranch_vccz .LBB158_879
; %bb.846:
	s_cmp_gt_i32 s0, 22
	s_cbranch_scc0 .LBB158_854
; %bb.847:
	s_cmp_lt_i32 s0, 24
	s_cbranch_scc1 .LBB158_855
; %bb.848:
	s_cmp_gt_i32 s0, 24
	s_cbranch_scc0 .LBB158_860
; %bb.849:
	global_load_u8 v1, v[6:7], off
	s_mov_b32 s34, 0
	s_mov_b32 s37, exec_lo
	s_wait_loadcnt 0x0
	v_cmpx_lt_i16_e32 0x7f, v1
	s_xor_b32 s37, exec_lo, s37
	s_cbranch_execnz .LBB158_944
; %bb.850:
	s_or_saveexec_b32 s37, s37
	v_mov_b32_e32 v8, 0x7f800001
	s_xor_b32 exec_lo, exec_lo, s37
	s_cbranch_execnz .LBB158_947
.LBB158_851:
	s_or_b32 exec_lo, exec_lo, s37
	s_and_saveexec_b32 s37, s34
	s_cbranch_execz .LBB158_853
.LBB158_852:
	v_and_b32_e32 v3, 0xffff, v1
	s_delay_alu instid0(VALU_DEP_1) | instskip(SKIP_1) | instid1(VALU_DEP_2)
	v_and_b32_e32 v8, 3, v3
	v_bfe_u32 v11, v3, 2, 5
	v_clz_i32_u32_e32 v9, v8
	s_delay_alu instid0(VALU_DEP_2) | instskip(NEXT) | instid1(VALU_DEP_2)
	v_cmp_eq_u32_e32 vcc_lo, 0, v11
	v_min_u32_e32 v9, 32, v9
	s_delay_alu instid0(VALU_DEP_1) | instskip(NEXT) | instid1(VALU_DEP_1)
	v_subrev_nc_u32_e32 v10, 29, v9
	v_dual_lshlrev_b32 v3, v10, v3 :: v_dual_sub_nc_u32 v9, 30, v9
	s_delay_alu instid0(VALU_DEP_1) | instskip(NEXT) | instid1(VALU_DEP_1)
	v_dual_lshlrev_b32 v1, 24, v1 :: v_dual_bitop2_b32 v3, 3, v3 bitop3:0x40
	v_dual_cndmask_b32 v3, v8, v3, vcc_lo :: v_dual_cndmask_b32 v9, v11, v9, vcc_lo
	s_delay_alu instid0(VALU_DEP_2) | instskip(NEXT) | instid1(VALU_DEP_2)
	v_and_b32_e32 v1, 0x80000000, v1
	v_lshlrev_b32_e32 v3, 21, v3
	s_delay_alu instid0(VALU_DEP_3) | instskip(NEXT) | instid1(VALU_DEP_1)
	v_lshl_add_u32 v8, v9, 23, 0x37800000
	v_or3_b32 v8, v1, v8, v3
.LBB158_853:
	s_or_b32 exec_lo, exec_lo, s37
	s_mov_b32 s34, 0
	s_branch .LBB158_861
.LBB158_854:
	s_mov_b32 s37, -1
                                        ; implicit-def: $vgpr8
	s_branch .LBB158_867
.LBB158_855:
	s_mov_b32 s34, -1
                                        ; implicit-def: $vgpr8
	s_branch .LBB158_864
.LBB158_856:
	s_mov_b32 s34, -1
	s_mov_b32 s38, exec_lo
	v_cmpx_eq_u16_e32 0x80, v1
; %bb.857:
	s_xor_b32 s34, exec_lo, -1
; %bb.858:
	s_or_b32 exec_lo, exec_lo, s38
	s_delay_alu instid0(SALU_CYCLE_1)
	s_and_b32 s34, s34, exec_lo
	s_or_saveexec_b32 s37, s37
	v_mov_b32_e32 v8, 0x7f800001
	s_xor_b32 exec_lo, exec_lo, s37
	s_cbranch_execz .LBB158_840
.LBB158_859:
	v_cmp_ne_u16_e32 vcc_lo, 0, v1
	v_mov_b32_e32 v8, 0
	s_and_not1_b32 s34, s34, exec_lo
	s_and_b32 s38, vcc_lo, exec_lo
	s_delay_alu instid0(SALU_CYCLE_1)
	s_or_b32 s34, s34, s38
	s_or_b32 exec_lo, exec_lo, s37
	s_and_saveexec_b32 s37, s34
	s_cbranch_execnz .LBB158_841
	s_branch .LBB158_842
.LBB158_860:
	s_mov_b32 s34, -1
                                        ; implicit-def: $vgpr8
.LBB158_861:
	s_delay_alu instid0(SALU_CYCLE_1)
	s_and_b32 vcc_lo, exec_lo, s34
	s_cbranch_vccz .LBB158_863
; %bb.862:
	global_load_u8 v1, v[6:7], off
	s_wait_loadcnt 0x0
	v_lshlrev_b32_e32 v1, 24, v1
	s_delay_alu instid0(VALU_DEP_1) | instskip(NEXT) | instid1(VALU_DEP_1)
	v_and_b32_e32 v3, 0x7f000000, v1
	v_clz_i32_u32_e32 v8, v3
	v_cmp_ne_u32_e32 vcc_lo, 0, v3
	v_add_nc_u32_e32 v10, 0x1000000, v3
	s_delay_alu instid0(VALU_DEP_3) | instskip(NEXT) | instid1(VALU_DEP_1)
	v_min_u32_e32 v8, 32, v8
	v_sub_nc_u32_e64 v8, v8, 4 clamp
	s_delay_alu instid0(VALU_DEP_1) | instskip(NEXT) | instid1(VALU_DEP_1)
	v_dual_lshlrev_b32 v9, v8, v3 :: v_dual_lshlrev_b32 v8, 23, v8
	v_lshrrev_b32_e32 v9, 4, v9
	s_delay_alu instid0(VALU_DEP_1) | instskip(NEXT) | instid1(VALU_DEP_1)
	v_dual_sub_nc_u32 v8, v9, v8 :: v_dual_ashrrev_i32 v9, 8, v10
	v_add_nc_u32_e32 v8, 0x3c000000, v8
	s_delay_alu instid0(VALU_DEP_1) | instskip(NEXT) | instid1(VALU_DEP_1)
	v_and_or_b32 v8, 0x7f800000, v9, v8
	v_cndmask_b32_e32 v3, 0, v8, vcc_lo
	s_delay_alu instid0(VALU_DEP_1)
	v_and_or_b32 v8, 0x80000000, v1, v3
.LBB158_863:
	s_mov_b32 s34, 0
.LBB158_864:
	s_delay_alu instid0(SALU_CYCLE_1)
	s_and_not1_b32 vcc_lo, exec_lo, s34
	s_cbranch_vccnz .LBB158_866
; %bb.865:
	global_load_u8 v1, v[6:7], off
	s_wait_loadcnt 0x0
	v_lshlrev_b32_e32 v3, 25, v1
	v_lshlrev_b16 v1, 8, v1
	s_delay_alu instid0(VALU_DEP_1) | instskip(NEXT) | instid1(VALU_DEP_3)
	v_and_or_b32 v9, 0x7f00, v1, 0.5
	v_lshrrev_b32_e32 v8, 4, v3
	v_bfe_i32 v1, v1, 0, 16
	s_delay_alu instid0(VALU_DEP_3) | instskip(NEXT) | instid1(VALU_DEP_3)
	v_add_f32_e32 v9, -0.5, v9
	v_or_b32_e32 v8, 0x70000000, v8
	s_delay_alu instid0(VALU_DEP_1) | instskip(SKIP_1) | instid1(VALU_DEP_2)
	v_mul_f32_e32 v8, 0x7800000, v8
	v_cmp_gt_u32_e32 vcc_lo, 0x8000000, v3
	v_cndmask_b32_e32 v3, v8, v9, vcc_lo
	s_delay_alu instid0(VALU_DEP_1)
	v_and_or_b32 v8, 0x80000000, v1, v3
.LBB158_866:
	s_mov_b32 s37, 0
	s_mov_b32 s34, -1
.LBB158_867:
	s_and_not1_b32 vcc_lo, exec_lo, s37
	s_cbranch_vccnz .LBB158_878
; %bb.868:
	s_cmp_gt_i32 s0, 14
	s_cbranch_scc0 .LBB158_871
; %bb.869:
	s_cmp_eq_u32 s0, 15
	s_cbranch_scc0 .LBB158_872
; %bb.870:
	global_load_u16 v1, v[6:7], off
	s_mov_b32 s34, -1
	s_mov_b32 s33, 0
	s_wait_loadcnt 0x0
	v_lshlrev_b32_e32 v8, 16, v1
	s_branch .LBB158_873
.LBB158_871:
	s_mov_b32 s37, -1
                                        ; implicit-def: $vgpr8
	s_branch .LBB158_874
.LBB158_872:
	s_mov_b32 s33, -1
                                        ; implicit-def: $vgpr8
.LBB158_873:
	s_mov_b32 s37, 0
.LBB158_874:
	s_delay_alu instid0(SALU_CYCLE_1)
	s_and_b32 vcc_lo, exec_lo, s37
	s_cbranch_vccz .LBB158_878
; %bb.875:
	s_cmp_eq_u32 s0, 11
	s_cbranch_scc0 .LBB158_877
; %bb.876:
	global_load_u8 v1, v[6:7], off
	s_mov_b32 s33, 0
	s_mov_b32 s34, -1
	v_mov_b32_e32 v9, 0
	s_wait_loadcnt 0x0
	v_cmp_ne_u16_e32 vcc_lo, 0, v1
	v_cndmask_b32_e64 v8, 0, 1.0, vcc_lo
	s_branch .LBB158_879
.LBB158_877:
	s_mov_b32 s33, -1
                                        ; implicit-def: $vgpr8
.LBB158_878:
	v_mov_b32_e32 v9, 0
.LBB158_879:
	s_mov_b32 s37, 0
.LBB158_880:
	s_delay_alu instid0(SALU_CYCLE_1)
	s_and_b32 vcc_lo, exec_lo, s37
	s_cbranch_vccz .LBB158_931
; %bb.881:
	s_cmp_lt_i32 s0, 5
	s_cbranch_scc1 .LBB158_886
; %bb.882:
	s_cmp_lt_i32 s0, 8
	s_cbranch_scc1 .LBB158_887
	;; [unrolled: 3-line block ×3, first 2 shown]
; %bb.884:
	s_cmp_gt_i32 s0, 9
	s_cbranch_scc0 .LBB158_889
; %bb.885:
	global_load_b128 v[8:11], v[6:7], off
	s_mov_b32 s34, 0
	s_wait_loadcnt 0x0
	v_cvt_f32_f64_e32 v8, v[8:9]
	v_cvt_f32_f64_e32 v9, v[10:11]
	s_branch .LBB158_890
.LBB158_886:
	s_mov_b32 s34, -1
                                        ; implicit-def: $vgpr9
	s_branch .LBB158_909
.LBB158_887:
	s_mov_b32 s34, -1
                                        ; implicit-def: $vgpr9
	s_branch .LBB158_896
.LBB158_888:
	s_mov_b32 s34, -1
                                        ; implicit-def: $vgpr9
	s_branch .LBB158_893
.LBB158_889:
	s_mov_b32 s34, -1
                                        ; implicit-def: $vgpr9
.LBB158_890:
	s_delay_alu instid0(SALU_CYCLE_1)
	s_and_not1_b32 vcc_lo, exec_lo, s34
	s_cbranch_vccnz .LBB158_892
; %bb.891:
	global_load_b64 v[8:9], v[6:7], off
.LBB158_892:
	s_mov_b32 s34, 0
.LBB158_893:
	s_delay_alu instid0(SALU_CYCLE_1)
	s_and_not1_b32 vcc_lo, exec_lo, s34
	s_cbranch_vccnz .LBB158_895
; %bb.894:
	global_load_b32 v1, v[6:7], off
	s_wait_loadcnt 0x0
	v_lshrrev_b32_e32 v3, 16, v1
	v_cvt_f32_f16_e32 v8, v1
	s_delay_alu instid0(VALU_DEP_2)
	v_cvt_f32_f16_e32 v9, v3
.LBB158_895:
	s_mov_b32 s34, 0
.LBB158_896:
	s_delay_alu instid0(SALU_CYCLE_1)
	s_and_not1_b32 vcc_lo, exec_lo, s34
	s_cbranch_vccnz .LBB158_908
; %bb.897:
	s_cmp_lt_i32 s0, 6
	s_cbranch_scc1 .LBB158_900
; %bb.898:
	s_cmp_gt_i32 s0, 6
	s_cbranch_scc0 .LBB158_901
; %bb.899:
	s_wait_loadcnt 0x0
	global_load_b64 v[8:9], v[6:7], off
	s_mov_b32 s34, 0
	s_wait_loadcnt 0x0
	v_cvt_f32_f64_e32 v8, v[8:9]
	s_branch .LBB158_902
.LBB158_900:
	s_mov_b32 s34, -1
                                        ; implicit-def: $vgpr8
	s_branch .LBB158_905
.LBB158_901:
	s_mov_b32 s34, -1
                                        ; implicit-def: $vgpr8
.LBB158_902:
	s_delay_alu instid0(SALU_CYCLE_1)
	s_and_not1_b32 vcc_lo, exec_lo, s34
	s_cbranch_vccnz .LBB158_904
; %bb.903:
	s_wait_loadcnt 0x0
	global_load_b32 v8, v[6:7], off
.LBB158_904:
	s_mov_b32 s34, 0
.LBB158_905:
	s_delay_alu instid0(SALU_CYCLE_1)
	s_and_not1_b32 vcc_lo, exec_lo, s34
	s_cbranch_vccnz .LBB158_907
; %bb.906:
	global_load_u16 v1, v[6:7], off
	s_wait_loadcnt 0x0
	v_cvt_f32_f16_e32 v8, v1
.LBB158_907:
	s_wait_loadcnt 0x0
	v_mov_b32_e32 v9, 0
.LBB158_908:
	s_mov_b32 s34, 0
.LBB158_909:
	s_delay_alu instid0(SALU_CYCLE_1)
	s_and_not1_b32 vcc_lo, exec_lo, s34
	s_cbranch_vccnz .LBB158_930
; %bb.910:
	s_cmp_lt_i32 s0, 2
	s_cbranch_scc1 .LBB158_914
; %bb.911:
	s_cmp_lt_i32 s0, 3
	s_cbranch_scc1 .LBB158_915
; %bb.912:
	s_cmp_gt_i32 s0, 3
	s_cbranch_scc0 .LBB158_916
; %bb.913:
	s_wait_loadcnt 0x0
	global_load_b64 v[8:9], v[6:7], off
	s_mov_b32 s34, 0
	s_wait_loadcnt 0x0
	v_xor_b32_e32 v1, v8, v9
	v_cls_i32_e32 v3, v9
	s_delay_alu instid0(VALU_DEP_2) | instskip(NEXT) | instid1(VALU_DEP_1)
	v_ashrrev_i32_e32 v1, 31, v1
	v_add_nc_u32_e32 v1, 32, v1
	s_delay_alu instid0(VALU_DEP_1) | instskip(NEXT) | instid1(VALU_DEP_1)
	v_add_min_u32_e64 v1, v3, -1, v1
	v_lshlrev_b64_e32 v[8:9], v1, v[8:9]
	v_sub_nc_u32_e32 v1, 32, v1
	s_delay_alu instid0(VALU_DEP_2) | instskip(NEXT) | instid1(VALU_DEP_1)
	v_min_u32_e32 v3, 1, v8
	v_or_b32_e32 v3, v9, v3
	s_delay_alu instid0(VALU_DEP_1) | instskip(NEXT) | instid1(VALU_DEP_1)
	v_cvt_f32_i32_e32 v3, v3
	v_ldexp_f32 v8, v3, v1
	s_branch .LBB158_917
.LBB158_914:
	s_mov_b32 s34, -1
                                        ; implicit-def: $vgpr8
	s_branch .LBB158_923
.LBB158_915:
	s_mov_b32 s34, -1
                                        ; implicit-def: $vgpr8
	s_branch .LBB158_920
.LBB158_916:
	s_mov_b32 s34, -1
                                        ; implicit-def: $vgpr8
.LBB158_917:
	s_delay_alu instid0(SALU_CYCLE_1)
	s_and_not1_b32 vcc_lo, exec_lo, s34
	s_cbranch_vccnz .LBB158_919
; %bb.918:
	global_load_b32 v1, v[6:7], off
	s_wait_loadcnt 0x0
	v_cvt_f32_i32_e32 v8, v1
.LBB158_919:
	s_mov_b32 s34, 0
.LBB158_920:
	s_delay_alu instid0(SALU_CYCLE_1)
	s_and_not1_b32 vcc_lo, exec_lo, s34
	s_cbranch_vccnz .LBB158_922
; %bb.921:
	global_load_i16 v1, v[6:7], off
	s_wait_loadcnt 0x0
	v_cvt_f32_i32_e32 v8, v1
.LBB158_922:
	s_mov_b32 s34, 0
.LBB158_923:
	s_delay_alu instid0(SALU_CYCLE_1)
	s_and_not1_b32 vcc_lo, exec_lo, s34
	s_cbranch_vccnz .LBB158_929
; %bb.924:
	s_cmp_gt_i32 s0, 0
	s_mov_b32 s0, 0
	s_cbranch_scc0 .LBB158_926
; %bb.925:
	global_load_i8 v1, v[6:7], off
	s_wait_loadcnt 0x0
	v_cvt_f32_i32_e32 v8, v1
	s_branch .LBB158_927
.LBB158_926:
	s_mov_b32 s0, -1
                                        ; implicit-def: $vgpr8
.LBB158_927:
	s_delay_alu instid0(SALU_CYCLE_1)
	s_and_not1_b32 vcc_lo, exec_lo, s0
	s_cbranch_vccnz .LBB158_929
; %bb.928:
	global_load_u8 v1, v[6:7], off
	s_wait_loadcnt 0x0
	v_cvt_f32_ubyte0_e32 v8, v1
.LBB158_929:
	s_wait_loadcnt 0x0
	v_mov_b32_e32 v9, 0
.LBB158_930:
	s_mov_b32 s34, -1
.LBB158_931:
	s_delay_alu instid0(SALU_CYCLE_1)
	s_and_not1_b32 vcc_lo, exec_lo, s34
	s_cbranch_vccnz .LBB158_939
; %bb.932:
	s_wait_xcnt 0x0
	v_mov_b64_e32 v[6:7], s[2:3]
	v_mov_b64_e32 v[12:13], s[16:17]
	s_wait_loadcnt 0x0
	s_delay_alu instid0(VALU_DEP_3) | instskip(SKIP_1) | instid1(SALU_CYCLE_1)
	v_dual_mov_b32 v14, v9 :: v_dual_mov_b32 v15, v8
	s_and_b32 s34, s20, 0xff
	s_cmp_lt_i32 s34, 11
	s_delay_alu instid0(VALU_DEP_3) | instskip(SKIP_2) | instid1(VALU_DEP_3)
	v_pk_mul_f32 v[10:11], v[4:5], v[6:7]
	v_pk_mul_f32 v[4:5], v[4:5], v[6:7] op_sel:[0,1] op_sel_hi:[1,0]
	v_pk_mul_f32 v[2:3], v[2:3], v[12:13] op_sel:[0,1] op_sel_hi:[0,0]
	v_add_f32_e32 v6, v10, v11
	v_mul_lo_u32 v10, v34, s12
	s_delay_alu instid0(VALU_DEP_4) | instskip(NEXT) | instid1(VALU_DEP_2)
	v_pk_add_f32 v[4:5], v[4:5], v[4:5] op_sel:[0,1] op_sel_hi:[0,1] neg_lo:[0,1] neg_hi:[0,1]
	v_ashrrev_i32_e32 v11, 31, v10
	s_delay_alu instid0(VALU_DEP_4) | instskip(SKIP_2) | instid1(VALU_DEP_4)
	v_pk_mul_f32 v[6:7], v[6:7], v[14:15] op_sel_hi:[0,1]
	v_pk_fma_f32 v[14:15], v[0:1], v[12:13], v[2:3] op_sel_hi:[0,1,1]
	v_pk_fma_f32 v[2:3], v[0:1], v[12:13], v[2:3] op_sel_hi:[0,1,1] neg_lo:[0,0,1] neg_hi:[0,0,1]
	v_add_nc_u64_e32 v[0:1], s[4:5], v[10:11]
	s_delay_alu instid0(VALU_DEP_4) | instskip(SKIP_1) | instid1(VALU_DEP_2)
	v_pk_fma_f32 v[16:17], v[4:5], v[8:9], v[6:7]
	v_pk_fma_f32 v[4:5], v[4:5], v[8:9], v[6:7] neg_lo:[0,0,1] neg_hi:[0,0,1]
	v_dual_mov_b32 v3, v15 :: v_dual_mov_b32 v5, v17
	s_delay_alu instid0(VALU_DEP_1)
	v_pk_add_f32 v[2:3], v[2:3], v[4:5]
	s_cbranch_scc1 .LBB158_940
; %bb.933:
	s_and_b32 s37, 0xffff, s34
	s_delay_alu instid0(SALU_CYCLE_1)
	s_cmp_gt_i32 s37, 25
	s_cbranch_scc0 .LBB158_941
; %bb.934:
	s_cmp_gt_i32 s37, 28
	s_cbranch_scc0 .LBB158_942
; %bb.935:
	;; [unrolled: 3-line block ×4, first 2 shown]
	s_mov_b32 s39, 0
	s_mov_b32 s0, -1
	s_cmp_eq_u32 s37, 46
	s_mov_b32 s38, 0
	s_cbranch_scc0 .LBB158_949
; %bb.938:
	v_dual_lshrrev_b32 v4, 16, v2 :: v_dual_lshrrev_b32 v5, 16, v3
	v_cmp_o_f32_e32 vcc_lo, v2, v2
	s_mov_b32 s38, -1
	s_mov_b32 s0, 0
	s_delay_alu instid0(VALU_DEP_2) | instskip(NEXT) | instid1(VALU_DEP_1)
	v_and_b32_e32 v4, 1, v4
	v_add3_u32 v4, v2, v4, 0x7fff
	s_delay_alu instid0(VALU_DEP_1) | instskip(NEXT) | instid1(VALU_DEP_1)
	v_dual_lshrrev_b32 v4, 16, v4 :: v_dual_bitop2_b32 v5, 1, v5 bitop3:0x40
	v_add3_u32 v5, v3, v5, 0x7fff
	s_delay_alu instid0(VALU_DEP_2) | instskip(NEXT) | instid1(VALU_DEP_2)
	v_cndmask_b32_e32 v4, 0x7fc0, v4, vcc_lo
	v_and_b32_e32 v5, 0xffff0000, v5
	v_cmp_o_f32_e32 vcc_lo, v3, v3
	s_delay_alu instid0(VALU_DEP_2) | instskip(NEXT) | instid1(VALU_DEP_1)
	v_cndmask_b32_e32 v5, 0x7fc00000, v5, vcc_lo
	v_or_b32_e32 v4, v5, v4
	global_store_b32 v[0:1], v4, off
	s_branch .LBB158_949
.LBB158_939:
	s_mov_b32 s37, 0
	s_mov_b32 s0, s25
	s_branch .LBB158_1060
.LBB158_940:
	s_mov_b32 s37, -1
	s_mov_b32 s38, 0
	s_mov_b32 s0, s25
	s_branch .LBB158_1018
.LBB158_941:
	s_mov_b32 s39, -1
	s_mov_b32 s38, 0
	s_mov_b32 s0, s25
	s_branch .LBB158_976
.LBB158_942:
	s_mov_b32 s39, -1
	s_mov_b32 s38, 0
	s_mov_b32 s0, s25
	s_branch .LBB158_959
.LBB158_943:
	s_mov_b32 s39, -1
	s_mov_b32 s38, 0
	s_mov_b32 s0, s25
	s_branch .LBB158_955
.LBB158_944:
	s_mov_b32 s34, -1
	s_mov_b32 s38, exec_lo
	v_cmpx_eq_u16_e32 0x80, v1
; %bb.945:
	s_xor_b32 s34, exec_lo, -1
; %bb.946:
	s_or_b32 exec_lo, exec_lo, s38
	s_delay_alu instid0(SALU_CYCLE_1)
	s_and_b32 s34, s34, exec_lo
	s_or_saveexec_b32 s37, s37
	v_mov_b32_e32 v8, 0x7f800001
	s_xor_b32 exec_lo, exec_lo, s37
	s_cbranch_execz .LBB158_851
.LBB158_947:
	v_cmp_ne_u16_e32 vcc_lo, 0, v1
	v_mov_b32_e32 v8, 0
	s_and_not1_b32 s34, s34, exec_lo
	s_and_b32 s38, vcc_lo, exec_lo
	s_delay_alu instid0(SALU_CYCLE_1)
	s_or_b32 s34, s34, s38
	s_or_b32 exec_lo, exec_lo, s37
	s_and_saveexec_b32 s37, s34
	s_cbranch_execnz .LBB158_852
	s_branch .LBB158_853
.LBB158_948:
	s_mov_b32 s39, -1
	s_mov_b32 s38, 0
	s_mov_b32 s0, s25
.LBB158_949:
	s_and_b32 vcc_lo, exec_lo, s39
	s_cbranch_vccz .LBB158_954
; %bb.950:
	s_cmp_eq_u32 s37, 44
	s_mov_b32 s0, -1
	s_cbranch_scc0 .LBB158_954
; %bb.951:
	v_bfe_u32 v5, v2, 23, 8
	s_wait_xcnt 0x0
	v_mov_b32_e32 v4, 0xff
	s_mov_b32 s38, exec_lo
	s_delay_alu instid0(VALU_DEP_2)
	v_cmpx_ne_u32_e32 0xff, v5
	s_cbranch_execz .LBB158_953
; %bb.952:
	v_and_b32_e32 v4, 0x400000, v2
	v_and_or_b32 v5, 0x3fffff, v2, v5
	s_delay_alu instid0(VALU_DEP_2) | instskip(NEXT) | instid1(VALU_DEP_2)
	v_cmp_ne_u32_e32 vcc_lo, 0, v4
	v_cmp_ne_u32_e64 s0, 0, v5
	v_lshrrev_b32_e32 v4, 23, v2
	s_and_b32 s0, vcc_lo, s0
	s_delay_alu instid0(SALU_CYCLE_1) | instskip(NEXT) | instid1(VALU_DEP_1)
	v_cndmask_b32_e64 v5, 0, 1, s0
	v_add_nc_u32_e32 v4, v4, v5
.LBB158_953:
	s_or_b32 exec_lo, exec_lo, s38
	s_mov_b32 s38, -1
	s_mov_b32 s0, 0
	global_store_b8 v[0:1], v4, off
.LBB158_954:
	s_mov_b32 s39, 0
.LBB158_955:
	s_delay_alu instid0(SALU_CYCLE_1)
	s_and_b32 vcc_lo, exec_lo, s39
	s_cbranch_vccz .LBB158_958
; %bb.956:
	s_cmp_eq_u32 s37, 29
	s_mov_b32 s0, -1
	s_cbranch_scc0 .LBB158_958
; %bb.957:
	s_wait_xcnt 0x0
	v_trunc_f32_e32 v4, v2
	s_mov_b32 s38, -1
	s_mov_b32 s0, 0
	s_mov_b32 s39, 0
	s_delay_alu instid0(VALU_DEP_1) | instskip(NEXT) | instid1(VALU_DEP_1)
	v_mul_f32_e32 v5, 0x2f800000, v4
	v_floor_f32_e32 v5, v5
	s_delay_alu instid0(VALU_DEP_1) | instskip(SKIP_1) | instid1(VALU_DEP_2)
	v_fmamk_f32 v4, v5, 0xcf800000, v4
	v_cvt_u32_f32_e32 v5, v5
	v_cvt_u32_f32_e32 v4, v4
	global_store_b64 v[0:1], v[4:5], off
	s_branch .LBB158_959
.LBB158_958:
	s_mov_b32 s39, 0
.LBB158_959:
	s_delay_alu instid0(SALU_CYCLE_1)
	s_and_b32 vcc_lo, exec_lo, s39
	s_cbranch_vccz .LBB158_975
; %bb.960:
	s_cmp_lt_i32 s37, 27
	s_mov_b32 s38, -1
	s_cbranch_scc1 .LBB158_966
; %bb.961:
	s_wait_xcnt 0x0
	v_cvt_u32_f32_e32 v4, v2
	s_cmp_gt_i32 s37, 27
	s_cbranch_scc0 .LBB158_963
; %bb.962:
	s_mov_b32 s38, 0
	global_store_b32 v[0:1], v4, off
.LBB158_963:
	s_and_not1_b32 vcc_lo, exec_lo, s38
	s_cbranch_vccnz .LBB158_965
; %bb.964:
	global_store_b16 v[0:1], v4, off
.LBB158_965:
	s_mov_b32 s38, 0
.LBB158_966:
	s_delay_alu instid0(SALU_CYCLE_1)
	s_and_not1_b32 vcc_lo, exec_lo, s38
	s_cbranch_vccnz .LBB158_974
; %bb.967:
	s_wait_xcnt 0x0
	v_and_b32_e32 v4, 0x7fffffff, v2
	v_mov_b32_e32 v5, 0x80
	s_mov_b32 s38, exec_lo
	s_delay_alu instid0(VALU_DEP_2)
	v_cmpx_gt_u32_e32 0x43800000, v4
	s_cbranch_execz .LBB158_973
; %bb.968:
	v_cmp_lt_u32_e32 vcc_lo, 0x3bffffff, v4
	s_mov_b32 s39, 0
                                        ; implicit-def: $vgpr4
	s_and_saveexec_b32 s40, vcc_lo
	s_delay_alu instid0(SALU_CYCLE_1)
	s_xor_b32 s40, exec_lo, s40
	s_cbranch_execnz .LBB158_1348
; %bb.969:
	s_and_not1_saveexec_b32 s40, s40
	s_cbranch_execnz .LBB158_1349
.LBB158_970:
	s_or_b32 exec_lo, exec_lo, s40
	v_mov_b32_e32 v5, 0
	s_and_saveexec_b32 s40, s39
.LBB158_971:
	v_lshrrev_b32_e32 v5, 24, v2
	s_delay_alu instid0(VALU_DEP_1)
	v_and_or_b32 v5, 0x80, v5, v4
.LBB158_972:
	s_or_b32 exec_lo, exec_lo, s40
.LBB158_973:
	s_delay_alu instid0(SALU_CYCLE_1)
	s_or_b32 exec_lo, exec_lo, s38
	global_store_b8 v[0:1], v5, off
.LBB158_974:
	s_mov_b32 s38, -1
.LBB158_975:
	s_mov_b32 s39, 0
.LBB158_976:
	s_delay_alu instid0(SALU_CYCLE_1)
	s_and_b32 vcc_lo, exec_lo, s39
	s_cbranch_vccz .LBB158_1017
; %bb.977:
	s_cmp_gt_i32 s37, 22
	s_mov_b32 s39, -1
	s_cbranch_scc0 .LBB158_1009
; %bb.978:
	s_cmp_lt_i32 s37, 24
	s_mov_b32 s38, -1
	s_cbranch_scc1 .LBB158_998
; %bb.979:
	s_cmp_gt_i32 s37, 24
	s_cbranch_scc0 .LBB158_987
; %bb.980:
	s_wait_xcnt 0x0
	v_and_b32_e32 v4, 0x7fffffff, v2
	v_mov_b32_e32 v5, 0x80
	s_mov_b32 s38, exec_lo
	s_delay_alu instid0(VALU_DEP_2)
	v_cmpx_gt_u32_e32 0x47800000, v4
	s_cbranch_execz .LBB158_986
; %bb.981:
	v_cmp_lt_u32_e32 vcc_lo, 0x37ffffff, v4
	s_mov_b32 s39, 0
                                        ; implicit-def: $vgpr4
	s_and_saveexec_b32 s40, vcc_lo
	s_delay_alu instid0(SALU_CYCLE_1)
	s_xor_b32 s40, exec_lo, s40
	s_cbranch_execnz .LBB158_2942
; %bb.982:
	s_and_not1_saveexec_b32 s40, s40
	s_cbranch_execnz .LBB158_2943
.LBB158_983:
	s_or_b32 exec_lo, exec_lo, s40
	v_mov_b32_e32 v5, 0
	s_and_saveexec_b32 s40, s39
.LBB158_984:
	v_lshrrev_b32_e32 v5, 24, v2
	s_delay_alu instid0(VALU_DEP_1)
	v_and_or_b32 v5, 0x80, v5, v4
.LBB158_985:
	s_or_b32 exec_lo, exec_lo, s40
.LBB158_986:
	s_delay_alu instid0(SALU_CYCLE_1)
	s_or_b32 exec_lo, exec_lo, s38
	s_mov_b32 s38, 0
	global_store_b8 v[0:1], v5, off
.LBB158_987:
	s_and_b32 vcc_lo, exec_lo, s38
	s_cbranch_vccz .LBB158_997
; %bb.988:
	s_wait_xcnt 0x0
	v_and_b32_e32 v5, 0x7fffffff, v2
	s_mov_b32 s38, exec_lo
                                        ; implicit-def: $vgpr4
	s_delay_alu instid0(VALU_DEP_1)
	v_cmpx_gt_u32_e32 0x43f00000, v5
	s_xor_b32 s38, exec_lo, s38
	s_cbranch_execz .LBB158_994
; %bb.989:
	s_mov_b32 s39, exec_lo
                                        ; implicit-def: $vgpr4
	v_cmpx_lt_u32_e32 0x3c7fffff, v5
	s_xor_b32 s39, exec_lo, s39
; %bb.990:
	v_bfe_u32 v4, v2, 20, 1
	s_delay_alu instid0(VALU_DEP_1) | instskip(NEXT) | instid1(VALU_DEP_1)
	v_add3_u32 v4, v2, v4, 0x407ffff
	v_and_b32_e32 v5, 0xff00000, v4
	v_lshrrev_b32_e32 v4, 20, v4
	s_delay_alu instid0(VALU_DEP_2) | instskip(NEXT) | instid1(VALU_DEP_2)
	v_cmp_ne_u32_e32 vcc_lo, 0x7f00000, v5
	v_cndmask_b32_e32 v4, 0x7e, v4, vcc_lo
; %bb.991:
	s_and_not1_saveexec_b32 s39, s39
; %bb.992:
	v_add_f32_e64 v4, 0x46800000, |v2|
; %bb.993:
	s_or_b32 exec_lo, exec_lo, s39
                                        ; implicit-def: $vgpr5
.LBB158_994:
	s_and_not1_saveexec_b32 s38, s38
; %bb.995:
	v_mov_b32_e32 v4, 0x7f
	v_cmp_lt_u32_e32 vcc_lo, 0x7f800000, v5
	s_delay_alu instid0(VALU_DEP_2)
	v_cndmask_b32_e32 v4, 0x7e, v4, vcc_lo
; %bb.996:
	s_or_b32 exec_lo, exec_lo, s38
	v_lshrrev_b32_e32 v5, 24, v2
	s_delay_alu instid0(VALU_DEP_1)
	v_and_or_b32 v4, 0x80, v5, v4
	global_store_b8 v[0:1], v4, off
.LBB158_997:
	s_mov_b32 s38, 0
.LBB158_998:
	s_delay_alu instid0(SALU_CYCLE_1)
	s_and_not1_b32 vcc_lo, exec_lo, s38
	s_cbranch_vccnz .LBB158_1008
; %bb.999:
	s_wait_xcnt 0x0
	v_and_b32_e32 v5, 0x7fffffff, v2
	s_mov_b32 s38, exec_lo
                                        ; implicit-def: $vgpr4
	s_delay_alu instid0(VALU_DEP_1)
	v_cmpx_gt_u32_e32 0x47800000, v5
	s_xor_b32 s38, exec_lo, s38
	s_cbranch_execz .LBB158_1005
; %bb.1000:
	s_mov_b32 s39, exec_lo
                                        ; implicit-def: $vgpr4
	v_cmpx_lt_u32_e32 0x387fffff, v5
	s_xor_b32 s39, exec_lo, s39
; %bb.1001:
	v_bfe_u32 v4, v2, 21, 1
	s_delay_alu instid0(VALU_DEP_1) | instskip(NEXT) | instid1(VALU_DEP_1)
	v_add3_u32 v4, v2, v4, 0x80fffff
	v_lshrrev_b32_e32 v4, 21, v4
; %bb.1002:
	s_and_not1_saveexec_b32 s39, s39
; %bb.1003:
	v_add_f32_e64 v4, 0x43000000, |v2|
; %bb.1004:
	s_or_b32 exec_lo, exec_lo, s39
                                        ; implicit-def: $vgpr5
.LBB158_1005:
	s_and_not1_saveexec_b32 s38, s38
; %bb.1006:
	v_mov_b32_e32 v4, 0x7f
	v_cmp_lt_u32_e32 vcc_lo, 0x7f800000, v5
	s_delay_alu instid0(VALU_DEP_2)
	v_cndmask_b32_e32 v4, 0x7c, v4, vcc_lo
; %bb.1007:
	s_or_b32 exec_lo, exec_lo, s38
	v_lshrrev_b32_e32 v5, 24, v2
	s_delay_alu instid0(VALU_DEP_1)
	v_and_or_b32 v4, 0x80, v5, v4
	global_store_b8 v[0:1], v4, off
.LBB158_1008:
	s_mov_b32 s39, 0
	s_mov_b32 s38, -1
.LBB158_1009:
	s_and_not1_b32 vcc_lo, exec_lo, s39
	s_cbranch_vccnz .LBB158_1017
; %bb.1010:
	s_cmp_gt_i32 s37, 14
	s_mov_b32 s39, -1
	s_cbranch_scc0 .LBB158_1014
; %bb.1011:
	s_cmp_eq_u32 s37, 15
	s_mov_b32 s0, -1
	s_cbranch_scc0 .LBB158_1013
; %bb.1012:
	s_wait_xcnt 0x0
	v_bfe_u32 v4, v2, 16, 1
	v_cmp_o_f32_e32 vcc_lo, v2, v2
	s_mov_b32 s38, -1
	s_mov_b32 s0, 0
	s_delay_alu instid0(VALU_DEP_2) | instskip(NEXT) | instid1(VALU_DEP_1)
	v_add3_u32 v4, v2, v4, 0x7fff
	v_lshrrev_b32_e32 v4, 16, v4
	s_delay_alu instid0(VALU_DEP_1)
	v_cndmask_b32_e32 v4, 0x7fc0, v4, vcc_lo
	global_store_b16 v[0:1], v4, off
.LBB158_1013:
	s_mov_b32 s39, 0
.LBB158_1014:
	s_delay_alu instid0(SALU_CYCLE_1)
	s_and_b32 vcc_lo, exec_lo, s39
	s_cbranch_vccz .LBB158_1017
; %bb.1015:
	s_cmp_eq_u32 s37, 11
	s_mov_b32 s0, -1
	s_cbranch_scc0 .LBB158_1017
; %bb.1016:
	v_cmp_neq_f32_e32 vcc_lo, 0, v2
	v_cmp_neq_f32_e64 s0, 0, v3
	s_mov_b32 s38, -1
	s_or_b32 s0, vcc_lo, s0
	s_wait_xcnt 0x0
	v_cndmask_b32_e64 v4, 0, 1, s0
	s_mov_b32 s0, 0
	global_store_b8 v[0:1], v4, off
.LBB158_1017:
	s_mov_b32 s37, 0
.LBB158_1018:
	s_delay_alu instid0(SALU_CYCLE_1)
	s_and_b32 vcc_lo, exec_lo, s37
	s_cbranch_vccz .LBB158_1057
; %bb.1019:
	s_and_b32 s34, 0xffff, s34
	s_mov_b32 s37, -1
	s_cmp_lt_i32 s34, 5
	s_cbranch_scc1 .LBB158_1040
; %bb.1020:
	s_cmp_lt_i32 s34, 8
	s_cbranch_scc1 .LBB158_1030
; %bb.1021:
	;; [unrolled: 3-line block ×3, first 2 shown]
	s_cmp_gt_i32 s34, 9
	s_cbranch_scc0 .LBB158_1024
; %bb.1023:
	s_wait_xcnt 0x0
	v_cvt_f64_f32_e32 v[4:5], v2
	v_cvt_f64_f32_e32 v[6:7], v3
	s_mov_b32 s37, 0
	global_store_b128 v[0:1], v[4:7], off
.LBB158_1024:
	s_and_not1_b32 vcc_lo, exec_lo, s37
	s_cbranch_vccnz .LBB158_1026
; %bb.1025:
	global_store_b64 v[0:1], v[2:3], off
.LBB158_1026:
	s_mov_b32 s37, 0
.LBB158_1027:
	s_delay_alu instid0(SALU_CYCLE_1)
	s_and_not1_b32 vcc_lo, exec_lo, s37
	s_cbranch_vccnz .LBB158_1029
; %bb.1028:
	s_wait_xcnt 0x0
	v_cvt_f16_f32_e32 v3, v3
	v_cvt_f16_f32_e32 v4, v2
	s_delay_alu instid0(VALU_DEP_2) | instskip(NEXT) | instid1(VALU_DEP_2)
	v_lshlrev_b32_e32 v3, 16, v3
	v_and_b32_e32 v4, 0xffff, v4
	s_delay_alu instid0(VALU_DEP_1)
	v_or_b32_e32 v3, v3, v4
	global_store_b32 v[0:1], v3, off
.LBB158_1029:
	s_mov_b32 s37, 0
.LBB158_1030:
	s_delay_alu instid0(SALU_CYCLE_1)
	s_and_not1_b32 vcc_lo, exec_lo, s37
	s_cbranch_vccnz .LBB158_1039
; %bb.1031:
	s_cmp_lt_i32 s34, 6
	s_mov_b32 s37, -1
	s_cbranch_scc1 .LBB158_1037
; %bb.1032:
	s_cmp_gt_i32 s34, 6
	s_cbranch_scc0 .LBB158_1034
; %bb.1033:
	s_wait_xcnt 0x0
	v_cvt_f64_f32_e32 v[4:5], v2
	s_mov_b32 s37, 0
	global_store_b64 v[0:1], v[4:5], off
.LBB158_1034:
	s_and_not1_b32 vcc_lo, exec_lo, s37
	s_cbranch_vccnz .LBB158_1036
; %bb.1035:
	global_store_b32 v[0:1], v2, off
.LBB158_1036:
	s_mov_b32 s37, 0
.LBB158_1037:
	s_delay_alu instid0(SALU_CYCLE_1)
	s_and_not1_b32 vcc_lo, exec_lo, s37
	s_cbranch_vccnz .LBB158_1039
; %bb.1038:
	s_wait_xcnt 0x0
	v_cvt_f16_f32_e32 v3, v2
	global_store_b16 v[0:1], v3, off
.LBB158_1039:
	s_mov_b32 s37, 0
.LBB158_1040:
	s_delay_alu instid0(SALU_CYCLE_1)
	s_and_not1_b32 vcc_lo, exec_lo, s37
	s_cbranch_vccnz .LBB158_1056
; %bb.1041:
	s_cmp_lt_i32 s34, 2
	s_mov_b32 s37, -1
	s_cbranch_scc1 .LBB158_1051
; %bb.1042:
	s_cmp_lt_i32 s34, 3
	s_cbranch_scc1 .LBB158_1048
; %bb.1043:
	s_cmp_gt_i32 s34, 3
	s_cbranch_scc0 .LBB158_1045
; %bb.1044:
	s_wait_xcnt 0x0
	v_trunc_f32_e32 v3, v2
	s_mov_b32 s37, 0
	s_delay_alu instid0(VALU_DEP_1) | instskip(NEXT) | instid1(VALU_DEP_1)
	v_mul_f32_e64 v4, 0x2f800000, |v3|
	v_floor_f32_e32 v5, v4
	v_ashrrev_i32_e32 v4, 31, v3
	s_delay_alu instid0(VALU_DEP_2) | instskip(SKIP_1) | instid1(VALU_DEP_3)
	v_fma_f32 v6, 0xcf800000, v5, |v3|
	v_cvt_u32_f32_e32 v3, v5
	v_mov_b32_e32 v5, v4
	s_delay_alu instid0(VALU_DEP_3) | instskip(NEXT) | instid1(VALU_DEP_3)
	v_cvt_u32_f32_e32 v6, v6
	v_xor_b32_e32 v7, v3, v4
	s_delay_alu instid0(VALU_DEP_2) | instskip(NEXT) | instid1(VALU_DEP_1)
	v_xor_b32_e32 v6, v6, v4
	v_sub_nc_u64_e32 v[4:5], v[6:7], v[4:5]
	global_store_b64 v[0:1], v[4:5], off
.LBB158_1045:
	s_and_not1_b32 vcc_lo, exec_lo, s37
	s_cbranch_vccnz .LBB158_1047
; %bb.1046:
	s_wait_xcnt 0x0
	v_cvt_i32_f32_e32 v3, v2
	global_store_b32 v[0:1], v3, off
.LBB158_1047:
	s_mov_b32 s37, 0
.LBB158_1048:
	s_delay_alu instid0(SALU_CYCLE_1)
	s_and_not1_b32 vcc_lo, exec_lo, s37
	s_cbranch_vccnz .LBB158_1050
; %bb.1049:
	s_wait_xcnt 0x0
	v_cvt_i32_f32_e32 v3, v2
	global_store_b16 v[0:1], v3, off
.LBB158_1050:
	s_mov_b32 s37, 0
.LBB158_1051:
	s_delay_alu instid0(SALU_CYCLE_1)
	s_and_not1_b32 vcc_lo, exec_lo, s37
	s_cbranch_vccnz .LBB158_1056
; %bb.1052:
	s_cmp_gt_i32 s34, 0
	s_mov_b32 s34, -1
	s_cbranch_scc0 .LBB158_1054
; %bb.1053:
	s_wait_xcnt 0x0
	v_cvt_i32_f32_e32 v3, v2
	s_mov_b32 s34, 0
	global_store_b8 v[0:1], v3, off
.LBB158_1054:
	s_and_not1_b32 vcc_lo, exec_lo, s34
	s_cbranch_vccnz .LBB158_1056
; %bb.1055:
	s_wait_xcnt 0x0
	v_trunc_f32_e32 v2, v2
	s_delay_alu instid0(VALU_DEP_1) | instskip(NEXT) | instid1(VALU_DEP_1)
	v_mul_f32_e64 v3, 0x2f800000, |v2|
	v_floor_f32_e32 v3, v3
	s_delay_alu instid0(VALU_DEP_1) | instskip(SKIP_1) | instid1(VALU_DEP_2)
	v_fma_f32 v3, 0xcf800000, v3, |v2|
	v_ashrrev_i32_e32 v2, 31, v2
	v_cvt_u32_f32_e32 v3, v3
	s_delay_alu instid0(VALU_DEP_1) | instskip(NEXT) | instid1(VALU_DEP_1)
	v_xor_b32_e32 v3, v3, v2
	v_sub_nc_u32_e32 v2, v3, v2
	global_store_b8 v[0:1], v2, off
.LBB158_1056:
	s_mov_b32 s38, -1
.LBB158_1057:
	s_delay_alu instid0(SALU_CYCLE_1)
	s_and_not1_b32 vcc_lo, exec_lo, s38
	s_cbranch_vccnz .LBB158_1059
; %bb.1058:
	v_add_nc_u32_e32 v34, 0x80, v34
	s_mov_b32 s37, -1
	s_branch .LBB158_1061
.LBB158_1059:
	s_mov_b32 s37, 0
.LBB158_1060:
                                        ; implicit-def: $vgpr34
.LBB158_1061:
	s_and_not1_b32 s34, s25, exec_lo
	s_and_b32 s0, s0, exec_lo
	s_and_not1_b32 s38, s27, exec_lo
	s_and_b32 s39, s33, exec_lo
	s_or_b32 s33, s34, s0
	s_or_b32 s34, s38, s39
	s_and_not1_b32 s0, s28, exec_lo
	s_and_b32 s35, s35, exec_lo
	s_and_not1_b32 s38, s29, exec_lo
	s_and_b32 s31, s31, exec_lo
	s_or_b32 s35, s0, s35
	s_or_b32 s31, s38, s31
	s_or_not1_b32 s38, s37, exec_lo
.LBB158_1062:
	s_wait_xcnt 0x0
	s_or_b32 exec_lo, exec_lo, s36
	s_mov_b32 s37, 0
	s_mov_b32 s39, 0
	;; [unrolled: 1-line block ×3, first 2 shown]
                                        ; implicit-def: $sgpr0
                                        ; implicit-def: $vgpr4_vgpr5
                                        ; implicit-def: $vgpr2
                                        ; implicit-def: $vgpr0
	s_and_saveexec_b32 s36, s38
	s_cbranch_execz .LBB158_1679
; %bb.1063:
	s_mov_b32 s45, -1
	s_mov_b32 s38, s31
	s_mov_b32 s39, s35
	;; [unrolled: 1-line block ×4, first 2 shown]
	s_mov_b32 s37, exec_lo
	v_cmpx_gt_i32_e64 s26, v34
	s_cbranch_execz .LBB158_1598
; %bb.1064:
	s_wait_loadcnt 0x0
	v_mul_lo_u32 v0, v34, s13
	s_and_b32 s0, s23, 0xff
	s_delay_alu instid0(SALU_CYCLE_1) | instskip(NEXT) | instid1(VALU_DEP_1)
	s_cmp_lt_i32 s0, 11
	v_ashrrev_i32_e32 v1, 31, v0
	s_delay_alu instid0(VALU_DEP_1)
	v_add_nc_u64_e32 v[4:5], s[6:7], v[0:1]
	s_cbranch_scc1 .LBB158_1071
; %bb.1065:
	s_and_b32 s39, 0xffff, s0
	s_delay_alu instid0(SALU_CYCLE_1)
	s_cmp_gt_i32 s39, 25
	s_cbranch_scc0 .LBB158_1072
; %bb.1066:
	s_cmp_gt_i32 s39, 28
	s_cbranch_scc0 .LBB158_1073
; %bb.1067:
	s_cmp_gt_i32 s39, 43
	s_cbranch_scc0 .LBB158_1074
; %bb.1068:
	s_cmp_gt_i32 s39, 45
	s_cbranch_scc0 .LBB158_1075
; %bb.1069:
	s_cmp_eq_u32 s39, 46
	s_mov_b32 s41, 0
	s_cbranch_scc0 .LBB158_1076
; %bb.1070:
	global_load_b32 v0, v[4:5], off
	s_mov_b32 s40, -1
	s_mov_b32 s38, 0
	s_wait_loadcnt 0x0
	v_and_b32_e32 v2, 0xffff0000, v0
	v_lshlrev_b32_e32 v0, 16, v0
	s_branch .LBB158_1078
.LBB158_1071:
	s_mov_b32 s39, -1
	s_mov_b32 s40, 0
	s_mov_b32 s38, s31
                                        ; implicit-def: $vgpr2
                                        ; implicit-def: $vgpr0
	s_branch .LBB158_1142
.LBB158_1072:
	s_mov_b32 s41, -1
	s_mov_b32 s40, 0
	s_mov_b32 s38, s31
                                        ; implicit-def: $vgpr2
                                        ; implicit-def: $vgpr0
	s_branch .LBB158_1107
.LBB158_1073:
	s_mov_b32 s41, -1
	s_mov_b32 s40, 0
	s_mov_b32 s38, s31
                                        ; implicit-def: $vgpr2
                                        ; implicit-def: $vgpr0
	s_branch .LBB158_1090
.LBB158_1074:
	s_mov_b32 s41, -1
	s_mov_b32 s40, 0
	s_mov_b32 s38, s31
                                        ; implicit-def: $vgpr2
                                        ; implicit-def: $vgpr0
	s_branch .LBB158_1084
.LBB158_1075:
	s_mov_b32 s41, -1
	s_mov_b32 s40, 0
	s_mov_b32 s38, s31
	s_branch .LBB158_1077
.LBB158_1076:
	s_mov_b32 s38, -1
	s_mov_b32 s40, 0
.LBB158_1077:
                                        ; implicit-def: $vgpr2
                                        ; implicit-def: $vgpr0
.LBB158_1078:
	s_and_b32 vcc_lo, exec_lo, s41
	s_cbranch_vccz .LBB158_1083
; %bb.1079:
	s_cmp_eq_u32 s39, 44
	s_cbranch_scc0 .LBB158_1081
; %bb.1080:
	global_load_u8 v0, v[4:5], off
	s_mov_b32 s38, 0
	s_mov_b32 s40, -1
	s_wait_loadcnt 0x0
	v_lshlrev_b32_e32 v1, 23, v0
	v_cmp_ne_u32_e32 vcc_lo, 0xff, v0
	s_delay_alu instid0(VALU_DEP_2) | instskip(SKIP_1) | instid1(VALU_DEP_2)
	v_cndmask_b32_e32 v1, 0x7f800001, v1, vcc_lo
	v_cmp_ne_u32_e32 vcc_lo, 0, v0
	v_cndmask_b32_e32 v0, 0x400000, v1, vcc_lo
	s_branch .LBB158_1082
.LBB158_1081:
	s_mov_b32 s38, -1
                                        ; implicit-def: $vgpr0
.LBB158_1082:
	v_mov_b32_e32 v2, 0
.LBB158_1083:
	s_mov_b32 s41, 0
.LBB158_1084:
	s_delay_alu instid0(SALU_CYCLE_1)
	s_and_b32 vcc_lo, exec_lo, s41
	s_cbranch_vccz .LBB158_1089
; %bb.1085:
	s_cmp_eq_u32 s39, 29
	s_cbranch_scc0 .LBB158_1087
; %bb.1086:
	global_load_b64 v[0:1], v[4:5], off
	s_mov_b32 s40, -1
	s_mov_b32 s38, 0
	s_wait_loadcnt 0x0
	v_clz_i32_u32_e32 v2, v1
	s_delay_alu instid0(VALU_DEP_1) | instskip(NEXT) | instid1(VALU_DEP_1)
	v_min_u32_e32 v2, 32, v2
	v_lshlrev_b64_e32 v[0:1], v2, v[0:1]
	s_delay_alu instid0(VALU_DEP_1) | instskip(NEXT) | instid1(VALU_DEP_1)
	v_min_u32_e32 v0, 1, v0
	v_dual_sub_nc_u32 v1, 32, v2 :: v_dual_bitop2_b32 v0, v1, v0 bitop3:0x54
	s_delay_alu instid0(VALU_DEP_1) | instskip(NEXT) | instid1(VALU_DEP_1)
	v_cvt_f32_u32_e32 v0, v0
	v_ldexp_f32 v0, v0, v1
	s_branch .LBB158_1088
.LBB158_1087:
	s_mov_b32 s38, -1
                                        ; implicit-def: $vgpr0
.LBB158_1088:
	v_mov_b32_e32 v2, 0
.LBB158_1089:
	s_mov_b32 s41, 0
.LBB158_1090:
	s_delay_alu instid0(SALU_CYCLE_1)
	s_and_b32 vcc_lo, exec_lo, s41
	s_cbranch_vccz .LBB158_1106
; %bb.1091:
	s_cmp_lt_i32 s39, 27
	s_cbranch_scc1 .LBB158_1094
; %bb.1092:
	s_cmp_gt_i32 s39, 27
	s_cbranch_scc0 .LBB158_1095
; %bb.1093:
	global_load_b32 v0, v[4:5], off
	s_mov_b32 s40, 0
	s_wait_loadcnt 0x0
	v_cvt_f32_u32_e32 v0, v0
	s_branch .LBB158_1096
.LBB158_1094:
	s_mov_b32 s40, -1
                                        ; implicit-def: $vgpr0
	s_branch .LBB158_1099
.LBB158_1095:
	s_mov_b32 s40, -1
                                        ; implicit-def: $vgpr0
.LBB158_1096:
	s_delay_alu instid0(SALU_CYCLE_1)
	s_and_not1_b32 vcc_lo, exec_lo, s40
	s_cbranch_vccnz .LBB158_1098
; %bb.1097:
	global_load_u16 v0, v[4:5], off
	s_wait_loadcnt 0x0
	v_cvt_f32_u32_e32 v0, v0
.LBB158_1098:
	s_mov_b32 s40, 0
.LBB158_1099:
	s_delay_alu instid0(SALU_CYCLE_1)
	s_and_not1_b32 vcc_lo, exec_lo, s40
	s_cbranch_vccnz .LBB158_1105
; %bb.1100:
	global_load_u8 v1, v[4:5], off
	s_mov_b32 s40, 0
	s_mov_b32 s41, exec_lo
	s_wait_loadcnt 0x0
	v_cmpx_lt_i16_e32 0x7f, v1
	s_xor_b32 s41, exec_lo, s41
	s_cbranch_execnz .LBB158_1118
; %bb.1101:
	s_or_saveexec_b32 s41, s41
	v_mov_b32_e32 v0, 0x7f800001
	s_xor_b32 exec_lo, exec_lo, s41
	s_cbranch_execnz .LBB158_1121
.LBB158_1102:
	s_or_b32 exec_lo, exec_lo, s41
	s_and_saveexec_b32 s41, s40
	s_cbranch_execz .LBB158_1104
.LBB158_1103:
	v_and_b32_e32 v0, 0xffff, v1
	s_delay_alu instid0(VALU_DEP_1) | instskip(SKIP_1) | instid1(VALU_DEP_2)
	v_and_b32_e32 v2, 7, v0
	v_bfe_u32 v7, v0, 3, 4
	v_clz_i32_u32_e32 v3, v2
	s_delay_alu instid0(VALU_DEP_2) | instskip(NEXT) | instid1(VALU_DEP_2)
	v_cmp_eq_u32_e32 vcc_lo, 0, v7
	v_min_u32_e32 v3, 32, v3
	s_delay_alu instid0(VALU_DEP_1) | instskip(NEXT) | instid1(VALU_DEP_1)
	v_subrev_nc_u32_e32 v6, 28, v3
	v_dual_lshlrev_b32 v0, v6, v0 :: v_dual_sub_nc_u32 v3, 29, v3
	s_delay_alu instid0(VALU_DEP_1) | instskip(NEXT) | instid1(VALU_DEP_1)
	v_dual_lshlrev_b32 v1, 24, v1 :: v_dual_bitop2_b32 v0, 7, v0 bitop3:0x40
	v_dual_cndmask_b32 v3, v7, v3 :: v_dual_cndmask_b32 v0, v2, v0
	s_delay_alu instid0(VALU_DEP_2) | instskip(NEXT) | instid1(VALU_DEP_2)
	v_and_b32_e32 v1, 0x80000000, v1
	v_lshl_add_u32 v2, v3, 23, 0x3b800000
	s_delay_alu instid0(VALU_DEP_3) | instskip(NEXT) | instid1(VALU_DEP_1)
	v_lshlrev_b32_e32 v0, 20, v0
	v_or3_b32 v0, v1, v2, v0
.LBB158_1104:
	s_or_b32 exec_lo, exec_lo, s41
.LBB158_1105:
	v_mov_b32_e32 v2, 0
	s_mov_b32 s40, -1
.LBB158_1106:
	s_mov_b32 s41, 0
.LBB158_1107:
	s_delay_alu instid0(SALU_CYCLE_1)
	s_and_b32 vcc_lo, exec_lo, s41
	s_cbranch_vccz .LBB158_1141
; %bb.1108:
	s_cmp_gt_i32 s39, 22
	s_cbranch_scc0 .LBB158_1116
; %bb.1109:
	s_cmp_lt_i32 s39, 24
	s_cbranch_scc1 .LBB158_1117
; %bb.1110:
	s_cmp_gt_i32 s39, 24
	s_cbranch_scc0 .LBB158_1122
; %bb.1111:
	global_load_u8 v1, v[4:5], off
	s_mov_b32 s40, 0
	s_mov_b32 s41, exec_lo
	s_wait_loadcnt 0x0
	v_cmpx_lt_i16_e32 0x7f, v1
	s_xor_b32 s41, exec_lo, s41
	s_cbranch_execnz .LBB158_1206
; %bb.1112:
	s_or_saveexec_b32 s41, s41
	v_mov_b32_e32 v0, 0x7f800001
	s_xor_b32 exec_lo, exec_lo, s41
	s_cbranch_execnz .LBB158_1209
.LBB158_1113:
	s_or_b32 exec_lo, exec_lo, s41
	s_and_saveexec_b32 s41, s40
	s_cbranch_execz .LBB158_1115
.LBB158_1114:
	v_and_b32_e32 v0, 0xffff, v1
	s_delay_alu instid0(VALU_DEP_1) | instskip(SKIP_1) | instid1(VALU_DEP_2)
	v_and_b32_e32 v2, 3, v0
	v_bfe_u32 v7, v0, 2, 5
	v_clz_i32_u32_e32 v3, v2
	s_delay_alu instid0(VALU_DEP_2) | instskip(NEXT) | instid1(VALU_DEP_2)
	v_cmp_eq_u32_e32 vcc_lo, 0, v7
	v_min_u32_e32 v3, 32, v3
	s_delay_alu instid0(VALU_DEP_1) | instskip(NEXT) | instid1(VALU_DEP_1)
	v_subrev_nc_u32_e32 v6, 29, v3
	v_dual_lshlrev_b32 v0, v6, v0 :: v_dual_sub_nc_u32 v3, 30, v3
	s_delay_alu instid0(VALU_DEP_1) | instskip(NEXT) | instid1(VALU_DEP_1)
	v_dual_lshlrev_b32 v1, 24, v1 :: v_dual_bitop2_b32 v0, 3, v0 bitop3:0x40
	v_dual_cndmask_b32 v3, v7, v3 :: v_dual_cndmask_b32 v0, v2, v0
	s_delay_alu instid0(VALU_DEP_2) | instskip(NEXT) | instid1(VALU_DEP_2)
	v_and_b32_e32 v1, 0x80000000, v1
	v_lshl_add_u32 v2, v3, 23, 0x37800000
	s_delay_alu instid0(VALU_DEP_3) | instskip(NEXT) | instid1(VALU_DEP_1)
	v_lshlrev_b32_e32 v0, 21, v0
	v_or3_b32 v0, v1, v2, v0
.LBB158_1115:
	s_or_b32 exec_lo, exec_lo, s41
	s_mov_b32 s40, 0
	s_branch .LBB158_1123
.LBB158_1116:
	s_mov_b32 s41, -1
                                        ; implicit-def: $vgpr0
	s_branch .LBB158_1129
.LBB158_1117:
	s_mov_b32 s40, -1
                                        ; implicit-def: $vgpr0
	s_branch .LBB158_1126
.LBB158_1118:
	s_mov_b32 s40, -1
	s_mov_b32 s42, exec_lo
	v_cmpx_eq_u16_e32 0x80, v1
; %bb.1119:
	s_xor_b32 s40, exec_lo, -1
; %bb.1120:
	s_or_b32 exec_lo, exec_lo, s42
	s_delay_alu instid0(SALU_CYCLE_1)
	s_and_b32 s40, s40, exec_lo
	s_or_saveexec_b32 s41, s41
	v_mov_b32_e32 v0, 0x7f800001
	s_xor_b32 exec_lo, exec_lo, s41
	s_cbranch_execz .LBB158_1102
.LBB158_1121:
	v_cmp_ne_u16_e32 vcc_lo, 0, v1
	v_mov_b32_e32 v0, 0
	s_and_not1_b32 s40, s40, exec_lo
	s_and_b32 s42, vcc_lo, exec_lo
	s_delay_alu instid0(SALU_CYCLE_1)
	s_or_b32 s40, s40, s42
	s_or_b32 exec_lo, exec_lo, s41
	s_and_saveexec_b32 s41, s40
	s_cbranch_execnz .LBB158_1103
	s_branch .LBB158_1104
.LBB158_1122:
	s_mov_b32 s40, -1
                                        ; implicit-def: $vgpr0
.LBB158_1123:
	s_delay_alu instid0(SALU_CYCLE_1)
	s_and_b32 vcc_lo, exec_lo, s40
	s_cbranch_vccz .LBB158_1125
; %bb.1124:
	global_load_u8 v0, v[4:5], off
	s_wait_loadcnt 0x0
	v_lshlrev_b32_e32 v0, 24, v0
	s_delay_alu instid0(VALU_DEP_1) | instskip(NEXT) | instid1(VALU_DEP_1)
	v_and_b32_e32 v1, 0x7f000000, v0
	v_clz_i32_u32_e32 v2, v1
	v_cmp_ne_u32_e32 vcc_lo, 0, v1
	v_add_nc_u32_e32 v6, 0x1000000, v1
	s_delay_alu instid0(VALU_DEP_3) | instskip(NEXT) | instid1(VALU_DEP_1)
	v_min_u32_e32 v2, 32, v2
	v_sub_nc_u32_e64 v2, v2, 4 clamp
	s_delay_alu instid0(VALU_DEP_1) | instskip(NEXT) | instid1(VALU_DEP_1)
	v_dual_lshlrev_b32 v3, v2, v1 :: v_dual_lshlrev_b32 v2, 23, v2
	v_lshrrev_b32_e32 v3, 4, v3
	s_delay_alu instid0(VALU_DEP_1) | instskip(SKIP_1) | instid1(VALU_DEP_2)
	v_sub_nc_u32_e32 v2, v3, v2
	v_ashrrev_i32_e32 v3, 8, v6
	v_add_nc_u32_e32 v2, 0x3c000000, v2
	s_delay_alu instid0(VALU_DEP_1) | instskip(NEXT) | instid1(VALU_DEP_1)
	v_and_or_b32 v2, 0x7f800000, v3, v2
	v_cndmask_b32_e32 v1, 0, v2, vcc_lo
	s_delay_alu instid0(VALU_DEP_1)
	v_and_or_b32 v0, 0x80000000, v0, v1
.LBB158_1125:
	s_mov_b32 s40, 0
.LBB158_1126:
	s_delay_alu instid0(SALU_CYCLE_1)
	s_and_not1_b32 vcc_lo, exec_lo, s40
	s_cbranch_vccnz .LBB158_1128
; %bb.1127:
	global_load_u8 v0, v[4:5], off
	s_wait_loadcnt 0x0
	v_lshlrev_b32_e32 v1, 25, v0
	v_lshlrev_b16 v0, 8, v0
	s_delay_alu instid0(VALU_DEP_1) | instskip(SKIP_1) | instid1(VALU_DEP_2)
	v_and_or_b32 v3, 0x7f00, v0, 0.5
	v_bfe_i32 v0, v0, 0, 16
	v_dual_add_f32 v3, -0.5, v3 :: v_dual_lshrrev_b32 v2, 4, v1
	v_cmp_gt_u32_e32 vcc_lo, 0x8000000, v1
	s_delay_alu instid0(VALU_DEP_2) | instskip(NEXT) | instid1(VALU_DEP_1)
	v_or_b32_e32 v2, 0x70000000, v2
	v_mul_f32_e32 v2, 0x7800000, v2
	s_delay_alu instid0(VALU_DEP_1) | instskip(NEXT) | instid1(VALU_DEP_1)
	v_cndmask_b32_e32 v1, v2, v3, vcc_lo
	v_and_or_b32 v0, 0x80000000, v0, v1
.LBB158_1128:
	s_mov_b32 s41, 0
	s_mov_b32 s40, -1
.LBB158_1129:
	s_and_not1_b32 vcc_lo, exec_lo, s41
	s_cbranch_vccnz .LBB158_1140
; %bb.1130:
	s_cmp_gt_i32 s39, 14
	s_cbranch_scc0 .LBB158_1133
; %bb.1131:
	s_cmp_eq_u32 s39, 15
	s_cbranch_scc0 .LBB158_1134
; %bb.1132:
	global_load_u16 v0, v[4:5], off
	s_mov_b32 s40, -1
	s_mov_b32 s38, 0
	s_wait_loadcnt 0x0
	v_lshlrev_b32_e32 v0, 16, v0
	s_branch .LBB158_1135
.LBB158_1133:
	s_mov_b32 s41, -1
                                        ; implicit-def: $vgpr0
	s_branch .LBB158_1136
.LBB158_1134:
	s_mov_b32 s38, -1
                                        ; implicit-def: $vgpr0
.LBB158_1135:
	s_mov_b32 s41, 0
.LBB158_1136:
	s_delay_alu instid0(SALU_CYCLE_1)
	s_and_b32 vcc_lo, exec_lo, s41
	s_cbranch_vccz .LBB158_1140
; %bb.1137:
	s_cmp_eq_u32 s39, 11
	s_cbranch_scc0 .LBB158_1139
; %bb.1138:
	global_load_u8 v0, v[4:5], off
	s_mov_b32 s38, 0
	s_mov_b32 s40, -1
	v_mov_b32_e32 v2, 0
	s_wait_loadcnt 0x0
	v_cmp_ne_u16_e32 vcc_lo, 0, v0
	v_cndmask_b32_e64 v0, 0, 1.0, vcc_lo
	s_branch .LBB158_1141
.LBB158_1139:
	s_mov_b32 s38, -1
                                        ; implicit-def: $vgpr0
.LBB158_1140:
	v_mov_b32_e32 v2, 0
.LBB158_1141:
	s_mov_b32 s39, 0
.LBB158_1142:
	s_delay_alu instid0(SALU_CYCLE_1)
	s_and_b32 vcc_lo, exec_lo, s39
	s_cbranch_vccz .LBB158_1193
; %bb.1143:
	s_and_b32 s0, 0xffff, s0
	s_delay_alu instid0(SALU_CYCLE_1)
	s_cmp_lt_i32 s0, 5
	s_cbranch_scc1 .LBB158_1148
; %bb.1144:
	s_cmp_lt_i32 s0, 8
	s_cbranch_scc1 .LBB158_1149
; %bb.1145:
	;; [unrolled: 3-line block ×3, first 2 shown]
	s_cmp_gt_i32 s0, 9
	s_cbranch_scc0 .LBB158_1151
; %bb.1147:
	global_load_b128 v[0:3], v[4:5], off
	s_mov_b32 s39, 0
	s_wait_loadcnt 0x0
	v_cvt_f32_f64_e32 v0, v[0:1]
	v_cvt_f32_f64_e32 v2, v[2:3]
	s_branch .LBB158_1152
.LBB158_1148:
	s_mov_b32 s39, -1
                                        ; implicit-def: $vgpr2
                                        ; implicit-def: $vgpr0
	s_branch .LBB158_1171
.LBB158_1149:
	s_mov_b32 s39, -1
                                        ; implicit-def: $vgpr2
                                        ; implicit-def: $vgpr0
	s_branch .LBB158_1158
.LBB158_1150:
	s_mov_b32 s39, -1
                                        ; implicit-def: $vgpr2
                                        ; implicit-def: $vgpr0
	s_branch .LBB158_1155
.LBB158_1151:
	s_mov_b32 s39, -1
                                        ; implicit-def: $vgpr2
                                        ; implicit-def: $vgpr0
.LBB158_1152:
	s_delay_alu instid0(SALU_CYCLE_1)
	s_and_not1_b32 vcc_lo, exec_lo, s39
	s_cbranch_vccnz .LBB158_1154
; %bb.1153:
	global_load_b64 v[0:1], v[4:5], off
	s_wait_loadcnt 0x0
	v_mov_b32_e32 v2, v1
.LBB158_1154:
	s_mov_b32 s39, 0
.LBB158_1155:
	s_delay_alu instid0(SALU_CYCLE_1)
	s_and_not1_b32 vcc_lo, exec_lo, s39
	s_cbranch_vccnz .LBB158_1157
; %bb.1156:
	global_load_b32 v0, v[4:5], off
	s_wait_loadcnt 0x0
	v_lshrrev_b32_e32 v1, 16, v0
	v_cvt_f32_f16_e32 v0, v0
	s_delay_alu instid0(VALU_DEP_2)
	v_cvt_f32_f16_e32 v2, v1
.LBB158_1157:
	s_mov_b32 s39, 0
.LBB158_1158:
	s_delay_alu instid0(SALU_CYCLE_1)
	s_and_not1_b32 vcc_lo, exec_lo, s39
	s_cbranch_vccnz .LBB158_1170
; %bb.1159:
	s_cmp_lt_i32 s0, 6
	s_cbranch_scc1 .LBB158_1162
; %bb.1160:
	s_cmp_gt_i32 s0, 6
	s_cbranch_scc0 .LBB158_1163
; %bb.1161:
	global_load_b64 v[0:1], v[4:5], off
	s_mov_b32 s39, 0
	s_wait_loadcnt 0x0
	v_cvt_f32_f64_e32 v0, v[0:1]
	s_branch .LBB158_1164
.LBB158_1162:
	s_mov_b32 s39, -1
                                        ; implicit-def: $vgpr0
	s_branch .LBB158_1167
.LBB158_1163:
	s_mov_b32 s39, -1
                                        ; implicit-def: $vgpr0
.LBB158_1164:
	s_delay_alu instid0(SALU_CYCLE_1)
	s_and_not1_b32 vcc_lo, exec_lo, s39
	s_cbranch_vccnz .LBB158_1166
; %bb.1165:
	global_load_b32 v0, v[4:5], off
.LBB158_1166:
	s_mov_b32 s39, 0
.LBB158_1167:
	s_delay_alu instid0(SALU_CYCLE_1)
	s_and_not1_b32 vcc_lo, exec_lo, s39
	s_cbranch_vccnz .LBB158_1169
; %bb.1168:
	s_wait_loadcnt 0x0
	global_load_u16 v0, v[4:5], off
	s_wait_loadcnt 0x0
	v_cvt_f32_f16_e32 v0, v0
.LBB158_1169:
	v_mov_b32_e32 v2, 0
.LBB158_1170:
	s_mov_b32 s39, 0
.LBB158_1171:
	s_delay_alu instid0(SALU_CYCLE_1)
	s_and_not1_b32 vcc_lo, exec_lo, s39
	s_cbranch_vccnz .LBB158_1192
; %bb.1172:
	s_cmp_lt_i32 s0, 2
	s_cbranch_scc1 .LBB158_1176
; %bb.1173:
	s_cmp_lt_i32 s0, 3
	s_cbranch_scc1 .LBB158_1177
; %bb.1174:
	s_cmp_gt_i32 s0, 3
	s_cbranch_scc0 .LBB158_1178
; %bb.1175:
	s_wait_loadcnt 0x0
	global_load_b64 v[0:1], v[4:5], off
	s_mov_b32 s39, 0
	s_wait_loadcnt 0x0
	v_xor_b32_e32 v2, v0, v1
	v_cls_i32_e32 v3, v1
	s_delay_alu instid0(VALU_DEP_2) | instskip(NEXT) | instid1(VALU_DEP_1)
	v_ashrrev_i32_e32 v2, 31, v2
	v_add_nc_u32_e32 v2, 32, v2
	s_delay_alu instid0(VALU_DEP_1) | instskip(NEXT) | instid1(VALU_DEP_1)
	v_add_min_u32_e64 v2, v3, -1, v2
	v_lshlrev_b64_e32 v[0:1], v2, v[0:1]
	s_delay_alu instid0(VALU_DEP_1) | instskip(NEXT) | instid1(VALU_DEP_1)
	v_min_u32_e32 v0, 1, v0
	v_dual_sub_nc_u32 v1, 32, v2 :: v_dual_bitop2_b32 v0, v1, v0 bitop3:0x54
	s_delay_alu instid0(VALU_DEP_1) | instskip(NEXT) | instid1(VALU_DEP_1)
	v_cvt_f32_i32_e32 v0, v0
	v_ldexp_f32 v0, v0, v1
	s_branch .LBB158_1179
.LBB158_1176:
	s_mov_b32 s39, -1
                                        ; implicit-def: $vgpr0
	s_branch .LBB158_1185
.LBB158_1177:
	s_mov_b32 s39, -1
                                        ; implicit-def: $vgpr0
	s_branch .LBB158_1182
.LBB158_1178:
	s_mov_b32 s39, -1
                                        ; implicit-def: $vgpr0
.LBB158_1179:
	s_delay_alu instid0(SALU_CYCLE_1)
	s_and_not1_b32 vcc_lo, exec_lo, s39
	s_cbranch_vccnz .LBB158_1181
; %bb.1180:
	s_wait_loadcnt 0x0
	global_load_b32 v0, v[4:5], off
	s_wait_loadcnt 0x0
	v_cvt_f32_i32_e32 v0, v0
.LBB158_1181:
	s_mov_b32 s39, 0
.LBB158_1182:
	s_delay_alu instid0(SALU_CYCLE_1)
	s_and_not1_b32 vcc_lo, exec_lo, s39
	s_cbranch_vccnz .LBB158_1184
; %bb.1183:
	s_wait_loadcnt 0x0
	global_load_i16 v0, v[4:5], off
	s_wait_loadcnt 0x0
	v_cvt_f32_i32_e32 v0, v0
.LBB158_1184:
	s_mov_b32 s39, 0
.LBB158_1185:
	s_delay_alu instid0(SALU_CYCLE_1)
	s_and_not1_b32 vcc_lo, exec_lo, s39
	s_cbranch_vccnz .LBB158_1191
; %bb.1186:
	s_cmp_gt_i32 s0, 0
	s_mov_b32 s0, 0
	s_cbranch_scc0 .LBB158_1188
; %bb.1187:
	s_wait_loadcnt 0x0
	global_load_i8 v0, v[4:5], off
	s_wait_loadcnt 0x0
	v_cvt_f32_i32_e32 v0, v0
	s_branch .LBB158_1189
.LBB158_1188:
	s_mov_b32 s0, -1
                                        ; implicit-def: $vgpr0
.LBB158_1189:
	s_delay_alu instid0(SALU_CYCLE_1)
	s_and_not1_b32 vcc_lo, exec_lo, s0
	s_cbranch_vccnz .LBB158_1191
; %bb.1190:
	s_wait_loadcnt 0x0
	global_load_u8 v0, v[4:5], off
	s_wait_loadcnt 0x0
	v_cvt_f32_ubyte0_e32 v0, v0
.LBB158_1191:
	v_mov_b32_e32 v2, 0
.LBB158_1192:
	s_mov_b32 s40, -1
.LBB158_1193:
	s_delay_alu instid0(SALU_CYCLE_1)
	s_and_not1_b32 vcc_lo, exec_lo, s40
	s_cbranch_vccnz .LBB158_1201
; %bb.1194:
	s_wait_xcnt 0x0
	v_mul_lo_u32 v4, v34, s14
	s_and_b32 s0, s21, 0xff
	s_delay_alu instid0(SALU_CYCLE_1) | instskip(NEXT) | instid1(VALU_DEP_1)
	s_cmp_lt_i32 s0, 11
	v_ashrrev_i32_e32 v5, 31, v4
	s_delay_alu instid0(VALU_DEP_1)
	v_add_nc_u64_e32 v[6:7], s[8:9], v[4:5]
	s_cbranch_scc1 .LBB158_1202
; %bb.1195:
	s_and_b32 s40, 0xffff, s0
	s_delay_alu instid0(SALU_CYCLE_1)
	s_cmp_gt_i32 s40, 25
	s_cbranch_scc0 .LBB158_1203
; %bb.1196:
	s_cmp_gt_i32 s40, 28
	s_cbranch_scc0 .LBB158_1204
; %bb.1197:
	;; [unrolled: 3-line block ×4, first 2 shown]
	s_cmp_eq_u32 s40, 46
	s_mov_b32 s42, 0
	s_cbranch_scc0 .LBB158_1211
; %bb.1200:
	global_load_b32 v1, v[6:7], off
	s_mov_b32 s41, -1
	s_mov_b32 s39, 0
	s_wait_loadcnt 0x0
	v_and_b32_e32 v5, 0xffff0000, v1
	v_lshlrev_b32_e32 v4, 16, v1
	s_branch .LBB158_1213
.LBB158_1201:
	s_mov_b32 s42, 0
	s_mov_b32 s0, s33
	;; [unrolled: 1-line block ×4, first 2 shown]
	s_branch .LBB158_1596
.LBB158_1202:
	s_mov_b32 s40, -1
	s_mov_b32 s41, 0
	s_mov_b32 s39, s35
                                        ; implicit-def: $vgpr5
	s_branch .LBB158_1277
.LBB158_1203:
	s_mov_b32 s42, -1
	s_mov_b32 s41, 0
	s_mov_b32 s39, s35
                                        ; implicit-def: $vgpr5
	s_branch .LBB158_1242
.LBB158_1204:
	s_mov_b32 s42, -1
	s_mov_b32 s41, 0
	s_mov_b32 s39, s35
                                        ; implicit-def: $vgpr5
	s_branch .LBB158_1225
.LBB158_1205:
	s_mov_b32 s42, -1
	s_mov_b32 s41, 0
	s_mov_b32 s39, s35
                                        ; implicit-def: $vgpr5
	s_branch .LBB158_1219
.LBB158_1206:
	s_mov_b32 s40, -1
	s_mov_b32 s42, exec_lo
	v_cmpx_eq_u16_e32 0x80, v1
; %bb.1207:
	s_xor_b32 s40, exec_lo, -1
; %bb.1208:
	s_or_b32 exec_lo, exec_lo, s42
	s_delay_alu instid0(SALU_CYCLE_1)
	s_and_b32 s40, s40, exec_lo
	s_or_saveexec_b32 s41, s41
	v_mov_b32_e32 v0, 0x7f800001
	s_xor_b32 exec_lo, exec_lo, s41
	s_cbranch_execz .LBB158_1113
.LBB158_1209:
	v_cmp_ne_u16_e32 vcc_lo, 0, v1
	v_mov_b32_e32 v0, 0
	s_and_not1_b32 s40, s40, exec_lo
	s_and_b32 s42, vcc_lo, exec_lo
	s_delay_alu instid0(SALU_CYCLE_1)
	s_or_b32 s40, s40, s42
	s_or_b32 exec_lo, exec_lo, s41
	s_and_saveexec_b32 s41, s40
	s_cbranch_execnz .LBB158_1114
	s_branch .LBB158_1115
.LBB158_1210:
	s_mov_b32 s42, -1
	s_mov_b32 s41, 0
	s_mov_b32 s39, s35
	s_branch .LBB158_1212
.LBB158_1211:
	s_mov_b32 s39, -1
	s_mov_b32 s41, 0
.LBB158_1212:
                                        ; implicit-def: $vgpr5
.LBB158_1213:
	s_and_b32 vcc_lo, exec_lo, s42
	s_cbranch_vccz .LBB158_1218
; %bb.1214:
	s_cmp_eq_u32 s40, 44
	s_cbranch_scc0 .LBB158_1216
; %bb.1215:
	global_load_u8 v1, v[6:7], off
	s_mov_b32 s39, 0
	s_mov_b32 s41, -1
	s_wait_loadcnt 0x0
	v_lshlrev_b32_e32 v3, 23, v1
	v_cmp_ne_u32_e32 vcc_lo, 0xff, v1
	s_delay_alu instid0(VALU_DEP_2) | instskip(SKIP_1) | instid1(VALU_DEP_2)
	v_cndmask_b32_e32 v3, 0x7f800001, v3, vcc_lo
	v_cmp_ne_u32_e32 vcc_lo, 0, v1
	v_cndmask_b32_e32 v4, 0x400000, v3, vcc_lo
	s_branch .LBB158_1217
.LBB158_1216:
	s_mov_b32 s39, -1
                                        ; implicit-def: $vgpr4
.LBB158_1217:
	v_mov_b32_e32 v5, 0
.LBB158_1218:
	s_mov_b32 s42, 0
.LBB158_1219:
	s_delay_alu instid0(SALU_CYCLE_1)
	s_and_b32 vcc_lo, exec_lo, s42
	s_cbranch_vccz .LBB158_1224
; %bb.1220:
	s_cmp_eq_u32 s40, 29
	s_cbranch_scc0 .LBB158_1222
; %bb.1221:
	global_load_b64 v[4:5], v[6:7], off
	s_mov_b32 s41, -1
	s_mov_b32 s39, 0
	s_wait_loadcnt 0x0
	v_clz_i32_u32_e32 v1, v5
	s_delay_alu instid0(VALU_DEP_1) | instskip(NEXT) | instid1(VALU_DEP_1)
	v_min_u32_e32 v1, 32, v1
	v_lshlrev_b64_e32 v[4:5], v1, v[4:5]
	v_sub_nc_u32_e32 v1, 32, v1
	s_delay_alu instid0(VALU_DEP_2) | instskip(NEXT) | instid1(VALU_DEP_1)
	v_min_u32_e32 v3, 1, v4
	v_or_b32_e32 v3, v5, v3
	s_delay_alu instid0(VALU_DEP_1) | instskip(NEXT) | instid1(VALU_DEP_1)
	v_cvt_f32_u32_e32 v3, v3
	v_ldexp_f32 v4, v3, v1
	s_branch .LBB158_1223
.LBB158_1222:
	s_mov_b32 s39, -1
                                        ; implicit-def: $vgpr4
.LBB158_1223:
	v_mov_b32_e32 v5, 0
.LBB158_1224:
	s_mov_b32 s42, 0
.LBB158_1225:
	s_delay_alu instid0(SALU_CYCLE_1)
	s_and_b32 vcc_lo, exec_lo, s42
	s_cbranch_vccz .LBB158_1241
; %bb.1226:
	s_cmp_lt_i32 s40, 27
	s_cbranch_scc1 .LBB158_1229
; %bb.1227:
	s_cmp_gt_i32 s40, 27
	s_cbranch_scc0 .LBB158_1230
; %bb.1228:
	global_load_b32 v1, v[6:7], off
	s_mov_b32 s41, 0
	s_wait_loadcnt 0x0
	v_cvt_f32_u32_e32 v4, v1
	s_branch .LBB158_1231
.LBB158_1229:
	s_mov_b32 s41, -1
                                        ; implicit-def: $vgpr4
	s_branch .LBB158_1234
.LBB158_1230:
	s_mov_b32 s41, -1
                                        ; implicit-def: $vgpr4
.LBB158_1231:
	s_delay_alu instid0(SALU_CYCLE_1)
	s_and_not1_b32 vcc_lo, exec_lo, s41
	s_cbranch_vccnz .LBB158_1233
; %bb.1232:
	global_load_u16 v1, v[6:7], off
	s_wait_loadcnt 0x0
	v_cvt_f32_u32_e32 v4, v1
.LBB158_1233:
	s_mov_b32 s41, 0
.LBB158_1234:
	s_delay_alu instid0(SALU_CYCLE_1)
	s_and_not1_b32 vcc_lo, exec_lo, s41
	s_cbranch_vccnz .LBB158_1240
; %bb.1235:
	global_load_u8 v1, v[6:7], off
	s_mov_b32 s41, 0
	s_mov_b32 s42, exec_lo
	s_wait_loadcnt 0x0
	v_cmpx_lt_i16_e32 0x7f, v1
	s_xor_b32 s42, exec_lo, s42
	s_cbranch_execnz .LBB158_1253
; %bb.1236:
	s_or_saveexec_b32 s42, s42
	v_mov_b32_e32 v4, 0x7f800001
	s_xor_b32 exec_lo, exec_lo, s42
	s_cbranch_execnz .LBB158_1256
.LBB158_1237:
	s_or_b32 exec_lo, exec_lo, s42
	s_and_saveexec_b32 s42, s41
	s_cbranch_execz .LBB158_1239
.LBB158_1238:
	v_and_b32_e32 v3, 0xffff, v1
	s_delay_alu instid0(VALU_DEP_1) | instskip(SKIP_1) | instid1(VALU_DEP_2)
	v_and_b32_e32 v4, 7, v3
	v_bfe_u32 v9, v3, 3, 4
	v_clz_i32_u32_e32 v5, v4
	s_delay_alu instid0(VALU_DEP_2) | instskip(NEXT) | instid1(VALU_DEP_2)
	v_cmp_eq_u32_e32 vcc_lo, 0, v9
	v_min_u32_e32 v5, 32, v5
	s_delay_alu instid0(VALU_DEP_1) | instskip(NEXT) | instid1(VALU_DEP_1)
	v_subrev_nc_u32_e32 v8, 28, v5
	v_dual_lshlrev_b32 v3, v8, v3 :: v_dual_sub_nc_u32 v5, 29, v5
	s_delay_alu instid0(VALU_DEP_1) | instskip(NEXT) | instid1(VALU_DEP_1)
	v_dual_lshlrev_b32 v1, 24, v1 :: v_dual_bitop2_b32 v3, 7, v3 bitop3:0x40
	v_dual_cndmask_b32 v3, v4, v3, vcc_lo :: v_dual_cndmask_b32 v5, v9, v5, vcc_lo
	s_delay_alu instid0(VALU_DEP_2) | instskip(NEXT) | instid1(VALU_DEP_2)
	v_and_b32_e32 v1, 0x80000000, v1
	v_lshlrev_b32_e32 v3, 20, v3
	s_delay_alu instid0(VALU_DEP_3) | instskip(NEXT) | instid1(VALU_DEP_1)
	v_lshl_add_u32 v4, v5, 23, 0x3b800000
	v_or3_b32 v4, v1, v4, v3
.LBB158_1239:
	s_or_b32 exec_lo, exec_lo, s42
.LBB158_1240:
	v_mov_b32_e32 v5, 0
	s_mov_b32 s41, -1
.LBB158_1241:
	s_mov_b32 s42, 0
.LBB158_1242:
	s_delay_alu instid0(SALU_CYCLE_1)
	s_and_b32 vcc_lo, exec_lo, s42
	s_cbranch_vccz .LBB158_1276
; %bb.1243:
	s_cmp_gt_i32 s40, 22
	s_cbranch_scc0 .LBB158_1251
; %bb.1244:
	s_cmp_lt_i32 s40, 24
	s_cbranch_scc1 .LBB158_1252
; %bb.1245:
	s_cmp_gt_i32 s40, 24
	s_cbranch_scc0 .LBB158_1257
; %bb.1246:
	global_load_u8 v1, v[6:7], off
	s_mov_b32 s41, 0
	s_mov_b32 s42, exec_lo
	s_wait_loadcnt 0x0
	v_cmpx_lt_i16_e32 0x7f, v1
	s_xor_b32 s42, exec_lo, s42
	s_cbranch_execnz .LBB158_1341
; %bb.1247:
	s_or_saveexec_b32 s42, s42
	v_mov_b32_e32 v4, 0x7f800001
	s_xor_b32 exec_lo, exec_lo, s42
	s_cbranch_execnz .LBB158_1344
.LBB158_1248:
	s_or_b32 exec_lo, exec_lo, s42
	s_and_saveexec_b32 s42, s41
	s_cbranch_execz .LBB158_1250
.LBB158_1249:
	v_and_b32_e32 v3, 0xffff, v1
	s_delay_alu instid0(VALU_DEP_1) | instskip(SKIP_1) | instid1(VALU_DEP_2)
	v_and_b32_e32 v4, 3, v3
	v_bfe_u32 v9, v3, 2, 5
	v_clz_i32_u32_e32 v5, v4
	s_delay_alu instid0(VALU_DEP_2) | instskip(NEXT) | instid1(VALU_DEP_2)
	v_cmp_eq_u32_e32 vcc_lo, 0, v9
	v_min_u32_e32 v5, 32, v5
	s_delay_alu instid0(VALU_DEP_1) | instskip(NEXT) | instid1(VALU_DEP_1)
	v_subrev_nc_u32_e32 v8, 29, v5
	v_dual_lshlrev_b32 v3, v8, v3 :: v_dual_sub_nc_u32 v5, 30, v5
	s_delay_alu instid0(VALU_DEP_1) | instskip(NEXT) | instid1(VALU_DEP_1)
	v_dual_lshlrev_b32 v1, 24, v1 :: v_dual_bitop2_b32 v3, 3, v3 bitop3:0x40
	v_dual_cndmask_b32 v3, v4, v3, vcc_lo :: v_dual_cndmask_b32 v5, v9, v5, vcc_lo
	s_delay_alu instid0(VALU_DEP_2) | instskip(NEXT) | instid1(VALU_DEP_2)
	v_and_b32_e32 v1, 0x80000000, v1
	v_lshlrev_b32_e32 v3, 21, v3
	s_delay_alu instid0(VALU_DEP_3) | instskip(NEXT) | instid1(VALU_DEP_1)
	v_lshl_add_u32 v4, v5, 23, 0x37800000
	v_or3_b32 v4, v1, v4, v3
.LBB158_1250:
	s_or_b32 exec_lo, exec_lo, s42
	s_mov_b32 s41, 0
	s_branch .LBB158_1258
.LBB158_1251:
	s_mov_b32 s42, -1
                                        ; implicit-def: $vgpr4
	s_branch .LBB158_1264
.LBB158_1252:
	s_mov_b32 s41, -1
                                        ; implicit-def: $vgpr4
	s_branch .LBB158_1261
.LBB158_1253:
	s_mov_b32 s41, -1
	s_mov_b32 s43, exec_lo
	v_cmpx_eq_u16_e32 0x80, v1
; %bb.1254:
	s_xor_b32 s41, exec_lo, -1
; %bb.1255:
	s_or_b32 exec_lo, exec_lo, s43
	s_delay_alu instid0(SALU_CYCLE_1)
	s_and_b32 s41, s41, exec_lo
	s_or_saveexec_b32 s42, s42
	v_mov_b32_e32 v4, 0x7f800001
	s_xor_b32 exec_lo, exec_lo, s42
	s_cbranch_execz .LBB158_1237
.LBB158_1256:
	v_cmp_ne_u16_e32 vcc_lo, 0, v1
	v_mov_b32_e32 v4, 0
	s_and_not1_b32 s41, s41, exec_lo
	s_and_b32 s43, vcc_lo, exec_lo
	s_delay_alu instid0(SALU_CYCLE_1)
	s_or_b32 s41, s41, s43
	s_or_b32 exec_lo, exec_lo, s42
	s_and_saveexec_b32 s42, s41
	s_cbranch_execnz .LBB158_1238
	s_branch .LBB158_1239
.LBB158_1257:
	s_mov_b32 s41, -1
                                        ; implicit-def: $vgpr4
.LBB158_1258:
	s_delay_alu instid0(SALU_CYCLE_1)
	s_and_b32 vcc_lo, exec_lo, s41
	s_cbranch_vccz .LBB158_1260
; %bb.1259:
	global_load_u8 v1, v[6:7], off
	s_wait_loadcnt 0x0
	v_lshlrev_b32_e32 v1, 24, v1
	s_delay_alu instid0(VALU_DEP_1) | instskip(NEXT) | instid1(VALU_DEP_1)
	v_and_b32_e32 v3, 0x7f000000, v1
	v_clz_i32_u32_e32 v4, v3
	v_cmp_ne_u32_e32 vcc_lo, 0, v3
	v_add_nc_u32_e32 v8, 0x1000000, v3
	s_delay_alu instid0(VALU_DEP_3) | instskip(NEXT) | instid1(VALU_DEP_1)
	v_min_u32_e32 v4, 32, v4
	v_sub_nc_u32_e64 v4, v4, 4 clamp
	s_delay_alu instid0(VALU_DEP_1) | instskip(NEXT) | instid1(VALU_DEP_1)
	v_dual_lshlrev_b32 v5, v4, v3 :: v_dual_lshlrev_b32 v4, 23, v4
	v_lshrrev_b32_e32 v5, 4, v5
	s_delay_alu instid0(VALU_DEP_1) | instskip(SKIP_1) | instid1(VALU_DEP_2)
	v_sub_nc_u32_e32 v4, v5, v4
	v_ashrrev_i32_e32 v5, 8, v8
	v_add_nc_u32_e32 v4, 0x3c000000, v4
	s_delay_alu instid0(VALU_DEP_1) | instskip(NEXT) | instid1(VALU_DEP_1)
	v_and_or_b32 v4, 0x7f800000, v5, v4
	v_cndmask_b32_e32 v3, 0, v4, vcc_lo
	s_delay_alu instid0(VALU_DEP_1)
	v_and_or_b32 v4, 0x80000000, v1, v3
.LBB158_1260:
	s_mov_b32 s41, 0
.LBB158_1261:
	s_delay_alu instid0(SALU_CYCLE_1)
	s_and_not1_b32 vcc_lo, exec_lo, s41
	s_cbranch_vccnz .LBB158_1263
; %bb.1262:
	global_load_u8 v1, v[6:7], off
	s_wait_loadcnt 0x0
	v_lshlrev_b32_e32 v3, 25, v1
	v_lshlrev_b16 v1, 8, v1
	s_delay_alu instid0(VALU_DEP_1) | instskip(NEXT) | instid1(VALU_DEP_3)
	v_and_or_b32 v5, 0x7f00, v1, 0.5
	v_lshrrev_b32_e32 v4, 4, v3
	v_bfe_i32 v1, v1, 0, 16
	s_delay_alu instid0(VALU_DEP_3) | instskip(NEXT) | instid1(VALU_DEP_3)
	v_add_f32_e32 v5, -0.5, v5
	v_or_b32_e32 v4, 0x70000000, v4
	s_delay_alu instid0(VALU_DEP_1) | instskip(SKIP_1) | instid1(VALU_DEP_2)
	v_mul_f32_e32 v4, 0x7800000, v4
	v_cmp_gt_u32_e32 vcc_lo, 0x8000000, v3
	v_cndmask_b32_e32 v3, v4, v5, vcc_lo
	s_delay_alu instid0(VALU_DEP_1)
	v_and_or_b32 v4, 0x80000000, v1, v3
.LBB158_1263:
	s_mov_b32 s42, 0
	s_mov_b32 s41, -1
.LBB158_1264:
	s_and_not1_b32 vcc_lo, exec_lo, s42
	s_cbranch_vccnz .LBB158_1275
; %bb.1265:
	s_cmp_gt_i32 s40, 14
	s_cbranch_scc0 .LBB158_1268
; %bb.1266:
	s_cmp_eq_u32 s40, 15
	s_cbranch_scc0 .LBB158_1269
; %bb.1267:
	global_load_u16 v1, v[6:7], off
	s_mov_b32 s41, -1
	s_mov_b32 s39, 0
	s_wait_loadcnt 0x0
	v_lshlrev_b32_e32 v4, 16, v1
	s_branch .LBB158_1270
.LBB158_1268:
	s_mov_b32 s42, -1
                                        ; implicit-def: $vgpr4
	s_branch .LBB158_1271
.LBB158_1269:
	s_mov_b32 s39, -1
                                        ; implicit-def: $vgpr4
.LBB158_1270:
	s_mov_b32 s42, 0
.LBB158_1271:
	s_delay_alu instid0(SALU_CYCLE_1)
	s_and_b32 vcc_lo, exec_lo, s42
	s_cbranch_vccz .LBB158_1275
; %bb.1272:
	s_cmp_eq_u32 s40, 11
	s_cbranch_scc0 .LBB158_1274
; %bb.1273:
	global_load_u8 v1, v[6:7], off
	s_mov_b32 s39, 0
	s_mov_b32 s41, -1
	v_mov_b32_e32 v5, 0
	s_wait_loadcnt 0x0
	v_cmp_ne_u16_e32 vcc_lo, 0, v1
	v_cndmask_b32_e64 v4, 0, 1.0, vcc_lo
	s_branch .LBB158_1276
.LBB158_1274:
	s_mov_b32 s39, -1
                                        ; implicit-def: $vgpr4
.LBB158_1275:
	v_mov_b32_e32 v5, 0
.LBB158_1276:
	s_mov_b32 s40, 0
.LBB158_1277:
	s_delay_alu instid0(SALU_CYCLE_1)
	s_and_b32 vcc_lo, exec_lo, s40
	s_cbranch_vccz .LBB158_1328
; %bb.1278:
	s_and_b32 s0, 0xffff, s0
	s_delay_alu instid0(SALU_CYCLE_1)
	s_cmp_lt_i32 s0, 5
	s_cbranch_scc1 .LBB158_1283
; %bb.1279:
	s_cmp_lt_i32 s0, 8
	s_cbranch_scc1 .LBB158_1284
; %bb.1280:
	;; [unrolled: 3-line block ×3, first 2 shown]
	s_cmp_gt_i32 s0, 9
	s_cbranch_scc0 .LBB158_1286
; %bb.1282:
	global_load_b128 v[8:11], v[6:7], off
	s_mov_b32 s40, 0
	s_wait_loadcnt 0x0
	v_cvt_f32_f64_e32 v4, v[8:9]
	v_cvt_f32_f64_e32 v5, v[10:11]
	s_branch .LBB158_1287
.LBB158_1283:
	s_mov_b32 s40, -1
                                        ; implicit-def: $vgpr5
	s_branch .LBB158_1306
.LBB158_1284:
	s_mov_b32 s40, -1
                                        ; implicit-def: $vgpr5
	s_branch .LBB158_1293
.LBB158_1285:
	s_mov_b32 s40, -1
                                        ; implicit-def: $vgpr5
	s_branch .LBB158_1290
.LBB158_1286:
	s_mov_b32 s40, -1
                                        ; implicit-def: $vgpr5
.LBB158_1287:
	s_delay_alu instid0(SALU_CYCLE_1)
	s_and_not1_b32 vcc_lo, exec_lo, s40
	s_cbranch_vccnz .LBB158_1289
; %bb.1288:
	global_load_b64 v[4:5], v[6:7], off
.LBB158_1289:
	s_mov_b32 s40, 0
.LBB158_1290:
	s_delay_alu instid0(SALU_CYCLE_1)
	s_and_not1_b32 vcc_lo, exec_lo, s40
	s_cbranch_vccnz .LBB158_1292
; %bb.1291:
	global_load_b32 v1, v[6:7], off
	s_wait_loadcnt 0x0
	v_lshrrev_b32_e32 v3, 16, v1
	v_cvt_f32_f16_e32 v4, v1
	s_delay_alu instid0(VALU_DEP_2)
	v_cvt_f32_f16_e32 v5, v3
.LBB158_1292:
	s_mov_b32 s40, 0
.LBB158_1293:
	s_delay_alu instid0(SALU_CYCLE_1)
	s_and_not1_b32 vcc_lo, exec_lo, s40
	s_cbranch_vccnz .LBB158_1305
; %bb.1294:
	s_cmp_lt_i32 s0, 6
	s_cbranch_scc1 .LBB158_1297
; %bb.1295:
	s_cmp_gt_i32 s0, 6
	s_cbranch_scc0 .LBB158_1298
; %bb.1296:
	s_wait_loadcnt 0x0
	global_load_b64 v[4:5], v[6:7], off
	s_mov_b32 s40, 0
	s_wait_loadcnt 0x0
	v_cvt_f32_f64_e32 v4, v[4:5]
	s_branch .LBB158_1299
.LBB158_1297:
	s_mov_b32 s40, -1
                                        ; implicit-def: $vgpr4
	s_branch .LBB158_1302
.LBB158_1298:
	s_mov_b32 s40, -1
                                        ; implicit-def: $vgpr4
.LBB158_1299:
	s_delay_alu instid0(SALU_CYCLE_1)
	s_and_not1_b32 vcc_lo, exec_lo, s40
	s_cbranch_vccnz .LBB158_1301
; %bb.1300:
	s_wait_loadcnt 0x0
	global_load_b32 v4, v[6:7], off
.LBB158_1301:
	s_mov_b32 s40, 0
.LBB158_1302:
	s_delay_alu instid0(SALU_CYCLE_1)
	s_and_not1_b32 vcc_lo, exec_lo, s40
	s_cbranch_vccnz .LBB158_1304
; %bb.1303:
	global_load_u16 v1, v[6:7], off
	s_wait_loadcnt 0x0
	v_cvt_f32_f16_e32 v4, v1
.LBB158_1304:
	s_wait_loadcnt 0x0
	v_mov_b32_e32 v5, 0
.LBB158_1305:
	s_mov_b32 s40, 0
.LBB158_1306:
	s_delay_alu instid0(SALU_CYCLE_1)
	s_and_not1_b32 vcc_lo, exec_lo, s40
	s_cbranch_vccnz .LBB158_1327
; %bb.1307:
	s_cmp_lt_i32 s0, 2
	s_cbranch_scc1 .LBB158_1311
; %bb.1308:
	s_cmp_lt_i32 s0, 3
	s_cbranch_scc1 .LBB158_1312
; %bb.1309:
	s_cmp_gt_i32 s0, 3
	s_cbranch_scc0 .LBB158_1313
; %bb.1310:
	s_wait_loadcnt 0x0
	global_load_b64 v[4:5], v[6:7], off
	s_mov_b32 s40, 0
	s_wait_loadcnt 0x0
	v_xor_b32_e32 v1, v4, v5
	v_cls_i32_e32 v3, v5
	s_delay_alu instid0(VALU_DEP_2) | instskip(NEXT) | instid1(VALU_DEP_1)
	v_ashrrev_i32_e32 v1, 31, v1
	v_add_nc_u32_e32 v1, 32, v1
	s_delay_alu instid0(VALU_DEP_1) | instskip(NEXT) | instid1(VALU_DEP_1)
	v_add_min_u32_e64 v1, v3, -1, v1
	v_lshlrev_b64_e32 v[4:5], v1, v[4:5]
	v_sub_nc_u32_e32 v1, 32, v1
	s_delay_alu instid0(VALU_DEP_2) | instskip(NEXT) | instid1(VALU_DEP_1)
	v_min_u32_e32 v3, 1, v4
	v_or_b32_e32 v3, v5, v3
	s_delay_alu instid0(VALU_DEP_1) | instskip(NEXT) | instid1(VALU_DEP_1)
	v_cvt_f32_i32_e32 v3, v3
	v_ldexp_f32 v4, v3, v1
	s_branch .LBB158_1314
.LBB158_1311:
	s_mov_b32 s40, -1
                                        ; implicit-def: $vgpr4
	s_branch .LBB158_1320
.LBB158_1312:
	s_mov_b32 s40, -1
                                        ; implicit-def: $vgpr4
	s_branch .LBB158_1317
.LBB158_1313:
	s_mov_b32 s40, -1
                                        ; implicit-def: $vgpr4
.LBB158_1314:
	s_delay_alu instid0(SALU_CYCLE_1)
	s_and_not1_b32 vcc_lo, exec_lo, s40
	s_cbranch_vccnz .LBB158_1316
; %bb.1315:
	global_load_b32 v1, v[6:7], off
	s_wait_loadcnt 0x0
	v_cvt_f32_i32_e32 v4, v1
.LBB158_1316:
	s_mov_b32 s40, 0
.LBB158_1317:
	s_delay_alu instid0(SALU_CYCLE_1)
	s_and_not1_b32 vcc_lo, exec_lo, s40
	s_cbranch_vccnz .LBB158_1319
; %bb.1318:
	global_load_i16 v1, v[6:7], off
	s_wait_loadcnt 0x0
	v_cvt_f32_i32_e32 v4, v1
.LBB158_1319:
	s_mov_b32 s40, 0
.LBB158_1320:
	s_delay_alu instid0(SALU_CYCLE_1)
	s_and_not1_b32 vcc_lo, exec_lo, s40
	s_cbranch_vccnz .LBB158_1326
; %bb.1321:
	s_cmp_gt_i32 s0, 0
	s_mov_b32 s0, 0
	s_cbranch_scc0 .LBB158_1323
; %bb.1322:
	global_load_i8 v1, v[6:7], off
	s_wait_loadcnt 0x0
	v_cvt_f32_i32_e32 v4, v1
	s_branch .LBB158_1324
.LBB158_1323:
	s_mov_b32 s0, -1
                                        ; implicit-def: $vgpr4
.LBB158_1324:
	s_delay_alu instid0(SALU_CYCLE_1)
	s_and_not1_b32 vcc_lo, exec_lo, s0
	s_cbranch_vccnz .LBB158_1326
; %bb.1325:
	global_load_u8 v1, v[6:7], off
	s_wait_loadcnt 0x0
	v_cvt_f32_ubyte0_e32 v4, v1
.LBB158_1326:
	s_wait_loadcnt 0x0
	v_mov_b32_e32 v5, 0
.LBB158_1327:
	s_mov_b32 s41, -1
.LBB158_1328:
	s_delay_alu instid0(SALU_CYCLE_1)
	s_and_not1_b32 vcc_lo, exec_lo, s41
	s_cbranch_vccnz .LBB158_1336
; %bb.1329:
	s_wait_xcnt 0x0
	v_mul_lo_u32 v6, v34, s15
	s_and_b32 s0, 0xffff, s1
	s_delay_alu instid0(SALU_CYCLE_1) | instskip(NEXT) | instid1(VALU_DEP_1)
	s_cmp_lt_i32 s0, 11
	v_ashrrev_i32_e32 v7, 31, v6
	s_delay_alu instid0(VALU_DEP_1)
	v_add_nc_u64_e32 v[6:7], s[10:11], v[6:7]
	s_cbranch_scc1 .LBB158_1337
; %bb.1330:
	s_cmp_gt_i32 s0, 25
	s_cbranch_scc0 .LBB158_1338
; %bb.1331:
	s_cmp_gt_i32 s0, 28
	s_cbranch_scc0 .LBB158_1339
	;; [unrolled: 3-line block ×4, first 2 shown]
; %bb.1334:
	s_cmp_eq_u32 s0, 46
	s_mov_b32 s42, 0
	s_cbranch_scc0 .LBB158_1350
; %bb.1335:
	global_load_b32 v1, v[6:7], off
	s_mov_b32 s41, -1
	s_mov_b32 s40, 0
	s_wait_loadcnt 0x0
	v_and_b32_e32 v9, 0xffff0000, v1
	v_lshlrev_b32_e32 v8, 16, v1
	s_branch .LBB158_1352
.LBB158_1336:
	s_mov_b32 s42, 0
	s_mov_b32 s0, s33
	;; [unrolled: 1-line block ×3, first 2 shown]
	s_branch .LBB158_1596
.LBB158_1337:
	s_mov_b32 s42, -1
	s_mov_b32 s41, 0
	s_mov_b32 s40, s34
                                        ; implicit-def: $vgpr9
	s_branch .LBB158_1416
.LBB158_1338:
	s_mov_b32 s42, -1
	s_mov_b32 s41, 0
	s_mov_b32 s40, s34
                                        ; implicit-def: $vgpr9
	s_branch .LBB158_1381
.LBB158_1339:
	s_mov_b32 s42, -1
	s_mov_b32 s41, 0
	s_mov_b32 s40, s34
                                        ; implicit-def: $vgpr9
	s_branch .LBB158_1364
.LBB158_1340:
	s_mov_b32 s42, -1
	s_mov_b32 s41, 0
	s_mov_b32 s40, s34
                                        ; implicit-def: $vgpr9
	s_branch .LBB158_1358
.LBB158_1341:
	s_mov_b32 s41, -1
	s_mov_b32 s43, exec_lo
	v_cmpx_eq_u16_e32 0x80, v1
; %bb.1342:
	s_xor_b32 s41, exec_lo, -1
; %bb.1343:
	s_or_b32 exec_lo, exec_lo, s43
	s_delay_alu instid0(SALU_CYCLE_1)
	s_and_b32 s41, s41, exec_lo
	s_or_saveexec_b32 s42, s42
	v_mov_b32_e32 v4, 0x7f800001
	s_xor_b32 exec_lo, exec_lo, s42
	s_cbranch_execz .LBB158_1248
.LBB158_1344:
	v_cmp_ne_u16_e32 vcc_lo, 0, v1
	v_mov_b32_e32 v4, 0
	s_and_not1_b32 s41, s41, exec_lo
	s_and_b32 s43, vcc_lo, exec_lo
	s_delay_alu instid0(SALU_CYCLE_1)
	s_or_b32 s41, s41, s43
	s_or_b32 exec_lo, exec_lo, s42
	s_and_saveexec_b32 s42, s41
	s_cbranch_execnz .LBB158_1249
	s_branch .LBB158_1250
.LBB158_1345:
	s_mov_b32 s42, -1
	s_mov_b32 s41, 0
	s_mov_b32 s40, s34
	s_branch .LBB158_1351
.LBB158_1346:
	v_bfe_u32 v4, v2, 21, 1
	s_mov_b32 s35, exec_lo
	s_delay_alu instid0(VALU_DEP_1) | instskip(NEXT) | instid1(VALU_DEP_1)
	v_add3_u32 v4, v2, v4, 0x88fffff
	v_lshrrev_b32_e32 v4, 21, v4
	s_and_not1_saveexec_b32 s36, s36
	s_cbranch_execz .LBB158_448
.LBB158_1347:
	v_add_f32_e64 v4, 0x42800000, |v2|
	s_and_not1_b32 s35, s35, exec_lo
	s_delay_alu instid0(VALU_DEP_1) | instskip(NEXT) | instid1(VALU_DEP_1)
	v_and_b32_e32 v4, 0xff, v4
	v_cmp_ne_u32_e32 vcc_lo, 0, v4
	s_and_b32 s37, vcc_lo, exec_lo
	s_delay_alu instid0(SALU_CYCLE_1)
	s_or_b32 s35, s35, s37
	s_or_b32 exec_lo, exec_lo, s36
	v_mov_b32_e32 v5, 0
	s_and_saveexec_b32 s36, s35
	s_cbranch_execnz .LBB158_449
	s_branch .LBB158_450
.LBB158_1348:
	v_bfe_u32 v4, v2, 20, 1
	s_mov_b32 s39, exec_lo
	s_delay_alu instid0(VALU_DEP_1) | instskip(NEXT) | instid1(VALU_DEP_1)
	v_add3_u32 v4, v2, v4, 0x487ffff
	v_lshrrev_b32_e32 v4, 20, v4
	s_and_not1_saveexec_b32 s40, s40
	s_cbranch_execz .LBB158_970
.LBB158_1349:
	v_add_f32_e64 v4, 0x46000000, |v2|
	s_and_not1_b32 s39, s39, exec_lo
	s_delay_alu instid0(VALU_DEP_1) | instskip(NEXT) | instid1(VALU_DEP_1)
	v_and_b32_e32 v4, 0xff, v4
	v_cmp_ne_u32_e32 vcc_lo, 0, v4
	s_and_b32 s41, vcc_lo, exec_lo
	s_delay_alu instid0(SALU_CYCLE_1)
	s_or_b32 s39, s39, s41
	s_or_b32 exec_lo, exec_lo, s40
	v_mov_b32_e32 v5, 0
	s_and_saveexec_b32 s40, s39
	s_cbranch_execnz .LBB158_971
	s_branch .LBB158_972
.LBB158_1350:
	s_mov_b32 s40, -1
	s_mov_b32 s41, 0
.LBB158_1351:
                                        ; implicit-def: $vgpr9
.LBB158_1352:
	s_and_b32 vcc_lo, exec_lo, s42
	s_cbranch_vccz .LBB158_1357
; %bb.1353:
	s_cmp_eq_u32 s0, 44
	s_cbranch_scc0 .LBB158_1355
; %bb.1354:
	global_load_u8 v1, v[6:7], off
	s_mov_b32 s40, 0
	s_mov_b32 s41, -1
	s_wait_loadcnt 0x0
	v_lshlrev_b32_e32 v3, 23, v1
	v_cmp_ne_u32_e32 vcc_lo, 0xff, v1
	s_delay_alu instid0(VALU_DEP_2) | instskip(SKIP_1) | instid1(VALU_DEP_2)
	v_cndmask_b32_e32 v3, 0x7f800001, v3, vcc_lo
	v_cmp_ne_u32_e32 vcc_lo, 0, v1
	v_cndmask_b32_e32 v8, 0x400000, v3, vcc_lo
	s_branch .LBB158_1356
.LBB158_1355:
	s_mov_b32 s40, -1
                                        ; implicit-def: $vgpr8
.LBB158_1356:
	v_mov_b32_e32 v9, 0
.LBB158_1357:
	s_mov_b32 s42, 0
.LBB158_1358:
	s_delay_alu instid0(SALU_CYCLE_1)
	s_and_b32 vcc_lo, exec_lo, s42
	s_cbranch_vccz .LBB158_1363
; %bb.1359:
	s_cmp_eq_u32 s0, 29
	s_cbranch_scc0 .LBB158_1361
; %bb.1360:
	global_load_b64 v[8:9], v[6:7], off
	s_mov_b32 s41, -1
	s_mov_b32 s40, 0
	s_wait_loadcnt 0x0
	v_clz_i32_u32_e32 v1, v9
	s_delay_alu instid0(VALU_DEP_1) | instskip(NEXT) | instid1(VALU_DEP_1)
	v_min_u32_e32 v1, 32, v1
	v_lshlrev_b64_e32 v[8:9], v1, v[8:9]
	v_sub_nc_u32_e32 v1, 32, v1
	s_delay_alu instid0(VALU_DEP_2) | instskip(NEXT) | instid1(VALU_DEP_1)
	v_min_u32_e32 v3, 1, v8
	v_or_b32_e32 v3, v9, v3
	s_delay_alu instid0(VALU_DEP_1) | instskip(NEXT) | instid1(VALU_DEP_1)
	v_cvt_f32_u32_e32 v3, v3
	v_ldexp_f32 v8, v3, v1
	s_branch .LBB158_1362
.LBB158_1361:
	s_mov_b32 s40, -1
                                        ; implicit-def: $vgpr8
.LBB158_1362:
	v_mov_b32_e32 v9, 0
.LBB158_1363:
	s_mov_b32 s42, 0
.LBB158_1364:
	s_delay_alu instid0(SALU_CYCLE_1)
	s_and_b32 vcc_lo, exec_lo, s42
	s_cbranch_vccz .LBB158_1380
; %bb.1365:
	s_cmp_lt_i32 s0, 27
	s_cbranch_scc1 .LBB158_1368
; %bb.1366:
	s_cmp_gt_i32 s0, 27
	s_cbranch_scc0 .LBB158_1369
; %bb.1367:
	global_load_b32 v1, v[6:7], off
	s_mov_b32 s41, 0
	s_wait_loadcnt 0x0
	v_cvt_f32_u32_e32 v8, v1
	s_branch .LBB158_1370
.LBB158_1368:
	s_mov_b32 s41, -1
                                        ; implicit-def: $vgpr8
	s_branch .LBB158_1373
.LBB158_1369:
	s_mov_b32 s41, -1
                                        ; implicit-def: $vgpr8
.LBB158_1370:
	s_delay_alu instid0(SALU_CYCLE_1)
	s_and_not1_b32 vcc_lo, exec_lo, s41
	s_cbranch_vccnz .LBB158_1372
; %bb.1371:
	global_load_u16 v1, v[6:7], off
	s_wait_loadcnt 0x0
	v_cvt_f32_u32_e32 v8, v1
.LBB158_1372:
	s_mov_b32 s41, 0
.LBB158_1373:
	s_delay_alu instid0(SALU_CYCLE_1)
	s_and_not1_b32 vcc_lo, exec_lo, s41
	s_cbranch_vccnz .LBB158_1379
; %bb.1374:
	global_load_u8 v1, v[6:7], off
	s_mov_b32 s41, 0
	s_mov_b32 s42, exec_lo
	s_wait_loadcnt 0x0
	v_cmpx_lt_i16_e32 0x7f, v1
	s_xor_b32 s42, exec_lo, s42
	s_cbranch_execnz .LBB158_1392
; %bb.1375:
	s_or_saveexec_b32 s42, s42
	v_mov_b32_e32 v8, 0x7f800001
	s_xor_b32 exec_lo, exec_lo, s42
	s_cbranch_execnz .LBB158_1395
.LBB158_1376:
	s_or_b32 exec_lo, exec_lo, s42
	s_and_saveexec_b32 s42, s41
	s_cbranch_execz .LBB158_1378
.LBB158_1377:
	v_and_b32_e32 v3, 0xffff, v1
	s_delay_alu instid0(VALU_DEP_1) | instskip(SKIP_1) | instid1(VALU_DEP_2)
	v_and_b32_e32 v8, 7, v3
	v_bfe_u32 v11, v3, 3, 4
	v_clz_i32_u32_e32 v9, v8
	s_delay_alu instid0(VALU_DEP_2) | instskip(NEXT) | instid1(VALU_DEP_2)
	v_cmp_eq_u32_e32 vcc_lo, 0, v11
	v_min_u32_e32 v9, 32, v9
	s_delay_alu instid0(VALU_DEP_1) | instskip(NEXT) | instid1(VALU_DEP_1)
	v_subrev_nc_u32_e32 v10, 28, v9
	v_dual_lshlrev_b32 v3, v10, v3 :: v_dual_sub_nc_u32 v9, 29, v9
	s_delay_alu instid0(VALU_DEP_1) | instskip(NEXT) | instid1(VALU_DEP_1)
	v_dual_lshlrev_b32 v1, 24, v1 :: v_dual_bitop2_b32 v3, 7, v3 bitop3:0x40
	v_dual_cndmask_b32 v3, v8, v3, vcc_lo :: v_dual_cndmask_b32 v9, v11, v9, vcc_lo
	s_delay_alu instid0(VALU_DEP_2) | instskip(NEXT) | instid1(VALU_DEP_2)
	v_and_b32_e32 v1, 0x80000000, v1
	v_lshlrev_b32_e32 v3, 20, v3
	s_delay_alu instid0(VALU_DEP_3) | instskip(NEXT) | instid1(VALU_DEP_1)
	v_lshl_add_u32 v8, v9, 23, 0x3b800000
	v_or3_b32 v8, v1, v8, v3
.LBB158_1378:
	s_or_b32 exec_lo, exec_lo, s42
.LBB158_1379:
	v_mov_b32_e32 v9, 0
	s_mov_b32 s41, -1
.LBB158_1380:
	s_mov_b32 s42, 0
.LBB158_1381:
	s_delay_alu instid0(SALU_CYCLE_1)
	s_and_b32 vcc_lo, exec_lo, s42
	s_cbranch_vccz .LBB158_1415
; %bb.1382:
	s_cmp_gt_i32 s0, 22
	s_cbranch_scc0 .LBB158_1390
; %bb.1383:
	s_cmp_lt_i32 s0, 24
	s_cbranch_scc1 .LBB158_1391
; %bb.1384:
	s_cmp_gt_i32 s0, 24
	s_cbranch_scc0 .LBB158_1396
; %bb.1385:
	global_load_u8 v1, v[6:7], off
	s_mov_b32 s41, 0
	s_mov_b32 s42, exec_lo
	s_wait_loadcnt 0x0
	v_cmpx_lt_i16_e32 0x7f, v1
	s_xor_b32 s42, exec_lo, s42
	s_cbranch_execnz .LBB158_1480
; %bb.1386:
	s_or_saveexec_b32 s42, s42
	v_mov_b32_e32 v8, 0x7f800001
	s_xor_b32 exec_lo, exec_lo, s42
	s_cbranch_execnz .LBB158_1483
.LBB158_1387:
	s_or_b32 exec_lo, exec_lo, s42
	s_and_saveexec_b32 s42, s41
	s_cbranch_execz .LBB158_1389
.LBB158_1388:
	v_and_b32_e32 v3, 0xffff, v1
	s_delay_alu instid0(VALU_DEP_1) | instskip(SKIP_1) | instid1(VALU_DEP_2)
	v_and_b32_e32 v8, 3, v3
	v_bfe_u32 v11, v3, 2, 5
	v_clz_i32_u32_e32 v9, v8
	s_delay_alu instid0(VALU_DEP_2) | instskip(NEXT) | instid1(VALU_DEP_2)
	v_cmp_eq_u32_e32 vcc_lo, 0, v11
	v_min_u32_e32 v9, 32, v9
	s_delay_alu instid0(VALU_DEP_1) | instskip(NEXT) | instid1(VALU_DEP_1)
	v_subrev_nc_u32_e32 v10, 29, v9
	v_dual_lshlrev_b32 v3, v10, v3 :: v_dual_sub_nc_u32 v9, 30, v9
	s_delay_alu instid0(VALU_DEP_1) | instskip(NEXT) | instid1(VALU_DEP_1)
	v_dual_lshlrev_b32 v1, 24, v1 :: v_dual_bitop2_b32 v3, 3, v3 bitop3:0x40
	v_dual_cndmask_b32 v3, v8, v3, vcc_lo :: v_dual_cndmask_b32 v9, v11, v9, vcc_lo
	s_delay_alu instid0(VALU_DEP_2) | instskip(NEXT) | instid1(VALU_DEP_2)
	v_and_b32_e32 v1, 0x80000000, v1
	v_lshlrev_b32_e32 v3, 21, v3
	s_delay_alu instid0(VALU_DEP_3) | instskip(NEXT) | instid1(VALU_DEP_1)
	v_lshl_add_u32 v8, v9, 23, 0x37800000
	v_or3_b32 v8, v1, v8, v3
.LBB158_1389:
	s_or_b32 exec_lo, exec_lo, s42
	s_mov_b32 s41, 0
	s_branch .LBB158_1397
.LBB158_1390:
	s_mov_b32 s42, -1
                                        ; implicit-def: $vgpr8
	s_branch .LBB158_1403
.LBB158_1391:
	s_mov_b32 s41, -1
                                        ; implicit-def: $vgpr8
	s_branch .LBB158_1400
.LBB158_1392:
	s_mov_b32 s41, -1
	s_mov_b32 s43, exec_lo
	v_cmpx_eq_u16_e32 0x80, v1
; %bb.1393:
	s_xor_b32 s41, exec_lo, -1
; %bb.1394:
	s_or_b32 exec_lo, exec_lo, s43
	s_delay_alu instid0(SALU_CYCLE_1)
	s_and_b32 s41, s41, exec_lo
	s_or_saveexec_b32 s42, s42
	v_mov_b32_e32 v8, 0x7f800001
	s_xor_b32 exec_lo, exec_lo, s42
	s_cbranch_execz .LBB158_1376
.LBB158_1395:
	v_cmp_ne_u16_e32 vcc_lo, 0, v1
	v_mov_b32_e32 v8, 0
	s_and_not1_b32 s41, s41, exec_lo
	s_and_b32 s43, vcc_lo, exec_lo
	s_delay_alu instid0(SALU_CYCLE_1)
	s_or_b32 s41, s41, s43
	s_or_b32 exec_lo, exec_lo, s42
	s_and_saveexec_b32 s42, s41
	s_cbranch_execnz .LBB158_1377
	s_branch .LBB158_1378
.LBB158_1396:
	s_mov_b32 s41, -1
                                        ; implicit-def: $vgpr8
.LBB158_1397:
	s_delay_alu instid0(SALU_CYCLE_1)
	s_and_b32 vcc_lo, exec_lo, s41
	s_cbranch_vccz .LBB158_1399
; %bb.1398:
	global_load_u8 v1, v[6:7], off
	s_wait_loadcnt 0x0
	v_lshlrev_b32_e32 v1, 24, v1
	s_delay_alu instid0(VALU_DEP_1) | instskip(NEXT) | instid1(VALU_DEP_1)
	v_and_b32_e32 v3, 0x7f000000, v1
	v_clz_i32_u32_e32 v8, v3
	v_cmp_ne_u32_e32 vcc_lo, 0, v3
	v_add_nc_u32_e32 v10, 0x1000000, v3
	s_delay_alu instid0(VALU_DEP_3) | instskip(NEXT) | instid1(VALU_DEP_1)
	v_min_u32_e32 v8, 32, v8
	v_sub_nc_u32_e64 v8, v8, 4 clamp
	s_delay_alu instid0(VALU_DEP_1) | instskip(NEXT) | instid1(VALU_DEP_1)
	v_dual_lshlrev_b32 v9, v8, v3 :: v_dual_lshlrev_b32 v8, 23, v8
	v_lshrrev_b32_e32 v9, 4, v9
	s_delay_alu instid0(VALU_DEP_1) | instskip(NEXT) | instid1(VALU_DEP_1)
	v_dual_sub_nc_u32 v8, v9, v8 :: v_dual_ashrrev_i32 v9, 8, v10
	v_add_nc_u32_e32 v8, 0x3c000000, v8
	s_delay_alu instid0(VALU_DEP_1) | instskip(NEXT) | instid1(VALU_DEP_1)
	v_and_or_b32 v8, 0x7f800000, v9, v8
	v_cndmask_b32_e32 v3, 0, v8, vcc_lo
	s_delay_alu instid0(VALU_DEP_1)
	v_and_or_b32 v8, 0x80000000, v1, v3
.LBB158_1399:
	s_mov_b32 s41, 0
.LBB158_1400:
	s_delay_alu instid0(SALU_CYCLE_1)
	s_and_not1_b32 vcc_lo, exec_lo, s41
	s_cbranch_vccnz .LBB158_1402
; %bb.1401:
	global_load_u8 v1, v[6:7], off
	s_wait_loadcnt 0x0
	v_lshlrev_b32_e32 v3, 25, v1
	v_lshlrev_b16 v1, 8, v1
	s_delay_alu instid0(VALU_DEP_1) | instskip(NEXT) | instid1(VALU_DEP_3)
	v_and_or_b32 v9, 0x7f00, v1, 0.5
	v_lshrrev_b32_e32 v8, 4, v3
	v_bfe_i32 v1, v1, 0, 16
	s_delay_alu instid0(VALU_DEP_3) | instskip(NEXT) | instid1(VALU_DEP_3)
	v_add_f32_e32 v9, -0.5, v9
	v_or_b32_e32 v8, 0x70000000, v8
	s_delay_alu instid0(VALU_DEP_1) | instskip(SKIP_1) | instid1(VALU_DEP_2)
	v_mul_f32_e32 v8, 0x7800000, v8
	v_cmp_gt_u32_e32 vcc_lo, 0x8000000, v3
	v_cndmask_b32_e32 v3, v8, v9, vcc_lo
	s_delay_alu instid0(VALU_DEP_1)
	v_and_or_b32 v8, 0x80000000, v1, v3
.LBB158_1402:
	s_mov_b32 s42, 0
	s_mov_b32 s41, -1
.LBB158_1403:
	s_and_not1_b32 vcc_lo, exec_lo, s42
	s_cbranch_vccnz .LBB158_1414
; %bb.1404:
	s_cmp_gt_i32 s0, 14
	s_cbranch_scc0 .LBB158_1407
; %bb.1405:
	s_cmp_eq_u32 s0, 15
	s_cbranch_scc0 .LBB158_1408
; %bb.1406:
	global_load_u16 v1, v[6:7], off
	s_mov_b32 s41, -1
	s_mov_b32 s40, 0
	s_wait_loadcnt 0x0
	v_lshlrev_b32_e32 v8, 16, v1
	s_branch .LBB158_1409
.LBB158_1407:
	s_mov_b32 s42, -1
                                        ; implicit-def: $vgpr8
	s_branch .LBB158_1410
.LBB158_1408:
	s_mov_b32 s40, -1
                                        ; implicit-def: $vgpr8
.LBB158_1409:
	s_mov_b32 s42, 0
.LBB158_1410:
	s_delay_alu instid0(SALU_CYCLE_1)
	s_and_b32 vcc_lo, exec_lo, s42
	s_cbranch_vccz .LBB158_1414
; %bb.1411:
	s_cmp_eq_u32 s0, 11
	s_cbranch_scc0 .LBB158_1413
; %bb.1412:
	global_load_u8 v1, v[6:7], off
	s_mov_b32 s40, 0
	s_mov_b32 s41, -1
	v_mov_b32_e32 v9, 0
	s_wait_loadcnt 0x0
	v_cmp_ne_u16_e32 vcc_lo, 0, v1
	v_cndmask_b32_e64 v8, 0, 1.0, vcc_lo
	s_branch .LBB158_1415
.LBB158_1413:
	s_mov_b32 s40, -1
                                        ; implicit-def: $vgpr8
.LBB158_1414:
	v_mov_b32_e32 v9, 0
.LBB158_1415:
	s_mov_b32 s42, 0
.LBB158_1416:
	s_delay_alu instid0(SALU_CYCLE_1)
	s_and_b32 vcc_lo, exec_lo, s42
	s_cbranch_vccz .LBB158_1467
; %bb.1417:
	s_cmp_lt_i32 s0, 5
	s_cbranch_scc1 .LBB158_1422
; %bb.1418:
	s_cmp_lt_i32 s0, 8
	s_cbranch_scc1 .LBB158_1423
; %bb.1419:
	s_cmp_lt_i32 s0, 9
	s_cbranch_scc1 .LBB158_1424
; %bb.1420:
	s_cmp_gt_i32 s0, 9
	s_cbranch_scc0 .LBB158_1425
; %bb.1421:
	global_load_b128 v[8:11], v[6:7], off
	s_mov_b32 s41, 0
	s_wait_loadcnt 0x0
	v_cvt_f32_f64_e32 v8, v[8:9]
	v_cvt_f32_f64_e32 v9, v[10:11]
	s_branch .LBB158_1426
.LBB158_1422:
	s_mov_b32 s41, -1
                                        ; implicit-def: $vgpr9
	s_branch .LBB158_1445
.LBB158_1423:
	s_mov_b32 s41, -1
                                        ; implicit-def: $vgpr9
	s_branch .LBB158_1432
.LBB158_1424:
	s_mov_b32 s41, -1
                                        ; implicit-def: $vgpr9
	s_branch .LBB158_1429
.LBB158_1425:
	s_mov_b32 s41, -1
                                        ; implicit-def: $vgpr9
.LBB158_1426:
	s_delay_alu instid0(SALU_CYCLE_1)
	s_and_not1_b32 vcc_lo, exec_lo, s41
	s_cbranch_vccnz .LBB158_1428
; %bb.1427:
	global_load_b64 v[8:9], v[6:7], off
.LBB158_1428:
	s_mov_b32 s41, 0
.LBB158_1429:
	s_delay_alu instid0(SALU_CYCLE_1)
	s_and_not1_b32 vcc_lo, exec_lo, s41
	s_cbranch_vccnz .LBB158_1431
; %bb.1430:
	global_load_b32 v1, v[6:7], off
	s_wait_loadcnt 0x0
	v_lshrrev_b32_e32 v3, 16, v1
	v_cvt_f32_f16_e32 v8, v1
	s_delay_alu instid0(VALU_DEP_2)
	v_cvt_f32_f16_e32 v9, v3
.LBB158_1431:
	s_mov_b32 s41, 0
.LBB158_1432:
	s_delay_alu instid0(SALU_CYCLE_1)
	s_and_not1_b32 vcc_lo, exec_lo, s41
	s_cbranch_vccnz .LBB158_1444
; %bb.1433:
	s_cmp_lt_i32 s0, 6
	s_cbranch_scc1 .LBB158_1436
; %bb.1434:
	s_cmp_gt_i32 s0, 6
	s_cbranch_scc0 .LBB158_1437
; %bb.1435:
	s_wait_loadcnt 0x0
	global_load_b64 v[8:9], v[6:7], off
	s_mov_b32 s41, 0
	s_wait_loadcnt 0x0
	v_cvt_f32_f64_e32 v8, v[8:9]
	s_branch .LBB158_1438
.LBB158_1436:
	s_mov_b32 s41, -1
                                        ; implicit-def: $vgpr8
	s_branch .LBB158_1441
.LBB158_1437:
	s_mov_b32 s41, -1
                                        ; implicit-def: $vgpr8
.LBB158_1438:
	s_delay_alu instid0(SALU_CYCLE_1)
	s_and_not1_b32 vcc_lo, exec_lo, s41
	s_cbranch_vccnz .LBB158_1440
; %bb.1439:
	s_wait_loadcnt 0x0
	global_load_b32 v8, v[6:7], off
.LBB158_1440:
	s_mov_b32 s41, 0
.LBB158_1441:
	s_delay_alu instid0(SALU_CYCLE_1)
	s_and_not1_b32 vcc_lo, exec_lo, s41
	s_cbranch_vccnz .LBB158_1443
; %bb.1442:
	global_load_u16 v1, v[6:7], off
	s_wait_loadcnt 0x0
	v_cvt_f32_f16_e32 v8, v1
.LBB158_1443:
	s_wait_loadcnt 0x0
	v_mov_b32_e32 v9, 0
.LBB158_1444:
	s_mov_b32 s41, 0
.LBB158_1445:
	s_delay_alu instid0(SALU_CYCLE_1)
	s_and_not1_b32 vcc_lo, exec_lo, s41
	s_cbranch_vccnz .LBB158_1466
; %bb.1446:
	s_cmp_lt_i32 s0, 2
	s_cbranch_scc1 .LBB158_1450
; %bb.1447:
	s_cmp_lt_i32 s0, 3
	s_cbranch_scc1 .LBB158_1451
; %bb.1448:
	s_cmp_gt_i32 s0, 3
	s_cbranch_scc0 .LBB158_1452
; %bb.1449:
	s_wait_loadcnt 0x0
	global_load_b64 v[8:9], v[6:7], off
	s_mov_b32 s41, 0
	s_wait_loadcnt 0x0
	v_xor_b32_e32 v1, v8, v9
	v_cls_i32_e32 v3, v9
	s_delay_alu instid0(VALU_DEP_2) | instskip(NEXT) | instid1(VALU_DEP_1)
	v_ashrrev_i32_e32 v1, 31, v1
	v_add_nc_u32_e32 v1, 32, v1
	s_delay_alu instid0(VALU_DEP_1) | instskip(NEXT) | instid1(VALU_DEP_1)
	v_add_min_u32_e64 v1, v3, -1, v1
	v_lshlrev_b64_e32 v[8:9], v1, v[8:9]
	v_sub_nc_u32_e32 v1, 32, v1
	s_delay_alu instid0(VALU_DEP_2) | instskip(NEXT) | instid1(VALU_DEP_1)
	v_min_u32_e32 v3, 1, v8
	v_or_b32_e32 v3, v9, v3
	s_delay_alu instid0(VALU_DEP_1) | instskip(NEXT) | instid1(VALU_DEP_1)
	v_cvt_f32_i32_e32 v3, v3
	v_ldexp_f32 v8, v3, v1
	s_branch .LBB158_1453
.LBB158_1450:
	s_mov_b32 s41, -1
                                        ; implicit-def: $vgpr8
	s_branch .LBB158_1459
.LBB158_1451:
	s_mov_b32 s41, -1
                                        ; implicit-def: $vgpr8
	s_branch .LBB158_1456
.LBB158_1452:
	s_mov_b32 s41, -1
                                        ; implicit-def: $vgpr8
.LBB158_1453:
	s_delay_alu instid0(SALU_CYCLE_1)
	s_and_not1_b32 vcc_lo, exec_lo, s41
	s_cbranch_vccnz .LBB158_1455
; %bb.1454:
	global_load_b32 v1, v[6:7], off
	s_wait_loadcnt 0x0
	v_cvt_f32_i32_e32 v8, v1
.LBB158_1455:
	s_mov_b32 s41, 0
.LBB158_1456:
	s_delay_alu instid0(SALU_CYCLE_1)
	s_and_not1_b32 vcc_lo, exec_lo, s41
	s_cbranch_vccnz .LBB158_1458
; %bb.1457:
	global_load_i16 v1, v[6:7], off
	s_wait_loadcnt 0x0
	v_cvt_f32_i32_e32 v8, v1
.LBB158_1458:
	s_mov_b32 s41, 0
.LBB158_1459:
	s_delay_alu instid0(SALU_CYCLE_1)
	s_and_not1_b32 vcc_lo, exec_lo, s41
	s_cbranch_vccnz .LBB158_1465
; %bb.1460:
	s_cmp_gt_i32 s0, 0
	s_mov_b32 s0, 0
	s_cbranch_scc0 .LBB158_1462
; %bb.1461:
	global_load_i8 v1, v[6:7], off
	s_wait_loadcnt 0x0
	v_cvt_f32_i32_e32 v8, v1
	s_branch .LBB158_1463
.LBB158_1462:
	s_mov_b32 s0, -1
                                        ; implicit-def: $vgpr8
.LBB158_1463:
	s_delay_alu instid0(SALU_CYCLE_1)
	s_and_not1_b32 vcc_lo, exec_lo, s0
	s_cbranch_vccnz .LBB158_1465
; %bb.1464:
	global_load_u8 v1, v[6:7], off
	s_wait_loadcnt 0x0
	v_cvt_f32_ubyte0_e32 v8, v1
.LBB158_1465:
	s_wait_loadcnt 0x0
	v_mov_b32_e32 v9, 0
.LBB158_1466:
	s_mov_b32 s41, -1
.LBB158_1467:
	s_delay_alu instid0(SALU_CYCLE_1)
	s_and_not1_b32 vcc_lo, exec_lo, s41
	s_cbranch_vccnz .LBB158_1475
; %bb.1468:
	s_wait_xcnt 0x0
	v_mov_b64_e32 v[6:7], s[2:3]
	v_mov_b64_e32 v[12:13], s[16:17]
	s_wait_loadcnt 0x0
	s_delay_alu instid0(VALU_DEP_3) | instskip(SKIP_1) | instid1(SALU_CYCLE_1)
	v_dual_mov_b32 v14, v9 :: v_dual_mov_b32 v15, v8
	s_and_b32 s41, s20, 0xff
	s_cmp_lt_i32 s41, 11
	s_delay_alu instid0(VALU_DEP_3) | instskip(SKIP_2) | instid1(VALU_DEP_3)
	v_pk_mul_f32 v[10:11], v[4:5], v[6:7]
	v_pk_mul_f32 v[4:5], v[4:5], v[6:7] op_sel:[0,1] op_sel_hi:[1,0]
	v_pk_mul_f32 v[2:3], v[2:3], v[12:13] op_sel:[0,1] op_sel_hi:[0,0]
	v_add_f32_e32 v6, v10, v11
	v_mul_lo_u32 v10, v34, s12
	s_delay_alu instid0(VALU_DEP_4) | instskip(NEXT) | instid1(VALU_DEP_2)
	v_pk_add_f32 v[4:5], v[4:5], v[4:5] op_sel:[0,1] op_sel_hi:[0,1] neg_lo:[0,1] neg_hi:[0,1]
	v_ashrrev_i32_e32 v11, 31, v10
	s_delay_alu instid0(VALU_DEP_4) | instskip(SKIP_2) | instid1(VALU_DEP_4)
	v_pk_mul_f32 v[6:7], v[6:7], v[14:15] op_sel_hi:[0,1]
	v_pk_fma_f32 v[14:15], v[0:1], v[12:13], v[2:3] op_sel_hi:[0,1,1]
	v_pk_fma_f32 v[2:3], v[0:1], v[12:13], v[2:3] op_sel_hi:[0,1,1] neg_lo:[0,0,1] neg_hi:[0,0,1]
	v_add_nc_u64_e32 v[0:1], s[4:5], v[10:11]
	s_delay_alu instid0(VALU_DEP_4) | instskip(SKIP_1) | instid1(VALU_DEP_2)
	v_pk_fma_f32 v[16:17], v[4:5], v[8:9], v[6:7]
	v_pk_fma_f32 v[4:5], v[4:5], v[8:9], v[6:7] neg_lo:[0,0,1] neg_hi:[0,0,1]
	v_dual_mov_b32 v3, v15 :: v_dual_mov_b32 v5, v17
	s_delay_alu instid0(VALU_DEP_1)
	v_pk_add_f32 v[2:3], v[2:3], v[4:5]
	s_cbranch_scc1 .LBB158_1476
; %bb.1469:
	s_and_b32 s42, 0xffff, s41
	s_delay_alu instid0(SALU_CYCLE_1)
	s_cmp_gt_i32 s42, 25
	s_cbranch_scc0 .LBB158_1477
; %bb.1470:
	s_cmp_gt_i32 s42, 28
	s_cbranch_scc0 .LBB158_1478
; %bb.1471:
	;; [unrolled: 3-line block ×4, first 2 shown]
	s_mov_b32 s44, 0
	s_mov_b32 s0, -1
	s_cmp_eq_u32 s42, 46
	s_mov_b32 s43, 0
	s_cbranch_scc0 .LBB158_1485
; %bb.1474:
	v_dual_lshrrev_b32 v4, 16, v2 :: v_dual_lshrrev_b32 v5, 16, v3
	v_cmp_o_f32_e32 vcc_lo, v2, v2
	s_mov_b32 s43, -1
	s_mov_b32 s0, 0
	s_delay_alu instid0(VALU_DEP_2) | instskip(NEXT) | instid1(VALU_DEP_1)
	v_and_b32_e32 v4, 1, v4
	v_add3_u32 v4, v2, v4, 0x7fff
	s_delay_alu instid0(VALU_DEP_1) | instskip(NEXT) | instid1(VALU_DEP_1)
	v_dual_lshrrev_b32 v4, 16, v4 :: v_dual_bitop2_b32 v5, 1, v5 bitop3:0x40
	v_add3_u32 v5, v3, v5, 0x7fff
	s_delay_alu instid0(VALU_DEP_2) | instskip(NEXT) | instid1(VALU_DEP_2)
	v_cndmask_b32_e32 v4, 0x7fc0, v4, vcc_lo
	v_and_b32_e32 v5, 0xffff0000, v5
	v_cmp_o_f32_e32 vcc_lo, v3, v3
	s_delay_alu instid0(VALU_DEP_2) | instskip(NEXT) | instid1(VALU_DEP_1)
	v_cndmask_b32_e32 v5, 0x7fc00000, v5, vcc_lo
	v_or_b32_e32 v4, v5, v4
	global_store_b32 v[0:1], v4, off
	s_branch .LBB158_1485
.LBB158_1475:
	s_mov_b32 s42, 0
	s_mov_b32 s0, s33
	s_branch .LBB158_1596
.LBB158_1476:
	s_mov_b32 s42, -1
	s_mov_b32 s43, 0
	s_mov_b32 s0, s33
	s_branch .LBB158_1554
.LBB158_1477:
	s_mov_b32 s44, -1
	s_mov_b32 s43, 0
	s_mov_b32 s0, s33
	s_branch .LBB158_1512
.LBB158_1478:
	s_mov_b32 s44, -1
	s_mov_b32 s43, 0
	s_mov_b32 s0, s33
	s_branch .LBB158_1495
.LBB158_1479:
	s_mov_b32 s44, -1
	s_mov_b32 s43, 0
	s_mov_b32 s0, s33
	s_branch .LBB158_1491
.LBB158_1480:
	s_mov_b32 s41, -1
	s_mov_b32 s43, exec_lo
	v_cmpx_eq_u16_e32 0x80, v1
; %bb.1481:
	s_xor_b32 s41, exec_lo, -1
; %bb.1482:
	s_or_b32 exec_lo, exec_lo, s43
	s_delay_alu instid0(SALU_CYCLE_1)
	s_and_b32 s41, s41, exec_lo
	s_or_saveexec_b32 s42, s42
	v_mov_b32_e32 v8, 0x7f800001
	s_xor_b32 exec_lo, exec_lo, s42
	s_cbranch_execz .LBB158_1387
.LBB158_1483:
	v_cmp_ne_u16_e32 vcc_lo, 0, v1
	v_mov_b32_e32 v8, 0
	s_and_not1_b32 s41, s41, exec_lo
	s_and_b32 s43, vcc_lo, exec_lo
	s_delay_alu instid0(SALU_CYCLE_1)
	s_or_b32 s41, s41, s43
	s_or_b32 exec_lo, exec_lo, s42
	s_and_saveexec_b32 s42, s41
	s_cbranch_execnz .LBB158_1388
	s_branch .LBB158_1389
.LBB158_1484:
	s_mov_b32 s44, -1
	s_mov_b32 s43, 0
	s_mov_b32 s0, s33
.LBB158_1485:
	s_and_b32 vcc_lo, exec_lo, s44
	s_cbranch_vccz .LBB158_1490
; %bb.1486:
	s_cmp_eq_u32 s42, 44
	s_mov_b32 s0, -1
	s_cbranch_scc0 .LBB158_1490
; %bb.1487:
	v_bfe_u32 v5, v2, 23, 8
	s_wait_xcnt 0x0
	v_mov_b32_e32 v4, 0xff
	s_mov_b32 s43, exec_lo
	s_delay_alu instid0(VALU_DEP_2)
	v_cmpx_ne_u32_e32 0xff, v5
	s_cbranch_execz .LBB158_1489
; %bb.1488:
	v_and_b32_e32 v4, 0x400000, v2
	v_and_or_b32 v5, 0x3fffff, v2, v5
	s_delay_alu instid0(VALU_DEP_2) | instskip(NEXT) | instid1(VALU_DEP_2)
	v_cmp_ne_u32_e32 vcc_lo, 0, v4
	v_cmp_ne_u32_e64 s0, 0, v5
	v_lshrrev_b32_e32 v4, 23, v2
	s_and_b32 s0, vcc_lo, s0
	s_delay_alu instid0(SALU_CYCLE_1) | instskip(NEXT) | instid1(VALU_DEP_1)
	v_cndmask_b32_e64 v5, 0, 1, s0
	v_add_nc_u32_e32 v4, v4, v5
.LBB158_1489:
	s_or_b32 exec_lo, exec_lo, s43
	s_mov_b32 s43, -1
	s_mov_b32 s0, 0
	global_store_b8 v[0:1], v4, off
.LBB158_1490:
	s_mov_b32 s44, 0
.LBB158_1491:
	s_delay_alu instid0(SALU_CYCLE_1)
	s_and_b32 vcc_lo, exec_lo, s44
	s_cbranch_vccz .LBB158_1494
; %bb.1492:
	s_cmp_eq_u32 s42, 29
	s_mov_b32 s0, -1
	s_cbranch_scc0 .LBB158_1494
; %bb.1493:
	s_wait_xcnt 0x0
	v_trunc_f32_e32 v4, v2
	s_mov_b32 s43, -1
	s_mov_b32 s0, 0
	s_mov_b32 s44, 0
	s_delay_alu instid0(VALU_DEP_1) | instskip(NEXT) | instid1(VALU_DEP_1)
	v_mul_f32_e32 v5, 0x2f800000, v4
	v_floor_f32_e32 v5, v5
	s_delay_alu instid0(VALU_DEP_1) | instskip(SKIP_1) | instid1(VALU_DEP_2)
	v_fmamk_f32 v4, v5, 0xcf800000, v4
	v_cvt_u32_f32_e32 v5, v5
	v_cvt_u32_f32_e32 v4, v4
	global_store_b64 v[0:1], v[4:5], off
	s_branch .LBB158_1495
.LBB158_1494:
	s_mov_b32 s44, 0
.LBB158_1495:
	s_delay_alu instid0(SALU_CYCLE_1)
	s_and_b32 vcc_lo, exec_lo, s44
	s_cbranch_vccz .LBB158_1511
; %bb.1496:
	s_cmp_lt_i32 s42, 27
	s_mov_b32 s43, -1
	s_cbranch_scc1 .LBB158_1502
; %bb.1497:
	s_wait_xcnt 0x0
	v_cvt_u32_f32_e32 v4, v2
	s_cmp_gt_i32 s42, 27
	s_cbranch_scc0 .LBB158_1499
; %bb.1498:
	s_mov_b32 s43, 0
	global_store_b32 v[0:1], v4, off
.LBB158_1499:
	s_and_not1_b32 vcc_lo, exec_lo, s43
	s_cbranch_vccnz .LBB158_1501
; %bb.1500:
	global_store_b16 v[0:1], v4, off
.LBB158_1501:
	s_mov_b32 s43, 0
.LBB158_1502:
	s_delay_alu instid0(SALU_CYCLE_1)
	s_and_not1_b32 vcc_lo, exec_lo, s43
	s_cbranch_vccnz .LBB158_1510
; %bb.1503:
	s_wait_xcnt 0x0
	v_and_b32_e32 v4, 0x7fffffff, v2
	v_mov_b32_e32 v5, 0x80
	s_mov_b32 s43, exec_lo
	s_delay_alu instid0(VALU_DEP_2)
	v_cmpx_gt_u32_e32 0x43800000, v4
	s_cbranch_execz .LBB158_1509
; %bb.1504:
	v_cmp_lt_u32_e32 vcc_lo, 0x3bffffff, v4
	s_mov_b32 s44, 0
                                        ; implicit-def: $vgpr4
	s_and_saveexec_b32 s45, vcc_lo
	s_delay_alu instid0(SALU_CYCLE_1)
	s_xor_b32 s45, exec_lo, s45
	s_cbranch_execnz .LBB158_2944
; %bb.1505:
	s_and_not1_saveexec_b32 s45, s45
	s_cbranch_execnz .LBB158_2945
.LBB158_1506:
	s_or_b32 exec_lo, exec_lo, s45
	v_mov_b32_e32 v5, 0
	s_and_saveexec_b32 s45, s44
.LBB158_1507:
	v_lshrrev_b32_e32 v5, 24, v2
	s_delay_alu instid0(VALU_DEP_1)
	v_and_or_b32 v5, 0x80, v5, v4
.LBB158_1508:
	s_or_b32 exec_lo, exec_lo, s45
.LBB158_1509:
	s_delay_alu instid0(SALU_CYCLE_1)
	s_or_b32 exec_lo, exec_lo, s43
	global_store_b8 v[0:1], v5, off
.LBB158_1510:
	s_mov_b32 s43, -1
.LBB158_1511:
	s_mov_b32 s44, 0
.LBB158_1512:
	s_delay_alu instid0(SALU_CYCLE_1)
	s_and_b32 vcc_lo, exec_lo, s44
	s_cbranch_vccz .LBB158_1553
; %bb.1513:
	s_cmp_gt_i32 s42, 22
	s_mov_b32 s44, -1
	s_cbranch_scc0 .LBB158_1545
; %bb.1514:
	s_cmp_lt_i32 s42, 24
	s_mov_b32 s43, -1
	s_cbranch_scc1 .LBB158_1534
; %bb.1515:
	s_cmp_gt_i32 s42, 24
	s_cbranch_scc0 .LBB158_1523
; %bb.1516:
	s_wait_xcnt 0x0
	v_and_b32_e32 v4, 0x7fffffff, v2
	v_mov_b32_e32 v5, 0x80
	s_mov_b32 s43, exec_lo
	s_delay_alu instid0(VALU_DEP_2)
	v_cmpx_gt_u32_e32 0x47800000, v4
	s_cbranch_execz .LBB158_1522
; %bb.1517:
	v_cmp_lt_u32_e32 vcc_lo, 0x37ffffff, v4
	s_mov_b32 s44, 0
                                        ; implicit-def: $vgpr4
	s_and_saveexec_b32 s45, vcc_lo
	s_delay_alu instid0(SALU_CYCLE_1)
	s_xor_b32 s45, exec_lo, s45
	s_cbranch_execnz .LBB158_3082
; %bb.1518:
	s_and_not1_saveexec_b32 s45, s45
	s_cbranch_execnz .LBB158_3083
.LBB158_1519:
	s_or_b32 exec_lo, exec_lo, s45
	v_mov_b32_e32 v5, 0
	s_and_saveexec_b32 s45, s44
.LBB158_1520:
	v_lshrrev_b32_e32 v5, 24, v2
	s_delay_alu instid0(VALU_DEP_1)
	v_and_or_b32 v5, 0x80, v5, v4
.LBB158_1521:
	s_or_b32 exec_lo, exec_lo, s45
.LBB158_1522:
	s_delay_alu instid0(SALU_CYCLE_1)
	s_or_b32 exec_lo, exec_lo, s43
	s_mov_b32 s43, 0
	global_store_b8 v[0:1], v5, off
.LBB158_1523:
	s_and_b32 vcc_lo, exec_lo, s43
	s_cbranch_vccz .LBB158_1533
; %bb.1524:
	s_wait_xcnt 0x0
	v_and_b32_e32 v5, 0x7fffffff, v2
	s_mov_b32 s43, exec_lo
                                        ; implicit-def: $vgpr4
	s_delay_alu instid0(VALU_DEP_1)
	v_cmpx_gt_u32_e32 0x43f00000, v5
	s_xor_b32 s43, exec_lo, s43
	s_cbranch_execz .LBB158_1530
; %bb.1525:
	s_mov_b32 s44, exec_lo
                                        ; implicit-def: $vgpr4
	v_cmpx_lt_u32_e32 0x3c7fffff, v5
	s_xor_b32 s44, exec_lo, s44
; %bb.1526:
	v_bfe_u32 v4, v2, 20, 1
	s_delay_alu instid0(VALU_DEP_1) | instskip(NEXT) | instid1(VALU_DEP_1)
	v_add3_u32 v4, v2, v4, 0x407ffff
	v_and_b32_e32 v5, 0xff00000, v4
	v_lshrrev_b32_e32 v4, 20, v4
	s_delay_alu instid0(VALU_DEP_2) | instskip(NEXT) | instid1(VALU_DEP_2)
	v_cmp_ne_u32_e32 vcc_lo, 0x7f00000, v5
	v_cndmask_b32_e32 v4, 0x7e, v4, vcc_lo
; %bb.1527:
	s_and_not1_saveexec_b32 s44, s44
; %bb.1528:
	v_add_f32_e64 v4, 0x46800000, |v2|
; %bb.1529:
	s_or_b32 exec_lo, exec_lo, s44
                                        ; implicit-def: $vgpr5
.LBB158_1530:
	s_and_not1_saveexec_b32 s43, s43
; %bb.1531:
	v_mov_b32_e32 v4, 0x7f
	v_cmp_lt_u32_e32 vcc_lo, 0x7f800000, v5
	s_delay_alu instid0(VALU_DEP_2)
	v_cndmask_b32_e32 v4, 0x7e, v4, vcc_lo
; %bb.1532:
	s_or_b32 exec_lo, exec_lo, s43
	v_lshrrev_b32_e32 v5, 24, v2
	s_delay_alu instid0(VALU_DEP_1)
	v_and_or_b32 v4, 0x80, v5, v4
	global_store_b8 v[0:1], v4, off
.LBB158_1533:
	s_mov_b32 s43, 0
.LBB158_1534:
	s_delay_alu instid0(SALU_CYCLE_1)
	s_and_not1_b32 vcc_lo, exec_lo, s43
	s_cbranch_vccnz .LBB158_1544
; %bb.1535:
	s_wait_xcnt 0x0
	v_and_b32_e32 v5, 0x7fffffff, v2
	s_mov_b32 s43, exec_lo
                                        ; implicit-def: $vgpr4
	s_delay_alu instid0(VALU_DEP_1)
	v_cmpx_gt_u32_e32 0x47800000, v5
	s_xor_b32 s43, exec_lo, s43
	s_cbranch_execz .LBB158_1541
; %bb.1536:
	s_mov_b32 s44, exec_lo
                                        ; implicit-def: $vgpr4
	v_cmpx_lt_u32_e32 0x387fffff, v5
	s_xor_b32 s44, exec_lo, s44
; %bb.1537:
	v_bfe_u32 v4, v2, 21, 1
	s_delay_alu instid0(VALU_DEP_1) | instskip(NEXT) | instid1(VALU_DEP_1)
	v_add3_u32 v4, v2, v4, 0x80fffff
	v_lshrrev_b32_e32 v4, 21, v4
; %bb.1538:
	s_and_not1_saveexec_b32 s44, s44
; %bb.1539:
	v_add_f32_e64 v4, 0x43000000, |v2|
; %bb.1540:
	s_or_b32 exec_lo, exec_lo, s44
                                        ; implicit-def: $vgpr5
.LBB158_1541:
	s_and_not1_saveexec_b32 s43, s43
; %bb.1542:
	v_mov_b32_e32 v4, 0x7f
	v_cmp_lt_u32_e32 vcc_lo, 0x7f800000, v5
	s_delay_alu instid0(VALU_DEP_2)
	v_cndmask_b32_e32 v4, 0x7c, v4, vcc_lo
; %bb.1543:
	s_or_b32 exec_lo, exec_lo, s43
	v_lshrrev_b32_e32 v5, 24, v2
	s_delay_alu instid0(VALU_DEP_1)
	v_and_or_b32 v4, 0x80, v5, v4
	global_store_b8 v[0:1], v4, off
.LBB158_1544:
	s_mov_b32 s44, 0
	s_mov_b32 s43, -1
.LBB158_1545:
	s_and_not1_b32 vcc_lo, exec_lo, s44
	s_cbranch_vccnz .LBB158_1553
; %bb.1546:
	s_cmp_gt_i32 s42, 14
	s_mov_b32 s44, -1
	s_cbranch_scc0 .LBB158_1550
; %bb.1547:
	s_cmp_eq_u32 s42, 15
	s_mov_b32 s0, -1
	s_cbranch_scc0 .LBB158_1549
; %bb.1548:
	s_wait_xcnt 0x0
	v_bfe_u32 v4, v2, 16, 1
	v_cmp_o_f32_e32 vcc_lo, v2, v2
	s_mov_b32 s43, -1
	s_mov_b32 s0, 0
	s_delay_alu instid0(VALU_DEP_2) | instskip(NEXT) | instid1(VALU_DEP_1)
	v_add3_u32 v4, v2, v4, 0x7fff
	v_lshrrev_b32_e32 v4, 16, v4
	s_delay_alu instid0(VALU_DEP_1)
	v_cndmask_b32_e32 v4, 0x7fc0, v4, vcc_lo
	global_store_b16 v[0:1], v4, off
.LBB158_1549:
	s_mov_b32 s44, 0
.LBB158_1550:
	s_delay_alu instid0(SALU_CYCLE_1)
	s_and_b32 vcc_lo, exec_lo, s44
	s_cbranch_vccz .LBB158_1553
; %bb.1551:
	s_cmp_eq_u32 s42, 11
	s_mov_b32 s0, -1
	s_cbranch_scc0 .LBB158_1553
; %bb.1552:
	v_cmp_neq_f32_e32 vcc_lo, 0, v2
	v_cmp_neq_f32_e64 s0, 0, v3
	s_mov_b32 s43, -1
	s_or_b32 s0, vcc_lo, s0
	s_wait_xcnt 0x0
	v_cndmask_b32_e64 v4, 0, 1, s0
	s_mov_b32 s0, 0
	global_store_b8 v[0:1], v4, off
.LBB158_1553:
	s_mov_b32 s42, 0
.LBB158_1554:
	s_delay_alu instid0(SALU_CYCLE_1)
	s_and_b32 vcc_lo, exec_lo, s42
	s_cbranch_vccz .LBB158_1593
; %bb.1555:
	s_and_b32 s41, 0xffff, s41
	s_mov_b32 s42, -1
	s_cmp_lt_i32 s41, 5
	s_cbranch_scc1 .LBB158_1576
; %bb.1556:
	s_cmp_lt_i32 s41, 8
	s_cbranch_scc1 .LBB158_1566
; %bb.1557:
	;; [unrolled: 3-line block ×3, first 2 shown]
	s_cmp_gt_i32 s41, 9
	s_cbranch_scc0 .LBB158_1560
; %bb.1559:
	s_wait_xcnt 0x0
	v_cvt_f64_f32_e32 v[4:5], v2
	v_cvt_f64_f32_e32 v[6:7], v3
	s_mov_b32 s42, 0
	global_store_b128 v[0:1], v[4:7], off
.LBB158_1560:
	s_and_not1_b32 vcc_lo, exec_lo, s42
	s_cbranch_vccnz .LBB158_1562
; %bb.1561:
	global_store_b64 v[0:1], v[2:3], off
.LBB158_1562:
	s_mov_b32 s42, 0
.LBB158_1563:
	s_delay_alu instid0(SALU_CYCLE_1)
	s_and_not1_b32 vcc_lo, exec_lo, s42
	s_cbranch_vccnz .LBB158_1565
; %bb.1564:
	s_wait_xcnt 0x0
	v_cvt_f16_f32_e32 v3, v3
	v_cvt_f16_f32_e32 v4, v2
	s_delay_alu instid0(VALU_DEP_2) | instskip(NEXT) | instid1(VALU_DEP_2)
	v_lshlrev_b32_e32 v3, 16, v3
	v_and_b32_e32 v4, 0xffff, v4
	s_delay_alu instid0(VALU_DEP_1)
	v_or_b32_e32 v3, v3, v4
	global_store_b32 v[0:1], v3, off
.LBB158_1565:
	s_mov_b32 s42, 0
.LBB158_1566:
	s_delay_alu instid0(SALU_CYCLE_1)
	s_and_not1_b32 vcc_lo, exec_lo, s42
	s_cbranch_vccnz .LBB158_1575
; %bb.1567:
	s_cmp_lt_i32 s41, 6
	s_mov_b32 s42, -1
	s_cbranch_scc1 .LBB158_1573
; %bb.1568:
	s_cmp_gt_i32 s41, 6
	s_cbranch_scc0 .LBB158_1570
; %bb.1569:
	s_wait_xcnt 0x0
	v_cvt_f64_f32_e32 v[4:5], v2
	s_mov_b32 s42, 0
	global_store_b64 v[0:1], v[4:5], off
.LBB158_1570:
	s_and_not1_b32 vcc_lo, exec_lo, s42
	s_cbranch_vccnz .LBB158_1572
; %bb.1571:
	global_store_b32 v[0:1], v2, off
.LBB158_1572:
	s_mov_b32 s42, 0
.LBB158_1573:
	s_delay_alu instid0(SALU_CYCLE_1)
	s_and_not1_b32 vcc_lo, exec_lo, s42
	s_cbranch_vccnz .LBB158_1575
; %bb.1574:
	s_wait_xcnt 0x0
	v_cvt_f16_f32_e32 v3, v2
	global_store_b16 v[0:1], v3, off
.LBB158_1575:
	s_mov_b32 s42, 0
.LBB158_1576:
	s_delay_alu instid0(SALU_CYCLE_1)
	s_and_not1_b32 vcc_lo, exec_lo, s42
	s_cbranch_vccnz .LBB158_1592
; %bb.1577:
	s_cmp_lt_i32 s41, 2
	s_mov_b32 s42, -1
	s_cbranch_scc1 .LBB158_1587
; %bb.1578:
	s_cmp_lt_i32 s41, 3
	s_cbranch_scc1 .LBB158_1584
; %bb.1579:
	s_cmp_gt_i32 s41, 3
	s_cbranch_scc0 .LBB158_1581
; %bb.1580:
	s_wait_xcnt 0x0
	v_trunc_f32_e32 v3, v2
	s_mov_b32 s42, 0
	s_delay_alu instid0(VALU_DEP_1) | instskip(NEXT) | instid1(VALU_DEP_1)
	v_mul_f32_e64 v4, 0x2f800000, |v3|
	v_floor_f32_e32 v5, v4
	v_ashrrev_i32_e32 v4, 31, v3
	s_delay_alu instid0(VALU_DEP_2) | instskip(SKIP_1) | instid1(VALU_DEP_3)
	v_fma_f32 v6, 0xcf800000, v5, |v3|
	v_cvt_u32_f32_e32 v3, v5
	v_mov_b32_e32 v5, v4
	s_delay_alu instid0(VALU_DEP_3) | instskip(NEXT) | instid1(VALU_DEP_3)
	v_cvt_u32_f32_e32 v6, v6
	v_xor_b32_e32 v7, v3, v4
	s_delay_alu instid0(VALU_DEP_2) | instskip(NEXT) | instid1(VALU_DEP_1)
	v_xor_b32_e32 v6, v6, v4
	v_sub_nc_u64_e32 v[4:5], v[6:7], v[4:5]
	global_store_b64 v[0:1], v[4:5], off
.LBB158_1581:
	s_and_not1_b32 vcc_lo, exec_lo, s42
	s_cbranch_vccnz .LBB158_1583
; %bb.1582:
	s_wait_xcnt 0x0
	v_cvt_i32_f32_e32 v3, v2
	global_store_b32 v[0:1], v3, off
.LBB158_1583:
	s_mov_b32 s42, 0
.LBB158_1584:
	s_delay_alu instid0(SALU_CYCLE_1)
	s_and_not1_b32 vcc_lo, exec_lo, s42
	s_cbranch_vccnz .LBB158_1586
; %bb.1585:
	s_wait_xcnt 0x0
	v_cvt_i32_f32_e32 v3, v2
	global_store_b16 v[0:1], v3, off
.LBB158_1586:
	s_mov_b32 s42, 0
.LBB158_1587:
	s_delay_alu instid0(SALU_CYCLE_1)
	s_and_not1_b32 vcc_lo, exec_lo, s42
	s_cbranch_vccnz .LBB158_1592
; %bb.1588:
	s_cmp_gt_i32 s41, 0
	s_mov_b32 s41, -1
	s_cbranch_scc0 .LBB158_1590
; %bb.1589:
	s_wait_xcnt 0x0
	v_cvt_i32_f32_e32 v3, v2
	s_mov_b32 s41, 0
	global_store_b8 v[0:1], v3, off
.LBB158_1590:
	s_and_not1_b32 vcc_lo, exec_lo, s41
	s_cbranch_vccnz .LBB158_1592
; %bb.1591:
	s_wait_xcnt 0x0
	v_trunc_f32_e32 v2, v2
	s_delay_alu instid0(VALU_DEP_1) | instskip(NEXT) | instid1(VALU_DEP_1)
	v_mul_f32_e64 v3, 0x2f800000, |v2|
	v_floor_f32_e32 v3, v3
	s_delay_alu instid0(VALU_DEP_1) | instskip(SKIP_1) | instid1(VALU_DEP_2)
	v_fma_f32 v3, 0xcf800000, v3, |v2|
	v_ashrrev_i32_e32 v2, 31, v2
	v_cvt_u32_f32_e32 v3, v3
	s_delay_alu instid0(VALU_DEP_1) | instskip(NEXT) | instid1(VALU_DEP_1)
	v_xor_b32_e32 v3, v3, v2
	v_sub_nc_u32_e32 v2, v3, v2
	global_store_b8 v[0:1], v2, off
.LBB158_1592:
	s_mov_b32 s43, -1
.LBB158_1593:
	s_delay_alu instid0(SALU_CYCLE_1)
	s_and_not1_b32 vcc_lo, exec_lo, s43
	s_cbranch_vccnz .LBB158_1595
; %bb.1594:
	v_add_nc_u32_e32 v34, 0x80, v34
	s_mov_b32 s42, -1
	s_branch .LBB158_1597
.LBB158_1595:
	s_mov_b32 s42, 0
.LBB158_1596:
                                        ; implicit-def: $vgpr34
.LBB158_1597:
	s_and_not1_b32 s41, s33, exec_lo
	s_and_b32 s0, s0, exec_lo
	s_and_not1_b32 s43, s34, exec_lo
	s_and_b32 s40, s40, exec_lo
	s_or_b32 s41, s41, s0
	s_or_b32 s40, s43, s40
	s_and_not1_b32 s0, s35, exec_lo
	s_and_b32 s39, s39, exec_lo
	s_and_not1_b32 s43, s31, exec_lo
	s_and_b32 s38, s38, exec_lo
	s_or_b32 s39, s0, s39
	s_or_b32 s38, s43, s38
	s_or_not1_b32 s45, s42, exec_lo
.LBB158_1598:
	s_wait_xcnt 0x0
	s_or_b32 exec_lo, exec_lo, s37
	s_mov_b32 s42, 0
	s_mov_b32 s43, 0
	;; [unrolled: 1-line block ×3, first 2 shown]
                                        ; implicit-def: $sgpr0
                                        ; implicit-def: $vgpr4_vgpr5
                                        ; implicit-def: $vgpr2
                                        ; implicit-def: $vgpr0
	s_and_saveexec_b32 s37, s45
	s_cbranch_execz .LBB158_1678
; %bb.1599:
	v_cmp_gt_i32_e32 vcc_lo, s26, v34
	s_mov_b32 s46, s38
	s_mov_b32 s45, 0
	;; [unrolled: 1-line block ×3, first 2 shown]
                                        ; implicit-def: $sgpr0
                                        ; implicit-def: $vgpr4_vgpr5
                                        ; implicit-def: $vgpr2
                                        ; implicit-def: $vgpr0
	s_and_saveexec_b32 s26, vcc_lo
	s_cbranch_execz .LBB158_1677
; %bb.1600:
	s_wait_loadcnt 0x0
	v_mul_lo_u32 v0, v34, s13
	s_and_b32 s0, s23, 0xff
	s_delay_alu instid0(SALU_CYCLE_1) | instskip(NEXT) | instid1(VALU_DEP_1)
	s_cmp_lt_i32 s0, 11
	v_ashrrev_i32_e32 v1, 31, v0
	s_delay_alu instid0(VALU_DEP_1)
	v_add_nc_u64_e32 v[4:5], s[6:7], v[0:1]
	s_cbranch_scc1 .LBB158_1607
; %bb.1601:
	s_and_b32 s42, 0xffff, s0
	s_delay_alu instid0(SALU_CYCLE_1)
	s_cmp_gt_i32 s42, 25
	s_cbranch_scc0 .LBB158_1608
; %bb.1602:
	s_cmp_gt_i32 s42, 28
	s_cbranch_scc0 .LBB158_1609
; %bb.1603:
	;; [unrolled: 3-line block ×4, first 2 shown]
	s_cmp_eq_u32 s42, 46
	s_mov_b32 s46, 0
	s_cbranch_scc0 .LBB158_1612
; %bb.1606:
	global_load_b32 v0, v[4:5], off
	s_mov_b32 s45, -1
	s_wait_loadcnt 0x0
	v_and_b32_e32 v2, 0xffff0000, v0
	v_lshlrev_b32_e32 v0, 16, v0
	s_branch .LBB158_1614
.LBB158_1607:
	s_mov_b32 s42, -1
	s_mov_b32 s43, s38
                                        ; implicit-def: $vgpr2
                                        ; implicit-def: $vgpr0
	s_branch .LBB158_1676
.LBB158_1608:
	s_mov_b32 s46, -1
	s_mov_b32 s43, s38
                                        ; implicit-def: $vgpr2
                                        ; implicit-def: $vgpr0
	s_branch .LBB158_1643
.LBB158_1609:
	s_mov_b32 s46, -1
	s_mov_b32 s43, s38
                                        ; implicit-def: $vgpr2
                                        ; implicit-def: $vgpr0
	s_branch .LBB158_1626
.LBB158_1610:
	s_mov_b32 s46, -1
	s_mov_b32 s43, s38
                                        ; implicit-def: $vgpr2
                                        ; implicit-def: $vgpr0
	s_branch .LBB158_1620
.LBB158_1611:
	s_mov_b32 s46, -1
	s_mov_b32 s43, s38
	s_branch .LBB158_1613
.LBB158_1612:
	s_mov_b32 s43, -1
.LBB158_1613:
                                        ; implicit-def: $vgpr2
                                        ; implicit-def: $vgpr0
.LBB158_1614:
	s_and_b32 vcc_lo, exec_lo, s46
	s_cbranch_vccz .LBB158_1619
; %bb.1615:
	s_cmp_eq_u32 s42, 44
	s_cbranch_scc0 .LBB158_1617
; %bb.1616:
	global_load_u8 v0, v[4:5], off
	s_mov_b32 s43, 0
	s_mov_b32 s45, -1
	s_wait_loadcnt 0x0
	v_lshlrev_b32_e32 v1, 23, v0
	v_cmp_ne_u32_e32 vcc_lo, 0xff, v0
	s_delay_alu instid0(VALU_DEP_2) | instskip(SKIP_1) | instid1(VALU_DEP_2)
	v_cndmask_b32_e32 v1, 0x7f800001, v1, vcc_lo
	v_cmp_ne_u32_e32 vcc_lo, 0, v0
	v_cndmask_b32_e32 v0, 0x400000, v1, vcc_lo
	s_branch .LBB158_1618
.LBB158_1617:
	s_mov_b32 s43, -1
                                        ; implicit-def: $vgpr0
.LBB158_1618:
	v_mov_b32_e32 v2, 0
.LBB158_1619:
	s_mov_b32 s46, 0
.LBB158_1620:
	s_delay_alu instid0(SALU_CYCLE_1)
	s_and_b32 vcc_lo, exec_lo, s46
	s_cbranch_vccz .LBB158_1625
; %bb.1621:
	s_cmp_eq_u32 s42, 29
	s_cbranch_scc0 .LBB158_1623
; %bb.1622:
	global_load_b64 v[0:1], v[4:5], off
	s_mov_b32 s43, 0
	s_mov_b32 s45, -1
	s_wait_loadcnt 0x0
	v_clz_i32_u32_e32 v2, v1
	s_delay_alu instid0(VALU_DEP_1) | instskip(NEXT) | instid1(VALU_DEP_1)
	v_min_u32_e32 v2, 32, v2
	v_lshlrev_b64_e32 v[0:1], v2, v[0:1]
	s_delay_alu instid0(VALU_DEP_1) | instskip(NEXT) | instid1(VALU_DEP_1)
	v_min_u32_e32 v0, 1, v0
	v_dual_sub_nc_u32 v1, 32, v2 :: v_dual_bitop2_b32 v0, v1, v0 bitop3:0x54
	s_delay_alu instid0(VALU_DEP_1) | instskip(NEXT) | instid1(VALU_DEP_1)
	v_cvt_f32_u32_e32 v0, v0
	v_ldexp_f32 v0, v0, v1
	s_branch .LBB158_1624
.LBB158_1623:
	s_mov_b32 s43, -1
                                        ; implicit-def: $vgpr0
.LBB158_1624:
	v_mov_b32_e32 v2, 0
.LBB158_1625:
	s_mov_b32 s46, 0
.LBB158_1626:
	s_delay_alu instid0(SALU_CYCLE_1)
	s_and_b32 vcc_lo, exec_lo, s46
	s_cbranch_vccz .LBB158_1642
; %bb.1627:
	s_cmp_lt_i32 s42, 27
	s_cbranch_scc1 .LBB158_1630
; %bb.1628:
	s_cmp_gt_i32 s42, 27
	s_cbranch_scc0 .LBB158_1631
; %bb.1629:
	global_load_b32 v0, v[4:5], off
	s_mov_b32 s45, 0
	s_wait_loadcnt 0x0
	v_cvt_f32_u32_e32 v0, v0
	s_branch .LBB158_1632
.LBB158_1630:
	s_mov_b32 s45, -1
                                        ; implicit-def: $vgpr0
	s_branch .LBB158_1635
.LBB158_1631:
	s_mov_b32 s45, -1
                                        ; implicit-def: $vgpr0
.LBB158_1632:
	s_delay_alu instid0(SALU_CYCLE_1)
	s_and_not1_b32 vcc_lo, exec_lo, s45
	s_cbranch_vccnz .LBB158_1634
; %bb.1633:
	global_load_u16 v0, v[4:5], off
	s_wait_loadcnt 0x0
	v_cvt_f32_u32_e32 v0, v0
.LBB158_1634:
	s_mov_b32 s45, 0
.LBB158_1635:
	s_delay_alu instid0(SALU_CYCLE_1)
	s_and_not1_b32 vcc_lo, exec_lo, s45
	s_cbranch_vccnz .LBB158_1641
; %bb.1636:
	global_load_u8 v1, v[4:5], off
	s_mov_b32 s45, 0
	s_mov_b32 s46, exec_lo
	s_wait_loadcnt 0x0
	v_cmpx_lt_i16_e32 0x7f, v1
	s_xor_b32 s46, exec_lo, s46
	s_cbranch_execnz .LBB158_1654
; %bb.1637:
	s_or_saveexec_b32 s46, s46
	v_mov_b32_e32 v0, 0x7f800001
	s_xor_b32 exec_lo, exec_lo, s46
	s_cbranch_execnz .LBB158_1657
.LBB158_1638:
	s_or_b32 exec_lo, exec_lo, s46
	s_and_saveexec_b32 s46, s45
	s_cbranch_execz .LBB158_1640
.LBB158_1639:
	v_and_b32_e32 v0, 0xffff, v1
	s_delay_alu instid0(VALU_DEP_1) | instskip(SKIP_1) | instid1(VALU_DEP_2)
	v_and_b32_e32 v2, 7, v0
	v_bfe_u32 v7, v0, 3, 4
	v_clz_i32_u32_e32 v3, v2
	s_delay_alu instid0(VALU_DEP_2) | instskip(NEXT) | instid1(VALU_DEP_2)
	v_cmp_eq_u32_e32 vcc_lo, 0, v7
	v_min_u32_e32 v3, 32, v3
	s_delay_alu instid0(VALU_DEP_1) | instskip(NEXT) | instid1(VALU_DEP_1)
	v_subrev_nc_u32_e32 v6, 28, v3
	v_dual_lshlrev_b32 v0, v6, v0 :: v_dual_sub_nc_u32 v3, 29, v3
	s_delay_alu instid0(VALU_DEP_1) | instskip(NEXT) | instid1(VALU_DEP_1)
	v_dual_lshlrev_b32 v1, 24, v1 :: v_dual_bitop2_b32 v0, 7, v0 bitop3:0x40
	v_dual_cndmask_b32 v3, v7, v3 :: v_dual_cndmask_b32 v0, v2, v0
	s_delay_alu instid0(VALU_DEP_2) | instskip(NEXT) | instid1(VALU_DEP_2)
	v_and_b32_e32 v1, 0x80000000, v1
	v_lshl_add_u32 v2, v3, 23, 0x3b800000
	s_delay_alu instid0(VALU_DEP_3) | instskip(NEXT) | instid1(VALU_DEP_1)
	v_lshlrev_b32_e32 v0, 20, v0
	v_or3_b32 v0, v1, v2, v0
.LBB158_1640:
	s_or_b32 exec_lo, exec_lo, s46
.LBB158_1641:
	v_mov_b32_e32 v2, 0
	s_mov_b32 s45, -1
.LBB158_1642:
	s_mov_b32 s46, 0
.LBB158_1643:
	s_delay_alu instid0(SALU_CYCLE_1)
	s_and_b32 vcc_lo, exec_lo, s46
	s_cbranch_vccz .LBB158_1675
; %bb.1644:
	s_cmp_gt_i32 s42, 22
	s_cbranch_scc0 .LBB158_1652
; %bb.1645:
	s_cmp_lt_i32 s42, 24
	s_cbranch_scc1 .LBB158_1653
; %bb.1646:
	s_cmp_gt_i32 s42, 24
	s_cbranch_scc0 .LBB158_1658
; %bb.1647:
	global_load_u8 v1, v[4:5], off
	s_mov_b32 s45, exec_lo
	s_wait_loadcnt 0x0
	v_cmpx_lt_i16_e32 0x7f, v1
	s_xor_b32 s45, exec_lo, s45
	s_cbranch_execnz .LBB158_2666
; %bb.1648:
	s_or_saveexec_b32 s45, s45
	v_mov_b32_e32 v0, 0x7f800001
	s_xor_b32 exec_lo, exec_lo, s45
	s_cbranch_execnz .LBB158_2669
.LBB158_1649:
	s_or_b32 exec_lo, exec_lo, s45
	s_and_saveexec_b32 s45, s44
	s_cbranch_execz .LBB158_1651
.LBB158_1650:
	v_and_b32_e32 v0, 0xffff, v1
	s_delay_alu instid0(VALU_DEP_1) | instskip(SKIP_1) | instid1(VALU_DEP_2)
	v_and_b32_e32 v2, 3, v0
	v_bfe_u32 v7, v0, 2, 5
	v_clz_i32_u32_e32 v3, v2
	s_delay_alu instid0(VALU_DEP_2) | instskip(NEXT) | instid1(VALU_DEP_2)
	v_cmp_eq_u32_e32 vcc_lo, 0, v7
	v_min_u32_e32 v3, 32, v3
	s_delay_alu instid0(VALU_DEP_1) | instskip(NEXT) | instid1(VALU_DEP_1)
	v_subrev_nc_u32_e32 v6, 29, v3
	v_dual_lshlrev_b32 v0, v6, v0 :: v_dual_sub_nc_u32 v3, 30, v3
	s_delay_alu instid0(VALU_DEP_1) | instskip(NEXT) | instid1(VALU_DEP_1)
	v_dual_lshlrev_b32 v1, 24, v1 :: v_dual_bitop2_b32 v0, 3, v0 bitop3:0x40
	v_dual_cndmask_b32 v3, v7, v3 :: v_dual_cndmask_b32 v0, v2, v0
	s_delay_alu instid0(VALU_DEP_2) | instskip(NEXT) | instid1(VALU_DEP_2)
	v_and_b32_e32 v1, 0x80000000, v1
	v_lshl_add_u32 v2, v3, 23, 0x37800000
	s_delay_alu instid0(VALU_DEP_3) | instskip(NEXT) | instid1(VALU_DEP_1)
	v_lshlrev_b32_e32 v0, 21, v0
	v_or3_b32 v0, v1, v2, v0
.LBB158_1651:
	s_or_b32 exec_lo, exec_lo, s45
	s_mov_b32 s44, 0
	s_branch .LBB158_1659
.LBB158_1652:
	s_mov_b32 s44, -1
                                        ; implicit-def: $vgpr0
	s_branch .LBB158_1665
.LBB158_1653:
	s_mov_b32 s44, -1
                                        ; implicit-def: $vgpr0
	s_branch .LBB158_1662
.LBB158_1654:
	s_mov_b32 s45, -1
	s_mov_b32 s47, exec_lo
	v_cmpx_eq_u16_e32 0x80, v1
; %bb.1655:
	s_xor_b32 s45, exec_lo, -1
; %bb.1656:
	s_or_b32 exec_lo, exec_lo, s47
	s_delay_alu instid0(SALU_CYCLE_1)
	s_and_b32 s45, s45, exec_lo
	s_or_saveexec_b32 s46, s46
	v_mov_b32_e32 v0, 0x7f800001
	s_xor_b32 exec_lo, exec_lo, s46
	s_cbranch_execz .LBB158_1638
.LBB158_1657:
	v_cmp_ne_u16_e32 vcc_lo, 0, v1
	v_mov_b32_e32 v0, 0
	s_and_not1_b32 s45, s45, exec_lo
	s_and_b32 s47, vcc_lo, exec_lo
	s_delay_alu instid0(SALU_CYCLE_1)
	s_or_b32 s45, s45, s47
	s_or_b32 exec_lo, exec_lo, s46
	s_and_saveexec_b32 s46, s45
	s_cbranch_execnz .LBB158_1639
	s_branch .LBB158_1640
.LBB158_1658:
	s_mov_b32 s44, -1
                                        ; implicit-def: $vgpr0
.LBB158_1659:
	s_delay_alu instid0(SALU_CYCLE_1)
	s_and_b32 vcc_lo, exec_lo, s44
	s_cbranch_vccz .LBB158_1661
; %bb.1660:
	global_load_u8 v0, v[4:5], off
	s_wait_loadcnt 0x0
	v_lshlrev_b32_e32 v0, 24, v0
	s_delay_alu instid0(VALU_DEP_1) | instskip(NEXT) | instid1(VALU_DEP_1)
	v_and_b32_e32 v1, 0x7f000000, v0
	v_clz_i32_u32_e32 v2, v1
	v_cmp_ne_u32_e32 vcc_lo, 0, v1
	v_add_nc_u32_e32 v6, 0x1000000, v1
	s_delay_alu instid0(VALU_DEP_3) | instskip(NEXT) | instid1(VALU_DEP_1)
	v_min_u32_e32 v2, 32, v2
	v_sub_nc_u32_e64 v2, v2, 4 clamp
	s_delay_alu instid0(VALU_DEP_1) | instskip(NEXT) | instid1(VALU_DEP_1)
	v_dual_lshlrev_b32 v3, v2, v1 :: v_dual_lshlrev_b32 v2, 23, v2
	v_lshrrev_b32_e32 v3, 4, v3
	s_delay_alu instid0(VALU_DEP_1) | instskip(SKIP_1) | instid1(VALU_DEP_2)
	v_sub_nc_u32_e32 v2, v3, v2
	v_ashrrev_i32_e32 v3, 8, v6
	v_add_nc_u32_e32 v2, 0x3c000000, v2
	s_delay_alu instid0(VALU_DEP_1) | instskip(NEXT) | instid1(VALU_DEP_1)
	v_and_or_b32 v2, 0x7f800000, v3, v2
	v_cndmask_b32_e32 v1, 0, v2, vcc_lo
	s_delay_alu instid0(VALU_DEP_1)
	v_and_or_b32 v0, 0x80000000, v0, v1
.LBB158_1661:
	s_mov_b32 s44, 0
.LBB158_1662:
	s_delay_alu instid0(SALU_CYCLE_1)
	s_and_not1_b32 vcc_lo, exec_lo, s44
	s_cbranch_vccnz .LBB158_1664
; %bb.1663:
	global_load_u8 v0, v[4:5], off
	s_wait_loadcnt 0x0
	v_lshlrev_b32_e32 v1, 25, v0
	v_lshlrev_b16 v0, 8, v0
	s_delay_alu instid0(VALU_DEP_1) | instskip(SKIP_1) | instid1(VALU_DEP_2)
	v_and_or_b32 v3, 0x7f00, v0, 0.5
	v_bfe_i32 v0, v0, 0, 16
	v_dual_add_f32 v3, -0.5, v3 :: v_dual_lshrrev_b32 v2, 4, v1
	v_cmp_gt_u32_e32 vcc_lo, 0x8000000, v1
	s_delay_alu instid0(VALU_DEP_2) | instskip(NEXT) | instid1(VALU_DEP_1)
	v_or_b32_e32 v2, 0x70000000, v2
	v_mul_f32_e32 v2, 0x7800000, v2
	s_delay_alu instid0(VALU_DEP_1) | instskip(NEXT) | instid1(VALU_DEP_1)
	v_cndmask_b32_e32 v1, v2, v3, vcc_lo
	v_and_or_b32 v0, 0x80000000, v0, v1
.LBB158_1664:
	s_mov_b32 s44, 0
	s_mov_b32 s45, -1
.LBB158_1665:
	s_and_not1_b32 vcc_lo, exec_lo, s44
	s_mov_b32 s44, 0
	s_cbranch_vccnz .LBB158_1674
; %bb.1666:
	s_cmp_gt_i32 s42, 14
	s_cbranch_scc0 .LBB158_1669
; %bb.1667:
	s_cmp_eq_u32 s42, 15
	s_cbranch_scc0 .LBB158_1670
; %bb.1668:
	global_load_u16 v0, v[4:5], off
	s_mov_b32 s43, 0
	s_mov_b32 s45, -1
	s_wait_loadcnt 0x0
	v_lshlrev_b32_e32 v0, 16, v0
	s_branch .LBB158_1672
.LBB158_1669:
	s_mov_b32 s44, -1
	s_branch .LBB158_1671
.LBB158_1670:
	s_mov_b32 s43, -1
.LBB158_1671:
                                        ; implicit-def: $vgpr0
.LBB158_1672:
	s_and_b32 vcc_lo, exec_lo, s44
	s_mov_b32 s44, 0
	s_cbranch_vccz .LBB158_1674
; %bb.1673:
	s_cmp_lg_u32 s42, 11
	s_mov_b32 s44, -1
	s_cselect_b32 s42, -1, 0
	s_and_not1_b32 s43, s43, exec_lo
	s_and_b32 s42, s42, exec_lo
	s_delay_alu instid0(SALU_CYCLE_1)
	s_or_b32 s43, s43, s42
.LBB158_1674:
	v_mov_b32_e32 v2, 0
.LBB158_1675:
	s_mov_b32 s42, 0
.LBB158_1676:
	s_and_not1_b32 s46, s38, exec_lo
	s_and_b32 s43, s43, exec_lo
	s_and_b32 s47, s45, exec_lo
	;; [unrolled: 1-line block ×4, first 2 shown]
	s_or_b32 s46, s46, s43
.LBB158_1677:
	s_wait_xcnt 0x0
	s_or_b32 exec_lo, exec_lo, s26
	s_delay_alu instid0(SALU_CYCLE_1)
	s_and_not1_b32 s26, s38, exec_lo
	s_and_b32 s38, s46, exec_lo
	s_and_b32 s44, s47, exec_lo
	;; [unrolled: 1-line block ×4, first 2 shown]
	s_or_b32 s38, s26, s38
.LBB158_1678:
	s_or_b32 exec_lo, exec_lo, s37
	s_delay_alu instid0(SALU_CYCLE_1)
	s_and_not1_b32 s26, s33, exec_lo
	s_and_b32 s33, s41, exec_lo
	s_and_not1_b32 s35, s35, exec_lo
	s_or_b32 s33, s26, s33
	s_and_not1_b32 s26, s34, exec_lo
	s_and_b32 s34, s40, exec_lo
	s_and_b32 s37, s39, exec_lo
	s_or_b32 s34, s26, s34
	s_and_not1_b32 s26, s31, exec_lo
	s_and_b32 s31, s38, exec_lo
	s_or_b32 s35, s35, s37
	s_and_b32 s40, s44, exec_lo
	s_and_b32 s39, s43, exec_lo
	;; [unrolled: 1-line block ×3, first 2 shown]
	s_or_b32 s31, s26, s31
.LBB158_1679:
	s_or_b32 exec_lo, exec_lo, s36
	s_delay_alu instid0(SALU_CYCLE_1)
	s_and_not1_b32 s25, s25, exec_lo
	s_and_b32 s26, s33, exec_lo
	s_and_not1_b32 s28, s28, exec_lo
	s_or_b32 s25, s25, s26
	s_and_not1_b32 s26, s27, exec_lo
	s_and_b32 s27, s34, exec_lo
	s_and_b32 s33, s35, exec_lo
	s_or_b32 s27, s26, s27
	s_and_not1_b32 s26, s29, exec_lo
	s_and_b32 s29, s31, exec_lo
	s_or_b32 s28, s28, s33
	s_and_b32 s33, s40, exec_lo
	s_and_b32 s34, s39, exec_lo
	;; [unrolled: 1-line block ×3, first 2 shown]
	s_or_b32 s29, s26, s29
	s_or_b32 exec_lo, exec_lo, s30
	s_mov_b32 s26, 0
	s_and_saveexec_b32 s30, s29
	s_cbranch_execz .LBB158_528
.LBB158_1680:
	s_mov_b32 s26, exec_lo
	s_and_not1_b32 s31, s31, exec_lo
	s_trap 2
	s_or_b32 exec_lo, exec_lo, s30
	s_and_saveexec_b32 s29, s31
	s_delay_alu instid0(SALU_CYCLE_1)
	s_xor_b32 s29, exec_lo, s29
	s_cbranch_execz .LBB158_529
.LBB158_1681:
	s_wait_loadcnt 0x0
	global_load_u8 v0, v[4:5], off
	v_mov_b32_e32 v2, 0
	s_or_b32 s33, s33, exec_lo
	s_wait_loadcnt 0x0
	v_cmp_ne_u16_e32 vcc_lo, 0, v0
	v_cndmask_b32_e64 v0, 0, 1.0, vcc_lo
	s_wait_xcnt 0x0
	s_or_b32 exec_lo, exec_lo, s29
	s_and_saveexec_b32 s29, s34
	s_cbranch_execz .LBB158_1729
.LBB158_1682:
	s_sext_i32_i16 s30, s0
	s_delay_alu instid0(SALU_CYCLE_1)
	s_cmp_lt_i32 s30, 5
	s_cbranch_scc1 .LBB158_1687
; %bb.1683:
	s_cmp_lt_i32 s30, 8
	s_cbranch_scc1 .LBB158_1688
; %bb.1684:
	;; [unrolled: 3-line block ×3, first 2 shown]
	s_cmp_gt_i32 s30, 9
	s_cbranch_scc0 .LBB158_1690
; %bb.1686:
	s_wait_loadcnt 0x0
	global_load_b128 v[0:3], v[4:5], off
	s_mov_b32 s30, 0
	s_wait_loadcnt 0x0
	v_cvt_f32_f64_e32 v0, v[0:1]
	v_cvt_f32_f64_e32 v2, v[2:3]
	s_branch .LBB158_1691
.LBB158_1687:
                                        ; implicit-def: $vgpr2
                                        ; implicit-def: $vgpr0
	s_branch .LBB158_1709
.LBB158_1688:
                                        ; implicit-def: $vgpr2
                                        ; implicit-def: $vgpr0
	s_branch .LBB158_1697
.LBB158_1689:
	s_mov_b32 s30, -1
                                        ; implicit-def: $vgpr2
                                        ; implicit-def: $vgpr0
	s_branch .LBB158_1694
.LBB158_1690:
	s_mov_b32 s30, -1
                                        ; implicit-def: $vgpr2
                                        ; implicit-def: $vgpr0
.LBB158_1691:
	s_delay_alu instid0(SALU_CYCLE_1)
	s_and_not1_b32 vcc_lo, exec_lo, s30
	s_cbranch_vccnz .LBB158_1693
; %bb.1692:
	s_wait_loadcnt 0x0
	global_load_b64 v[0:1], v[4:5], off
	s_wait_loadcnt 0x0
	v_mov_b32_e32 v2, v1
.LBB158_1693:
	s_mov_b32 s30, 0
.LBB158_1694:
	s_delay_alu instid0(SALU_CYCLE_1)
	s_and_not1_b32 vcc_lo, exec_lo, s30
	s_cbranch_vccnz .LBB158_1696
; %bb.1695:
	s_wait_loadcnt 0x0
	global_load_b32 v0, v[4:5], off
	s_wait_loadcnt 0x0
	v_lshrrev_b32_e32 v1, 16, v0
	v_cvt_f32_f16_e32 v0, v0
	s_delay_alu instid0(VALU_DEP_2)
	v_cvt_f32_f16_e32 v2, v1
.LBB158_1696:
	s_cbranch_execnz .LBB158_1708
.LBB158_1697:
	s_sext_i32_i16 s30, s0
	s_delay_alu instid0(SALU_CYCLE_1)
	s_cmp_lt_i32 s30, 6
	s_cbranch_scc1 .LBB158_1700
; %bb.1698:
	s_cmp_gt_i32 s30, 6
	s_cbranch_scc0 .LBB158_1701
; %bb.1699:
	s_wait_loadcnt 0x0
	global_load_b64 v[0:1], v[4:5], off
	s_mov_b32 s30, 0
	s_wait_loadcnt 0x0
	v_cvt_f32_f64_e32 v0, v[0:1]
	s_branch .LBB158_1702
.LBB158_1700:
	s_mov_b32 s30, -1
                                        ; implicit-def: $vgpr0
	s_branch .LBB158_1705
.LBB158_1701:
	s_mov_b32 s30, -1
                                        ; implicit-def: $vgpr0
.LBB158_1702:
	s_delay_alu instid0(SALU_CYCLE_1)
	s_and_not1_b32 vcc_lo, exec_lo, s30
	s_cbranch_vccnz .LBB158_1704
; %bb.1703:
	s_wait_loadcnt 0x0
	global_load_b32 v0, v[4:5], off
.LBB158_1704:
	s_mov_b32 s30, 0
.LBB158_1705:
	s_delay_alu instid0(SALU_CYCLE_1)
	s_and_not1_b32 vcc_lo, exec_lo, s30
	s_cbranch_vccnz .LBB158_1707
; %bb.1706:
	s_wait_loadcnt 0x0
	global_load_u16 v0, v[4:5], off
	s_wait_loadcnt 0x0
	v_cvt_f32_f16_e32 v0, v0
.LBB158_1707:
	v_mov_b32_e32 v2, 0
.LBB158_1708:
	s_cbranch_execnz .LBB158_1728
.LBB158_1709:
	s_sext_i32_i16 s30, s0
	s_delay_alu instid0(SALU_CYCLE_1)
	s_cmp_lt_i32 s30, 2
	s_cbranch_scc1 .LBB158_1713
; %bb.1710:
	s_cmp_lt_i32 s30, 3
	s_cbranch_scc1 .LBB158_1714
; %bb.1711:
	s_cmp_gt_i32 s30, 3
	s_cbranch_scc0 .LBB158_1715
; %bb.1712:
	s_wait_loadcnt 0x0
	global_load_b64 v[0:1], v[4:5], off
	s_mov_b32 s30, 0
	s_wait_loadcnt 0x0
	v_xor_b32_e32 v2, v0, v1
	v_cls_i32_e32 v3, v1
	s_delay_alu instid0(VALU_DEP_2) | instskip(NEXT) | instid1(VALU_DEP_1)
	v_ashrrev_i32_e32 v2, 31, v2
	v_add_nc_u32_e32 v2, 32, v2
	s_delay_alu instid0(VALU_DEP_1) | instskip(NEXT) | instid1(VALU_DEP_1)
	v_add_min_u32_e64 v2, v3, -1, v2
	v_lshlrev_b64_e32 v[0:1], v2, v[0:1]
	s_delay_alu instid0(VALU_DEP_1) | instskip(NEXT) | instid1(VALU_DEP_1)
	v_min_u32_e32 v0, 1, v0
	v_dual_sub_nc_u32 v1, 32, v2 :: v_dual_bitop2_b32 v0, v1, v0 bitop3:0x54
	s_delay_alu instid0(VALU_DEP_1) | instskip(NEXT) | instid1(VALU_DEP_1)
	v_cvt_f32_i32_e32 v0, v0
	v_ldexp_f32 v0, v0, v1
	s_branch .LBB158_1716
.LBB158_1713:
                                        ; implicit-def: $vgpr0
	s_branch .LBB158_1722
.LBB158_1714:
	s_mov_b32 s30, -1
                                        ; implicit-def: $vgpr0
	s_branch .LBB158_1719
.LBB158_1715:
	s_mov_b32 s30, -1
                                        ; implicit-def: $vgpr0
.LBB158_1716:
	s_delay_alu instid0(SALU_CYCLE_1)
	s_and_not1_b32 vcc_lo, exec_lo, s30
	s_cbranch_vccnz .LBB158_1718
; %bb.1717:
	s_wait_loadcnt 0x0
	global_load_b32 v0, v[4:5], off
	s_wait_loadcnt 0x0
	v_cvt_f32_i32_e32 v0, v0
.LBB158_1718:
	s_mov_b32 s30, 0
.LBB158_1719:
	s_delay_alu instid0(SALU_CYCLE_1)
	s_and_not1_b32 vcc_lo, exec_lo, s30
	s_cbranch_vccnz .LBB158_1721
; %bb.1720:
	s_wait_loadcnt 0x0
	global_load_i16 v0, v[4:5], off
	s_wait_loadcnt 0x0
	v_cvt_f32_i32_e32 v0, v0
.LBB158_1721:
	s_cbranch_execnz .LBB158_1727
.LBB158_1722:
	s_sext_i32_i16 s0, s0
	s_delay_alu instid0(SALU_CYCLE_1)
	s_cmp_gt_i32 s0, 0
	s_mov_b32 s0, 0
	s_cbranch_scc0 .LBB158_1724
; %bb.1723:
	s_wait_loadcnt 0x0
	global_load_i8 v0, v[4:5], off
	s_wait_loadcnt 0x0
	v_cvt_f32_i32_e32 v0, v0
	s_branch .LBB158_1725
.LBB158_1724:
	s_mov_b32 s0, -1
                                        ; implicit-def: $vgpr0
.LBB158_1725:
	s_delay_alu instid0(SALU_CYCLE_1)
	s_and_not1_b32 vcc_lo, exec_lo, s0
	s_cbranch_vccnz .LBB158_1727
; %bb.1726:
	s_wait_loadcnt 0x0
	global_load_u8 v0, v[4:5], off
	s_wait_loadcnt 0x0
	v_cvt_f32_ubyte0_e32 v0, v0
.LBB158_1727:
	v_mov_b32_e32 v2, 0
.LBB158_1728:
	s_or_b32 s33, s33, exec_lo
.LBB158_1729:
	s_wait_xcnt 0x0
	s_or_b32 exec_lo, exec_lo, s29
	s_mov_b32 s31, 0
	s_mov_b32 s34, 0
	;; [unrolled: 1-line block ×3, first 2 shown]
                                        ; implicit-def: $sgpr0
                                        ; implicit-def: $vgpr6_vgpr7
                                        ; implicit-def: $vgpr5
	s_and_saveexec_b32 s29, s33
	s_cbranch_execnz .LBB158_1733
; %bb.1730:
	s_or_b32 exec_lo, exec_lo, s29
	s_and_saveexec_b32 s29, s28
	s_cbranch_execnz .LBB158_1809
.LBB158_1731:
	s_or_b32 exec_lo, exec_lo, s29
	s_and_saveexec_b32 s28, s31
	s_delay_alu instid0(SALU_CYCLE_1)
	s_xor_b32 s28, exec_lo, s28
	s_cbranch_execnz .LBB158_1810
.LBB158_1732:
	s_or_b32 exec_lo, exec_lo, s28
	s_and_saveexec_b32 s28, s34
	s_cbranch_execnz .LBB158_1811
	s_branch .LBB158_1858
.LBB158_1733:
	s_wait_loadcnt 0x0
	v_mul_lo_u32 v4, v34, s14
	s_and_b32 s0, s21, 0xff
	s_delay_alu instid0(SALU_CYCLE_1) | instskip(NEXT) | instid1(VALU_DEP_1)
	s_cmp_lt_i32 s0, 11
	v_ashrrev_i32_e32 v5, 31, v4
	s_delay_alu instid0(VALU_DEP_1)
	v_add_nc_u64_e32 v[6:7], s[8:9], v[4:5]
	s_cbranch_scc1 .LBB158_1740
; %bb.1734:
	s_and_b32 s30, 0xffff, s0
	s_mov_b32 s33, 0
	s_cmp_gt_i32 s30, 25
	s_cbranch_scc0 .LBB158_1741
; %bb.1735:
	s_cmp_gt_i32 s30, 28
	s_cbranch_scc0 .LBB158_1742
; %bb.1736:
	;; [unrolled: 3-line block ×4, first 2 shown]
	s_cmp_eq_u32 s30, 46
	s_mov_b32 s35, 0
	s_cbranch_scc0 .LBB158_1745
; %bb.1739:
	global_load_b32 v1, v[6:7], off
	s_mov_b32 s34, -1
	s_wait_loadcnt 0x0
	v_and_b32_e32 v5, 0xffff0000, v1
	v_lshlrev_b32_e32 v4, 16, v1
	s_branch .LBB158_1747
.LBB158_1740:
	s_mov_b32 s35, -1
	s_mov_b32 s33, 0
	s_mov_b32 s31, s28
                                        ; implicit-def: $vgpr5
	s_branch .LBB158_1808
.LBB158_1741:
	s_mov_b32 s31, s28
                                        ; implicit-def: $vgpr5
	s_cbranch_execnz .LBB158_1776
	s_branch .LBB158_1807
.LBB158_1742:
	s_mov_b32 s35, -1
	s_mov_b32 s31, s28
                                        ; implicit-def: $vgpr5
	s_branch .LBB158_1759
.LBB158_1743:
	s_mov_b32 s35, -1
	s_mov_b32 s31, s28
                                        ; implicit-def: $vgpr5
	s_branch .LBB158_1753
.LBB158_1744:
	s_mov_b32 s35, -1
	s_mov_b32 s31, s28
	s_branch .LBB158_1746
.LBB158_1745:
	s_mov_b32 s31, -1
.LBB158_1746:
                                        ; implicit-def: $vgpr5
.LBB158_1747:
	s_and_b32 vcc_lo, exec_lo, s35
	s_cbranch_vccz .LBB158_1752
; %bb.1748:
	s_cmp_eq_u32 s30, 44
	s_cbranch_scc0 .LBB158_1750
; %bb.1749:
	global_load_u8 v1, v[6:7], off
	s_mov_b32 s31, 0
	s_mov_b32 s34, -1
	s_wait_loadcnt 0x0
	v_lshlrev_b32_e32 v3, 23, v1
	v_cmp_ne_u32_e32 vcc_lo, 0xff, v1
	s_delay_alu instid0(VALU_DEP_2) | instskip(SKIP_1) | instid1(VALU_DEP_2)
	v_cndmask_b32_e32 v3, 0x7f800001, v3, vcc_lo
	v_cmp_ne_u32_e32 vcc_lo, 0, v1
	v_cndmask_b32_e32 v4, 0x400000, v3, vcc_lo
	s_branch .LBB158_1751
.LBB158_1750:
	s_mov_b32 s31, -1
                                        ; implicit-def: $vgpr4
.LBB158_1751:
	v_mov_b32_e32 v5, 0
.LBB158_1752:
	s_mov_b32 s35, 0
.LBB158_1753:
	s_delay_alu instid0(SALU_CYCLE_1)
	s_and_b32 vcc_lo, exec_lo, s35
	s_cbranch_vccz .LBB158_1758
; %bb.1754:
	s_cmp_eq_u32 s30, 29
	s_cbranch_scc0 .LBB158_1756
; %bb.1755:
	global_load_b64 v[4:5], v[6:7], off
	s_mov_b32 s31, 0
	s_mov_b32 s34, -1
	s_wait_loadcnt 0x0
	v_clz_i32_u32_e32 v1, v5
	s_delay_alu instid0(VALU_DEP_1) | instskip(NEXT) | instid1(VALU_DEP_1)
	v_min_u32_e32 v1, 32, v1
	v_lshlrev_b64_e32 v[4:5], v1, v[4:5]
	v_sub_nc_u32_e32 v1, 32, v1
	s_delay_alu instid0(VALU_DEP_2) | instskip(NEXT) | instid1(VALU_DEP_1)
	v_min_u32_e32 v3, 1, v4
	v_or_b32_e32 v3, v5, v3
	s_delay_alu instid0(VALU_DEP_1) | instskip(NEXT) | instid1(VALU_DEP_1)
	v_cvt_f32_u32_e32 v3, v3
	v_ldexp_f32 v4, v3, v1
	s_branch .LBB158_1757
.LBB158_1756:
	s_mov_b32 s31, -1
                                        ; implicit-def: $vgpr4
.LBB158_1757:
	v_mov_b32_e32 v5, 0
.LBB158_1758:
	s_mov_b32 s35, 0
.LBB158_1759:
	s_delay_alu instid0(SALU_CYCLE_1)
	s_and_b32 vcc_lo, exec_lo, s35
	s_cbranch_vccz .LBB158_1775
; %bb.1760:
	s_cmp_lt_i32 s30, 27
	s_cbranch_scc1 .LBB158_1763
; %bb.1761:
	s_cmp_gt_i32 s30, 27
	s_cbranch_scc0 .LBB158_1764
; %bb.1762:
	global_load_b32 v1, v[6:7], off
	s_mov_b32 s34, 0
	s_wait_loadcnt 0x0
	v_cvt_f32_u32_e32 v4, v1
	s_branch .LBB158_1765
.LBB158_1763:
	s_mov_b32 s34, -1
                                        ; implicit-def: $vgpr4
	s_branch .LBB158_1768
.LBB158_1764:
	s_mov_b32 s34, -1
                                        ; implicit-def: $vgpr4
.LBB158_1765:
	s_delay_alu instid0(SALU_CYCLE_1)
	s_and_not1_b32 vcc_lo, exec_lo, s34
	s_cbranch_vccnz .LBB158_1767
; %bb.1766:
	global_load_u16 v1, v[6:7], off
	s_wait_loadcnt 0x0
	v_cvt_f32_u32_e32 v4, v1
.LBB158_1767:
	s_mov_b32 s34, 0
.LBB158_1768:
	s_delay_alu instid0(SALU_CYCLE_1)
	s_and_not1_b32 vcc_lo, exec_lo, s34
	s_cbranch_vccnz .LBB158_1774
; %bb.1769:
	global_load_u8 v1, v[6:7], off
	s_mov_b32 s34, 0
	s_mov_b32 s35, exec_lo
	s_wait_loadcnt 0x0
	v_cmpx_lt_i16_e32 0x7f, v1
	s_xor_b32 s35, exec_lo, s35
	s_cbranch_execnz .LBB158_1786
; %bb.1770:
	s_or_saveexec_b32 s35, s35
	v_mov_b32_e32 v4, 0x7f800001
	s_xor_b32 exec_lo, exec_lo, s35
	s_cbranch_execnz .LBB158_1789
.LBB158_1771:
	s_or_b32 exec_lo, exec_lo, s35
	s_and_saveexec_b32 s35, s34
	s_cbranch_execz .LBB158_1773
.LBB158_1772:
	v_and_b32_e32 v3, 0xffff, v1
	s_delay_alu instid0(VALU_DEP_1) | instskip(SKIP_1) | instid1(VALU_DEP_2)
	v_and_b32_e32 v4, 7, v3
	v_bfe_u32 v9, v3, 3, 4
	v_clz_i32_u32_e32 v5, v4
	s_delay_alu instid0(VALU_DEP_2) | instskip(NEXT) | instid1(VALU_DEP_2)
	v_cmp_eq_u32_e32 vcc_lo, 0, v9
	v_min_u32_e32 v5, 32, v5
	s_delay_alu instid0(VALU_DEP_1) | instskip(NEXT) | instid1(VALU_DEP_1)
	v_subrev_nc_u32_e32 v8, 28, v5
	v_dual_lshlrev_b32 v3, v8, v3 :: v_dual_sub_nc_u32 v5, 29, v5
	s_delay_alu instid0(VALU_DEP_1) | instskip(NEXT) | instid1(VALU_DEP_1)
	v_dual_lshlrev_b32 v1, 24, v1 :: v_dual_bitop2_b32 v3, 7, v3 bitop3:0x40
	v_dual_cndmask_b32 v3, v4, v3, vcc_lo :: v_dual_cndmask_b32 v5, v9, v5, vcc_lo
	s_delay_alu instid0(VALU_DEP_2) | instskip(NEXT) | instid1(VALU_DEP_2)
	v_and_b32_e32 v1, 0x80000000, v1
	v_lshlrev_b32_e32 v3, 20, v3
	s_delay_alu instid0(VALU_DEP_3) | instskip(NEXT) | instid1(VALU_DEP_1)
	v_lshl_add_u32 v4, v5, 23, 0x3b800000
	v_or3_b32 v4, v1, v4, v3
.LBB158_1773:
	s_or_b32 exec_lo, exec_lo, s35
.LBB158_1774:
	v_mov_b32_e32 v5, 0
	s_mov_b32 s34, -1
.LBB158_1775:
	s_branch .LBB158_1807
.LBB158_1776:
	s_cmp_gt_i32 s30, 22
	s_cbranch_scc0 .LBB158_1784
; %bb.1777:
	s_cmp_lt_i32 s30, 24
	s_cbranch_scc1 .LBB158_1785
; %bb.1778:
	s_cmp_gt_i32 s30, 24
	s_cbranch_scc0 .LBB158_1790
; %bb.1779:
	global_load_u8 v1, v[6:7], off
	s_mov_b32 s34, exec_lo
	s_wait_loadcnt 0x0
	v_cmpx_lt_i16_e32 0x7f, v1
	s_xor_b32 s34, exec_lo, s34
	s_cbranch_execnz .LBB158_1874
; %bb.1780:
	s_or_saveexec_b32 s34, s34
	v_mov_b32_e32 v4, 0x7f800001
	s_xor_b32 exec_lo, exec_lo, s34
	s_cbranch_execnz .LBB158_1877
.LBB158_1781:
	s_or_b32 exec_lo, exec_lo, s34
	s_and_saveexec_b32 s34, s33
	s_cbranch_execz .LBB158_1783
.LBB158_1782:
	v_and_b32_e32 v3, 0xffff, v1
	s_delay_alu instid0(VALU_DEP_1) | instskip(SKIP_1) | instid1(VALU_DEP_2)
	v_and_b32_e32 v4, 3, v3
	v_bfe_u32 v9, v3, 2, 5
	v_clz_i32_u32_e32 v5, v4
	s_delay_alu instid0(VALU_DEP_2) | instskip(NEXT) | instid1(VALU_DEP_2)
	v_cmp_eq_u32_e32 vcc_lo, 0, v9
	v_min_u32_e32 v5, 32, v5
	s_delay_alu instid0(VALU_DEP_1) | instskip(NEXT) | instid1(VALU_DEP_1)
	v_subrev_nc_u32_e32 v8, 29, v5
	v_dual_lshlrev_b32 v3, v8, v3 :: v_dual_sub_nc_u32 v5, 30, v5
	s_delay_alu instid0(VALU_DEP_1) | instskip(NEXT) | instid1(VALU_DEP_1)
	v_dual_lshlrev_b32 v1, 24, v1 :: v_dual_bitop2_b32 v3, 3, v3 bitop3:0x40
	v_dual_cndmask_b32 v3, v4, v3, vcc_lo :: v_dual_cndmask_b32 v5, v9, v5, vcc_lo
	s_delay_alu instid0(VALU_DEP_2) | instskip(NEXT) | instid1(VALU_DEP_2)
	v_and_b32_e32 v1, 0x80000000, v1
	v_lshlrev_b32_e32 v3, 21, v3
	s_delay_alu instid0(VALU_DEP_3) | instskip(NEXT) | instid1(VALU_DEP_1)
	v_lshl_add_u32 v4, v5, 23, 0x37800000
	v_or3_b32 v4, v1, v4, v3
.LBB158_1783:
	s_or_b32 exec_lo, exec_lo, s34
	s_mov_b32 s33, 0
	s_branch .LBB158_1791
.LBB158_1784:
	s_mov_b32 s33, -1
                                        ; implicit-def: $vgpr4
	s_branch .LBB158_1797
.LBB158_1785:
	s_mov_b32 s33, -1
                                        ; implicit-def: $vgpr4
	s_branch .LBB158_1794
.LBB158_1786:
	s_mov_b32 s34, -1
	s_mov_b32 s36, exec_lo
	v_cmpx_eq_u16_e32 0x80, v1
; %bb.1787:
	s_xor_b32 s34, exec_lo, -1
; %bb.1788:
	s_or_b32 exec_lo, exec_lo, s36
	s_delay_alu instid0(SALU_CYCLE_1)
	s_and_b32 s34, s34, exec_lo
	s_or_saveexec_b32 s35, s35
	v_mov_b32_e32 v4, 0x7f800001
	s_xor_b32 exec_lo, exec_lo, s35
	s_cbranch_execz .LBB158_1771
.LBB158_1789:
	v_cmp_ne_u16_e32 vcc_lo, 0, v1
	v_mov_b32_e32 v4, 0
	s_and_not1_b32 s34, s34, exec_lo
	s_and_b32 s36, vcc_lo, exec_lo
	s_delay_alu instid0(SALU_CYCLE_1)
	s_or_b32 s34, s34, s36
	s_or_b32 exec_lo, exec_lo, s35
	s_and_saveexec_b32 s35, s34
	s_cbranch_execnz .LBB158_1772
	s_branch .LBB158_1773
.LBB158_1790:
	s_mov_b32 s33, -1
                                        ; implicit-def: $vgpr4
.LBB158_1791:
	s_delay_alu instid0(SALU_CYCLE_1)
	s_and_b32 vcc_lo, exec_lo, s33
	s_cbranch_vccz .LBB158_1793
; %bb.1792:
	global_load_u8 v1, v[6:7], off
	s_wait_loadcnt 0x0
	v_lshlrev_b32_e32 v1, 24, v1
	s_delay_alu instid0(VALU_DEP_1) | instskip(NEXT) | instid1(VALU_DEP_1)
	v_and_b32_e32 v3, 0x7f000000, v1
	v_clz_i32_u32_e32 v4, v3
	v_cmp_ne_u32_e32 vcc_lo, 0, v3
	v_add_nc_u32_e32 v8, 0x1000000, v3
	s_delay_alu instid0(VALU_DEP_3) | instskip(NEXT) | instid1(VALU_DEP_1)
	v_min_u32_e32 v4, 32, v4
	v_sub_nc_u32_e64 v4, v4, 4 clamp
	s_delay_alu instid0(VALU_DEP_1) | instskip(NEXT) | instid1(VALU_DEP_1)
	v_dual_lshlrev_b32 v5, v4, v3 :: v_dual_lshlrev_b32 v4, 23, v4
	v_lshrrev_b32_e32 v5, 4, v5
	s_delay_alu instid0(VALU_DEP_1) | instskip(SKIP_1) | instid1(VALU_DEP_2)
	v_sub_nc_u32_e32 v4, v5, v4
	v_ashrrev_i32_e32 v5, 8, v8
	v_add_nc_u32_e32 v4, 0x3c000000, v4
	s_delay_alu instid0(VALU_DEP_1) | instskip(NEXT) | instid1(VALU_DEP_1)
	v_and_or_b32 v4, 0x7f800000, v5, v4
	v_cndmask_b32_e32 v3, 0, v4, vcc_lo
	s_delay_alu instid0(VALU_DEP_1)
	v_and_or_b32 v4, 0x80000000, v1, v3
.LBB158_1793:
	s_mov_b32 s33, 0
.LBB158_1794:
	s_delay_alu instid0(SALU_CYCLE_1)
	s_and_not1_b32 vcc_lo, exec_lo, s33
	s_cbranch_vccnz .LBB158_1796
; %bb.1795:
	global_load_u8 v1, v[6:7], off
	s_wait_loadcnt 0x0
	v_lshlrev_b32_e32 v3, 25, v1
	v_lshlrev_b16 v1, 8, v1
	s_delay_alu instid0(VALU_DEP_1) | instskip(NEXT) | instid1(VALU_DEP_3)
	v_and_or_b32 v5, 0x7f00, v1, 0.5
	v_lshrrev_b32_e32 v4, 4, v3
	v_bfe_i32 v1, v1, 0, 16
	s_delay_alu instid0(VALU_DEP_3) | instskip(NEXT) | instid1(VALU_DEP_3)
	v_add_f32_e32 v5, -0.5, v5
	v_or_b32_e32 v4, 0x70000000, v4
	s_delay_alu instid0(VALU_DEP_1) | instskip(SKIP_1) | instid1(VALU_DEP_2)
	v_mul_f32_e32 v4, 0x7800000, v4
	v_cmp_gt_u32_e32 vcc_lo, 0x8000000, v3
	v_cndmask_b32_e32 v3, v4, v5, vcc_lo
	s_delay_alu instid0(VALU_DEP_1)
	v_and_or_b32 v4, 0x80000000, v1, v3
.LBB158_1796:
	s_mov_b32 s33, 0
	s_mov_b32 s34, -1
.LBB158_1797:
	s_and_not1_b32 vcc_lo, exec_lo, s33
	s_mov_b32 s33, 0
	s_cbranch_vccnz .LBB158_1806
; %bb.1798:
	s_cmp_gt_i32 s30, 14
	s_cbranch_scc0 .LBB158_1801
; %bb.1799:
	s_cmp_eq_u32 s30, 15
	s_cbranch_scc0 .LBB158_1802
; %bb.1800:
	global_load_u16 v1, v[6:7], off
	s_mov_b32 s31, 0
	s_mov_b32 s34, -1
	s_wait_loadcnt 0x0
	v_lshlrev_b32_e32 v4, 16, v1
	s_branch .LBB158_1804
.LBB158_1801:
	s_mov_b32 s33, -1
	s_branch .LBB158_1803
.LBB158_1802:
	s_mov_b32 s31, -1
.LBB158_1803:
                                        ; implicit-def: $vgpr4
.LBB158_1804:
	s_and_b32 vcc_lo, exec_lo, s33
	s_mov_b32 s33, 0
	s_cbranch_vccz .LBB158_1806
; %bb.1805:
	s_cmp_lg_u32 s30, 11
	s_mov_b32 s33, -1
	s_cselect_b32 s30, -1, 0
	s_and_not1_b32 s31, s31, exec_lo
	s_and_b32 s30, s30, exec_lo
	s_delay_alu instid0(SALU_CYCLE_1)
	s_or_b32 s31, s31, s30
.LBB158_1806:
	v_mov_b32_e32 v5, 0
.LBB158_1807:
	s_mov_b32 s35, 0
.LBB158_1808:
	s_and_b32 s30, s34, exec_lo
	s_and_b32 s34, s35, exec_lo
	s_and_not1_b32 s28, s28, exec_lo
	s_and_b32 s35, s31, exec_lo
	s_and_b32 s31, s33, exec_lo
	s_or_b32 s28, s28, s35
	s_wait_xcnt 0x0
	s_or_b32 exec_lo, exec_lo, s29
	s_and_saveexec_b32 s29, s28
	s_cbranch_execz .LBB158_1731
.LBB158_1809:
	s_or_b32 s26, s26, exec_lo
	s_and_not1_b32 s31, s31, exec_lo
	s_trap 2
	s_or_b32 exec_lo, exec_lo, s29
	s_and_saveexec_b32 s28, s31
	s_delay_alu instid0(SALU_CYCLE_1)
	s_xor_b32 s28, exec_lo, s28
	s_cbranch_execz .LBB158_1732
.LBB158_1810:
	global_load_u8 v1, v[6:7], off
	s_wait_loadcnt 0x1
	v_mov_b32_e32 v5, 0
	s_or_b32 s30, s30, exec_lo
	s_wait_loadcnt 0x0
	v_cmp_ne_u16_e32 vcc_lo, 0, v1
	v_cndmask_b32_e64 v4, 0, 1.0, vcc_lo
	s_wait_xcnt 0x0
	s_or_b32 exec_lo, exec_lo, s28
	s_and_saveexec_b32 s28, s34
	s_cbranch_execz .LBB158_1858
.LBB158_1811:
	s_sext_i32_i16 s29, s0
	s_delay_alu instid0(SALU_CYCLE_1)
	s_cmp_lt_i32 s29, 5
	s_cbranch_scc1 .LBB158_1816
; %bb.1812:
	s_cmp_lt_i32 s29, 8
	s_cbranch_scc1 .LBB158_1817
; %bb.1813:
	;; [unrolled: 3-line block ×3, first 2 shown]
	s_cmp_gt_i32 s29, 9
	s_cbranch_scc0 .LBB158_1819
; %bb.1815:
	s_wait_loadcnt 0x0
	global_load_b128 v[8:11], v[6:7], off
	s_mov_b32 s29, 0
	s_wait_loadcnt 0x0
	v_cvt_f32_f64_e32 v4, v[8:9]
	v_cvt_f32_f64_e32 v5, v[10:11]
	s_branch .LBB158_1820
.LBB158_1816:
                                        ; implicit-def: $vgpr5
	s_branch .LBB158_1838
.LBB158_1817:
                                        ; implicit-def: $vgpr5
	s_branch .LBB158_1826
.LBB158_1818:
	s_mov_b32 s29, -1
                                        ; implicit-def: $vgpr5
	s_branch .LBB158_1823
.LBB158_1819:
	s_mov_b32 s29, -1
                                        ; implicit-def: $vgpr5
.LBB158_1820:
	s_delay_alu instid0(SALU_CYCLE_1)
	s_and_not1_b32 vcc_lo, exec_lo, s29
	s_cbranch_vccnz .LBB158_1822
; %bb.1821:
	s_wait_loadcnt 0x0
	global_load_b64 v[4:5], v[6:7], off
.LBB158_1822:
	s_mov_b32 s29, 0
.LBB158_1823:
	s_delay_alu instid0(SALU_CYCLE_1)
	s_and_not1_b32 vcc_lo, exec_lo, s29
	s_cbranch_vccnz .LBB158_1825
; %bb.1824:
	global_load_b32 v1, v[6:7], off
	s_wait_loadcnt 0x0
	v_lshrrev_b32_e32 v3, 16, v1
	v_cvt_f32_f16_e32 v4, v1
	s_delay_alu instid0(VALU_DEP_2)
	v_cvt_f32_f16_e32 v5, v3
.LBB158_1825:
	s_cbranch_execnz .LBB158_1837
.LBB158_1826:
	s_sext_i32_i16 s29, s0
	s_delay_alu instid0(SALU_CYCLE_1)
	s_cmp_lt_i32 s29, 6
	s_cbranch_scc1 .LBB158_1829
; %bb.1827:
	s_cmp_gt_i32 s29, 6
	s_cbranch_scc0 .LBB158_1830
; %bb.1828:
	s_wait_loadcnt 0x0
	global_load_b64 v[4:5], v[6:7], off
	s_mov_b32 s29, 0
	s_wait_loadcnt 0x0
	v_cvt_f32_f64_e32 v4, v[4:5]
	s_branch .LBB158_1831
.LBB158_1829:
	s_mov_b32 s29, -1
                                        ; implicit-def: $vgpr4
	s_branch .LBB158_1834
.LBB158_1830:
	s_mov_b32 s29, -1
                                        ; implicit-def: $vgpr4
.LBB158_1831:
	s_delay_alu instid0(SALU_CYCLE_1)
	s_and_not1_b32 vcc_lo, exec_lo, s29
	s_cbranch_vccnz .LBB158_1833
; %bb.1832:
	s_wait_loadcnt 0x0
	global_load_b32 v4, v[6:7], off
.LBB158_1833:
	s_mov_b32 s29, 0
.LBB158_1834:
	s_delay_alu instid0(SALU_CYCLE_1)
	s_and_not1_b32 vcc_lo, exec_lo, s29
	s_cbranch_vccnz .LBB158_1836
; %bb.1835:
	global_load_u16 v1, v[6:7], off
	s_wait_loadcnt 0x0
	v_cvt_f32_f16_e32 v4, v1
.LBB158_1836:
	s_wait_loadcnt 0x0
	v_mov_b32_e32 v5, 0
.LBB158_1837:
	s_cbranch_execnz .LBB158_1857
.LBB158_1838:
	s_sext_i32_i16 s29, s0
	s_delay_alu instid0(SALU_CYCLE_1)
	s_cmp_lt_i32 s29, 2
	s_cbranch_scc1 .LBB158_1842
; %bb.1839:
	s_cmp_lt_i32 s29, 3
	s_cbranch_scc1 .LBB158_1843
; %bb.1840:
	s_cmp_gt_i32 s29, 3
	s_cbranch_scc0 .LBB158_1844
; %bb.1841:
	s_wait_loadcnt 0x0
	global_load_b64 v[4:5], v[6:7], off
	s_mov_b32 s29, 0
	s_wait_loadcnt 0x0
	v_xor_b32_e32 v1, v4, v5
	v_cls_i32_e32 v3, v5
	s_delay_alu instid0(VALU_DEP_2) | instskip(NEXT) | instid1(VALU_DEP_1)
	v_ashrrev_i32_e32 v1, 31, v1
	v_add_nc_u32_e32 v1, 32, v1
	s_delay_alu instid0(VALU_DEP_1) | instskip(NEXT) | instid1(VALU_DEP_1)
	v_add_min_u32_e64 v1, v3, -1, v1
	v_lshlrev_b64_e32 v[4:5], v1, v[4:5]
	v_sub_nc_u32_e32 v1, 32, v1
	s_delay_alu instid0(VALU_DEP_2) | instskip(NEXT) | instid1(VALU_DEP_1)
	v_min_u32_e32 v3, 1, v4
	v_or_b32_e32 v3, v5, v3
	s_delay_alu instid0(VALU_DEP_1) | instskip(NEXT) | instid1(VALU_DEP_1)
	v_cvt_f32_i32_e32 v3, v3
	v_ldexp_f32 v4, v3, v1
	s_branch .LBB158_1845
.LBB158_1842:
                                        ; implicit-def: $vgpr4
	s_branch .LBB158_1851
.LBB158_1843:
	s_mov_b32 s29, -1
                                        ; implicit-def: $vgpr4
	s_branch .LBB158_1848
.LBB158_1844:
	s_mov_b32 s29, -1
                                        ; implicit-def: $vgpr4
.LBB158_1845:
	s_delay_alu instid0(SALU_CYCLE_1)
	s_and_not1_b32 vcc_lo, exec_lo, s29
	s_cbranch_vccnz .LBB158_1847
; %bb.1846:
	global_load_b32 v1, v[6:7], off
	s_wait_loadcnt 0x0
	v_cvt_f32_i32_e32 v4, v1
.LBB158_1847:
	s_mov_b32 s29, 0
.LBB158_1848:
	s_delay_alu instid0(SALU_CYCLE_1)
	s_and_not1_b32 vcc_lo, exec_lo, s29
	s_cbranch_vccnz .LBB158_1850
; %bb.1849:
	global_load_i16 v1, v[6:7], off
	s_wait_loadcnt 0x0
	v_cvt_f32_i32_e32 v4, v1
.LBB158_1850:
	s_cbranch_execnz .LBB158_1856
.LBB158_1851:
	s_sext_i32_i16 s0, s0
	s_delay_alu instid0(SALU_CYCLE_1)
	s_cmp_gt_i32 s0, 0
	s_mov_b32 s0, 0
	s_cbranch_scc0 .LBB158_1853
; %bb.1852:
	global_load_i8 v1, v[6:7], off
	s_wait_loadcnt 0x0
	v_cvt_f32_i32_e32 v4, v1
	s_branch .LBB158_1854
.LBB158_1853:
	s_mov_b32 s0, -1
                                        ; implicit-def: $vgpr4
.LBB158_1854:
	s_delay_alu instid0(SALU_CYCLE_1)
	s_and_not1_b32 vcc_lo, exec_lo, s0
	s_cbranch_vccnz .LBB158_1856
; %bb.1855:
	global_load_u8 v1, v[6:7], off
	s_wait_loadcnt 0x0
	v_cvt_f32_ubyte0_e32 v4, v1
.LBB158_1856:
	s_wait_loadcnt 0x0
	v_mov_b32_e32 v5, 0
.LBB158_1857:
	s_or_b32 s30, s30, exec_lo
.LBB158_1858:
	s_wait_xcnt 0x0
	s_or_b32 exec_lo, exec_lo, s28
	s_mov_b32 s29, 0
	s_mov_b32 s28, 0
	;; [unrolled: 1-line block ×3, first 2 shown]
                                        ; implicit-def: $vgpr6_vgpr7
                                        ; implicit-def: $vgpr11
	s_and_saveexec_b32 s0, s30
	s_cbranch_execnz .LBB158_1862
; %bb.1859:
	s_or_b32 exec_lo, exec_lo, s0
	s_and_saveexec_b32 s0, s27
	s_cbranch_execnz .LBB158_1942
.LBB158_1860:
	s_or_b32 exec_lo, exec_lo, s0
	s_and_saveexec_b32 s0, s29
	s_delay_alu instid0(SALU_CYCLE_1)
	s_xor_b32 s0, exec_lo, s0
	s_cbranch_execnz .LBB158_1943
.LBB158_1861:
	s_or_b32 exec_lo, exec_lo, s0
	s_and_saveexec_b32 s0, s28
	s_cbranch_execnz .LBB158_1944
	s_branch .LBB158_1991
.LBB158_1862:
	v_mul_lo_u32 v6, v34, s15
	s_and_b32 s28, 0xffff, s1
	s_delay_alu instid0(SALU_CYCLE_1) | instskip(NEXT) | instid1(VALU_DEP_1)
	s_cmp_lt_i32 s28, 11
	v_ashrrev_i32_e32 v7, 31, v6
	s_delay_alu instid0(VALU_DEP_1)
	v_add_nc_u64_e32 v[6:7], s[10:11], v[6:7]
	s_cbranch_scc1 .LBB158_1869
; %bb.1863:
	s_cmp_gt_i32 s28, 25
	s_mov_b32 s30, 0
	s_cbranch_scc0 .LBB158_1870
; %bb.1864:
	s_cmp_gt_i32 s28, 28
	s_cbranch_scc0 .LBB158_1871
; %bb.1865:
	s_cmp_gt_i32 s28, 43
	;; [unrolled: 3-line block ×3, first 2 shown]
	s_cbranch_scc0 .LBB158_1873
; %bb.1867:
	s_cmp_eq_u32 s28, 46
	s_mov_b32 s33, 0
	s_cbranch_scc0 .LBB158_1878
; %bb.1868:
	global_load_b32 v1, v[6:7], off
	s_mov_b32 s31, -1
	s_wait_loadcnt 0x0
	v_and_b32_e32 v11, 0xffff0000, v1
	v_lshlrev_b32_e32 v10, 16, v1
	s_branch .LBB158_1880
.LBB158_1869:
	s_mov_b32 s28, -1
	s_mov_b32 s30, 0
	s_mov_b32 s29, s27
                                        ; implicit-def: $vgpr11
	s_branch .LBB158_1941
.LBB158_1870:
	s_mov_b32 s29, s27
                                        ; implicit-def: $vgpr11
	s_cbranch_execnz .LBB158_1909
	s_branch .LBB158_1940
.LBB158_1871:
	s_mov_b32 s33, -1
	s_mov_b32 s29, s27
                                        ; implicit-def: $vgpr11
	s_branch .LBB158_1892
.LBB158_1872:
	s_mov_b32 s33, -1
	s_mov_b32 s29, s27
                                        ; implicit-def: $vgpr11
	s_branch .LBB158_1886
.LBB158_1873:
	s_mov_b32 s33, -1
	s_mov_b32 s29, s27
	s_branch .LBB158_1879
.LBB158_1874:
	s_mov_b32 s33, -1
	s_mov_b32 s35, exec_lo
	v_cmpx_eq_u16_e32 0x80, v1
; %bb.1875:
	s_xor_b32 s33, exec_lo, -1
; %bb.1876:
	s_or_b32 exec_lo, exec_lo, s35
	s_delay_alu instid0(SALU_CYCLE_1)
	s_and_b32 s33, s33, exec_lo
	s_or_saveexec_b32 s34, s34
	v_mov_b32_e32 v4, 0x7f800001
	s_xor_b32 exec_lo, exec_lo, s34
	s_cbranch_execz .LBB158_1781
.LBB158_1877:
	v_cmp_ne_u16_e32 vcc_lo, 0, v1
	v_mov_b32_e32 v4, 0
	s_and_not1_b32 s33, s33, exec_lo
	s_and_b32 s35, vcc_lo, exec_lo
	s_delay_alu instid0(SALU_CYCLE_1)
	s_or_b32 s33, s33, s35
	s_or_b32 exec_lo, exec_lo, s34
	s_and_saveexec_b32 s34, s33
	s_cbranch_execnz .LBB158_1782
	s_branch .LBB158_1783
.LBB158_1878:
	s_mov_b32 s29, -1
.LBB158_1879:
                                        ; implicit-def: $vgpr11
.LBB158_1880:
	s_and_b32 vcc_lo, exec_lo, s33
	s_cbranch_vccz .LBB158_1885
; %bb.1881:
	s_cmp_eq_u32 s28, 44
	s_cbranch_scc0 .LBB158_1883
; %bb.1882:
	global_load_u8 v1, v[6:7], off
	s_mov_b32 s29, 0
	s_mov_b32 s31, -1
	s_wait_loadcnt 0x0
	v_lshlrev_b32_e32 v3, 23, v1
	v_cmp_ne_u32_e32 vcc_lo, 0xff, v1
	s_delay_alu instid0(VALU_DEP_2) | instskip(SKIP_1) | instid1(VALU_DEP_2)
	v_cndmask_b32_e32 v3, 0x7f800001, v3, vcc_lo
	v_cmp_ne_u32_e32 vcc_lo, 0, v1
	v_cndmask_b32_e32 v10, 0x400000, v3, vcc_lo
	s_branch .LBB158_1884
.LBB158_1883:
	s_mov_b32 s29, -1
                                        ; implicit-def: $vgpr10
.LBB158_1884:
	v_mov_b32_e32 v11, 0
.LBB158_1885:
	s_mov_b32 s33, 0
.LBB158_1886:
	s_delay_alu instid0(SALU_CYCLE_1)
	s_and_b32 vcc_lo, exec_lo, s33
	s_cbranch_vccz .LBB158_1891
; %bb.1887:
	s_cmp_eq_u32 s28, 29
	s_cbranch_scc0 .LBB158_1889
; %bb.1888:
	s_wait_loadcnt 0x0
	global_load_b64 v[8:9], v[6:7], off
	s_mov_b32 s29, 0
	s_mov_b32 s31, -1
	s_wait_loadcnt 0x0
	v_clz_i32_u32_e32 v1, v9
	s_delay_alu instid0(VALU_DEP_1) | instskip(NEXT) | instid1(VALU_DEP_1)
	v_min_u32_e32 v1, 32, v1
	v_lshlrev_b64_e32 v[8:9], v1, v[8:9]
	v_sub_nc_u32_e32 v1, 32, v1
	s_delay_alu instid0(VALU_DEP_2) | instskip(NEXT) | instid1(VALU_DEP_1)
	v_min_u32_e32 v3, 1, v8
	v_or_b32_e32 v3, v9, v3
	s_delay_alu instid0(VALU_DEP_1) | instskip(NEXT) | instid1(VALU_DEP_1)
	v_cvt_f32_u32_e32 v3, v3
	v_ldexp_f32 v10, v3, v1
	s_branch .LBB158_1890
.LBB158_1889:
	s_mov_b32 s29, -1
                                        ; implicit-def: $vgpr10
.LBB158_1890:
	v_mov_b32_e32 v11, 0
.LBB158_1891:
	s_mov_b32 s33, 0
.LBB158_1892:
	s_delay_alu instid0(SALU_CYCLE_1)
	s_and_b32 vcc_lo, exec_lo, s33
	s_cbranch_vccz .LBB158_1908
; %bb.1893:
	s_cmp_lt_i32 s28, 27
	s_cbranch_scc1 .LBB158_1896
; %bb.1894:
	s_cmp_gt_i32 s28, 27
	s_cbranch_scc0 .LBB158_1897
; %bb.1895:
	global_load_b32 v1, v[6:7], off
	s_mov_b32 s31, 0
	s_wait_loadcnt 0x0
	v_cvt_f32_u32_e32 v10, v1
	s_branch .LBB158_1898
.LBB158_1896:
	s_mov_b32 s31, -1
                                        ; implicit-def: $vgpr10
	s_branch .LBB158_1901
.LBB158_1897:
	s_mov_b32 s31, -1
                                        ; implicit-def: $vgpr10
.LBB158_1898:
	s_delay_alu instid0(SALU_CYCLE_1)
	s_and_not1_b32 vcc_lo, exec_lo, s31
	s_cbranch_vccnz .LBB158_1900
; %bb.1899:
	global_load_u16 v1, v[6:7], off
	s_wait_loadcnt 0x0
	v_cvt_f32_u32_e32 v10, v1
.LBB158_1900:
	s_mov_b32 s31, 0
.LBB158_1901:
	s_delay_alu instid0(SALU_CYCLE_1)
	s_and_not1_b32 vcc_lo, exec_lo, s31
	s_cbranch_vccnz .LBB158_1907
; %bb.1902:
	global_load_u8 v1, v[6:7], off
	s_mov_b32 s31, 0
	s_mov_b32 s33, exec_lo
	s_wait_loadcnt 0x0
	v_cmpx_lt_i16_e32 0x7f, v1
	s_xor_b32 s33, exec_lo, s33
	s_cbranch_execnz .LBB158_1919
; %bb.1903:
	s_or_saveexec_b32 s33, s33
	v_mov_b32_e32 v10, 0x7f800001
	s_xor_b32 exec_lo, exec_lo, s33
	s_cbranch_execnz .LBB158_1922
.LBB158_1904:
	s_or_b32 exec_lo, exec_lo, s33
	s_and_saveexec_b32 s33, s31
	s_cbranch_execz .LBB158_1906
.LBB158_1905:
	v_and_b32_e32 v3, 0xffff, v1
	s_delay_alu instid0(VALU_DEP_1) | instskip(SKIP_1) | instid1(VALU_DEP_2)
	v_and_b32_e32 v8, 7, v3
	v_bfe_u32 v11, v3, 3, 4
	v_clz_i32_u32_e32 v9, v8
	s_delay_alu instid0(VALU_DEP_2) | instskip(NEXT) | instid1(VALU_DEP_2)
	v_cmp_eq_u32_e32 vcc_lo, 0, v11
	v_min_u32_e32 v9, 32, v9
	s_delay_alu instid0(VALU_DEP_1) | instskip(NEXT) | instid1(VALU_DEP_1)
	v_subrev_nc_u32_e32 v10, 28, v9
	v_dual_lshlrev_b32 v3, v10, v3 :: v_dual_sub_nc_u32 v9, 29, v9
	s_delay_alu instid0(VALU_DEP_1) | instskip(NEXT) | instid1(VALU_DEP_1)
	v_dual_lshlrev_b32 v1, 24, v1 :: v_dual_bitop2_b32 v3, 7, v3 bitop3:0x40
	v_dual_cndmask_b32 v3, v8, v3, vcc_lo :: v_dual_cndmask_b32 v9, v11, v9, vcc_lo
	s_delay_alu instid0(VALU_DEP_2) | instskip(NEXT) | instid1(VALU_DEP_2)
	v_and_b32_e32 v1, 0x80000000, v1
	v_lshlrev_b32_e32 v3, 20, v3
	s_delay_alu instid0(VALU_DEP_3) | instskip(NEXT) | instid1(VALU_DEP_1)
	v_lshl_add_u32 v8, v9, 23, 0x3b800000
	v_or3_b32 v10, v1, v8, v3
.LBB158_1906:
	s_or_b32 exec_lo, exec_lo, s33
.LBB158_1907:
	v_mov_b32_e32 v11, 0
	s_mov_b32 s31, -1
.LBB158_1908:
	s_branch .LBB158_1940
.LBB158_1909:
	s_cmp_gt_i32 s28, 22
	s_cbranch_scc0 .LBB158_1917
; %bb.1910:
	s_cmp_lt_i32 s28, 24
	s_cbranch_scc1 .LBB158_1918
; %bb.1911:
	s_cmp_gt_i32 s28, 24
	s_cbranch_scc0 .LBB158_1923
; %bb.1912:
	global_load_u8 v1, v[6:7], off
	s_mov_b32 s31, exec_lo
	s_wait_loadcnt 0x0
	v_cmpx_lt_i16_e32 0x7f, v1
	s_xor_b32 s31, exec_lo, s31
	s_cbranch_execnz .LBB158_2003
; %bb.1913:
	s_or_saveexec_b32 s31, s31
	v_mov_b32_e32 v10, 0x7f800001
	s_xor_b32 exec_lo, exec_lo, s31
	s_cbranch_execnz .LBB158_2006
.LBB158_1914:
	s_or_b32 exec_lo, exec_lo, s31
	s_and_saveexec_b32 s31, s30
	s_cbranch_execz .LBB158_1916
.LBB158_1915:
	v_and_b32_e32 v3, 0xffff, v1
	s_delay_alu instid0(VALU_DEP_1) | instskip(SKIP_1) | instid1(VALU_DEP_2)
	v_and_b32_e32 v8, 3, v3
	v_bfe_u32 v11, v3, 2, 5
	v_clz_i32_u32_e32 v9, v8
	s_delay_alu instid0(VALU_DEP_2) | instskip(NEXT) | instid1(VALU_DEP_2)
	v_cmp_eq_u32_e32 vcc_lo, 0, v11
	v_min_u32_e32 v9, 32, v9
	s_delay_alu instid0(VALU_DEP_1) | instskip(NEXT) | instid1(VALU_DEP_1)
	v_subrev_nc_u32_e32 v10, 29, v9
	v_dual_lshlrev_b32 v3, v10, v3 :: v_dual_sub_nc_u32 v9, 30, v9
	s_delay_alu instid0(VALU_DEP_1) | instskip(NEXT) | instid1(VALU_DEP_1)
	v_dual_lshlrev_b32 v1, 24, v1 :: v_dual_bitop2_b32 v3, 3, v3 bitop3:0x40
	v_dual_cndmask_b32 v3, v8, v3, vcc_lo :: v_dual_cndmask_b32 v9, v11, v9, vcc_lo
	s_delay_alu instid0(VALU_DEP_2) | instskip(NEXT) | instid1(VALU_DEP_2)
	v_and_b32_e32 v1, 0x80000000, v1
	v_lshlrev_b32_e32 v3, 21, v3
	s_delay_alu instid0(VALU_DEP_3) | instskip(NEXT) | instid1(VALU_DEP_1)
	v_lshl_add_u32 v8, v9, 23, 0x37800000
	v_or3_b32 v10, v1, v8, v3
.LBB158_1916:
	s_or_b32 exec_lo, exec_lo, s31
	s_mov_b32 s30, 0
	s_branch .LBB158_1924
.LBB158_1917:
	s_mov_b32 s30, -1
                                        ; implicit-def: $vgpr10
	s_branch .LBB158_1930
.LBB158_1918:
	s_mov_b32 s30, -1
                                        ; implicit-def: $vgpr10
	s_branch .LBB158_1927
.LBB158_1919:
	s_mov_b32 s31, -1
	s_mov_b32 s34, exec_lo
	v_cmpx_eq_u16_e32 0x80, v1
; %bb.1920:
	s_xor_b32 s31, exec_lo, -1
; %bb.1921:
	s_or_b32 exec_lo, exec_lo, s34
	s_delay_alu instid0(SALU_CYCLE_1)
	s_and_b32 s31, s31, exec_lo
	s_or_saveexec_b32 s33, s33
	v_mov_b32_e32 v10, 0x7f800001
	s_xor_b32 exec_lo, exec_lo, s33
	s_cbranch_execz .LBB158_1904
.LBB158_1922:
	v_cmp_ne_u16_e32 vcc_lo, 0, v1
	v_mov_b32_e32 v10, 0
	s_and_not1_b32 s31, s31, exec_lo
	s_and_b32 s34, vcc_lo, exec_lo
	s_delay_alu instid0(SALU_CYCLE_1)
	s_or_b32 s31, s31, s34
	s_or_b32 exec_lo, exec_lo, s33
	s_and_saveexec_b32 s33, s31
	s_cbranch_execnz .LBB158_1905
	s_branch .LBB158_1906
.LBB158_1923:
	s_mov_b32 s30, -1
                                        ; implicit-def: $vgpr10
.LBB158_1924:
	s_delay_alu instid0(SALU_CYCLE_1)
	s_and_b32 vcc_lo, exec_lo, s30
	s_cbranch_vccz .LBB158_1926
; %bb.1925:
	global_load_u8 v1, v[6:7], off
	s_wait_loadcnt 0x0
	v_lshlrev_b32_e32 v1, 24, v1
	s_delay_alu instid0(VALU_DEP_1) | instskip(NEXT) | instid1(VALU_DEP_1)
	v_and_b32_e32 v3, 0x7f000000, v1
	v_clz_i32_u32_e32 v8, v3
	v_cmp_ne_u32_e32 vcc_lo, 0, v3
	v_add_nc_u32_e32 v10, 0x1000000, v3
	s_delay_alu instid0(VALU_DEP_3) | instskip(NEXT) | instid1(VALU_DEP_1)
	v_min_u32_e32 v8, 32, v8
	v_sub_nc_u32_e64 v8, v8, 4 clamp
	s_delay_alu instid0(VALU_DEP_1) | instskip(NEXT) | instid1(VALU_DEP_1)
	v_dual_lshlrev_b32 v9, v8, v3 :: v_dual_lshlrev_b32 v8, 23, v8
	v_lshrrev_b32_e32 v9, 4, v9
	s_delay_alu instid0(VALU_DEP_1) | instskip(NEXT) | instid1(VALU_DEP_1)
	v_dual_sub_nc_u32 v8, v9, v8 :: v_dual_ashrrev_i32 v9, 8, v10
	v_add_nc_u32_e32 v8, 0x3c000000, v8
	s_delay_alu instid0(VALU_DEP_1) | instskip(NEXT) | instid1(VALU_DEP_1)
	v_and_or_b32 v8, 0x7f800000, v9, v8
	v_cndmask_b32_e32 v3, 0, v8, vcc_lo
	s_delay_alu instid0(VALU_DEP_1)
	v_and_or_b32 v10, 0x80000000, v1, v3
.LBB158_1926:
	s_mov_b32 s30, 0
.LBB158_1927:
	s_delay_alu instid0(SALU_CYCLE_1)
	s_and_not1_b32 vcc_lo, exec_lo, s30
	s_cbranch_vccnz .LBB158_1929
; %bb.1928:
	global_load_u8 v1, v[6:7], off
	s_wait_loadcnt 0x0
	v_lshlrev_b32_e32 v3, 25, v1
	v_lshlrev_b16 v1, 8, v1
	s_delay_alu instid0(VALU_DEP_1) | instskip(NEXT) | instid1(VALU_DEP_3)
	v_and_or_b32 v9, 0x7f00, v1, 0.5
	v_lshrrev_b32_e32 v8, 4, v3
	v_bfe_i32 v1, v1, 0, 16
	s_delay_alu instid0(VALU_DEP_3) | instskip(NEXT) | instid1(VALU_DEP_3)
	v_add_f32_e32 v9, -0.5, v9
	v_or_b32_e32 v8, 0x70000000, v8
	s_delay_alu instid0(VALU_DEP_1) | instskip(SKIP_1) | instid1(VALU_DEP_2)
	v_mul_f32_e32 v8, 0x7800000, v8
	v_cmp_gt_u32_e32 vcc_lo, 0x8000000, v3
	v_cndmask_b32_e32 v3, v8, v9, vcc_lo
	s_delay_alu instid0(VALU_DEP_1)
	v_and_or_b32 v10, 0x80000000, v1, v3
.LBB158_1929:
	s_mov_b32 s30, 0
	s_mov_b32 s31, -1
.LBB158_1930:
	s_and_not1_b32 vcc_lo, exec_lo, s30
	s_mov_b32 s30, 0
	s_cbranch_vccnz .LBB158_1939
; %bb.1931:
	s_cmp_gt_i32 s28, 14
	s_cbranch_scc0 .LBB158_1934
; %bb.1932:
	s_cmp_eq_u32 s28, 15
	s_cbranch_scc0 .LBB158_1935
; %bb.1933:
	global_load_u16 v1, v[6:7], off
	s_mov_b32 s29, 0
	s_mov_b32 s31, -1
	s_wait_loadcnt 0x0
	v_lshlrev_b32_e32 v10, 16, v1
	s_branch .LBB158_1937
.LBB158_1934:
	s_mov_b32 s30, -1
	s_branch .LBB158_1936
.LBB158_1935:
	s_mov_b32 s29, -1
.LBB158_1936:
                                        ; implicit-def: $vgpr10
.LBB158_1937:
	s_and_b32 vcc_lo, exec_lo, s30
	s_mov_b32 s30, 0
	s_cbranch_vccz .LBB158_1939
; %bb.1938:
	s_cmp_lg_u32 s28, 11
	s_mov_b32 s30, -1
	s_cselect_b32 s28, -1, 0
	s_and_not1_b32 s29, s29, exec_lo
	s_and_b32 s28, s28, exec_lo
	s_delay_alu instid0(SALU_CYCLE_1)
	s_or_b32 s29, s29, s28
.LBB158_1939:
	v_mov_b32_e32 v11, 0
.LBB158_1940:
	s_mov_b32 s28, 0
.LBB158_1941:
	s_and_not1_b32 s27, s27, exec_lo
	s_and_b32 s33, s29, exec_lo
	s_and_b32 s31, s31, exec_lo
	;; [unrolled: 1-line block ×4, first 2 shown]
	s_or_b32 s27, s27, s33
	s_wait_xcnt 0x0
	s_or_b32 exec_lo, exec_lo, s0
	s_and_saveexec_b32 s0, s27
	s_cbranch_execz .LBB158_1860
.LBB158_1942:
	s_or_b32 s26, s26, exec_lo
	s_and_not1_b32 s29, s29, exec_lo
	s_trap 2
	s_or_b32 exec_lo, exec_lo, s0
	s_and_saveexec_b32 s0, s29
	s_delay_alu instid0(SALU_CYCLE_1)
	s_xor_b32 s0, exec_lo, s0
	s_cbranch_execz .LBB158_1861
.LBB158_1943:
	global_load_u8 v1, v[6:7], off
	v_mov_b32_e32 v11, 0
	s_or_b32 s31, s31, exec_lo
	s_wait_loadcnt 0x0
	v_cmp_ne_u16_e32 vcc_lo, 0, v1
	v_cndmask_b32_e64 v10, 0, 1.0, vcc_lo
	s_wait_xcnt 0x0
	s_or_b32 exec_lo, exec_lo, s0
	s_and_saveexec_b32 s0, s28
	s_cbranch_execz .LBB158_1991
.LBB158_1944:
	s_sext_i32_i16 s27, s1
	s_delay_alu instid0(SALU_CYCLE_1)
	s_cmp_lt_i32 s27, 5
	s_cbranch_scc1 .LBB158_1949
; %bb.1945:
	s_cmp_lt_i32 s27, 8
	s_cbranch_scc1 .LBB158_1950
; %bb.1946:
	;; [unrolled: 3-line block ×3, first 2 shown]
	s_cmp_gt_i32 s27, 9
	s_cbranch_scc0 .LBB158_1952
; %bb.1948:
	global_load_b128 v[10:13], v[6:7], off
	s_mov_b32 s27, 0
	s_wait_loadcnt 0x0
	v_cvt_f32_f64_e32 v10, v[10:11]
	v_cvt_f32_f64_e32 v11, v[12:13]
	s_branch .LBB158_1953
.LBB158_1949:
                                        ; implicit-def: $vgpr11
	s_branch .LBB158_1971
.LBB158_1950:
                                        ; implicit-def: $vgpr11
	s_branch .LBB158_1959
.LBB158_1951:
	s_mov_b32 s27, -1
                                        ; implicit-def: $vgpr11
	s_branch .LBB158_1956
.LBB158_1952:
	s_mov_b32 s27, -1
                                        ; implicit-def: $vgpr11
.LBB158_1953:
	s_delay_alu instid0(SALU_CYCLE_1)
	s_and_not1_b32 vcc_lo, exec_lo, s27
	s_cbranch_vccnz .LBB158_1955
; %bb.1954:
	global_load_b64 v[10:11], v[6:7], off
.LBB158_1955:
	s_mov_b32 s27, 0
.LBB158_1956:
	s_delay_alu instid0(SALU_CYCLE_1)
	s_and_not1_b32 vcc_lo, exec_lo, s27
	s_cbranch_vccnz .LBB158_1958
; %bb.1957:
	global_load_b32 v1, v[6:7], off
	s_wait_loadcnt 0x0
	v_lshrrev_b32_e32 v3, 16, v1
	v_cvt_f32_f16_e32 v10, v1
	s_delay_alu instid0(VALU_DEP_2)
	v_cvt_f32_f16_e32 v11, v3
.LBB158_1958:
	s_cbranch_execnz .LBB158_1970
.LBB158_1959:
	s_sext_i32_i16 s27, s1
	s_delay_alu instid0(SALU_CYCLE_1)
	s_cmp_lt_i32 s27, 6
	s_cbranch_scc1 .LBB158_1962
; %bb.1960:
	s_cmp_gt_i32 s27, 6
	s_cbranch_scc0 .LBB158_1963
; %bb.1961:
	s_wait_loadcnt 0x0
	global_load_b64 v[8:9], v[6:7], off
	s_mov_b32 s27, 0
	s_wait_loadcnt 0x0
	v_cvt_f32_f64_e32 v10, v[8:9]
	s_branch .LBB158_1964
.LBB158_1962:
	s_mov_b32 s27, -1
                                        ; implicit-def: $vgpr10
	s_branch .LBB158_1967
.LBB158_1963:
	s_mov_b32 s27, -1
                                        ; implicit-def: $vgpr10
.LBB158_1964:
	s_delay_alu instid0(SALU_CYCLE_1)
	s_and_not1_b32 vcc_lo, exec_lo, s27
	s_cbranch_vccnz .LBB158_1966
; %bb.1965:
	s_wait_loadcnt 0x0
	global_load_b32 v10, v[6:7], off
.LBB158_1966:
	s_mov_b32 s27, 0
.LBB158_1967:
	s_delay_alu instid0(SALU_CYCLE_1)
	s_and_not1_b32 vcc_lo, exec_lo, s27
	s_cbranch_vccnz .LBB158_1969
; %bb.1968:
	global_load_u16 v1, v[6:7], off
	s_wait_loadcnt 0x0
	v_cvt_f32_f16_e32 v10, v1
.LBB158_1969:
	s_wait_loadcnt 0x0
	v_mov_b32_e32 v11, 0
.LBB158_1970:
	s_cbranch_execnz .LBB158_1990
.LBB158_1971:
	s_sext_i32_i16 s27, s1
	s_delay_alu instid0(SALU_CYCLE_1)
	s_cmp_lt_i32 s27, 2
	s_cbranch_scc1 .LBB158_1975
; %bb.1972:
	s_cmp_lt_i32 s27, 3
	s_cbranch_scc1 .LBB158_1976
; %bb.1973:
	s_cmp_gt_i32 s27, 3
	s_cbranch_scc0 .LBB158_1977
; %bb.1974:
	s_wait_loadcnt 0x0
	global_load_b64 v[8:9], v[6:7], off
	s_mov_b32 s27, 0
	s_wait_loadcnt 0x0
	v_xor_b32_e32 v1, v8, v9
	v_cls_i32_e32 v3, v9
	s_delay_alu instid0(VALU_DEP_2) | instskip(NEXT) | instid1(VALU_DEP_1)
	v_ashrrev_i32_e32 v1, 31, v1
	v_add_nc_u32_e32 v1, 32, v1
	s_delay_alu instid0(VALU_DEP_1) | instskip(NEXT) | instid1(VALU_DEP_1)
	v_add_min_u32_e64 v1, v3, -1, v1
	v_lshlrev_b64_e32 v[8:9], v1, v[8:9]
	v_sub_nc_u32_e32 v1, 32, v1
	s_delay_alu instid0(VALU_DEP_2) | instskip(NEXT) | instid1(VALU_DEP_1)
	v_min_u32_e32 v3, 1, v8
	v_or_b32_e32 v3, v9, v3
	s_delay_alu instid0(VALU_DEP_1) | instskip(NEXT) | instid1(VALU_DEP_1)
	v_cvt_f32_i32_e32 v3, v3
	v_ldexp_f32 v10, v3, v1
	s_branch .LBB158_1978
.LBB158_1975:
                                        ; implicit-def: $vgpr10
	s_branch .LBB158_1984
.LBB158_1976:
	s_mov_b32 s27, -1
                                        ; implicit-def: $vgpr10
	s_branch .LBB158_1981
.LBB158_1977:
	s_mov_b32 s27, -1
                                        ; implicit-def: $vgpr10
.LBB158_1978:
	s_delay_alu instid0(SALU_CYCLE_1)
	s_and_not1_b32 vcc_lo, exec_lo, s27
	s_cbranch_vccnz .LBB158_1980
; %bb.1979:
	global_load_b32 v1, v[6:7], off
	s_wait_loadcnt 0x0
	v_cvt_f32_i32_e32 v10, v1
.LBB158_1980:
	s_mov_b32 s27, 0
.LBB158_1981:
	s_delay_alu instid0(SALU_CYCLE_1)
	s_and_not1_b32 vcc_lo, exec_lo, s27
	s_cbranch_vccnz .LBB158_1983
; %bb.1982:
	global_load_i16 v1, v[6:7], off
	s_wait_loadcnt 0x0
	v_cvt_f32_i32_e32 v10, v1
.LBB158_1983:
	s_cbranch_execnz .LBB158_1989
.LBB158_1984:
	s_sext_i32_i16 s27, s1
	s_delay_alu instid0(SALU_CYCLE_1)
	s_cmp_gt_i32 s27, 0
	s_mov_b32 s27, 0
	s_cbranch_scc0 .LBB158_1986
; %bb.1985:
	global_load_i8 v1, v[6:7], off
	s_wait_loadcnt 0x0
	v_cvt_f32_i32_e32 v10, v1
	s_branch .LBB158_1987
.LBB158_1986:
	s_mov_b32 s27, -1
                                        ; implicit-def: $vgpr10
.LBB158_1987:
	s_delay_alu instid0(SALU_CYCLE_1)
	s_and_not1_b32 vcc_lo, exec_lo, s27
	s_cbranch_vccnz .LBB158_1989
; %bb.1988:
	global_load_u8 v1, v[6:7], off
	s_wait_loadcnt 0x0
	v_cvt_f32_ubyte0_e32 v10, v1
.LBB158_1989:
	s_wait_loadcnt 0x0
	v_mov_b32_e32 v11, 0
.LBB158_1990:
	s_or_b32 s31, s31, exec_lo
.LBB158_1991:
	s_wait_xcnt 0x0
	s_or_b32 exec_lo, exec_lo, s0
	s_mov_b32 s0, 0
	s_mov_b32 s29, 0
                                        ; implicit-def: $sgpr27
                                        ; implicit-def: $vgpr6_vgpr7
                                        ; implicit-def: $vgpr8
	s_and_saveexec_b32 s28, s31
	s_cbranch_execnz .LBB158_1995
; %bb.1992:
	s_or_b32 exec_lo, exec_lo, s28
	s_and_saveexec_b32 s2, s25
	s_cbranch_execnz .LBB158_2076
.LBB158_1993:
	s_or_b32 exec_lo, exec_lo, s2
	s_and_saveexec_b32 s2, s0
	s_delay_alu instid0(SALU_CYCLE_1)
	s_xor_b32 s2, exec_lo, s2
	s_cbranch_execnz .LBB158_2077
.LBB158_1994:
	s_or_b32 exec_lo, exec_lo, s2
	s_and_saveexec_b32 s0, s29
	s_delay_alu instid0(SALU_CYCLE_1)
	s_xor_b32 s0, exec_lo, s0
	s_cbranch_execnz .LBB158_2078
	s_branch .LBB158_2115
.LBB158_1995:
	v_mov_b64_e32 v[6:7], s[2:3]
	v_mov_b64_e32 v[12:13], s[16:17]
	s_wait_loadcnt 0x0
	s_delay_alu instid0(VALU_DEP_3) | instskip(SKIP_1) | instid1(SALU_CYCLE_1)
	v_dual_mov_b32 v14, v11 :: v_dual_mov_b32 v15, v10
	s_and_b32 s27, s20, 0xff
	s_cmp_lt_i32 s27, 11
	s_delay_alu instid0(VALU_DEP_3) | instskip(SKIP_2) | instid1(VALU_DEP_3)
	v_pk_mul_f32 v[8:9], v[4:5], v[6:7]
	v_pk_mul_f32 v[4:5], v[4:5], v[6:7] op_sel:[0,1] op_sel_hi:[1,0]
	v_pk_mul_f32 v[2:3], v[2:3], v[12:13] op_sel:[0,1] op_sel_hi:[0,0]
	v_add_f32_e32 v6, v8, v9
	v_mul_lo_u32 v8, v34, s12
	s_delay_alu instid0(VALU_DEP_4) | instskip(NEXT) | instid1(VALU_DEP_2)
	v_pk_add_f32 v[4:5], v[4:5], v[4:5] op_sel:[0,1] op_sel_hi:[0,1] neg_lo:[0,1] neg_hi:[0,1]
	v_ashrrev_i32_e32 v9, 31, v8
	s_delay_alu instid0(VALU_DEP_4) | instskip(SKIP_2) | instid1(VALU_DEP_3)
	v_pk_mul_f32 v[6:7], v[6:7], v[14:15] op_sel_hi:[0,1]
	v_pk_fma_f32 v[14:15], v[0:1], v[12:13], v[2:3] op_sel_hi:[0,1,1]
	v_pk_fma_f32 v[0:1], v[0:1], v[12:13], v[2:3] op_sel_hi:[0,1,1] neg_lo:[0,0,1] neg_hi:[0,0,1]
	v_pk_fma_f32 v[16:17], v[4:5], v[10:11], v[6:7]
	v_pk_fma_f32 v[2:3], v[4:5], v[10:11], v[6:7] neg_lo:[0,0,1] neg_hi:[0,0,1]
	s_delay_alu instid0(VALU_DEP_4) | instskip(SKIP_1) | instid1(VALU_DEP_4)
	v_mov_b32_e32 v1, v15
	v_add_nc_u64_e32 v[6:7], s[4:5], v[8:9]
	v_mov_b32_e32 v3, v17
	s_delay_alu instid0(VALU_DEP_1)
	v_pk_add_f32 v[8:9], v[0:1], v[2:3]
	s_cbranch_scc1 .LBB158_2002
; %bb.1996:
	s_and_b32 s2, 0xffff, s27
	s_mov_b32 s3, -1
	s_cmp_gt_i32 s2, 25
	s_mov_b32 s0, s25
	s_cbranch_scc0 .LBB158_2034
; %bb.1997:
	s_cmp_gt_i32 s2, 28
	s_mov_b32 s0, s25
	s_cbranch_scc0 .LBB158_2018
; %bb.1998:
	;; [unrolled: 4-line block ×4, first 2 shown]
	s_cmp_eq_u32 s2, 46
	s_mov_b32 s0, -1
	s_cbranch_scc0 .LBB158_2007
; %bb.2001:
	v_dual_lshrrev_b32 v0, 16, v8 :: v_dual_lshrrev_b32 v1, 16, v9
	v_cmp_o_f32_e32 vcc_lo, v8, v8
	s_mov_b32 s0, 0
	s_mov_b32 s3, 0
	s_delay_alu instid0(VALU_DEP_2) | instskip(NEXT) | instid1(VALU_DEP_1)
	v_and_b32_e32 v0, 1, v0
	v_add3_u32 v0, v8, v0, 0x7fff
	s_delay_alu instid0(VALU_DEP_1) | instskip(NEXT) | instid1(VALU_DEP_1)
	v_dual_lshrrev_b32 v0, 16, v0 :: v_dual_bitop2_b32 v1, 1, v1 bitop3:0x40
	v_add3_u32 v1, v9, v1, 0x7fff
	s_delay_alu instid0(VALU_DEP_2) | instskip(NEXT) | instid1(VALU_DEP_2)
	v_cndmask_b32_e32 v0, 0x7fc0, v0, vcc_lo
	v_and_b32_e32 v1, 0xffff0000, v1
	v_cmp_o_f32_e32 vcc_lo, v9, v9
	s_delay_alu instid0(VALU_DEP_2) | instskip(NEXT) | instid1(VALU_DEP_1)
	v_cndmask_b32_e32 v1, 0x7fc00000, v1, vcc_lo
	v_or_b32_e32 v0, v1, v0
	global_store_b32 v[6:7], v0, off
	s_branch .LBB158_2008
.LBB158_2002:
	s_mov_b32 s30, 0
	s_mov_b32 s3, -1
	s_mov_b32 s0, s25
	s_branch .LBB158_2075
.LBB158_2003:
	s_mov_b32 s30, -1
	s_mov_b32 s33, exec_lo
	v_cmpx_eq_u16_e32 0x80, v1
; %bb.2004:
	s_xor_b32 s30, exec_lo, -1
; %bb.2005:
	s_or_b32 exec_lo, exec_lo, s33
	s_delay_alu instid0(SALU_CYCLE_1)
	s_and_b32 s30, s30, exec_lo
	s_or_saveexec_b32 s31, s31
	v_mov_b32_e32 v10, 0x7f800001
	s_xor_b32 exec_lo, exec_lo, s31
	s_cbranch_execz .LBB158_1914
.LBB158_2006:
	v_cmp_ne_u16_e32 vcc_lo, 0, v1
	v_mov_b32_e32 v10, 0
	s_and_not1_b32 s30, s30, exec_lo
	s_and_b32 s33, vcc_lo, exec_lo
	s_delay_alu instid0(SALU_CYCLE_1)
	s_or_b32 s30, s30, s33
	s_or_b32 exec_lo, exec_lo, s31
	s_and_saveexec_b32 s31, s30
	s_cbranch_execnz .LBB158_1915
	s_branch .LBB158_1916
.LBB158_2007:
	s_mov_b32 s3, 0
.LBB158_2008:
	s_delay_alu instid0(SALU_CYCLE_1)
	s_and_b32 vcc_lo, exec_lo, s3
	s_cbranch_vccz .LBB158_2013
; %bb.2009:
	s_cmp_eq_u32 s2, 44
	s_mov_b32 s0, -1
	s_cbranch_scc0 .LBB158_2013
; %bb.2010:
	v_bfe_u32 v1, v8, 23, 8
	s_wait_xcnt 0x0
	v_mov_b32_e32 v0, 0xff
	s_mov_b32 s3, exec_lo
	s_delay_alu instid0(VALU_DEP_2)
	v_cmpx_ne_u32_e32 0xff, v1
	s_cbranch_execz .LBB158_2012
; %bb.2011:
	v_and_b32_e32 v0, 0x400000, v8
	v_and_or_b32 v1, 0x3fffff, v8, v1
	s_delay_alu instid0(VALU_DEP_2) | instskip(NEXT) | instid1(VALU_DEP_2)
	v_cmp_ne_u32_e32 vcc_lo, 0, v0
	v_cmp_ne_u32_e64 s0, 0, v1
	v_lshrrev_b32_e32 v0, 23, v8
	s_and_b32 s0, vcc_lo, s0
	s_delay_alu instid0(SALU_CYCLE_1) | instskip(NEXT) | instid1(VALU_DEP_1)
	v_cndmask_b32_e64 v1, 0, 1, s0
	v_add_nc_u32_e32 v0, v0, v1
.LBB158_2012:
	s_or_b32 exec_lo, exec_lo, s3
	s_mov_b32 s0, 0
	global_store_b8 v[6:7], v0, off
.LBB158_2013:
	s_mov_b32 s3, 0
.LBB158_2014:
	s_delay_alu instid0(SALU_CYCLE_1)
	s_and_b32 vcc_lo, exec_lo, s3
	s_cbranch_vccz .LBB158_2017
; %bb.2015:
	s_cmp_eq_u32 s2, 29
	s_mov_b32 s0, -1
	s_cbranch_scc0 .LBB158_2017
; %bb.2016:
	s_wait_xcnt 0x0
	v_trunc_f32_e32 v0, v8
	s_mov_b32 s0, 0
	s_mov_b32 s3, 0
	s_delay_alu instid0(VALU_DEP_1) | instskip(NEXT) | instid1(VALU_DEP_1)
	v_mul_f32_e32 v1, 0x2f800000, v0
	v_floor_f32_e32 v1, v1
	s_delay_alu instid0(VALU_DEP_1) | instskip(SKIP_1) | instid1(VALU_DEP_2)
	v_fmamk_f32 v0, v1, 0xcf800000, v0
	v_cvt_u32_f32_e32 v1, v1
	v_cvt_u32_f32_e32 v0, v0
	global_store_b64 v[6:7], v[0:1], off
	s_branch .LBB158_2018
.LBB158_2017:
	s_mov_b32 s3, 0
.LBB158_2018:
	s_delay_alu instid0(SALU_CYCLE_1)
	s_and_b32 vcc_lo, exec_lo, s3
	s_cbranch_vccz .LBB158_2033
; %bb.2019:
	s_cmp_lt_i32 s2, 27
	s_mov_b32 s3, -1
	s_cbranch_scc1 .LBB158_2025
; %bb.2020:
	s_wait_xcnt 0x0
	v_cvt_u32_f32_e32 v0, v8
	s_cmp_gt_i32 s2, 27
	s_cbranch_scc0 .LBB158_2022
; %bb.2021:
	s_mov_b32 s3, 0
	global_store_b32 v[6:7], v0, off
.LBB158_2022:
	s_and_not1_b32 vcc_lo, exec_lo, s3
	s_cbranch_vccnz .LBB158_2024
; %bb.2023:
	global_store_b16 v[6:7], v0, off
.LBB158_2024:
	s_mov_b32 s3, 0
.LBB158_2025:
	s_delay_alu instid0(SALU_CYCLE_1)
	s_and_not1_b32 vcc_lo, exec_lo, s3
	s_cbranch_vccnz .LBB158_2033
; %bb.2026:
	s_wait_xcnt 0x0
	v_and_b32_e32 v0, 0x7fffffff, v8
	v_mov_b32_e32 v1, 0x80
	s_mov_b32 s3, exec_lo
	s_delay_alu instid0(VALU_DEP_2)
	v_cmpx_gt_u32_e32 0x43800000, v0
	s_cbranch_execz .LBB158_2032
; %bb.2027:
	v_cmp_lt_u32_e32 vcc_lo, 0x3bffffff, v0
                                        ; implicit-def: $vgpr0
	s_and_saveexec_b32 s30, vcc_lo
	s_delay_alu instid0(SALU_CYCLE_1)
	s_xor_b32 s30, exec_lo, s30
	s_cbranch_execnz .LBB158_2259
; %bb.2028:
	s_and_not1_saveexec_b32 s30, s30
	s_cbranch_execnz .LBB158_2260
.LBB158_2029:
	s_or_b32 exec_lo, exec_lo, s30
	v_mov_b32_e32 v1, 0
	s_and_saveexec_b32 s30, s29
.LBB158_2030:
	v_lshrrev_b32_e32 v1, 24, v8
	s_delay_alu instid0(VALU_DEP_1)
	v_and_or_b32 v1, 0x80, v1, v0
.LBB158_2031:
	s_or_b32 exec_lo, exec_lo, s30
.LBB158_2032:
	s_delay_alu instid0(SALU_CYCLE_1)
	s_or_b32 exec_lo, exec_lo, s3
	global_store_b8 v[6:7], v1, off
.LBB158_2033:
	s_mov_b32 s3, 0
.LBB158_2034:
	s_delay_alu instid0(SALU_CYCLE_1)
	s_and_b32 vcc_lo, exec_lo, s3
	s_mov_b32 s3, 0
	s_cbranch_vccz .LBB158_2074
; %bb.2035:
	s_cmp_gt_i32 s2, 22
	s_mov_b32 s29, -1
	s_cbranch_scc0 .LBB158_2067
; %bb.2036:
	s_cmp_lt_i32 s2, 24
	s_cbranch_scc1 .LBB158_2056
; %bb.2037:
	s_cmp_gt_i32 s2, 24
	s_cbranch_scc0 .LBB158_2045
; %bb.2038:
	s_wait_xcnt 0x0
	v_and_b32_e32 v0, 0x7fffffff, v8
	v_mov_b32_e32 v1, 0x80
	s_mov_b32 s29, exec_lo
	s_delay_alu instid0(VALU_DEP_2)
	v_cmpx_gt_u32_e32 0x47800000, v0
	s_cbranch_execz .LBB158_2044
; %bb.2039:
	v_cmp_lt_u32_e32 vcc_lo, 0x37ffffff, v0
	s_mov_b32 s30, 0
                                        ; implicit-def: $vgpr0
	s_and_saveexec_b32 s31, vcc_lo
	s_delay_alu instid0(SALU_CYCLE_1)
	s_xor_b32 s31, exec_lo, s31
	s_cbranch_execnz .LBB158_2394
; %bb.2040:
	s_and_not1_saveexec_b32 s31, s31
	s_cbranch_execnz .LBB158_2395
.LBB158_2041:
	s_or_b32 exec_lo, exec_lo, s31
	v_mov_b32_e32 v1, 0
	s_and_saveexec_b32 s31, s30
.LBB158_2042:
	v_lshrrev_b32_e32 v1, 24, v8
	s_delay_alu instid0(VALU_DEP_1)
	v_and_or_b32 v1, 0x80, v1, v0
.LBB158_2043:
	s_or_b32 exec_lo, exec_lo, s31
.LBB158_2044:
	s_delay_alu instid0(SALU_CYCLE_1)
	s_or_b32 exec_lo, exec_lo, s29
	s_mov_b32 s29, 0
	global_store_b8 v[6:7], v1, off
.LBB158_2045:
	s_and_b32 vcc_lo, exec_lo, s29
	s_cbranch_vccz .LBB158_2055
; %bb.2046:
	s_wait_xcnt 0x0
	v_and_b32_e32 v1, 0x7fffffff, v8
	s_mov_b32 s29, exec_lo
                                        ; implicit-def: $vgpr0
	s_delay_alu instid0(VALU_DEP_1)
	v_cmpx_gt_u32_e32 0x43f00000, v1
	s_xor_b32 s29, exec_lo, s29
	s_cbranch_execz .LBB158_2052
; %bb.2047:
	s_mov_b32 s30, exec_lo
                                        ; implicit-def: $vgpr0
	v_cmpx_lt_u32_e32 0x3c7fffff, v1
	s_xor_b32 s30, exec_lo, s30
; %bb.2048:
	v_bfe_u32 v0, v8, 20, 1
	s_delay_alu instid0(VALU_DEP_1) | instskip(NEXT) | instid1(VALU_DEP_1)
	v_add3_u32 v0, v8, v0, 0x407ffff
	v_and_b32_e32 v1, 0xff00000, v0
	v_lshrrev_b32_e32 v0, 20, v0
	s_delay_alu instid0(VALU_DEP_2) | instskip(NEXT) | instid1(VALU_DEP_2)
	v_cmp_ne_u32_e32 vcc_lo, 0x7f00000, v1
	v_cndmask_b32_e32 v0, 0x7e, v0, vcc_lo
; %bb.2049:
	s_and_not1_saveexec_b32 s30, s30
; %bb.2050:
	v_add_f32_e64 v0, 0x46800000, |v8|
; %bb.2051:
	s_or_b32 exec_lo, exec_lo, s30
                                        ; implicit-def: $vgpr1
.LBB158_2052:
	s_and_not1_saveexec_b32 s29, s29
; %bb.2053:
	v_mov_b32_e32 v0, 0x7f
	v_cmp_lt_u32_e32 vcc_lo, 0x7f800000, v1
	s_delay_alu instid0(VALU_DEP_2)
	v_cndmask_b32_e32 v0, 0x7e, v0, vcc_lo
; %bb.2054:
	s_or_b32 exec_lo, exec_lo, s29
	v_lshrrev_b32_e32 v1, 24, v8
	s_delay_alu instid0(VALU_DEP_1)
	v_and_or_b32 v0, 0x80, v1, v0
	global_store_b8 v[6:7], v0, off
.LBB158_2055:
	s_mov_b32 s29, 0
.LBB158_2056:
	s_delay_alu instid0(SALU_CYCLE_1)
	s_and_not1_b32 vcc_lo, exec_lo, s29
	s_cbranch_vccnz .LBB158_2066
; %bb.2057:
	s_wait_xcnt 0x0
	v_and_b32_e32 v1, 0x7fffffff, v8
	s_mov_b32 s29, exec_lo
                                        ; implicit-def: $vgpr0
	s_delay_alu instid0(VALU_DEP_1)
	v_cmpx_gt_u32_e32 0x47800000, v1
	s_xor_b32 s29, exec_lo, s29
	s_cbranch_execz .LBB158_2063
; %bb.2058:
	s_mov_b32 s30, exec_lo
                                        ; implicit-def: $vgpr0
	v_cmpx_lt_u32_e32 0x387fffff, v1
	s_xor_b32 s30, exec_lo, s30
; %bb.2059:
	v_bfe_u32 v0, v8, 21, 1
	s_delay_alu instid0(VALU_DEP_1) | instskip(NEXT) | instid1(VALU_DEP_1)
	v_add3_u32 v0, v8, v0, 0x80fffff
	v_lshrrev_b32_e32 v0, 21, v0
; %bb.2060:
	s_and_not1_saveexec_b32 s30, s30
; %bb.2061:
	v_add_f32_e64 v0, 0x43000000, |v8|
; %bb.2062:
	s_or_b32 exec_lo, exec_lo, s30
                                        ; implicit-def: $vgpr1
.LBB158_2063:
	s_and_not1_saveexec_b32 s29, s29
; %bb.2064:
	v_mov_b32_e32 v0, 0x7f
	v_cmp_lt_u32_e32 vcc_lo, 0x7f800000, v1
	s_delay_alu instid0(VALU_DEP_2)
	v_cndmask_b32_e32 v0, 0x7c, v0, vcc_lo
; %bb.2065:
	s_or_b32 exec_lo, exec_lo, s29
	v_lshrrev_b32_e32 v1, 24, v8
	s_delay_alu instid0(VALU_DEP_1)
	v_and_or_b32 v0, 0x80, v1, v0
	global_store_b8 v[6:7], v0, off
.LBB158_2066:
	s_mov_b32 s29, 0
.LBB158_2067:
	s_delay_alu instid0(SALU_CYCLE_1)
	s_and_not1_b32 vcc_lo, exec_lo, s29
	s_mov_b32 s30, 0
	s_cbranch_vccnz .LBB158_2075
; %bb.2068:
	s_cmp_gt_i32 s2, 14
	s_mov_b32 s29, -1
	s_cbranch_scc0 .LBB158_2072
; %bb.2069:
	s_cmp_eq_u32 s2, 15
	s_mov_b32 s0, -1
	s_cbranch_scc0 .LBB158_2071
; %bb.2070:
	s_wait_xcnt 0x0
	v_bfe_u32 v0, v8, 16, 1
	v_cmp_o_f32_e32 vcc_lo, v8, v8
	s_mov_b32 s0, 0
	s_delay_alu instid0(VALU_DEP_2) | instskip(NEXT) | instid1(VALU_DEP_1)
	v_add3_u32 v0, v8, v0, 0x7fff
	v_lshrrev_b32_e32 v0, 16, v0
	s_delay_alu instid0(VALU_DEP_1)
	v_cndmask_b32_e32 v0, 0x7fc0, v0, vcc_lo
	global_store_b16 v[6:7], v0, off
.LBB158_2071:
	s_mov_b32 s29, 0
.LBB158_2072:
	s_delay_alu instid0(SALU_CYCLE_1)
	s_and_b32 vcc_lo, exec_lo, s29
	s_cbranch_vccz .LBB158_2075
; %bb.2073:
	s_cmp_lg_u32 s2, 11
	s_mov_b32 s30, -1
	s_cselect_b32 s2, -1, 0
	s_and_not1_b32 s0, s0, exec_lo
	s_and_b32 s2, s2, exec_lo
	s_delay_alu instid0(SALU_CYCLE_1)
	s_or_b32 s0, s0, s2
	s_branch .LBB158_2075
.LBB158_2074:
	s_mov_b32 s30, 0
.LBB158_2075:
	s_and_b32 s29, s3, exec_lo
	s_and_not1_b32 s2, s25, exec_lo
	s_and_b32 s3, s0, exec_lo
	s_and_b32 s0, s30, exec_lo
	s_or_b32 s25, s2, s3
	s_wait_xcnt 0x0
	s_or_b32 exec_lo, exec_lo, s28
	s_and_saveexec_b32 s2, s25
	s_cbranch_execz .LBB158_1993
.LBB158_2076:
	s_or_b32 s26, s26, exec_lo
	s_and_not1_b32 s0, s0, exec_lo
	s_trap 2
	s_or_b32 exec_lo, exec_lo, s2
	s_and_saveexec_b32 s2, s0
	s_delay_alu instid0(SALU_CYCLE_1)
	s_xor_b32 s2, exec_lo, s2
	s_cbranch_execz .LBB158_1994
.LBB158_2077:
	s_wait_loadcnt 0x0
	v_cmp_neq_f32_e32 vcc_lo, 0, v8
	v_cmp_neq_f32_e64 s0, 0, v9
	s_or_b32 s0, vcc_lo, s0
	s_delay_alu instid0(SALU_CYCLE_1) | instskip(SKIP_4) | instid1(SALU_CYCLE_1)
	v_cndmask_b32_e64 v0, 0, 1, s0
	global_store_b8 v[6:7], v0, off
	s_wait_xcnt 0x0
	s_or_b32 exec_lo, exec_lo, s2
	s_and_saveexec_b32 s0, s29
	s_xor_b32 s0, exec_lo, s0
	s_cbranch_execz .LBB158_2115
.LBB158_2078:
	s_sext_i32_i16 s3, s27
	s_mov_b32 s2, -1
	s_cmp_lt_i32 s3, 5
	s_cbranch_scc1 .LBB158_2099
; %bb.2079:
	s_cmp_lt_i32 s3, 8
	s_cbranch_scc1 .LBB158_2089
; %bb.2080:
	;; [unrolled: 3-line block ×3, first 2 shown]
	s_cmp_gt_i32 s3, 9
	s_cbranch_scc0 .LBB158_2083
; %bb.2082:
	s_wait_loadcnt 0x0
	v_cvt_f64_f32_e32 v[0:1], v8
	v_cvt_f64_f32_e32 v[2:3], v9
	s_mov_b32 s2, 0
	global_store_b128 v[6:7], v[0:3], off
.LBB158_2083:
	s_and_not1_b32 vcc_lo, exec_lo, s2
	s_cbranch_vccnz .LBB158_2085
; %bb.2084:
	s_wait_loadcnt 0x0
	global_store_b64 v[6:7], v[8:9], off
.LBB158_2085:
	s_mov_b32 s2, 0
.LBB158_2086:
	s_delay_alu instid0(SALU_CYCLE_1)
	s_and_not1_b32 vcc_lo, exec_lo, s2
	s_cbranch_vccnz .LBB158_2088
; %bb.2087:
	s_wait_loadcnt 0x0
	v_cvt_f16_f32_e32 v0, v9
	v_cvt_f16_f32_e32 v1, v8
	s_delay_alu instid0(VALU_DEP_2) | instskip(NEXT) | instid1(VALU_DEP_2)
	v_lshlrev_b32_e32 v0, 16, v0
	v_and_b32_e32 v1, 0xffff, v1
	s_delay_alu instid0(VALU_DEP_1)
	v_or_b32_e32 v0, v0, v1
	global_store_b32 v[6:7], v0, off
.LBB158_2088:
	s_mov_b32 s2, 0
.LBB158_2089:
	s_delay_alu instid0(SALU_CYCLE_1)
	s_and_not1_b32 vcc_lo, exec_lo, s2
	s_cbranch_vccnz .LBB158_2098
; %bb.2090:
	s_sext_i32_i16 s3, s27
	s_mov_b32 s2, -1
	s_cmp_lt_i32 s3, 6
	s_cbranch_scc1 .LBB158_2096
; %bb.2091:
	s_cmp_gt_i32 s3, 6
	s_cbranch_scc0 .LBB158_2093
; %bb.2092:
	s_wait_loadcnt 0x0
	v_cvt_f64_f32_e32 v[0:1], v8
	s_mov_b32 s2, 0
	global_store_b64 v[6:7], v[0:1], off
.LBB158_2093:
	s_and_not1_b32 vcc_lo, exec_lo, s2
	s_cbranch_vccnz .LBB158_2095
; %bb.2094:
	s_wait_loadcnt 0x0
	global_store_b32 v[6:7], v8, off
.LBB158_2095:
	s_mov_b32 s2, 0
.LBB158_2096:
	s_delay_alu instid0(SALU_CYCLE_1)
	s_and_not1_b32 vcc_lo, exec_lo, s2
	s_cbranch_vccnz .LBB158_2098
; %bb.2097:
	s_wait_loadcnt 0x0
	v_cvt_f16_f32_e32 v0, v8
	global_store_b16 v[6:7], v0, off
.LBB158_2098:
	s_mov_b32 s2, 0
.LBB158_2099:
	s_delay_alu instid0(SALU_CYCLE_1)
	s_and_not1_b32 vcc_lo, exec_lo, s2
	s_cbranch_vccnz .LBB158_2115
; %bb.2100:
	s_sext_i32_i16 s3, s27
	s_mov_b32 s2, -1
	s_cmp_lt_i32 s3, 2
	s_cbranch_scc1 .LBB158_2110
; %bb.2101:
	s_cmp_lt_i32 s3, 3
	s_cbranch_scc1 .LBB158_2107
; %bb.2102:
	s_cmp_gt_i32 s3, 3
	s_cbranch_scc0 .LBB158_2104
; %bb.2103:
	s_wait_loadcnt 0x0
	v_trunc_f32_e32 v0, v8
	s_mov_b32 s2, 0
	s_delay_alu instid0(VALU_DEP_1) | instskip(NEXT) | instid1(VALU_DEP_1)
	v_mul_f32_e64 v1, 0x2f800000, |v0|
	v_floor_f32_e32 v1, v1
	s_delay_alu instid0(VALU_DEP_1) | instskip(SKIP_2) | instid1(VALU_DEP_3)
	v_fma_f32 v2, 0xcf800000, v1, |v0|
	v_ashrrev_i32_e32 v0, 31, v0
	v_cvt_u32_f32_e32 v3, v1
	v_cvt_u32_f32_e32 v2, v2
	s_delay_alu instid0(VALU_DEP_2) | instskip(NEXT) | instid1(VALU_DEP_2)
	v_dual_mov_b32 v1, v0 :: v_dual_bitop2_b32 v3, v3, v0 bitop3:0x14
	v_xor_b32_e32 v2, v2, v0
	s_delay_alu instid0(VALU_DEP_1)
	v_sub_nc_u64_e32 v[0:1], v[2:3], v[0:1]
	global_store_b64 v[6:7], v[0:1], off
.LBB158_2104:
	s_and_not1_b32 vcc_lo, exec_lo, s2
	s_cbranch_vccnz .LBB158_2106
; %bb.2105:
	s_wait_loadcnt 0x0
	v_cvt_i32_f32_e32 v0, v8
	global_store_b32 v[6:7], v0, off
.LBB158_2106:
	s_mov_b32 s2, 0
.LBB158_2107:
	s_delay_alu instid0(SALU_CYCLE_1)
	s_and_not1_b32 vcc_lo, exec_lo, s2
	s_cbranch_vccnz .LBB158_2109
; %bb.2108:
	s_wait_loadcnt 0x0
	v_cvt_i32_f32_e32 v0, v8
	global_store_b16 v[6:7], v0, off
.LBB158_2109:
	s_mov_b32 s2, 0
.LBB158_2110:
	s_delay_alu instid0(SALU_CYCLE_1)
	s_and_not1_b32 vcc_lo, exec_lo, s2
	s_cbranch_vccnz .LBB158_2115
; %bb.2111:
	s_sext_i32_i16 s2, s27
	s_delay_alu instid0(SALU_CYCLE_1)
	s_cmp_gt_i32 s2, 0
	s_mov_b32 s2, -1
	s_cbranch_scc0 .LBB158_2113
; %bb.2112:
	s_wait_loadcnt 0x0
	v_cvt_i32_f32_e32 v0, v8
	s_mov_b32 s2, 0
	global_store_b8 v[6:7], v0, off
.LBB158_2113:
	s_and_not1_b32 vcc_lo, exec_lo, s2
	s_cbranch_vccnz .LBB158_2115
; %bb.2114:
	s_wait_loadcnt 0x0
	v_trunc_f32_e32 v0, v8
	s_delay_alu instid0(VALU_DEP_1) | instskip(NEXT) | instid1(VALU_DEP_1)
	v_mul_f32_e64 v1, 0x2f800000, |v0|
	v_floor_f32_e32 v1, v1
	s_delay_alu instid0(VALU_DEP_1) | instskip(SKIP_1) | instid1(VALU_DEP_2)
	v_fma_f32 v1, 0xcf800000, v1, |v0|
	v_ashrrev_i32_e32 v0, 31, v0
	v_cvt_u32_f32_e32 v1, v1
	s_delay_alu instid0(VALU_DEP_1) | instskip(NEXT) | instid1(VALU_DEP_1)
	v_xor_b32_e32 v1, v1, v0
	v_sub_nc_u32_e32 v0, v1, v0
	global_store_b8 v[6:7], v0, off
.LBB158_2115:
	s_wait_xcnt 0x0
	s_or_b32 exec_lo, exec_lo, s0
	s_delay_alu instid0(SALU_CYCLE_1)
	s_and_b32 s25, s26, exec_lo
                                        ; implicit-def: $vgpr34
.LBB158_2116:
	s_or_saveexec_b32 s24, s24
	s_mov_b32 s2, 0
                                        ; implicit-def: $sgpr26
                                        ; implicit-def: $vgpr0_vgpr1
                                        ; implicit-def: $vgpr2_vgpr3
	s_xor_b32 exec_lo, exec_lo, s24
	s_cbranch_execz .LBB158_4183
; %bb.2117:
	v_mul_lo_u32 v6, s13, v34
	s_and_b32 s2, s23, 0xff
	s_delay_alu instid0(SALU_CYCLE_1) | instskip(NEXT) | instid1(VALU_DEP_1)
	s_cmp_lt_i32 s2, 11
	v_ashrrev_i32_e32 v7, 31, v6
	s_wait_loadcnt 0x0
	s_delay_alu instid0(VALU_DEP_1)
	v_add_nc_u64_e32 v[4:5], s[6:7], v[6:7]
	s_cbranch_scc1 .LBB158_2124
; %bb.2118:
	s_and_b32 s0, 0xffff, s2
	s_mov_b32 s23, 0
	s_cmp_gt_i32 s0, 25
	s_cbranch_scc0 .LBB158_2126
; %bb.2119:
	s_cmp_gt_i32 s0, 28
	s_cbranch_scc0 .LBB158_2127
; %bb.2120:
	;; [unrolled: 3-line block ×4, first 2 shown]
	s_cmp_eq_u32 s0, 46
	s_cbranch_scc0 .LBB158_2130
; %bb.2123:
	global_load_b32 v0, v[4:5], off
	s_mov_b32 s3, 0
	s_mov_b32 s26, -1
	s_wait_loadcnt 0x0
	v_and_b32_e32 v2, 0xffff0000, v0
	v_lshlrev_b32_e32 v0, 16, v0
	s_branch .LBB158_2132
.LBB158_2124:
	s_mov_b32 s26, 0
	s_mov_b32 s22, s25
                                        ; implicit-def: $vgpr2
                                        ; implicit-def: $vgpr0
	s_cbranch_execnz .LBB158_2194
.LBB158_2125:
	s_and_not1_b32 vcc_lo, exec_lo, s26
	s_cbranch_vccz .LBB158_2241
	s_branch .LBB158_4181
.LBB158_2126:
	s_mov_b32 s26, 0
	s_mov_b32 s3, 0
                                        ; implicit-def: $vgpr2
                                        ; implicit-def: $vgpr0
	s_cbranch_execnz .LBB158_2160
	s_branch .LBB158_2190
.LBB158_2127:
	s_mov_b32 s26, 0
	s_mov_b32 s3, 0
                                        ; implicit-def: $vgpr2
                                        ; implicit-def: $vgpr0
	s_cbranch_execnz .LBB158_2144
	s_branch .LBB158_2159
.LBB158_2128:
	s_mov_b32 s22, -1
	s_mov_b32 s26, 0
	s_mov_b32 s3, 0
                                        ; implicit-def: $vgpr2
                                        ; implicit-def: $vgpr0
	s_branch .LBB158_2138
.LBB158_2129:
	s_mov_b32 s22, -1
	s_mov_b32 s26, 0
	s_mov_b32 s3, 0
	s_branch .LBB158_2131
.LBB158_2130:
	s_mov_b32 s3, -1
	s_mov_b32 s26, 0
.LBB158_2131:
                                        ; implicit-def: $vgpr2
                                        ; implicit-def: $vgpr0
.LBB158_2132:
	s_and_b32 vcc_lo, exec_lo, s22
	s_cbranch_vccz .LBB158_2137
; %bb.2133:
	s_cmp_eq_u32 s0, 44
	s_cbranch_scc0 .LBB158_2135
; %bb.2134:
	global_load_u8 v0, v[4:5], off
	s_mov_b32 s3, 0
	s_mov_b32 s26, -1
	s_wait_loadcnt 0x0
	v_lshlrev_b32_e32 v1, 23, v0
	v_cmp_ne_u32_e32 vcc_lo, 0xff, v0
	s_delay_alu instid0(VALU_DEP_2) | instskip(SKIP_1) | instid1(VALU_DEP_2)
	v_cndmask_b32_e32 v1, 0x7f800001, v1, vcc_lo
	v_cmp_ne_u32_e32 vcc_lo, 0, v0
	v_cndmask_b32_e32 v0, 0x400000, v1, vcc_lo
	s_branch .LBB158_2136
.LBB158_2135:
	s_mov_b32 s3, -1
                                        ; implicit-def: $vgpr0
.LBB158_2136:
	v_mov_b32_e32 v2, 0
.LBB158_2137:
	s_mov_b32 s22, 0
.LBB158_2138:
	s_delay_alu instid0(SALU_CYCLE_1)
	s_and_b32 vcc_lo, exec_lo, s22
	s_cbranch_vccz .LBB158_2143
; %bb.2139:
	s_cmp_eq_u32 s0, 29
	s_cbranch_scc0 .LBB158_2141
; %bb.2140:
	global_load_b64 v[0:1], v[4:5], off
	s_mov_b32 s3, 0
	s_mov_b32 s26, -1
	s_wait_loadcnt 0x0
	v_clz_i32_u32_e32 v2, v1
	s_delay_alu instid0(VALU_DEP_1) | instskip(NEXT) | instid1(VALU_DEP_1)
	v_min_u32_e32 v2, 32, v2
	v_lshlrev_b64_e32 v[0:1], v2, v[0:1]
	s_delay_alu instid0(VALU_DEP_1) | instskip(NEXT) | instid1(VALU_DEP_1)
	v_min_u32_e32 v0, 1, v0
	v_dual_sub_nc_u32 v1, 32, v2 :: v_dual_bitop2_b32 v0, v1, v0 bitop3:0x54
	s_delay_alu instid0(VALU_DEP_1) | instskip(NEXT) | instid1(VALU_DEP_1)
	v_cvt_f32_u32_e32 v0, v0
	v_ldexp_f32 v0, v0, v1
	s_branch .LBB158_2142
.LBB158_2141:
	s_mov_b32 s3, -1
                                        ; implicit-def: $vgpr0
.LBB158_2142:
	v_mov_b32_e32 v2, 0
.LBB158_2143:
	s_branch .LBB158_2159
.LBB158_2144:
	s_cmp_lt_i32 s0, 27
	s_cbranch_scc1 .LBB158_2147
; %bb.2145:
	s_cmp_gt_i32 s0, 27
	s_cbranch_scc0 .LBB158_2148
; %bb.2146:
	global_load_b32 v0, v[4:5], off
	s_mov_b32 s22, 0
	s_wait_loadcnt 0x0
	v_cvt_f32_u32_e32 v0, v0
	s_branch .LBB158_2149
.LBB158_2147:
	s_mov_b32 s22, -1
                                        ; implicit-def: $vgpr0
	s_branch .LBB158_2152
.LBB158_2148:
	s_mov_b32 s22, -1
                                        ; implicit-def: $vgpr0
.LBB158_2149:
	s_delay_alu instid0(SALU_CYCLE_1)
	s_and_not1_b32 vcc_lo, exec_lo, s22
	s_cbranch_vccnz .LBB158_2151
; %bb.2150:
	global_load_u16 v0, v[4:5], off
	s_wait_loadcnt 0x0
	v_cvt_f32_u32_e32 v0, v0
.LBB158_2151:
	s_mov_b32 s22, 0
.LBB158_2152:
	s_delay_alu instid0(SALU_CYCLE_1)
	s_and_not1_b32 vcc_lo, exec_lo, s22
	s_cbranch_vccnz .LBB158_2158
; %bb.2153:
	global_load_u8 v1, v[4:5], off
	s_mov_b32 s22, 0
	s_mov_b32 s26, exec_lo
	s_wait_loadcnt 0x0
	v_cmpx_lt_i16_e32 0x7f, v1
	s_xor_b32 s26, exec_lo, s26
	s_cbranch_execnz .LBB158_2170
; %bb.2154:
	s_or_saveexec_b32 s26, s26
	v_mov_b32_e32 v0, 0x7f800001
	s_xor_b32 exec_lo, exec_lo, s26
	s_cbranch_execnz .LBB158_2173
.LBB158_2155:
	s_or_b32 exec_lo, exec_lo, s26
	s_and_saveexec_b32 s26, s22
	s_cbranch_execz .LBB158_2157
.LBB158_2156:
	v_and_b32_e32 v0, 0xffff, v1
	s_delay_alu instid0(VALU_DEP_1) | instskip(SKIP_1) | instid1(VALU_DEP_2)
	v_and_b32_e32 v2, 7, v0
	v_bfe_u32 v8, v0, 3, 4
	v_clz_i32_u32_e32 v3, v2
	s_delay_alu instid0(VALU_DEP_2) | instskip(NEXT) | instid1(VALU_DEP_2)
	v_cmp_eq_u32_e32 vcc_lo, 0, v8
	v_min_u32_e32 v3, 32, v3
	s_delay_alu instid0(VALU_DEP_1) | instskip(NEXT) | instid1(VALU_DEP_1)
	v_subrev_nc_u32_e32 v7, 28, v3
	v_dual_lshlrev_b32 v0, v7, v0 :: v_dual_sub_nc_u32 v3, 29, v3
	s_delay_alu instid0(VALU_DEP_1) | instskip(NEXT) | instid1(VALU_DEP_1)
	v_dual_lshlrev_b32 v1, 24, v1 :: v_dual_bitop2_b32 v0, 7, v0 bitop3:0x40
	v_dual_cndmask_b32 v3, v8, v3 :: v_dual_cndmask_b32 v0, v2, v0
	s_delay_alu instid0(VALU_DEP_2) | instskip(NEXT) | instid1(VALU_DEP_2)
	v_and_b32_e32 v1, 0x80000000, v1
	v_lshl_add_u32 v2, v3, 23, 0x3b800000
	s_delay_alu instid0(VALU_DEP_3) | instskip(NEXT) | instid1(VALU_DEP_1)
	v_lshlrev_b32_e32 v0, 20, v0
	v_or3_b32 v0, v1, v2, v0
.LBB158_2157:
	s_or_b32 exec_lo, exec_lo, s26
.LBB158_2158:
	v_mov_b32_e32 v2, 0
	s_mov_b32 s26, -1
.LBB158_2159:
	s_branch .LBB158_2190
.LBB158_2160:
	s_cmp_gt_i32 s0, 22
	s_cbranch_scc0 .LBB158_2168
; %bb.2161:
	s_cmp_lt_i32 s0, 24
	s_cbranch_scc1 .LBB158_2169
; %bb.2162:
	s_cmp_gt_i32 s0, 24
	s_cbranch_scc0 .LBB158_2174
; %bb.2163:
	global_load_u8 v1, v[4:5], off
	s_mov_b32 s22, 0
	s_mov_b32 s23, exec_lo
	s_wait_loadcnt 0x0
	v_cmpx_lt_i16_e32 0x7f, v1
	s_xor_b32 s23, exec_lo, s23
	s_cbranch_execnz .LBB158_2254
; %bb.2164:
	s_or_saveexec_b32 s23, s23
	v_mov_b32_e32 v0, 0x7f800001
	s_xor_b32 exec_lo, exec_lo, s23
	s_cbranch_execnz .LBB158_2257
.LBB158_2165:
	s_or_b32 exec_lo, exec_lo, s23
	s_and_saveexec_b32 s23, s22
	s_cbranch_execz .LBB158_2167
.LBB158_2166:
	v_and_b32_e32 v0, 0xffff, v1
	s_delay_alu instid0(VALU_DEP_1) | instskip(SKIP_1) | instid1(VALU_DEP_2)
	v_and_b32_e32 v2, 3, v0
	v_bfe_u32 v8, v0, 2, 5
	v_clz_i32_u32_e32 v3, v2
	s_delay_alu instid0(VALU_DEP_2) | instskip(NEXT) | instid1(VALU_DEP_2)
	v_cmp_eq_u32_e32 vcc_lo, 0, v8
	v_min_u32_e32 v3, 32, v3
	s_delay_alu instid0(VALU_DEP_1) | instskip(NEXT) | instid1(VALU_DEP_1)
	v_subrev_nc_u32_e32 v7, 29, v3
	v_dual_lshlrev_b32 v0, v7, v0 :: v_dual_sub_nc_u32 v3, 30, v3
	s_delay_alu instid0(VALU_DEP_1) | instskip(NEXT) | instid1(VALU_DEP_1)
	v_dual_lshlrev_b32 v1, 24, v1 :: v_dual_bitop2_b32 v0, 3, v0 bitop3:0x40
	v_dual_cndmask_b32 v3, v8, v3 :: v_dual_cndmask_b32 v0, v2, v0
	s_delay_alu instid0(VALU_DEP_2) | instskip(NEXT) | instid1(VALU_DEP_2)
	v_and_b32_e32 v1, 0x80000000, v1
	v_lshl_add_u32 v2, v3, 23, 0x37800000
	s_delay_alu instid0(VALU_DEP_3) | instskip(NEXT) | instid1(VALU_DEP_1)
	v_lshlrev_b32_e32 v0, 21, v0
	v_or3_b32 v0, v1, v2, v0
.LBB158_2167:
	s_or_b32 exec_lo, exec_lo, s23
	s_mov_b32 s22, 0
	s_branch .LBB158_2175
.LBB158_2168:
                                        ; implicit-def: $vgpr0
	s_mov_b32 s23, 0
	s_branch .LBB158_2181
.LBB158_2169:
	s_mov_b32 s22, -1
                                        ; implicit-def: $vgpr0
	s_branch .LBB158_2178
.LBB158_2170:
	s_mov_b32 s22, -1
	s_mov_b32 s27, exec_lo
	v_cmpx_eq_u16_e32 0x80, v1
; %bb.2171:
	s_xor_b32 s22, exec_lo, -1
; %bb.2172:
	s_or_b32 exec_lo, exec_lo, s27
	s_delay_alu instid0(SALU_CYCLE_1)
	s_and_b32 s22, s22, exec_lo
	s_or_saveexec_b32 s26, s26
	v_mov_b32_e32 v0, 0x7f800001
	s_xor_b32 exec_lo, exec_lo, s26
	s_cbranch_execz .LBB158_2155
.LBB158_2173:
	v_cmp_ne_u16_e32 vcc_lo, 0, v1
	v_mov_b32_e32 v0, 0
	s_and_not1_b32 s22, s22, exec_lo
	s_and_b32 s27, vcc_lo, exec_lo
	s_delay_alu instid0(SALU_CYCLE_1)
	s_or_b32 s22, s22, s27
	s_or_b32 exec_lo, exec_lo, s26
	s_and_saveexec_b32 s26, s22
	s_cbranch_execnz .LBB158_2156
	s_branch .LBB158_2157
.LBB158_2174:
	s_mov_b32 s22, -1
                                        ; implicit-def: $vgpr0
.LBB158_2175:
	s_delay_alu instid0(SALU_CYCLE_1)
	s_and_b32 vcc_lo, exec_lo, s22
	s_cbranch_vccz .LBB158_2177
; %bb.2176:
	global_load_u8 v0, v[4:5], off
	s_wait_loadcnt 0x0
	v_lshlrev_b32_e32 v0, 24, v0
	s_delay_alu instid0(VALU_DEP_1) | instskip(NEXT) | instid1(VALU_DEP_1)
	v_and_b32_e32 v1, 0x7f000000, v0
	v_clz_i32_u32_e32 v2, v1
	v_add_nc_u32_e32 v7, 0x1000000, v1
	v_cmp_ne_u32_e32 vcc_lo, 0, v1
	s_delay_alu instid0(VALU_DEP_3) | instskip(NEXT) | instid1(VALU_DEP_1)
	v_min_u32_e32 v2, 32, v2
	v_sub_nc_u32_e64 v2, v2, 4 clamp
	s_delay_alu instid0(VALU_DEP_1) | instskip(NEXT) | instid1(VALU_DEP_1)
	v_dual_lshlrev_b32 v3, v2, v1 :: v_dual_lshlrev_b32 v2, 23, v2
	v_lshrrev_b32_e32 v3, 4, v3
	s_delay_alu instid0(VALU_DEP_1) | instskip(NEXT) | instid1(VALU_DEP_1)
	v_dual_sub_nc_u32 v2, v3, v2 :: v_dual_ashrrev_i32 v3, 8, v7
	v_add_nc_u32_e32 v2, 0x3c000000, v2
	s_delay_alu instid0(VALU_DEP_1) | instskip(NEXT) | instid1(VALU_DEP_1)
	v_and_or_b32 v2, 0x7f800000, v3, v2
	v_cndmask_b32_e32 v1, 0, v2, vcc_lo
	s_delay_alu instid0(VALU_DEP_1)
	v_and_or_b32 v0, 0x80000000, v0, v1
.LBB158_2177:
	s_mov_b32 s22, 0
.LBB158_2178:
	s_delay_alu instid0(SALU_CYCLE_1)
	s_and_not1_b32 vcc_lo, exec_lo, s22
	s_cbranch_vccnz .LBB158_2180
; %bb.2179:
	global_load_u8 v0, v[4:5], off
	s_wait_loadcnt 0x0
	v_lshlrev_b32_e32 v1, 25, v0
	v_lshlrev_b16 v0, 8, v0
	s_delay_alu instid0(VALU_DEP_1) | instskip(SKIP_1) | instid1(VALU_DEP_2)
	v_and_or_b32 v3, 0x7f00, v0, 0.5
	v_bfe_i32 v0, v0, 0, 16
	v_dual_add_f32 v3, -0.5, v3 :: v_dual_lshrrev_b32 v2, 4, v1
	v_cmp_gt_u32_e32 vcc_lo, 0x8000000, v1
	s_delay_alu instid0(VALU_DEP_2) | instskip(NEXT) | instid1(VALU_DEP_1)
	v_or_b32_e32 v2, 0x70000000, v2
	v_mul_f32_e32 v2, 0x7800000, v2
	s_delay_alu instid0(VALU_DEP_1) | instskip(NEXT) | instid1(VALU_DEP_1)
	v_cndmask_b32_e32 v1, v2, v3, vcc_lo
	v_and_or_b32 v0, 0x80000000, v0, v1
.LBB158_2180:
	s_mov_b32 s26, -1
	s_mov_b32 s23, 0
	s_cbranch_execnz .LBB158_2189
.LBB158_2181:
	s_cmp_gt_i32 s0, 14
	s_cbranch_scc0 .LBB158_2184
; %bb.2182:
	s_cmp_eq_u32 s0, 15
	s_cbranch_scc0 .LBB158_2185
; %bb.2183:
	global_load_u16 v0, v[4:5], off
	s_mov_b32 s3, 0
	s_mov_b32 s26, -1
	s_wait_loadcnt 0x0
	v_lshlrev_b32_e32 v0, 16, v0
	s_branch .LBB158_2186
.LBB158_2184:
	s_mov_b32 s22, -1
                                        ; implicit-def: $vgpr0
	s_branch .LBB158_2187
.LBB158_2185:
	s_mov_b32 s3, -1
                                        ; implicit-def: $vgpr0
.LBB158_2186:
	s_mov_b32 s22, 0
.LBB158_2187:
	s_delay_alu instid0(SALU_CYCLE_1)
	s_and_b32 vcc_lo, exec_lo, s22
	s_cbranch_vccz .LBB158_2189
; %bb.2188:
	s_cmp_lg_u32 s0, 11
	s_mov_b32 s23, -1
	s_cselect_b32 s3, -1, 0
.LBB158_2189:
	v_mov_b32_e32 v2, 0
.LBB158_2190:
	s_and_b32 vcc_lo, exec_lo, s3
	s_mov_b32 s22, s25
	s_cbranch_vccnz .LBB158_2253
; %bb.2191:
	s_and_not1_b32 vcc_lo, exec_lo, s23
	s_cbranch_vccnz .LBB158_2193
.LBB158_2192:
	global_load_u8 v0, v[4:5], off
	v_mov_b32_e32 v2, 0
	s_mov_b32 s26, -1
	s_wait_loadcnt 0x0
	v_cmp_ne_u16_e32 vcc_lo, 0, v0
	v_cndmask_b32_e64 v0, 0, 1.0, vcc_lo
.LBB158_2193:
	s_branch .LBB158_2125
.LBB158_2194:
	s_and_b32 s0, 0xffff, s2
	s_delay_alu instid0(SALU_CYCLE_1)
	s_cmp_lt_i32 s0, 5
	s_cbranch_scc1 .LBB158_2199
; %bb.2195:
	s_cmp_lt_i32 s0, 8
	s_cbranch_scc1 .LBB158_2201
; %bb.2196:
	;; [unrolled: 3-line block ×3, first 2 shown]
	s_cmp_gt_i32 s0, 9
	s_cbranch_scc0 .LBB158_2203
; %bb.2198:
	global_load_b128 v[0:3], v[4:5], off
	s_mov_b32 s3, 0
	s_wait_loadcnt 0x0
	v_cvt_f32_f64_e32 v0, v[0:1]
	v_cvt_f32_f64_e32 v2, v[2:3]
	s_branch .LBB158_2204
.LBB158_2199:
                                        ; implicit-def: $vgpr2
                                        ; implicit-def: $vgpr0
	s_branch .LBB158_2222
.LBB158_2200:
	s_branch .LBB158_2241
.LBB158_2201:
                                        ; implicit-def: $vgpr2
                                        ; implicit-def: $vgpr0
	s_branch .LBB158_2210
.LBB158_2202:
	s_mov_b32 s3, -1
                                        ; implicit-def: $vgpr2
                                        ; implicit-def: $vgpr0
	s_branch .LBB158_2207
.LBB158_2203:
	s_mov_b32 s3, -1
                                        ; implicit-def: $vgpr2
                                        ; implicit-def: $vgpr0
.LBB158_2204:
	s_delay_alu instid0(SALU_CYCLE_1)
	s_and_not1_b32 vcc_lo, exec_lo, s3
	s_cbranch_vccnz .LBB158_2206
; %bb.2205:
	global_load_b64 v[0:1], v[4:5], off
	s_wait_loadcnt 0x0
	v_mov_b32_e32 v2, v1
.LBB158_2206:
	s_mov_b32 s3, 0
.LBB158_2207:
	s_delay_alu instid0(SALU_CYCLE_1)
	s_and_not1_b32 vcc_lo, exec_lo, s3
	s_cbranch_vccnz .LBB158_2209
; %bb.2208:
	global_load_b32 v0, v[4:5], off
	s_wait_loadcnt 0x0
	v_lshrrev_b32_e32 v1, 16, v0
	v_cvt_f32_f16_e32 v0, v0
	s_delay_alu instid0(VALU_DEP_2)
	v_cvt_f32_f16_e32 v2, v1
.LBB158_2209:
	s_cbranch_execnz .LBB158_2221
.LBB158_2210:
	s_cmp_lt_i32 s0, 6
	s_cbranch_scc1 .LBB158_2213
; %bb.2211:
	s_cmp_gt_i32 s0, 6
	s_cbranch_scc0 .LBB158_2214
; %bb.2212:
	global_load_b64 v[0:1], v[4:5], off
	s_mov_b32 s3, 0
	s_wait_loadcnt 0x0
	v_cvt_f32_f64_e32 v0, v[0:1]
	s_branch .LBB158_2215
.LBB158_2213:
	s_mov_b32 s3, -1
                                        ; implicit-def: $vgpr0
	s_branch .LBB158_2218
.LBB158_2214:
	s_mov_b32 s3, -1
                                        ; implicit-def: $vgpr0
.LBB158_2215:
	s_delay_alu instid0(SALU_CYCLE_1)
	s_and_not1_b32 vcc_lo, exec_lo, s3
	s_cbranch_vccnz .LBB158_2217
; %bb.2216:
	global_load_b32 v0, v[4:5], off
.LBB158_2217:
	s_mov_b32 s3, 0
.LBB158_2218:
	s_delay_alu instid0(SALU_CYCLE_1)
	s_and_not1_b32 vcc_lo, exec_lo, s3
	s_cbranch_vccnz .LBB158_2220
; %bb.2219:
	s_wait_loadcnt 0x0
	global_load_u16 v0, v[4:5], off
	s_wait_loadcnt 0x0
	v_cvt_f32_f16_e32 v0, v0
.LBB158_2220:
	v_mov_b32_e32 v2, 0
.LBB158_2221:
	s_cbranch_execnz .LBB158_2200
.LBB158_2222:
	s_cmp_lt_i32 s0, 2
	s_cbranch_scc1 .LBB158_2226
; %bb.2223:
	s_cmp_lt_i32 s0, 3
	s_cbranch_scc1 .LBB158_2227
; %bb.2224:
	s_cmp_gt_i32 s0, 3
	s_cbranch_scc0 .LBB158_2228
; %bb.2225:
	s_wait_loadcnt 0x0
	global_load_b64 v[0:1], v[4:5], off
	s_mov_b32 s3, 0
	s_wait_loadcnt 0x0
	v_xor_b32_e32 v2, v0, v1
	v_cls_i32_e32 v3, v1
	s_delay_alu instid0(VALU_DEP_2) | instskip(NEXT) | instid1(VALU_DEP_1)
	v_ashrrev_i32_e32 v2, 31, v2
	v_add_nc_u32_e32 v2, 32, v2
	s_delay_alu instid0(VALU_DEP_1) | instskip(NEXT) | instid1(VALU_DEP_1)
	v_add_min_u32_e64 v2, v3, -1, v2
	v_lshlrev_b64_e32 v[0:1], v2, v[0:1]
	s_delay_alu instid0(VALU_DEP_1) | instskip(NEXT) | instid1(VALU_DEP_1)
	v_min_u32_e32 v0, 1, v0
	v_dual_sub_nc_u32 v1, 32, v2 :: v_dual_bitop2_b32 v0, v1, v0 bitop3:0x54
	s_delay_alu instid0(VALU_DEP_1) | instskip(NEXT) | instid1(VALU_DEP_1)
	v_cvt_f32_i32_e32 v0, v0
	v_ldexp_f32 v0, v0, v1
	s_branch .LBB158_2229
.LBB158_2226:
                                        ; implicit-def: $vgpr0
	s_branch .LBB158_2235
.LBB158_2227:
	s_mov_b32 s3, -1
                                        ; implicit-def: $vgpr0
	s_branch .LBB158_2232
.LBB158_2228:
	s_mov_b32 s3, -1
                                        ; implicit-def: $vgpr0
.LBB158_2229:
	s_delay_alu instid0(SALU_CYCLE_1)
	s_and_not1_b32 vcc_lo, exec_lo, s3
	s_cbranch_vccnz .LBB158_2231
; %bb.2230:
	s_wait_loadcnt 0x0
	global_load_b32 v0, v[4:5], off
	s_wait_loadcnt 0x0
	v_cvt_f32_i32_e32 v0, v0
.LBB158_2231:
	s_mov_b32 s3, 0
.LBB158_2232:
	s_delay_alu instid0(SALU_CYCLE_1)
	s_and_not1_b32 vcc_lo, exec_lo, s3
	s_cbranch_vccnz .LBB158_2234
; %bb.2233:
	s_wait_loadcnt 0x0
	global_load_i16 v0, v[4:5], off
	s_wait_loadcnt 0x0
	v_cvt_f32_i32_e32 v0, v0
.LBB158_2234:
	s_cbranch_execnz .LBB158_2240
.LBB158_2235:
	s_cmp_gt_i32 s0, 0
	s_mov_b32 s0, 0
	s_cbranch_scc0 .LBB158_2237
; %bb.2236:
	s_wait_loadcnt 0x0
	global_load_i8 v0, v[4:5], off
	s_wait_loadcnt 0x0
	v_cvt_f32_i32_e32 v0, v0
	s_branch .LBB158_2238
.LBB158_2237:
	s_mov_b32 s0, -1
                                        ; implicit-def: $vgpr0
.LBB158_2238:
	s_delay_alu instid0(SALU_CYCLE_1)
	s_and_not1_b32 vcc_lo, exec_lo, s0
	s_cbranch_vccnz .LBB158_2240
; %bb.2239:
	s_wait_loadcnt 0x0
	global_load_u8 v0, v[4:5], off
	s_wait_loadcnt 0x0
	v_cvt_f32_ubyte0_e32 v0, v0
.LBB158_2240:
	v_mov_b32_e32 v2, 0
.LBB158_2241:
	v_mul_lo_u32 v12, s14, v34
	s_and_b32 s3, s21, 0xff
	s_delay_alu instid0(SALU_CYCLE_1) | instskip(NEXT) | instid1(VALU_DEP_1)
	s_cmp_lt_i32 s3, 11
	v_ashrrev_i32_e32 v13, 31, v12
	s_delay_alu instid0(VALU_DEP_1)
	v_add_nc_u64_e32 v[8:9], s[8:9], v[12:13]
	s_cbranch_scc1 .LBB158_2248
; %bb.2242:
	s_and_b32 s0, 0xffff, s3
	s_mov_b32 s23, 0
	s_cmp_gt_i32 s0, 25
	s_cbranch_scc0 .LBB158_2250
; %bb.2243:
	s_cmp_gt_i32 s0, 28
	s_cbranch_scc0 .LBB158_2251
; %bb.2244:
	;; [unrolled: 3-line block ×4, first 2 shown]
	s_cmp_eq_u32 s0, 46
	s_mov_b32 s27, 0
	s_cbranch_scc0 .LBB158_2261
; %bb.2247:
	global_load_b32 v1, v[8:9], off
	s_mov_b32 s21, 0
	s_mov_b32 s26, -1
	s_wait_loadcnt 0x0
	s_wait_xcnt 0x1
	v_and_b32_e32 v5, 0xffff0000, v1
	v_lshlrev_b32_e32 v4, 16, v1
	s_branch .LBB158_2263
.LBB158_2248:
	s_mov_b32 s26, 0
                                        ; implicit-def: $vgpr5
	s_cbranch_execnz .LBB158_2327
.LBB158_2249:
	s_and_not1_b32 vcc_lo, exec_lo, s26
	s_cbranch_vccz .LBB158_2376
	s_branch .LBB158_4181
.LBB158_2250:
	s_mov_b32 s26, 0
	s_mov_b32 s21, 0
                                        ; implicit-def: $vgpr5
	s_cbranch_execnz .LBB158_2292
	s_branch .LBB158_2323
.LBB158_2251:
	s_mov_b32 s27, -1
	s_mov_b32 s26, 0
	s_mov_b32 s21, 0
                                        ; implicit-def: $vgpr5
	s_branch .LBB158_2275
.LBB158_2252:
	s_mov_b32 s27, -1
	s_mov_b32 s26, 0
	s_mov_b32 s21, 0
                                        ; implicit-def: $vgpr5
	s_branch .LBB158_2269
.LBB158_2253:
	s_or_b32 s22, s25, exec_lo
	s_trap 2
	s_cbranch_execz .LBB158_2192
	s_branch .LBB158_2193
.LBB158_2254:
	s_mov_b32 s22, -1
	s_mov_b32 s26, exec_lo
	v_cmpx_eq_u16_e32 0x80, v1
; %bb.2255:
	s_xor_b32 s22, exec_lo, -1
; %bb.2256:
	s_or_b32 exec_lo, exec_lo, s26
	s_delay_alu instid0(SALU_CYCLE_1)
	s_and_b32 s22, s22, exec_lo
	s_or_saveexec_b32 s23, s23
	v_mov_b32_e32 v0, 0x7f800001
	s_xor_b32 exec_lo, exec_lo, s23
	s_cbranch_execz .LBB158_2165
.LBB158_2257:
	v_cmp_ne_u16_e32 vcc_lo, 0, v1
	v_mov_b32_e32 v0, 0
	s_and_not1_b32 s22, s22, exec_lo
	s_and_b32 s26, vcc_lo, exec_lo
	s_delay_alu instid0(SALU_CYCLE_1)
	s_or_b32 s22, s22, s26
	s_or_b32 exec_lo, exec_lo, s23
	s_and_saveexec_b32 s23, s22
	s_cbranch_execnz .LBB158_2166
	s_branch .LBB158_2167
.LBB158_2258:
	s_mov_b32 s27, -1
	s_mov_b32 s26, 0
	s_mov_b32 s21, 0
	s_branch .LBB158_2262
.LBB158_2259:
	v_bfe_u32 v0, v8, 20, 1
	s_mov_b32 s29, exec_lo
	s_delay_alu instid0(VALU_DEP_1) | instskip(NEXT) | instid1(VALU_DEP_1)
	v_add3_u32 v0, v8, v0, 0x487ffff
	v_lshrrev_b32_e32 v0, 20, v0
	s_and_not1_saveexec_b32 s30, s30
	s_cbranch_execz .LBB158_2029
.LBB158_2260:
	v_add_f32_e64 v0, 0x46000000, |v8|
	s_and_not1_b32 s29, s29, exec_lo
	s_delay_alu instid0(VALU_DEP_1) | instskip(NEXT) | instid1(VALU_DEP_1)
	v_and_b32_e32 v0, 0xff, v0
	v_cmp_ne_u32_e32 vcc_lo, 0, v0
	s_and_b32 s31, vcc_lo, exec_lo
	s_delay_alu instid0(SALU_CYCLE_1)
	s_or_b32 s29, s29, s31
	s_or_b32 exec_lo, exec_lo, s30
	v_mov_b32_e32 v1, 0
	s_and_saveexec_b32 s30, s29
	s_cbranch_execnz .LBB158_2030
	s_branch .LBB158_2031
.LBB158_2261:
	s_mov_b32 s21, -1
	s_mov_b32 s26, 0
.LBB158_2262:
                                        ; implicit-def: $vgpr5
.LBB158_2263:
	s_and_b32 vcc_lo, exec_lo, s27
	s_cbranch_vccz .LBB158_2268
; %bb.2264:
	s_cmp_eq_u32 s0, 44
	s_cbranch_scc0 .LBB158_2266
; %bb.2265:
	global_load_u8 v1, v[8:9], off
	s_mov_b32 s21, 0
	s_mov_b32 s26, -1
	s_wait_loadcnt 0x0
	v_lshlrev_b32_e32 v3, 23, v1
	v_cmp_ne_u32_e32 vcc_lo, 0xff, v1
	s_delay_alu instid0(VALU_DEP_2) | instskip(SKIP_2) | instid1(VALU_DEP_2)
	v_cndmask_b32_e32 v3, 0x7f800001, v3, vcc_lo
	v_cmp_ne_u32_e32 vcc_lo, 0, v1
	s_wait_xcnt 0x1
	v_cndmask_b32_e32 v4, 0x400000, v3, vcc_lo
	s_branch .LBB158_2267
.LBB158_2266:
	s_mov_b32 s21, -1
                                        ; implicit-def: $vgpr4
.LBB158_2267:
	s_wait_xcnt 0x0
	v_mov_b32_e32 v5, 0
.LBB158_2268:
	s_mov_b32 s27, 0
.LBB158_2269:
	s_delay_alu instid0(SALU_CYCLE_1)
	s_and_b32 vcc_lo, exec_lo, s27
	s_cbranch_vccz .LBB158_2274
; %bb.2270:
	s_cmp_eq_u32 s0, 29
	s_cbranch_scc0 .LBB158_2272
; %bb.2271:
	global_load_b64 v[4:5], v[8:9], off
	s_mov_b32 s21, 0
	s_mov_b32 s26, -1
	s_wait_loadcnt 0x0
	v_clz_i32_u32_e32 v1, v5
	s_delay_alu instid0(VALU_DEP_1) | instskip(NEXT) | instid1(VALU_DEP_1)
	v_min_u32_e32 v1, 32, v1
	v_lshlrev_b64_e32 v[4:5], v1, v[4:5]
	v_sub_nc_u32_e32 v1, 32, v1
	s_delay_alu instid0(VALU_DEP_2) | instskip(NEXT) | instid1(VALU_DEP_1)
	v_min_u32_e32 v3, 1, v4
	v_or_b32_e32 v3, v5, v3
	s_delay_alu instid0(VALU_DEP_1) | instskip(NEXT) | instid1(VALU_DEP_1)
	v_cvt_f32_u32_e32 v3, v3
	v_ldexp_f32 v4, v3, v1
	s_branch .LBB158_2273
.LBB158_2272:
	s_mov_b32 s21, -1
                                        ; implicit-def: $vgpr4
.LBB158_2273:
	s_wait_xcnt 0x0
	v_mov_b32_e32 v5, 0
.LBB158_2274:
	s_mov_b32 s27, 0
.LBB158_2275:
	s_delay_alu instid0(SALU_CYCLE_1)
	s_and_b32 vcc_lo, exec_lo, s27
	s_cbranch_vccz .LBB158_2291
; %bb.2276:
	s_cmp_lt_i32 s0, 27
	s_cbranch_scc1 .LBB158_2279
; %bb.2277:
	s_cmp_gt_i32 s0, 27
	s_cbranch_scc0 .LBB158_2280
; %bb.2278:
	global_load_b32 v1, v[8:9], off
	s_mov_b32 s26, 0
	s_wait_loadcnt 0x0
	s_wait_xcnt 0x1
	v_cvt_f32_u32_e32 v4, v1
	s_branch .LBB158_2281
.LBB158_2279:
	s_mov_b32 s26, -1
                                        ; implicit-def: $vgpr4
	s_branch .LBB158_2284
.LBB158_2280:
	s_mov_b32 s26, -1
                                        ; implicit-def: $vgpr4
.LBB158_2281:
	s_delay_alu instid0(SALU_CYCLE_1)
	s_and_not1_b32 vcc_lo, exec_lo, s26
	s_cbranch_vccnz .LBB158_2283
; %bb.2282:
	global_load_u16 v1, v[8:9], off
	s_wait_loadcnt 0x0
	s_wait_xcnt 0x1
	v_cvt_f32_u32_e32 v4, v1
.LBB158_2283:
	s_mov_b32 s26, 0
.LBB158_2284:
	s_delay_alu instid0(SALU_CYCLE_1)
	s_and_not1_b32 vcc_lo, exec_lo, s26
	s_cbranch_vccnz .LBB158_2290
; %bb.2285:
	global_load_u8 v1, v[8:9], off
	s_mov_b32 s26, 0
	s_mov_b32 s27, exec_lo
	s_wait_loadcnt 0x0
	v_cmpx_lt_i16_e32 0x7f, v1
	s_xor_b32 s27, exec_lo, s27
	s_cbranch_execnz .LBB158_2302
; %bb.2286:
	s_or_saveexec_b32 s27, s27
	v_mov_b32_e32 v4, 0x7f800001
	s_xor_b32 exec_lo, exec_lo, s27
	s_cbranch_execnz .LBB158_2305
.LBB158_2287:
	s_or_b32 exec_lo, exec_lo, s27
	s_and_saveexec_b32 s27, s26
	s_cbranch_execz .LBB158_2289
.LBB158_2288:
	v_and_b32_e32 v3, 0xffff, v1
	s_delay_alu instid0(VALU_DEP_1) | instskip(SKIP_1) | instid1(VALU_DEP_2)
	v_and_b32_e32 v4, 7, v3
	v_bfe_u32 v10, v3, 3, 4
	v_clz_i32_u32_e32 v5, v4
	s_delay_alu instid0(VALU_DEP_2) | instskip(NEXT) | instid1(VALU_DEP_2)
	v_cmp_eq_u32_e32 vcc_lo, 0, v10
	v_min_u32_e32 v5, 32, v5
	s_delay_alu instid0(VALU_DEP_1) | instskip(NEXT) | instid1(VALU_DEP_1)
	v_subrev_nc_u32_e32 v7, 28, v5
	v_dual_lshlrev_b32 v3, v7, v3 :: v_dual_sub_nc_u32 v5, 29, v5
	s_delay_alu instid0(VALU_DEP_1) | instskip(NEXT) | instid1(VALU_DEP_1)
	v_dual_lshlrev_b32 v1, 24, v1 :: v_dual_bitop2_b32 v3, 7, v3 bitop3:0x40
	v_dual_cndmask_b32 v3, v4, v3, vcc_lo :: v_dual_cndmask_b32 v5, v10, v5, vcc_lo
	s_delay_alu instid0(VALU_DEP_2) | instskip(NEXT) | instid1(VALU_DEP_2)
	v_and_b32_e32 v1, 0x80000000, v1
	v_lshlrev_b32_e32 v3, 20, v3
	s_delay_alu instid0(VALU_DEP_3) | instskip(NEXT) | instid1(VALU_DEP_1)
	v_lshl_add_u32 v4, v5, 23, 0x3b800000
	v_or3_b32 v4, v1, v4, v3
.LBB158_2289:
	s_or_b32 exec_lo, exec_lo, s27
.LBB158_2290:
	s_wait_xcnt 0x0
	v_mov_b32_e32 v5, 0
	s_mov_b32 s26, -1
.LBB158_2291:
	s_branch .LBB158_2323
.LBB158_2292:
	s_cmp_gt_i32 s0, 22
	s_cbranch_scc0 .LBB158_2300
; %bb.2293:
	s_cmp_lt_i32 s0, 24
	s_cbranch_scc1 .LBB158_2301
; %bb.2294:
	s_cmp_gt_i32 s0, 24
	s_cbranch_scc0 .LBB158_2306
; %bb.2295:
	global_load_u8 v1, v[8:9], off
	s_mov_b32 s26, exec_lo
	s_wait_loadcnt 0x0
	v_cmpx_lt_i16_e32 0x7f, v1
	s_xor_b32 s26, exec_lo, s26
	s_cbranch_execnz .LBB158_2389
; %bb.2296:
	s_or_saveexec_b32 s26, s26
	v_mov_b32_e32 v4, 0x7f800001
	s_xor_b32 exec_lo, exec_lo, s26
	s_cbranch_execnz .LBB158_2392
.LBB158_2297:
	s_or_b32 exec_lo, exec_lo, s26
	s_and_saveexec_b32 s26, s23
	s_cbranch_execz .LBB158_2299
.LBB158_2298:
	v_and_b32_e32 v3, 0xffff, v1
	s_delay_alu instid0(VALU_DEP_1) | instskip(SKIP_1) | instid1(VALU_DEP_2)
	v_and_b32_e32 v4, 3, v3
	v_bfe_u32 v10, v3, 2, 5
	v_clz_i32_u32_e32 v5, v4
	s_delay_alu instid0(VALU_DEP_2) | instskip(NEXT) | instid1(VALU_DEP_2)
	v_cmp_eq_u32_e32 vcc_lo, 0, v10
	v_min_u32_e32 v5, 32, v5
	s_delay_alu instid0(VALU_DEP_1) | instskip(NEXT) | instid1(VALU_DEP_1)
	v_subrev_nc_u32_e32 v7, 29, v5
	v_dual_lshlrev_b32 v3, v7, v3 :: v_dual_sub_nc_u32 v5, 30, v5
	s_delay_alu instid0(VALU_DEP_1) | instskip(NEXT) | instid1(VALU_DEP_1)
	v_dual_lshlrev_b32 v1, 24, v1 :: v_dual_bitop2_b32 v3, 3, v3 bitop3:0x40
	v_dual_cndmask_b32 v3, v4, v3, vcc_lo :: v_dual_cndmask_b32 v5, v10, v5, vcc_lo
	s_delay_alu instid0(VALU_DEP_2) | instskip(NEXT) | instid1(VALU_DEP_2)
	v_and_b32_e32 v1, 0x80000000, v1
	v_lshlrev_b32_e32 v3, 21, v3
	s_delay_alu instid0(VALU_DEP_3) | instskip(NEXT) | instid1(VALU_DEP_1)
	v_lshl_add_u32 v4, v5, 23, 0x37800000
	v_or3_b32 v4, v1, v4, v3
.LBB158_2299:
	s_or_b32 exec_lo, exec_lo, s26
	s_mov_b32 s23, 0
	s_branch .LBB158_2307
.LBB158_2300:
	s_mov_b32 s23, -1
                                        ; implicit-def: $vgpr4
	s_branch .LBB158_2313
.LBB158_2301:
	s_mov_b32 s23, -1
                                        ; implicit-def: $vgpr4
	s_branch .LBB158_2310
.LBB158_2302:
	s_mov_b32 s26, -1
	s_mov_b32 s28, exec_lo
	v_cmpx_eq_u16_e32 0x80, v1
; %bb.2303:
	s_xor_b32 s26, exec_lo, -1
; %bb.2304:
	s_or_b32 exec_lo, exec_lo, s28
	s_delay_alu instid0(SALU_CYCLE_1)
	s_and_b32 s26, s26, exec_lo
	s_or_saveexec_b32 s27, s27
	v_mov_b32_e32 v4, 0x7f800001
	s_xor_b32 exec_lo, exec_lo, s27
	s_cbranch_execz .LBB158_2287
.LBB158_2305:
	v_cmp_ne_u16_e32 vcc_lo, 0, v1
	v_mov_b32_e32 v4, 0
	s_and_not1_b32 s26, s26, exec_lo
	s_and_b32 s28, vcc_lo, exec_lo
	s_delay_alu instid0(SALU_CYCLE_1)
	s_or_b32 s26, s26, s28
	s_or_b32 exec_lo, exec_lo, s27
	s_and_saveexec_b32 s27, s26
	s_cbranch_execnz .LBB158_2288
	s_branch .LBB158_2289
.LBB158_2306:
	s_mov_b32 s23, -1
                                        ; implicit-def: $vgpr4
.LBB158_2307:
	s_delay_alu instid0(SALU_CYCLE_1)
	s_and_b32 vcc_lo, exec_lo, s23
	s_cbranch_vccz .LBB158_2309
; %bb.2308:
	global_load_u8 v1, v[8:9], off
	s_wait_loadcnt 0x0
	v_lshlrev_b32_e32 v1, 24, v1
	s_delay_alu instid0(VALU_DEP_1) | instskip(SKIP_1) | instid1(VALU_DEP_1)
	v_and_b32_e32 v3, 0x7f000000, v1
	s_wait_xcnt 0x1
	v_clz_i32_u32_e32 v4, v3
	v_add_nc_u32_e32 v7, 0x1000000, v3
	v_cmp_ne_u32_e32 vcc_lo, 0, v3
	s_delay_alu instid0(VALU_DEP_3) | instskip(NEXT) | instid1(VALU_DEP_1)
	v_min_u32_e32 v4, 32, v4
	v_sub_nc_u32_e64 v4, v4, 4 clamp
	s_delay_alu instid0(VALU_DEP_1) | instskip(NEXT) | instid1(VALU_DEP_1)
	v_dual_lshlrev_b32 v5, v4, v3 :: v_dual_lshlrev_b32 v4, 23, v4
	v_lshrrev_b32_e32 v5, 4, v5
	s_delay_alu instid0(VALU_DEP_1) | instskip(NEXT) | instid1(VALU_DEP_1)
	v_dual_sub_nc_u32 v4, v5, v4 :: v_dual_ashrrev_i32 v5, 8, v7
	v_add_nc_u32_e32 v4, 0x3c000000, v4
	s_delay_alu instid0(VALU_DEP_1) | instskip(NEXT) | instid1(VALU_DEP_1)
	v_and_or_b32 v4, 0x7f800000, v5, v4
	v_cndmask_b32_e32 v3, 0, v4, vcc_lo
	s_delay_alu instid0(VALU_DEP_1)
	v_and_or_b32 v4, 0x80000000, v1, v3
.LBB158_2309:
	s_mov_b32 s23, 0
.LBB158_2310:
	s_delay_alu instid0(SALU_CYCLE_1)
	s_and_not1_b32 vcc_lo, exec_lo, s23
	s_cbranch_vccnz .LBB158_2312
; %bb.2311:
	global_load_u8 v1, v[8:9], off
	s_wait_loadcnt 0x0
	v_lshlrev_b32_e32 v3, 25, v1
	v_lshlrev_b16 v1, 8, v1
	s_wait_xcnt 0x1
	s_delay_alu instid0(VALU_DEP_1) | instskip(NEXT) | instid1(VALU_DEP_3)
	v_and_or_b32 v5, 0x7f00, v1, 0.5
	v_lshrrev_b32_e32 v4, 4, v3
	v_bfe_i32 v1, v1, 0, 16
	s_delay_alu instid0(VALU_DEP_3) | instskip(NEXT) | instid1(VALU_DEP_3)
	v_add_f32_e32 v5, -0.5, v5
	v_or_b32_e32 v4, 0x70000000, v4
	s_delay_alu instid0(VALU_DEP_1) | instskip(SKIP_1) | instid1(VALU_DEP_2)
	v_mul_f32_e32 v4, 0x7800000, v4
	v_cmp_gt_u32_e32 vcc_lo, 0x8000000, v3
	v_cndmask_b32_e32 v3, v4, v5, vcc_lo
	s_delay_alu instid0(VALU_DEP_1)
	v_and_or_b32 v4, 0x80000000, v1, v3
.LBB158_2312:
	s_mov_b32 s23, 0
	s_mov_b32 s26, -1
.LBB158_2313:
	s_and_not1_b32 vcc_lo, exec_lo, s23
	s_mov_b32 s23, 0
	s_cbranch_vccnz .LBB158_2322
; %bb.2314:
	s_cmp_gt_i32 s0, 14
	s_cbranch_scc0 .LBB158_2317
; %bb.2315:
	s_cmp_eq_u32 s0, 15
	s_cbranch_scc0 .LBB158_2318
; %bb.2316:
	global_load_u16 v1, v[8:9], off
	s_mov_b32 s21, 0
	s_mov_b32 s26, -1
	s_wait_loadcnt 0x0
	s_wait_xcnt 0x1
	v_lshlrev_b32_e32 v4, 16, v1
	s_branch .LBB158_2320
.LBB158_2317:
	s_mov_b32 s23, -1
	s_branch .LBB158_2319
.LBB158_2318:
	s_mov_b32 s21, -1
.LBB158_2319:
                                        ; implicit-def: $vgpr4
.LBB158_2320:
	s_and_b32 vcc_lo, exec_lo, s23
	s_mov_b32 s23, 0
	s_cbranch_vccz .LBB158_2322
; %bb.2321:
	s_cmp_lg_u32 s0, 11
	s_mov_b32 s23, -1
	s_cselect_b32 s21, -1, 0
.LBB158_2322:
	s_wait_xcnt 0x0
	v_mov_b32_e32 v5, 0
.LBB158_2323:
	s_and_b32 vcc_lo, exec_lo, s21
	s_cbranch_vccnz .LBB158_2388
; %bb.2324:
	s_and_not1_b32 vcc_lo, exec_lo, s23
	s_cbranch_vccnz .LBB158_2326
.LBB158_2325:
	global_load_u8 v1, v[8:9], off
	s_wait_xcnt 0x1
	v_mov_b32_e32 v5, 0
	s_mov_b32 s26, -1
	s_wait_loadcnt 0x0
	v_cmp_ne_u16_e32 vcc_lo, 0, v1
	v_cndmask_b32_e64 v4, 0, 1.0, vcc_lo
.LBB158_2326:
	s_branch .LBB158_2249
.LBB158_2327:
	s_and_b32 s0, 0xffff, s3
	s_delay_alu instid0(SALU_CYCLE_1)
	s_cmp_lt_i32 s0, 5
	s_cbranch_scc1 .LBB158_2332
; %bb.2328:
	s_cmp_lt_i32 s0, 8
	s_cbranch_scc1 .LBB158_2334
; %bb.2329:
	;; [unrolled: 3-line block ×3, first 2 shown]
	s_cmp_gt_i32 s0, 9
	s_cbranch_scc0 .LBB158_2336
; %bb.2331:
	global_load_b128 v[14:17], v[8:9], off
	s_mov_b32 s21, 0
	s_wait_loadcnt 0x0
	s_wait_xcnt 0x1
	v_cvt_f32_f64_e32 v4, v[14:15]
	v_cvt_f32_f64_e32 v5, v[16:17]
	s_branch .LBB158_2337
.LBB158_2332:
                                        ; implicit-def: $vgpr5
	s_branch .LBB158_2356
.LBB158_2333:
	s_branch .LBB158_2376
.LBB158_2334:
	s_mov_b32 s21, -1
                                        ; implicit-def: $vgpr5
	s_branch .LBB158_2343
.LBB158_2335:
	s_mov_b32 s21, -1
                                        ; implicit-def: $vgpr5
	s_branch .LBB158_2340
.LBB158_2336:
	s_mov_b32 s21, -1
                                        ; implicit-def: $vgpr5
.LBB158_2337:
	s_delay_alu instid0(SALU_CYCLE_1)
	s_and_not1_b32 vcc_lo, exec_lo, s21
	s_cbranch_vccnz .LBB158_2339
; %bb.2338:
	global_load_b64 v[4:5], v[8:9], off
.LBB158_2339:
	s_mov_b32 s21, 0
.LBB158_2340:
	s_delay_alu instid0(SALU_CYCLE_1)
	s_and_not1_b32 vcc_lo, exec_lo, s21
	s_cbranch_vccnz .LBB158_2342
; %bb.2341:
	global_load_b32 v1, v[8:9], off
	s_wait_loadcnt 0x0
	v_lshrrev_b32_e32 v3, 16, v1
	s_wait_xcnt 0x1
	v_cvt_f32_f16_e32 v4, v1
	s_delay_alu instid0(VALU_DEP_2)
	v_cvt_f32_f16_e32 v5, v3
.LBB158_2342:
	s_mov_b32 s21, 0
.LBB158_2343:
	s_delay_alu instid0(SALU_CYCLE_1)
	s_and_not1_b32 vcc_lo, exec_lo, s21
	s_cbranch_vccnz .LBB158_2355
; %bb.2344:
	s_cmp_lt_i32 s0, 6
	s_cbranch_scc1 .LBB158_2347
; %bb.2345:
	s_cmp_gt_i32 s0, 6
	s_cbranch_scc0 .LBB158_2348
; %bb.2346:
	s_wait_loadcnt 0x0
	global_load_b64 v[4:5], v[8:9], off
	s_mov_b32 s21, 0
	s_wait_loadcnt 0x0
	v_cvt_f32_f64_e32 v4, v[4:5]
	s_branch .LBB158_2349
.LBB158_2347:
	s_mov_b32 s21, -1
                                        ; implicit-def: $vgpr4
	s_branch .LBB158_2352
.LBB158_2348:
	s_mov_b32 s21, -1
                                        ; implicit-def: $vgpr4
.LBB158_2349:
	s_delay_alu instid0(SALU_CYCLE_1)
	s_and_not1_b32 vcc_lo, exec_lo, s21
	s_cbranch_vccnz .LBB158_2351
; %bb.2350:
	s_wait_loadcnt 0x0
	global_load_b32 v4, v[8:9], off
.LBB158_2351:
	s_mov_b32 s21, 0
.LBB158_2352:
	s_delay_alu instid0(SALU_CYCLE_1)
	s_and_not1_b32 vcc_lo, exec_lo, s21
	s_cbranch_vccnz .LBB158_2354
; %bb.2353:
	global_load_u16 v1, v[8:9], off
	s_wait_loadcnt 0x0
	s_wait_xcnt 0x1
	v_cvt_f32_f16_e32 v4, v1
.LBB158_2354:
	s_wait_loadcnt 0x0
	v_mov_b32_e32 v5, 0
.LBB158_2355:
	s_cbranch_execnz .LBB158_2333
.LBB158_2356:
	s_cmp_lt_i32 s0, 2
	s_cbranch_scc1 .LBB158_2360
; %bb.2357:
	s_cmp_lt_i32 s0, 3
	s_cbranch_scc1 .LBB158_2361
; %bb.2358:
	s_cmp_gt_i32 s0, 3
	s_cbranch_scc0 .LBB158_2362
; %bb.2359:
	s_wait_loadcnt 0x0
	global_load_b64 v[4:5], v[8:9], off
	s_mov_b32 s21, 0
	s_wait_loadcnt 0x0
	v_xor_b32_e32 v1, v4, v5
	v_cls_i32_e32 v3, v5
	s_delay_alu instid0(VALU_DEP_2) | instskip(NEXT) | instid1(VALU_DEP_1)
	v_ashrrev_i32_e32 v1, 31, v1
	v_add_nc_u32_e32 v1, 32, v1
	s_delay_alu instid0(VALU_DEP_1) | instskip(NEXT) | instid1(VALU_DEP_1)
	v_add_min_u32_e64 v1, v3, -1, v1
	v_lshlrev_b64_e32 v[4:5], v1, v[4:5]
	v_sub_nc_u32_e32 v1, 32, v1
	s_delay_alu instid0(VALU_DEP_2) | instskip(NEXT) | instid1(VALU_DEP_1)
	v_min_u32_e32 v3, 1, v4
	v_or_b32_e32 v3, v5, v3
	s_delay_alu instid0(VALU_DEP_1) | instskip(NEXT) | instid1(VALU_DEP_1)
	v_cvt_f32_i32_e32 v3, v3
	v_ldexp_f32 v4, v3, v1
	s_branch .LBB158_2363
.LBB158_2360:
	s_mov_b32 s21, -1
                                        ; implicit-def: $vgpr4
	s_branch .LBB158_2369
.LBB158_2361:
	s_mov_b32 s21, -1
                                        ; implicit-def: $vgpr4
	s_branch .LBB158_2366
.LBB158_2362:
	s_mov_b32 s21, -1
                                        ; implicit-def: $vgpr4
.LBB158_2363:
	s_delay_alu instid0(SALU_CYCLE_1)
	s_and_not1_b32 vcc_lo, exec_lo, s21
	s_cbranch_vccnz .LBB158_2365
; %bb.2364:
	global_load_b32 v1, v[8:9], off
	s_wait_loadcnt 0x0
	s_wait_xcnt 0x1
	v_cvt_f32_i32_e32 v4, v1
.LBB158_2365:
	s_mov_b32 s21, 0
.LBB158_2366:
	s_delay_alu instid0(SALU_CYCLE_1)
	s_and_not1_b32 vcc_lo, exec_lo, s21
	s_cbranch_vccnz .LBB158_2368
; %bb.2367:
	global_load_i16 v1, v[8:9], off
	s_wait_loadcnt 0x0
	s_wait_xcnt 0x1
	v_cvt_f32_i32_e32 v4, v1
.LBB158_2368:
	s_mov_b32 s21, 0
.LBB158_2369:
	s_delay_alu instid0(SALU_CYCLE_1)
	s_and_not1_b32 vcc_lo, exec_lo, s21
	s_cbranch_vccnz .LBB158_2375
; %bb.2370:
	s_cmp_gt_i32 s0, 0
	s_mov_b32 s0, 0
	s_cbranch_scc0 .LBB158_2372
; %bb.2371:
	global_load_i8 v1, v[8:9], off
	s_wait_loadcnt 0x0
	s_wait_xcnt 0x1
	v_cvt_f32_i32_e32 v4, v1
	s_branch .LBB158_2373
.LBB158_2372:
	s_mov_b32 s0, -1
                                        ; implicit-def: $vgpr4
.LBB158_2373:
	s_delay_alu instid0(SALU_CYCLE_1)
	s_and_not1_b32 vcc_lo, exec_lo, s0
	s_cbranch_vccnz .LBB158_2375
; %bb.2374:
	global_load_u8 v1, v[8:9], off
	s_wait_loadcnt 0x0
	s_wait_xcnt 0x1
	v_cvt_f32_ubyte0_e32 v4, v1
.LBB158_2375:
	s_wait_loadcnt 0x0
	v_mov_b32_e32 v5, 0
.LBB158_2376:
	v_mul_lo_u32 v14, s15, v34
	s_and_b32 s0, 0xffff, s1
	s_delay_alu instid0(SALU_CYCLE_1) | instskip(NEXT) | instid1(VALU_DEP_1)
	s_cmp_lt_i32 s0, 11
	v_ashrrev_i32_e32 v15, 31, v14
	s_delay_alu instid0(VALU_DEP_1)
	v_add_nc_u64_e32 v[10:11], s[10:11], v[14:15]
	s_cbranch_scc1 .LBB158_2383
; %bb.2377:
	s_cmp_gt_i32 s0, 25
	s_mov_b32 s21, 0
	s_cbranch_scc0 .LBB158_2385
; %bb.2378:
	s_cmp_gt_i32 s0, 28
	s_cbranch_scc0 .LBB158_2386
; %bb.2379:
	s_cmp_gt_i32 s0, 43
	;; [unrolled: 3-line block ×3, first 2 shown]
	s_cbranch_scc0 .LBB158_2393
; %bb.2381:
	s_cmp_eq_u32 s0, 46
	s_mov_b32 s26, 0
	s_cbranch_scc0 .LBB158_2396
; %bb.2382:
	global_load_b32 v1, v[10:11], off
	s_mov_b32 s1, 0
	s_mov_b32 s23, -1
	s_wait_loadcnt 0x0
	s_wait_xcnt 0x1
	v_and_b32_e32 v9, 0xffff0000, v1
	v_lshlrev_b32_e32 v8, 16, v1
	s_branch .LBB158_2398
.LBB158_2383:
	s_mov_b32 s23, 0
                                        ; implicit-def: $vgpr9
	s_cbranch_execnz .LBB158_2432
.LBB158_2384:
	s_and_not1_b32 vcc_lo, exec_lo, s23
	s_cbranch_vccz .LBB158_2514
	s_branch .LBB158_4181
.LBB158_2385:
	s_mov_b32 s26, -1
	s_mov_b32 s23, 0
	s_mov_b32 s1, 0
                                        ; implicit-def: $vgpr9
	s_branch .LBB158_2427
.LBB158_2386:
	s_mov_b32 s26, -1
	s_mov_b32 s23, 0
	s_mov_b32 s1, 0
                                        ; implicit-def: $vgpr9
	s_branch .LBB158_2410
.LBB158_2387:
	s_mov_b32 s26, -1
	s_mov_b32 s23, 0
	s_mov_b32 s1, 0
                                        ; implicit-def: $vgpr9
	s_branch .LBB158_2404
.LBB158_2388:
	s_or_b32 s22, s22, exec_lo
	s_trap 2
	s_cbranch_execz .LBB158_2325
	s_branch .LBB158_2326
.LBB158_2389:
	s_mov_b32 s23, -1
	s_mov_b32 s27, exec_lo
	v_cmpx_eq_u16_e32 0x80, v1
; %bb.2390:
	s_xor_b32 s23, exec_lo, -1
; %bb.2391:
	s_or_b32 exec_lo, exec_lo, s27
	s_delay_alu instid0(SALU_CYCLE_1)
	s_and_b32 s23, s23, exec_lo
	s_or_saveexec_b32 s26, s26
	v_mov_b32_e32 v4, 0x7f800001
	s_xor_b32 exec_lo, exec_lo, s26
	s_cbranch_execz .LBB158_2297
.LBB158_2392:
	v_cmp_ne_u16_e32 vcc_lo, 0, v1
	v_mov_b32_e32 v4, 0
	s_and_not1_b32 s23, s23, exec_lo
	s_and_b32 s27, vcc_lo, exec_lo
	s_delay_alu instid0(SALU_CYCLE_1)
	s_or_b32 s23, s23, s27
	s_or_b32 exec_lo, exec_lo, s26
	s_and_saveexec_b32 s26, s23
	s_cbranch_execnz .LBB158_2298
	s_branch .LBB158_2299
.LBB158_2393:
	s_mov_b32 s26, -1
	s_mov_b32 s23, 0
	s_mov_b32 s1, 0
	s_branch .LBB158_2397
.LBB158_2394:
	v_bfe_u32 v0, v8, 21, 1
	s_mov_b32 s30, exec_lo
	s_delay_alu instid0(VALU_DEP_1) | instskip(NEXT) | instid1(VALU_DEP_1)
	v_add3_u32 v0, v8, v0, 0x88fffff
	v_lshrrev_b32_e32 v0, 21, v0
	s_and_not1_saveexec_b32 s31, s31
	s_cbranch_execz .LBB158_2041
.LBB158_2395:
	v_add_f32_e64 v0, 0x42800000, |v8|
	s_and_not1_b32 s30, s30, exec_lo
	s_delay_alu instid0(VALU_DEP_1) | instskip(NEXT) | instid1(VALU_DEP_1)
	v_and_b32_e32 v0, 0xff, v0
	v_cmp_ne_u32_e32 vcc_lo, 0, v0
	s_and_b32 s33, vcc_lo, exec_lo
	s_delay_alu instid0(SALU_CYCLE_1)
	s_or_b32 s30, s30, s33
	s_or_b32 exec_lo, exec_lo, s31
	v_mov_b32_e32 v1, 0
	s_and_saveexec_b32 s31, s30
	s_cbranch_execnz .LBB158_2042
	s_branch .LBB158_2043
.LBB158_2396:
	s_mov_b32 s1, -1
	s_mov_b32 s23, 0
.LBB158_2397:
                                        ; implicit-def: $vgpr9
.LBB158_2398:
	s_and_b32 vcc_lo, exec_lo, s26
	s_cbranch_vccz .LBB158_2403
; %bb.2399:
	s_cmp_eq_u32 s0, 44
	s_cbranch_scc0 .LBB158_2401
; %bb.2400:
	global_load_u8 v1, v[10:11], off
	s_mov_b32 s1, 0
	s_mov_b32 s23, -1
	s_wait_loadcnt 0x0
	v_lshlrev_b32_e32 v3, 23, v1
	v_cmp_ne_u32_e32 vcc_lo, 0xff, v1
	s_delay_alu instid0(VALU_DEP_2) | instskip(SKIP_2) | instid1(VALU_DEP_2)
	v_cndmask_b32_e32 v3, 0x7f800001, v3, vcc_lo
	v_cmp_ne_u32_e32 vcc_lo, 0, v1
	s_wait_xcnt 0x1
	v_cndmask_b32_e32 v8, 0x400000, v3, vcc_lo
	s_branch .LBB158_2402
.LBB158_2401:
	s_mov_b32 s1, -1
                                        ; implicit-def: $vgpr8
.LBB158_2402:
	s_wait_xcnt 0x0
	v_mov_b32_e32 v9, 0
.LBB158_2403:
	s_mov_b32 s26, 0
.LBB158_2404:
	s_delay_alu instid0(SALU_CYCLE_1)
	s_and_b32 vcc_lo, exec_lo, s26
	s_cbranch_vccz .LBB158_2409
; %bb.2405:
	s_cmp_eq_u32 s0, 29
	s_cbranch_scc0 .LBB158_2407
; %bb.2406:
	global_load_b64 v[8:9], v[10:11], off
	s_mov_b32 s1, 0
	s_mov_b32 s23, -1
	s_wait_loadcnt 0x0
	v_clz_i32_u32_e32 v1, v9
	s_delay_alu instid0(VALU_DEP_1) | instskip(NEXT) | instid1(VALU_DEP_1)
	v_min_u32_e32 v1, 32, v1
	v_lshlrev_b64_e32 v[8:9], v1, v[8:9]
	v_sub_nc_u32_e32 v1, 32, v1
	s_delay_alu instid0(VALU_DEP_2) | instskip(NEXT) | instid1(VALU_DEP_1)
	v_min_u32_e32 v3, 1, v8
	v_or_b32_e32 v3, v9, v3
	s_delay_alu instid0(VALU_DEP_1) | instskip(NEXT) | instid1(VALU_DEP_1)
	v_cvt_f32_u32_e32 v3, v3
	v_ldexp_f32 v8, v3, v1
	s_branch .LBB158_2408
.LBB158_2407:
	s_mov_b32 s1, -1
                                        ; implicit-def: $vgpr8
.LBB158_2408:
	s_wait_xcnt 0x0
	v_mov_b32_e32 v9, 0
.LBB158_2409:
	s_mov_b32 s26, 0
.LBB158_2410:
	s_delay_alu instid0(SALU_CYCLE_1)
	s_and_b32 vcc_lo, exec_lo, s26
	s_cbranch_vccz .LBB158_2426
; %bb.2411:
	s_cmp_lt_i32 s0, 27
	s_cbranch_scc1 .LBB158_2414
; %bb.2412:
	s_cmp_gt_i32 s0, 27
	s_cbranch_scc0 .LBB158_2415
; %bb.2413:
	global_load_b32 v1, v[10:11], off
	s_mov_b32 s23, 0
	s_wait_loadcnt 0x0
	s_wait_xcnt 0x1
	v_cvt_f32_u32_e32 v8, v1
	s_branch .LBB158_2416
.LBB158_2414:
	s_mov_b32 s23, -1
                                        ; implicit-def: $vgpr8
	s_branch .LBB158_2419
.LBB158_2415:
	s_mov_b32 s23, -1
                                        ; implicit-def: $vgpr8
.LBB158_2416:
	s_delay_alu instid0(SALU_CYCLE_1)
	s_and_not1_b32 vcc_lo, exec_lo, s23
	s_cbranch_vccnz .LBB158_2418
; %bb.2417:
	global_load_u16 v1, v[10:11], off
	s_wait_loadcnt 0x0
	s_wait_xcnt 0x1
	v_cvt_f32_u32_e32 v8, v1
.LBB158_2418:
	s_mov_b32 s23, 0
.LBB158_2419:
	s_delay_alu instid0(SALU_CYCLE_1)
	s_and_not1_b32 vcc_lo, exec_lo, s23
	s_cbranch_vccnz .LBB158_2425
; %bb.2420:
	global_load_u8 v1, v[10:11], off
	s_mov_b32 s23, 0
	s_mov_b32 s26, exec_lo
	s_wait_loadcnt 0x0
	v_cmpx_lt_i16_e32 0x7f, v1
	s_xor_b32 s26, exec_lo, s26
	s_cbranch_execnz .LBB158_2450
; %bb.2421:
	s_or_saveexec_b32 s26, s26
	v_mov_b32_e32 v8, 0x7f800001
	s_xor_b32 exec_lo, exec_lo, s26
	s_cbranch_execnz .LBB158_2453
.LBB158_2422:
	s_or_b32 exec_lo, exec_lo, s26
	s_and_saveexec_b32 s26, s23
	s_cbranch_execz .LBB158_2424
.LBB158_2423:
	v_and_b32_e32 v3, 0xffff, v1
	s_delay_alu instid0(VALU_DEP_1) | instskip(SKIP_1) | instid1(VALU_DEP_2)
	v_and_b32_e32 v7, 7, v3
	v_bfe_u32 v13, v3, 3, 4
	v_clz_i32_u32_e32 v8, v7
	s_delay_alu instid0(VALU_DEP_2) | instskip(NEXT) | instid1(VALU_DEP_2)
	v_cmp_eq_u32_e32 vcc_lo, 0, v13
	v_min_u32_e32 v8, 32, v8
	s_delay_alu instid0(VALU_DEP_1) | instskip(NEXT) | instid1(VALU_DEP_1)
	v_subrev_nc_u32_e32 v9, 28, v8
	v_dual_lshlrev_b32 v3, v9, v3 :: v_dual_sub_nc_u32 v8, 29, v8
	s_delay_alu instid0(VALU_DEP_1) | instskip(NEXT) | instid1(VALU_DEP_1)
	v_dual_lshlrev_b32 v1, 24, v1 :: v_dual_bitop2_b32 v3, 7, v3 bitop3:0x40
	v_dual_cndmask_b32 v8, v13, v8 :: v_dual_cndmask_b32 v3, v7, v3
	s_delay_alu instid0(VALU_DEP_2) | instskip(NEXT) | instid1(VALU_DEP_2)
	v_and_b32_e32 v1, 0x80000000, v1
	v_lshl_add_u32 v7, v8, 23, 0x3b800000
	s_delay_alu instid0(VALU_DEP_3) | instskip(NEXT) | instid1(VALU_DEP_1)
	v_lshlrev_b32_e32 v3, 20, v3
	v_or3_b32 v8, v1, v7, v3
.LBB158_2424:
	s_or_b32 exec_lo, exec_lo, s26
.LBB158_2425:
	s_wait_xcnt 0x0
	v_mov_b32_e32 v9, 0
	s_mov_b32 s23, -1
.LBB158_2426:
	s_mov_b32 s26, 0
.LBB158_2427:
	s_delay_alu instid0(SALU_CYCLE_1)
	s_and_b32 vcc_lo, exec_lo, s26
	s_cbranch_vccnz .LBB158_2437
; %bb.2428:
	s_and_b32 vcc_lo, exec_lo, s1
	s_cbranch_vccnz .LBB158_2498
.LBB158_2429:
	s_and_not1_b32 vcc_lo, exec_lo, s21
	s_cbranch_vccnz .LBB158_2431
.LBB158_2430:
	global_load_u8 v1, v[10:11], off
	s_wait_xcnt 0x1
	v_mov_b32_e32 v9, 0
	s_mov_b32 s23, -1
	s_wait_loadcnt 0x0
	v_cmp_ne_u16_e32 vcc_lo, 0, v1
	v_cndmask_b32_e64 v8, 0, 1.0, vcc_lo
.LBB158_2431:
	s_branch .LBB158_2384
.LBB158_2432:
	s_cmp_lt_i32 s0, 5
	s_cbranch_scc1 .LBB158_2445
; %bb.2433:
	s_cmp_lt_i32 s0, 8
	s_cbranch_scc1 .LBB158_2446
; %bb.2434:
	s_cmp_lt_i32 s0, 9
	s_cbranch_scc1 .LBB158_2448
; %bb.2435:
	s_cmp_gt_i32 s0, 9
	s_cbranch_scc0 .LBB158_2454
; %bb.2436:
	global_load_b128 v[16:19], v[10:11], off
	s_mov_b32 s1, 0
	s_wait_loadcnt 0x0
	s_wait_xcnt 0x1
	v_cvt_f32_f64_e32 v8, v[16:17]
	v_cvt_f32_f64_e32 v9, v[18:19]
	s_branch .LBB158_2455
.LBB158_2437:
	s_cmp_gt_i32 s0, 22
	s_cbranch_scc0 .LBB158_2447
; %bb.2438:
	s_cmp_lt_i32 s0, 24
	s_cbranch_scc1 .LBB158_2449
; %bb.2439:
	s_cmp_gt_i32 s0, 24
	s_cbranch_scc0 .LBB158_2466
; %bb.2440:
	global_load_u8 v1, v[10:11], off
	s_mov_b32 s23, exec_lo
	s_wait_loadcnt 0x0
	v_cmpx_lt_i16_e32 0x7f, v1
	s_xor_b32 s23, exec_lo, s23
	s_cbranch_execnz .LBB158_2525
; %bb.2441:
	s_or_saveexec_b32 s23, s23
	v_mov_b32_e32 v8, 0x7f800001
	s_xor_b32 exec_lo, exec_lo, s23
	s_cbranch_execnz .LBB158_2528
.LBB158_2442:
	s_or_b32 exec_lo, exec_lo, s23
	s_and_saveexec_b32 s23, s21
	s_cbranch_execz .LBB158_2444
.LBB158_2443:
	v_and_b32_e32 v3, 0xffff, v1
	s_delay_alu instid0(VALU_DEP_1) | instskip(SKIP_1) | instid1(VALU_DEP_2)
	v_and_b32_e32 v7, 3, v3
	v_bfe_u32 v13, v3, 2, 5
	v_clz_i32_u32_e32 v8, v7
	s_delay_alu instid0(VALU_DEP_2) | instskip(NEXT) | instid1(VALU_DEP_2)
	v_cmp_eq_u32_e32 vcc_lo, 0, v13
	v_min_u32_e32 v8, 32, v8
	s_delay_alu instid0(VALU_DEP_1) | instskip(NEXT) | instid1(VALU_DEP_1)
	v_subrev_nc_u32_e32 v9, 29, v8
	v_dual_lshlrev_b32 v3, v9, v3 :: v_dual_sub_nc_u32 v8, 30, v8
	s_delay_alu instid0(VALU_DEP_1) | instskip(NEXT) | instid1(VALU_DEP_1)
	v_dual_lshlrev_b32 v1, 24, v1 :: v_dual_bitop2_b32 v3, 3, v3 bitop3:0x40
	v_dual_cndmask_b32 v8, v13, v8 :: v_dual_cndmask_b32 v3, v7, v3
	s_delay_alu instid0(VALU_DEP_2) | instskip(NEXT) | instid1(VALU_DEP_2)
	v_and_b32_e32 v1, 0x80000000, v1
	v_lshl_add_u32 v7, v8, 23, 0x37800000
	s_delay_alu instid0(VALU_DEP_3) | instskip(NEXT) | instid1(VALU_DEP_1)
	v_lshlrev_b32_e32 v3, 21, v3
	v_or3_b32 v8, v1, v7, v3
.LBB158_2444:
	s_or_b32 exec_lo, exec_lo, s23
	s_mov_b32 s21, 0
	s_branch .LBB158_2467
.LBB158_2445:
	s_mov_b32 s1, -1
                                        ; implicit-def: $vgpr9
	s_branch .LBB158_2486
.LBB158_2446:
	s_mov_b32 s1, -1
                                        ; implicit-def: $vgpr9
	s_branch .LBB158_2461
.LBB158_2447:
	s_mov_b32 s21, -1
                                        ; implicit-def: $vgpr8
	s_branch .LBB158_2473
.LBB158_2448:
	s_mov_b32 s1, -1
                                        ; implicit-def: $vgpr9
	s_branch .LBB158_2458
.LBB158_2449:
	s_mov_b32 s21, -1
                                        ; implicit-def: $vgpr8
	s_branch .LBB158_2470
.LBB158_2450:
	s_mov_b32 s23, -1
	s_mov_b32 s27, exec_lo
	v_cmpx_eq_u16_e32 0x80, v1
; %bb.2451:
	s_xor_b32 s23, exec_lo, -1
; %bb.2452:
	s_or_b32 exec_lo, exec_lo, s27
	s_delay_alu instid0(SALU_CYCLE_1)
	s_and_b32 s23, s23, exec_lo
	s_or_saveexec_b32 s26, s26
	v_mov_b32_e32 v8, 0x7f800001
	s_xor_b32 exec_lo, exec_lo, s26
	s_cbranch_execz .LBB158_2422
.LBB158_2453:
	v_cmp_ne_u16_e32 vcc_lo, 0, v1
	v_mov_b32_e32 v8, 0
	s_and_not1_b32 s23, s23, exec_lo
	s_and_b32 s27, vcc_lo, exec_lo
	s_delay_alu instid0(SALU_CYCLE_1)
	s_or_b32 s23, s23, s27
	s_or_b32 exec_lo, exec_lo, s26
	s_and_saveexec_b32 s26, s23
	s_cbranch_execnz .LBB158_2423
	s_branch .LBB158_2424
.LBB158_2454:
	s_mov_b32 s1, -1
                                        ; implicit-def: $vgpr9
.LBB158_2455:
	s_delay_alu instid0(SALU_CYCLE_1)
	s_and_not1_b32 vcc_lo, exec_lo, s1
	s_cbranch_vccnz .LBB158_2457
; %bb.2456:
	global_load_b64 v[8:9], v[10:11], off
.LBB158_2457:
	s_mov_b32 s1, 0
.LBB158_2458:
	s_delay_alu instid0(SALU_CYCLE_1)
	s_and_not1_b32 vcc_lo, exec_lo, s1
	s_cbranch_vccnz .LBB158_2460
; %bb.2459:
	global_load_b32 v1, v[10:11], off
	s_wait_loadcnt 0x0
	v_lshrrev_b32_e32 v3, 16, v1
	s_wait_xcnt 0x1
	v_cvt_f32_f16_e32 v8, v1
	s_delay_alu instid0(VALU_DEP_2)
	v_cvt_f32_f16_e32 v9, v3
.LBB158_2460:
	s_mov_b32 s1, 0
.LBB158_2461:
	s_delay_alu instid0(SALU_CYCLE_1)
	s_and_not1_b32 vcc_lo, exec_lo, s1
	s_cbranch_vccnz .LBB158_2485
; %bb.2462:
	s_cmp_lt_i32 s0, 6
	s_cbranch_scc1 .LBB158_2465
; %bb.2463:
	s_cmp_gt_i32 s0, 6
	s_cbranch_scc0 .LBB158_2478
; %bb.2464:
	s_wait_loadcnt 0x0
	global_load_b64 v[8:9], v[10:11], off
	s_mov_b32 s1, 0
	s_wait_loadcnt 0x0
	v_cvt_f32_f64_e32 v8, v[8:9]
	s_branch .LBB158_2479
.LBB158_2465:
	s_mov_b32 s1, -1
                                        ; implicit-def: $vgpr8
	s_branch .LBB158_2482
.LBB158_2466:
	s_mov_b32 s21, -1
                                        ; implicit-def: $vgpr8
.LBB158_2467:
	s_delay_alu instid0(SALU_CYCLE_1)
	s_and_b32 vcc_lo, exec_lo, s21
	s_cbranch_vccz .LBB158_2469
; %bb.2468:
	global_load_u8 v1, v[10:11], off
	s_wait_loadcnt 0x0
	v_lshlrev_b32_e32 v1, 24, v1
	s_delay_alu instid0(VALU_DEP_1) | instskip(NEXT) | instid1(VALU_DEP_1)
	v_and_b32_e32 v3, 0x7f000000, v1
	v_clz_i32_u32_e32 v7, v3
	s_wait_xcnt 0x1
	v_add_nc_u32_e32 v9, 0x1000000, v3
	v_cmp_ne_u32_e32 vcc_lo, 0, v3
	s_delay_alu instid0(VALU_DEP_3) | instskip(NEXT) | instid1(VALU_DEP_1)
	v_min_u32_e32 v7, 32, v7
	v_sub_nc_u32_e64 v7, v7, 4 clamp
	s_delay_alu instid0(VALU_DEP_1) | instskip(NEXT) | instid1(VALU_DEP_1)
	v_lshlrev_b32_e32 v8, v7, v3
	v_dual_lshlrev_b32 v7, 23, v7 :: v_dual_lshrrev_b32 v8, 4, v8
	s_delay_alu instid0(VALU_DEP_1) | instskip(NEXT) | instid1(VALU_DEP_1)
	v_dual_sub_nc_u32 v7, v8, v7 :: v_dual_ashrrev_i32 v8, 8, v9
	v_add_nc_u32_e32 v7, 0x3c000000, v7
	s_delay_alu instid0(VALU_DEP_1) | instskip(NEXT) | instid1(VALU_DEP_1)
	v_and_or_b32 v7, 0x7f800000, v8, v7
	v_cndmask_b32_e32 v3, 0, v7, vcc_lo
	s_delay_alu instid0(VALU_DEP_1)
	v_and_or_b32 v8, 0x80000000, v1, v3
.LBB158_2469:
	s_mov_b32 s21, 0
.LBB158_2470:
	s_delay_alu instid0(SALU_CYCLE_1)
	s_and_not1_b32 vcc_lo, exec_lo, s21
	s_cbranch_vccnz .LBB158_2472
; %bb.2471:
	global_load_u8 v1, v[10:11], off
	s_wait_loadcnt 0x0
	v_lshlrev_b32_e32 v3, 25, v1
	v_lshlrev_b16 v1, 8, v1
	s_wait_xcnt 0x1
	s_delay_alu instid0(VALU_DEP_1) | instskip(SKIP_1) | instid1(VALU_DEP_2)
	v_and_or_b32 v8, 0x7f00, v1, 0.5
	v_bfe_i32 v1, v1, 0, 16
	v_dual_add_f32 v8, -0.5, v8 :: v_dual_lshrrev_b32 v7, 4, v3
	v_cmp_gt_u32_e32 vcc_lo, 0x8000000, v3
	s_delay_alu instid0(VALU_DEP_2) | instskip(NEXT) | instid1(VALU_DEP_1)
	v_or_b32_e32 v7, 0x70000000, v7
	v_mul_f32_e32 v7, 0x7800000, v7
	s_delay_alu instid0(VALU_DEP_1) | instskip(NEXT) | instid1(VALU_DEP_1)
	v_cndmask_b32_e32 v3, v7, v8, vcc_lo
	v_and_or_b32 v8, 0x80000000, v1, v3
.LBB158_2472:
	s_mov_b32 s21, 0
	s_mov_b32 s23, -1
.LBB158_2473:
	s_and_not1_b32 vcc_lo, exec_lo, s21
	s_mov_b32 s21, 0
	s_cbranch_vccnz .LBB158_2497
; %bb.2474:
	s_cmp_gt_i32 s0, 14
	s_cbranch_scc0 .LBB158_2477
; %bb.2475:
	s_cmp_eq_u32 s0, 15
	s_cbranch_scc0 .LBB158_2493
; %bb.2476:
	global_load_u16 v1, v[10:11], off
	s_mov_b32 s1, 0
	s_mov_b32 s23, -1
	s_wait_loadcnt 0x0
	s_wait_xcnt 0x1
	v_lshlrev_b32_e32 v8, 16, v1
	s_branch .LBB158_2495
.LBB158_2477:
	s_mov_b32 s21, -1
	s_branch .LBB158_2494
.LBB158_2478:
	s_mov_b32 s1, -1
                                        ; implicit-def: $vgpr8
.LBB158_2479:
	s_delay_alu instid0(SALU_CYCLE_1)
	s_and_not1_b32 vcc_lo, exec_lo, s1
	s_cbranch_vccnz .LBB158_2481
; %bb.2480:
	s_wait_loadcnt 0x0
	global_load_b32 v8, v[10:11], off
.LBB158_2481:
	s_mov_b32 s1, 0
.LBB158_2482:
	s_delay_alu instid0(SALU_CYCLE_1)
	s_and_not1_b32 vcc_lo, exec_lo, s1
	s_cbranch_vccnz .LBB158_2484
; %bb.2483:
	global_load_u16 v1, v[10:11], off
	s_wait_loadcnt 0x0
	s_wait_xcnt 0x1
	v_cvt_f32_f16_e32 v8, v1
.LBB158_2484:
	s_wait_loadcnt 0x0
	v_mov_b32_e32 v9, 0
.LBB158_2485:
	s_mov_b32 s1, 0
.LBB158_2486:
	s_delay_alu instid0(SALU_CYCLE_1)
	s_and_not1_b32 vcc_lo, exec_lo, s1
	s_cbranch_vccnz .LBB158_2513
; %bb.2487:
	s_cmp_lt_i32 s0, 2
	s_cbranch_scc1 .LBB158_2491
; %bb.2488:
	s_cmp_lt_i32 s0, 3
	s_cbranch_scc1 .LBB158_2492
; %bb.2489:
	s_cmp_gt_i32 s0, 3
	s_cbranch_scc0 .LBB158_2499
; %bb.2490:
	s_wait_loadcnt 0x0
	global_load_b64 v[8:9], v[10:11], off
	s_mov_b32 s1, 0
	s_wait_loadcnt 0x0
	v_xor_b32_e32 v1, v8, v9
	v_cls_i32_e32 v3, v9
	s_delay_alu instid0(VALU_DEP_2) | instskip(NEXT) | instid1(VALU_DEP_1)
	v_ashrrev_i32_e32 v1, 31, v1
	v_add_nc_u32_e32 v1, 32, v1
	s_delay_alu instid0(VALU_DEP_1) | instskip(NEXT) | instid1(VALU_DEP_1)
	v_add_min_u32_e64 v1, v3, -1, v1
	v_lshlrev_b64_e32 v[8:9], v1, v[8:9]
	v_sub_nc_u32_e32 v1, 32, v1
	s_delay_alu instid0(VALU_DEP_2) | instskip(NEXT) | instid1(VALU_DEP_1)
	v_min_u32_e32 v3, 1, v8
	v_or_b32_e32 v3, v9, v3
	s_delay_alu instid0(VALU_DEP_1) | instskip(NEXT) | instid1(VALU_DEP_1)
	v_cvt_f32_i32_e32 v3, v3
	v_ldexp_f32 v8, v3, v1
	s_branch .LBB158_2500
.LBB158_2491:
	s_mov_b32 s1, -1
                                        ; implicit-def: $vgpr8
	s_branch .LBB158_2506
.LBB158_2492:
	s_mov_b32 s1, -1
                                        ; implicit-def: $vgpr8
	s_branch .LBB158_2503
.LBB158_2493:
	s_mov_b32 s1, -1
.LBB158_2494:
                                        ; implicit-def: $vgpr8
.LBB158_2495:
	s_and_b32 vcc_lo, exec_lo, s21
	s_mov_b32 s21, 0
	s_cbranch_vccz .LBB158_2497
; %bb.2496:
	s_cmp_lg_u32 s0, 11
	s_mov_b32 s21, -1
	s_cselect_b32 s1, -1, 0
.LBB158_2497:
	s_wait_xcnt 0x0
	v_mov_b32_e32 v9, 0
	s_and_b32 vcc_lo, exec_lo, s1
	s_cbranch_vccz .LBB158_2429
.LBB158_2498:
	s_or_b32 s22, s22, exec_lo
	s_trap 2
	s_cbranch_execz .LBB158_2430
	s_branch .LBB158_2431
.LBB158_2499:
	s_mov_b32 s1, -1
                                        ; implicit-def: $vgpr8
.LBB158_2500:
	s_delay_alu instid0(SALU_CYCLE_1)
	s_and_not1_b32 vcc_lo, exec_lo, s1
	s_cbranch_vccnz .LBB158_2502
; %bb.2501:
	global_load_b32 v1, v[10:11], off
	s_wait_loadcnt 0x0
	s_wait_xcnt 0x1
	v_cvt_f32_i32_e32 v8, v1
.LBB158_2502:
	s_mov_b32 s1, 0
.LBB158_2503:
	s_delay_alu instid0(SALU_CYCLE_1)
	s_and_not1_b32 vcc_lo, exec_lo, s1
	s_cbranch_vccnz .LBB158_2505
; %bb.2504:
	global_load_i16 v1, v[10:11], off
	s_wait_loadcnt 0x0
	s_wait_xcnt 0x1
	v_cvt_f32_i32_e32 v8, v1
.LBB158_2505:
	s_mov_b32 s1, 0
.LBB158_2506:
	s_delay_alu instid0(SALU_CYCLE_1)
	s_and_not1_b32 vcc_lo, exec_lo, s1
	s_cbranch_vccnz .LBB158_2512
; %bb.2507:
	s_cmp_gt_i32 s0, 0
	s_mov_b32 s1, 0
	s_cbranch_scc0 .LBB158_2509
; %bb.2508:
	global_load_i8 v1, v[10:11], off
	s_wait_loadcnt 0x0
	s_wait_xcnt 0x1
	v_cvt_f32_i32_e32 v8, v1
	s_branch .LBB158_2510
.LBB158_2509:
	s_mov_b32 s1, -1
                                        ; implicit-def: $vgpr8
.LBB158_2510:
	s_delay_alu instid0(SALU_CYCLE_1)
	s_and_not1_b32 vcc_lo, exec_lo, s1
	s_cbranch_vccnz .LBB158_2512
; %bb.2511:
	global_load_u8 v1, v[10:11], off
	s_wait_loadcnt 0x0
	s_wait_xcnt 0x1
	v_cvt_f32_ubyte0_e32 v8, v1
.LBB158_2512:
	s_wait_loadcnt 0x0
	v_mov_b32_e32 v9, 0
.LBB158_2513:
.LBB158_2514:
	s_lshl_b32 s1, s13, 7
	s_cmp_lt_i32 s2, 11
	v_add_nc_u32_e32 v18, s1, v6
	s_delay_alu instid0(VALU_DEP_1) | instskip(NEXT) | instid1(VALU_DEP_1)
	v_ashrrev_i32_e32 v19, 31, v18
	v_add_nc_u64_e32 v[16:17], s[6:7], v[18:19]
	s_cbranch_scc1 .LBB158_2521
; %bb.2515:
	s_and_b32 s13, 0xffff, s2
	s_mov_b32 s23, 0
	s_cmp_gt_i32 s13, 25
	s_cbranch_scc0 .LBB158_2522
; %bb.2516:
	s_cmp_gt_i32 s13, 28
	s_cbranch_scc0 .LBB158_2523
; %bb.2517:
	;; [unrolled: 3-line block ×4, first 2 shown]
	s_cmp_eq_u32 s13, 46
	s_mov_b32 s27, 0
	s_cbranch_scc0 .LBB158_2530
; %bb.2520:
	global_load_b32 v1, v[16:17], off
	s_mov_b32 s21, 0
	s_mov_b32 s26, -1
	s_wait_loadcnt 0x0
	s_wait_xcnt 0x1
	v_and_b32_e32 v10, 0xffff0000, v1
	v_lshlrev_b32_e32 v6, 16, v1
	s_branch .LBB158_2532
.LBB158_2521:
	s_mov_b32 s13, -1
	s_mov_b32 s26, 0
                                        ; implicit-def: $vgpr10
                                        ; implicit-def: $vgpr6
	s_branch .LBB158_2566
.LBB158_2522:
	s_mov_b32 s27, -1
	s_mov_b32 s26, 0
	s_mov_b32 s21, 0
                                        ; implicit-def: $vgpr10
                                        ; implicit-def: $vgpr6
	s_branch .LBB158_2561
.LBB158_2523:
	s_mov_b32 s27, -1
	s_mov_b32 s26, 0
	s_mov_b32 s21, 0
                                        ; implicit-def: $vgpr10
                                        ; implicit-def: $vgpr6
	s_branch .LBB158_2544
.LBB158_2524:
	s_mov_b32 s27, -1
	s_mov_b32 s26, 0
	s_mov_b32 s21, 0
                                        ; implicit-def: $vgpr10
                                        ; implicit-def: $vgpr6
	s_branch .LBB158_2538
.LBB158_2525:
	s_mov_b32 s21, -1
	s_mov_b32 s26, exec_lo
	v_cmpx_eq_u16_e32 0x80, v1
; %bb.2526:
	s_xor_b32 s21, exec_lo, -1
; %bb.2527:
	s_or_b32 exec_lo, exec_lo, s26
	s_delay_alu instid0(SALU_CYCLE_1)
	s_and_b32 s21, s21, exec_lo
	s_or_saveexec_b32 s23, s23
	v_mov_b32_e32 v8, 0x7f800001
	s_xor_b32 exec_lo, exec_lo, s23
	s_cbranch_execz .LBB158_2442
.LBB158_2528:
	v_cmp_ne_u16_e32 vcc_lo, 0, v1
	v_mov_b32_e32 v8, 0
	s_and_not1_b32 s21, s21, exec_lo
	s_and_b32 s26, vcc_lo, exec_lo
	s_delay_alu instid0(SALU_CYCLE_1)
	s_or_b32 s21, s21, s26
	s_or_b32 exec_lo, exec_lo, s23
	s_and_saveexec_b32 s23, s21
	s_cbranch_execnz .LBB158_2443
	s_branch .LBB158_2444
.LBB158_2529:
	s_mov_b32 s27, -1
	s_mov_b32 s26, 0
	s_mov_b32 s21, 0
	s_branch .LBB158_2531
.LBB158_2530:
	s_mov_b32 s21, -1
	s_mov_b32 s26, 0
.LBB158_2531:
                                        ; implicit-def: $vgpr10
                                        ; implicit-def: $vgpr6
.LBB158_2532:
	s_and_b32 vcc_lo, exec_lo, s27
	s_cbranch_vccz .LBB158_2537
; %bb.2533:
	s_cmp_eq_u32 s13, 44
	s_cbranch_scc0 .LBB158_2535
; %bb.2534:
	global_load_u8 v1, v[16:17], off
	s_mov_b32 s21, 0
	s_mov_b32 s26, -1
	s_wait_loadcnt 0x0
	v_lshlrev_b32_e32 v3, 23, v1
	v_cmp_ne_u32_e32 vcc_lo, 0xff, v1
	s_delay_alu instid0(VALU_DEP_2) | instskip(SKIP_1) | instid1(VALU_DEP_2)
	v_cndmask_b32_e32 v3, 0x7f800001, v3, vcc_lo
	v_cmp_ne_u32_e32 vcc_lo, 0, v1
	v_cndmask_b32_e32 v6, 0x400000, v3, vcc_lo
	s_branch .LBB158_2536
.LBB158_2535:
	s_mov_b32 s21, -1
                                        ; implicit-def: $vgpr6
.LBB158_2536:
	s_wait_xcnt 0x0
	v_mov_b32_e32 v10, 0
.LBB158_2537:
	s_mov_b32 s27, 0
.LBB158_2538:
	s_delay_alu instid0(SALU_CYCLE_1)
	s_and_b32 vcc_lo, exec_lo, s27
	s_cbranch_vccz .LBB158_2543
; %bb.2539:
	s_cmp_eq_u32 s13, 29
	s_cbranch_scc0 .LBB158_2541
; %bb.2540:
	global_load_b64 v[6:7], v[16:17], off
	s_mov_b32 s21, 0
	s_mov_b32 s26, -1
	s_wait_loadcnt 0x0
	v_clz_i32_u32_e32 v1, v7
	s_delay_alu instid0(VALU_DEP_1) | instskip(NEXT) | instid1(VALU_DEP_1)
	v_min_u32_e32 v1, 32, v1
	v_lshlrev_b64_e32 v[6:7], v1, v[6:7]
	v_sub_nc_u32_e32 v1, 32, v1
	s_delay_alu instid0(VALU_DEP_2) | instskip(NEXT) | instid1(VALU_DEP_1)
	v_min_u32_e32 v3, 1, v6
	v_or_b32_e32 v3, v7, v3
	s_delay_alu instid0(VALU_DEP_1) | instskip(NEXT) | instid1(VALU_DEP_1)
	v_cvt_f32_u32_e32 v3, v3
	v_ldexp_f32 v6, v3, v1
	s_branch .LBB158_2542
.LBB158_2541:
	s_mov_b32 s21, -1
                                        ; implicit-def: $vgpr6
.LBB158_2542:
	s_wait_xcnt 0x0
	v_mov_b32_e32 v10, 0
.LBB158_2543:
	s_mov_b32 s27, 0
.LBB158_2544:
	s_delay_alu instid0(SALU_CYCLE_1)
	s_and_b32 vcc_lo, exec_lo, s27
	s_cbranch_vccz .LBB158_2560
; %bb.2545:
	s_cmp_lt_i32 s13, 27
	s_cbranch_scc1 .LBB158_2548
; %bb.2546:
	s_cmp_gt_i32 s13, 27
	s_cbranch_scc0 .LBB158_2549
; %bb.2547:
	global_load_b32 v1, v[16:17], off
	s_mov_b32 s26, 0
	s_wait_loadcnt 0x0
	v_cvt_f32_u32_e32 v6, v1
	s_branch .LBB158_2550
.LBB158_2548:
	s_mov_b32 s26, -1
                                        ; implicit-def: $vgpr6
	s_branch .LBB158_2553
.LBB158_2549:
	s_mov_b32 s26, -1
                                        ; implicit-def: $vgpr6
.LBB158_2550:
	s_delay_alu instid0(SALU_CYCLE_1)
	s_and_not1_b32 vcc_lo, exec_lo, s26
	s_cbranch_vccnz .LBB158_2552
; %bb.2551:
	global_load_u16 v1, v[16:17], off
	s_wait_loadcnt 0x0
	v_cvt_f32_u32_e32 v6, v1
.LBB158_2552:
	s_mov_b32 s26, 0
.LBB158_2553:
	s_delay_alu instid0(SALU_CYCLE_1)
	s_and_not1_b32 vcc_lo, exec_lo, s26
	s_cbranch_vccnz .LBB158_2559
; %bb.2554:
	global_load_u8 v1, v[16:17], off
	s_mov_b32 s26, 0
	s_mov_b32 s27, exec_lo
	s_wait_loadcnt 0x0
	v_cmpx_lt_i16_e32 0x7f, v1
	s_xor_b32 s27, exec_lo, s27
	s_cbranch_execnz .LBB158_2585
; %bb.2555:
	s_or_saveexec_b32 s27, s27
	v_mov_b32_e32 v6, 0x7f800001
	s_xor_b32 exec_lo, exec_lo, s27
	s_cbranch_execnz .LBB158_2588
.LBB158_2556:
	s_or_b32 exec_lo, exec_lo, s27
	s_and_saveexec_b32 s27, s26
	s_cbranch_execz .LBB158_2558
.LBB158_2557:
	v_and_b32_e32 v3, 0xffff, v1
	s_delay_alu instid0(VALU_DEP_1) | instskip(SKIP_1) | instid1(VALU_DEP_2)
	v_dual_lshlrev_b32 v1, 24, v1 :: v_dual_bitop2_b32 v6, 7, v3 bitop3:0x40
	v_bfe_u32 v11, v3, 3, 4
	v_and_b32_e32 v1, 0x80000000, v1
	s_delay_alu instid0(VALU_DEP_3) | instskip(NEXT) | instid1(VALU_DEP_3)
	v_clz_i32_u32_e32 v7, v6
	v_cmp_eq_u32_e32 vcc_lo, 0, v11
	s_delay_alu instid0(VALU_DEP_2) | instskip(NEXT) | instid1(VALU_DEP_1)
	v_min_u32_e32 v7, 32, v7
	v_subrev_nc_u32_e32 v10, 28, v7
	v_sub_nc_u32_e32 v7, 29, v7
	s_delay_alu instid0(VALU_DEP_2) | instskip(NEXT) | instid1(VALU_DEP_2)
	v_lshlrev_b32_e32 v3, v10, v3
	v_cndmask_b32_e32 v7, v11, v7, vcc_lo
	s_delay_alu instid0(VALU_DEP_2) | instskip(NEXT) | instid1(VALU_DEP_1)
	v_and_b32_e32 v3, 7, v3
	v_cndmask_b32_e32 v3, v6, v3, vcc_lo
	s_delay_alu instid0(VALU_DEP_3) | instskip(NEXT) | instid1(VALU_DEP_2)
	v_lshl_add_u32 v6, v7, 23, 0x3b800000
	v_lshlrev_b32_e32 v3, 20, v3
	s_delay_alu instid0(VALU_DEP_1)
	v_or3_b32 v6, v1, v6, v3
.LBB158_2558:
	s_or_b32 exec_lo, exec_lo, s27
.LBB158_2559:
	s_wait_xcnt 0x0
	v_mov_b32_e32 v10, 0
	s_mov_b32 s26, -1
.LBB158_2560:
	s_mov_b32 s27, 0
.LBB158_2561:
	s_delay_alu instid0(SALU_CYCLE_1)
	s_and_b32 vcc_lo, exec_lo, s27
	s_cbranch_vccnz .LBB158_2572
; %bb.2562:
	s_and_b32 vcc_lo, exec_lo, s21
	s_cbranch_vccnz .LBB158_2633
.LBB158_2563:
	s_and_not1_b32 vcc_lo, exec_lo, s23
	s_cbranch_vccnz .LBB158_2565
.LBB158_2564:
	global_load_u8 v1, v[16:17], off
	s_wait_xcnt 0x1
	v_mov_b32_e32 v10, 0
	s_mov_b32 s26, -1
	s_wait_loadcnt 0x0
	v_cmp_ne_u16_e32 vcc_lo, 0, v1
	v_cndmask_b32_e64 v6, 0, 1.0, vcc_lo
.LBB158_2565:
	s_mov_b32 s13, 0
.LBB158_2566:
	s_delay_alu instid0(SALU_CYCLE_1)
	s_and_b32 vcc_lo, exec_lo, s13
	s_cbranch_vccz .LBB158_2649
; %bb.2567:
	s_and_b32 s13, 0xffff, s2
	s_delay_alu instid0(SALU_CYCLE_1)
	s_cmp_lt_i32 s13, 5
	s_cbranch_scc1 .LBB158_2580
; %bb.2568:
	s_cmp_lt_i32 s13, 8
	s_cbranch_scc1 .LBB158_2581
; %bb.2569:
	;; [unrolled: 3-line block ×3, first 2 shown]
	s_cmp_gt_i32 s13, 9
	s_cbranch_scc0 .LBB158_2589
; %bb.2571:
	global_load_b128 v[20:23], v[16:17], off
	s_mov_b32 s21, 0
	s_wait_loadcnt 0x0
	v_cvt_f32_f64_e32 v6, v[20:21]
	s_wait_xcnt 0x1
	v_cvt_f32_f64_e32 v10, v[22:23]
	s_branch .LBB158_2590
.LBB158_2572:
	s_cmp_gt_i32 s13, 22
	s_cbranch_scc0 .LBB158_2582
; %bb.2573:
	s_cmp_lt_i32 s13, 24
	s_cbranch_scc1 .LBB158_2584
; %bb.2574:
	s_cmp_gt_i32 s13, 24
	s_cbranch_scc0 .LBB158_2601
; %bb.2575:
	global_load_u8 v1, v[16:17], off
	s_mov_b32 s26, exec_lo
	s_wait_loadcnt 0x0
	v_cmpx_lt_i16_e32 0x7f, v1
	s_xor_b32 s26, exec_lo, s26
	s_cbranch_execnz .LBB158_2661
; %bb.2576:
	s_or_saveexec_b32 s26, s26
	v_mov_b32_e32 v6, 0x7f800001
	s_xor_b32 exec_lo, exec_lo, s26
	s_cbranch_execnz .LBB158_2664
.LBB158_2577:
	s_or_b32 exec_lo, exec_lo, s26
	s_and_saveexec_b32 s26, s23
	s_cbranch_execz .LBB158_2579
.LBB158_2578:
	v_and_b32_e32 v3, 0xffff, v1
	s_delay_alu instid0(VALU_DEP_1) | instskip(SKIP_1) | instid1(VALU_DEP_2)
	v_dual_lshlrev_b32 v1, 24, v1 :: v_dual_bitop2_b32 v6, 3, v3 bitop3:0x40
	v_bfe_u32 v11, v3, 2, 5
	v_and_b32_e32 v1, 0x80000000, v1
	s_delay_alu instid0(VALU_DEP_3) | instskip(NEXT) | instid1(VALU_DEP_3)
	v_clz_i32_u32_e32 v7, v6
	v_cmp_eq_u32_e32 vcc_lo, 0, v11
	s_delay_alu instid0(VALU_DEP_2) | instskip(NEXT) | instid1(VALU_DEP_1)
	v_min_u32_e32 v7, 32, v7
	v_subrev_nc_u32_e32 v10, 29, v7
	v_sub_nc_u32_e32 v7, 30, v7
	s_delay_alu instid0(VALU_DEP_2) | instskip(NEXT) | instid1(VALU_DEP_2)
	v_lshlrev_b32_e32 v3, v10, v3
	v_cndmask_b32_e32 v7, v11, v7, vcc_lo
	s_delay_alu instid0(VALU_DEP_2) | instskip(NEXT) | instid1(VALU_DEP_1)
	v_and_b32_e32 v3, 3, v3
	v_cndmask_b32_e32 v3, v6, v3, vcc_lo
	s_delay_alu instid0(VALU_DEP_3) | instskip(NEXT) | instid1(VALU_DEP_2)
	v_lshl_add_u32 v6, v7, 23, 0x37800000
	v_lshlrev_b32_e32 v3, 21, v3
	s_delay_alu instid0(VALU_DEP_1)
	v_or3_b32 v6, v1, v6, v3
.LBB158_2579:
	s_or_b32 exec_lo, exec_lo, s26
	s_mov_b32 s23, 0
	s_branch .LBB158_2602
.LBB158_2580:
	s_mov_b32 s21, -1
                                        ; implicit-def: $vgpr10
                                        ; implicit-def: $vgpr6
	s_branch .LBB158_2621
.LBB158_2581:
	s_mov_b32 s21, -1
                                        ; implicit-def: $vgpr10
                                        ; implicit-def: $vgpr6
	s_branch .LBB158_2596
.LBB158_2582:
	s_mov_b32 s23, -1
                                        ; implicit-def: $vgpr6
	s_branch .LBB158_2608
.LBB158_2583:
	s_mov_b32 s21, -1
                                        ; implicit-def: $vgpr10
                                        ; implicit-def: $vgpr6
	s_branch .LBB158_2593
.LBB158_2584:
	s_mov_b32 s23, -1
                                        ; implicit-def: $vgpr6
	s_branch .LBB158_2605
.LBB158_2585:
	s_mov_b32 s26, -1
	s_mov_b32 s28, exec_lo
	v_cmpx_eq_u16_e32 0x80, v1
; %bb.2586:
	s_xor_b32 s26, exec_lo, -1
; %bb.2587:
	s_or_b32 exec_lo, exec_lo, s28
	s_delay_alu instid0(SALU_CYCLE_1)
	s_and_b32 s26, s26, exec_lo
	s_or_saveexec_b32 s27, s27
	v_mov_b32_e32 v6, 0x7f800001
	s_xor_b32 exec_lo, exec_lo, s27
	s_cbranch_execz .LBB158_2556
.LBB158_2588:
	v_cmp_ne_u16_e32 vcc_lo, 0, v1
	v_mov_b32_e32 v6, 0
	s_and_not1_b32 s26, s26, exec_lo
	s_and_b32 s28, vcc_lo, exec_lo
	s_delay_alu instid0(SALU_CYCLE_1)
	s_or_b32 s26, s26, s28
	s_or_b32 exec_lo, exec_lo, s27
	s_and_saveexec_b32 s27, s26
	s_cbranch_execnz .LBB158_2557
	s_branch .LBB158_2558
.LBB158_2589:
	s_mov_b32 s21, -1
                                        ; implicit-def: $vgpr10
                                        ; implicit-def: $vgpr6
.LBB158_2590:
	s_delay_alu instid0(SALU_CYCLE_1)
	s_and_not1_b32 vcc_lo, exec_lo, s21
	s_cbranch_vccnz .LBB158_2592
; %bb.2591:
	global_load_b64 v[6:7], v[16:17], off
	s_wait_loadcnt 0x0
	s_wait_xcnt 0x1
	v_mov_b32_e32 v10, v7
.LBB158_2592:
	s_mov_b32 s21, 0
.LBB158_2593:
	s_delay_alu instid0(SALU_CYCLE_1)
	s_and_not1_b32 vcc_lo, exec_lo, s21
	s_cbranch_vccnz .LBB158_2595
; %bb.2594:
	global_load_b32 v1, v[16:17], off
	s_wait_loadcnt 0x0
	v_lshrrev_b32_e32 v3, 16, v1
	v_cvt_f32_f16_e32 v6, v1
	s_wait_xcnt 0x1
	s_delay_alu instid0(VALU_DEP_2)
	v_cvt_f32_f16_e32 v10, v3
.LBB158_2595:
	s_mov_b32 s21, 0
.LBB158_2596:
	s_delay_alu instid0(SALU_CYCLE_1)
	s_and_not1_b32 vcc_lo, exec_lo, s21
	s_cbranch_vccnz .LBB158_2620
; %bb.2597:
	s_cmp_lt_i32 s13, 6
	s_cbranch_scc1 .LBB158_2600
; %bb.2598:
	s_cmp_gt_i32 s13, 6
	s_cbranch_scc0 .LBB158_2613
; %bb.2599:
	global_load_b64 v[6:7], v[16:17], off
	s_mov_b32 s21, 0
	s_wait_loadcnt 0x0
	v_cvt_f32_f64_e32 v6, v[6:7]
	s_branch .LBB158_2614
.LBB158_2600:
	s_mov_b32 s21, -1
                                        ; implicit-def: $vgpr6
	s_branch .LBB158_2617
.LBB158_2601:
	s_mov_b32 s23, -1
                                        ; implicit-def: $vgpr6
.LBB158_2602:
	s_delay_alu instid0(SALU_CYCLE_1)
	s_and_b32 vcc_lo, exec_lo, s23
	s_cbranch_vccz .LBB158_2604
; %bb.2603:
	global_load_u8 v1, v[16:17], off
	s_wait_loadcnt 0x0
	v_lshlrev_b32_e32 v1, 24, v1
	s_delay_alu instid0(VALU_DEP_1) | instskip(NEXT) | instid1(VALU_DEP_1)
	v_and_b32_e32 v3, 0x7f000000, v1
	v_clz_i32_u32_e32 v6, v3
	v_cmp_ne_u32_e32 vcc_lo, 0, v3
	s_wait_xcnt 0x1
	v_add_nc_u32_e32 v10, 0x1000000, v3
	s_delay_alu instid0(VALU_DEP_3) | instskip(NEXT) | instid1(VALU_DEP_1)
	v_min_u32_e32 v6, 32, v6
	v_sub_nc_u32_e64 v6, v6, 4 clamp
	s_delay_alu instid0(VALU_DEP_1) | instskip(NEXT) | instid1(VALU_DEP_1)
	v_dual_lshlrev_b32 v7, v6, v3 :: v_dual_lshlrev_b32 v6, 23, v6
	v_lshrrev_b32_e32 v7, 4, v7
	s_delay_alu instid0(VALU_DEP_1) | instskip(SKIP_1) | instid1(VALU_DEP_2)
	v_sub_nc_u32_e32 v6, v7, v6
	v_ashrrev_i32_e32 v7, 8, v10
	v_add_nc_u32_e32 v6, 0x3c000000, v6
	s_delay_alu instid0(VALU_DEP_1) | instskip(NEXT) | instid1(VALU_DEP_1)
	v_and_or_b32 v6, 0x7f800000, v7, v6
	v_cndmask_b32_e32 v3, 0, v6, vcc_lo
	s_delay_alu instid0(VALU_DEP_1)
	v_and_or_b32 v6, 0x80000000, v1, v3
.LBB158_2604:
	s_mov_b32 s23, 0
.LBB158_2605:
	s_delay_alu instid0(SALU_CYCLE_1)
	s_and_not1_b32 vcc_lo, exec_lo, s23
	s_cbranch_vccnz .LBB158_2607
; %bb.2606:
	global_load_u8 v1, v[16:17], off
	s_wait_loadcnt 0x0
	v_lshlrev_b32_e32 v3, 25, v1
	v_lshlrev_b16 v1, 8, v1
	s_delay_alu instid0(VALU_DEP_1) | instskip(SKIP_1) | instid1(VALU_DEP_2)
	v_and_or_b32 v7, 0x7f00, v1, 0.5
	v_bfe_i32 v1, v1, 0, 16
	v_add_f32_e32 v7, -0.5, v7
	v_lshrrev_b32_e32 v6, 4, v3
	v_cmp_gt_u32_e32 vcc_lo, 0x8000000, v3
	s_delay_alu instid0(VALU_DEP_2) | instskip(NEXT) | instid1(VALU_DEP_1)
	v_or_b32_e32 v6, 0x70000000, v6
	v_mul_f32_e32 v6, 0x7800000, v6
	s_delay_alu instid0(VALU_DEP_1) | instskip(NEXT) | instid1(VALU_DEP_1)
	v_cndmask_b32_e32 v3, v6, v7, vcc_lo
	v_and_or_b32 v6, 0x80000000, v1, v3
.LBB158_2607:
	s_mov_b32 s23, 0
	s_mov_b32 s26, -1
.LBB158_2608:
	s_and_not1_b32 vcc_lo, exec_lo, s23
	s_mov_b32 s23, 0
	s_cbranch_vccnz .LBB158_2632
; %bb.2609:
	s_cmp_gt_i32 s13, 14
	s_cbranch_scc0 .LBB158_2612
; %bb.2610:
	s_cmp_eq_u32 s13, 15
	s_cbranch_scc0 .LBB158_2628
; %bb.2611:
	global_load_u16 v1, v[16:17], off
	s_mov_b32 s21, 0
	s_mov_b32 s26, -1
	s_wait_loadcnt 0x0
	v_lshlrev_b32_e32 v6, 16, v1
	s_branch .LBB158_2630
.LBB158_2612:
	s_mov_b32 s23, -1
	s_branch .LBB158_2629
.LBB158_2613:
	s_mov_b32 s21, -1
                                        ; implicit-def: $vgpr6
.LBB158_2614:
	s_delay_alu instid0(SALU_CYCLE_1)
	s_and_not1_b32 vcc_lo, exec_lo, s21
	s_cbranch_vccnz .LBB158_2616
; %bb.2615:
	global_load_b32 v6, v[16:17], off
.LBB158_2616:
	s_mov_b32 s21, 0
.LBB158_2617:
	s_delay_alu instid0(SALU_CYCLE_1)
	s_and_not1_b32 vcc_lo, exec_lo, s21
	s_cbranch_vccnz .LBB158_2619
; %bb.2618:
	global_load_u16 v1, v[16:17], off
	s_wait_loadcnt 0x0
	v_cvt_f32_f16_e32 v6, v1
.LBB158_2619:
	s_wait_xcnt 0x0
	v_mov_b32_e32 v10, 0
.LBB158_2620:
	s_mov_b32 s21, 0
.LBB158_2621:
	s_delay_alu instid0(SALU_CYCLE_1)
	s_and_not1_b32 vcc_lo, exec_lo, s21
	s_cbranch_vccnz .LBB158_2648
; %bb.2622:
	s_cmp_lt_i32 s13, 2
	s_cbranch_scc1 .LBB158_2626
; %bb.2623:
	s_cmp_lt_i32 s13, 3
	s_cbranch_scc1 .LBB158_2627
; %bb.2624:
	s_cmp_gt_i32 s13, 3
	s_cbranch_scc0 .LBB158_2634
; %bb.2625:
	s_wait_loadcnt 0x0
	global_load_b64 v[6:7], v[16:17], off
	s_mov_b32 s21, 0
	s_wait_loadcnt 0x0
	v_xor_b32_e32 v1, v6, v7
	v_cls_i32_e32 v3, v7
	s_delay_alu instid0(VALU_DEP_2) | instskip(NEXT) | instid1(VALU_DEP_1)
	v_ashrrev_i32_e32 v1, 31, v1
	v_add_nc_u32_e32 v1, 32, v1
	s_delay_alu instid0(VALU_DEP_1) | instskip(NEXT) | instid1(VALU_DEP_1)
	v_add_min_u32_e64 v1, v3, -1, v1
	v_lshlrev_b64_e32 v[6:7], v1, v[6:7]
	v_sub_nc_u32_e32 v1, 32, v1
	s_delay_alu instid0(VALU_DEP_2) | instskip(NEXT) | instid1(VALU_DEP_1)
	v_min_u32_e32 v3, 1, v6
	v_or_b32_e32 v3, v7, v3
	s_delay_alu instid0(VALU_DEP_1) | instskip(NEXT) | instid1(VALU_DEP_1)
	v_cvt_f32_i32_e32 v3, v3
	v_ldexp_f32 v6, v3, v1
	s_branch .LBB158_2635
.LBB158_2626:
	s_mov_b32 s21, -1
                                        ; implicit-def: $vgpr6
	s_branch .LBB158_2641
.LBB158_2627:
	s_mov_b32 s21, -1
                                        ; implicit-def: $vgpr6
	s_branch .LBB158_2638
.LBB158_2628:
	s_mov_b32 s21, -1
.LBB158_2629:
                                        ; implicit-def: $vgpr6
.LBB158_2630:
	s_and_b32 vcc_lo, exec_lo, s23
	s_mov_b32 s23, 0
	s_cbranch_vccz .LBB158_2632
; %bb.2631:
	s_cmp_lg_u32 s13, 11
	s_mov_b32 s23, -1
	s_cselect_b32 s21, -1, 0
.LBB158_2632:
	s_wait_xcnt 0x0
	v_mov_b32_e32 v10, 0
	s_and_b32 vcc_lo, exec_lo, s21
	s_cbranch_vccz .LBB158_2563
.LBB158_2633:
	s_or_b32 s22, s22, exec_lo
	s_trap 2
	s_cbranch_execz .LBB158_2564
	s_branch .LBB158_2565
.LBB158_2634:
	s_mov_b32 s21, -1
                                        ; implicit-def: $vgpr6
.LBB158_2635:
	s_delay_alu instid0(SALU_CYCLE_1)
	s_and_not1_b32 vcc_lo, exec_lo, s21
	s_cbranch_vccnz .LBB158_2637
; %bb.2636:
	global_load_b32 v1, v[16:17], off
	s_wait_loadcnt 0x0
	v_cvt_f32_i32_e32 v6, v1
.LBB158_2637:
	s_mov_b32 s21, 0
.LBB158_2638:
	s_delay_alu instid0(SALU_CYCLE_1)
	s_and_not1_b32 vcc_lo, exec_lo, s21
	s_cbranch_vccnz .LBB158_2640
; %bb.2639:
	global_load_i16 v1, v[16:17], off
	s_wait_loadcnt 0x0
	v_cvt_f32_i32_e32 v6, v1
.LBB158_2640:
	s_mov_b32 s21, 0
.LBB158_2641:
	s_delay_alu instid0(SALU_CYCLE_1)
	s_and_not1_b32 vcc_lo, exec_lo, s21
	s_cbranch_vccnz .LBB158_2647
; %bb.2642:
	s_cmp_gt_i32 s13, 0
	s_mov_b32 s13, 0
	s_cbranch_scc0 .LBB158_2644
; %bb.2643:
	global_load_i8 v1, v[16:17], off
	s_wait_loadcnt 0x0
	v_cvt_f32_i32_e32 v6, v1
	s_branch .LBB158_2645
.LBB158_2644:
	s_mov_b32 s13, -1
                                        ; implicit-def: $vgpr6
.LBB158_2645:
	s_delay_alu instid0(SALU_CYCLE_1)
	s_and_not1_b32 vcc_lo, exec_lo, s13
	s_cbranch_vccnz .LBB158_2647
; %bb.2646:
	global_load_u8 v1, v[16:17], off
	s_wait_loadcnt 0x0
	v_cvt_f32_ubyte0_e32 v6, v1
.LBB158_2647:
	s_wait_xcnt 0x0
	v_mov_b32_e32 v10, 0
.LBB158_2648:
	s_mov_b32 s26, -1
.LBB158_2649:
	s_delay_alu instid0(SALU_CYCLE_1)
	s_and_not1_b32 vcc_lo, exec_lo, s26
	s_cbranch_vccnz .LBB158_4181
; %bb.2650:
	s_lshl_b32 s13, s14, 7
	s_cmp_lt_i32 s3, 11
	v_add_nc_u32_e32 v20, s13, v12
	s_delay_alu instid0(VALU_DEP_1) | instskip(SKIP_1) | instid1(VALU_DEP_1)
	v_ashrrev_i32_e32 v21, 31, v20
	s_wait_xcnt 0x0
	v_add_nc_u64_e32 v[16:17], s[8:9], v[20:21]
	s_cbranch_scc1 .LBB158_2657
; %bb.2651:
	s_and_b32 s14, 0xffff, s3
	s_mov_b32 s23, 0
	s_cmp_gt_i32 s14, 25
	s_cbranch_scc0 .LBB158_2658
; %bb.2652:
	s_cmp_gt_i32 s14, 28
	s_cbranch_scc0 .LBB158_2659
; %bb.2653:
	;; [unrolled: 3-line block ×4, first 2 shown]
	s_cmp_eq_u32 s14, 46
	s_mov_b32 s27, 0
	s_cbranch_scc0 .LBB158_2670
; %bb.2656:
	global_load_b32 v1, v[16:17], off
	s_mov_b32 s21, 0
	s_mov_b32 s26, -1
	s_wait_loadcnt 0x0
	v_and_b32_e32 v13, 0xffff0000, v1
	v_lshlrev_b32_e32 v12, 16, v1
	s_branch .LBB158_2672
.LBB158_2657:
	s_mov_b32 s14, -1
	s_mov_b32 s26, 0
                                        ; implicit-def: $vgpr13
	s_branch .LBB158_2706
.LBB158_2658:
	s_mov_b32 s27, -1
	s_mov_b32 s26, 0
	s_mov_b32 s21, 0
                                        ; implicit-def: $vgpr13
	s_branch .LBB158_2701
.LBB158_2659:
	s_mov_b32 s27, -1
	s_mov_b32 s26, 0
	s_mov_b32 s21, 0
                                        ; implicit-def: $vgpr13
	s_branch .LBB158_2684
.LBB158_2660:
	s_mov_b32 s27, -1
	s_mov_b32 s26, 0
	s_mov_b32 s21, 0
                                        ; implicit-def: $vgpr13
	s_branch .LBB158_2678
.LBB158_2661:
	s_mov_b32 s23, -1
	s_mov_b32 s27, exec_lo
	v_cmpx_eq_u16_e32 0x80, v1
; %bb.2662:
	s_xor_b32 s23, exec_lo, -1
; %bb.2663:
	s_or_b32 exec_lo, exec_lo, s27
	s_delay_alu instid0(SALU_CYCLE_1)
	s_and_b32 s23, s23, exec_lo
	s_or_saveexec_b32 s26, s26
	v_mov_b32_e32 v6, 0x7f800001
	s_xor_b32 exec_lo, exec_lo, s26
	s_cbranch_execz .LBB158_2577
.LBB158_2664:
	v_cmp_ne_u16_e32 vcc_lo, 0, v1
	v_mov_b32_e32 v6, 0
	s_and_not1_b32 s23, s23, exec_lo
	s_and_b32 s27, vcc_lo, exec_lo
	s_delay_alu instid0(SALU_CYCLE_1)
	s_or_b32 s23, s23, s27
	s_or_b32 exec_lo, exec_lo, s26
	s_and_saveexec_b32 s26, s23
	s_cbranch_execnz .LBB158_2578
	s_branch .LBB158_2579
.LBB158_2665:
	s_mov_b32 s27, -1
	s_mov_b32 s26, 0
	s_mov_b32 s21, 0
	s_branch .LBB158_2671
.LBB158_2666:
	s_mov_b32 s44, -1
	s_mov_b32 s46, exec_lo
	v_cmpx_eq_u16_e32 0x80, v1
; %bb.2667:
	s_xor_b32 s44, exec_lo, -1
; %bb.2668:
	s_or_b32 exec_lo, exec_lo, s46
	s_delay_alu instid0(SALU_CYCLE_1)
	s_and_b32 s44, s44, exec_lo
	s_or_saveexec_b32 s45, s45
	v_mov_b32_e32 v0, 0x7f800001
	s_xor_b32 exec_lo, exec_lo, s45
	s_cbranch_execz .LBB158_1649
.LBB158_2669:
	v_cmp_ne_u16_e32 vcc_lo, 0, v1
	v_mov_b32_e32 v0, 0
	s_and_not1_b32 s44, s44, exec_lo
	s_and_b32 s46, vcc_lo, exec_lo
	s_delay_alu instid0(SALU_CYCLE_1)
	s_or_b32 s44, s44, s46
	s_or_b32 exec_lo, exec_lo, s45
	s_and_saveexec_b32 s45, s44
	s_cbranch_execnz .LBB158_1650
	s_branch .LBB158_1651
.LBB158_2670:
	s_mov_b32 s21, -1
	s_mov_b32 s26, 0
.LBB158_2671:
                                        ; implicit-def: $vgpr13
.LBB158_2672:
	s_and_b32 vcc_lo, exec_lo, s27
	s_cbranch_vccz .LBB158_2677
; %bb.2673:
	s_cmp_eq_u32 s14, 44
	s_cbranch_scc0 .LBB158_2675
; %bb.2674:
	global_load_u8 v1, v[16:17], off
	s_mov_b32 s21, 0
	s_mov_b32 s26, -1
	s_wait_loadcnt 0x0
	v_lshlrev_b32_e32 v3, 23, v1
	v_cmp_ne_u32_e32 vcc_lo, 0xff, v1
	s_delay_alu instid0(VALU_DEP_2) | instskip(SKIP_1) | instid1(VALU_DEP_2)
	v_cndmask_b32_e32 v3, 0x7f800001, v3, vcc_lo
	v_cmp_ne_u32_e32 vcc_lo, 0, v1
	v_cndmask_b32_e32 v12, 0x400000, v3, vcc_lo
	s_branch .LBB158_2676
.LBB158_2675:
	s_mov_b32 s21, -1
                                        ; implicit-def: $vgpr12
.LBB158_2676:
	v_mov_b32_e32 v13, 0
.LBB158_2677:
	s_mov_b32 s27, 0
.LBB158_2678:
	s_delay_alu instid0(SALU_CYCLE_1)
	s_and_b32 vcc_lo, exec_lo, s27
	s_cbranch_vccz .LBB158_2683
; %bb.2679:
	s_cmp_eq_u32 s14, 29
	s_cbranch_scc0 .LBB158_2681
; %bb.2680:
	global_load_b64 v[12:13], v[16:17], off
	s_mov_b32 s21, 0
	s_mov_b32 s26, -1
	s_wait_loadcnt 0x0
	v_clz_i32_u32_e32 v1, v13
	s_delay_alu instid0(VALU_DEP_1) | instskip(NEXT) | instid1(VALU_DEP_1)
	v_min_u32_e32 v1, 32, v1
	v_lshlrev_b64_e32 v[12:13], v1, v[12:13]
	v_sub_nc_u32_e32 v1, 32, v1
	s_delay_alu instid0(VALU_DEP_2) | instskip(NEXT) | instid1(VALU_DEP_1)
	v_min_u32_e32 v3, 1, v12
	v_or_b32_e32 v3, v13, v3
	s_delay_alu instid0(VALU_DEP_1) | instskip(NEXT) | instid1(VALU_DEP_1)
	v_cvt_f32_u32_e32 v3, v3
	v_ldexp_f32 v12, v3, v1
	s_branch .LBB158_2682
.LBB158_2681:
	s_mov_b32 s21, -1
                                        ; implicit-def: $vgpr12
.LBB158_2682:
	v_mov_b32_e32 v13, 0
.LBB158_2683:
	s_mov_b32 s27, 0
.LBB158_2684:
	s_delay_alu instid0(SALU_CYCLE_1)
	s_and_b32 vcc_lo, exec_lo, s27
	s_cbranch_vccz .LBB158_2700
; %bb.2685:
	s_cmp_lt_i32 s14, 27
	s_cbranch_scc1 .LBB158_2688
; %bb.2686:
	s_cmp_gt_i32 s14, 27
	s_cbranch_scc0 .LBB158_2689
; %bb.2687:
	global_load_b32 v1, v[16:17], off
	s_mov_b32 s26, 0
	s_wait_loadcnt 0x0
	v_cvt_f32_u32_e32 v12, v1
	s_branch .LBB158_2690
.LBB158_2688:
	s_mov_b32 s26, -1
                                        ; implicit-def: $vgpr12
	s_branch .LBB158_2693
.LBB158_2689:
	s_mov_b32 s26, -1
                                        ; implicit-def: $vgpr12
.LBB158_2690:
	s_delay_alu instid0(SALU_CYCLE_1)
	s_and_not1_b32 vcc_lo, exec_lo, s26
	s_cbranch_vccnz .LBB158_2692
; %bb.2691:
	global_load_u16 v1, v[16:17], off
	s_wait_loadcnt 0x0
	v_cvt_f32_u32_e32 v12, v1
.LBB158_2692:
	s_mov_b32 s26, 0
.LBB158_2693:
	s_delay_alu instid0(SALU_CYCLE_1)
	s_and_not1_b32 vcc_lo, exec_lo, s26
	s_cbranch_vccnz .LBB158_2699
; %bb.2694:
	global_load_u8 v1, v[16:17], off
	s_mov_b32 s26, 0
	s_mov_b32 s27, exec_lo
	s_wait_loadcnt 0x0
	v_cmpx_lt_i16_e32 0x7f, v1
	s_xor_b32 s27, exec_lo, s27
	s_cbranch_execnz .LBB158_2725
; %bb.2695:
	s_or_saveexec_b32 s27, s27
	v_mov_b32_e32 v12, 0x7f800001
	s_xor_b32 exec_lo, exec_lo, s27
	s_cbranch_execnz .LBB158_2728
.LBB158_2696:
	s_or_b32 exec_lo, exec_lo, s27
	s_and_saveexec_b32 s27, s26
	s_cbranch_execz .LBB158_2698
.LBB158_2697:
	v_and_b32_e32 v3, 0xffff, v1
	s_delay_alu instid0(VALU_DEP_1) | instskip(SKIP_1) | instid1(VALU_DEP_2)
	v_dual_lshlrev_b32 v1, 24, v1 :: v_dual_bitop2_b32 v7, 7, v3 bitop3:0x40
	v_bfe_u32 v13, v3, 3, 4
	v_and_b32_e32 v1, 0x80000000, v1
	s_delay_alu instid0(VALU_DEP_3) | instskip(NEXT) | instid1(VALU_DEP_3)
	v_clz_i32_u32_e32 v11, v7
	v_cmp_eq_u32_e32 vcc_lo, 0, v13
	s_delay_alu instid0(VALU_DEP_2) | instskip(NEXT) | instid1(VALU_DEP_1)
	v_min_u32_e32 v11, 32, v11
	v_subrev_nc_u32_e32 v12, 28, v11
	v_sub_nc_u32_e32 v11, 29, v11
	s_delay_alu instid0(VALU_DEP_2) | instskip(NEXT) | instid1(VALU_DEP_2)
	v_lshlrev_b32_e32 v3, v12, v3
	v_cndmask_b32_e32 v11, v13, v11, vcc_lo
	s_delay_alu instid0(VALU_DEP_2) | instskip(NEXT) | instid1(VALU_DEP_1)
	v_and_b32_e32 v3, 7, v3
	v_cndmask_b32_e32 v3, v7, v3, vcc_lo
	s_delay_alu instid0(VALU_DEP_3) | instskip(NEXT) | instid1(VALU_DEP_2)
	v_lshl_add_u32 v7, v11, 23, 0x3b800000
	v_lshlrev_b32_e32 v3, 20, v3
	s_delay_alu instid0(VALU_DEP_1)
	v_or3_b32 v12, v1, v7, v3
.LBB158_2698:
	s_or_b32 exec_lo, exec_lo, s27
.LBB158_2699:
	v_mov_b32_e32 v13, 0
	s_mov_b32 s26, -1
.LBB158_2700:
	s_mov_b32 s27, 0
.LBB158_2701:
	s_delay_alu instid0(SALU_CYCLE_1)
	s_and_b32 vcc_lo, exec_lo, s27
	s_cbranch_vccnz .LBB158_2712
; %bb.2702:
	s_and_b32 vcc_lo, exec_lo, s21
	s_cbranch_vccnz .LBB158_2773
.LBB158_2703:
	s_and_not1_b32 vcc_lo, exec_lo, s23
	s_cbranch_vccnz .LBB158_2705
.LBB158_2704:
	global_load_u8 v1, v[16:17], off
	v_mov_b32_e32 v13, 0
	s_mov_b32 s26, -1
	s_wait_loadcnt 0x0
	v_cmp_ne_u16_e32 vcc_lo, 0, v1
	v_cndmask_b32_e64 v12, 0, 1.0, vcc_lo
.LBB158_2705:
	s_mov_b32 s14, 0
.LBB158_2706:
	s_delay_alu instid0(SALU_CYCLE_1)
	s_and_b32 vcc_lo, exec_lo, s14
	s_cbranch_vccz .LBB158_2789
; %bb.2707:
	s_and_b32 s14, 0xffff, s3
	s_delay_alu instid0(SALU_CYCLE_1)
	s_cmp_lt_i32 s14, 5
	s_cbranch_scc1 .LBB158_2720
; %bb.2708:
	s_cmp_lt_i32 s14, 8
	s_cbranch_scc1 .LBB158_2721
; %bb.2709:
	;; [unrolled: 3-line block ×3, first 2 shown]
	s_cmp_gt_i32 s14, 9
	s_cbranch_scc0 .LBB158_2729
; %bb.2711:
	global_load_b128 v[22:25], v[16:17], off
	s_mov_b32 s21, 0
	s_wait_loadcnt 0x0
	v_cvt_f32_f64_e32 v12, v[22:23]
	v_cvt_f32_f64_e32 v13, v[24:25]
	s_branch .LBB158_2730
.LBB158_2712:
	s_cmp_gt_i32 s14, 22
	s_cbranch_scc0 .LBB158_2722
; %bb.2713:
	s_cmp_lt_i32 s14, 24
	s_cbranch_scc1 .LBB158_2724
; %bb.2714:
	s_cmp_gt_i32 s14, 24
	s_cbranch_scc0 .LBB158_2741
; %bb.2715:
	global_load_u8 v1, v[16:17], off
	s_mov_b32 s26, exec_lo
	s_wait_loadcnt 0x0
	v_cmpx_lt_i16_e32 0x7f, v1
	s_xor_b32 s26, exec_lo, s26
	s_cbranch_execnz .LBB158_2801
; %bb.2716:
	s_or_saveexec_b32 s26, s26
	v_mov_b32_e32 v12, 0x7f800001
	s_xor_b32 exec_lo, exec_lo, s26
	s_cbranch_execnz .LBB158_2804
.LBB158_2717:
	s_or_b32 exec_lo, exec_lo, s26
	s_and_saveexec_b32 s26, s23
	s_cbranch_execz .LBB158_2719
.LBB158_2718:
	v_and_b32_e32 v3, 0xffff, v1
	s_delay_alu instid0(VALU_DEP_1) | instskip(SKIP_1) | instid1(VALU_DEP_2)
	v_dual_lshlrev_b32 v1, 24, v1 :: v_dual_bitop2_b32 v7, 3, v3 bitop3:0x40
	v_bfe_u32 v13, v3, 2, 5
	v_and_b32_e32 v1, 0x80000000, v1
	s_delay_alu instid0(VALU_DEP_3) | instskip(NEXT) | instid1(VALU_DEP_3)
	v_clz_i32_u32_e32 v11, v7
	v_cmp_eq_u32_e32 vcc_lo, 0, v13
	s_delay_alu instid0(VALU_DEP_2) | instskip(NEXT) | instid1(VALU_DEP_1)
	v_min_u32_e32 v11, 32, v11
	v_subrev_nc_u32_e32 v12, 29, v11
	v_sub_nc_u32_e32 v11, 30, v11
	s_delay_alu instid0(VALU_DEP_2) | instskip(NEXT) | instid1(VALU_DEP_2)
	v_lshlrev_b32_e32 v3, v12, v3
	v_cndmask_b32_e32 v11, v13, v11, vcc_lo
	s_delay_alu instid0(VALU_DEP_2) | instskip(NEXT) | instid1(VALU_DEP_1)
	v_and_b32_e32 v3, 3, v3
	v_cndmask_b32_e32 v3, v7, v3, vcc_lo
	s_delay_alu instid0(VALU_DEP_3) | instskip(NEXT) | instid1(VALU_DEP_2)
	v_lshl_add_u32 v7, v11, 23, 0x37800000
	v_lshlrev_b32_e32 v3, 21, v3
	s_delay_alu instid0(VALU_DEP_1)
	v_or3_b32 v12, v1, v7, v3
.LBB158_2719:
	s_or_b32 exec_lo, exec_lo, s26
	s_mov_b32 s23, 0
	s_branch .LBB158_2742
.LBB158_2720:
	s_mov_b32 s21, -1
                                        ; implicit-def: $vgpr13
	s_branch .LBB158_2761
.LBB158_2721:
	s_mov_b32 s21, -1
                                        ; implicit-def: $vgpr13
	s_branch .LBB158_2736
.LBB158_2722:
	s_mov_b32 s23, -1
                                        ; implicit-def: $vgpr12
	s_branch .LBB158_2748
.LBB158_2723:
	s_mov_b32 s21, -1
                                        ; implicit-def: $vgpr13
	s_branch .LBB158_2733
.LBB158_2724:
	s_mov_b32 s23, -1
                                        ; implicit-def: $vgpr12
	s_branch .LBB158_2745
.LBB158_2725:
	s_mov_b32 s26, -1
	s_mov_b32 s28, exec_lo
	v_cmpx_eq_u16_e32 0x80, v1
; %bb.2726:
	s_xor_b32 s26, exec_lo, -1
; %bb.2727:
	s_or_b32 exec_lo, exec_lo, s28
	s_delay_alu instid0(SALU_CYCLE_1)
	s_and_b32 s26, s26, exec_lo
	s_or_saveexec_b32 s27, s27
	v_mov_b32_e32 v12, 0x7f800001
	s_xor_b32 exec_lo, exec_lo, s27
	s_cbranch_execz .LBB158_2696
.LBB158_2728:
	v_cmp_ne_u16_e32 vcc_lo, 0, v1
	v_mov_b32_e32 v12, 0
	s_and_not1_b32 s26, s26, exec_lo
	s_and_b32 s28, vcc_lo, exec_lo
	s_delay_alu instid0(SALU_CYCLE_1)
	s_or_b32 s26, s26, s28
	s_or_b32 exec_lo, exec_lo, s27
	s_and_saveexec_b32 s27, s26
	s_cbranch_execnz .LBB158_2697
	s_branch .LBB158_2698
.LBB158_2729:
	s_mov_b32 s21, -1
                                        ; implicit-def: $vgpr13
.LBB158_2730:
	s_delay_alu instid0(SALU_CYCLE_1)
	s_and_not1_b32 vcc_lo, exec_lo, s21
	s_cbranch_vccnz .LBB158_2732
; %bb.2731:
	global_load_b64 v[12:13], v[16:17], off
.LBB158_2732:
	s_mov_b32 s21, 0
.LBB158_2733:
	s_delay_alu instid0(SALU_CYCLE_1)
	s_and_not1_b32 vcc_lo, exec_lo, s21
	s_cbranch_vccnz .LBB158_2735
; %bb.2734:
	global_load_b32 v1, v[16:17], off
	s_wait_loadcnt 0x0
	v_lshrrev_b32_e32 v3, 16, v1
	v_cvt_f32_f16_e32 v12, v1
	s_delay_alu instid0(VALU_DEP_2)
	v_cvt_f32_f16_e32 v13, v3
.LBB158_2735:
	s_mov_b32 s21, 0
.LBB158_2736:
	s_delay_alu instid0(SALU_CYCLE_1)
	s_and_not1_b32 vcc_lo, exec_lo, s21
	s_cbranch_vccnz .LBB158_2760
; %bb.2737:
	s_cmp_lt_i32 s14, 6
	s_cbranch_scc1 .LBB158_2740
; %bb.2738:
	s_cmp_gt_i32 s14, 6
	s_cbranch_scc0 .LBB158_2753
; %bb.2739:
	s_wait_loadcnt 0x0
	global_load_b64 v[12:13], v[16:17], off
	s_mov_b32 s21, 0
	s_wait_loadcnt 0x0
	v_cvt_f32_f64_e32 v12, v[12:13]
	s_branch .LBB158_2754
.LBB158_2740:
	s_mov_b32 s21, -1
                                        ; implicit-def: $vgpr12
	s_branch .LBB158_2757
.LBB158_2741:
	s_mov_b32 s23, -1
                                        ; implicit-def: $vgpr12
.LBB158_2742:
	s_delay_alu instid0(SALU_CYCLE_1)
	s_and_b32 vcc_lo, exec_lo, s23
	s_cbranch_vccz .LBB158_2744
; %bb.2743:
	global_load_u8 v1, v[16:17], off
	s_wait_loadcnt 0x0
	v_lshlrev_b32_e32 v1, 24, v1
	s_delay_alu instid0(VALU_DEP_1) | instskip(NEXT) | instid1(VALU_DEP_1)
	v_and_b32_e32 v3, 0x7f000000, v1
	v_clz_i32_u32_e32 v7, v3
	v_add_nc_u32_e32 v12, 0x1000000, v3
	v_cmp_ne_u32_e32 vcc_lo, 0, v3
	s_delay_alu instid0(VALU_DEP_3) | instskip(NEXT) | instid1(VALU_DEP_1)
	v_min_u32_e32 v7, 32, v7
	v_sub_nc_u32_e64 v7, v7, 4 clamp
	s_delay_alu instid0(VALU_DEP_1) | instskip(SKIP_1) | instid1(VALU_DEP_2)
	v_lshlrev_b32_e32 v11, v7, v3
	v_lshlrev_b32_e32 v7, 23, v7
	v_lshrrev_b32_e32 v11, 4, v11
	s_delay_alu instid0(VALU_DEP_1) | instskip(NEXT) | instid1(VALU_DEP_1)
	v_dual_sub_nc_u32 v7, v11, v7 :: v_dual_ashrrev_i32 v11, 8, v12
	v_add_nc_u32_e32 v7, 0x3c000000, v7
	s_delay_alu instid0(VALU_DEP_1) | instskip(NEXT) | instid1(VALU_DEP_1)
	v_and_or_b32 v7, 0x7f800000, v11, v7
	v_cndmask_b32_e32 v3, 0, v7, vcc_lo
	s_delay_alu instid0(VALU_DEP_1)
	v_and_or_b32 v12, 0x80000000, v1, v3
.LBB158_2744:
	s_mov_b32 s23, 0
.LBB158_2745:
	s_delay_alu instid0(SALU_CYCLE_1)
	s_and_not1_b32 vcc_lo, exec_lo, s23
	s_cbranch_vccnz .LBB158_2747
; %bb.2746:
	global_load_u8 v1, v[16:17], off
	s_wait_loadcnt 0x0
	v_lshlrev_b32_e32 v3, 25, v1
	v_lshlrev_b16 v1, 8, v1
	s_delay_alu instid0(VALU_DEP_1) | instskip(SKIP_1) | instid1(VALU_DEP_2)
	v_and_or_b32 v11, 0x7f00, v1, 0.5
	v_bfe_i32 v1, v1, 0, 16
	v_add_f32_e32 v11, -0.5, v11
	v_lshrrev_b32_e32 v7, 4, v3
	v_cmp_gt_u32_e32 vcc_lo, 0x8000000, v3
	s_delay_alu instid0(VALU_DEP_2) | instskip(NEXT) | instid1(VALU_DEP_1)
	v_or_b32_e32 v7, 0x70000000, v7
	v_mul_f32_e32 v7, 0x7800000, v7
	s_delay_alu instid0(VALU_DEP_1) | instskip(NEXT) | instid1(VALU_DEP_1)
	v_cndmask_b32_e32 v3, v7, v11, vcc_lo
	v_and_or_b32 v12, 0x80000000, v1, v3
.LBB158_2747:
	s_mov_b32 s23, 0
	s_mov_b32 s26, -1
.LBB158_2748:
	s_and_not1_b32 vcc_lo, exec_lo, s23
	s_mov_b32 s23, 0
	s_cbranch_vccnz .LBB158_2772
; %bb.2749:
	s_cmp_gt_i32 s14, 14
	s_cbranch_scc0 .LBB158_2752
; %bb.2750:
	s_cmp_eq_u32 s14, 15
	s_cbranch_scc0 .LBB158_2768
; %bb.2751:
	global_load_u16 v1, v[16:17], off
	s_mov_b32 s21, 0
	s_mov_b32 s26, -1
	s_wait_loadcnt 0x0
	v_lshlrev_b32_e32 v12, 16, v1
	s_branch .LBB158_2770
.LBB158_2752:
	s_mov_b32 s23, -1
	s_branch .LBB158_2769
.LBB158_2753:
	s_mov_b32 s21, -1
                                        ; implicit-def: $vgpr12
.LBB158_2754:
	s_delay_alu instid0(SALU_CYCLE_1)
	s_and_not1_b32 vcc_lo, exec_lo, s21
	s_cbranch_vccnz .LBB158_2756
; %bb.2755:
	s_wait_loadcnt 0x0
	global_load_b32 v12, v[16:17], off
.LBB158_2756:
	s_mov_b32 s21, 0
.LBB158_2757:
	s_delay_alu instid0(SALU_CYCLE_1)
	s_and_not1_b32 vcc_lo, exec_lo, s21
	s_cbranch_vccnz .LBB158_2759
; %bb.2758:
	global_load_u16 v1, v[16:17], off
	s_wait_loadcnt 0x0
	v_cvt_f32_f16_e32 v12, v1
.LBB158_2759:
	s_wait_loadcnt 0x0
	v_mov_b32_e32 v13, 0
.LBB158_2760:
	s_mov_b32 s21, 0
.LBB158_2761:
	s_delay_alu instid0(SALU_CYCLE_1)
	s_and_not1_b32 vcc_lo, exec_lo, s21
	s_cbranch_vccnz .LBB158_2788
; %bb.2762:
	s_cmp_lt_i32 s14, 2
	s_cbranch_scc1 .LBB158_2766
; %bb.2763:
	s_cmp_lt_i32 s14, 3
	s_cbranch_scc1 .LBB158_2767
; %bb.2764:
	s_cmp_gt_i32 s14, 3
	s_cbranch_scc0 .LBB158_2774
; %bb.2765:
	s_wait_loadcnt 0x0
	global_load_b64 v[12:13], v[16:17], off
	s_mov_b32 s21, 0
	s_wait_loadcnt 0x0
	v_xor_b32_e32 v1, v12, v13
	v_cls_i32_e32 v3, v13
	s_delay_alu instid0(VALU_DEP_2) | instskip(NEXT) | instid1(VALU_DEP_1)
	v_ashrrev_i32_e32 v1, 31, v1
	v_add_nc_u32_e32 v1, 32, v1
	s_delay_alu instid0(VALU_DEP_1) | instskip(NEXT) | instid1(VALU_DEP_1)
	v_add_min_u32_e64 v1, v3, -1, v1
	v_lshlrev_b64_e32 v[12:13], v1, v[12:13]
	v_sub_nc_u32_e32 v1, 32, v1
	s_delay_alu instid0(VALU_DEP_2) | instskip(NEXT) | instid1(VALU_DEP_1)
	v_min_u32_e32 v3, 1, v12
	v_or_b32_e32 v3, v13, v3
	s_delay_alu instid0(VALU_DEP_1) | instskip(NEXT) | instid1(VALU_DEP_1)
	v_cvt_f32_i32_e32 v3, v3
	v_ldexp_f32 v12, v3, v1
	s_branch .LBB158_2775
.LBB158_2766:
	s_mov_b32 s21, -1
                                        ; implicit-def: $vgpr12
	s_branch .LBB158_2781
.LBB158_2767:
	s_mov_b32 s21, -1
                                        ; implicit-def: $vgpr12
	s_branch .LBB158_2778
.LBB158_2768:
	s_mov_b32 s21, -1
.LBB158_2769:
                                        ; implicit-def: $vgpr12
.LBB158_2770:
	s_and_b32 vcc_lo, exec_lo, s23
	s_mov_b32 s23, 0
	s_cbranch_vccz .LBB158_2772
; %bb.2771:
	s_cmp_lg_u32 s14, 11
	s_mov_b32 s23, -1
	s_cselect_b32 s21, -1, 0
.LBB158_2772:
	v_mov_b32_e32 v13, 0
	s_and_b32 vcc_lo, exec_lo, s21
	s_cbranch_vccz .LBB158_2703
.LBB158_2773:
	s_or_b32 s22, s22, exec_lo
	s_trap 2
	s_cbranch_execz .LBB158_2704
	s_branch .LBB158_2705
.LBB158_2774:
	s_mov_b32 s21, -1
                                        ; implicit-def: $vgpr12
.LBB158_2775:
	s_delay_alu instid0(SALU_CYCLE_1)
	s_and_not1_b32 vcc_lo, exec_lo, s21
	s_cbranch_vccnz .LBB158_2777
; %bb.2776:
	global_load_b32 v1, v[16:17], off
	s_wait_loadcnt 0x0
	v_cvt_f32_i32_e32 v12, v1
.LBB158_2777:
	s_mov_b32 s21, 0
.LBB158_2778:
	s_delay_alu instid0(SALU_CYCLE_1)
	s_and_not1_b32 vcc_lo, exec_lo, s21
	s_cbranch_vccnz .LBB158_2780
; %bb.2779:
	global_load_i16 v1, v[16:17], off
	s_wait_loadcnt 0x0
	v_cvt_f32_i32_e32 v12, v1
.LBB158_2780:
	s_mov_b32 s21, 0
.LBB158_2781:
	s_delay_alu instid0(SALU_CYCLE_1)
	s_and_not1_b32 vcc_lo, exec_lo, s21
	s_cbranch_vccnz .LBB158_2787
; %bb.2782:
	s_cmp_gt_i32 s14, 0
	s_mov_b32 s14, 0
	s_cbranch_scc0 .LBB158_2784
; %bb.2783:
	global_load_i8 v1, v[16:17], off
	s_wait_loadcnt 0x0
	v_cvt_f32_i32_e32 v12, v1
	s_branch .LBB158_2785
.LBB158_2784:
	s_mov_b32 s14, -1
                                        ; implicit-def: $vgpr12
.LBB158_2785:
	s_delay_alu instid0(SALU_CYCLE_1)
	s_and_not1_b32 vcc_lo, exec_lo, s14
	s_cbranch_vccnz .LBB158_2787
; %bb.2786:
	global_load_u8 v1, v[16:17], off
	s_wait_loadcnt 0x0
	v_cvt_f32_ubyte0_e32 v12, v1
.LBB158_2787:
	s_wait_loadcnt 0x0
	v_mov_b32_e32 v13, 0
.LBB158_2788:
	s_mov_b32 s26, -1
.LBB158_2789:
	s_delay_alu instid0(SALU_CYCLE_1)
	s_and_not1_b32 vcc_lo, exec_lo, s26
	s_cbranch_vccnz .LBB158_4181
; %bb.2790:
	s_lshl_b32 s14, s15, 7
	s_cmp_lt_i32 s0, 11
	v_add_nc_u32_e32 v22, s14, v14
	s_delay_alu instid0(VALU_DEP_1) | instskip(NEXT) | instid1(VALU_DEP_1)
	v_ashrrev_i32_e32 v23, 31, v22
	v_add_nc_u64_e32 v[14:15], s[10:11], v[22:23]
	s_cbranch_scc1 .LBB158_2797
; %bb.2791:
	s_cmp_gt_i32 s0, 25
	s_mov_b32 s21, 0
	s_cbranch_scc0 .LBB158_2798
; %bb.2792:
	s_cmp_gt_i32 s0, 28
	s_cbranch_scc0 .LBB158_2799
; %bb.2793:
	s_cmp_gt_i32 s0, 43
	;; [unrolled: 3-line block ×3, first 2 shown]
	s_cbranch_scc0 .LBB158_2805
; %bb.2795:
	s_cmp_eq_u32 s0, 46
	s_mov_b32 s26, 0
	s_cbranch_scc0 .LBB158_2806
; %bb.2796:
	global_load_b32 v1, v[14:15], off
	s_mov_b32 s15, 0
	s_mov_b32 s23, -1
	s_wait_loadcnt 0x0
	s_wait_xcnt 0x1
	v_and_b32_e32 v17, 0xffff0000, v1
	v_lshlrev_b32_e32 v16, 16, v1
	s_branch .LBB158_2808
.LBB158_2797:
	s_mov_b32 s15, -1
	s_mov_b32 s23, 0
                                        ; implicit-def: $vgpr17
	s_branch .LBB158_2842
.LBB158_2798:
	s_mov_b32 s26, -1
	s_mov_b32 s23, 0
	s_mov_b32 s15, 0
                                        ; implicit-def: $vgpr17
	s_branch .LBB158_2837
.LBB158_2799:
	s_mov_b32 s26, -1
	s_mov_b32 s23, 0
	s_mov_b32 s15, 0
                                        ; implicit-def: $vgpr17
	s_branch .LBB158_2820
.LBB158_2800:
	s_mov_b32 s26, -1
	s_mov_b32 s23, 0
	s_mov_b32 s15, 0
                                        ; implicit-def: $vgpr17
	s_branch .LBB158_2814
.LBB158_2801:
	s_mov_b32 s23, -1
	s_mov_b32 s27, exec_lo
	v_cmpx_eq_u16_e32 0x80, v1
; %bb.2802:
	s_xor_b32 s23, exec_lo, -1
; %bb.2803:
	s_or_b32 exec_lo, exec_lo, s27
	s_delay_alu instid0(SALU_CYCLE_1)
	s_and_b32 s23, s23, exec_lo
	s_or_saveexec_b32 s26, s26
	v_mov_b32_e32 v12, 0x7f800001
	s_xor_b32 exec_lo, exec_lo, s26
	s_cbranch_execz .LBB158_2717
.LBB158_2804:
	v_cmp_ne_u16_e32 vcc_lo, 0, v1
	v_mov_b32_e32 v12, 0
	s_and_not1_b32 s23, s23, exec_lo
	s_and_b32 s27, vcc_lo, exec_lo
	s_delay_alu instid0(SALU_CYCLE_1)
	s_or_b32 s23, s23, s27
	s_or_b32 exec_lo, exec_lo, s26
	s_and_saveexec_b32 s26, s23
	s_cbranch_execnz .LBB158_2718
	s_branch .LBB158_2719
.LBB158_2805:
	s_mov_b32 s26, -1
	s_mov_b32 s23, 0
	s_mov_b32 s15, 0
	s_branch .LBB158_2807
.LBB158_2806:
	s_mov_b32 s15, -1
	s_mov_b32 s23, 0
.LBB158_2807:
                                        ; implicit-def: $vgpr17
.LBB158_2808:
	s_and_b32 vcc_lo, exec_lo, s26
	s_cbranch_vccz .LBB158_2813
; %bb.2809:
	s_cmp_eq_u32 s0, 44
	s_cbranch_scc0 .LBB158_2811
; %bb.2810:
	global_load_u8 v1, v[14:15], off
	s_mov_b32 s15, 0
	s_mov_b32 s23, -1
	s_wait_loadcnt 0x0
	v_lshlrev_b32_e32 v3, 23, v1
	v_cmp_ne_u32_e32 vcc_lo, 0xff, v1
	s_delay_alu instid0(VALU_DEP_2) | instskip(SKIP_2) | instid1(VALU_DEP_2)
	v_cndmask_b32_e32 v3, 0x7f800001, v3, vcc_lo
	v_cmp_ne_u32_e32 vcc_lo, 0, v1
	s_wait_xcnt 0x1
	v_cndmask_b32_e32 v16, 0x400000, v3, vcc_lo
	s_branch .LBB158_2812
.LBB158_2811:
	s_mov_b32 s15, -1
                                        ; implicit-def: $vgpr16
.LBB158_2812:
	s_wait_xcnt 0x0
	v_mov_b32_e32 v17, 0
.LBB158_2813:
	s_mov_b32 s26, 0
.LBB158_2814:
	s_delay_alu instid0(SALU_CYCLE_1)
	s_and_b32 vcc_lo, exec_lo, s26
	s_cbranch_vccz .LBB158_2819
; %bb.2815:
	s_cmp_eq_u32 s0, 29
	s_cbranch_scc0 .LBB158_2817
; %bb.2816:
	global_load_b64 v[16:17], v[14:15], off
	s_mov_b32 s15, 0
	s_mov_b32 s23, -1
	s_wait_loadcnt 0x0
	v_clz_i32_u32_e32 v1, v17
	s_delay_alu instid0(VALU_DEP_1) | instskip(NEXT) | instid1(VALU_DEP_1)
	v_min_u32_e32 v1, 32, v1
	v_lshlrev_b64_e32 v[16:17], v1, v[16:17]
	v_sub_nc_u32_e32 v1, 32, v1
	s_delay_alu instid0(VALU_DEP_2) | instskip(NEXT) | instid1(VALU_DEP_1)
	v_min_u32_e32 v3, 1, v16
	v_or_b32_e32 v3, v17, v3
	s_delay_alu instid0(VALU_DEP_1) | instskip(NEXT) | instid1(VALU_DEP_1)
	v_cvt_f32_u32_e32 v3, v3
	v_ldexp_f32 v16, v3, v1
	s_branch .LBB158_2818
.LBB158_2817:
	s_mov_b32 s15, -1
                                        ; implicit-def: $vgpr16
.LBB158_2818:
	s_wait_xcnt 0x0
	v_mov_b32_e32 v17, 0
.LBB158_2819:
	s_mov_b32 s26, 0
.LBB158_2820:
	s_delay_alu instid0(SALU_CYCLE_1)
	s_and_b32 vcc_lo, exec_lo, s26
	s_cbranch_vccz .LBB158_2836
; %bb.2821:
	s_cmp_lt_i32 s0, 27
	s_cbranch_scc1 .LBB158_2824
; %bb.2822:
	s_cmp_gt_i32 s0, 27
	s_cbranch_scc0 .LBB158_2825
; %bb.2823:
	global_load_b32 v1, v[14:15], off
	s_mov_b32 s23, 0
	s_wait_loadcnt 0x0
	s_wait_xcnt 0x1
	v_cvt_f32_u32_e32 v16, v1
	s_branch .LBB158_2826
.LBB158_2824:
	s_mov_b32 s23, -1
                                        ; implicit-def: $vgpr16
	s_branch .LBB158_2829
.LBB158_2825:
	s_mov_b32 s23, -1
                                        ; implicit-def: $vgpr16
.LBB158_2826:
	s_delay_alu instid0(SALU_CYCLE_1)
	s_and_not1_b32 vcc_lo, exec_lo, s23
	s_cbranch_vccnz .LBB158_2828
; %bb.2827:
	global_load_u16 v1, v[14:15], off
	s_wait_loadcnt 0x0
	s_wait_xcnt 0x1
	v_cvt_f32_u32_e32 v16, v1
.LBB158_2828:
	s_mov_b32 s23, 0
.LBB158_2829:
	s_delay_alu instid0(SALU_CYCLE_1)
	s_and_not1_b32 vcc_lo, exec_lo, s23
	s_cbranch_vccnz .LBB158_2835
; %bb.2830:
	global_load_u8 v1, v[14:15], off
	s_mov_b32 s23, 0
	s_mov_b32 s26, exec_lo
	s_wait_loadcnt 0x0
	v_cmpx_lt_i16_e32 0x7f, v1
	s_xor_b32 s26, exec_lo, s26
	s_cbranch_execnz .LBB158_2861
; %bb.2831:
	s_or_saveexec_b32 s26, s26
	v_mov_b32_e32 v16, 0x7f800001
	s_xor_b32 exec_lo, exec_lo, s26
	s_cbranch_execnz .LBB158_2864
.LBB158_2832:
	s_or_b32 exec_lo, exec_lo, s26
	s_and_saveexec_b32 s26, s23
	s_cbranch_execz .LBB158_2834
.LBB158_2833:
	v_and_b32_e32 v3, 0xffff, v1
	s_delay_alu instid0(VALU_DEP_1) | instskip(SKIP_1) | instid1(VALU_DEP_2)
	v_dual_lshlrev_b32 v1, 24, v1 :: v_dual_bitop2_b32 v7, 7, v3 bitop3:0x40
	v_bfe_u32 v17, v3, 3, 4
	v_and_b32_e32 v1, 0x80000000, v1
	s_delay_alu instid0(VALU_DEP_3) | instskip(NEXT) | instid1(VALU_DEP_3)
	v_clz_i32_u32_e32 v11, v7
	v_cmp_eq_u32_e32 vcc_lo, 0, v17
	s_delay_alu instid0(VALU_DEP_2) | instskip(NEXT) | instid1(VALU_DEP_1)
	v_min_u32_e32 v11, 32, v11
	v_subrev_nc_u32_e32 v16, 28, v11
	v_sub_nc_u32_e32 v11, 29, v11
	s_delay_alu instid0(VALU_DEP_2) | instskip(NEXT) | instid1(VALU_DEP_2)
	v_lshlrev_b32_e32 v3, v16, v3
	v_cndmask_b32_e32 v11, v17, v11, vcc_lo
	s_delay_alu instid0(VALU_DEP_2) | instskip(NEXT) | instid1(VALU_DEP_1)
	v_and_b32_e32 v3, 7, v3
	v_cndmask_b32_e32 v3, v7, v3, vcc_lo
	s_delay_alu instid0(VALU_DEP_3) | instskip(NEXT) | instid1(VALU_DEP_2)
	v_lshl_add_u32 v7, v11, 23, 0x3b800000
	v_lshlrev_b32_e32 v3, 20, v3
	s_delay_alu instid0(VALU_DEP_1)
	v_or3_b32 v16, v1, v7, v3
.LBB158_2834:
	s_or_b32 exec_lo, exec_lo, s26
.LBB158_2835:
	s_wait_xcnt 0x0
	v_mov_b32_e32 v17, 0
	s_mov_b32 s23, -1
.LBB158_2836:
	s_mov_b32 s26, 0
.LBB158_2837:
	s_delay_alu instid0(SALU_CYCLE_1)
	s_and_b32 vcc_lo, exec_lo, s26
	s_cbranch_vccnz .LBB158_2848
; %bb.2838:
	s_and_b32 vcc_lo, exec_lo, s15
	s_cbranch_vccnz .LBB158_2909
.LBB158_2839:
	s_and_not1_b32 vcc_lo, exec_lo, s21
	s_cbranch_vccnz .LBB158_2841
.LBB158_2840:
	global_load_u8 v1, v[14:15], off
	s_wait_xcnt 0x1
	v_mov_b32_e32 v17, 0
	s_mov_b32 s23, -1
	s_wait_loadcnt 0x0
	v_cmp_ne_u16_e32 vcc_lo, 0, v1
	v_cndmask_b32_e64 v16, 0, 1.0, vcc_lo
.LBB158_2841:
	s_mov_b32 s15, 0
.LBB158_2842:
	s_delay_alu instid0(SALU_CYCLE_1)
	s_and_b32 vcc_lo, exec_lo, s15
	s_cbranch_vccz .LBB158_2925
; %bb.2843:
	s_cmp_lt_i32 s0, 5
	s_cbranch_scc1 .LBB158_2856
; %bb.2844:
	s_cmp_lt_i32 s0, 8
	s_cbranch_scc1 .LBB158_2857
	;; [unrolled: 3-line block ×3, first 2 shown]
; %bb.2846:
	s_cmp_gt_i32 s0, 9
	s_cbranch_scc0 .LBB158_2865
; %bb.2847:
	global_load_b128 v[24:27], v[14:15], off
	s_mov_b32 s15, 0
	s_wait_loadcnt 0x0
	s_wait_xcnt 0x1
	v_cvt_f32_f64_e32 v16, v[24:25]
	v_cvt_f32_f64_e32 v17, v[26:27]
	s_branch .LBB158_2866
.LBB158_2848:
	s_cmp_gt_i32 s0, 22
	s_cbranch_scc0 .LBB158_2858
; %bb.2849:
	s_cmp_lt_i32 s0, 24
	s_cbranch_scc1 .LBB158_2860
; %bb.2850:
	s_cmp_gt_i32 s0, 24
	s_cbranch_scc0 .LBB158_2877
; %bb.2851:
	global_load_u8 v1, v[14:15], off
	s_mov_b32 s23, exec_lo
	s_wait_loadcnt 0x0
	v_cmpx_lt_i16_e32 0x7f, v1
	s_xor_b32 s23, exec_lo, s23
	s_cbranch_execnz .LBB158_2937
; %bb.2852:
	s_or_saveexec_b32 s23, s23
	v_mov_b32_e32 v16, 0x7f800001
	s_xor_b32 exec_lo, exec_lo, s23
	s_cbranch_execnz .LBB158_2940
.LBB158_2853:
	s_or_b32 exec_lo, exec_lo, s23
	s_and_saveexec_b32 s23, s21
	s_cbranch_execz .LBB158_2855
.LBB158_2854:
	v_and_b32_e32 v3, 0xffff, v1
	s_delay_alu instid0(VALU_DEP_1) | instskip(SKIP_1) | instid1(VALU_DEP_2)
	v_dual_lshlrev_b32 v1, 24, v1 :: v_dual_bitop2_b32 v7, 3, v3 bitop3:0x40
	v_bfe_u32 v17, v3, 2, 5
	v_and_b32_e32 v1, 0x80000000, v1
	s_delay_alu instid0(VALU_DEP_3) | instskip(NEXT) | instid1(VALU_DEP_3)
	v_clz_i32_u32_e32 v11, v7
	v_cmp_eq_u32_e32 vcc_lo, 0, v17
	s_delay_alu instid0(VALU_DEP_2) | instskip(NEXT) | instid1(VALU_DEP_1)
	v_min_u32_e32 v11, 32, v11
	v_subrev_nc_u32_e32 v16, 29, v11
	v_sub_nc_u32_e32 v11, 30, v11
	s_delay_alu instid0(VALU_DEP_2) | instskip(NEXT) | instid1(VALU_DEP_2)
	v_lshlrev_b32_e32 v3, v16, v3
	v_cndmask_b32_e32 v11, v17, v11, vcc_lo
	s_delay_alu instid0(VALU_DEP_2) | instskip(NEXT) | instid1(VALU_DEP_1)
	v_and_b32_e32 v3, 3, v3
	v_cndmask_b32_e32 v3, v7, v3, vcc_lo
	s_delay_alu instid0(VALU_DEP_3) | instskip(NEXT) | instid1(VALU_DEP_2)
	v_lshl_add_u32 v7, v11, 23, 0x37800000
	v_lshlrev_b32_e32 v3, 21, v3
	s_delay_alu instid0(VALU_DEP_1)
	v_or3_b32 v16, v1, v7, v3
.LBB158_2855:
	s_or_b32 exec_lo, exec_lo, s23
	s_mov_b32 s21, 0
	s_branch .LBB158_2878
.LBB158_2856:
	s_mov_b32 s15, -1
                                        ; implicit-def: $vgpr17
	s_branch .LBB158_2897
.LBB158_2857:
	s_mov_b32 s15, -1
                                        ; implicit-def: $vgpr17
	s_branch .LBB158_2872
.LBB158_2858:
	s_mov_b32 s21, -1
                                        ; implicit-def: $vgpr16
	s_branch .LBB158_2884
.LBB158_2859:
	s_mov_b32 s15, -1
                                        ; implicit-def: $vgpr17
	s_branch .LBB158_2869
.LBB158_2860:
	s_mov_b32 s21, -1
                                        ; implicit-def: $vgpr16
	s_branch .LBB158_2881
.LBB158_2861:
	s_mov_b32 s23, -1
	s_mov_b32 s27, exec_lo
	v_cmpx_eq_u16_e32 0x80, v1
; %bb.2862:
	s_xor_b32 s23, exec_lo, -1
; %bb.2863:
	s_or_b32 exec_lo, exec_lo, s27
	s_delay_alu instid0(SALU_CYCLE_1)
	s_and_b32 s23, s23, exec_lo
	s_or_saveexec_b32 s26, s26
	v_mov_b32_e32 v16, 0x7f800001
	s_xor_b32 exec_lo, exec_lo, s26
	s_cbranch_execz .LBB158_2832
.LBB158_2864:
	v_cmp_ne_u16_e32 vcc_lo, 0, v1
	v_mov_b32_e32 v16, 0
	s_and_not1_b32 s23, s23, exec_lo
	s_and_b32 s27, vcc_lo, exec_lo
	s_delay_alu instid0(SALU_CYCLE_1)
	s_or_b32 s23, s23, s27
	s_or_b32 exec_lo, exec_lo, s26
	s_and_saveexec_b32 s26, s23
	s_cbranch_execnz .LBB158_2833
	s_branch .LBB158_2834
.LBB158_2865:
	s_mov_b32 s15, -1
                                        ; implicit-def: $vgpr17
.LBB158_2866:
	s_delay_alu instid0(SALU_CYCLE_1)
	s_and_not1_b32 vcc_lo, exec_lo, s15
	s_cbranch_vccnz .LBB158_2868
; %bb.2867:
	global_load_b64 v[16:17], v[14:15], off
.LBB158_2868:
	s_mov_b32 s15, 0
.LBB158_2869:
	s_delay_alu instid0(SALU_CYCLE_1)
	s_and_not1_b32 vcc_lo, exec_lo, s15
	s_cbranch_vccnz .LBB158_2871
; %bb.2870:
	global_load_b32 v1, v[14:15], off
	s_wait_loadcnt 0x0
	v_lshrrev_b32_e32 v3, 16, v1
	s_wait_xcnt 0x1
	v_cvt_f32_f16_e32 v16, v1
	s_delay_alu instid0(VALU_DEP_2)
	v_cvt_f32_f16_e32 v17, v3
.LBB158_2871:
	s_mov_b32 s15, 0
.LBB158_2872:
	s_delay_alu instid0(SALU_CYCLE_1)
	s_and_not1_b32 vcc_lo, exec_lo, s15
	s_cbranch_vccnz .LBB158_2896
; %bb.2873:
	s_cmp_lt_i32 s0, 6
	s_cbranch_scc1 .LBB158_2876
; %bb.2874:
	s_cmp_gt_i32 s0, 6
	s_cbranch_scc0 .LBB158_2889
; %bb.2875:
	s_wait_loadcnt 0x0
	global_load_b64 v[16:17], v[14:15], off
	s_mov_b32 s15, 0
	s_wait_loadcnt 0x0
	v_cvt_f32_f64_e32 v16, v[16:17]
	s_branch .LBB158_2890
.LBB158_2876:
	s_mov_b32 s15, -1
                                        ; implicit-def: $vgpr16
	s_branch .LBB158_2893
.LBB158_2877:
	s_mov_b32 s21, -1
                                        ; implicit-def: $vgpr16
.LBB158_2878:
	s_delay_alu instid0(SALU_CYCLE_1)
	s_and_b32 vcc_lo, exec_lo, s21
	s_cbranch_vccz .LBB158_2880
; %bb.2879:
	global_load_u8 v1, v[14:15], off
	s_wait_loadcnt 0x0
	v_lshlrev_b32_e32 v1, 24, v1
	s_delay_alu instid0(VALU_DEP_1) | instskip(NEXT) | instid1(VALU_DEP_1)
	v_and_b32_e32 v3, 0x7f000000, v1
	v_clz_i32_u32_e32 v7, v3
	s_wait_xcnt 0x1
	v_add_nc_u32_e32 v16, 0x1000000, v3
	v_cmp_ne_u32_e32 vcc_lo, 0, v3
	s_delay_alu instid0(VALU_DEP_3) | instskip(NEXT) | instid1(VALU_DEP_1)
	v_min_u32_e32 v7, 32, v7
	v_sub_nc_u32_e64 v7, v7, 4 clamp
	s_delay_alu instid0(VALU_DEP_1) | instskip(SKIP_1) | instid1(VALU_DEP_2)
	v_lshlrev_b32_e32 v11, v7, v3
	v_lshlrev_b32_e32 v7, 23, v7
	v_lshrrev_b32_e32 v11, 4, v11
	s_delay_alu instid0(VALU_DEP_1) | instskip(NEXT) | instid1(VALU_DEP_1)
	v_dual_sub_nc_u32 v7, v11, v7 :: v_dual_ashrrev_i32 v11, 8, v16
	v_add_nc_u32_e32 v7, 0x3c000000, v7
	s_delay_alu instid0(VALU_DEP_1) | instskip(NEXT) | instid1(VALU_DEP_1)
	v_and_or_b32 v7, 0x7f800000, v11, v7
	v_cndmask_b32_e32 v3, 0, v7, vcc_lo
	s_delay_alu instid0(VALU_DEP_1)
	v_and_or_b32 v16, 0x80000000, v1, v3
.LBB158_2880:
	s_mov_b32 s21, 0
.LBB158_2881:
	s_delay_alu instid0(SALU_CYCLE_1)
	s_and_not1_b32 vcc_lo, exec_lo, s21
	s_cbranch_vccnz .LBB158_2883
; %bb.2882:
	global_load_u8 v1, v[14:15], off
	s_wait_loadcnt 0x0
	v_lshlrev_b32_e32 v3, 25, v1
	v_lshlrev_b16 v1, 8, v1
	s_delay_alu instid0(VALU_DEP_1) | instskip(SKIP_1) | instid1(VALU_DEP_2)
	v_and_or_b32 v11, 0x7f00, v1, 0.5
	v_bfe_i32 v1, v1, 0, 16
	v_add_f32_e32 v11, -0.5, v11
	v_lshrrev_b32_e32 v7, 4, v3
	v_cmp_gt_u32_e32 vcc_lo, 0x8000000, v3
	s_delay_alu instid0(VALU_DEP_2) | instskip(NEXT) | instid1(VALU_DEP_1)
	v_or_b32_e32 v7, 0x70000000, v7
	v_mul_f32_e32 v7, 0x7800000, v7
	s_delay_alu instid0(VALU_DEP_1) | instskip(SKIP_1) | instid1(VALU_DEP_1)
	v_cndmask_b32_e32 v3, v7, v11, vcc_lo
	s_wait_xcnt 0x1
	v_and_or_b32 v16, 0x80000000, v1, v3
.LBB158_2883:
	s_mov_b32 s21, 0
	s_mov_b32 s23, -1
.LBB158_2884:
	s_and_not1_b32 vcc_lo, exec_lo, s21
	s_mov_b32 s21, 0
	s_cbranch_vccnz .LBB158_2908
; %bb.2885:
	s_cmp_gt_i32 s0, 14
	s_cbranch_scc0 .LBB158_2888
; %bb.2886:
	s_cmp_eq_u32 s0, 15
	s_cbranch_scc0 .LBB158_2904
; %bb.2887:
	global_load_u16 v1, v[14:15], off
	s_mov_b32 s15, 0
	s_mov_b32 s23, -1
	s_wait_loadcnt 0x0
	s_wait_xcnt 0x1
	v_lshlrev_b32_e32 v16, 16, v1
	s_branch .LBB158_2906
.LBB158_2888:
	s_mov_b32 s21, -1
	s_branch .LBB158_2905
.LBB158_2889:
	s_mov_b32 s15, -1
                                        ; implicit-def: $vgpr16
.LBB158_2890:
	s_delay_alu instid0(SALU_CYCLE_1)
	s_and_not1_b32 vcc_lo, exec_lo, s15
	s_cbranch_vccnz .LBB158_2892
; %bb.2891:
	s_wait_loadcnt 0x0
	global_load_b32 v16, v[14:15], off
.LBB158_2892:
	s_mov_b32 s15, 0
.LBB158_2893:
	s_delay_alu instid0(SALU_CYCLE_1)
	s_and_not1_b32 vcc_lo, exec_lo, s15
	s_cbranch_vccnz .LBB158_2895
; %bb.2894:
	global_load_u16 v1, v[14:15], off
	s_wait_loadcnt 0x0
	s_wait_xcnt 0x1
	v_cvt_f32_f16_e32 v16, v1
.LBB158_2895:
	s_wait_loadcnt 0x0
	v_mov_b32_e32 v17, 0
.LBB158_2896:
	s_mov_b32 s15, 0
.LBB158_2897:
	s_delay_alu instid0(SALU_CYCLE_1)
	s_and_not1_b32 vcc_lo, exec_lo, s15
	s_cbranch_vccnz .LBB158_2924
; %bb.2898:
	s_cmp_lt_i32 s0, 2
	s_cbranch_scc1 .LBB158_2902
; %bb.2899:
	s_cmp_lt_i32 s0, 3
	s_cbranch_scc1 .LBB158_2903
; %bb.2900:
	s_cmp_gt_i32 s0, 3
	s_cbranch_scc0 .LBB158_2910
; %bb.2901:
	s_wait_loadcnt 0x0
	global_load_b64 v[16:17], v[14:15], off
	s_mov_b32 s15, 0
	s_wait_loadcnt 0x0
	v_xor_b32_e32 v1, v16, v17
	v_cls_i32_e32 v3, v17
	s_delay_alu instid0(VALU_DEP_2) | instskip(NEXT) | instid1(VALU_DEP_1)
	v_ashrrev_i32_e32 v1, 31, v1
	v_add_nc_u32_e32 v1, 32, v1
	s_delay_alu instid0(VALU_DEP_1) | instskip(NEXT) | instid1(VALU_DEP_1)
	v_add_min_u32_e64 v1, v3, -1, v1
	v_lshlrev_b64_e32 v[16:17], v1, v[16:17]
	v_sub_nc_u32_e32 v1, 32, v1
	s_delay_alu instid0(VALU_DEP_2) | instskip(NEXT) | instid1(VALU_DEP_1)
	v_min_u32_e32 v3, 1, v16
	v_or_b32_e32 v3, v17, v3
	s_delay_alu instid0(VALU_DEP_1) | instskip(NEXT) | instid1(VALU_DEP_1)
	v_cvt_f32_i32_e32 v3, v3
	v_ldexp_f32 v16, v3, v1
	s_branch .LBB158_2911
.LBB158_2902:
	s_mov_b32 s15, -1
                                        ; implicit-def: $vgpr16
	s_branch .LBB158_2917
.LBB158_2903:
	s_mov_b32 s15, -1
                                        ; implicit-def: $vgpr16
	s_branch .LBB158_2914
.LBB158_2904:
	s_mov_b32 s15, -1
.LBB158_2905:
                                        ; implicit-def: $vgpr16
.LBB158_2906:
	s_and_b32 vcc_lo, exec_lo, s21
	s_mov_b32 s21, 0
	s_cbranch_vccz .LBB158_2908
; %bb.2907:
	s_cmp_lg_u32 s0, 11
	s_mov_b32 s21, -1
	s_cselect_b32 s15, -1, 0
.LBB158_2908:
	s_wait_xcnt 0x0
	v_mov_b32_e32 v17, 0
	s_and_b32 vcc_lo, exec_lo, s15
	s_cbranch_vccz .LBB158_2839
.LBB158_2909:
	s_or_b32 s22, s22, exec_lo
	s_trap 2
	s_cbranch_execz .LBB158_2840
	s_branch .LBB158_2841
.LBB158_2910:
	s_mov_b32 s15, -1
                                        ; implicit-def: $vgpr16
.LBB158_2911:
	s_delay_alu instid0(SALU_CYCLE_1)
	s_and_not1_b32 vcc_lo, exec_lo, s15
	s_cbranch_vccnz .LBB158_2913
; %bb.2912:
	global_load_b32 v1, v[14:15], off
	s_wait_loadcnt 0x0
	s_wait_xcnt 0x1
	v_cvt_f32_i32_e32 v16, v1
.LBB158_2913:
	s_mov_b32 s15, 0
.LBB158_2914:
	s_delay_alu instid0(SALU_CYCLE_1)
	s_and_not1_b32 vcc_lo, exec_lo, s15
	s_cbranch_vccnz .LBB158_2916
; %bb.2915:
	global_load_i16 v1, v[14:15], off
	s_wait_loadcnt 0x0
	s_wait_xcnt 0x1
	v_cvt_f32_i32_e32 v16, v1
.LBB158_2916:
	s_mov_b32 s15, 0
.LBB158_2917:
	s_delay_alu instid0(SALU_CYCLE_1)
	s_and_not1_b32 vcc_lo, exec_lo, s15
	s_cbranch_vccnz .LBB158_2923
; %bb.2918:
	s_cmp_gt_i32 s0, 0
	s_mov_b32 s15, 0
	s_cbranch_scc0 .LBB158_2920
; %bb.2919:
	global_load_i8 v1, v[14:15], off
	s_wait_loadcnt 0x0
	s_wait_xcnt 0x1
	v_cvt_f32_i32_e32 v16, v1
	s_branch .LBB158_2921
.LBB158_2920:
	s_mov_b32 s15, -1
                                        ; implicit-def: $vgpr16
.LBB158_2921:
	s_delay_alu instid0(SALU_CYCLE_1)
	s_and_not1_b32 vcc_lo, exec_lo, s15
	s_cbranch_vccnz .LBB158_2923
; %bb.2922:
	global_load_u8 v1, v[14:15], off
	s_wait_loadcnt 0x0
	s_wait_xcnt 0x1
	v_cvt_f32_ubyte0_e32 v16, v1
.LBB158_2923:
	s_wait_loadcnt 0x0
	v_mov_b32_e32 v17, 0
.LBB158_2924:
	s_mov_b32 s23, -1
.LBB158_2925:
	s_delay_alu instid0(SALU_CYCLE_1)
	s_and_not1_b32 vcc_lo, exec_lo, s23
	s_cbranch_vccnz .LBB158_4181
; %bb.2926:
	v_add_nc_u32_e32 v26, s1, v18
	s_cmp_lt_i32 s2, 11
	s_delay_alu instid0(VALU_DEP_1) | instskip(NEXT) | instid1(VALU_DEP_1)
	v_ashrrev_i32_e32 v27, 31, v26
	v_add_nc_u64_e32 v[24:25], s[6:7], v[26:27]
	s_cbranch_scc1 .LBB158_2933
; %bb.2927:
	s_and_b32 s15, 0xffff, s2
	s_mov_b32 s23, 0
	s_cmp_gt_i32 s15, 25
	s_cbranch_scc0 .LBB158_2934
; %bb.2928:
	s_cmp_gt_i32 s15, 28
	s_cbranch_scc0 .LBB158_2935
; %bb.2929:
	;; [unrolled: 3-line block ×4, first 2 shown]
	s_cmp_eq_u32 s15, 46
	s_mov_b32 s27, 0
	s_cbranch_scc0 .LBB158_2946
; %bb.2932:
	global_load_b32 v1, v[24:25], off
	s_mov_b32 s21, 0
	s_mov_b32 s26, -1
	s_wait_loadcnt 0x0
	v_and_b32_e32 v18, 0xffff0000, v1
	s_wait_xcnt 0x1
	v_lshlrev_b32_e32 v14, 16, v1
	s_branch .LBB158_2948
.LBB158_2933:
	s_mov_b32 s15, -1
	s_mov_b32 s26, 0
                                        ; implicit-def: $vgpr18
                                        ; implicit-def: $vgpr14
	s_branch .LBB158_2982
.LBB158_2934:
	s_mov_b32 s27, -1
	s_mov_b32 s26, 0
	s_mov_b32 s21, 0
                                        ; implicit-def: $vgpr18
                                        ; implicit-def: $vgpr14
	s_branch .LBB158_2977
.LBB158_2935:
	s_mov_b32 s27, -1
	s_mov_b32 s26, 0
	s_mov_b32 s21, 0
                                        ; implicit-def: $vgpr18
                                        ; implicit-def: $vgpr14
	s_branch .LBB158_2960
.LBB158_2936:
	s_mov_b32 s27, -1
	s_mov_b32 s26, 0
	s_mov_b32 s21, 0
                                        ; implicit-def: $vgpr18
                                        ; implicit-def: $vgpr14
	s_branch .LBB158_2954
.LBB158_2937:
	s_mov_b32 s21, -1
	s_mov_b32 s26, exec_lo
	v_cmpx_eq_u16_e32 0x80, v1
; %bb.2938:
	s_xor_b32 s21, exec_lo, -1
; %bb.2939:
	s_or_b32 exec_lo, exec_lo, s26
	s_delay_alu instid0(SALU_CYCLE_1)
	s_and_b32 s21, s21, exec_lo
	s_or_saveexec_b32 s23, s23
	v_mov_b32_e32 v16, 0x7f800001
	s_xor_b32 exec_lo, exec_lo, s23
	s_cbranch_execz .LBB158_2853
.LBB158_2940:
	v_cmp_ne_u16_e32 vcc_lo, 0, v1
	v_mov_b32_e32 v16, 0
	s_and_not1_b32 s21, s21, exec_lo
	s_and_b32 s26, vcc_lo, exec_lo
	s_delay_alu instid0(SALU_CYCLE_1)
	s_or_b32 s21, s21, s26
	s_or_b32 exec_lo, exec_lo, s23
	s_and_saveexec_b32 s23, s21
	s_cbranch_execnz .LBB158_2854
	s_branch .LBB158_2855
.LBB158_2941:
	s_mov_b32 s27, -1
	s_mov_b32 s26, 0
	s_mov_b32 s21, 0
	s_branch .LBB158_2947
.LBB158_2942:
	v_bfe_u32 v4, v2, 21, 1
	s_mov_b32 s39, exec_lo
	s_delay_alu instid0(VALU_DEP_1) | instskip(NEXT) | instid1(VALU_DEP_1)
	v_add3_u32 v4, v2, v4, 0x88fffff
	v_lshrrev_b32_e32 v4, 21, v4
	s_and_not1_saveexec_b32 s40, s40
	s_cbranch_execz .LBB158_983
.LBB158_2943:
	v_add_f32_e64 v4, 0x42800000, |v2|
	s_and_not1_b32 s39, s39, exec_lo
	s_delay_alu instid0(VALU_DEP_1) | instskip(NEXT) | instid1(VALU_DEP_1)
	v_and_b32_e32 v4, 0xff, v4
	v_cmp_ne_u32_e32 vcc_lo, 0, v4
	s_and_b32 s41, vcc_lo, exec_lo
	s_delay_alu instid0(SALU_CYCLE_1)
	s_or_b32 s39, s39, s41
	s_or_b32 exec_lo, exec_lo, s40
	v_mov_b32_e32 v5, 0
	s_and_saveexec_b32 s40, s39
	s_cbranch_execnz .LBB158_984
	s_branch .LBB158_985
.LBB158_2944:
	v_bfe_u32 v4, v2, 20, 1
	s_mov_b32 s44, exec_lo
	s_delay_alu instid0(VALU_DEP_1) | instskip(NEXT) | instid1(VALU_DEP_1)
	v_add3_u32 v4, v2, v4, 0x487ffff
	v_lshrrev_b32_e32 v4, 20, v4
	s_and_not1_saveexec_b32 s45, s45
	s_cbranch_execz .LBB158_1506
.LBB158_2945:
	v_add_f32_e64 v4, 0x46000000, |v2|
	s_and_not1_b32 s44, s44, exec_lo
	s_delay_alu instid0(VALU_DEP_1) | instskip(NEXT) | instid1(VALU_DEP_1)
	v_and_b32_e32 v4, 0xff, v4
	v_cmp_ne_u32_e32 vcc_lo, 0, v4
	s_and_b32 s46, vcc_lo, exec_lo
	s_delay_alu instid0(SALU_CYCLE_1)
	s_or_b32 s44, s44, s46
	s_or_b32 exec_lo, exec_lo, s45
	v_mov_b32_e32 v5, 0
	s_and_saveexec_b32 s45, s44
	s_cbranch_execnz .LBB158_1507
	s_branch .LBB158_1508
.LBB158_2946:
	s_mov_b32 s21, -1
	s_mov_b32 s26, 0
.LBB158_2947:
                                        ; implicit-def: $vgpr18
                                        ; implicit-def: $vgpr14
.LBB158_2948:
	s_and_b32 vcc_lo, exec_lo, s27
	s_cbranch_vccz .LBB158_2953
; %bb.2949:
	s_cmp_eq_u32 s15, 44
	s_cbranch_scc0 .LBB158_2951
; %bb.2950:
	global_load_u8 v1, v[24:25], off
	s_mov_b32 s21, 0
	s_mov_b32 s26, -1
	s_wait_loadcnt 0x0
	v_lshlrev_b32_e32 v3, 23, v1
	v_cmp_ne_u32_e32 vcc_lo, 0xff, v1
	s_delay_alu instid0(VALU_DEP_2) | instskip(SKIP_2) | instid1(VALU_DEP_2)
	v_cndmask_b32_e32 v3, 0x7f800001, v3, vcc_lo
	v_cmp_ne_u32_e32 vcc_lo, 0, v1
	s_wait_xcnt 0x1
	v_cndmask_b32_e32 v14, 0x400000, v3, vcc_lo
	s_branch .LBB158_2952
.LBB158_2951:
	s_mov_b32 s21, -1
                                        ; implicit-def: $vgpr14
.LBB158_2952:
	v_mov_b32_e32 v18, 0
.LBB158_2953:
	s_mov_b32 s27, 0
.LBB158_2954:
	s_delay_alu instid0(SALU_CYCLE_1)
	s_and_b32 vcc_lo, exec_lo, s27
	s_cbranch_vccz .LBB158_2959
; %bb.2955:
	s_cmp_eq_u32 s15, 29
	s_cbranch_scc0 .LBB158_2957
; %bb.2956:
	global_load_b64 v[14:15], v[24:25], off
	s_mov_b32 s21, 0
	s_mov_b32 s26, -1
	s_wait_loadcnt 0x0
	v_clz_i32_u32_e32 v1, v15
	s_delay_alu instid0(VALU_DEP_1) | instskip(NEXT) | instid1(VALU_DEP_1)
	v_min_u32_e32 v1, 32, v1
	v_lshlrev_b64_e32 v[14:15], v1, v[14:15]
	v_sub_nc_u32_e32 v1, 32, v1
	s_delay_alu instid0(VALU_DEP_2) | instskip(NEXT) | instid1(VALU_DEP_1)
	v_min_u32_e32 v3, 1, v14
	v_or_b32_e32 v3, v15, v3
	s_delay_alu instid0(VALU_DEP_1) | instskip(NEXT) | instid1(VALU_DEP_1)
	v_cvt_f32_u32_e32 v3, v3
	v_ldexp_f32 v14, v3, v1
	s_branch .LBB158_2958
.LBB158_2957:
	s_mov_b32 s21, -1
                                        ; implicit-def: $vgpr14
.LBB158_2958:
	v_mov_b32_e32 v18, 0
.LBB158_2959:
	s_mov_b32 s27, 0
.LBB158_2960:
	s_delay_alu instid0(SALU_CYCLE_1)
	s_and_b32 vcc_lo, exec_lo, s27
	s_cbranch_vccz .LBB158_2976
; %bb.2961:
	s_cmp_lt_i32 s15, 27
	s_cbranch_scc1 .LBB158_2964
; %bb.2962:
	s_cmp_gt_i32 s15, 27
	s_cbranch_scc0 .LBB158_2965
; %bb.2963:
	global_load_b32 v1, v[24:25], off
	s_mov_b32 s26, 0
	s_wait_loadcnt 0x0
	s_wait_xcnt 0x1
	v_cvt_f32_u32_e32 v14, v1
	s_branch .LBB158_2966
.LBB158_2964:
	s_mov_b32 s26, -1
                                        ; implicit-def: $vgpr14
	s_branch .LBB158_2969
.LBB158_2965:
	s_mov_b32 s26, -1
                                        ; implicit-def: $vgpr14
.LBB158_2966:
	s_delay_alu instid0(SALU_CYCLE_1)
	s_and_not1_b32 vcc_lo, exec_lo, s26
	s_cbranch_vccnz .LBB158_2968
; %bb.2967:
	global_load_u16 v1, v[24:25], off
	s_wait_loadcnt 0x0
	s_wait_xcnt 0x1
	v_cvt_f32_u32_e32 v14, v1
.LBB158_2968:
	s_mov_b32 s26, 0
.LBB158_2969:
	s_delay_alu instid0(SALU_CYCLE_1)
	s_and_not1_b32 vcc_lo, exec_lo, s26
	s_cbranch_vccnz .LBB158_2975
; %bb.2970:
	global_load_u8 v1, v[24:25], off
	s_mov_b32 s26, 0
	s_mov_b32 s27, exec_lo
	s_wait_loadcnt 0x0
	v_cmpx_lt_i16_e32 0x7f, v1
	s_xor_b32 s27, exec_lo, s27
	s_cbranch_execnz .LBB158_3001
; %bb.2971:
	s_or_saveexec_b32 s27, s27
	v_mov_b32_e32 v14, 0x7f800001
	s_xor_b32 exec_lo, exec_lo, s27
	s_cbranch_execnz .LBB158_3004
.LBB158_2972:
	s_or_b32 exec_lo, exec_lo, s27
	s_and_saveexec_b32 s27, s26
	s_cbranch_execz .LBB158_2974
.LBB158_2973:
	v_and_b32_e32 v3, 0xffff, v1
	s_delay_alu instid0(VALU_DEP_1) | instskip(SKIP_1) | instid1(VALU_DEP_2)
	v_dual_lshlrev_b32 v1, 24, v1 :: v_dual_bitop2_b32 v7, 7, v3 bitop3:0x40
	v_bfe_u32 v15, v3, 3, 4
	v_and_b32_e32 v1, 0x80000000, v1
	s_delay_alu instid0(VALU_DEP_3) | instskip(NEXT) | instid1(VALU_DEP_3)
	v_clz_i32_u32_e32 v11, v7
	v_cmp_eq_u32_e32 vcc_lo, 0, v15
	s_delay_alu instid0(VALU_DEP_2) | instskip(NEXT) | instid1(VALU_DEP_1)
	v_min_u32_e32 v11, 32, v11
	v_subrev_nc_u32_e32 v14, 28, v11
	v_sub_nc_u32_e32 v11, 29, v11
	s_delay_alu instid0(VALU_DEP_2) | instskip(NEXT) | instid1(VALU_DEP_2)
	v_lshlrev_b32_e32 v3, v14, v3
	v_cndmask_b32_e32 v11, v15, v11, vcc_lo
	s_delay_alu instid0(VALU_DEP_2) | instskip(NEXT) | instid1(VALU_DEP_1)
	v_and_b32_e32 v3, 7, v3
	v_cndmask_b32_e32 v3, v7, v3, vcc_lo
	s_delay_alu instid0(VALU_DEP_3) | instskip(NEXT) | instid1(VALU_DEP_2)
	v_lshl_add_u32 v7, v11, 23, 0x3b800000
	v_lshlrev_b32_e32 v3, 20, v3
	s_delay_alu instid0(VALU_DEP_1)
	v_or3_b32 v14, v1, v7, v3
.LBB158_2974:
	s_or_b32 exec_lo, exec_lo, s27
.LBB158_2975:
	v_mov_b32_e32 v18, 0
	s_mov_b32 s26, -1
.LBB158_2976:
	s_mov_b32 s27, 0
.LBB158_2977:
	s_delay_alu instid0(SALU_CYCLE_1)
	s_and_b32 vcc_lo, exec_lo, s27
	s_cbranch_vccnz .LBB158_2988
; %bb.2978:
	s_and_b32 vcc_lo, exec_lo, s21
	s_cbranch_vccnz .LBB158_3049
.LBB158_2979:
	s_and_not1_b32 vcc_lo, exec_lo, s23
	s_cbranch_vccnz .LBB158_2981
.LBB158_2980:
	global_load_u8 v1, v[24:25], off
	v_mov_b32_e32 v18, 0
	s_mov_b32 s26, -1
	s_wait_loadcnt 0x0
	v_cmp_ne_u16_e32 vcc_lo, 0, v1
	s_wait_xcnt 0x1
	v_cndmask_b32_e64 v14, 0, 1.0, vcc_lo
.LBB158_2981:
	s_mov_b32 s15, 0
.LBB158_2982:
	s_delay_alu instid0(SALU_CYCLE_1)
	s_and_b32 vcc_lo, exec_lo, s15
	s_cbranch_vccz .LBB158_3065
; %bb.2983:
	s_and_b32 s15, 0xffff, s2
	s_delay_alu instid0(SALU_CYCLE_1)
	s_cmp_lt_i32 s15, 5
	s_cbranch_scc1 .LBB158_2996
; %bb.2984:
	s_cmp_lt_i32 s15, 8
	s_cbranch_scc1 .LBB158_2997
; %bb.2985:
	;; [unrolled: 3-line block ×3, first 2 shown]
	s_cmp_gt_i32 s15, 9
	s_cbranch_scc0 .LBB158_3005
; %bb.2987:
	global_load_b128 v[28:31], v[24:25], off
	s_mov_b32 s21, 0
	s_wait_loadcnt 0x0
	s_wait_xcnt 0x1
	v_cvt_f32_f64_e32 v14, v[28:29]
	v_cvt_f32_f64_e32 v18, v[30:31]
	s_branch .LBB158_3006
.LBB158_2988:
	s_cmp_gt_i32 s15, 22
	s_cbranch_scc0 .LBB158_2998
; %bb.2989:
	s_cmp_lt_i32 s15, 24
	s_cbranch_scc1 .LBB158_3000
; %bb.2990:
	s_cmp_gt_i32 s15, 24
	s_cbranch_scc0 .LBB158_3017
; %bb.2991:
	global_load_u8 v1, v[24:25], off
	s_mov_b32 s26, exec_lo
	s_wait_loadcnt 0x0
	v_cmpx_lt_i16_e32 0x7f, v1
	s_xor_b32 s26, exec_lo, s26
	s_cbranch_execnz .LBB158_3077
; %bb.2992:
	s_or_saveexec_b32 s26, s26
	v_mov_b32_e32 v14, 0x7f800001
	s_xor_b32 exec_lo, exec_lo, s26
	s_cbranch_execnz .LBB158_3080
.LBB158_2993:
	s_or_b32 exec_lo, exec_lo, s26
	s_and_saveexec_b32 s26, s23
	s_cbranch_execz .LBB158_2995
.LBB158_2994:
	v_and_b32_e32 v3, 0xffff, v1
	s_delay_alu instid0(VALU_DEP_1) | instskip(SKIP_1) | instid1(VALU_DEP_2)
	v_dual_lshlrev_b32 v1, 24, v1 :: v_dual_bitop2_b32 v7, 3, v3 bitop3:0x40
	v_bfe_u32 v15, v3, 2, 5
	v_and_b32_e32 v1, 0x80000000, v1
	s_delay_alu instid0(VALU_DEP_3) | instskip(NEXT) | instid1(VALU_DEP_3)
	v_clz_i32_u32_e32 v11, v7
	v_cmp_eq_u32_e32 vcc_lo, 0, v15
	s_delay_alu instid0(VALU_DEP_2) | instskip(NEXT) | instid1(VALU_DEP_1)
	v_min_u32_e32 v11, 32, v11
	v_subrev_nc_u32_e32 v14, 29, v11
	v_sub_nc_u32_e32 v11, 30, v11
	s_delay_alu instid0(VALU_DEP_2) | instskip(NEXT) | instid1(VALU_DEP_2)
	v_lshlrev_b32_e32 v3, v14, v3
	v_cndmask_b32_e32 v11, v15, v11, vcc_lo
	s_delay_alu instid0(VALU_DEP_2) | instskip(NEXT) | instid1(VALU_DEP_1)
	v_and_b32_e32 v3, 3, v3
	v_cndmask_b32_e32 v3, v7, v3, vcc_lo
	s_delay_alu instid0(VALU_DEP_3) | instskip(NEXT) | instid1(VALU_DEP_2)
	v_lshl_add_u32 v7, v11, 23, 0x37800000
	v_lshlrev_b32_e32 v3, 21, v3
	s_delay_alu instid0(VALU_DEP_1)
	v_or3_b32 v14, v1, v7, v3
.LBB158_2995:
	s_or_b32 exec_lo, exec_lo, s26
	s_mov_b32 s23, 0
	s_branch .LBB158_3018
.LBB158_2996:
	s_mov_b32 s21, -1
                                        ; implicit-def: $vgpr18
                                        ; implicit-def: $vgpr14
	s_branch .LBB158_3037
.LBB158_2997:
	s_mov_b32 s21, -1
                                        ; implicit-def: $vgpr18
                                        ; implicit-def: $vgpr14
	s_branch .LBB158_3012
.LBB158_2998:
	s_mov_b32 s23, -1
                                        ; implicit-def: $vgpr14
	s_branch .LBB158_3024
.LBB158_2999:
	s_mov_b32 s21, -1
                                        ; implicit-def: $vgpr18
                                        ; implicit-def: $vgpr14
	s_branch .LBB158_3009
.LBB158_3000:
	s_mov_b32 s23, -1
                                        ; implicit-def: $vgpr14
	s_branch .LBB158_3021
.LBB158_3001:
	s_mov_b32 s26, -1
	s_mov_b32 s28, exec_lo
	v_cmpx_eq_u16_e32 0x80, v1
; %bb.3002:
	s_xor_b32 s26, exec_lo, -1
; %bb.3003:
	s_or_b32 exec_lo, exec_lo, s28
	s_delay_alu instid0(SALU_CYCLE_1)
	s_and_b32 s26, s26, exec_lo
	s_or_saveexec_b32 s27, s27
	v_mov_b32_e32 v14, 0x7f800001
	s_xor_b32 exec_lo, exec_lo, s27
	s_cbranch_execz .LBB158_2972
.LBB158_3004:
	v_cmp_ne_u16_e32 vcc_lo, 0, v1
	v_mov_b32_e32 v14, 0
	s_and_not1_b32 s26, s26, exec_lo
	s_and_b32 s28, vcc_lo, exec_lo
	s_delay_alu instid0(SALU_CYCLE_1)
	s_or_b32 s26, s26, s28
	s_or_b32 exec_lo, exec_lo, s27
	s_and_saveexec_b32 s27, s26
	s_cbranch_execnz .LBB158_2973
	s_branch .LBB158_2974
.LBB158_3005:
	s_mov_b32 s21, -1
                                        ; implicit-def: $vgpr18
                                        ; implicit-def: $vgpr14
.LBB158_3006:
	s_delay_alu instid0(SALU_CYCLE_1)
	s_and_not1_b32 vcc_lo, exec_lo, s21
	s_cbranch_vccnz .LBB158_3008
; %bb.3007:
	global_load_b64 v[14:15], v[24:25], off
	s_wait_loadcnt 0x0
	v_mov_b32_e32 v18, v15
.LBB158_3008:
	s_mov_b32 s21, 0
.LBB158_3009:
	s_delay_alu instid0(SALU_CYCLE_1)
	s_and_not1_b32 vcc_lo, exec_lo, s21
	s_cbranch_vccnz .LBB158_3011
; %bb.3010:
	global_load_b32 v1, v[24:25], off
	s_wait_loadcnt 0x0
	v_lshrrev_b32_e32 v3, 16, v1
	s_wait_xcnt 0x1
	v_cvt_f32_f16_e32 v14, v1
	s_delay_alu instid0(VALU_DEP_2)
	v_cvt_f32_f16_e32 v18, v3
.LBB158_3011:
	s_mov_b32 s21, 0
.LBB158_3012:
	s_delay_alu instid0(SALU_CYCLE_1)
	s_and_not1_b32 vcc_lo, exec_lo, s21
	s_cbranch_vccnz .LBB158_3036
; %bb.3013:
	s_cmp_lt_i32 s15, 6
	s_cbranch_scc1 .LBB158_3016
; %bb.3014:
	s_cmp_gt_i32 s15, 6
	s_cbranch_scc0 .LBB158_3029
; %bb.3015:
	global_load_b64 v[14:15], v[24:25], off
	s_mov_b32 s21, 0
	s_wait_loadcnt 0x0
	v_cvt_f32_f64_e32 v14, v[14:15]
	s_branch .LBB158_3030
.LBB158_3016:
	s_mov_b32 s21, -1
                                        ; implicit-def: $vgpr14
	s_branch .LBB158_3033
.LBB158_3017:
	s_mov_b32 s23, -1
                                        ; implicit-def: $vgpr14
.LBB158_3018:
	s_delay_alu instid0(SALU_CYCLE_1)
	s_and_b32 vcc_lo, exec_lo, s23
	s_cbranch_vccz .LBB158_3020
; %bb.3019:
	global_load_u8 v1, v[24:25], off
	s_wait_loadcnt 0x0
	v_lshlrev_b32_e32 v1, 24, v1
	s_delay_alu instid0(VALU_DEP_1) | instskip(NEXT) | instid1(VALU_DEP_1)
	v_and_b32_e32 v3, 0x7f000000, v1
	v_clz_i32_u32_e32 v7, v3
	s_wait_xcnt 0x1
	v_add_nc_u32_e32 v14, 0x1000000, v3
	v_cmp_ne_u32_e32 vcc_lo, 0, v3
	s_delay_alu instid0(VALU_DEP_3) | instskip(NEXT) | instid1(VALU_DEP_1)
	v_min_u32_e32 v7, 32, v7
	v_sub_nc_u32_e64 v7, v7, 4 clamp
	s_delay_alu instid0(VALU_DEP_1) | instskip(SKIP_1) | instid1(VALU_DEP_2)
	v_lshlrev_b32_e32 v11, v7, v3
	v_lshlrev_b32_e32 v7, 23, v7
	v_lshrrev_b32_e32 v11, 4, v11
	s_delay_alu instid0(VALU_DEP_1) | instskip(NEXT) | instid1(VALU_DEP_1)
	v_dual_sub_nc_u32 v7, v11, v7 :: v_dual_ashrrev_i32 v11, 8, v14
	v_add_nc_u32_e32 v7, 0x3c000000, v7
	s_delay_alu instid0(VALU_DEP_1) | instskip(NEXT) | instid1(VALU_DEP_1)
	v_and_or_b32 v7, 0x7f800000, v11, v7
	v_cndmask_b32_e32 v3, 0, v7, vcc_lo
	s_delay_alu instid0(VALU_DEP_1)
	v_and_or_b32 v14, 0x80000000, v1, v3
.LBB158_3020:
	s_mov_b32 s23, 0
.LBB158_3021:
	s_delay_alu instid0(SALU_CYCLE_1)
	s_and_not1_b32 vcc_lo, exec_lo, s23
	s_cbranch_vccnz .LBB158_3023
; %bb.3022:
	global_load_u8 v1, v[24:25], off
	s_wait_loadcnt 0x0
	v_lshlrev_b32_e32 v3, 25, v1
	v_lshlrev_b16 v1, 8, v1
	s_delay_alu instid0(VALU_DEP_1) | instskip(SKIP_1) | instid1(VALU_DEP_2)
	v_and_or_b32 v11, 0x7f00, v1, 0.5
	v_bfe_i32 v1, v1, 0, 16
	v_add_f32_e32 v11, -0.5, v11
	v_lshrrev_b32_e32 v7, 4, v3
	v_cmp_gt_u32_e32 vcc_lo, 0x8000000, v3
	s_delay_alu instid0(VALU_DEP_2) | instskip(NEXT) | instid1(VALU_DEP_1)
	v_or_b32_e32 v7, 0x70000000, v7
	v_mul_f32_e32 v7, 0x7800000, v7
	s_delay_alu instid0(VALU_DEP_1) | instskip(SKIP_1) | instid1(VALU_DEP_1)
	v_cndmask_b32_e32 v3, v7, v11, vcc_lo
	s_wait_xcnt 0x1
	v_and_or_b32 v14, 0x80000000, v1, v3
.LBB158_3023:
	s_mov_b32 s23, 0
	s_mov_b32 s26, -1
.LBB158_3024:
	s_and_not1_b32 vcc_lo, exec_lo, s23
	s_mov_b32 s23, 0
	s_cbranch_vccnz .LBB158_3048
; %bb.3025:
	s_cmp_gt_i32 s15, 14
	s_cbranch_scc0 .LBB158_3028
; %bb.3026:
	s_cmp_eq_u32 s15, 15
	s_cbranch_scc0 .LBB158_3044
; %bb.3027:
	global_load_u16 v1, v[24:25], off
	s_mov_b32 s21, 0
	s_mov_b32 s26, -1
	s_wait_loadcnt 0x0
	s_wait_xcnt 0x1
	v_lshlrev_b32_e32 v14, 16, v1
	s_branch .LBB158_3046
.LBB158_3028:
	s_mov_b32 s23, -1
	s_branch .LBB158_3045
.LBB158_3029:
	s_mov_b32 s21, -1
                                        ; implicit-def: $vgpr14
.LBB158_3030:
	s_delay_alu instid0(SALU_CYCLE_1)
	s_and_not1_b32 vcc_lo, exec_lo, s21
	s_cbranch_vccnz .LBB158_3032
; %bb.3031:
	global_load_b32 v14, v[24:25], off
.LBB158_3032:
	s_mov_b32 s21, 0
.LBB158_3033:
	s_delay_alu instid0(SALU_CYCLE_1)
	s_and_not1_b32 vcc_lo, exec_lo, s21
	s_cbranch_vccnz .LBB158_3035
; %bb.3034:
	global_load_u16 v1, v[24:25], off
	s_wait_loadcnt 0x0
	s_wait_xcnt 0x1
	v_cvt_f32_f16_e32 v14, v1
.LBB158_3035:
	v_mov_b32_e32 v18, 0
.LBB158_3036:
	s_mov_b32 s21, 0
.LBB158_3037:
	s_delay_alu instid0(SALU_CYCLE_1)
	s_and_not1_b32 vcc_lo, exec_lo, s21
	s_cbranch_vccnz .LBB158_3064
; %bb.3038:
	s_cmp_lt_i32 s15, 2
	s_cbranch_scc1 .LBB158_3042
; %bb.3039:
	s_cmp_lt_i32 s15, 3
	s_cbranch_scc1 .LBB158_3043
; %bb.3040:
	s_cmp_gt_i32 s15, 3
	s_cbranch_scc0 .LBB158_3050
; %bb.3041:
	s_wait_loadcnt 0x0
	global_load_b64 v[14:15], v[24:25], off
	s_mov_b32 s21, 0
	s_wait_loadcnt 0x0
	v_xor_b32_e32 v1, v14, v15
	v_cls_i32_e32 v3, v15
	s_delay_alu instid0(VALU_DEP_2) | instskip(NEXT) | instid1(VALU_DEP_1)
	v_ashrrev_i32_e32 v1, 31, v1
	v_add_nc_u32_e32 v1, 32, v1
	s_delay_alu instid0(VALU_DEP_1) | instskip(NEXT) | instid1(VALU_DEP_1)
	v_add_min_u32_e64 v1, v3, -1, v1
	v_lshlrev_b64_e32 v[14:15], v1, v[14:15]
	v_sub_nc_u32_e32 v1, 32, v1
	s_delay_alu instid0(VALU_DEP_2) | instskip(NEXT) | instid1(VALU_DEP_1)
	v_min_u32_e32 v3, 1, v14
	v_or_b32_e32 v3, v15, v3
	s_delay_alu instid0(VALU_DEP_1) | instskip(NEXT) | instid1(VALU_DEP_1)
	v_cvt_f32_i32_e32 v3, v3
	v_ldexp_f32 v14, v3, v1
	s_branch .LBB158_3051
.LBB158_3042:
	s_mov_b32 s21, -1
                                        ; implicit-def: $vgpr14
	s_branch .LBB158_3057
.LBB158_3043:
	s_mov_b32 s21, -1
                                        ; implicit-def: $vgpr14
	s_branch .LBB158_3054
.LBB158_3044:
	s_mov_b32 s21, -1
.LBB158_3045:
                                        ; implicit-def: $vgpr14
.LBB158_3046:
	s_and_b32 vcc_lo, exec_lo, s23
	s_mov_b32 s23, 0
	s_cbranch_vccz .LBB158_3048
; %bb.3047:
	s_cmp_lg_u32 s15, 11
	s_mov_b32 s23, -1
	s_cselect_b32 s21, -1, 0
.LBB158_3048:
	v_mov_b32_e32 v18, 0
	s_and_b32 vcc_lo, exec_lo, s21
	s_cbranch_vccz .LBB158_2979
.LBB158_3049:
	s_or_b32 s22, s22, exec_lo
	s_trap 2
	s_cbranch_execz .LBB158_2980
	s_branch .LBB158_2981
.LBB158_3050:
	s_mov_b32 s21, -1
                                        ; implicit-def: $vgpr14
.LBB158_3051:
	s_delay_alu instid0(SALU_CYCLE_1)
	s_and_not1_b32 vcc_lo, exec_lo, s21
	s_cbranch_vccnz .LBB158_3053
; %bb.3052:
	global_load_b32 v1, v[24:25], off
	s_wait_loadcnt 0x0
	s_wait_xcnt 0x1
	v_cvt_f32_i32_e32 v14, v1
.LBB158_3053:
	s_mov_b32 s21, 0
.LBB158_3054:
	s_delay_alu instid0(SALU_CYCLE_1)
	s_and_not1_b32 vcc_lo, exec_lo, s21
	s_cbranch_vccnz .LBB158_3056
; %bb.3055:
	global_load_i16 v1, v[24:25], off
	s_wait_loadcnt 0x0
	s_wait_xcnt 0x1
	v_cvt_f32_i32_e32 v14, v1
.LBB158_3056:
	s_mov_b32 s21, 0
.LBB158_3057:
	s_delay_alu instid0(SALU_CYCLE_1)
	s_and_not1_b32 vcc_lo, exec_lo, s21
	s_cbranch_vccnz .LBB158_3063
; %bb.3058:
	s_cmp_gt_i32 s15, 0
	s_mov_b32 s15, 0
	s_cbranch_scc0 .LBB158_3060
; %bb.3059:
	global_load_i8 v1, v[24:25], off
	s_wait_loadcnt 0x0
	s_wait_xcnt 0x1
	v_cvt_f32_i32_e32 v14, v1
	s_branch .LBB158_3061
.LBB158_3060:
	s_mov_b32 s15, -1
                                        ; implicit-def: $vgpr14
.LBB158_3061:
	s_delay_alu instid0(SALU_CYCLE_1)
	s_and_not1_b32 vcc_lo, exec_lo, s15
	s_cbranch_vccnz .LBB158_3063
; %bb.3062:
	global_load_u8 v1, v[24:25], off
	s_wait_loadcnt 0x0
	s_wait_xcnt 0x1
	v_cvt_f32_ubyte0_e32 v14, v1
.LBB158_3063:
	v_mov_b32_e32 v18, 0
.LBB158_3064:
	s_mov_b32 s26, -1
.LBB158_3065:
	s_delay_alu instid0(SALU_CYCLE_1)
	s_and_not1_b32 vcc_lo, exec_lo, s26
	s_cbranch_vccnz .LBB158_4181
; %bb.3066:
	v_add_nc_u32_e32 v28, s13, v20
	s_cmp_lt_i32 s3, 11
	s_delay_alu instid0(VALU_DEP_1) | instskip(SKIP_1) | instid1(VALU_DEP_1)
	v_ashrrev_i32_e32 v29, 31, v28
	s_wait_xcnt 0x0
	v_add_nc_u64_e32 v[24:25], s[8:9], v[28:29]
	s_cbranch_scc1 .LBB158_3073
; %bb.3067:
	s_and_b32 s15, 0xffff, s3
	s_mov_b32 s23, 0
	s_cmp_gt_i32 s15, 25
	s_cbranch_scc0 .LBB158_3074
; %bb.3068:
	s_cmp_gt_i32 s15, 28
	s_cbranch_scc0 .LBB158_3075
; %bb.3069:
	;; [unrolled: 3-line block ×4, first 2 shown]
	s_cmp_eq_u32 s15, 46
	s_mov_b32 s27, 0
	s_cbranch_scc0 .LBB158_3084
; %bb.3072:
	global_load_b32 v1, v[24:25], off
	s_mov_b32 s21, 0
	s_mov_b32 s26, -1
	s_wait_loadcnt 0x0
	v_and_b32_e32 v21, 0xffff0000, v1
	v_lshlrev_b32_e32 v20, 16, v1
	s_branch .LBB158_3086
.LBB158_3073:
	s_mov_b32 s15, -1
	s_mov_b32 s26, 0
                                        ; implicit-def: $vgpr21
	s_branch .LBB158_3120
.LBB158_3074:
	s_mov_b32 s27, -1
	s_mov_b32 s26, 0
	s_mov_b32 s21, 0
                                        ; implicit-def: $vgpr21
	s_branch .LBB158_3115
.LBB158_3075:
	s_mov_b32 s27, -1
	s_mov_b32 s26, 0
	s_mov_b32 s21, 0
                                        ; implicit-def: $vgpr21
	s_branch .LBB158_3098
.LBB158_3076:
	s_mov_b32 s27, -1
	s_mov_b32 s26, 0
	s_mov_b32 s21, 0
                                        ; implicit-def: $vgpr21
	s_branch .LBB158_3092
.LBB158_3077:
	s_mov_b32 s23, -1
	s_mov_b32 s27, exec_lo
	v_cmpx_eq_u16_e32 0x80, v1
; %bb.3078:
	s_xor_b32 s23, exec_lo, -1
; %bb.3079:
	s_or_b32 exec_lo, exec_lo, s27
	s_delay_alu instid0(SALU_CYCLE_1)
	s_and_b32 s23, s23, exec_lo
	s_or_saveexec_b32 s26, s26
	v_mov_b32_e32 v14, 0x7f800001
	s_xor_b32 exec_lo, exec_lo, s26
	s_cbranch_execz .LBB158_2993
.LBB158_3080:
	v_cmp_ne_u16_e32 vcc_lo, 0, v1
	v_mov_b32_e32 v14, 0
	s_and_not1_b32 s23, s23, exec_lo
	s_and_b32 s27, vcc_lo, exec_lo
	s_delay_alu instid0(SALU_CYCLE_1)
	s_or_b32 s23, s23, s27
	s_or_b32 exec_lo, exec_lo, s26
	s_and_saveexec_b32 s26, s23
	s_cbranch_execnz .LBB158_2994
	s_branch .LBB158_2995
.LBB158_3081:
	s_mov_b32 s27, -1
	s_mov_b32 s26, 0
	s_mov_b32 s21, 0
	s_branch .LBB158_3085
.LBB158_3082:
	v_bfe_u32 v4, v2, 21, 1
	s_mov_b32 s44, exec_lo
	s_delay_alu instid0(VALU_DEP_1) | instskip(NEXT) | instid1(VALU_DEP_1)
	v_add3_u32 v4, v2, v4, 0x88fffff
	v_lshrrev_b32_e32 v4, 21, v4
	s_and_not1_saveexec_b32 s45, s45
	s_cbranch_execz .LBB158_1519
.LBB158_3083:
	v_add_f32_e64 v4, 0x42800000, |v2|
	s_and_not1_b32 s44, s44, exec_lo
	s_delay_alu instid0(VALU_DEP_1) | instskip(NEXT) | instid1(VALU_DEP_1)
	v_and_b32_e32 v4, 0xff, v4
	v_cmp_ne_u32_e32 vcc_lo, 0, v4
	s_and_b32 s46, vcc_lo, exec_lo
	s_delay_alu instid0(SALU_CYCLE_1)
	s_or_b32 s44, s44, s46
	s_or_b32 exec_lo, exec_lo, s45
	v_mov_b32_e32 v5, 0
	s_and_saveexec_b32 s45, s44
	s_cbranch_execnz .LBB158_1520
	s_branch .LBB158_1521
.LBB158_3084:
	s_mov_b32 s21, -1
	s_mov_b32 s26, 0
.LBB158_3085:
                                        ; implicit-def: $vgpr21
.LBB158_3086:
	s_and_b32 vcc_lo, exec_lo, s27
	s_cbranch_vccz .LBB158_3091
; %bb.3087:
	s_cmp_eq_u32 s15, 44
	s_cbranch_scc0 .LBB158_3089
; %bb.3088:
	global_load_u8 v1, v[24:25], off
	s_mov_b32 s21, 0
	s_mov_b32 s26, -1
	s_wait_loadcnt 0x0
	v_lshlrev_b32_e32 v3, 23, v1
	v_cmp_ne_u32_e32 vcc_lo, 0xff, v1
	s_delay_alu instid0(VALU_DEP_2) | instskip(SKIP_1) | instid1(VALU_DEP_2)
	v_cndmask_b32_e32 v3, 0x7f800001, v3, vcc_lo
	v_cmp_ne_u32_e32 vcc_lo, 0, v1
	v_cndmask_b32_e32 v20, 0x400000, v3, vcc_lo
	s_branch .LBB158_3090
.LBB158_3089:
	s_mov_b32 s21, -1
                                        ; implicit-def: $vgpr20
.LBB158_3090:
	v_mov_b32_e32 v21, 0
.LBB158_3091:
	s_mov_b32 s27, 0
.LBB158_3092:
	s_delay_alu instid0(SALU_CYCLE_1)
	s_and_b32 vcc_lo, exec_lo, s27
	s_cbranch_vccz .LBB158_3097
; %bb.3093:
	s_cmp_eq_u32 s15, 29
	s_cbranch_scc0 .LBB158_3095
; %bb.3094:
	global_load_b64 v[20:21], v[24:25], off
	s_mov_b32 s21, 0
	s_mov_b32 s26, -1
	s_wait_loadcnt 0x0
	v_clz_i32_u32_e32 v1, v21
	s_delay_alu instid0(VALU_DEP_1) | instskip(NEXT) | instid1(VALU_DEP_1)
	v_min_u32_e32 v1, 32, v1
	v_lshlrev_b64_e32 v[20:21], v1, v[20:21]
	v_sub_nc_u32_e32 v1, 32, v1
	s_delay_alu instid0(VALU_DEP_2) | instskip(NEXT) | instid1(VALU_DEP_1)
	v_min_u32_e32 v3, 1, v20
	v_or_b32_e32 v3, v21, v3
	s_delay_alu instid0(VALU_DEP_1) | instskip(NEXT) | instid1(VALU_DEP_1)
	v_cvt_f32_u32_e32 v3, v3
	v_ldexp_f32 v20, v3, v1
	s_branch .LBB158_3096
.LBB158_3095:
	s_mov_b32 s21, -1
                                        ; implicit-def: $vgpr20
.LBB158_3096:
	v_mov_b32_e32 v21, 0
.LBB158_3097:
	s_mov_b32 s27, 0
.LBB158_3098:
	s_delay_alu instid0(SALU_CYCLE_1)
	s_and_b32 vcc_lo, exec_lo, s27
	s_cbranch_vccz .LBB158_3114
; %bb.3099:
	s_cmp_lt_i32 s15, 27
	s_cbranch_scc1 .LBB158_3102
; %bb.3100:
	s_cmp_gt_i32 s15, 27
	s_cbranch_scc0 .LBB158_3103
; %bb.3101:
	global_load_b32 v1, v[24:25], off
	s_mov_b32 s26, 0
	s_wait_loadcnt 0x0
	v_cvt_f32_u32_e32 v20, v1
	s_branch .LBB158_3104
.LBB158_3102:
	s_mov_b32 s26, -1
                                        ; implicit-def: $vgpr20
	s_branch .LBB158_3107
.LBB158_3103:
	s_mov_b32 s26, -1
                                        ; implicit-def: $vgpr20
.LBB158_3104:
	s_delay_alu instid0(SALU_CYCLE_1)
	s_and_not1_b32 vcc_lo, exec_lo, s26
	s_cbranch_vccnz .LBB158_3106
; %bb.3105:
	global_load_u16 v1, v[24:25], off
	s_wait_loadcnt 0x0
	v_cvt_f32_u32_e32 v20, v1
.LBB158_3106:
	s_mov_b32 s26, 0
.LBB158_3107:
	s_delay_alu instid0(SALU_CYCLE_1)
	s_and_not1_b32 vcc_lo, exec_lo, s26
	s_cbranch_vccnz .LBB158_3113
; %bb.3108:
	global_load_u8 v1, v[24:25], off
	s_mov_b32 s26, 0
	s_mov_b32 s27, exec_lo
	s_wait_loadcnt 0x0
	v_cmpx_lt_i16_e32 0x7f, v1
	s_xor_b32 s27, exec_lo, s27
	s_cbranch_execnz .LBB158_3139
; %bb.3109:
	s_or_saveexec_b32 s27, s27
	v_mov_b32_e32 v20, 0x7f800001
	s_xor_b32 exec_lo, exec_lo, s27
	s_cbranch_execnz .LBB158_3142
.LBB158_3110:
	s_or_b32 exec_lo, exec_lo, s27
	s_and_saveexec_b32 s27, s26
	s_cbranch_execz .LBB158_3112
.LBB158_3111:
	v_and_b32_e32 v3, 0xffff, v1
	s_delay_alu instid0(VALU_DEP_1) | instskip(SKIP_1) | instid1(VALU_DEP_2)
	v_dual_lshlrev_b32 v1, 24, v1 :: v_dual_bitop2_b32 v7, 7, v3 bitop3:0x40
	v_bfe_u32 v19, v3, 3, 4
	v_and_b32_e32 v1, 0x80000000, v1
	s_delay_alu instid0(VALU_DEP_3) | instskip(NEXT) | instid1(VALU_DEP_3)
	v_clz_i32_u32_e32 v11, v7
	v_cmp_eq_u32_e32 vcc_lo, 0, v19
	s_delay_alu instid0(VALU_DEP_2) | instskip(NEXT) | instid1(VALU_DEP_1)
	v_min_u32_e32 v11, 32, v11
	v_subrev_nc_u32_e32 v15, 28, v11
	v_sub_nc_u32_e32 v11, 29, v11
	s_delay_alu instid0(VALU_DEP_2) | instskip(NEXT) | instid1(VALU_DEP_2)
	v_lshlrev_b32_e32 v3, v15, v3
	v_cndmask_b32_e32 v11, v19, v11, vcc_lo
	s_delay_alu instid0(VALU_DEP_2) | instskip(NEXT) | instid1(VALU_DEP_1)
	v_and_b32_e32 v3, 7, v3
	v_cndmask_b32_e32 v3, v7, v3, vcc_lo
	s_delay_alu instid0(VALU_DEP_3) | instskip(NEXT) | instid1(VALU_DEP_2)
	v_lshl_add_u32 v7, v11, 23, 0x3b800000
	v_lshlrev_b32_e32 v3, 20, v3
	s_delay_alu instid0(VALU_DEP_1)
	v_or3_b32 v20, v1, v7, v3
.LBB158_3112:
	s_or_b32 exec_lo, exec_lo, s27
.LBB158_3113:
	v_mov_b32_e32 v21, 0
	s_mov_b32 s26, -1
.LBB158_3114:
	s_mov_b32 s27, 0
.LBB158_3115:
	s_delay_alu instid0(SALU_CYCLE_1)
	s_and_b32 vcc_lo, exec_lo, s27
	s_cbranch_vccnz .LBB158_3126
; %bb.3116:
	s_and_b32 vcc_lo, exec_lo, s21
	s_cbranch_vccnz .LBB158_3187
.LBB158_3117:
	s_and_not1_b32 vcc_lo, exec_lo, s23
	s_cbranch_vccnz .LBB158_3119
.LBB158_3118:
	global_load_u8 v1, v[24:25], off
	v_mov_b32_e32 v21, 0
	s_mov_b32 s26, -1
	s_wait_loadcnt 0x0
	v_cmp_ne_u16_e32 vcc_lo, 0, v1
	v_cndmask_b32_e64 v20, 0, 1.0, vcc_lo
.LBB158_3119:
	s_mov_b32 s15, 0
.LBB158_3120:
	s_delay_alu instid0(SALU_CYCLE_1)
	s_and_b32 vcc_lo, exec_lo, s15
	s_cbranch_vccz .LBB158_3203
; %bb.3121:
	s_and_b32 s15, 0xffff, s3
	s_delay_alu instid0(SALU_CYCLE_1)
	s_cmp_lt_i32 s15, 5
	s_cbranch_scc1 .LBB158_3134
; %bb.3122:
	s_cmp_lt_i32 s15, 8
	s_cbranch_scc1 .LBB158_3135
; %bb.3123:
	;; [unrolled: 3-line block ×3, first 2 shown]
	s_cmp_gt_i32 s15, 9
	s_cbranch_scc0 .LBB158_3143
; %bb.3125:
	global_load_b128 v[30:33], v[24:25], off
	s_mov_b32 s21, 0
	s_wait_loadcnt 0x0
	v_cvt_f32_f64_e32 v20, v[30:31]
	v_cvt_f32_f64_e32 v21, v[32:33]
	s_branch .LBB158_3144
.LBB158_3126:
	s_cmp_gt_i32 s15, 22
	s_cbranch_scc0 .LBB158_3136
; %bb.3127:
	s_cmp_lt_i32 s15, 24
	s_cbranch_scc1 .LBB158_3138
; %bb.3128:
	s_cmp_gt_i32 s15, 24
	s_cbranch_scc0 .LBB158_3155
; %bb.3129:
	global_load_u8 v1, v[24:25], off
	s_mov_b32 s26, exec_lo
	s_wait_loadcnt 0x0
	v_cmpx_lt_i16_e32 0x7f, v1
	s_xor_b32 s26, exec_lo, s26
	s_cbranch_execnz .LBB158_3215
; %bb.3130:
	s_or_saveexec_b32 s26, s26
	v_mov_b32_e32 v20, 0x7f800001
	s_xor_b32 exec_lo, exec_lo, s26
	s_cbranch_execnz .LBB158_3218
.LBB158_3131:
	s_or_b32 exec_lo, exec_lo, s26
	s_and_saveexec_b32 s26, s23
	s_cbranch_execz .LBB158_3133
.LBB158_3132:
	v_and_b32_e32 v3, 0xffff, v1
	s_delay_alu instid0(VALU_DEP_1) | instskip(SKIP_1) | instid1(VALU_DEP_2)
	v_dual_lshlrev_b32 v1, 24, v1 :: v_dual_bitop2_b32 v7, 3, v3 bitop3:0x40
	v_bfe_u32 v19, v3, 2, 5
	v_and_b32_e32 v1, 0x80000000, v1
	s_delay_alu instid0(VALU_DEP_3) | instskip(NEXT) | instid1(VALU_DEP_3)
	v_clz_i32_u32_e32 v11, v7
	v_cmp_eq_u32_e32 vcc_lo, 0, v19
	s_delay_alu instid0(VALU_DEP_2) | instskip(NEXT) | instid1(VALU_DEP_1)
	v_min_u32_e32 v11, 32, v11
	v_subrev_nc_u32_e32 v15, 29, v11
	v_sub_nc_u32_e32 v11, 30, v11
	s_delay_alu instid0(VALU_DEP_2) | instskip(NEXT) | instid1(VALU_DEP_2)
	v_lshlrev_b32_e32 v3, v15, v3
	v_cndmask_b32_e32 v11, v19, v11, vcc_lo
	s_delay_alu instid0(VALU_DEP_2) | instskip(NEXT) | instid1(VALU_DEP_1)
	v_and_b32_e32 v3, 3, v3
	v_cndmask_b32_e32 v3, v7, v3, vcc_lo
	s_delay_alu instid0(VALU_DEP_3) | instskip(NEXT) | instid1(VALU_DEP_2)
	v_lshl_add_u32 v7, v11, 23, 0x37800000
	v_lshlrev_b32_e32 v3, 21, v3
	s_delay_alu instid0(VALU_DEP_1)
	v_or3_b32 v20, v1, v7, v3
.LBB158_3133:
	s_or_b32 exec_lo, exec_lo, s26
	s_mov_b32 s23, 0
	s_branch .LBB158_3156
.LBB158_3134:
	s_mov_b32 s21, -1
                                        ; implicit-def: $vgpr21
	s_branch .LBB158_3175
.LBB158_3135:
	s_mov_b32 s21, -1
                                        ; implicit-def: $vgpr21
	s_branch .LBB158_3150
.LBB158_3136:
	s_mov_b32 s23, -1
                                        ; implicit-def: $vgpr20
	s_branch .LBB158_3162
.LBB158_3137:
	s_mov_b32 s21, -1
                                        ; implicit-def: $vgpr21
	s_branch .LBB158_3147
.LBB158_3138:
	s_mov_b32 s23, -1
                                        ; implicit-def: $vgpr20
	s_branch .LBB158_3159
.LBB158_3139:
	s_mov_b32 s26, -1
	s_mov_b32 s28, exec_lo
	v_cmpx_eq_u16_e32 0x80, v1
; %bb.3140:
	s_xor_b32 s26, exec_lo, -1
; %bb.3141:
	s_or_b32 exec_lo, exec_lo, s28
	s_delay_alu instid0(SALU_CYCLE_1)
	s_and_b32 s26, s26, exec_lo
	s_or_saveexec_b32 s27, s27
	v_mov_b32_e32 v20, 0x7f800001
	s_xor_b32 exec_lo, exec_lo, s27
	s_cbranch_execz .LBB158_3110
.LBB158_3142:
	v_cmp_ne_u16_e32 vcc_lo, 0, v1
	v_mov_b32_e32 v20, 0
	s_and_not1_b32 s26, s26, exec_lo
	s_and_b32 s28, vcc_lo, exec_lo
	s_delay_alu instid0(SALU_CYCLE_1)
	s_or_b32 s26, s26, s28
	s_or_b32 exec_lo, exec_lo, s27
	s_and_saveexec_b32 s27, s26
	s_cbranch_execnz .LBB158_3111
	s_branch .LBB158_3112
.LBB158_3143:
	s_mov_b32 s21, -1
                                        ; implicit-def: $vgpr21
.LBB158_3144:
	s_delay_alu instid0(SALU_CYCLE_1)
	s_and_not1_b32 vcc_lo, exec_lo, s21
	s_cbranch_vccnz .LBB158_3146
; %bb.3145:
	global_load_b64 v[20:21], v[24:25], off
.LBB158_3146:
	s_mov_b32 s21, 0
.LBB158_3147:
	s_delay_alu instid0(SALU_CYCLE_1)
	s_and_not1_b32 vcc_lo, exec_lo, s21
	s_cbranch_vccnz .LBB158_3149
; %bb.3148:
	global_load_b32 v1, v[24:25], off
	s_wait_loadcnt 0x0
	v_lshrrev_b32_e32 v3, 16, v1
	v_cvt_f32_f16_e32 v20, v1
	s_delay_alu instid0(VALU_DEP_2)
	v_cvt_f32_f16_e32 v21, v3
.LBB158_3149:
	s_mov_b32 s21, 0
.LBB158_3150:
	s_delay_alu instid0(SALU_CYCLE_1)
	s_and_not1_b32 vcc_lo, exec_lo, s21
	s_cbranch_vccnz .LBB158_3174
; %bb.3151:
	s_cmp_lt_i32 s15, 6
	s_cbranch_scc1 .LBB158_3154
; %bb.3152:
	s_cmp_gt_i32 s15, 6
	s_cbranch_scc0 .LBB158_3167
; %bb.3153:
	s_wait_loadcnt 0x0
	global_load_b64 v[20:21], v[24:25], off
	s_mov_b32 s21, 0
	s_wait_loadcnt 0x0
	v_cvt_f32_f64_e32 v20, v[20:21]
	s_branch .LBB158_3168
.LBB158_3154:
	s_mov_b32 s21, -1
                                        ; implicit-def: $vgpr20
	s_branch .LBB158_3171
.LBB158_3155:
	s_mov_b32 s23, -1
                                        ; implicit-def: $vgpr20
.LBB158_3156:
	s_delay_alu instid0(SALU_CYCLE_1)
	s_and_b32 vcc_lo, exec_lo, s23
	s_cbranch_vccz .LBB158_3158
; %bb.3157:
	global_load_u8 v1, v[24:25], off
	s_wait_loadcnt 0x0
	v_lshlrev_b32_e32 v1, 24, v1
	s_delay_alu instid0(VALU_DEP_1) | instskip(NEXT) | instid1(VALU_DEP_1)
	v_and_b32_e32 v3, 0x7f000000, v1
	v_clz_i32_u32_e32 v7, v3
	v_add_nc_u32_e32 v15, 0x1000000, v3
	v_cmp_ne_u32_e32 vcc_lo, 0, v3
	s_delay_alu instid0(VALU_DEP_3) | instskip(NEXT) | instid1(VALU_DEP_1)
	v_min_u32_e32 v7, 32, v7
	v_sub_nc_u32_e64 v7, v7, 4 clamp
	s_delay_alu instid0(VALU_DEP_1) | instskip(SKIP_1) | instid1(VALU_DEP_2)
	v_lshlrev_b32_e32 v11, v7, v3
	v_lshlrev_b32_e32 v7, 23, v7
	v_lshrrev_b32_e32 v11, 4, v11
	s_delay_alu instid0(VALU_DEP_1) | instskip(SKIP_1) | instid1(VALU_DEP_2)
	v_sub_nc_u32_e32 v7, v11, v7
	v_ashrrev_i32_e32 v11, 8, v15
	v_add_nc_u32_e32 v7, 0x3c000000, v7
	s_delay_alu instid0(VALU_DEP_1) | instskip(NEXT) | instid1(VALU_DEP_1)
	v_and_or_b32 v7, 0x7f800000, v11, v7
	v_cndmask_b32_e32 v3, 0, v7, vcc_lo
	s_delay_alu instid0(VALU_DEP_1)
	v_and_or_b32 v20, 0x80000000, v1, v3
.LBB158_3158:
	s_mov_b32 s23, 0
.LBB158_3159:
	s_delay_alu instid0(SALU_CYCLE_1)
	s_and_not1_b32 vcc_lo, exec_lo, s23
	s_cbranch_vccnz .LBB158_3161
; %bb.3160:
	global_load_u8 v1, v[24:25], off
	s_wait_loadcnt 0x0
	v_lshlrev_b32_e32 v3, 25, v1
	v_lshlrev_b16 v1, 8, v1
	s_delay_alu instid0(VALU_DEP_1) | instskip(SKIP_1) | instid1(VALU_DEP_2)
	v_and_or_b32 v11, 0x7f00, v1, 0.5
	v_bfe_i32 v1, v1, 0, 16
	v_add_f32_e32 v11, -0.5, v11
	v_lshrrev_b32_e32 v7, 4, v3
	v_cmp_gt_u32_e32 vcc_lo, 0x8000000, v3
	s_delay_alu instid0(VALU_DEP_2) | instskip(NEXT) | instid1(VALU_DEP_1)
	v_or_b32_e32 v7, 0x70000000, v7
	v_mul_f32_e32 v7, 0x7800000, v7
	s_delay_alu instid0(VALU_DEP_1) | instskip(NEXT) | instid1(VALU_DEP_1)
	v_cndmask_b32_e32 v3, v7, v11, vcc_lo
	v_and_or_b32 v20, 0x80000000, v1, v3
.LBB158_3161:
	s_mov_b32 s23, 0
	s_mov_b32 s26, -1
.LBB158_3162:
	s_and_not1_b32 vcc_lo, exec_lo, s23
	s_mov_b32 s23, 0
	s_cbranch_vccnz .LBB158_3186
; %bb.3163:
	s_cmp_gt_i32 s15, 14
	s_cbranch_scc0 .LBB158_3166
; %bb.3164:
	s_cmp_eq_u32 s15, 15
	s_cbranch_scc0 .LBB158_3182
; %bb.3165:
	global_load_u16 v1, v[24:25], off
	s_mov_b32 s21, 0
	s_mov_b32 s26, -1
	s_wait_loadcnt 0x0
	v_lshlrev_b32_e32 v20, 16, v1
	s_branch .LBB158_3184
.LBB158_3166:
	s_mov_b32 s23, -1
	s_branch .LBB158_3183
.LBB158_3167:
	s_mov_b32 s21, -1
                                        ; implicit-def: $vgpr20
.LBB158_3168:
	s_delay_alu instid0(SALU_CYCLE_1)
	s_and_not1_b32 vcc_lo, exec_lo, s21
	s_cbranch_vccnz .LBB158_3170
; %bb.3169:
	s_wait_loadcnt 0x0
	global_load_b32 v20, v[24:25], off
.LBB158_3170:
	s_mov_b32 s21, 0
.LBB158_3171:
	s_delay_alu instid0(SALU_CYCLE_1)
	s_and_not1_b32 vcc_lo, exec_lo, s21
	s_cbranch_vccnz .LBB158_3173
; %bb.3172:
	global_load_u16 v1, v[24:25], off
	s_wait_loadcnt 0x0
	v_cvt_f32_f16_e32 v20, v1
.LBB158_3173:
	s_wait_loadcnt 0x0
	v_mov_b32_e32 v21, 0
.LBB158_3174:
	s_mov_b32 s21, 0
.LBB158_3175:
	s_delay_alu instid0(SALU_CYCLE_1)
	s_and_not1_b32 vcc_lo, exec_lo, s21
	s_cbranch_vccnz .LBB158_3202
; %bb.3176:
	s_cmp_lt_i32 s15, 2
	s_cbranch_scc1 .LBB158_3180
; %bb.3177:
	s_cmp_lt_i32 s15, 3
	s_cbranch_scc1 .LBB158_3181
; %bb.3178:
	s_cmp_gt_i32 s15, 3
	s_cbranch_scc0 .LBB158_3188
; %bb.3179:
	s_wait_loadcnt 0x0
	global_load_b64 v[20:21], v[24:25], off
	s_mov_b32 s21, 0
	s_wait_loadcnt 0x0
	v_xor_b32_e32 v1, v20, v21
	v_cls_i32_e32 v3, v21
	s_delay_alu instid0(VALU_DEP_2) | instskip(NEXT) | instid1(VALU_DEP_1)
	v_ashrrev_i32_e32 v1, 31, v1
	v_add_nc_u32_e32 v1, 32, v1
	s_delay_alu instid0(VALU_DEP_1) | instskip(NEXT) | instid1(VALU_DEP_1)
	v_add_min_u32_e64 v1, v3, -1, v1
	v_lshlrev_b64_e32 v[20:21], v1, v[20:21]
	v_sub_nc_u32_e32 v1, 32, v1
	s_delay_alu instid0(VALU_DEP_2) | instskip(NEXT) | instid1(VALU_DEP_1)
	v_min_u32_e32 v3, 1, v20
	v_or_b32_e32 v3, v21, v3
	s_delay_alu instid0(VALU_DEP_1) | instskip(NEXT) | instid1(VALU_DEP_1)
	v_cvt_f32_i32_e32 v3, v3
	v_ldexp_f32 v20, v3, v1
	s_branch .LBB158_3189
.LBB158_3180:
	s_mov_b32 s21, -1
                                        ; implicit-def: $vgpr20
	s_branch .LBB158_3195
.LBB158_3181:
	s_mov_b32 s21, -1
                                        ; implicit-def: $vgpr20
	s_branch .LBB158_3192
.LBB158_3182:
	s_mov_b32 s21, -1
.LBB158_3183:
                                        ; implicit-def: $vgpr20
.LBB158_3184:
	s_and_b32 vcc_lo, exec_lo, s23
	s_mov_b32 s23, 0
	s_cbranch_vccz .LBB158_3186
; %bb.3185:
	s_cmp_lg_u32 s15, 11
	s_mov_b32 s23, -1
	s_cselect_b32 s21, -1, 0
.LBB158_3186:
	v_mov_b32_e32 v21, 0
	s_and_b32 vcc_lo, exec_lo, s21
	s_cbranch_vccz .LBB158_3117
.LBB158_3187:
	s_or_b32 s22, s22, exec_lo
	s_trap 2
	s_cbranch_execz .LBB158_3118
	s_branch .LBB158_3119
.LBB158_3188:
	s_mov_b32 s21, -1
                                        ; implicit-def: $vgpr20
.LBB158_3189:
	s_delay_alu instid0(SALU_CYCLE_1)
	s_and_not1_b32 vcc_lo, exec_lo, s21
	s_cbranch_vccnz .LBB158_3191
; %bb.3190:
	global_load_b32 v1, v[24:25], off
	s_wait_loadcnt 0x0
	v_cvt_f32_i32_e32 v20, v1
.LBB158_3191:
	s_mov_b32 s21, 0
.LBB158_3192:
	s_delay_alu instid0(SALU_CYCLE_1)
	s_and_not1_b32 vcc_lo, exec_lo, s21
	s_cbranch_vccnz .LBB158_3194
; %bb.3193:
	global_load_i16 v1, v[24:25], off
	s_wait_loadcnt 0x0
	v_cvt_f32_i32_e32 v20, v1
.LBB158_3194:
	s_mov_b32 s21, 0
.LBB158_3195:
	s_delay_alu instid0(SALU_CYCLE_1)
	s_and_not1_b32 vcc_lo, exec_lo, s21
	s_cbranch_vccnz .LBB158_3201
; %bb.3196:
	s_cmp_gt_i32 s15, 0
	s_mov_b32 s15, 0
	s_cbranch_scc0 .LBB158_3198
; %bb.3197:
	global_load_i8 v1, v[24:25], off
	s_wait_loadcnt 0x0
	v_cvt_f32_i32_e32 v20, v1
	s_branch .LBB158_3199
.LBB158_3198:
	s_mov_b32 s15, -1
                                        ; implicit-def: $vgpr20
.LBB158_3199:
	s_delay_alu instid0(SALU_CYCLE_1)
	s_and_not1_b32 vcc_lo, exec_lo, s15
	s_cbranch_vccnz .LBB158_3201
; %bb.3200:
	global_load_u8 v1, v[24:25], off
	s_wait_loadcnt 0x0
	v_cvt_f32_ubyte0_e32 v20, v1
.LBB158_3201:
	s_wait_loadcnt 0x0
	v_mov_b32_e32 v21, 0
.LBB158_3202:
	s_mov_b32 s26, -1
.LBB158_3203:
	s_delay_alu instid0(SALU_CYCLE_1)
	s_and_not1_b32 vcc_lo, exec_lo, s26
	s_cbranch_vccnz .LBB158_4181
; %bb.3204:
	v_add_nc_u32_e32 v30, s14, v22
	s_cmp_lt_i32 s0, 11
	s_delay_alu instid0(VALU_DEP_1) | instskip(NEXT) | instid1(VALU_DEP_1)
	v_ashrrev_i32_e32 v31, 31, v30
	v_add_nc_u64_e32 v[22:23], s[10:11], v[30:31]
	s_cbranch_scc1 .LBB158_3211
; %bb.3205:
	s_cmp_gt_i32 s0, 25
	s_mov_b32 s21, 0
	s_cbranch_scc0 .LBB158_3212
; %bb.3206:
	s_cmp_gt_i32 s0, 28
	s_cbranch_scc0 .LBB158_3213
; %bb.3207:
	s_cmp_gt_i32 s0, 43
	;; [unrolled: 3-line block ×3, first 2 shown]
	s_cbranch_scc0 .LBB158_3219
; %bb.3209:
	s_cmp_eq_u32 s0, 46
	s_mov_b32 s26, 0
	s_cbranch_scc0 .LBB158_3220
; %bb.3210:
	global_load_b32 v1, v[22:23], off
	s_mov_b32 s15, 0
	s_mov_b32 s23, -1
	s_wait_loadcnt 0x0
	s_wait_xcnt 0x1
	v_and_b32_e32 v25, 0xffff0000, v1
	v_lshlrev_b32_e32 v24, 16, v1
	s_branch .LBB158_3222
.LBB158_3211:
	s_mov_b32 s15, -1
	s_mov_b32 s23, 0
                                        ; implicit-def: $vgpr25
	s_branch .LBB158_3256
.LBB158_3212:
	s_mov_b32 s26, -1
	s_mov_b32 s23, 0
	s_mov_b32 s15, 0
                                        ; implicit-def: $vgpr25
	s_branch .LBB158_3251
.LBB158_3213:
	s_mov_b32 s26, -1
	s_mov_b32 s23, 0
	s_mov_b32 s15, 0
                                        ; implicit-def: $vgpr25
	s_branch .LBB158_3234
.LBB158_3214:
	s_mov_b32 s26, -1
	s_mov_b32 s23, 0
	s_mov_b32 s15, 0
                                        ; implicit-def: $vgpr25
	s_branch .LBB158_3228
.LBB158_3215:
	s_mov_b32 s23, -1
	s_mov_b32 s27, exec_lo
	v_cmpx_eq_u16_e32 0x80, v1
; %bb.3216:
	s_xor_b32 s23, exec_lo, -1
; %bb.3217:
	s_or_b32 exec_lo, exec_lo, s27
	s_delay_alu instid0(SALU_CYCLE_1)
	s_and_b32 s23, s23, exec_lo
	s_or_saveexec_b32 s26, s26
	v_mov_b32_e32 v20, 0x7f800001
	s_xor_b32 exec_lo, exec_lo, s26
	s_cbranch_execz .LBB158_3131
.LBB158_3218:
	v_cmp_ne_u16_e32 vcc_lo, 0, v1
	v_mov_b32_e32 v20, 0
	s_and_not1_b32 s23, s23, exec_lo
	s_and_b32 s27, vcc_lo, exec_lo
	s_delay_alu instid0(SALU_CYCLE_1)
	s_or_b32 s23, s23, s27
	s_or_b32 exec_lo, exec_lo, s26
	s_and_saveexec_b32 s26, s23
	s_cbranch_execnz .LBB158_3132
	s_branch .LBB158_3133
.LBB158_3219:
	s_mov_b32 s26, -1
	s_mov_b32 s23, 0
	s_mov_b32 s15, 0
	s_branch .LBB158_3221
.LBB158_3220:
	s_mov_b32 s15, -1
	s_mov_b32 s23, 0
.LBB158_3221:
                                        ; implicit-def: $vgpr25
.LBB158_3222:
	s_and_b32 vcc_lo, exec_lo, s26
	s_cbranch_vccz .LBB158_3227
; %bb.3223:
	s_cmp_eq_u32 s0, 44
	s_cbranch_scc0 .LBB158_3225
; %bb.3224:
	global_load_u8 v1, v[22:23], off
	s_mov_b32 s15, 0
	s_mov_b32 s23, -1
	s_wait_loadcnt 0x0
	v_lshlrev_b32_e32 v3, 23, v1
	v_cmp_ne_u32_e32 vcc_lo, 0xff, v1
	s_delay_alu instid0(VALU_DEP_2) | instskip(SKIP_2) | instid1(VALU_DEP_2)
	v_cndmask_b32_e32 v3, 0x7f800001, v3, vcc_lo
	v_cmp_ne_u32_e32 vcc_lo, 0, v1
	s_wait_xcnt 0x1
	v_cndmask_b32_e32 v24, 0x400000, v3, vcc_lo
	s_branch .LBB158_3226
.LBB158_3225:
	s_mov_b32 s15, -1
                                        ; implicit-def: $vgpr24
.LBB158_3226:
	s_wait_xcnt 0x0
	v_mov_b32_e32 v25, 0
.LBB158_3227:
	s_mov_b32 s26, 0
.LBB158_3228:
	s_delay_alu instid0(SALU_CYCLE_1)
	s_and_b32 vcc_lo, exec_lo, s26
	s_cbranch_vccz .LBB158_3233
; %bb.3229:
	s_cmp_eq_u32 s0, 29
	s_cbranch_scc0 .LBB158_3231
; %bb.3230:
	global_load_b64 v[24:25], v[22:23], off
	s_mov_b32 s15, 0
	s_mov_b32 s23, -1
	s_wait_loadcnt 0x0
	v_clz_i32_u32_e32 v1, v25
	s_delay_alu instid0(VALU_DEP_1) | instskip(NEXT) | instid1(VALU_DEP_1)
	v_min_u32_e32 v1, 32, v1
	v_lshlrev_b64_e32 v[24:25], v1, v[24:25]
	v_sub_nc_u32_e32 v1, 32, v1
	s_delay_alu instid0(VALU_DEP_2) | instskip(NEXT) | instid1(VALU_DEP_1)
	v_min_u32_e32 v3, 1, v24
	v_or_b32_e32 v3, v25, v3
	s_delay_alu instid0(VALU_DEP_1) | instskip(NEXT) | instid1(VALU_DEP_1)
	v_cvt_f32_u32_e32 v3, v3
	v_ldexp_f32 v24, v3, v1
	s_branch .LBB158_3232
.LBB158_3231:
	s_mov_b32 s15, -1
                                        ; implicit-def: $vgpr24
.LBB158_3232:
	s_wait_xcnt 0x0
	v_mov_b32_e32 v25, 0
.LBB158_3233:
	s_mov_b32 s26, 0
.LBB158_3234:
	s_delay_alu instid0(SALU_CYCLE_1)
	s_and_b32 vcc_lo, exec_lo, s26
	s_cbranch_vccz .LBB158_3250
; %bb.3235:
	s_cmp_lt_i32 s0, 27
	s_cbranch_scc1 .LBB158_3238
; %bb.3236:
	s_cmp_gt_i32 s0, 27
	s_cbranch_scc0 .LBB158_3239
; %bb.3237:
	global_load_b32 v1, v[22:23], off
	s_mov_b32 s23, 0
	s_wait_loadcnt 0x0
	s_wait_xcnt 0x1
	v_cvt_f32_u32_e32 v24, v1
	s_branch .LBB158_3240
.LBB158_3238:
	s_mov_b32 s23, -1
                                        ; implicit-def: $vgpr24
	s_branch .LBB158_3243
.LBB158_3239:
	s_mov_b32 s23, -1
                                        ; implicit-def: $vgpr24
.LBB158_3240:
	s_delay_alu instid0(SALU_CYCLE_1)
	s_and_not1_b32 vcc_lo, exec_lo, s23
	s_cbranch_vccnz .LBB158_3242
; %bb.3241:
	global_load_u16 v1, v[22:23], off
	s_wait_loadcnt 0x0
	s_wait_xcnt 0x1
	v_cvt_f32_u32_e32 v24, v1
.LBB158_3242:
	s_mov_b32 s23, 0
.LBB158_3243:
	s_delay_alu instid0(SALU_CYCLE_1)
	s_and_not1_b32 vcc_lo, exec_lo, s23
	s_cbranch_vccnz .LBB158_3249
; %bb.3244:
	global_load_u8 v1, v[22:23], off
	s_mov_b32 s23, 0
	s_mov_b32 s26, exec_lo
	s_wait_loadcnt 0x0
	v_cmpx_lt_i16_e32 0x7f, v1
	s_xor_b32 s26, exec_lo, s26
	s_cbranch_execnz .LBB158_3275
; %bb.3245:
	s_or_saveexec_b32 s26, s26
	v_mov_b32_e32 v24, 0x7f800001
	s_xor_b32 exec_lo, exec_lo, s26
	s_cbranch_execnz .LBB158_3278
.LBB158_3246:
	s_or_b32 exec_lo, exec_lo, s26
	s_and_saveexec_b32 s26, s23
	s_cbranch_execz .LBB158_3248
.LBB158_3247:
	v_and_b32_e32 v3, 0xffff, v1
	s_delay_alu instid0(VALU_DEP_1) | instskip(SKIP_1) | instid1(VALU_DEP_2)
	v_dual_lshlrev_b32 v1, 24, v1 :: v_dual_bitop2_b32 v7, 7, v3 bitop3:0x40
	v_bfe_u32 v19, v3, 3, 4
	v_and_b32_e32 v1, 0x80000000, v1
	s_delay_alu instid0(VALU_DEP_3) | instskip(NEXT) | instid1(VALU_DEP_3)
	v_clz_i32_u32_e32 v11, v7
	v_cmp_eq_u32_e32 vcc_lo, 0, v19
	s_delay_alu instid0(VALU_DEP_2) | instskip(NEXT) | instid1(VALU_DEP_1)
	v_min_u32_e32 v11, 32, v11
	v_subrev_nc_u32_e32 v15, 28, v11
	v_sub_nc_u32_e32 v11, 29, v11
	s_delay_alu instid0(VALU_DEP_2) | instskip(NEXT) | instid1(VALU_DEP_2)
	v_lshlrev_b32_e32 v3, v15, v3
	v_cndmask_b32_e32 v11, v19, v11, vcc_lo
	s_delay_alu instid0(VALU_DEP_2) | instskip(NEXT) | instid1(VALU_DEP_1)
	v_and_b32_e32 v3, 7, v3
	v_cndmask_b32_e32 v3, v7, v3, vcc_lo
	s_delay_alu instid0(VALU_DEP_3) | instskip(NEXT) | instid1(VALU_DEP_2)
	v_lshl_add_u32 v7, v11, 23, 0x3b800000
	v_lshlrev_b32_e32 v3, 20, v3
	s_delay_alu instid0(VALU_DEP_1)
	v_or3_b32 v24, v1, v7, v3
.LBB158_3248:
	s_or_b32 exec_lo, exec_lo, s26
.LBB158_3249:
	s_wait_xcnt 0x0
	v_mov_b32_e32 v25, 0
	s_mov_b32 s23, -1
.LBB158_3250:
	s_mov_b32 s26, 0
.LBB158_3251:
	s_delay_alu instid0(SALU_CYCLE_1)
	s_and_b32 vcc_lo, exec_lo, s26
	s_cbranch_vccnz .LBB158_3262
; %bb.3252:
	s_and_b32 vcc_lo, exec_lo, s15
	s_cbranch_vccnz .LBB158_3323
.LBB158_3253:
	s_and_not1_b32 vcc_lo, exec_lo, s21
	s_cbranch_vccnz .LBB158_3255
.LBB158_3254:
	global_load_u8 v1, v[22:23], off
	s_wait_xcnt 0x1
	v_mov_b32_e32 v25, 0
	s_mov_b32 s23, -1
	s_wait_loadcnt 0x0
	v_cmp_ne_u16_e32 vcc_lo, 0, v1
	v_cndmask_b32_e64 v24, 0, 1.0, vcc_lo
.LBB158_3255:
	s_mov_b32 s15, 0
.LBB158_3256:
	s_delay_alu instid0(SALU_CYCLE_1)
	s_and_b32 vcc_lo, exec_lo, s15
	s_cbranch_vccz .LBB158_3339
; %bb.3257:
	s_cmp_lt_i32 s0, 5
	s_cbranch_scc1 .LBB158_3270
; %bb.3258:
	s_cmp_lt_i32 s0, 8
	s_cbranch_scc1 .LBB158_3271
	;; [unrolled: 3-line block ×3, first 2 shown]
; %bb.3260:
	s_cmp_gt_i32 s0, 9
	s_cbranch_scc0 .LBB158_3279
; %bb.3261:
	global_load_b128 v[36:39], v[22:23], off
	s_mov_b32 s15, 0
	s_wait_loadcnt 0x0
	s_wait_xcnt 0x1
	v_cvt_f32_f64_e32 v24, v[36:37]
	v_cvt_f32_f64_e32 v25, v[38:39]
	s_branch .LBB158_3280
.LBB158_3262:
	s_cmp_gt_i32 s0, 22
	s_cbranch_scc0 .LBB158_3272
; %bb.3263:
	s_cmp_lt_i32 s0, 24
	s_cbranch_scc1 .LBB158_3274
; %bb.3264:
	s_cmp_gt_i32 s0, 24
	s_cbranch_scc0 .LBB158_3291
; %bb.3265:
	global_load_u8 v1, v[22:23], off
	s_mov_b32 s23, exec_lo
	s_wait_loadcnt 0x0
	v_cmpx_lt_i16_e32 0x7f, v1
	s_xor_b32 s23, exec_lo, s23
	s_cbranch_execnz .LBB158_3351
; %bb.3266:
	s_or_saveexec_b32 s23, s23
	v_mov_b32_e32 v24, 0x7f800001
	s_xor_b32 exec_lo, exec_lo, s23
	s_cbranch_execnz .LBB158_3354
.LBB158_3267:
	s_or_b32 exec_lo, exec_lo, s23
	s_and_saveexec_b32 s23, s21
	s_cbranch_execz .LBB158_3269
.LBB158_3268:
	v_and_b32_e32 v3, 0xffff, v1
	s_delay_alu instid0(VALU_DEP_1) | instskip(SKIP_1) | instid1(VALU_DEP_2)
	v_dual_lshlrev_b32 v1, 24, v1 :: v_dual_bitop2_b32 v7, 3, v3 bitop3:0x40
	v_bfe_u32 v19, v3, 2, 5
	v_and_b32_e32 v1, 0x80000000, v1
	s_delay_alu instid0(VALU_DEP_3) | instskip(NEXT) | instid1(VALU_DEP_3)
	v_clz_i32_u32_e32 v11, v7
	v_cmp_eq_u32_e32 vcc_lo, 0, v19
	s_delay_alu instid0(VALU_DEP_2) | instskip(NEXT) | instid1(VALU_DEP_1)
	v_min_u32_e32 v11, 32, v11
	v_subrev_nc_u32_e32 v15, 29, v11
	v_sub_nc_u32_e32 v11, 30, v11
	s_delay_alu instid0(VALU_DEP_2) | instskip(NEXT) | instid1(VALU_DEP_2)
	v_lshlrev_b32_e32 v3, v15, v3
	v_cndmask_b32_e32 v11, v19, v11, vcc_lo
	s_delay_alu instid0(VALU_DEP_2) | instskip(NEXT) | instid1(VALU_DEP_1)
	v_and_b32_e32 v3, 3, v3
	v_cndmask_b32_e32 v3, v7, v3, vcc_lo
	s_delay_alu instid0(VALU_DEP_3) | instskip(NEXT) | instid1(VALU_DEP_2)
	v_lshl_add_u32 v7, v11, 23, 0x37800000
	v_lshlrev_b32_e32 v3, 21, v3
	s_delay_alu instid0(VALU_DEP_1)
	v_or3_b32 v24, v1, v7, v3
.LBB158_3269:
	s_or_b32 exec_lo, exec_lo, s23
	s_mov_b32 s21, 0
	s_branch .LBB158_3292
.LBB158_3270:
	s_mov_b32 s15, -1
                                        ; implicit-def: $vgpr25
	s_branch .LBB158_3311
.LBB158_3271:
	s_mov_b32 s15, -1
                                        ; implicit-def: $vgpr25
	s_branch .LBB158_3286
.LBB158_3272:
	s_mov_b32 s21, -1
                                        ; implicit-def: $vgpr24
	s_branch .LBB158_3298
.LBB158_3273:
	s_mov_b32 s15, -1
                                        ; implicit-def: $vgpr25
	s_branch .LBB158_3283
.LBB158_3274:
	s_mov_b32 s21, -1
                                        ; implicit-def: $vgpr24
	s_branch .LBB158_3295
.LBB158_3275:
	s_mov_b32 s23, -1
	s_mov_b32 s27, exec_lo
	v_cmpx_eq_u16_e32 0x80, v1
; %bb.3276:
	s_xor_b32 s23, exec_lo, -1
; %bb.3277:
	s_or_b32 exec_lo, exec_lo, s27
	s_delay_alu instid0(SALU_CYCLE_1)
	s_and_b32 s23, s23, exec_lo
	s_or_saveexec_b32 s26, s26
	v_mov_b32_e32 v24, 0x7f800001
	s_xor_b32 exec_lo, exec_lo, s26
	s_cbranch_execz .LBB158_3246
.LBB158_3278:
	v_cmp_ne_u16_e32 vcc_lo, 0, v1
	v_mov_b32_e32 v24, 0
	s_and_not1_b32 s23, s23, exec_lo
	s_and_b32 s27, vcc_lo, exec_lo
	s_delay_alu instid0(SALU_CYCLE_1)
	s_or_b32 s23, s23, s27
	s_or_b32 exec_lo, exec_lo, s26
	s_and_saveexec_b32 s26, s23
	s_cbranch_execnz .LBB158_3247
	s_branch .LBB158_3248
.LBB158_3279:
	s_mov_b32 s15, -1
                                        ; implicit-def: $vgpr25
.LBB158_3280:
	s_delay_alu instid0(SALU_CYCLE_1)
	s_and_not1_b32 vcc_lo, exec_lo, s15
	s_cbranch_vccnz .LBB158_3282
; %bb.3281:
	global_load_b64 v[24:25], v[22:23], off
.LBB158_3282:
	s_mov_b32 s15, 0
.LBB158_3283:
	s_delay_alu instid0(SALU_CYCLE_1)
	s_and_not1_b32 vcc_lo, exec_lo, s15
	s_cbranch_vccnz .LBB158_3285
; %bb.3284:
	global_load_b32 v1, v[22:23], off
	s_wait_loadcnt 0x0
	v_lshrrev_b32_e32 v3, 16, v1
	s_wait_xcnt 0x1
	v_cvt_f32_f16_e32 v24, v1
	s_delay_alu instid0(VALU_DEP_2)
	v_cvt_f32_f16_e32 v25, v3
.LBB158_3285:
	s_mov_b32 s15, 0
.LBB158_3286:
	s_delay_alu instid0(SALU_CYCLE_1)
	s_and_not1_b32 vcc_lo, exec_lo, s15
	s_cbranch_vccnz .LBB158_3310
; %bb.3287:
	s_cmp_lt_i32 s0, 6
	s_cbranch_scc1 .LBB158_3290
; %bb.3288:
	s_cmp_gt_i32 s0, 6
	s_cbranch_scc0 .LBB158_3303
; %bb.3289:
	s_wait_loadcnt 0x0
	global_load_b64 v[24:25], v[22:23], off
	s_mov_b32 s15, 0
	s_wait_loadcnt 0x0
	v_cvt_f32_f64_e32 v24, v[24:25]
	s_branch .LBB158_3304
.LBB158_3290:
	s_mov_b32 s15, -1
                                        ; implicit-def: $vgpr24
	s_branch .LBB158_3307
.LBB158_3291:
	s_mov_b32 s21, -1
                                        ; implicit-def: $vgpr24
.LBB158_3292:
	s_delay_alu instid0(SALU_CYCLE_1)
	s_and_b32 vcc_lo, exec_lo, s21
	s_cbranch_vccz .LBB158_3294
; %bb.3293:
	global_load_u8 v1, v[22:23], off
	s_wait_loadcnt 0x0
	v_lshlrev_b32_e32 v1, 24, v1
	s_delay_alu instid0(VALU_DEP_1) | instskip(NEXT) | instid1(VALU_DEP_1)
	v_and_b32_e32 v3, 0x7f000000, v1
	v_clz_i32_u32_e32 v7, v3
	v_add_nc_u32_e32 v15, 0x1000000, v3
	v_cmp_ne_u32_e32 vcc_lo, 0, v3
	s_delay_alu instid0(VALU_DEP_3) | instskip(NEXT) | instid1(VALU_DEP_1)
	v_min_u32_e32 v7, 32, v7
	v_sub_nc_u32_e64 v7, v7, 4 clamp
	s_delay_alu instid0(VALU_DEP_1) | instskip(SKIP_1) | instid1(VALU_DEP_2)
	v_lshlrev_b32_e32 v11, v7, v3
	v_lshlrev_b32_e32 v7, 23, v7
	v_lshrrev_b32_e32 v11, 4, v11
	s_delay_alu instid0(VALU_DEP_1) | instskip(SKIP_1) | instid1(VALU_DEP_2)
	v_sub_nc_u32_e32 v7, v11, v7
	v_ashrrev_i32_e32 v11, 8, v15
	v_add_nc_u32_e32 v7, 0x3c000000, v7
	s_delay_alu instid0(VALU_DEP_1) | instskip(NEXT) | instid1(VALU_DEP_1)
	v_and_or_b32 v7, 0x7f800000, v11, v7
	v_cndmask_b32_e32 v3, 0, v7, vcc_lo
	s_wait_xcnt 0x1
	s_delay_alu instid0(VALU_DEP_1)
	v_and_or_b32 v24, 0x80000000, v1, v3
.LBB158_3294:
	s_mov_b32 s21, 0
.LBB158_3295:
	s_delay_alu instid0(SALU_CYCLE_1)
	s_and_not1_b32 vcc_lo, exec_lo, s21
	s_cbranch_vccnz .LBB158_3297
; %bb.3296:
	global_load_u8 v1, v[22:23], off
	s_wait_loadcnt 0x0
	v_lshlrev_b32_e32 v3, 25, v1
	v_lshlrev_b16 v1, 8, v1
	s_delay_alu instid0(VALU_DEP_1) | instskip(SKIP_1) | instid1(VALU_DEP_2)
	v_and_or_b32 v11, 0x7f00, v1, 0.5
	v_bfe_i32 v1, v1, 0, 16
	v_add_f32_e32 v11, -0.5, v11
	v_lshrrev_b32_e32 v7, 4, v3
	v_cmp_gt_u32_e32 vcc_lo, 0x8000000, v3
	s_delay_alu instid0(VALU_DEP_2) | instskip(NEXT) | instid1(VALU_DEP_1)
	v_or_b32_e32 v7, 0x70000000, v7
	v_mul_f32_e32 v7, 0x7800000, v7
	s_delay_alu instid0(VALU_DEP_1) | instskip(SKIP_1) | instid1(VALU_DEP_1)
	v_cndmask_b32_e32 v3, v7, v11, vcc_lo
	s_wait_xcnt 0x1
	v_and_or_b32 v24, 0x80000000, v1, v3
.LBB158_3297:
	s_mov_b32 s21, 0
	s_mov_b32 s23, -1
.LBB158_3298:
	s_and_not1_b32 vcc_lo, exec_lo, s21
	s_mov_b32 s21, 0
	s_cbranch_vccnz .LBB158_3322
; %bb.3299:
	s_cmp_gt_i32 s0, 14
	s_cbranch_scc0 .LBB158_3302
; %bb.3300:
	s_cmp_eq_u32 s0, 15
	s_cbranch_scc0 .LBB158_3318
; %bb.3301:
	global_load_u16 v1, v[22:23], off
	s_mov_b32 s15, 0
	s_mov_b32 s23, -1
	s_wait_loadcnt 0x0
	s_wait_xcnt 0x1
	v_lshlrev_b32_e32 v24, 16, v1
	s_branch .LBB158_3320
.LBB158_3302:
	s_mov_b32 s21, -1
	s_branch .LBB158_3319
.LBB158_3303:
	s_mov_b32 s15, -1
                                        ; implicit-def: $vgpr24
.LBB158_3304:
	s_delay_alu instid0(SALU_CYCLE_1)
	s_and_not1_b32 vcc_lo, exec_lo, s15
	s_cbranch_vccnz .LBB158_3306
; %bb.3305:
	s_wait_loadcnt 0x0
	global_load_b32 v24, v[22:23], off
.LBB158_3306:
	s_mov_b32 s15, 0
.LBB158_3307:
	s_delay_alu instid0(SALU_CYCLE_1)
	s_and_not1_b32 vcc_lo, exec_lo, s15
	s_cbranch_vccnz .LBB158_3309
; %bb.3308:
	global_load_u16 v1, v[22:23], off
	s_wait_loadcnt 0x0
	s_wait_xcnt 0x1
	v_cvt_f32_f16_e32 v24, v1
.LBB158_3309:
	s_wait_loadcnt 0x0
	v_mov_b32_e32 v25, 0
.LBB158_3310:
	s_mov_b32 s15, 0
.LBB158_3311:
	s_delay_alu instid0(SALU_CYCLE_1)
	s_and_not1_b32 vcc_lo, exec_lo, s15
	s_cbranch_vccnz .LBB158_3338
; %bb.3312:
	s_cmp_lt_i32 s0, 2
	s_cbranch_scc1 .LBB158_3316
; %bb.3313:
	s_cmp_lt_i32 s0, 3
	s_cbranch_scc1 .LBB158_3317
; %bb.3314:
	s_cmp_gt_i32 s0, 3
	s_cbranch_scc0 .LBB158_3324
; %bb.3315:
	s_wait_loadcnt 0x0
	global_load_b64 v[24:25], v[22:23], off
	s_mov_b32 s15, 0
	s_wait_loadcnt 0x0
	v_xor_b32_e32 v1, v24, v25
	v_cls_i32_e32 v3, v25
	s_delay_alu instid0(VALU_DEP_2) | instskip(NEXT) | instid1(VALU_DEP_1)
	v_ashrrev_i32_e32 v1, 31, v1
	v_add_nc_u32_e32 v1, 32, v1
	s_delay_alu instid0(VALU_DEP_1) | instskip(NEXT) | instid1(VALU_DEP_1)
	v_add_min_u32_e64 v1, v3, -1, v1
	v_lshlrev_b64_e32 v[24:25], v1, v[24:25]
	v_sub_nc_u32_e32 v1, 32, v1
	s_delay_alu instid0(VALU_DEP_2) | instskip(NEXT) | instid1(VALU_DEP_1)
	v_min_u32_e32 v3, 1, v24
	v_or_b32_e32 v3, v25, v3
	s_delay_alu instid0(VALU_DEP_1) | instskip(NEXT) | instid1(VALU_DEP_1)
	v_cvt_f32_i32_e32 v3, v3
	v_ldexp_f32 v24, v3, v1
	s_branch .LBB158_3325
.LBB158_3316:
	s_mov_b32 s15, -1
                                        ; implicit-def: $vgpr24
	s_branch .LBB158_3331
.LBB158_3317:
	s_mov_b32 s15, -1
                                        ; implicit-def: $vgpr24
	s_branch .LBB158_3328
.LBB158_3318:
	s_mov_b32 s15, -1
.LBB158_3319:
                                        ; implicit-def: $vgpr24
.LBB158_3320:
	s_and_b32 vcc_lo, exec_lo, s21
	s_mov_b32 s21, 0
	s_cbranch_vccz .LBB158_3322
; %bb.3321:
	s_cmp_lg_u32 s0, 11
	s_mov_b32 s21, -1
	s_cselect_b32 s15, -1, 0
.LBB158_3322:
	s_wait_xcnt 0x0
	v_mov_b32_e32 v25, 0
	s_and_b32 vcc_lo, exec_lo, s15
	s_cbranch_vccz .LBB158_3253
.LBB158_3323:
	s_or_b32 s22, s22, exec_lo
	s_trap 2
	s_cbranch_execz .LBB158_3254
	s_branch .LBB158_3255
.LBB158_3324:
	s_mov_b32 s15, -1
                                        ; implicit-def: $vgpr24
.LBB158_3325:
	s_delay_alu instid0(SALU_CYCLE_1)
	s_and_not1_b32 vcc_lo, exec_lo, s15
	s_cbranch_vccnz .LBB158_3327
; %bb.3326:
	global_load_b32 v1, v[22:23], off
	s_wait_loadcnt 0x0
	s_wait_xcnt 0x1
	v_cvt_f32_i32_e32 v24, v1
.LBB158_3327:
	s_mov_b32 s15, 0
.LBB158_3328:
	s_delay_alu instid0(SALU_CYCLE_1)
	s_and_not1_b32 vcc_lo, exec_lo, s15
	s_cbranch_vccnz .LBB158_3330
; %bb.3329:
	global_load_i16 v1, v[22:23], off
	s_wait_loadcnt 0x0
	s_wait_xcnt 0x1
	v_cvt_f32_i32_e32 v24, v1
.LBB158_3330:
	s_mov_b32 s15, 0
.LBB158_3331:
	s_delay_alu instid0(SALU_CYCLE_1)
	s_and_not1_b32 vcc_lo, exec_lo, s15
	s_cbranch_vccnz .LBB158_3337
; %bb.3332:
	s_cmp_gt_i32 s0, 0
	s_mov_b32 s15, 0
	s_cbranch_scc0 .LBB158_3334
; %bb.3333:
	global_load_i8 v1, v[22:23], off
	s_wait_loadcnt 0x0
	s_wait_xcnt 0x1
	v_cvt_f32_i32_e32 v24, v1
	s_branch .LBB158_3335
.LBB158_3334:
	s_mov_b32 s15, -1
                                        ; implicit-def: $vgpr24
.LBB158_3335:
	s_delay_alu instid0(SALU_CYCLE_1)
	s_and_not1_b32 vcc_lo, exec_lo, s15
	s_cbranch_vccnz .LBB158_3337
; %bb.3336:
	global_load_u8 v1, v[22:23], off
	s_wait_loadcnt 0x0
	s_wait_xcnt 0x1
	v_cvt_f32_ubyte0_e32 v24, v1
.LBB158_3337:
	s_wait_loadcnt 0x0
	v_mov_b32_e32 v25, 0
.LBB158_3338:
	s_mov_b32 s23, -1
.LBB158_3339:
	s_delay_alu instid0(SALU_CYCLE_1)
	s_and_not1_b32 vcc_lo, exec_lo, s23
	s_cbranch_vccnz .LBB158_4181
; %bb.3340:
	s_wait_xcnt 0x0
	v_add_nc_u32_e32 v22, s1, v26
	s_cmp_lt_i32 s2, 11
	s_delay_alu instid0(VALU_DEP_1) | instskip(NEXT) | instid1(VALU_DEP_1)
	v_ashrrev_i32_e32 v23, 31, v22
	v_add_nc_u64_e32 v[32:33], s[6:7], v[22:23]
	s_cbranch_scc1 .LBB158_3347
; %bb.3341:
	s_and_b32 s1, 0xffff, s2
	s_mov_b32 s7, 0
	s_cmp_gt_i32 s1, 25
	s_cbranch_scc0 .LBB158_3348
; %bb.3342:
	s_cmp_gt_i32 s1, 28
	s_cbranch_scc0 .LBB158_3349
; %bb.3343:
	s_cmp_gt_i32 s1, 43
	s_cbranch_scc0 .LBB158_3350
; %bb.3344:
	s_cmp_gt_i32 s1, 45
	s_cbranch_scc0 .LBB158_3355
; %bb.3345:
	s_cmp_eq_u32 s1, 46
	s_mov_b32 s21, 0
	s_cbranch_scc0 .LBB158_3356
; %bb.3346:
	global_load_b32 v1, v[32:33], off
	s_mov_b32 s6, 0
	s_mov_b32 s15, -1
	s_wait_loadcnt 0x0
	v_and_b32_e32 v26, 0xffff0000, v1
	v_lshlrev_b32_e32 v22, 16, v1
	s_branch .LBB158_3358
.LBB158_3347:
	s_mov_b32 s1, -1
	s_mov_b32 s15, 0
                                        ; implicit-def: $vgpr26
                                        ; implicit-def: $vgpr22
	s_branch .LBB158_3392
.LBB158_3348:
	s_mov_b32 s21, -1
	s_mov_b32 s15, 0
	s_mov_b32 s6, 0
                                        ; implicit-def: $vgpr26
                                        ; implicit-def: $vgpr22
	s_branch .LBB158_3387
.LBB158_3349:
	s_mov_b32 s21, -1
	s_mov_b32 s15, 0
	s_mov_b32 s6, 0
                                        ; implicit-def: $vgpr26
                                        ; implicit-def: $vgpr22
	s_branch .LBB158_3370
.LBB158_3350:
	s_mov_b32 s21, -1
	s_mov_b32 s15, 0
	s_mov_b32 s6, 0
                                        ; implicit-def: $vgpr26
                                        ; implicit-def: $vgpr22
	s_branch .LBB158_3364
.LBB158_3351:
	s_mov_b32 s21, -1
	s_mov_b32 s26, exec_lo
	v_cmpx_eq_u16_e32 0x80, v1
; %bb.3352:
	s_xor_b32 s21, exec_lo, -1
; %bb.3353:
	s_or_b32 exec_lo, exec_lo, s26
	s_delay_alu instid0(SALU_CYCLE_1)
	s_and_b32 s21, s21, exec_lo
	s_or_saveexec_b32 s23, s23
	v_mov_b32_e32 v24, 0x7f800001
	s_xor_b32 exec_lo, exec_lo, s23
	s_cbranch_execz .LBB158_3267
.LBB158_3354:
	v_cmp_ne_u16_e32 vcc_lo, 0, v1
	v_mov_b32_e32 v24, 0
	s_and_not1_b32 s21, s21, exec_lo
	s_and_b32 s26, vcc_lo, exec_lo
	s_delay_alu instid0(SALU_CYCLE_1)
	s_or_b32 s21, s21, s26
	s_or_b32 exec_lo, exec_lo, s23
	s_and_saveexec_b32 s23, s21
	s_cbranch_execnz .LBB158_3268
	s_branch .LBB158_3269
.LBB158_3355:
	s_mov_b32 s21, -1
	s_mov_b32 s15, 0
	s_mov_b32 s6, 0
	s_branch .LBB158_3357
.LBB158_3356:
	s_mov_b32 s6, -1
	s_mov_b32 s15, 0
.LBB158_3357:
                                        ; implicit-def: $vgpr26
                                        ; implicit-def: $vgpr22
.LBB158_3358:
	s_and_b32 vcc_lo, exec_lo, s21
	s_cbranch_vccz .LBB158_3363
; %bb.3359:
	s_cmp_eq_u32 s1, 44
	s_cbranch_scc0 .LBB158_3361
; %bb.3360:
	global_load_u8 v1, v[32:33], off
	s_mov_b32 s6, 0
	s_mov_b32 s15, -1
	s_wait_loadcnt 0x0
	v_lshlrev_b32_e32 v3, 23, v1
	v_cmp_ne_u32_e32 vcc_lo, 0xff, v1
	s_delay_alu instid0(VALU_DEP_2) | instskip(SKIP_1) | instid1(VALU_DEP_2)
	v_cndmask_b32_e32 v3, 0x7f800001, v3, vcc_lo
	v_cmp_ne_u32_e32 vcc_lo, 0, v1
	v_cndmask_b32_e32 v22, 0x400000, v3, vcc_lo
	s_branch .LBB158_3362
.LBB158_3361:
	s_mov_b32 s6, -1
                                        ; implicit-def: $vgpr22
.LBB158_3362:
	v_mov_b32_e32 v26, 0
.LBB158_3363:
	s_mov_b32 s21, 0
.LBB158_3364:
	s_delay_alu instid0(SALU_CYCLE_1)
	s_and_b32 vcc_lo, exec_lo, s21
	s_cbranch_vccz .LBB158_3369
; %bb.3365:
	s_cmp_eq_u32 s1, 29
	s_cbranch_scc0 .LBB158_3367
; %bb.3366:
	global_load_b64 v[22:23], v[32:33], off
	s_mov_b32 s6, 0
	s_mov_b32 s15, -1
	s_wait_loadcnt 0x0
	v_clz_i32_u32_e32 v1, v23
	s_delay_alu instid0(VALU_DEP_1) | instskip(NEXT) | instid1(VALU_DEP_1)
	v_min_u32_e32 v1, 32, v1
	v_lshlrev_b64_e32 v[22:23], v1, v[22:23]
	v_sub_nc_u32_e32 v1, 32, v1
	s_delay_alu instid0(VALU_DEP_2) | instskip(NEXT) | instid1(VALU_DEP_1)
	v_min_u32_e32 v3, 1, v22
	v_or_b32_e32 v3, v23, v3
	s_delay_alu instid0(VALU_DEP_1) | instskip(NEXT) | instid1(VALU_DEP_1)
	v_cvt_f32_u32_e32 v3, v3
	v_ldexp_f32 v22, v3, v1
	s_branch .LBB158_3368
.LBB158_3367:
	s_mov_b32 s6, -1
                                        ; implicit-def: $vgpr22
.LBB158_3368:
	v_mov_b32_e32 v26, 0
.LBB158_3369:
	s_mov_b32 s21, 0
.LBB158_3370:
	s_delay_alu instid0(SALU_CYCLE_1)
	s_and_b32 vcc_lo, exec_lo, s21
	s_cbranch_vccz .LBB158_3386
; %bb.3371:
	s_cmp_lt_i32 s1, 27
	s_cbranch_scc1 .LBB158_3374
; %bb.3372:
	s_cmp_gt_i32 s1, 27
	s_cbranch_scc0 .LBB158_3375
; %bb.3373:
	global_load_b32 v1, v[32:33], off
	s_mov_b32 s15, 0
	s_wait_loadcnt 0x0
	v_cvt_f32_u32_e32 v22, v1
	s_branch .LBB158_3376
.LBB158_3374:
	s_mov_b32 s15, -1
                                        ; implicit-def: $vgpr22
	s_branch .LBB158_3379
.LBB158_3375:
	s_mov_b32 s15, -1
                                        ; implicit-def: $vgpr22
.LBB158_3376:
	s_delay_alu instid0(SALU_CYCLE_1)
	s_and_not1_b32 vcc_lo, exec_lo, s15
	s_cbranch_vccnz .LBB158_3378
; %bb.3377:
	global_load_u16 v1, v[32:33], off
	s_wait_loadcnt 0x0
	v_cvt_f32_u32_e32 v22, v1
.LBB158_3378:
	s_mov_b32 s15, 0
.LBB158_3379:
	s_delay_alu instid0(SALU_CYCLE_1)
	s_and_not1_b32 vcc_lo, exec_lo, s15
	s_cbranch_vccnz .LBB158_3385
; %bb.3380:
	global_load_u8 v1, v[32:33], off
	s_mov_b32 s15, 0
	s_mov_b32 s21, exec_lo
	s_wait_loadcnt 0x0
	v_cmpx_lt_i16_e32 0x7f, v1
	s_xor_b32 s21, exec_lo, s21
	s_cbranch_execnz .LBB158_3411
; %bb.3381:
	s_or_saveexec_b32 s21, s21
	v_mov_b32_e32 v22, 0x7f800001
	s_xor_b32 exec_lo, exec_lo, s21
	s_cbranch_execnz .LBB158_3414
.LBB158_3382:
	s_or_b32 exec_lo, exec_lo, s21
	s_and_saveexec_b32 s21, s15
	s_cbranch_execz .LBB158_3384
.LBB158_3383:
	v_and_b32_e32 v3, 0xffff, v1
	s_delay_alu instid0(VALU_DEP_1) | instskip(SKIP_1) | instid1(VALU_DEP_2)
	v_dual_lshlrev_b32 v1, 24, v1 :: v_dual_bitop2_b32 v7, 7, v3 bitop3:0x40
	v_bfe_u32 v19, v3, 3, 4
	v_and_b32_e32 v1, 0x80000000, v1
	s_delay_alu instid0(VALU_DEP_3) | instskip(NEXT) | instid1(VALU_DEP_3)
	v_clz_i32_u32_e32 v11, v7
	v_cmp_eq_u32_e32 vcc_lo, 0, v19
	s_delay_alu instid0(VALU_DEP_2) | instskip(NEXT) | instid1(VALU_DEP_1)
	v_min_u32_e32 v11, 32, v11
	v_subrev_nc_u32_e32 v15, 28, v11
	v_sub_nc_u32_e32 v11, 29, v11
	s_delay_alu instid0(VALU_DEP_2) | instskip(NEXT) | instid1(VALU_DEP_2)
	v_lshlrev_b32_e32 v3, v15, v3
	v_cndmask_b32_e32 v11, v19, v11, vcc_lo
	s_delay_alu instid0(VALU_DEP_2) | instskip(NEXT) | instid1(VALU_DEP_1)
	v_and_b32_e32 v3, 7, v3
	v_cndmask_b32_e32 v3, v7, v3, vcc_lo
	s_delay_alu instid0(VALU_DEP_3) | instskip(NEXT) | instid1(VALU_DEP_2)
	v_lshl_add_u32 v7, v11, 23, 0x3b800000
	v_lshlrev_b32_e32 v3, 20, v3
	s_delay_alu instid0(VALU_DEP_1)
	v_or3_b32 v22, v1, v7, v3
.LBB158_3384:
	s_or_b32 exec_lo, exec_lo, s21
.LBB158_3385:
	v_mov_b32_e32 v26, 0
	s_mov_b32 s15, -1
.LBB158_3386:
	s_mov_b32 s21, 0
.LBB158_3387:
	s_delay_alu instid0(SALU_CYCLE_1)
	s_and_b32 vcc_lo, exec_lo, s21
	s_cbranch_vccnz .LBB158_3398
; %bb.3388:
	s_and_b32 vcc_lo, exec_lo, s6
	s_cbranch_vccnz .LBB158_3459
.LBB158_3389:
	s_and_not1_b32 vcc_lo, exec_lo, s7
	s_cbranch_vccnz .LBB158_3391
.LBB158_3390:
	global_load_u8 v1, v[32:33], off
	v_mov_b32_e32 v26, 0
	s_mov_b32 s15, -1
	s_wait_loadcnt 0x0
	v_cmp_ne_u16_e32 vcc_lo, 0, v1
	v_cndmask_b32_e64 v22, 0, 1.0, vcc_lo
.LBB158_3391:
	s_mov_b32 s1, 0
.LBB158_3392:
	s_delay_alu instid0(SALU_CYCLE_1)
	s_and_b32 vcc_lo, exec_lo, s1
	s_cbranch_vccz .LBB158_3475
; %bb.3393:
	s_and_b32 s1, 0xffff, s2
	s_delay_alu instid0(SALU_CYCLE_1)
	s_cmp_lt_i32 s1, 5
	s_cbranch_scc1 .LBB158_3406
; %bb.3394:
	s_cmp_lt_i32 s1, 8
	s_cbranch_scc1 .LBB158_3407
; %bb.3395:
	;; [unrolled: 3-line block ×3, first 2 shown]
	s_cmp_gt_i32 s1, 9
	s_cbranch_scc0 .LBB158_3415
; %bb.3397:
	global_load_b128 v[36:39], v[32:33], off
	s_mov_b32 s2, 0
	s_wait_loadcnt 0x0
	v_cvt_f32_f64_e32 v22, v[36:37]
	v_cvt_f32_f64_e32 v26, v[38:39]
	s_branch .LBB158_3416
.LBB158_3398:
	s_cmp_gt_i32 s1, 22
	s_cbranch_scc0 .LBB158_3408
; %bb.3399:
	s_cmp_lt_i32 s1, 24
	s_cbranch_scc1 .LBB158_3410
; %bb.3400:
	s_cmp_gt_i32 s1, 24
	s_cbranch_scc0 .LBB158_3427
; %bb.3401:
	global_load_u8 v1, v[32:33], off
	s_mov_b32 s15, exec_lo
	s_wait_loadcnt 0x0
	v_cmpx_lt_i16_e32 0x7f, v1
	s_xor_b32 s15, exec_lo, s15
	s_cbranch_execnz .LBB158_3487
; %bb.3402:
	s_or_saveexec_b32 s15, s15
	v_mov_b32_e32 v22, 0x7f800001
	s_xor_b32 exec_lo, exec_lo, s15
	s_cbranch_execnz .LBB158_3490
.LBB158_3403:
	s_or_b32 exec_lo, exec_lo, s15
	s_and_saveexec_b32 s15, s7
	s_cbranch_execz .LBB158_3405
.LBB158_3404:
	v_and_b32_e32 v3, 0xffff, v1
	s_delay_alu instid0(VALU_DEP_1) | instskip(SKIP_1) | instid1(VALU_DEP_2)
	v_dual_lshlrev_b32 v1, 24, v1 :: v_dual_bitop2_b32 v7, 3, v3 bitop3:0x40
	v_bfe_u32 v19, v3, 2, 5
	v_and_b32_e32 v1, 0x80000000, v1
	s_delay_alu instid0(VALU_DEP_3) | instskip(NEXT) | instid1(VALU_DEP_3)
	v_clz_i32_u32_e32 v11, v7
	v_cmp_eq_u32_e32 vcc_lo, 0, v19
	s_delay_alu instid0(VALU_DEP_2) | instskip(NEXT) | instid1(VALU_DEP_1)
	v_min_u32_e32 v11, 32, v11
	v_subrev_nc_u32_e32 v15, 29, v11
	v_sub_nc_u32_e32 v11, 30, v11
	s_delay_alu instid0(VALU_DEP_2) | instskip(NEXT) | instid1(VALU_DEP_2)
	v_lshlrev_b32_e32 v3, v15, v3
	v_cndmask_b32_e32 v11, v19, v11, vcc_lo
	s_delay_alu instid0(VALU_DEP_2) | instskip(NEXT) | instid1(VALU_DEP_1)
	v_and_b32_e32 v3, 3, v3
	v_cndmask_b32_e32 v3, v7, v3, vcc_lo
	s_delay_alu instid0(VALU_DEP_3) | instskip(NEXT) | instid1(VALU_DEP_2)
	v_lshl_add_u32 v7, v11, 23, 0x37800000
	v_lshlrev_b32_e32 v3, 21, v3
	s_delay_alu instid0(VALU_DEP_1)
	v_or3_b32 v22, v1, v7, v3
.LBB158_3405:
	s_or_b32 exec_lo, exec_lo, s15
	s_mov_b32 s7, 0
	s_branch .LBB158_3428
.LBB158_3406:
	s_mov_b32 s2, -1
                                        ; implicit-def: $vgpr26
                                        ; implicit-def: $vgpr22
	s_branch .LBB158_3447
.LBB158_3407:
	s_mov_b32 s2, -1
                                        ; implicit-def: $vgpr26
                                        ; implicit-def: $vgpr22
	s_branch .LBB158_3422
.LBB158_3408:
	s_mov_b32 s7, -1
                                        ; implicit-def: $vgpr22
	s_branch .LBB158_3434
.LBB158_3409:
	s_mov_b32 s2, -1
                                        ; implicit-def: $vgpr26
                                        ; implicit-def: $vgpr22
	s_branch .LBB158_3419
.LBB158_3410:
	s_mov_b32 s7, -1
                                        ; implicit-def: $vgpr22
	s_branch .LBB158_3431
.LBB158_3411:
	s_mov_b32 s15, -1
	s_mov_b32 s23, exec_lo
	v_cmpx_eq_u16_e32 0x80, v1
; %bb.3412:
	s_xor_b32 s15, exec_lo, -1
; %bb.3413:
	s_or_b32 exec_lo, exec_lo, s23
	s_delay_alu instid0(SALU_CYCLE_1)
	s_and_b32 s15, s15, exec_lo
	s_or_saveexec_b32 s21, s21
	v_mov_b32_e32 v22, 0x7f800001
	s_xor_b32 exec_lo, exec_lo, s21
	s_cbranch_execz .LBB158_3382
.LBB158_3414:
	v_cmp_ne_u16_e32 vcc_lo, 0, v1
	v_mov_b32_e32 v22, 0
	s_and_not1_b32 s15, s15, exec_lo
	s_and_b32 s23, vcc_lo, exec_lo
	s_delay_alu instid0(SALU_CYCLE_1)
	s_or_b32 s15, s15, s23
	s_or_b32 exec_lo, exec_lo, s21
	s_and_saveexec_b32 s21, s15
	s_cbranch_execnz .LBB158_3383
	s_branch .LBB158_3384
.LBB158_3415:
	s_mov_b32 s2, -1
                                        ; implicit-def: $vgpr26
                                        ; implicit-def: $vgpr22
.LBB158_3416:
	s_delay_alu instid0(SALU_CYCLE_1)
	s_and_not1_b32 vcc_lo, exec_lo, s2
	s_cbranch_vccnz .LBB158_3418
; %bb.3417:
	global_load_b64 v[22:23], v[32:33], off
	s_wait_loadcnt 0x0
	v_mov_b32_e32 v26, v23
.LBB158_3418:
	s_mov_b32 s2, 0
.LBB158_3419:
	s_delay_alu instid0(SALU_CYCLE_1)
	s_and_not1_b32 vcc_lo, exec_lo, s2
	s_cbranch_vccnz .LBB158_3421
; %bb.3420:
	global_load_b32 v1, v[32:33], off
	s_wait_loadcnt 0x0
	v_lshrrev_b32_e32 v3, 16, v1
	v_cvt_f32_f16_e32 v22, v1
	s_delay_alu instid0(VALU_DEP_2)
	v_cvt_f32_f16_e32 v26, v3
.LBB158_3421:
	s_mov_b32 s2, 0
.LBB158_3422:
	s_delay_alu instid0(SALU_CYCLE_1)
	s_and_not1_b32 vcc_lo, exec_lo, s2
	s_cbranch_vccnz .LBB158_3446
; %bb.3423:
	s_cmp_lt_i32 s1, 6
	s_cbranch_scc1 .LBB158_3426
; %bb.3424:
	s_cmp_gt_i32 s1, 6
	s_cbranch_scc0 .LBB158_3439
; %bb.3425:
	global_load_b64 v[22:23], v[32:33], off
	s_mov_b32 s2, 0
	s_wait_loadcnt 0x0
	v_cvt_f32_f64_e32 v22, v[22:23]
	s_branch .LBB158_3440
.LBB158_3426:
	s_mov_b32 s2, -1
                                        ; implicit-def: $vgpr22
	s_branch .LBB158_3443
.LBB158_3427:
	s_mov_b32 s7, -1
                                        ; implicit-def: $vgpr22
.LBB158_3428:
	s_delay_alu instid0(SALU_CYCLE_1)
	s_and_b32 vcc_lo, exec_lo, s7
	s_cbranch_vccz .LBB158_3430
; %bb.3429:
	global_load_u8 v1, v[32:33], off
	s_wait_loadcnt 0x0
	v_lshlrev_b32_e32 v1, 24, v1
	s_delay_alu instid0(VALU_DEP_1) | instskip(NEXT) | instid1(VALU_DEP_1)
	v_and_b32_e32 v3, 0x7f000000, v1
	v_clz_i32_u32_e32 v7, v3
	v_add_nc_u32_e32 v15, 0x1000000, v3
	v_cmp_ne_u32_e32 vcc_lo, 0, v3
	s_delay_alu instid0(VALU_DEP_3) | instskip(NEXT) | instid1(VALU_DEP_1)
	v_min_u32_e32 v7, 32, v7
	v_sub_nc_u32_e64 v7, v7, 4 clamp
	s_delay_alu instid0(VALU_DEP_1) | instskip(SKIP_1) | instid1(VALU_DEP_2)
	v_lshlrev_b32_e32 v11, v7, v3
	v_lshlrev_b32_e32 v7, 23, v7
	v_lshrrev_b32_e32 v11, 4, v11
	s_delay_alu instid0(VALU_DEP_1) | instskip(SKIP_1) | instid1(VALU_DEP_2)
	v_sub_nc_u32_e32 v7, v11, v7
	v_ashrrev_i32_e32 v11, 8, v15
	v_add_nc_u32_e32 v7, 0x3c000000, v7
	s_delay_alu instid0(VALU_DEP_1) | instskip(NEXT) | instid1(VALU_DEP_1)
	v_and_or_b32 v7, 0x7f800000, v11, v7
	v_cndmask_b32_e32 v3, 0, v7, vcc_lo
	s_delay_alu instid0(VALU_DEP_1)
	v_and_or_b32 v22, 0x80000000, v1, v3
.LBB158_3430:
	s_mov_b32 s7, 0
.LBB158_3431:
	s_delay_alu instid0(SALU_CYCLE_1)
	s_and_not1_b32 vcc_lo, exec_lo, s7
	s_cbranch_vccnz .LBB158_3433
; %bb.3432:
	global_load_u8 v1, v[32:33], off
	s_wait_loadcnt 0x0
	v_lshlrev_b32_e32 v3, 25, v1
	v_lshlrev_b16 v1, 8, v1
	s_delay_alu instid0(VALU_DEP_1) | instskip(SKIP_1) | instid1(VALU_DEP_2)
	v_and_or_b32 v11, 0x7f00, v1, 0.5
	v_bfe_i32 v1, v1, 0, 16
	v_add_f32_e32 v11, -0.5, v11
	v_lshrrev_b32_e32 v7, 4, v3
	v_cmp_gt_u32_e32 vcc_lo, 0x8000000, v3
	s_delay_alu instid0(VALU_DEP_2) | instskip(NEXT) | instid1(VALU_DEP_1)
	v_or_b32_e32 v7, 0x70000000, v7
	v_mul_f32_e32 v7, 0x7800000, v7
	s_delay_alu instid0(VALU_DEP_1) | instskip(NEXT) | instid1(VALU_DEP_1)
	v_cndmask_b32_e32 v3, v7, v11, vcc_lo
	v_and_or_b32 v22, 0x80000000, v1, v3
.LBB158_3433:
	s_mov_b32 s7, 0
	s_mov_b32 s15, -1
.LBB158_3434:
	s_and_not1_b32 vcc_lo, exec_lo, s7
	s_mov_b32 s7, 0
	s_cbranch_vccnz .LBB158_3458
; %bb.3435:
	s_cmp_gt_i32 s1, 14
	s_cbranch_scc0 .LBB158_3438
; %bb.3436:
	s_cmp_eq_u32 s1, 15
	s_cbranch_scc0 .LBB158_3454
; %bb.3437:
	global_load_u16 v1, v[32:33], off
	s_mov_b32 s6, 0
	s_mov_b32 s15, -1
	s_wait_loadcnt 0x0
	v_lshlrev_b32_e32 v22, 16, v1
	s_branch .LBB158_3456
.LBB158_3438:
	s_mov_b32 s7, -1
	s_branch .LBB158_3455
.LBB158_3439:
	s_mov_b32 s2, -1
                                        ; implicit-def: $vgpr22
.LBB158_3440:
	s_delay_alu instid0(SALU_CYCLE_1)
	s_and_not1_b32 vcc_lo, exec_lo, s2
	s_cbranch_vccnz .LBB158_3442
; %bb.3441:
	global_load_b32 v22, v[32:33], off
.LBB158_3442:
	s_mov_b32 s2, 0
.LBB158_3443:
	s_delay_alu instid0(SALU_CYCLE_1)
	s_and_not1_b32 vcc_lo, exec_lo, s2
	s_cbranch_vccnz .LBB158_3445
; %bb.3444:
	global_load_u16 v1, v[32:33], off
	s_wait_loadcnt 0x0
	v_cvt_f32_f16_e32 v22, v1
.LBB158_3445:
	v_mov_b32_e32 v26, 0
.LBB158_3446:
	s_mov_b32 s2, 0
.LBB158_3447:
	s_delay_alu instid0(SALU_CYCLE_1)
	s_and_not1_b32 vcc_lo, exec_lo, s2
	s_cbranch_vccnz .LBB158_3474
; %bb.3448:
	s_cmp_lt_i32 s1, 2
	s_cbranch_scc1 .LBB158_3452
; %bb.3449:
	s_cmp_lt_i32 s1, 3
	s_cbranch_scc1 .LBB158_3453
; %bb.3450:
	s_cmp_gt_i32 s1, 3
	s_cbranch_scc0 .LBB158_3460
; %bb.3451:
	s_wait_loadcnt 0x0
	global_load_b64 v[22:23], v[32:33], off
	s_mov_b32 s2, 0
	s_wait_loadcnt 0x0
	v_xor_b32_e32 v1, v22, v23
	v_cls_i32_e32 v3, v23
	s_delay_alu instid0(VALU_DEP_2) | instskip(NEXT) | instid1(VALU_DEP_1)
	v_ashrrev_i32_e32 v1, 31, v1
	v_add_nc_u32_e32 v1, 32, v1
	s_delay_alu instid0(VALU_DEP_1) | instskip(NEXT) | instid1(VALU_DEP_1)
	v_add_min_u32_e64 v1, v3, -1, v1
	v_lshlrev_b64_e32 v[22:23], v1, v[22:23]
	v_sub_nc_u32_e32 v1, 32, v1
	s_delay_alu instid0(VALU_DEP_2) | instskip(NEXT) | instid1(VALU_DEP_1)
	v_min_u32_e32 v3, 1, v22
	v_or_b32_e32 v3, v23, v3
	s_delay_alu instid0(VALU_DEP_1) | instskip(NEXT) | instid1(VALU_DEP_1)
	v_cvt_f32_i32_e32 v3, v3
	v_ldexp_f32 v22, v3, v1
	s_branch .LBB158_3461
.LBB158_3452:
	s_mov_b32 s2, -1
                                        ; implicit-def: $vgpr22
	s_branch .LBB158_3467
.LBB158_3453:
	s_mov_b32 s2, -1
                                        ; implicit-def: $vgpr22
	s_branch .LBB158_3464
.LBB158_3454:
	s_mov_b32 s6, -1
.LBB158_3455:
                                        ; implicit-def: $vgpr22
.LBB158_3456:
	s_and_b32 vcc_lo, exec_lo, s7
	s_mov_b32 s7, 0
	s_cbranch_vccz .LBB158_3458
; %bb.3457:
	s_cmp_lg_u32 s1, 11
	s_mov_b32 s7, -1
	s_cselect_b32 s6, -1, 0
.LBB158_3458:
	v_mov_b32_e32 v26, 0
	s_and_b32 vcc_lo, exec_lo, s6
	s_cbranch_vccz .LBB158_3389
.LBB158_3459:
	s_or_b32 s22, s22, exec_lo
	s_trap 2
	s_cbranch_execz .LBB158_3390
	s_branch .LBB158_3391
.LBB158_3460:
	s_mov_b32 s2, -1
                                        ; implicit-def: $vgpr22
.LBB158_3461:
	s_delay_alu instid0(SALU_CYCLE_1)
	s_and_not1_b32 vcc_lo, exec_lo, s2
	s_cbranch_vccnz .LBB158_3463
; %bb.3462:
	global_load_b32 v1, v[32:33], off
	s_wait_loadcnt 0x0
	v_cvt_f32_i32_e32 v22, v1
.LBB158_3463:
	s_mov_b32 s2, 0
.LBB158_3464:
	s_delay_alu instid0(SALU_CYCLE_1)
	s_and_not1_b32 vcc_lo, exec_lo, s2
	s_cbranch_vccnz .LBB158_3466
; %bb.3465:
	global_load_i16 v1, v[32:33], off
	s_wait_loadcnt 0x0
	v_cvt_f32_i32_e32 v22, v1
.LBB158_3466:
	s_mov_b32 s2, 0
.LBB158_3467:
	s_delay_alu instid0(SALU_CYCLE_1)
	s_and_not1_b32 vcc_lo, exec_lo, s2
	s_cbranch_vccnz .LBB158_3473
; %bb.3468:
	s_cmp_gt_i32 s1, 0
	s_mov_b32 s1, 0
	s_cbranch_scc0 .LBB158_3470
; %bb.3469:
	global_load_i8 v1, v[32:33], off
	s_wait_loadcnt 0x0
	v_cvt_f32_i32_e32 v22, v1
	s_branch .LBB158_3471
.LBB158_3470:
	s_mov_b32 s1, -1
                                        ; implicit-def: $vgpr22
.LBB158_3471:
	s_delay_alu instid0(SALU_CYCLE_1)
	s_and_not1_b32 vcc_lo, exec_lo, s1
	s_cbranch_vccnz .LBB158_3473
; %bb.3472:
	global_load_u8 v1, v[32:33], off
	s_wait_loadcnt 0x0
	v_cvt_f32_ubyte0_e32 v22, v1
.LBB158_3473:
	v_mov_b32_e32 v26, 0
.LBB158_3474:
	s_mov_b32 s15, -1
.LBB158_3475:
	s_delay_alu instid0(SALU_CYCLE_1)
	s_and_not1_b32 vcc_lo, exec_lo, s15
	s_cbranch_vccnz .LBB158_4181
; %bb.3476:
	v_add_nc_u32_e32 v28, s13, v28
	s_cmp_lt_i32 s3, 11
	s_delay_alu instid0(VALU_DEP_1) | instskip(SKIP_1) | instid1(VALU_DEP_1)
	v_ashrrev_i32_e32 v29, 31, v28
	s_wait_xcnt 0x0
	v_add_nc_u64_e32 v[32:33], s[8:9], v[28:29]
	s_cbranch_scc1 .LBB158_3483
; %bb.3477:
	s_and_b32 s1, 0xffff, s3
	s_mov_b32 s6, 0
	s_cmp_gt_i32 s1, 25
	s_cbranch_scc0 .LBB158_3484
; %bb.3478:
	s_cmp_gt_i32 s1, 28
	s_cbranch_scc0 .LBB158_3485
; %bb.3479:
	;; [unrolled: 3-line block ×4, first 2 shown]
	s_cmp_eq_u32 s1, 46
	s_mov_b32 s8, 0
	s_cbranch_scc0 .LBB158_3492
; %bb.3482:
	global_load_b32 v1, v[32:33], off
	s_mov_b32 s2, 0
	s_mov_b32 s7, -1
	s_wait_loadcnt 0x0
	v_and_b32_e32 v29, 0xffff0000, v1
	v_lshlrev_b32_e32 v28, 16, v1
	s_branch .LBB158_3494
.LBB158_3483:
	s_mov_b32 s1, -1
	s_mov_b32 s7, 0
                                        ; implicit-def: $vgpr29
	s_branch .LBB158_3528
.LBB158_3484:
	s_mov_b32 s8, -1
	s_mov_b32 s7, 0
	s_mov_b32 s2, 0
                                        ; implicit-def: $vgpr29
	s_branch .LBB158_3523
.LBB158_3485:
	s_mov_b32 s8, -1
	s_mov_b32 s7, 0
	s_mov_b32 s2, 0
                                        ; implicit-def: $vgpr29
	s_branch .LBB158_3506
.LBB158_3486:
	s_mov_b32 s8, -1
	s_mov_b32 s7, 0
	s_mov_b32 s2, 0
                                        ; implicit-def: $vgpr29
	s_branch .LBB158_3500
.LBB158_3487:
	s_mov_b32 s7, -1
	s_mov_b32 s21, exec_lo
	v_cmpx_eq_u16_e32 0x80, v1
; %bb.3488:
	s_xor_b32 s7, exec_lo, -1
; %bb.3489:
	s_or_b32 exec_lo, exec_lo, s21
	s_delay_alu instid0(SALU_CYCLE_1)
	s_and_b32 s7, s7, exec_lo
	s_or_saveexec_b32 s15, s15
	v_mov_b32_e32 v22, 0x7f800001
	s_xor_b32 exec_lo, exec_lo, s15
	s_cbranch_execz .LBB158_3403
.LBB158_3490:
	v_cmp_ne_u16_e32 vcc_lo, 0, v1
	v_mov_b32_e32 v22, 0
	s_and_not1_b32 s7, s7, exec_lo
	s_and_b32 s21, vcc_lo, exec_lo
	s_delay_alu instid0(SALU_CYCLE_1)
	s_or_b32 s7, s7, s21
	s_or_b32 exec_lo, exec_lo, s15
	s_and_saveexec_b32 s15, s7
	s_cbranch_execnz .LBB158_3404
	s_branch .LBB158_3405
.LBB158_3491:
	s_mov_b32 s8, -1
	s_mov_b32 s7, 0
	s_mov_b32 s2, 0
	s_branch .LBB158_3493
.LBB158_3492:
	s_mov_b32 s2, -1
	s_mov_b32 s7, 0
.LBB158_3493:
                                        ; implicit-def: $vgpr29
.LBB158_3494:
	s_and_b32 vcc_lo, exec_lo, s8
	s_cbranch_vccz .LBB158_3499
; %bb.3495:
	s_cmp_eq_u32 s1, 44
	s_cbranch_scc0 .LBB158_3497
; %bb.3496:
	global_load_u8 v1, v[32:33], off
	s_mov_b32 s2, 0
	s_mov_b32 s7, -1
	s_wait_loadcnt 0x0
	v_lshlrev_b32_e32 v3, 23, v1
	v_cmp_ne_u32_e32 vcc_lo, 0xff, v1
	s_delay_alu instid0(VALU_DEP_2) | instskip(SKIP_1) | instid1(VALU_DEP_2)
	v_cndmask_b32_e32 v3, 0x7f800001, v3, vcc_lo
	v_cmp_ne_u32_e32 vcc_lo, 0, v1
	v_cndmask_b32_e32 v28, 0x400000, v3, vcc_lo
	s_branch .LBB158_3498
.LBB158_3497:
	s_mov_b32 s2, -1
                                        ; implicit-def: $vgpr28
.LBB158_3498:
	v_mov_b32_e32 v29, 0
.LBB158_3499:
	s_mov_b32 s8, 0
.LBB158_3500:
	s_delay_alu instid0(SALU_CYCLE_1)
	s_and_b32 vcc_lo, exec_lo, s8
	s_cbranch_vccz .LBB158_3505
; %bb.3501:
	s_cmp_eq_u32 s1, 29
	s_cbranch_scc0 .LBB158_3503
; %bb.3502:
	global_load_b64 v[28:29], v[32:33], off
	s_mov_b32 s2, 0
	s_mov_b32 s7, -1
	s_wait_loadcnt 0x0
	v_clz_i32_u32_e32 v1, v29
	s_delay_alu instid0(VALU_DEP_1) | instskip(NEXT) | instid1(VALU_DEP_1)
	v_min_u32_e32 v1, 32, v1
	v_lshlrev_b64_e32 v[28:29], v1, v[28:29]
	v_sub_nc_u32_e32 v1, 32, v1
	s_delay_alu instid0(VALU_DEP_2) | instskip(NEXT) | instid1(VALU_DEP_1)
	v_min_u32_e32 v3, 1, v28
	v_or_b32_e32 v3, v29, v3
	s_delay_alu instid0(VALU_DEP_1) | instskip(NEXT) | instid1(VALU_DEP_1)
	v_cvt_f32_u32_e32 v3, v3
	v_ldexp_f32 v28, v3, v1
	s_branch .LBB158_3504
.LBB158_3503:
	s_mov_b32 s2, -1
                                        ; implicit-def: $vgpr28
.LBB158_3504:
	v_mov_b32_e32 v29, 0
.LBB158_3505:
	s_mov_b32 s8, 0
.LBB158_3506:
	s_delay_alu instid0(SALU_CYCLE_1)
	s_and_b32 vcc_lo, exec_lo, s8
	s_cbranch_vccz .LBB158_3522
; %bb.3507:
	s_cmp_lt_i32 s1, 27
	s_cbranch_scc1 .LBB158_3510
; %bb.3508:
	s_cmp_gt_i32 s1, 27
	s_cbranch_scc0 .LBB158_3511
; %bb.3509:
	global_load_b32 v1, v[32:33], off
	s_mov_b32 s7, 0
	s_wait_loadcnt 0x0
	v_cvt_f32_u32_e32 v28, v1
	s_branch .LBB158_3512
.LBB158_3510:
	s_mov_b32 s7, -1
                                        ; implicit-def: $vgpr28
	s_branch .LBB158_3515
.LBB158_3511:
	s_mov_b32 s7, -1
                                        ; implicit-def: $vgpr28
.LBB158_3512:
	s_delay_alu instid0(SALU_CYCLE_1)
	s_and_not1_b32 vcc_lo, exec_lo, s7
	s_cbranch_vccnz .LBB158_3514
; %bb.3513:
	global_load_u16 v1, v[32:33], off
	s_wait_loadcnt 0x0
	v_cvt_f32_u32_e32 v28, v1
.LBB158_3514:
	s_mov_b32 s7, 0
.LBB158_3515:
	s_delay_alu instid0(SALU_CYCLE_1)
	s_and_not1_b32 vcc_lo, exec_lo, s7
	s_cbranch_vccnz .LBB158_3521
; %bb.3516:
	global_load_u8 v1, v[32:33], off
	s_mov_b32 s7, 0
	s_mov_b32 s8, exec_lo
	s_wait_loadcnt 0x0
	v_cmpx_lt_i16_e32 0x7f, v1
	s_xor_b32 s8, exec_lo, s8
	s_cbranch_execnz .LBB158_3547
; %bb.3517:
	s_or_saveexec_b32 s8, s8
	v_mov_b32_e32 v28, 0x7f800001
	s_xor_b32 exec_lo, exec_lo, s8
	s_cbranch_execnz .LBB158_3550
.LBB158_3518:
	s_or_b32 exec_lo, exec_lo, s8
	s_and_saveexec_b32 s8, s7
	s_cbranch_execz .LBB158_3520
.LBB158_3519:
	v_and_b32_e32 v3, 0xffff, v1
	s_delay_alu instid0(VALU_DEP_1) | instskip(SKIP_1) | instid1(VALU_DEP_2)
	v_dual_lshlrev_b32 v1, 24, v1 :: v_dual_bitop2_b32 v7, 7, v3 bitop3:0x40
	v_bfe_u32 v19, v3, 3, 4
	v_and_b32_e32 v1, 0x80000000, v1
	s_delay_alu instid0(VALU_DEP_3) | instskip(NEXT) | instid1(VALU_DEP_3)
	v_clz_i32_u32_e32 v11, v7
	v_cmp_eq_u32_e32 vcc_lo, 0, v19
	s_delay_alu instid0(VALU_DEP_2) | instskip(NEXT) | instid1(VALU_DEP_1)
	v_min_u32_e32 v11, 32, v11
	v_subrev_nc_u32_e32 v15, 28, v11
	v_sub_nc_u32_e32 v11, 29, v11
	s_delay_alu instid0(VALU_DEP_2) | instskip(NEXT) | instid1(VALU_DEP_2)
	v_lshlrev_b32_e32 v3, v15, v3
	v_cndmask_b32_e32 v11, v19, v11, vcc_lo
	s_delay_alu instid0(VALU_DEP_2) | instskip(NEXT) | instid1(VALU_DEP_1)
	v_and_b32_e32 v3, 7, v3
	v_cndmask_b32_e32 v3, v7, v3, vcc_lo
	s_delay_alu instid0(VALU_DEP_3) | instskip(NEXT) | instid1(VALU_DEP_2)
	v_lshl_add_u32 v7, v11, 23, 0x3b800000
	v_lshlrev_b32_e32 v3, 20, v3
	s_delay_alu instid0(VALU_DEP_1)
	v_or3_b32 v28, v1, v7, v3
.LBB158_3520:
	s_or_b32 exec_lo, exec_lo, s8
.LBB158_3521:
	v_mov_b32_e32 v29, 0
	s_mov_b32 s7, -1
.LBB158_3522:
	s_mov_b32 s8, 0
.LBB158_3523:
	s_delay_alu instid0(SALU_CYCLE_1)
	s_and_b32 vcc_lo, exec_lo, s8
	s_cbranch_vccnz .LBB158_3534
; %bb.3524:
	s_and_b32 vcc_lo, exec_lo, s2
	s_cbranch_vccnz .LBB158_3595
.LBB158_3525:
	s_and_not1_b32 vcc_lo, exec_lo, s6
	s_cbranch_vccnz .LBB158_3527
.LBB158_3526:
	global_load_u8 v1, v[32:33], off
	v_mov_b32_e32 v29, 0
	s_mov_b32 s7, -1
	s_wait_loadcnt 0x0
	v_cmp_ne_u16_e32 vcc_lo, 0, v1
	v_cndmask_b32_e64 v28, 0, 1.0, vcc_lo
.LBB158_3527:
	s_mov_b32 s1, 0
.LBB158_3528:
	s_delay_alu instid0(SALU_CYCLE_1)
	s_and_b32 vcc_lo, exec_lo, s1
	s_cbranch_vccz .LBB158_3611
; %bb.3529:
	s_and_b32 s1, 0xffff, s3
	s_delay_alu instid0(SALU_CYCLE_1)
	s_cmp_lt_i32 s1, 5
	s_cbranch_scc1 .LBB158_3542
; %bb.3530:
	s_cmp_lt_i32 s1, 8
	s_cbranch_scc1 .LBB158_3543
; %bb.3531:
	;; [unrolled: 3-line block ×3, first 2 shown]
	s_cmp_gt_i32 s1, 9
	s_cbranch_scc0 .LBB158_3551
; %bb.3533:
	global_load_b128 v[36:39], v[32:33], off
	s_mov_b32 s2, 0
	s_wait_loadcnt 0x0
	v_cvt_f32_f64_e32 v28, v[36:37]
	v_cvt_f32_f64_e32 v29, v[38:39]
	s_branch .LBB158_3552
.LBB158_3534:
	s_cmp_gt_i32 s1, 22
	s_cbranch_scc0 .LBB158_3544
; %bb.3535:
	s_cmp_lt_i32 s1, 24
	s_cbranch_scc1 .LBB158_3546
; %bb.3536:
	s_cmp_gt_i32 s1, 24
	s_cbranch_scc0 .LBB158_3563
; %bb.3537:
	global_load_u8 v1, v[32:33], off
	s_mov_b32 s7, exec_lo
	s_wait_loadcnt 0x0
	v_cmpx_lt_i16_e32 0x7f, v1
	s_xor_b32 s7, exec_lo, s7
	s_cbranch_execnz .LBB158_3623
; %bb.3538:
	s_or_saveexec_b32 s7, s7
	v_mov_b32_e32 v28, 0x7f800001
	s_xor_b32 exec_lo, exec_lo, s7
	s_cbranch_execnz .LBB158_3626
.LBB158_3539:
	s_or_b32 exec_lo, exec_lo, s7
	s_and_saveexec_b32 s7, s6
	s_cbranch_execz .LBB158_3541
.LBB158_3540:
	v_and_b32_e32 v3, 0xffff, v1
	s_delay_alu instid0(VALU_DEP_1) | instskip(SKIP_1) | instid1(VALU_DEP_2)
	v_dual_lshlrev_b32 v1, 24, v1 :: v_dual_bitop2_b32 v7, 3, v3 bitop3:0x40
	v_bfe_u32 v19, v3, 2, 5
	v_and_b32_e32 v1, 0x80000000, v1
	s_delay_alu instid0(VALU_DEP_3) | instskip(NEXT) | instid1(VALU_DEP_3)
	v_clz_i32_u32_e32 v11, v7
	v_cmp_eq_u32_e32 vcc_lo, 0, v19
	s_delay_alu instid0(VALU_DEP_2) | instskip(NEXT) | instid1(VALU_DEP_1)
	v_min_u32_e32 v11, 32, v11
	v_subrev_nc_u32_e32 v15, 29, v11
	v_sub_nc_u32_e32 v11, 30, v11
	s_delay_alu instid0(VALU_DEP_2) | instskip(NEXT) | instid1(VALU_DEP_2)
	v_lshlrev_b32_e32 v3, v15, v3
	v_cndmask_b32_e32 v11, v19, v11, vcc_lo
	s_delay_alu instid0(VALU_DEP_2) | instskip(NEXT) | instid1(VALU_DEP_1)
	v_and_b32_e32 v3, 3, v3
	v_cndmask_b32_e32 v3, v7, v3, vcc_lo
	s_delay_alu instid0(VALU_DEP_3) | instskip(NEXT) | instid1(VALU_DEP_2)
	v_lshl_add_u32 v7, v11, 23, 0x37800000
	v_lshlrev_b32_e32 v3, 21, v3
	s_delay_alu instid0(VALU_DEP_1)
	v_or3_b32 v28, v1, v7, v3
.LBB158_3541:
	s_or_b32 exec_lo, exec_lo, s7
	s_mov_b32 s6, 0
	s_branch .LBB158_3564
.LBB158_3542:
	s_mov_b32 s2, -1
                                        ; implicit-def: $vgpr29
	s_branch .LBB158_3583
.LBB158_3543:
	s_mov_b32 s2, -1
                                        ; implicit-def: $vgpr29
	s_branch .LBB158_3558
.LBB158_3544:
	s_mov_b32 s6, -1
                                        ; implicit-def: $vgpr28
	s_branch .LBB158_3570
.LBB158_3545:
	s_mov_b32 s2, -1
                                        ; implicit-def: $vgpr29
	s_branch .LBB158_3555
.LBB158_3546:
	s_mov_b32 s6, -1
                                        ; implicit-def: $vgpr28
	s_branch .LBB158_3567
.LBB158_3547:
	s_mov_b32 s7, -1
	s_mov_b32 s9, exec_lo
	v_cmpx_eq_u16_e32 0x80, v1
; %bb.3548:
	s_xor_b32 s7, exec_lo, -1
; %bb.3549:
	s_or_b32 exec_lo, exec_lo, s9
	s_delay_alu instid0(SALU_CYCLE_1)
	s_and_b32 s7, s7, exec_lo
	s_or_saveexec_b32 s8, s8
	v_mov_b32_e32 v28, 0x7f800001
	s_xor_b32 exec_lo, exec_lo, s8
	s_cbranch_execz .LBB158_3518
.LBB158_3550:
	v_cmp_ne_u16_e32 vcc_lo, 0, v1
	v_mov_b32_e32 v28, 0
	s_and_not1_b32 s7, s7, exec_lo
	s_and_b32 s9, vcc_lo, exec_lo
	s_delay_alu instid0(SALU_CYCLE_1)
	s_or_b32 s7, s7, s9
	s_or_b32 exec_lo, exec_lo, s8
	s_and_saveexec_b32 s8, s7
	s_cbranch_execnz .LBB158_3519
	s_branch .LBB158_3520
.LBB158_3551:
	s_mov_b32 s2, -1
                                        ; implicit-def: $vgpr29
.LBB158_3552:
	s_delay_alu instid0(SALU_CYCLE_1)
	s_and_not1_b32 vcc_lo, exec_lo, s2
	s_cbranch_vccnz .LBB158_3554
; %bb.3553:
	global_load_b64 v[28:29], v[32:33], off
.LBB158_3554:
	s_mov_b32 s2, 0
.LBB158_3555:
	s_delay_alu instid0(SALU_CYCLE_1)
	s_and_not1_b32 vcc_lo, exec_lo, s2
	s_cbranch_vccnz .LBB158_3557
; %bb.3556:
	global_load_b32 v1, v[32:33], off
	s_wait_loadcnt 0x0
	v_lshrrev_b32_e32 v3, 16, v1
	v_cvt_f32_f16_e32 v28, v1
	s_delay_alu instid0(VALU_DEP_2)
	v_cvt_f32_f16_e32 v29, v3
.LBB158_3557:
	s_mov_b32 s2, 0
.LBB158_3558:
	s_delay_alu instid0(SALU_CYCLE_1)
	s_and_not1_b32 vcc_lo, exec_lo, s2
	s_cbranch_vccnz .LBB158_3582
; %bb.3559:
	s_cmp_lt_i32 s1, 6
	s_cbranch_scc1 .LBB158_3562
; %bb.3560:
	s_cmp_gt_i32 s1, 6
	s_cbranch_scc0 .LBB158_3575
; %bb.3561:
	s_wait_loadcnt 0x0
	global_load_b64 v[28:29], v[32:33], off
	s_mov_b32 s2, 0
	s_wait_loadcnt 0x0
	v_cvt_f32_f64_e32 v28, v[28:29]
	s_branch .LBB158_3576
.LBB158_3562:
	s_mov_b32 s2, -1
                                        ; implicit-def: $vgpr28
	s_branch .LBB158_3579
.LBB158_3563:
	s_mov_b32 s6, -1
                                        ; implicit-def: $vgpr28
.LBB158_3564:
	s_delay_alu instid0(SALU_CYCLE_1)
	s_and_b32 vcc_lo, exec_lo, s6
	s_cbranch_vccz .LBB158_3566
; %bb.3565:
	global_load_u8 v1, v[32:33], off
	s_wait_loadcnt 0x0
	v_lshlrev_b32_e32 v1, 24, v1
	s_delay_alu instid0(VALU_DEP_1) | instskip(NEXT) | instid1(VALU_DEP_1)
	v_and_b32_e32 v3, 0x7f000000, v1
	v_clz_i32_u32_e32 v7, v3
	v_add_nc_u32_e32 v15, 0x1000000, v3
	v_cmp_ne_u32_e32 vcc_lo, 0, v3
	s_delay_alu instid0(VALU_DEP_3) | instskip(NEXT) | instid1(VALU_DEP_1)
	v_min_u32_e32 v7, 32, v7
	v_sub_nc_u32_e64 v7, v7, 4 clamp
	s_delay_alu instid0(VALU_DEP_1) | instskip(SKIP_1) | instid1(VALU_DEP_2)
	v_lshlrev_b32_e32 v11, v7, v3
	v_lshlrev_b32_e32 v7, 23, v7
	v_lshrrev_b32_e32 v11, 4, v11
	s_delay_alu instid0(VALU_DEP_1) | instskip(SKIP_1) | instid1(VALU_DEP_2)
	v_sub_nc_u32_e32 v7, v11, v7
	v_ashrrev_i32_e32 v11, 8, v15
	v_add_nc_u32_e32 v7, 0x3c000000, v7
	s_delay_alu instid0(VALU_DEP_1) | instskip(NEXT) | instid1(VALU_DEP_1)
	v_and_or_b32 v7, 0x7f800000, v11, v7
	v_cndmask_b32_e32 v3, 0, v7, vcc_lo
	s_delay_alu instid0(VALU_DEP_1)
	v_and_or_b32 v28, 0x80000000, v1, v3
.LBB158_3566:
	s_mov_b32 s6, 0
.LBB158_3567:
	s_delay_alu instid0(SALU_CYCLE_1)
	s_and_not1_b32 vcc_lo, exec_lo, s6
	s_cbranch_vccnz .LBB158_3569
; %bb.3568:
	global_load_u8 v1, v[32:33], off
	s_wait_loadcnt 0x0
	v_lshlrev_b32_e32 v3, 25, v1
	v_lshlrev_b16 v1, 8, v1
	s_delay_alu instid0(VALU_DEP_1) | instskip(SKIP_1) | instid1(VALU_DEP_2)
	v_and_or_b32 v11, 0x7f00, v1, 0.5
	v_bfe_i32 v1, v1, 0, 16
	v_add_f32_e32 v11, -0.5, v11
	v_lshrrev_b32_e32 v7, 4, v3
	v_cmp_gt_u32_e32 vcc_lo, 0x8000000, v3
	s_delay_alu instid0(VALU_DEP_2) | instskip(NEXT) | instid1(VALU_DEP_1)
	v_or_b32_e32 v7, 0x70000000, v7
	v_mul_f32_e32 v7, 0x7800000, v7
	s_delay_alu instid0(VALU_DEP_1) | instskip(NEXT) | instid1(VALU_DEP_1)
	v_cndmask_b32_e32 v3, v7, v11, vcc_lo
	v_and_or_b32 v28, 0x80000000, v1, v3
.LBB158_3569:
	s_mov_b32 s6, 0
	s_mov_b32 s7, -1
.LBB158_3570:
	s_and_not1_b32 vcc_lo, exec_lo, s6
	s_mov_b32 s6, 0
	s_cbranch_vccnz .LBB158_3594
; %bb.3571:
	s_cmp_gt_i32 s1, 14
	s_cbranch_scc0 .LBB158_3574
; %bb.3572:
	s_cmp_eq_u32 s1, 15
	s_cbranch_scc0 .LBB158_3590
; %bb.3573:
	global_load_u16 v1, v[32:33], off
	s_mov_b32 s2, 0
	s_mov_b32 s7, -1
	s_wait_loadcnt 0x0
	v_lshlrev_b32_e32 v28, 16, v1
	s_branch .LBB158_3592
.LBB158_3574:
	s_mov_b32 s6, -1
	s_branch .LBB158_3591
.LBB158_3575:
	s_mov_b32 s2, -1
                                        ; implicit-def: $vgpr28
.LBB158_3576:
	s_delay_alu instid0(SALU_CYCLE_1)
	s_and_not1_b32 vcc_lo, exec_lo, s2
	s_cbranch_vccnz .LBB158_3578
; %bb.3577:
	s_wait_loadcnt 0x0
	global_load_b32 v28, v[32:33], off
.LBB158_3578:
	s_mov_b32 s2, 0
.LBB158_3579:
	s_delay_alu instid0(SALU_CYCLE_1)
	s_and_not1_b32 vcc_lo, exec_lo, s2
	s_cbranch_vccnz .LBB158_3581
; %bb.3580:
	global_load_u16 v1, v[32:33], off
	s_wait_loadcnt 0x0
	v_cvt_f32_f16_e32 v28, v1
.LBB158_3581:
	s_wait_loadcnt 0x0
	v_mov_b32_e32 v29, 0
.LBB158_3582:
	s_mov_b32 s2, 0
.LBB158_3583:
	s_delay_alu instid0(SALU_CYCLE_1)
	s_and_not1_b32 vcc_lo, exec_lo, s2
	s_cbranch_vccnz .LBB158_3610
; %bb.3584:
	s_cmp_lt_i32 s1, 2
	s_cbranch_scc1 .LBB158_3588
; %bb.3585:
	s_cmp_lt_i32 s1, 3
	s_cbranch_scc1 .LBB158_3589
; %bb.3586:
	s_cmp_gt_i32 s1, 3
	s_cbranch_scc0 .LBB158_3596
; %bb.3587:
	s_wait_loadcnt 0x0
	global_load_b64 v[28:29], v[32:33], off
	s_mov_b32 s2, 0
	s_wait_loadcnt 0x0
	v_xor_b32_e32 v1, v28, v29
	v_cls_i32_e32 v3, v29
	s_delay_alu instid0(VALU_DEP_2) | instskip(NEXT) | instid1(VALU_DEP_1)
	v_ashrrev_i32_e32 v1, 31, v1
	v_add_nc_u32_e32 v1, 32, v1
	s_delay_alu instid0(VALU_DEP_1) | instskip(NEXT) | instid1(VALU_DEP_1)
	v_add_min_u32_e64 v1, v3, -1, v1
	v_lshlrev_b64_e32 v[28:29], v1, v[28:29]
	v_sub_nc_u32_e32 v1, 32, v1
	s_delay_alu instid0(VALU_DEP_2) | instskip(NEXT) | instid1(VALU_DEP_1)
	v_min_u32_e32 v3, 1, v28
	v_or_b32_e32 v3, v29, v3
	s_delay_alu instid0(VALU_DEP_1) | instskip(NEXT) | instid1(VALU_DEP_1)
	v_cvt_f32_i32_e32 v3, v3
	v_ldexp_f32 v28, v3, v1
	s_branch .LBB158_3597
.LBB158_3588:
	s_mov_b32 s2, -1
                                        ; implicit-def: $vgpr28
	s_branch .LBB158_3603
.LBB158_3589:
	s_mov_b32 s2, -1
                                        ; implicit-def: $vgpr28
	s_branch .LBB158_3600
.LBB158_3590:
	s_mov_b32 s2, -1
.LBB158_3591:
                                        ; implicit-def: $vgpr28
.LBB158_3592:
	s_and_b32 vcc_lo, exec_lo, s6
	s_mov_b32 s6, 0
	s_cbranch_vccz .LBB158_3594
; %bb.3593:
	s_cmp_lg_u32 s1, 11
	s_mov_b32 s6, -1
	s_cselect_b32 s2, -1, 0
.LBB158_3594:
	v_mov_b32_e32 v29, 0
	s_and_b32 vcc_lo, exec_lo, s2
	s_cbranch_vccz .LBB158_3525
.LBB158_3595:
	s_or_b32 s22, s22, exec_lo
	s_trap 2
	s_cbranch_execz .LBB158_3526
	s_branch .LBB158_3527
.LBB158_3596:
	s_mov_b32 s2, -1
                                        ; implicit-def: $vgpr28
.LBB158_3597:
	s_delay_alu instid0(SALU_CYCLE_1)
	s_and_not1_b32 vcc_lo, exec_lo, s2
	s_cbranch_vccnz .LBB158_3599
; %bb.3598:
	global_load_b32 v1, v[32:33], off
	s_wait_loadcnt 0x0
	v_cvt_f32_i32_e32 v28, v1
.LBB158_3599:
	s_mov_b32 s2, 0
.LBB158_3600:
	s_delay_alu instid0(SALU_CYCLE_1)
	s_and_not1_b32 vcc_lo, exec_lo, s2
	s_cbranch_vccnz .LBB158_3602
; %bb.3601:
	global_load_i16 v1, v[32:33], off
	s_wait_loadcnt 0x0
	v_cvt_f32_i32_e32 v28, v1
.LBB158_3602:
	s_mov_b32 s2, 0
.LBB158_3603:
	s_delay_alu instid0(SALU_CYCLE_1)
	s_and_not1_b32 vcc_lo, exec_lo, s2
	s_cbranch_vccnz .LBB158_3609
; %bb.3604:
	s_cmp_gt_i32 s1, 0
	s_mov_b32 s1, 0
	s_cbranch_scc0 .LBB158_3606
; %bb.3605:
	global_load_i8 v1, v[32:33], off
	s_wait_loadcnt 0x0
	v_cvt_f32_i32_e32 v28, v1
	s_branch .LBB158_3607
.LBB158_3606:
	s_mov_b32 s1, -1
                                        ; implicit-def: $vgpr28
.LBB158_3607:
	s_delay_alu instid0(SALU_CYCLE_1)
	s_and_not1_b32 vcc_lo, exec_lo, s1
	s_cbranch_vccnz .LBB158_3609
; %bb.3608:
	global_load_u8 v1, v[32:33], off
	s_wait_loadcnt 0x0
	v_cvt_f32_ubyte0_e32 v28, v1
.LBB158_3609:
	s_wait_loadcnt 0x0
	v_mov_b32_e32 v29, 0
.LBB158_3610:
	s_mov_b32 s7, -1
.LBB158_3611:
	s_delay_alu instid0(SALU_CYCLE_1)
	s_and_not1_b32 vcc_lo, exec_lo, s7
	s_cbranch_vccnz .LBB158_4181
; %bb.3612:
	v_add_nc_u32_e32 v30, s14, v30
	s_cmp_lt_i32 s0, 11
	s_delay_alu instid0(VALU_DEP_1) | instskip(SKIP_1) | instid1(VALU_DEP_1)
	v_ashrrev_i32_e32 v31, 31, v30
	s_wait_xcnt 0x0
	v_add_nc_u64_e32 v[32:33], s[10:11], v[30:31]
	s_cbranch_scc1 .LBB158_3619
; %bb.3613:
	s_cmp_gt_i32 s0, 25
	s_mov_b32 s2, 0
	s_cbranch_scc0 .LBB158_3620
; %bb.3614:
	s_cmp_gt_i32 s0, 28
	s_cbranch_scc0 .LBB158_3621
; %bb.3615:
	s_cmp_gt_i32 s0, 43
	;; [unrolled: 3-line block ×3, first 2 shown]
	s_cbranch_scc0 .LBB158_3627
; %bb.3617:
	s_cmp_eq_u32 s0, 46
	s_mov_b32 s6, 0
	s_cbranch_scc0 .LBB158_3628
; %bb.3618:
	global_load_b32 v1, v[32:33], off
	s_mov_b32 s1, 0
	s_mov_b32 s3, -1
	s_wait_loadcnt 0x0
	v_and_b32_e32 v31, 0xffff0000, v1
	v_lshlrev_b32_e32 v30, 16, v1
	s_branch .LBB158_3630
.LBB158_3619:
	s_mov_b32 s1, -1
	s_mov_b32 s3, 0
                                        ; implicit-def: $vgpr31
	s_branch .LBB158_3664
.LBB158_3620:
	s_mov_b32 s6, -1
	s_mov_b32 s3, 0
	s_mov_b32 s1, 0
                                        ; implicit-def: $vgpr31
	s_branch .LBB158_3659
.LBB158_3621:
	s_mov_b32 s6, -1
	s_mov_b32 s3, 0
	s_mov_b32 s1, 0
                                        ; implicit-def: $vgpr31
	s_branch .LBB158_3642
.LBB158_3622:
	s_mov_b32 s6, -1
	s_mov_b32 s3, 0
	s_mov_b32 s1, 0
                                        ; implicit-def: $vgpr31
	s_branch .LBB158_3636
.LBB158_3623:
	s_mov_b32 s6, -1
	s_mov_b32 s8, exec_lo
	v_cmpx_eq_u16_e32 0x80, v1
; %bb.3624:
	s_xor_b32 s6, exec_lo, -1
; %bb.3625:
	s_or_b32 exec_lo, exec_lo, s8
	s_delay_alu instid0(SALU_CYCLE_1)
	s_and_b32 s6, s6, exec_lo
	s_or_saveexec_b32 s7, s7
	v_mov_b32_e32 v28, 0x7f800001
	s_xor_b32 exec_lo, exec_lo, s7
	s_cbranch_execz .LBB158_3539
.LBB158_3626:
	v_cmp_ne_u16_e32 vcc_lo, 0, v1
	v_mov_b32_e32 v28, 0
	s_and_not1_b32 s6, s6, exec_lo
	s_and_b32 s8, vcc_lo, exec_lo
	s_delay_alu instid0(SALU_CYCLE_1)
	s_or_b32 s6, s6, s8
	s_or_b32 exec_lo, exec_lo, s7
	s_and_saveexec_b32 s7, s6
	s_cbranch_execnz .LBB158_3540
	s_branch .LBB158_3541
.LBB158_3627:
	s_mov_b32 s6, -1
	s_mov_b32 s3, 0
	s_mov_b32 s1, 0
	s_branch .LBB158_3629
.LBB158_3628:
	s_mov_b32 s1, -1
	s_mov_b32 s3, 0
.LBB158_3629:
                                        ; implicit-def: $vgpr31
.LBB158_3630:
	s_and_b32 vcc_lo, exec_lo, s6
	s_cbranch_vccz .LBB158_3635
; %bb.3631:
	s_cmp_eq_u32 s0, 44
	s_cbranch_scc0 .LBB158_3633
; %bb.3632:
	global_load_u8 v1, v[32:33], off
	s_mov_b32 s1, 0
	s_mov_b32 s3, -1
	s_wait_loadcnt 0x0
	v_lshlrev_b32_e32 v3, 23, v1
	v_cmp_ne_u32_e32 vcc_lo, 0xff, v1
	s_delay_alu instid0(VALU_DEP_2) | instskip(SKIP_1) | instid1(VALU_DEP_2)
	v_cndmask_b32_e32 v3, 0x7f800001, v3, vcc_lo
	v_cmp_ne_u32_e32 vcc_lo, 0, v1
	v_cndmask_b32_e32 v30, 0x400000, v3, vcc_lo
	s_branch .LBB158_3634
.LBB158_3633:
	s_mov_b32 s1, -1
                                        ; implicit-def: $vgpr30
.LBB158_3634:
	v_mov_b32_e32 v31, 0
.LBB158_3635:
	s_mov_b32 s6, 0
.LBB158_3636:
	s_delay_alu instid0(SALU_CYCLE_1)
	s_and_b32 vcc_lo, exec_lo, s6
	s_cbranch_vccz .LBB158_3641
; %bb.3637:
	s_cmp_eq_u32 s0, 29
	s_cbranch_scc0 .LBB158_3639
; %bb.3638:
	global_load_b64 v[30:31], v[32:33], off
	s_mov_b32 s1, 0
	s_mov_b32 s3, -1
	s_wait_loadcnt 0x0
	v_clz_i32_u32_e32 v1, v31
	s_delay_alu instid0(VALU_DEP_1) | instskip(NEXT) | instid1(VALU_DEP_1)
	v_min_u32_e32 v1, 32, v1
	v_lshlrev_b64_e32 v[30:31], v1, v[30:31]
	v_sub_nc_u32_e32 v1, 32, v1
	s_delay_alu instid0(VALU_DEP_2) | instskip(NEXT) | instid1(VALU_DEP_1)
	v_min_u32_e32 v3, 1, v30
	v_or_b32_e32 v3, v31, v3
	s_delay_alu instid0(VALU_DEP_1) | instskip(NEXT) | instid1(VALU_DEP_1)
	v_cvt_f32_u32_e32 v3, v3
	v_ldexp_f32 v30, v3, v1
	s_branch .LBB158_3640
.LBB158_3639:
	s_mov_b32 s1, -1
                                        ; implicit-def: $vgpr30
.LBB158_3640:
	v_mov_b32_e32 v31, 0
.LBB158_3641:
	s_mov_b32 s6, 0
.LBB158_3642:
	s_delay_alu instid0(SALU_CYCLE_1)
	s_and_b32 vcc_lo, exec_lo, s6
	s_cbranch_vccz .LBB158_3658
; %bb.3643:
	s_cmp_lt_i32 s0, 27
	s_cbranch_scc1 .LBB158_3646
; %bb.3644:
	s_cmp_gt_i32 s0, 27
	s_cbranch_scc0 .LBB158_3647
; %bb.3645:
	global_load_b32 v1, v[32:33], off
	s_mov_b32 s3, 0
	s_wait_loadcnt 0x0
	v_cvt_f32_u32_e32 v30, v1
	s_branch .LBB158_3648
.LBB158_3646:
	s_mov_b32 s3, -1
                                        ; implicit-def: $vgpr30
	s_branch .LBB158_3651
.LBB158_3647:
	s_mov_b32 s3, -1
                                        ; implicit-def: $vgpr30
.LBB158_3648:
	s_delay_alu instid0(SALU_CYCLE_1)
	s_and_not1_b32 vcc_lo, exec_lo, s3
	s_cbranch_vccnz .LBB158_3650
; %bb.3649:
	global_load_u16 v1, v[32:33], off
	s_wait_loadcnt 0x0
	v_cvt_f32_u32_e32 v30, v1
.LBB158_3650:
	s_mov_b32 s3, 0
.LBB158_3651:
	s_delay_alu instid0(SALU_CYCLE_1)
	s_and_not1_b32 vcc_lo, exec_lo, s3
	s_cbranch_vccnz .LBB158_3657
; %bb.3652:
	global_load_u8 v1, v[32:33], off
	s_mov_b32 s3, 0
	s_mov_b32 s6, exec_lo
	s_wait_loadcnt 0x0
	v_cmpx_lt_i16_e32 0x7f, v1
	s_xor_b32 s6, exec_lo, s6
	s_cbranch_execnz .LBB158_3683
; %bb.3653:
	s_or_saveexec_b32 s6, s6
	v_mov_b32_e32 v30, 0x7f800001
	s_xor_b32 exec_lo, exec_lo, s6
	s_cbranch_execnz .LBB158_3686
.LBB158_3654:
	s_or_b32 exec_lo, exec_lo, s6
	s_and_saveexec_b32 s6, s3
	s_cbranch_execz .LBB158_3656
.LBB158_3655:
	v_and_b32_e32 v3, 0xffff, v1
	s_delay_alu instid0(VALU_DEP_1) | instskip(SKIP_1) | instid1(VALU_DEP_2)
	v_dual_lshlrev_b32 v1, 24, v1 :: v_dual_bitop2_b32 v7, 7, v3 bitop3:0x40
	v_bfe_u32 v19, v3, 3, 4
	v_and_b32_e32 v1, 0x80000000, v1
	s_delay_alu instid0(VALU_DEP_3) | instskip(NEXT) | instid1(VALU_DEP_3)
	v_clz_i32_u32_e32 v11, v7
	v_cmp_eq_u32_e32 vcc_lo, 0, v19
	s_delay_alu instid0(VALU_DEP_2) | instskip(NEXT) | instid1(VALU_DEP_1)
	v_min_u32_e32 v11, 32, v11
	v_subrev_nc_u32_e32 v15, 28, v11
	v_sub_nc_u32_e32 v11, 29, v11
	s_delay_alu instid0(VALU_DEP_2) | instskip(NEXT) | instid1(VALU_DEP_2)
	v_lshlrev_b32_e32 v3, v15, v3
	v_cndmask_b32_e32 v11, v19, v11, vcc_lo
	s_delay_alu instid0(VALU_DEP_2) | instskip(NEXT) | instid1(VALU_DEP_1)
	v_and_b32_e32 v3, 7, v3
	v_cndmask_b32_e32 v3, v7, v3, vcc_lo
	s_delay_alu instid0(VALU_DEP_3) | instskip(NEXT) | instid1(VALU_DEP_2)
	v_lshl_add_u32 v7, v11, 23, 0x3b800000
	v_lshlrev_b32_e32 v3, 20, v3
	s_delay_alu instid0(VALU_DEP_1)
	v_or3_b32 v30, v1, v7, v3
.LBB158_3656:
	s_or_b32 exec_lo, exec_lo, s6
.LBB158_3657:
	v_mov_b32_e32 v31, 0
	s_mov_b32 s3, -1
.LBB158_3658:
	s_mov_b32 s6, 0
.LBB158_3659:
	s_delay_alu instid0(SALU_CYCLE_1)
	s_and_b32 vcc_lo, exec_lo, s6
	s_cbranch_vccnz .LBB158_3670
; %bb.3660:
	s_and_b32 vcc_lo, exec_lo, s1
	s_cbranch_vccnz .LBB158_3731
.LBB158_3661:
	s_and_not1_b32 vcc_lo, exec_lo, s2
	s_cbranch_vccnz .LBB158_3663
.LBB158_3662:
	global_load_u8 v1, v[32:33], off
	v_mov_b32_e32 v31, 0
	s_mov_b32 s3, -1
	s_wait_loadcnt 0x0
	v_cmp_ne_u16_e32 vcc_lo, 0, v1
	v_cndmask_b32_e64 v30, 0, 1.0, vcc_lo
.LBB158_3663:
	s_mov_b32 s1, 0
.LBB158_3664:
	s_delay_alu instid0(SALU_CYCLE_1)
	s_and_b32 vcc_lo, exec_lo, s1
	s_cbranch_vccz .LBB158_3747
; %bb.3665:
	s_cmp_lt_i32 s0, 5
	s_cbranch_scc1 .LBB158_3678
; %bb.3666:
	s_cmp_lt_i32 s0, 8
	s_cbranch_scc1 .LBB158_3679
; %bb.3667:
	s_cmp_lt_i32 s0, 9
	s_cbranch_scc1 .LBB158_3681
; %bb.3668:
	s_cmp_gt_i32 s0, 9
	s_cbranch_scc0 .LBB158_3687
; %bb.3669:
	global_load_b128 v[36:39], v[32:33], off
	s_mov_b32 s1, 0
	s_wait_loadcnt 0x0
	v_cvt_f32_f64_e32 v30, v[36:37]
	v_cvt_f32_f64_e32 v31, v[38:39]
	s_branch .LBB158_3688
.LBB158_3670:
	s_cmp_gt_i32 s0, 22
	s_cbranch_scc0 .LBB158_3680
; %bb.3671:
	s_cmp_lt_i32 s0, 24
	s_cbranch_scc1 .LBB158_3682
; %bb.3672:
	s_cmp_gt_i32 s0, 24
	s_cbranch_scc0 .LBB158_3699
; %bb.3673:
	global_load_u8 v1, v[32:33], off
	s_mov_b32 s3, exec_lo
	s_wait_loadcnt 0x0
	v_cmpx_lt_i16_e32 0x7f, v1
	s_xor_b32 s3, exec_lo, s3
	s_cbranch_execnz .LBB158_4227
; %bb.3674:
	s_or_saveexec_b32 s3, s3
	v_mov_b32_e32 v30, 0x7f800001
	s_xor_b32 exec_lo, exec_lo, s3
	s_cbranch_execnz .LBB158_4230
.LBB158_3675:
	s_or_b32 exec_lo, exec_lo, s3
	s_and_saveexec_b32 s3, s2
	s_cbranch_execz .LBB158_3677
.LBB158_3676:
	v_and_b32_e32 v3, 0xffff, v1
	s_delay_alu instid0(VALU_DEP_1) | instskip(SKIP_1) | instid1(VALU_DEP_2)
	v_dual_lshlrev_b32 v1, 24, v1 :: v_dual_bitop2_b32 v7, 3, v3 bitop3:0x40
	v_bfe_u32 v19, v3, 2, 5
	v_and_b32_e32 v1, 0x80000000, v1
	s_delay_alu instid0(VALU_DEP_3) | instskip(NEXT) | instid1(VALU_DEP_3)
	v_clz_i32_u32_e32 v11, v7
	v_cmp_eq_u32_e32 vcc_lo, 0, v19
	s_delay_alu instid0(VALU_DEP_2) | instskip(NEXT) | instid1(VALU_DEP_1)
	v_min_u32_e32 v11, 32, v11
	v_subrev_nc_u32_e32 v15, 29, v11
	v_sub_nc_u32_e32 v11, 30, v11
	s_delay_alu instid0(VALU_DEP_2) | instskip(NEXT) | instid1(VALU_DEP_2)
	v_lshlrev_b32_e32 v3, v15, v3
	v_cndmask_b32_e32 v11, v19, v11, vcc_lo
	s_delay_alu instid0(VALU_DEP_2) | instskip(NEXT) | instid1(VALU_DEP_1)
	v_and_b32_e32 v3, 3, v3
	v_cndmask_b32_e32 v3, v7, v3, vcc_lo
	s_delay_alu instid0(VALU_DEP_3) | instskip(NEXT) | instid1(VALU_DEP_2)
	v_lshl_add_u32 v7, v11, 23, 0x37800000
	v_lshlrev_b32_e32 v3, 21, v3
	s_delay_alu instid0(VALU_DEP_1)
	v_or3_b32 v30, v1, v7, v3
.LBB158_3677:
	s_or_b32 exec_lo, exec_lo, s3
	s_mov_b32 s2, 0
	s_branch .LBB158_3700
.LBB158_3678:
	s_mov_b32 s1, -1
                                        ; implicit-def: $vgpr31
	s_branch .LBB158_3719
.LBB158_3679:
	s_mov_b32 s1, -1
                                        ; implicit-def: $vgpr31
	s_branch .LBB158_3694
.LBB158_3680:
	s_mov_b32 s2, -1
                                        ; implicit-def: $vgpr30
	s_branch .LBB158_3706
.LBB158_3681:
	s_mov_b32 s1, -1
                                        ; implicit-def: $vgpr31
	s_branch .LBB158_3691
.LBB158_3682:
	s_mov_b32 s2, -1
                                        ; implicit-def: $vgpr30
	s_branch .LBB158_3703
.LBB158_3683:
	s_mov_b32 s3, -1
	s_mov_b32 s7, exec_lo
	v_cmpx_eq_u16_e32 0x80, v1
; %bb.3684:
	s_xor_b32 s3, exec_lo, -1
; %bb.3685:
	s_or_b32 exec_lo, exec_lo, s7
	s_delay_alu instid0(SALU_CYCLE_1)
	s_and_b32 s3, s3, exec_lo
	s_or_saveexec_b32 s6, s6
	v_mov_b32_e32 v30, 0x7f800001
	s_xor_b32 exec_lo, exec_lo, s6
	s_cbranch_execz .LBB158_3654
.LBB158_3686:
	v_cmp_ne_u16_e32 vcc_lo, 0, v1
	v_mov_b32_e32 v30, 0
	s_and_not1_b32 s3, s3, exec_lo
	s_and_b32 s7, vcc_lo, exec_lo
	s_delay_alu instid0(SALU_CYCLE_1)
	s_or_b32 s3, s3, s7
	s_or_b32 exec_lo, exec_lo, s6
	s_and_saveexec_b32 s6, s3
	s_cbranch_execnz .LBB158_3655
	s_branch .LBB158_3656
.LBB158_3687:
	s_mov_b32 s1, -1
                                        ; implicit-def: $vgpr31
.LBB158_3688:
	s_delay_alu instid0(SALU_CYCLE_1)
	s_and_not1_b32 vcc_lo, exec_lo, s1
	s_cbranch_vccnz .LBB158_3690
; %bb.3689:
	global_load_b64 v[30:31], v[32:33], off
.LBB158_3690:
	s_mov_b32 s1, 0
.LBB158_3691:
	s_delay_alu instid0(SALU_CYCLE_1)
	s_and_not1_b32 vcc_lo, exec_lo, s1
	s_cbranch_vccnz .LBB158_3693
; %bb.3692:
	global_load_b32 v1, v[32:33], off
	s_wait_loadcnt 0x0
	v_lshrrev_b32_e32 v3, 16, v1
	v_cvt_f32_f16_e32 v30, v1
	s_delay_alu instid0(VALU_DEP_2)
	v_cvt_f32_f16_e32 v31, v3
.LBB158_3693:
	s_mov_b32 s1, 0
.LBB158_3694:
	s_delay_alu instid0(SALU_CYCLE_1)
	s_and_not1_b32 vcc_lo, exec_lo, s1
	s_cbranch_vccnz .LBB158_3718
; %bb.3695:
	s_cmp_lt_i32 s0, 6
	s_cbranch_scc1 .LBB158_3698
; %bb.3696:
	s_cmp_gt_i32 s0, 6
	s_cbranch_scc0 .LBB158_3711
; %bb.3697:
	s_wait_loadcnt 0x0
	global_load_b64 v[30:31], v[32:33], off
	s_mov_b32 s1, 0
	s_wait_loadcnt 0x0
	v_cvt_f32_f64_e32 v30, v[30:31]
	s_branch .LBB158_3712
.LBB158_3698:
	s_mov_b32 s1, -1
                                        ; implicit-def: $vgpr30
	s_branch .LBB158_3715
.LBB158_3699:
	s_mov_b32 s2, -1
                                        ; implicit-def: $vgpr30
.LBB158_3700:
	s_delay_alu instid0(SALU_CYCLE_1)
	s_and_b32 vcc_lo, exec_lo, s2
	s_cbranch_vccz .LBB158_3702
; %bb.3701:
	global_load_u8 v1, v[32:33], off
	s_wait_loadcnt 0x0
	v_lshlrev_b32_e32 v1, 24, v1
	s_delay_alu instid0(VALU_DEP_1) | instskip(NEXT) | instid1(VALU_DEP_1)
	v_and_b32_e32 v3, 0x7f000000, v1
	v_clz_i32_u32_e32 v7, v3
	v_add_nc_u32_e32 v15, 0x1000000, v3
	v_cmp_ne_u32_e32 vcc_lo, 0, v3
	s_delay_alu instid0(VALU_DEP_3) | instskip(NEXT) | instid1(VALU_DEP_1)
	v_min_u32_e32 v7, 32, v7
	v_sub_nc_u32_e64 v7, v7, 4 clamp
	s_delay_alu instid0(VALU_DEP_1) | instskip(SKIP_1) | instid1(VALU_DEP_2)
	v_lshlrev_b32_e32 v11, v7, v3
	v_lshlrev_b32_e32 v7, 23, v7
	v_lshrrev_b32_e32 v11, 4, v11
	s_delay_alu instid0(VALU_DEP_1) | instskip(SKIP_1) | instid1(VALU_DEP_2)
	v_sub_nc_u32_e32 v7, v11, v7
	v_ashrrev_i32_e32 v11, 8, v15
	v_add_nc_u32_e32 v7, 0x3c000000, v7
	s_delay_alu instid0(VALU_DEP_1) | instskip(NEXT) | instid1(VALU_DEP_1)
	v_and_or_b32 v7, 0x7f800000, v11, v7
	v_cndmask_b32_e32 v3, 0, v7, vcc_lo
	s_delay_alu instid0(VALU_DEP_1)
	v_and_or_b32 v30, 0x80000000, v1, v3
.LBB158_3702:
	s_mov_b32 s2, 0
.LBB158_3703:
	s_delay_alu instid0(SALU_CYCLE_1)
	s_and_not1_b32 vcc_lo, exec_lo, s2
	s_cbranch_vccnz .LBB158_3705
; %bb.3704:
	global_load_u8 v1, v[32:33], off
	s_wait_loadcnt 0x0
	v_lshlrev_b32_e32 v3, 25, v1
	v_lshlrev_b16 v1, 8, v1
	s_delay_alu instid0(VALU_DEP_1) | instskip(SKIP_1) | instid1(VALU_DEP_2)
	v_and_or_b32 v11, 0x7f00, v1, 0.5
	v_bfe_i32 v1, v1, 0, 16
	v_add_f32_e32 v11, -0.5, v11
	v_lshrrev_b32_e32 v7, 4, v3
	v_cmp_gt_u32_e32 vcc_lo, 0x8000000, v3
	s_delay_alu instid0(VALU_DEP_2) | instskip(NEXT) | instid1(VALU_DEP_1)
	v_or_b32_e32 v7, 0x70000000, v7
	v_mul_f32_e32 v7, 0x7800000, v7
	s_delay_alu instid0(VALU_DEP_1) | instskip(NEXT) | instid1(VALU_DEP_1)
	v_cndmask_b32_e32 v3, v7, v11, vcc_lo
	v_and_or_b32 v30, 0x80000000, v1, v3
.LBB158_3705:
	s_mov_b32 s2, 0
	s_mov_b32 s3, -1
.LBB158_3706:
	s_and_not1_b32 vcc_lo, exec_lo, s2
	s_mov_b32 s2, 0
	s_cbranch_vccnz .LBB158_3730
; %bb.3707:
	s_cmp_gt_i32 s0, 14
	s_cbranch_scc0 .LBB158_3710
; %bb.3708:
	s_cmp_eq_u32 s0, 15
	s_cbranch_scc0 .LBB158_3726
; %bb.3709:
	global_load_u16 v1, v[32:33], off
	s_mov_b32 s1, 0
	s_mov_b32 s3, -1
	s_wait_loadcnt 0x0
	v_lshlrev_b32_e32 v30, 16, v1
	s_branch .LBB158_3728
.LBB158_3710:
	s_mov_b32 s2, -1
	s_branch .LBB158_3727
.LBB158_3711:
	s_mov_b32 s1, -1
                                        ; implicit-def: $vgpr30
.LBB158_3712:
	s_delay_alu instid0(SALU_CYCLE_1)
	s_and_not1_b32 vcc_lo, exec_lo, s1
	s_cbranch_vccnz .LBB158_3714
; %bb.3713:
	s_wait_loadcnt 0x0
	global_load_b32 v30, v[32:33], off
.LBB158_3714:
	s_mov_b32 s1, 0
.LBB158_3715:
	s_delay_alu instid0(SALU_CYCLE_1)
	s_and_not1_b32 vcc_lo, exec_lo, s1
	s_cbranch_vccnz .LBB158_3717
; %bb.3716:
	global_load_u16 v1, v[32:33], off
	s_wait_loadcnt 0x0
	v_cvt_f32_f16_e32 v30, v1
.LBB158_3717:
	s_wait_loadcnt 0x0
	v_mov_b32_e32 v31, 0
.LBB158_3718:
	s_mov_b32 s1, 0
.LBB158_3719:
	s_delay_alu instid0(SALU_CYCLE_1)
	s_and_not1_b32 vcc_lo, exec_lo, s1
	s_cbranch_vccnz .LBB158_3746
; %bb.3720:
	s_cmp_lt_i32 s0, 2
	s_cbranch_scc1 .LBB158_3724
; %bb.3721:
	s_cmp_lt_i32 s0, 3
	s_cbranch_scc1 .LBB158_3725
; %bb.3722:
	s_cmp_gt_i32 s0, 3
	s_cbranch_scc0 .LBB158_3732
; %bb.3723:
	s_wait_loadcnt 0x0
	global_load_b64 v[30:31], v[32:33], off
	s_mov_b32 s1, 0
	s_wait_loadcnt 0x0
	v_xor_b32_e32 v1, v30, v31
	v_cls_i32_e32 v3, v31
	s_delay_alu instid0(VALU_DEP_2) | instskip(NEXT) | instid1(VALU_DEP_1)
	v_ashrrev_i32_e32 v1, 31, v1
	v_add_nc_u32_e32 v1, 32, v1
	s_delay_alu instid0(VALU_DEP_1) | instskip(NEXT) | instid1(VALU_DEP_1)
	v_add_min_u32_e64 v1, v3, -1, v1
	v_lshlrev_b64_e32 v[30:31], v1, v[30:31]
	v_sub_nc_u32_e32 v1, 32, v1
	s_delay_alu instid0(VALU_DEP_2) | instskip(NEXT) | instid1(VALU_DEP_1)
	v_min_u32_e32 v3, 1, v30
	v_or_b32_e32 v3, v31, v3
	s_delay_alu instid0(VALU_DEP_1) | instskip(NEXT) | instid1(VALU_DEP_1)
	v_cvt_f32_i32_e32 v3, v3
	v_ldexp_f32 v30, v3, v1
	s_branch .LBB158_3733
.LBB158_3724:
	s_mov_b32 s1, -1
                                        ; implicit-def: $vgpr30
	s_branch .LBB158_3739
.LBB158_3725:
	s_mov_b32 s1, -1
                                        ; implicit-def: $vgpr30
	s_branch .LBB158_3736
.LBB158_3726:
	s_mov_b32 s1, -1
.LBB158_3727:
                                        ; implicit-def: $vgpr30
.LBB158_3728:
	s_and_b32 vcc_lo, exec_lo, s2
	s_mov_b32 s2, 0
	s_cbranch_vccz .LBB158_3730
; %bb.3729:
	s_cmp_lg_u32 s0, 11
	s_mov_b32 s2, -1
	s_cselect_b32 s1, -1, 0
.LBB158_3730:
	v_mov_b32_e32 v31, 0
	s_and_b32 vcc_lo, exec_lo, s1
	s_cbranch_vccz .LBB158_3661
.LBB158_3731:
	s_or_b32 s22, s22, exec_lo
	s_trap 2
	s_cbranch_execz .LBB158_3662
	s_branch .LBB158_3663
.LBB158_3732:
	s_mov_b32 s1, -1
                                        ; implicit-def: $vgpr30
.LBB158_3733:
	s_delay_alu instid0(SALU_CYCLE_1)
	s_and_not1_b32 vcc_lo, exec_lo, s1
	s_cbranch_vccnz .LBB158_3735
; %bb.3734:
	global_load_b32 v1, v[32:33], off
	s_wait_loadcnt 0x0
	v_cvt_f32_i32_e32 v30, v1
.LBB158_3735:
	s_mov_b32 s1, 0
.LBB158_3736:
	s_delay_alu instid0(SALU_CYCLE_1)
	s_and_not1_b32 vcc_lo, exec_lo, s1
	s_cbranch_vccnz .LBB158_3738
; %bb.3737:
	global_load_i16 v1, v[32:33], off
	s_wait_loadcnt 0x0
	v_cvt_f32_i32_e32 v30, v1
.LBB158_3738:
	s_mov_b32 s1, 0
.LBB158_3739:
	s_delay_alu instid0(SALU_CYCLE_1)
	s_and_not1_b32 vcc_lo, exec_lo, s1
	s_cbranch_vccnz .LBB158_3745
; %bb.3740:
	s_cmp_gt_i32 s0, 0
	s_mov_b32 s0, 0
	s_cbranch_scc0 .LBB158_3742
; %bb.3741:
	global_load_i8 v1, v[32:33], off
	s_wait_loadcnt 0x0
	v_cvt_f32_i32_e32 v30, v1
	s_branch .LBB158_3743
.LBB158_3742:
	s_mov_b32 s0, -1
                                        ; implicit-def: $vgpr30
.LBB158_3743:
	s_delay_alu instid0(SALU_CYCLE_1)
	s_and_not1_b32 vcc_lo, exec_lo, s0
	s_cbranch_vccnz .LBB158_3745
; %bb.3744:
	global_load_u8 v1, v[32:33], off
	s_wait_loadcnt 0x0
	v_cvt_f32_ubyte0_e32 v30, v1
.LBB158_3745:
	s_wait_loadcnt 0x0
	v_mov_b32_e32 v31, 0
.LBB158_3746:
	s_mov_b32 s3, -1
.LBB158_3747:
	s_delay_alu instid0(SALU_CYCLE_1)
	s_and_not1_b32 vcc_lo, exec_lo, s3
	s_cbranch_vccnz .LBB158_4181
; %bb.3748:
	s_mov_b32 s2, s19
	s_mov_b32 s3, s18
	v_mov_b64_e32 v[36:37], s[18:19]
	s_wait_xcnt 0x0
	v_mov_b64_e32 v[32:33], s[2:3]
	v_mov_b64_e32 v[38:39], s[16:17]
	s_wait_loadcnt 0x0
	v_dual_mov_b32 v40, v9 :: v_dual_mov_b32 v41, v8
	s_and_b32 s26, s20, 0xff
	v_pk_mul_f32 v[36:37], v[4:5], v[36:37]
	s_delay_alu instid0(VALU_DEP_4)
	v_pk_mul_f32 v[32:33], v[4:5], v[32:33]
	v_mul_lo_u32 v4, s12, v34
	v_pk_mul_f32 v[2:3], v[2:3], v[38:39] op_sel:[0,1] op_sel_hi:[0,0]
	s_cmp_lt_i32 s26, 11
	v_pk_add_f32 v[34:35], v[36:37], v[36:37] op_sel:[0,1] op_sel_hi:[0,1] neg_lo:[0,1] neg_hi:[0,1]
	v_add_f32_e32 v32, v32, v33
	s_delay_alu instid0(VALU_DEP_3) | instskip(SKIP_2) | instid1(VALU_DEP_4)
	v_pk_fma_f32 v[36:37], v[0:1], v[38:39], v[2:3] op_sel_hi:[0,1,1]
	v_pk_fma_f32 v[2:3], v[0:1], v[38:39], v[2:3] op_sel_hi:[0,1,1] neg_lo:[0,0,1] neg_hi:[0,0,1]
	v_ashrrev_i32_e32 v5, 31, v4
	v_pk_mul_f32 v[32:33], v[32:33], v[40:41] op_sel_hi:[0,1]
	s_delay_alu instid0(VALU_DEP_2) | instskip(NEXT) | instid1(VALU_DEP_2)
	v_add_nc_u64_e32 v[0:1], s[4:5], v[4:5]
	v_pk_fma_f32 v[40:41], v[34:35], v[8:9], v[32:33]
	v_pk_fma_f32 v[8:9], v[34:35], v[8:9], v[32:33] neg_lo:[0,0,1] neg_hi:[0,0,1]
	s_delay_alu instid0(VALU_DEP_2) | instskip(NEXT) | instid1(VALU_DEP_1)
	v_dual_mov_b32 v3, v37 :: v_dual_mov_b32 v9, v41
	v_pk_add_f32 v[2:3], v[2:3], v[8:9]
	s_cbranch_scc1 .LBB158_3826
; %bb.3749:
	s_and_b32 s1, 0xffff, s26
	s_mov_b32 s8, -1
	s_mov_b32 s6, 0
	s_cmp_gt_i32 s1, 25
	s_mov_b32 s7, 0
	s_mov_b32 s0, 0
	s_cbranch_scc0 .LBB158_3782
; %bb.3750:
	s_cmp_gt_i32 s1, 28
	s_cbranch_scc0 .LBB158_3765
; %bb.3751:
	s_cmp_gt_i32 s1, 43
	s_cbranch_scc0 .LBB158_3761
; %bb.3752:
	s_cmp_gt_i32 s1, 45
	s_cbranch_scc0 .LBB158_3755
; %bb.3753:
	s_mov_b32 s0, -1
	s_mov_b32 s8, 0
	s_cmp_eq_u32 s1, 46
	s_cbranch_scc0 .LBB158_3755
; %bb.3754:
	v_dual_lshrrev_b32 v5, 16, v2 :: v_dual_lshrrev_b32 v7, 16, v3
	v_cmp_o_f32_e32 vcc_lo, v2, v2
	s_mov_b32 s0, 0
	s_mov_b32 s7, -1
	s_delay_alu instid0(VALU_DEP_2) | instskip(NEXT) | instid1(VALU_DEP_1)
	v_and_b32_e32 v5, 1, v5
	v_add3_u32 v5, v2, v5, 0x7fff
	s_delay_alu instid0(VALU_DEP_1) | instskip(NEXT) | instid1(VALU_DEP_1)
	v_dual_lshrrev_b32 v5, 16, v5 :: v_dual_bitop2_b32 v7, 1, v7 bitop3:0x40
	v_add3_u32 v7, v3, v7, 0x7fff
	s_delay_alu instid0(VALU_DEP_2) | instskip(NEXT) | instid1(VALU_DEP_2)
	v_cndmask_b32_e32 v5, 0x7fc0, v5, vcc_lo
	v_and_b32_e32 v7, 0xffff0000, v7
	v_cmp_o_f32_e32 vcc_lo, v3, v3
	s_delay_alu instid0(VALU_DEP_2) | instskip(NEXT) | instid1(VALU_DEP_1)
	v_cndmask_b32_e32 v7, 0x7fc00000, v7, vcc_lo
	v_or_b32_e32 v5, v7, v5
	global_store_b32 v[0:1], v5, off
.LBB158_3755:
	s_and_b32 vcc_lo, exec_lo, s8
	s_cbranch_vccz .LBB158_3760
; %bb.3756:
	s_cmp_eq_u32 s1, 44
	s_mov_b32 s0, -1
	s_cbranch_scc0 .LBB158_3760
; %bb.3757:
	v_bfe_u32 v7, v2, 23, 8
	s_wait_xcnt 0x0
	v_mov_b32_e32 v5, 0xff
	s_mov_b32 s7, exec_lo
	s_delay_alu instid0(VALU_DEP_2)
	v_cmpx_ne_u32_e32 0xff, v7
	s_cbranch_execz .LBB158_3759
; %bb.3758:
	v_and_b32_e32 v5, 0x400000, v2
	v_and_or_b32 v7, 0x3fffff, v2, v7
	s_delay_alu instid0(VALU_DEP_2) | instskip(NEXT) | instid1(VALU_DEP_2)
	v_cmp_ne_u32_e32 vcc_lo, 0, v5
	v_cmp_ne_u32_e64 s0, 0, v7
	v_lshrrev_b32_e32 v5, 23, v2
	s_and_b32 s0, vcc_lo, s0
	s_delay_alu instid0(SALU_CYCLE_1) | instskip(NEXT) | instid1(VALU_DEP_1)
	v_cndmask_b32_e64 v7, 0, 1, s0
	v_add_nc_u32_e32 v5, v5, v7
.LBB158_3759:
	s_or_b32 exec_lo, exec_lo, s7
	s_mov_b32 s0, 0
	s_mov_b32 s7, -1
	global_store_b8 v[0:1], v5, off
.LBB158_3760:
	s_mov_b32 s8, 0
.LBB158_3761:
	s_delay_alu instid0(SALU_CYCLE_1)
	s_and_b32 vcc_lo, exec_lo, s8
	s_cbranch_vccz .LBB158_3764
; %bb.3762:
	s_cmp_eq_u32 s1, 29
	s_mov_b32 s0, -1
	s_cbranch_scc0 .LBB158_3764
; %bb.3763:
	s_wait_xcnt 0x0
	v_trunc_f32_e32 v5, v2
	s_mov_b32 s0, 0
	s_mov_b32 s7, -1
	s_delay_alu instid0(VALU_DEP_1) | instskip(NEXT) | instid1(VALU_DEP_1)
	v_mul_f32_e32 v7, 0x2f800000, v5
	v_floor_f32_e32 v7, v7
	s_delay_alu instid0(VALU_DEP_1) | instskip(SKIP_1) | instid1(VALU_DEP_2)
	v_fmamk_f32 v5, v7, 0xcf800000, v5
	v_cvt_u32_f32_e32 v9, v7
	v_cvt_u32_f32_e32 v8, v5
	global_store_b64 v[0:1], v[8:9], off
.LBB158_3764:
	s_mov_b32 s8, 0
.LBB158_3765:
	s_delay_alu instid0(SALU_CYCLE_1)
	s_and_b32 vcc_lo, exec_lo, s8
	s_cbranch_vccz .LBB158_3781
; %bb.3766:
	s_cmp_lt_i32 s1, 27
	s_mov_b32 s7, -1
	s_cbranch_scc1 .LBB158_3772
; %bb.3767:
	s_wait_xcnt 0x0
	v_cvt_u32_f32_e32 v5, v2
	s_cmp_gt_i32 s1, 27
	s_cbranch_scc0 .LBB158_3769
; %bb.3768:
	s_mov_b32 s7, 0
	global_store_b32 v[0:1], v5, off
.LBB158_3769:
	s_and_not1_b32 vcc_lo, exec_lo, s7
	s_cbranch_vccnz .LBB158_3771
; %bb.3770:
	global_store_b16 v[0:1], v5, off
.LBB158_3771:
	s_mov_b32 s7, 0
.LBB158_3772:
	s_delay_alu instid0(SALU_CYCLE_1)
	s_and_not1_b32 vcc_lo, exec_lo, s7
	s_cbranch_vccnz .LBB158_3780
; %bb.3773:
	s_wait_xcnt 0x0
	v_and_b32_e32 v5, 0x7fffffff, v2
	v_mov_b32_e32 v7, 0x80
	s_mov_b32 s7, exec_lo
	s_delay_alu instid0(VALU_DEP_2)
	v_cmpx_gt_u32_e32 0x43800000, v5
	s_cbranch_execz .LBB158_3779
; %bb.3774:
	v_cmp_lt_u32_e32 vcc_lo, 0x3bffffff, v5
	s_mov_b32 s8, 0
                                        ; implicit-def: $vgpr5
	s_and_saveexec_b32 s9, vcc_lo
	s_delay_alu instid0(SALU_CYCLE_1)
	s_xor_b32 s9, exec_lo, s9
	s_cbranch_execnz .LBB158_4232
; %bb.3775:
	s_and_not1_saveexec_b32 s9, s9
	s_cbranch_execnz .LBB158_4233
.LBB158_3776:
	s_or_b32 exec_lo, exec_lo, s9
	v_mov_b32_e32 v7, 0
	s_and_saveexec_b32 s9, s8
.LBB158_3777:
	v_lshrrev_b32_e32 v7, 24, v2
	s_delay_alu instid0(VALU_DEP_1)
	v_and_or_b32 v7, 0x80, v7, v5
.LBB158_3778:
	s_or_b32 exec_lo, exec_lo, s9
.LBB158_3779:
	s_delay_alu instid0(SALU_CYCLE_1)
	s_or_b32 exec_lo, exec_lo, s7
	global_store_b8 v[0:1], v7, off
.LBB158_3780:
	s_mov_b32 s7, -1
.LBB158_3781:
	s_mov_b32 s8, 0
.LBB158_3782:
	s_delay_alu instid0(SALU_CYCLE_1)
	s_and_b32 vcc_lo, exec_lo, s8
	s_cbranch_vccz .LBB158_3822
; %bb.3783:
	s_cmp_gt_i32 s1, 22
	s_mov_b32 s6, -1
	s_cbranch_scc0 .LBB158_3815
; %bb.3784:
	s_cmp_lt_i32 s1, 24
	s_cbranch_scc1 .LBB158_3804
; %bb.3785:
	s_cmp_gt_i32 s1, 24
	s_cbranch_scc0 .LBB158_3793
; %bb.3786:
	s_wait_xcnt 0x0
	v_and_b32_e32 v5, 0x7fffffff, v2
	v_mov_b32_e32 v7, 0x80
	s_mov_b32 s6, exec_lo
	s_delay_alu instid0(VALU_DEP_2)
	v_cmpx_gt_u32_e32 0x47800000, v5
	s_cbranch_execz .LBB158_3792
; %bb.3787:
	v_cmp_lt_u32_e32 vcc_lo, 0x37ffffff, v5
	s_mov_b32 s7, 0
                                        ; implicit-def: $vgpr5
	s_and_saveexec_b32 s8, vcc_lo
	s_delay_alu instid0(SALU_CYCLE_1)
	s_xor_b32 s8, exec_lo, s8
	s_cbranch_execnz .LBB158_4237
; %bb.3788:
	s_and_not1_saveexec_b32 s8, s8
	s_cbranch_execnz .LBB158_4238
.LBB158_3789:
	s_or_b32 exec_lo, exec_lo, s8
	v_mov_b32_e32 v7, 0
	s_and_saveexec_b32 s8, s7
.LBB158_3790:
	v_lshrrev_b32_e32 v7, 24, v2
	s_delay_alu instid0(VALU_DEP_1)
	v_and_or_b32 v7, 0x80, v7, v5
.LBB158_3791:
	s_or_b32 exec_lo, exec_lo, s8
.LBB158_3792:
	s_delay_alu instid0(SALU_CYCLE_1)
	s_or_b32 exec_lo, exec_lo, s6
	s_mov_b32 s6, 0
	global_store_b8 v[0:1], v7, off
.LBB158_3793:
	s_and_b32 vcc_lo, exec_lo, s6
	s_cbranch_vccz .LBB158_3803
; %bb.3794:
	s_wait_xcnt 0x0
	v_and_b32_e32 v7, 0x7fffffff, v2
	s_mov_b32 s6, exec_lo
                                        ; implicit-def: $vgpr5
	s_delay_alu instid0(VALU_DEP_1)
	v_cmpx_gt_u32_e32 0x43f00000, v7
	s_xor_b32 s6, exec_lo, s6
	s_cbranch_execz .LBB158_3800
; %bb.3795:
	s_mov_b32 s7, exec_lo
                                        ; implicit-def: $vgpr5
	v_cmpx_lt_u32_e32 0x3c7fffff, v7
	s_xor_b32 s7, exec_lo, s7
; %bb.3796:
	v_bfe_u32 v5, v2, 20, 1
	s_delay_alu instid0(VALU_DEP_1) | instskip(NEXT) | instid1(VALU_DEP_1)
	v_add3_u32 v5, v2, v5, 0x407ffff
	v_and_b32_e32 v7, 0xff00000, v5
	v_lshrrev_b32_e32 v5, 20, v5
	s_delay_alu instid0(VALU_DEP_2) | instskip(NEXT) | instid1(VALU_DEP_2)
	v_cmp_ne_u32_e32 vcc_lo, 0x7f00000, v7
	v_cndmask_b32_e32 v5, 0x7e, v5, vcc_lo
; %bb.3797:
	s_and_not1_saveexec_b32 s7, s7
; %bb.3798:
	v_add_f32_e64 v5, 0x46800000, |v2|
; %bb.3799:
	s_or_b32 exec_lo, exec_lo, s7
                                        ; implicit-def: $vgpr7
.LBB158_3800:
	s_and_not1_saveexec_b32 s6, s6
; %bb.3801:
	v_mov_b32_e32 v5, 0x7f
	v_cmp_lt_u32_e32 vcc_lo, 0x7f800000, v7
	s_delay_alu instid0(VALU_DEP_2)
	v_cndmask_b32_e32 v5, 0x7e, v5, vcc_lo
; %bb.3802:
	s_or_b32 exec_lo, exec_lo, s6
	v_lshrrev_b32_e32 v7, 24, v2
	s_delay_alu instid0(VALU_DEP_1)
	v_and_or_b32 v5, 0x80, v7, v5
	global_store_b8 v[0:1], v5, off
.LBB158_3803:
	s_mov_b32 s6, 0
.LBB158_3804:
	s_delay_alu instid0(SALU_CYCLE_1)
	s_and_not1_b32 vcc_lo, exec_lo, s6
	s_cbranch_vccnz .LBB158_3814
; %bb.3805:
	s_wait_xcnt 0x0
	v_and_b32_e32 v7, 0x7fffffff, v2
	s_mov_b32 s6, exec_lo
                                        ; implicit-def: $vgpr5
	s_delay_alu instid0(VALU_DEP_1)
	v_cmpx_gt_u32_e32 0x47800000, v7
	s_xor_b32 s6, exec_lo, s6
	s_cbranch_execz .LBB158_3811
; %bb.3806:
	s_mov_b32 s7, exec_lo
                                        ; implicit-def: $vgpr5
	v_cmpx_lt_u32_e32 0x387fffff, v7
	s_xor_b32 s7, exec_lo, s7
; %bb.3807:
	v_bfe_u32 v5, v2, 21, 1
	s_delay_alu instid0(VALU_DEP_1) | instskip(NEXT) | instid1(VALU_DEP_1)
	v_add3_u32 v5, v2, v5, 0x80fffff
	v_lshrrev_b32_e32 v5, 21, v5
; %bb.3808:
	s_and_not1_saveexec_b32 s7, s7
; %bb.3809:
	v_add_f32_e64 v5, 0x43000000, |v2|
; %bb.3810:
	s_or_b32 exec_lo, exec_lo, s7
                                        ; implicit-def: $vgpr7
.LBB158_3811:
	s_and_not1_saveexec_b32 s6, s6
; %bb.3812:
	v_mov_b32_e32 v5, 0x7f
	v_cmp_lt_u32_e32 vcc_lo, 0x7f800000, v7
	s_delay_alu instid0(VALU_DEP_2)
	v_cndmask_b32_e32 v5, 0x7c, v5, vcc_lo
; %bb.3813:
	s_or_b32 exec_lo, exec_lo, s6
	v_lshrrev_b32_e32 v7, 24, v2
	s_delay_alu instid0(VALU_DEP_1)
	v_and_or_b32 v5, 0x80, v7, v5
	global_store_b8 v[0:1], v5, off
.LBB158_3814:
	s_mov_b32 s6, 0
	s_mov_b32 s7, -1
.LBB158_3815:
	s_and_not1_b32 vcc_lo, exec_lo, s6
	s_mov_b32 s6, 0
	s_cbranch_vccnz .LBB158_3822
; %bb.3816:
	s_cmp_gt_i32 s1, 14
	s_mov_b32 s6, -1
	s_cbranch_scc0 .LBB158_3820
; %bb.3817:
	s_cmp_eq_u32 s1, 15
	s_mov_b32 s0, -1
	s_cbranch_scc0 .LBB158_3819
; %bb.3818:
	s_wait_xcnt 0x0
	v_bfe_u32 v5, v2, 16, 1
	v_cmp_o_f32_e32 vcc_lo, v2, v2
	s_mov_b32 s0, 0
	s_mov_b32 s7, -1
	s_delay_alu instid0(VALU_DEP_2) | instskip(NEXT) | instid1(VALU_DEP_1)
	v_add3_u32 v5, v2, v5, 0x7fff
	v_lshrrev_b32_e32 v5, 16, v5
	s_delay_alu instid0(VALU_DEP_1)
	v_cndmask_b32_e32 v5, 0x7fc0, v5, vcc_lo
	global_store_b16 v[0:1], v5, off
.LBB158_3819:
	s_mov_b32 s6, 0
.LBB158_3820:
	s_delay_alu instid0(SALU_CYCLE_1)
	s_and_b32 vcc_lo, exec_lo, s6
	s_mov_b32 s6, 0
	s_cbranch_vccz .LBB158_3822
; %bb.3821:
	s_cmp_lg_u32 s1, 11
	s_mov_b32 s6, -1
	s_cselect_b32 s0, -1, 0
.LBB158_3822:
	s_delay_alu instid0(SALU_CYCLE_1)
	s_and_b32 vcc_lo, exec_lo, s0
	s_cbranch_vccnz .LBB158_4231
; %bb.3823:
	s_and_not1_b32 vcc_lo, exec_lo, s6
	s_cbranch_vccnz .LBB158_3825
.LBB158_3824:
	v_cmp_neq_f32_e32 vcc_lo, 0, v2
	v_cmp_neq_f32_e64 s0, 0, v3
	s_mov_b32 s7, -1
	s_or_b32 s0, vcc_lo, s0
	s_wait_xcnt 0x0
	v_cndmask_b32_e64 v5, 0, 1, s0
	global_store_b8 v[0:1], v5, off
.LBB158_3825:
	s_mov_b32 s0, 0
	s_branch .LBB158_3827
.LBB158_3826:
	s_mov_b32 s0, -1
	s_mov_b32 s7, 0
.LBB158_3827:
	s_and_b32 vcc_lo, exec_lo, s0
	s_cbranch_vccz .LBB158_3866
; %bb.3828:
	s_and_b32 s0, 0xffff, s26
	s_mov_b32 s1, -1
	s_cmp_lt_i32 s0, 5
	s_cbranch_scc1 .LBB158_3849
; %bb.3829:
	s_cmp_lt_i32 s0, 8
	s_cbranch_scc1 .LBB158_3839
; %bb.3830:
	;; [unrolled: 3-line block ×3, first 2 shown]
	s_cmp_gt_i32 s0, 9
	s_cbranch_scc0 .LBB158_3833
; %bb.3832:
	v_cvt_f64_f32_e32 v[32:33], v2
	v_cvt_f64_f32_e32 v[34:35], v3
	s_mov_b32 s1, 0
	global_store_b128 v[0:1], v[32:35], off
.LBB158_3833:
	s_and_not1_b32 vcc_lo, exec_lo, s1
	s_cbranch_vccnz .LBB158_3835
; %bb.3834:
	global_store_b64 v[0:1], v[2:3], off
.LBB158_3835:
	s_mov_b32 s1, 0
.LBB158_3836:
	s_delay_alu instid0(SALU_CYCLE_1)
	s_and_not1_b32 vcc_lo, exec_lo, s1
	s_cbranch_vccnz .LBB158_3838
; %bb.3837:
	s_wait_xcnt 0x0
	v_cvt_f16_f32_e32 v3, v3
	v_cvt_f16_f32_e32 v5, v2
	s_delay_alu instid0(VALU_DEP_2) | instskip(NEXT) | instid1(VALU_DEP_2)
	v_lshlrev_b32_e32 v3, 16, v3
	v_and_b32_e32 v5, 0xffff, v5
	s_delay_alu instid0(VALU_DEP_1)
	v_or_b32_e32 v3, v3, v5
	global_store_b32 v[0:1], v3, off
.LBB158_3838:
	s_mov_b32 s1, 0
.LBB158_3839:
	s_delay_alu instid0(SALU_CYCLE_1)
	s_and_not1_b32 vcc_lo, exec_lo, s1
	s_cbranch_vccnz .LBB158_3848
; %bb.3840:
	s_cmp_lt_i32 s0, 6
	s_mov_b32 s1, -1
	s_cbranch_scc1 .LBB158_3846
; %bb.3841:
	s_cmp_gt_i32 s0, 6
	s_cbranch_scc0 .LBB158_3843
; %bb.3842:
	s_wait_xcnt 0x0
	v_cvt_f64_f32_e32 v[8:9], v2
	s_mov_b32 s1, 0
	global_store_b64 v[0:1], v[8:9], off
.LBB158_3843:
	s_and_not1_b32 vcc_lo, exec_lo, s1
	s_cbranch_vccnz .LBB158_3845
; %bb.3844:
	global_store_b32 v[0:1], v2, off
.LBB158_3845:
	s_mov_b32 s1, 0
.LBB158_3846:
	s_delay_alu instid0(SALU_CYCLE_1)
	s_and_not1_b32 vcc_lo, exec_lo, s1
	s_cbranch_vccnz .LBB158_3848
; %bb.3847:
	s_wait_xcnt 0x0
	v_cvt_f16_f32_e32 v3, v2
	global_store_b16 v[0:1], v3, off
.LBB158_3848:
	s_mov_b32 s1, 0
.LBB158_3849:
	s_delay_alu instid0(SALU_CYCLE_1)
	s_and_not1_b32 vcc_lo, exec_lo, s1
	s_cbranch_vccnz .LBB158_3865
; %bb.3850:
	s_cmp_lt_i32 s0, 2
	s_mov_b32 s1, -1
	s_cbranch_scc1 .LBB158_3860
; %bb.3851:
	s_cmp_lt_i32 s0, 3
	s_cbranch_scc1 .LBB158_3857
; %bb.3852:
	s_cmp_gt_i32 s0, 3
	s_cbranch_scc0 .LBB158_3854
; %bb.3853:
	s_wait_xcnt 0x0
	v_trunc_f32_e32 v3, v2
	s_mov_b32 s1, 0
	s_delay_alu instid0(VALU_DEP_1) | instskip(SKIP_1) | instid1(VALU_DEP_2)
	v_mul_f32_e64 v5, 0x2f800000, |v3|
	v_ashrrev_i32_e32 v8, 31, v3
	v_floor_f32_e32 v5, v5
	s_delay_alu instid0(VALU_DEP_1) | instskip(SKIP_1) | instid1(VALU_DEP_4)
	v_fma_f32 v7, 0xcf800000, v5, |v3|
	v_cvt_u32_f32_e32 v3, v5
	v_mov_b32_e32 v9, v8
	s_delay_alu instid0(VALU_DEP_3) | instskip(NEXT) | instid1(VALU_DEP_3)
	v_cvt_u32_f32_e32 v5, v7
	v_xor_b32_e32 v33, v3, v8
	s_delay_alu instid0(VALU_DEP_2) | instskip(NEXT) | instid1(VALU_DEP_1)
	v_xor_b32_e32 v32, v5, v8
	v_sub_nc_u64_e32 v[8:9], v[32:33], v[8:9]
	global_store_b64 v[0:1], v[8:9], off
.LBB158_3854:
	s_and_not1_b32 vcc_lo, exec_lo, s1
	s_cbranch_vccnz .LBB158_3856
; %bb.3855:
	s_wait_xcnt 0x0
	v_cvt_i32_f32_e32 v3, v2
	global_store_b32 v[0:1], v3, off
.LBB158_3856:
	s_mov_b32 s1, 0
.LBB158_3857:
	s_delay_alu instid0(SALU_CYCLE_1)
	s_and_not1_b32 vcc_lo, exec_lo, s1
	s_cbranch_vccnz .LBB158_3859
; %bb.3858:
	s_wait_xcnt 0x0
	v_cvt_i32_f32_e32 v3, v2
	global_store_b16 v[0:1], v3, off
.LBB158_3859:
	s_mov_b32 s1, 0
.LBB158_3860:
	s_delay_alu instid0(SALU_CYCLE_1)
	s_and_not1_b32 vcc_lo, exec_lo, s1
	s_cbranch_vccnz .LBB158_3865
; %bb.3861:
	s_cmp_gt_i32 s0, 0
	s_mov_b32 s0, -1
	s_cbranch_scc0 .LBB158_3863
; %bb.3862:
	s_wait_xcnt 0x0
	v_cvt_i32_f32_e32 v3, v2
	s_mov_b32 s0, 0
	global_store_b8 v[0:1], v3, off
.LBB158_3863:
	s_and_not1_b32 vcc_lo, exec_lo, s0
	s_cbranch_vccnz .LBB158_3865
; %bb.3864:
	s_wait_xcnt 0x0
	v_trunc_f32_e32 v2, v2
	s_delay_alu instid0(VALU_DEP_1) | instskip(NEXT) | instid1(VALU_DEP_1)
	v_mul_f32_e64 v3, 0x2f800000, |v2|
	v_floor_f32_e32 v3, v3
	s_delay_alu instid0(VALU_DEP_1) | instskip(SKIP_1) | instid1(VALU_DEP_2)
	v_fma_f32 v3, 0xcf800000, v3, |v2|
	v_ashrrev_i32_e32 v2, 31, v2
	v_cvt_u32_f32_e32 v3, v3
	s_delay_alu instid0(VALU_DEP_1) | instskip(NEXT) | instid1(VALU_DEP_1)
	v_xor_b32_e32 v3, v3, v2
	v_sub_nc_u32_e32 v2, v3, v2
	global_store_b8 v[0:1], v2, off
.LBB158_3865:
	s_mov_b32 s7, -1
.LBB158_3866:
	s_delay_alu instid0(SALU_CYCLE_1)
	s_and_not1_b32 vcc_lo, exec_lo, s7
	s_cbranch_vccnz .LBB158_4181
; %bb.3867:
	s_wait_xcnt 0x0
	v_mov_b64_e32 v[0:1], s[2:3]
	s_mov_b32 s6, s17
	s_mov_b32 s7, s16
	v_mov_b64_e32 v[2:3], s[18:19]
	v_mov_b64_e32 v[8:9], s[6:7]
	s_lshl_b32 s1, s12, 7
	v_mov_b32_e32 v33, v16
	v_pk_mul_f32 v[0:1], v[12:13], v[0:1]
	v_mov_b32_e32 v32, v17
	s_cmp_lt_i32 s26, 11
	v_pk_mul_f32 v[2:3], v[12:13], v[2:3]
	v_pk_mul_f32 v[8:9], v[10:11], v[8:9] op_sel_hi:[0,1]
	v_add_f32_e32 v0, v0, v1
	v_mov_b64_e32 v[10:11], s[16:17]
	s_delay_alu instid0(VALU_DEP_4) | instskip(NEXT) | instid1(VALU_DEP_3)
	v_pk_add_f32 v[2:3], v[2:3], v[2:3] op_sel:[0,1] op_sel_hi:[0,1] neg_lo:[0,1] neg_hi:[0,1]
	v_pk_mul_f32 v[12:13], v[0:1], v[32:33] op_sel_hi:[0,1]
	s_delay_alu instid0(VALU_DEP_3) | instskip(SKIP_1) | instid1(VALU_DEP_3)
	v_pk_fma_f32 v[0:1], v[6:7], v[10:11], v[8:9] op_sel_hi:[0,1,1]
	v_add_nc_u32_e32 v0, s1, v4
	v_pk_fma_f32 v[4:5], v[2:3], v[16:17], v[12:13]
	v_pk_fma_f32 v[6:7], v[6:7], v[10:11], v[8:9] op_sel_hi:[0,1,1] neg_lo:[0,0,1] neg_hi:[0,0,1]
	v_pk_fma_f32 v[8:9], v[2:3], v[16:17], v[12:13] neg_lo:[0,0,1] neg_hi:[0,0,1]
	s_delay_alu instid0(VALU_DEP_4) | instskip(NEXT) | instid1(VALU_DEP_4)
	v_dual_mov_b32 v7, v1 :: v_dual_ashrrev_i32 v1, 31, v0
	v_mov_b32_e32 v9, v5
	s_delay_alu instid0(VALU_DEP_2) | instskip(NEXT) | instid1(VALU_DEP_2)
	v_add_nc_u64_e32 v[2:3], s[4:5], v[0:1]
	v_pk_add_f32 v[4:5], v[6:7], v[8:9]
	s_cbranch_scc1 .LBB158_3945
; %bb.3868:
	s_and_b32 s8, 0xffff, s26
	s_mov_b32 s11, -1
	s_mov_b32 s9, 0
	s_cmp_gt_i32 s8, 25
	s_mov_b32 s10, 0
	s_mov_b32 s0, 0
	s_cbranch_scc0 .LBB158_3901
; %bb.3869:
	s_cmp_gt_i32 s8, 28
	s_cbranch_scc0 .LBB158_3884
; %bb.3870:
	s_cmp_gt_i32 s8, 43
	;; [unrolled: 3-line block ×3, first 2 shown]
	s_cbranch_scc0 .LBB158_3874
; %bb.3872:
	s_mov_b32 s0, -1
	s_mov_b32 s11, 0
	s_cmp_eq_u32 s8, 46
	s_cbranch_scc0 .LBB158_3874
; %bb.3873:
	v_dual_lshrrev_b32 v1, 16, v4 :: v_dual_lshrrev_b32 v6, 16, v5
	v_cmp_o_f32_e32 vcc_lo, v4, v4
	s_mov_b32 s0, 0
	s_mov_b32 s10, -1
	s_delay_alu instid0(VALU_DEP_2) | instskip(NEXT) | instid1(VALU_DEP_1)
	v_and_b32_e32 v1, 1, v1
	v_add3_u32 v1, v4, v1, 0x7fff
	s_delay_alu instid0(VALU_DEP_1) | instskip(NEXT) | instid1(VALU_DEP_1)
	v_dual_lshrrev_b32 v1, 16, v1 :: v_dual_bitop2_b32 v6, 1, v6 bitop3:0x40
	v_add3_u32 v6, v5, v6, 0x7fff
	s_delay_alu instid0(VALU_DEP_2) | instskip(NEXT) | instid1(VALU_DEP_2)
	v_cndmask_b32_e32 v1, 0x7fc0, v1, vcc_lo
	v_and_b32_e32 v6, 0xffff0000, v6
	v_cmp_o_f32_e32 vcc_lo, v5, v5
	s_delay_alu instid0(VALU_DEP_2) | instskip(NEXT) | instid1(VALU_DEP_1)
	v_cndmask_b32_e32 v6, 0x7fc00000, v6, vcc_lo
	v_or_b32_e32 v1, v6, v1
	global_store_b32 v[2:3], v1, off
.LBB158_3874:
	s_and_b32 vcc_lo, exec_lo, s11
	s_cbranch_vccz .LBB158_3879
; %bb.3875:
	s_cmp_eq_u32 s8, 44
	s_mov_b32 s0, -1
	s_cbranch_scc0 .LBB158_3879
; %bb.3876:
	v_bfe_u32 v6, v4, 23, 8
	s_wait_xcnt 0x0
	v_mov_b32_e32 v1, 0xff
	s_mov_b32 s10, exec_lo
	s_delay_alu instid0(VALU_DEP_2)
	v_cmpx_ne_u32_e32 0xff, v6
	s_cbranch_execz .LBB158_3878
; %bb.3877:
	v_and_b32_e32 v1, 0x400000, v4
	v_and_or_b32 v6, 0x3fffff, v4, v6
	s_delay_alu instid0(VALU_DEP_2) | instskip(NEXT) | instid1(VALU_DEP_2)
	v_cmp_ne_u32_e32 vcc_lo, 0, v1
	v_cmp_ne_u32_e64 s0, 0, v6
	v_lshrrev_b32_e32 v1, 23, v4
	s_and_b32 s0, vcc_lo, s0
	s_delay_alu instid0(SALU_CYCLE_1) | instskip(NEXT) | instid1(VALU_DEP_1)
	v_cndmask_b32_e64 v6, 0, 1, s0
	v_add_nc_u32_e32 v1, v1, v6
.LBB158_3878:
	s_or_b32 exec_lo, exec_lo, s10
	s_mov_b32 s0, 0
	s_mov_b32 s10, -1
	global_store_b8 v[2:3], v1, off
.LBB158_3879:
	s_mov_b32 s11, 0
.LBB158_3880:
	s_delay_alu instid0(SALU_CYCLE_1)
	s_and_b32 vcc_lo, exec_lo, s11
	s_cbranch_vccz .LBB158_3883
; %bb.3881:
	s_cmp_eq_u32 s8, 29
	s_mov_b32 s0, -1
	s_cbranch_scc0 .LBB158_3883
; %bb.3882:
	s_wait_xcnt 0x0
	v_trunc_f32_e32 v1, v4
	s_mov_b32 s0, 0
	s_mov_b32 s10, -1
	s_delay_alu instid0(VALU_DEP_1) | instskip(NEXT) | instid1(VALU_DEP_1)
	v_mul_f32_e32 v6, 0x2f800000, v1
	v_floor_f32_e32 v6, v6
	s_delay_alu instid0(VALU_DEP_1) | instskip(SKIP_1) | instid1(VALU_DEP_2)
	v_fmamk_f32 v1, v6, 0xcf800000, v1
	v_cvt_u32_f32_e32 v7, v6
	v_cvt_u32_f32_e32 v6, v1
	global_store_b64 v[2:3], v[6:7], off
.LBB158_3883:
	s_mov_b32 s11, 0
.LBB158_3884:
	s_delay_alu instid0(SALU_CYCLE_1)
	s_and_b32 vcc_lo, exec_lo, s11
	s_cbranch_vccz .LBB158_3900
; %bb.3885:
	s_cmp_lt_i32 s8, 27
	s_mov_b32 s10, -1
	s_cbranch_scc1 .LBB158_3891
; %bb.3886:
	s_wait_xcnt 0x0
	v_cvt_u32_f32_e32 v1, v4
	s_cmp_gt_i32 s8, 27
	s_cbranch_scc0 .LBB158_3888
; %bb.3887:
	s_mov_b32 s10, 0
	global_store_b32 v[2:3], v1, off
.LBB158_3888:
	s_and_not1_b32 vcc_lo, exec_lo, s10
	s_cbranch_vccnz .LBB158_3890
; %bb.3889:
	global_store_b16 v[2:3], v1, off
.LBB158_3890:
	s_mov_b32 s10, 0
.LBB158_3891:
	s_delay_alu instid0(SALU_CYCLE_1)
	s_and_not1_b32 vcc_lo, exec_lo, s10
	s_cbranch_vccnz .LBB158_3899
; %bb.3892:
	s_wait_xcnt 0x0
	v_and_b32_e32 v1, 0x7fffffff, v4
	v_mov_b32_e32 v6, 0x80
	s_mov_b32 s10, exec_lo
	s_delay_alu instid0(VALU_DEP_2)
	v_cmpx_gt_u32_e32 0x43800000, v1
	s_cbranch_execz .LBB158_3898
; %bb.3893:
	v_cmp_lt_u32_e32 vcc_lo, 0x3bffffff, v1
	s_mov_b32 s11, 0
                                        ; implicit-def: $vgpr1
	s_and_saveexec_b32 s12, vcc_lo
	s_delay_alu instid0(SALU_CYCLE_1)
	s_xor_b32 s12, exec_lo, s12
	s_cbranch_execnz .LBB158_4241
; %bb.3894:
	s_and_not1_saveexec_b32 s12, s12
	s_cbranch_execnz .LBB158_4242
.LBB158_3895:
	s_or_b32 exec_lo, exec_lo, s12
	v_mov_b32_e32 v6, 0
	s_and_saveexec_b32 s12, s11
.LBB158_3896:
	v_lshrrev_b32_e32 v6, 24, v4
	s_delay_alu instid0(VALU_DEP_1)
	v_and_or_b32 v6, 0x80, v6, v1
.LBB158_3897:
	s_or_b32 exec_lo, exec_lo, s12
.LBB158_3898:
	s_delay_alu instid0(SALU_CYCLE_1)
	s_or_b32 exec_lo, exec_lo, s10
	global_store_b8 v[2:3], v6, off
.LBB158_3899:
	s_mov_b32 s10, -1
.LBB158_3900:
	s_mov_b32 s11, 0
.LBB158_3901:
	s_delay_alu instid0(SALU_CYCLE_1)
	s_and_b32 vcc_lo, exec_lo, s11
	s_cbranch_vccz .LBB158_3941
; %bb.3902:
	s_cmp_gt_i32 s8, 22
	s_mov_b32 s9, -1
	s_cbranch_scc0 .LBB158_3934
; %bb.3903:
	s_cmp_lt_i32 s8, 24
	s_cbranch_scc1 .LBB158_3923
; %bb.3904:
	s_cmp_gt_i32 s8, 24
	s_cbranch_scc0 .LBB158_3912
; %bb.3905:
	s_wait_xcnt 0x0
	v_and_b32_e32 v1, 0x7fffffff, v4
	v_mov_b32_e32 v6, 0x80
	s_mov_b32 s9, exec_lo
	s_delay_alu instid0(VALU_DEP_2)
	v_cmpx_gt_u32_e32 0x47800000, v1
	s_cbranch_execz .LBB158_3911
; %bb.3906:
	v_cmp_lt_u32_e32 vcc_lo, 0x37ffffff, v1
	s_mov_b32 s10, 0
                                        ; implicit-def: $vgpr1
	s_and_saveexec_b32 s11, vcc_lo
	s_delay_alu instid0(SALU_CYCLE_1)
	s_xor_b32 s11, exec_lo, s11
	s_cbranch_execnz .LBB158_4246
; %bb.3907:
	s_and_not1_saveexec_b32 s11, s11
	s_cbranch_execnz .LBB158_4247
.LBB158_3908:
	s_or_b32 exec_lo, exec_lo, s11
	v_mov_b32_e32 v6, 0
	s_and_saveexec_b32 s11, s10
.LBB158_3909:
	v_lshrrev_b32_e32 v6, 24, v4
	s_delay_alu instid0(VALU_DEP_1)
	v_and_or_b32 v6, 0x80, v6, v1
.LBB158_3910:
	s_or_b32 exec_lo, exec_lo, s11
.LBB158_3911:
	s_delay_alu instid0(SALU_CYCLE_1)
	s_or_b32 exec_lo, exec_lo, s9
	s_mov_b32 s9, 0
	global_store_b8 v[2:3], v6, off
.LBB158_3912:
	s_and_b32 vcc_lo, exec_lo, s9
	s_cbranch_vccz .LBB158_3922
; %bb.3913:
	s_wait_xcnt 0x0
	v_and_b32_e32 v6, 0x7fffffff, v4
	s_mov_b32 s9, exec_lo
                                        ; implicit-def: $vgpr1
	s_delay_alu instid0(VALU_DEP_1)
	v_cmpx_gt_u32_e32 0x43f00000, v6
	s_xor_b32 s9, exec_lo, s9
	s_cbranch_execz .LBB158_3919
; %bb.3914:
	s_mov_b32 s10, exec_lo
                                        ; implicit-def: $vgpr1
	v_cmpx_lt_u32_e32 0x3c7fffff, v6
	s_xor_b32 s10, exec_lo, s10
; %bb.3915:
	v_bfe_u32 v1, v4, 20, 1
	s_delay_alu instid0(VALU_DEP_1) | instskip(NEXT) | instid1(VALU_DEP_1)
	v_add3_u32 v1, v4, v1, 0x407ffff
	v_and_b32_e32 v6, 0xff00000, v1
	v_lshrrev_b32_e32 v1, 20, v1
	s_delay_alu instid0(VALU_DEP_2) | instskip(NEXT) | instid1(VALU_DEP_2)
	v_cmp_ne_u32_e32 vcc_lo, 0x7f00000, v6
	v_cndmask_b32_e32 v1, 0x7e, v1, vcc_lo
; %bb.3916:
	s_and_not1_saveexec_b32 s10, s10
; %bb.3917:
	v_add_f32_e64 v1, 0x46800000, |v4|
; %bb.3918:
	s_or_b32 exec_lo, exec_lo, s10
                                        ; implicit-def: $vgpr6
.LBB158_3919:
	s_and_not1_saveexec_b32 s9, s9
; %bb.3920:
	v_mov_b32_e32 v1, 0x7f
	v_cmp_lt_u32_e32 vcc_lo, 0x7f800000, v6
	s_delay_alu instid0(VALU_DEP_2)
	v_cndmask_b32_e32 v1, 0x7e, v1, vcc_lo
; %bb.3921:
	s_or_b32 exec_lo, exec_lo, s9
	v_lshrrev_b32_e32 v6, 24, v4
	s_delay_alu instid0(VALU_DEP_1)
	v_and_or_b32 v1, 0x80, v6, v1
	global_store_b8 v[2:3], v1, off
.LBB158_3922:
	s_mov_b32 s9, 0
.LBB158_3923:
	s_delay_alu instid0(SALU_CYCLE_1)
	s_and_not1_b32 vcc_lo, exec_lo, s9
	s_cbranch_vccnz .LBB158_3933
; %bb.3924:
	s_wait_xcnt 0x0
	v_and_b32_e32 v6, 0x7fffffff, v4
	s_mov_b32 s9, exec_lo
                                        ; implicit-def: $vgpr1
	s_delay_alu instid0(VALU_DEP_1)
	v_cmpx_gt_u32_e32 0x47800000, v6
	s_xor_b32 s9, exec_lo, s9
	s_cbranch_execz .LBB158_3930
; %bb.3925:
	s_mov_b32 s10, exec_lo
                                        ; implicit-def: $vgpr1
	v_cmpx_lt_u32_e32 0x387fffff, v6
	s_xor_b32 s10, exec_lo, s10
; %bb.3926:
	v_bfe_u32 v1, v4, 21, 1
	s_delay_alu instid0(VALU_DEP_1) | instskip(NEXT) | instid1(VALU_DEP_1)
	v_add3_u32 v1, v4, v1, 0x80fffff
	v_lshrrev_b32_e32 v1, 21, v1
; %bb.3927:
	s_and_not1_saveexec_b32 s10, s10
; %bb.3928:
	v_add_f32_e64 v1, 0x43000000, |v4|
; %bb.3929:
	s_or_b32 exec_lo, exec_lo, s10
                                        ; implicit-def: $vgpr6
.LBB158_3930:
	s_and_not1_saveexec_b32 s9, s9
; %bb.3931:
	v_mov_b32_e32 v1, 0x7f
	v_cmp_lt_u32_e32 vcc_lo, 0x7f800000, v6
	s_delay_alu instid0(VALU_DEP_2)
	v_cndmask_b32_e32 v1, 0x7c, v1, vcc_lo
; %bb.3932:
	s_or_b32 exec_lo, exec_lo, s9
	v_lshrrev_b32_e32 v6, 24, v4
	s_delay_alu instid0(VALU_DEP_1)
	v_and_or_b32 v1, 0x80, v6, v1
	global_store_b8 v[2:3], v1, off
.LBB158_3933:
	s_mov_b32 s9, 0
	s_mov_b32 s10, -1
.LBB158_3934:
	s_and_not1_b32 vcc_lo, exec_lo, s9
	s_mov_b32 s9, 0
	s_cbranch_vccnz .LBB158_3941
; %bb.3935:
	s_cmp_gt_i32 s8, 14
	s_mov_b32 s9, -1
	s_cbranch_scc0 .LBB158_3939
; %bb.3936:
	s_cmp_eq_u32 s8, 15
	s_mov_b32 s0, -1
	s_cbranch_scc0 .LBB158_3938
; %bb.3937:
	s_wait_xcnt 0x0
	v_bfe_u32 v1, v4, 16, 1
	v_cmp_o_f32_e32 vcc_lo, v4, v4
	s_mov_b32 s0, 0
	s_mov_b32 s10, -1
	s_delay_alu instid0(VALU_DEP_2) | instskip(NEXT) | instid1(VALU_DEP_1)
	v_add3_u32 v1, v4, v1, 0x7fff
	v_lshrrev_b32_e32 v1, 16, v1
	s_delay_alu instid0(VALU_DEP_1)
	v_cndmask_b32_e32 v1, 0x7fc0, v1, vcc_lo
	global_store_b16 v[2:3], v1, off
.LBB158_3938:
	s_mov_b32 s9, 0
.LBB158_3939:
	s_delay_alu instid0(SALU_CYCLE_1)
	s_and_b32 vcc_lo, exec_lo, s9
	s_mov_b32 s9, 0
	s_cbranch_vccz .LBB158_3941
; %bb.3940:
	s_cmp_lg_u32 s8, 11
	s_mov_b32 s9, -1
	s_cselect_b32 s0, -1, 0
.LBB158_3941:
	s_delay_alu instid0(SALU_CYCLE_1)
	s_and_b32 vcc_lo, exec_lo, s0
	s_cbranch_vccnz .LBB158_4236
; %bb.3942:
	s_and_not1_b32 vcc_lo, exec_lo, s9
	s_cbranch_vccnz .LBB158_3944
.LBB158_3943:
	v_cmp_neq_f32_e32 vcc_lo, 0, v4
	v_cmp_neq_f32_e64 s0, 0, v5
	s_mov_b32 s10, -1
	s_or_b32 s0, vcc_lo, s0
	s_wait_xcnt 0x0
	v_cndmask_b32_e64 v1, 0, 1, s0
	global_store_b8 v[2:3], v1, off
.LBB158_3944:
	s_mov_b32 s0, 0
	s_branch .LBB158_3946
.LBB158_3945:
	s_mov_b32 s0, -1
	s_mov_b32 s10, 0
.LBB158_3946:
	s_and_b32 vcc_lo, exec_lo, s0
	s_cbranch_vccz .LBB158_3985
; %bb.3947:
	s_and_b32 s0, 0xffff, s26
	s_mov_b32 s8, -1
	s_cmp_lt_i32 s0, 5
	s_cbranch_scc1 .LBB158_3968
; %bb.3948:
	s_cmp_lt_i32 s0, 8
	s_cbranch_scc1 .LBB158_3958
; %bb.3949:
	;; [unrolled: 3-line block ×3, first 2 shown]
	s_cmp_gt_i32 s0, 9
	s_cbranch_scc0 .LBB158_3952
; %bb.3951:
	s_wait_xcnt 0x0
	v_cvt_f64_f32_e32 v[6:7], v4
	v_cvt_f64_f32_e32 v[8:9], v5
	s_mov_b32 s8, 0
	global_store_b128 v[2:3], v[6:9], off
.LBB158_3952:
	s_and_not1_b32 vcc_lo, exec_lo, s8
	s_cbranch_vccnz .LBB158_3954
; %bb.3953:
	global_store_b64 v[2:3], v[4:5], off
.LBB158_3954:
	s_mov_b32 s8, 0
.LBB158_3955:
	s_delay_alu instid0(SALU_CYCLE_1)
	s_and_not1_b32 vcc_lo, exec_lo, s8
	s_cbranch_vccnz .LBB158_3957
; %bb.3956:
	s_wait_xcnt 0x0
	v_cvt_f16_f32_e32 v1, v5
	v_cvt_f16_f32_e32 v5, v4
	s_delay_alu instid0(VALU_DEP_2) | instskip(NEXT) | instid1(VALU_DEP_2)
	v_lshlrev_b32_e32 v1, 16, v1
	v_and_b32_e32 v5, 0xffff, v5
	s_delay_alu instid0(VALU_DEP_1)
	v_or_b32_e32 v1, v1, v5
	global_store_b32 v[2:3], v1, off
.LBB158_3957:
	s_mov_b32 s8, 0
.LBB158_3958:
	s_delay_alu instid0(SALU_CYCLE_1)
	s_and_not1_b32 vcc_lo, exec_lo, s8
	s_cbranch_vccnz .LBB158_3967
; %bb.3959:
	s_cmp_lt_i32 s0, 6
	s_mov_b32 s8, -1
	s_cbranch_scc1 .LBB158_3965
; %bb.3960:
	s_cmp_gt_i32 s0, 6
	s_cbranch_scc0 .LBB158_3962
; %bb.3961:
	s_wait_xcnt 0x0
	v_cvt_f64_f32_e32 v[6:7], v4
	s_mov_b32 s8, 0
	global_store_b64 v[2:3], v[6:7], off
.LBB158_3962:
	s_and_not1_b32 vcc_lo, exec_lo, s8
	s_cbranch_vccnz .LBB158_3964
; %bb.3963:
	global_store_b32 v[2:3], v4, off
.LBB158_3964:
	s_mov_b32 s8, 0
.LBB158_3965:
	s_delay_alu instid0(SALU_CYCLE_1)
	s_and_not1_b32 vcc_lo, exec_lo, s8
	s_cbranch_vccnz .LBB158_3967
; %bb.3966:
	s_wait_xcnt 0x0
	v_cvt_f16_f32_e32 v1, v4
	global_store_b16 v[2:3], v1, off
.LBB158_3967:
	s_mov_b32 s8, 0
.LBB158_3968:
	s_delay_alu instid0(SALU_CYCLE_1)
	s_and_not1_b32 vcc_lo, exec_lo, s8
	s_cbranch_vccnz .LBB158_3984
; %bb.3969:
	s_cmp_lt_i32 s0, 2
	s_mov_b32 s8, -1
	s_cbranch_scc1 .LBB158_3979
; %bb.3970:
	s_cmp_lt_i32 s0, 3
	s_cbranch_scc1 .LBB158_3976
; %bb.3971:
	s_cmp_gt_i32 s0, 3
	s_cbranch_scc0 .LBB158_3973
; %bb.3972:
	s_wait_xcnt 0x0
	v_trunc_f32_e32 v1, v4
	s_mov_b32 s8, 0
	s_delay_alu instid0(VALU_DEP_1) | instskip(SKIP_1) | instid1(VALU_DEP_2)
	v_mul_f32_e64 v5, 0x2f800000, |v1|
	v_ashrrev_i32_e32 v6, 31, v1
	v_floor_f32_e32 v5, v5
	s_delay_alu instid0(VALU_DEP_1) | instskip(SKIP_1) | instid1(VALU_DEP_2)
	v_fma_f32 v7, 0xcf800000, v5, |v1|
	v_cvt_u32_f32_e32 v1, v5
	v_cvt_u32_f32_e32 v5, v7
	s_delay_alu instid0(VALU_DEP_2) | instskip(NEXT) | instid1(VALU_DEP_2)
	v_dual_mov_b32 v7, v6 :: v_dual_bitop2_b32 v9, v1, v6 bitop3:0x14
	v_xor_b32_e32 v8, v5, v6
	s_delay_alu instid0(VALU_DEP_1)
	v_sub_nc_u64_e32 v[6:7], v[8:9], v[6:7]
	global_store_b64 v[2:3], v[6:7], off
.LBB158_3973:
	s_and_not1_b32 vcc_lo, exec_lo, s8
	s_cbranch_vccnz .LBB158_3975
; %bb.3974:
	s_wait_xcnt 0x0
	v_cvt_i32_f32_e32 v1, v4
	global_store_b32 v[2:3], v1, off
.LBB158_3975:
	s_mov_b32 s8, 0
.LBB158_3976:
	s_delay_alu instid0(SALU_CYCLE_1)
	s_and_not1_b32 vcc_lo, exec_lo, s8
	s_cbranch_vccnz .LBB158_3978
; %bb.3977:
	s_wait_xcnt 0x0
	v_cvt_i32_f32_e32 v1, v4
	global_store_b16 v[2:3], v1, off
.LBB158_3978:
	s_mov_b32 s8, 0
.LBB158_3979:
	s_delay_alu instid0(SALU_CYCLE_1)
	s_and_not1_b32 vcc_lo, exec_lo, s8
	s_cbranch_vccnz .LBB158_3984
; %bb.3980:
	s_cmp_gt_i32 s0, 0
	s_mov_b32 s0, -1
	s_cbranch_scc0 .LBB158_3982
; %bb.3981:
	s_wait_xcnt 0x0
	v_cvt_i32_f32_e32 v1, v4
	s_mov_b32 s0, 0
	global_store_b8 v[2:3], v1, off
.LBB158_3982:
	s_and_not1_b32 vcc_lo, exec_lo, s0
	s_cbranch_vccnz .LBB158_3984
; %bb.3983:
	s_wait_xcnt 0x0
	v_trunc_f32_e32 v1, v4
	s_delay_alu instid0(VALU_DEP_1) | instskip(NEXT) | instid1(VALU_DEP_1)
	v_mul_f32_e64 v4, 0x2f800000, |v1|
	v_floor_f32_e32 v4, v4
	s_delay_alu instid0(VALU_DEP_1) | instskip(SKIP_1) | instid1(VALU_DEP_2)
	v_fma_f32 v4, 0xcf800000, v4, |v1|
	v_ashrrev_i32_e32 v1, 31, v1
	v_cvt_u32_f32_e32 v4, v4
	s_delay_alu instid0(VALU_DEP_1) | instskip(NEXT) | instid1(VALU_DEP_1)
	v_xor_b32_e32 v4, v4, v1
	v_sub_nc_u32_e32 v1, v4, v1
	global_store_b8 v[2:3], v1, off
.LBB158_3984:
	s_mov_b32 s10, -1
.LBB158_3985:
	s_delay_alu instid0(SALU_CYCLE_1)
	s_and_not1_b32 vcc_lo, exec_lo, s10
	s_cbranch_vccnz .LBB158_4181
; %bb.3986:
	s_wait_xcnt 0x0
	v_mov_b64_e32 v[2:3], s[2:3]
	v_mov_b64_e32 v[4:5], s[18:19]
	;; [unrolled: 1-line block ×3, first 2 shown]
	v_dual_mov_b32 v9, v24 :: v_dual_add_nc_u32 v0, s1, v0
	v_mov_b64_e32 v[10:11], s[16:17]
	s_cmp_lt_i32 s26, 11
	v_pk_mul_f32 v[2:3], v[20:21], v[2:3]
	v_mov_b32_e32 v8, v25
	v_pk_mul_f32 v[4:5], v[20:21], v[4:5]
	v_pk_mul_f32 v[6:7], v[18:19], v[6:7] op_sel_hi:[0,1]
	s_delay_alu instid0(VALU_DEP_4) | instskip(NEXT) | instid1(VALU_DEP_3)
	v_dual_add_f32 v2, v2, v3 :: v_dual_ashrrev_i32 v1, 31, v0
	v_pk_add_f32 v[4:5], v[4:5], v[4:5] op_sel:[0,1] op_sel_hi:[0,1] neg_lo:[0,1] neg_hi:[0,1]
	s_delay_alu instid0(VALU_DEP_2) | instskip(NEXT) | instid1(VALU_DEP_4)
	v_pk_mul_f32 v[2:3], v[2:3], v[8:9] op_sel_hi:[0,1]
	v_pk_fma_f32 v[8:9], v[14:15], v[10:11], v[6:7] op_sel_hi:[0,1,1]
	v_pk_fma_f32 v[6:7], v[14:15], v[10:11], v[6:7] op_sel_hi:[0,1,1] neg_lo:[0,0,1] neg_hi:[0,0,1]
	s_delay_alu instid0(VALU_DEP_3) | instskip(NEXT) | instid1(VALU_DEP_3)
	v_pk_fma_f32 v[12:13], v[4:5], v[24:25], v[2:3]
	v_mov_b32_e32 v7, v9
	v_pk_fma_f32 v[4:5], v[4:5], v[24:25], v[2:3] neg_lo:[0,0,1] neg_hi:[0,0,1]
	v_add_nc_u64_e32 v[2:3], s[4:5], v[0:1]
	s_delay_alu instid0(VALU_DEP_4) | instskip(NEXT) | instid1(VALU_DEP_1)
	v_mov_b32_e32 v5, v13
	v_pk_add_f32 v[4:5], v[6:7], v[4:5]
	s_cbranch_scc1 .LBB158_4064
; %bb.3987:
	s_and_b32 s8, 0xffff, s26
	s_mov_b32 s11, -1
	s_mov_b32 s9, 0
	s_cmp_gt_i32 s8, 25
	s_mov_b32 s10, 0
	s_mov_b32 s0, 0
	s_cbranch_scc0 .LBB158_4020
; %bb.3988:
	s_cmp_gt_i32 s8, 28
	s_cbranch_scc0 .LBB158_4003
; %bb.3989:
	s_cmp_gt_i32 s8, 43
	;; [unrolled: 3-line block ×3, first 2 shown]
	s_cbranch_scc0 .LBB158_3993
; %bb.3991:
	s_mov_b32 s0, -1
	s_mov_b32 s11, 0
	s_cmp_eq_u32 s8, 46
	s_cbranch_scc0 .LBB158_3993
; %bb.3992:
	v_dual_lshrrev_b32 v1, 16, v4 :: v_dual_lshrrev_b32 v6, 16, v5
	v_cmp_o_f32_e32 vcc_lo, v4, v4
	s_mov_b32 s0, 0
	s_mov_b32 s10, -1
	s_delay_alu instid0(VALU_DEP_2) | instskip(NEXT) | instid1(VALU_DEP_1)
	v_and_b32_e32 v1, 1, v1
	v_add3_u32 v1, v4, v1, 0x7fff
	s_delay_alu instid0(VALU_DEP_1) | instskip(NEXT) | instid1(VALU_DEP_1)
	v_dual_lshrrev_b32 v1, 16, v1 :: v_dual_bitop2_b32 v6, 1, v6 bitop3:0x40
	v_add3_u32 v6, v5, v6, 0x7fff
	s_delay_alu instid0(VALU_DEP_2) | instskip(NEXT) | instid1(VALU_DEP_2)
	v_cndmask_b32_e32 v1, 0x7fc0, v1, vcc_lo
	v_and_b32_e32 v6, 0xffff0000, v6
	v_cmp_o_f32_e32 vcc_lo, v5, v5
	s_delay_alu instid0(VALU_DEP_2) | instskip(NEXT) | instid1(VALU_DEP_1)
	v_cndmask_b32_e32 v6, 0x7fc00000, v6, vcc_lo
	v_or_b32_e32 v1, v6, v1
	global_store_b32 v[2:3], v1, off
.LBB158_3993:
	s_and_b32 vcc_lo, exec_lo, s11
	s_cbranch_vccz .LBB158_3998
; %bb.3994:
	s_cmp_eq_u32 s8, 44
	s_mov_b32 s0, -1
	s_cbranch_scc0 .LBB158_3998
; %bb.3995:
	v_bfe_u32 v6, v4, 23, 8
	s_wait_xcnt 0x0
	v_mov_b32_e32 v1, 0xff
	s_mov_b32 s10, exec_lo
	s_delay_alu instid0(VALU_DEP_2)
	v_cmpx_ne_u32_e32 0xff, v6
	s_cbranch_execz .LBB158_3997
; %bb.3996:
	v_and_b32_e32 v1, 0x400000, v4
	v_and_or_b32 v6, 0x3fffff, v4, v6
	s_delay_alu instid0(VALU_DEP_2) | instskip(NEXT) | instid1(VALU_DEP_2)
	v_cmp_ne_u32_e32 vcc_lo, 0, v1
	v_cmp_ne_u32_e64 s0, 0, v6
	v_lshrrev_b32_e32 v1, 23, v4
	s_and_b32 s0, vcc_lo, s0
	s_delay_alu instid0(SALU_CYCLE_1) | instskip(NEXT) | instid1(VALU_DEP_1)
	v_cndmask_b32_e64 v6, 0, 1, s0
	v_add_nc_u32_e32 v1, v1, v6
.LBB158_3997:
	s_or_b32 exec_lo, exec_lo, s10
	s_mov_b32 s0, 0
	s_mov_b32 s10, -1
	global_store_b8 v[2:3], v1, off
.LBB158_3998:
	s_mov_b32 s11, 0
.LBB158_3999:
	s_delay_alu instid0(SALU_CYCLE_1)
	s_and_b32 vcc_lo, exec_lo, s11
	s_cbranch_vccz .LBB158_4002
; %bb.4000:
	s_cmp_eq_u32 s8, 29
	s_mov_b32 s0, -1
	s_cbranch_scc0 .LBB158_4002
; %bb.4001:
	s_wait_xcnt 0x0
	v_trunc_f32_e32 v1, v4
	s_mov_b32 s0, 0
	s_mov_b32 s10, -1
	s_delay_alu instid0(VALU_DEP_1) | instskip(NEXT) | instid1(VALU_DEP_1)
	v_mul_f32_e32 v6, 0x2f800000, v1
	v_floor_f32_e32 v6, v6
	s_delay_alu instid0(VALU_DEP_1) | instskip(SKIP_1) | instid1(VALU_DEP_2)
	v_fmamk_f32 v1, v6, 0xcf800000, v1
	v_cvt_u32_f32_e32 v7, v6
	v_cvt_u32_f32_e32 v6, v1
	global_store_b64 v[2:3], v[6:7], off
.LBB158_4002:
	s_mov_b32 s11, 0
.LBB158_4003:
	s_delay_alu instid0(SALU_CYCLE_1)
	s_and_b32 vcc_lo, exec_lo, s11
	s_cbranch_vccz .LBB158_4019
; %bb.4004:
	s_cmp_lt_i32 s8, 27
	s_mov_b32 s10, -1
	s_cbranch_scc1 .LBB158_4010
; %bb.4005:
	s_wait_xcnt 0x0
	v_cvt_u32_f32_e32 v1, v4
	s_cmp_gt_i32 s8, 27
	s_cbranch_scc0 .LBB158_4007
; %bb.4006:
	s_mov_b32 s10, 0
	global_store_b32 v[2:3], v1, off
.LBB158_4007:
	s_and_not1_b32 vcc_lo, exec_lo, s10
	s_cbranch_vccnz .LBB158_4009
; %bb.4008:
	global_store_b16 v[2:3], v1, off
.LBB158_4009:
	s_mov_b32 s10, 0
.LBB158_4010:
	s_delay_alu instid0(SALU_CYCLE_1)
	s_and_not1_b32 vcc_lo, exec_lo, s10
	s_cbranch_vccnz .LBB158_4018
; %bb.4011:
	s_wait_xcnt 0x0
	v_and_b32_e32 v1, 0x7fffffff, v4
	v_mov_b32_e32 v6, 0x80
	s_mov_b32 s10, exec_lo
	s_delay_alu instid0(VALU_DEP_2)
	v_cmpx_gt_u32_e32 0x43800000, v1
	s_cbranch_execz .LBB158_4017
; %bb.4012:
	v_cmp_lt_u32_e32 vcc_lo, 0x3bffffff, v1
	s_mov_b32 s11, 0
                                        ; implicit-def: $vgpr1
	s_and_saveexec_b32 s12, vcc_lo
	s_delay_alu instid0(SALU_CYCLE_1)
	s_xor_b32 s12, exec_lo, s12
	s_cbranch_execnz .LBB158_4250
; %bb.4013:
	s_and_not1_saveexec_b32 s12, s12
	s_cbranch_execnz .LBB158_4251
.LBB158_4014:
	s_or_b32 exec_lo, exec_lo, s12
	v_mov_b32_e32 v6, 0
	s_and_saveexec_b32 s12, s11
.LBB158_4015:
	v_lshrrev_b32_e32 v6, 24, v4
	s_delay_alu instid0(VALU_DEP_1)
	v_and_or_b32 v6, 0x80, v6, v1
.LBB158_4016:
	s_or_b32 exec_lo, exec_lo, s12
.LBB158_4017:
	s_delay_alu instid0(SALU_CYCLE_1)
	s_or_b32 exec_lo, exec_lo, s10
	global_store_b8 v[2:3], v6, off
.LBB158_4018:
	s_mov_b32 s10, -1
.LBB158_4019:
	s_mov_b32 s11, 0
.LBB158_4020:
	s_delay_alu instid0(SALU_CYCLE_1)
	s_and_b32 vcc_lo, exec_lo, s11
	s_cbranch_vccz .LBB158_4060
; %bb.4021:
	s_cmp_gt_i32 s8, 22
	s_mov_b32 s9, -1
	s_cbranch_scc0 .LBB158_4053
; %bb.4022:
	s_cmp_lt_i32 s8, 24
	s_cbranch_scc1 .LBB158_4042
; %bb.4023:
	s_cmp_gt_i32 s8, 24
	s_cbranch_scc0 .LBB158_4031
; %bb.4024:
	s_wait_xcnt 0x0
	v_and_b32_e32 v1, 0x7fffffff, v4
	v_mov_b32_e32 v6, 0x80
	s_mov_b32 s9, exec_lo
	s_delay_alu instid0(VALU_DEP_2)
	v_cmpx_gt_u32_e32 0x47800000, v1
	s_cbranch_execz .LBB158_4030
; %bb.4025:
	v_cmp_lt_u32_e32 vcc_lo, 0x37ffffff, v1
	s_mov_b32 s10, 0
                                        ; implicit-def: $vgpr1
	s_and_saveexec_b32 s11, vcc_lo
	s_delay_alu instid0(SALU_CYCLE_1)
	s_xor_b32 s11, exec_lo, s11
	s_cbranch_execnz .LBB158_4255
; %bb.4026:
	s_and_not1_saveexec_b32 s11, s11
	s_cbranch_execnz .LBB158_4256
.LBB158_4027:
	s_or_b32 exec_lo, exec_lo, s11
	v_mov_b32_e32 v6, 0
	s_and_saveexec_b32 s11, s10
.LBB158_4028:
	v_lshrrev_b32_e32 v6, 24, v4
	s_delay_alu instid0(VALU_DEP_1)
	v_and_or_b32 v6, 0x80, v6, v1
.LBB158_4029:
	s_or_b32 exec_lo, exec_lo, s11
.LBB158_4030:
	s_delay_alu instid0(SALU_CYCLE_1)
	s_or_b32 exec_lo, exec_lo, s9
	s_mov_b32 s9, 0
	global_store_b8 v[2:3], v6, off
.LBB158_4031:
	s_and_b32 vcc_lo, exec_lo, s9
	s_cbranch_vccz .LBB158_4041
; %bb.4032:
	s_wait_xcnt 0x0
	v_and_b32_e32 v6, 0x7fffffff, v4
	s_mov_b32 s9, exec_lo
                                        ; implicit-def: $vgpr1
	s_delay_alu instid0(VALU_DEP_1)
	v_cmpx_gt_u32_e32 0x43f00000, v6
	s_xor_b32 s9, exec_lo, s9
	s_cbranch_execz .LBB158_4038
; %bb.4033:
	s_mov_b32 s10, exec_lo
                                        ; implicit-def: $vgpr1
	v_cmpx_lt_u32_e32 0x3c7fffff, v6
	s_xor_b32 s10, exec_lo, s10
; %bb.4034:
	v_bfe_u32 v1, v4, 20, 1
	s_delay_alu instid0(VALU_DEP_1) | instskip(NEXT) | instid1(VALU_DEP_1)
	v_add3_u32 v1, v4, v1, 0x407ffff
	v_and_b32_e32 v6, 0xff00000, v1
	v_lshrrev_b32_e32 v1, 20, v1
	s_delay_alu instid0(VALU_DEP_2) | instskip(NEXT) | instid1(VALU_DEP_2)
	v_cmp_ne_u32_e32 vcc_lo, 0x7f00000, v6
	v_cndmask_b32_e32 v1, 0x7e, v1, vcc_lo
; %bb.4035:
	s_and_not1_saveexec_b32 s10, s10
; %bb.4036:
	v_add_f32_e64 v1, 0x46800000, |v4|
; %bb.4037:
	s_or_b32 exec_lo, exec_lo, s10
                                        ; implicit-def: $vgpr6
.LBB158_4038:
	s_and_not1_saveexec_b32 s9, s9
; %bb.4039:
	v_mov_b32_e32 v1, 0x7f
	v_cmp_lt_u32_e32 vcc_lo, 0x7f800000, v6
	s_delay_alu instid0(VALU_DEP_2)
	v_cndmask_b32_e32 v1, 0x7e, v1, vcc_lo
; %bb.4040:
	s_or_b32 exec_lo, exec_lo, s9
	v_lshrrev_b32_e32 v6, 24, v4
	s_delay_alu instid0(VALU_DEP_1)
	v_and_or_b32 v1, 0x80, v6, v1
	global_store_b8 v[2:3], v1, off
.LBB158_4041:
	s_mov_b32 s9, 0
.LBB158_4042:
	s_delay_alu instid0(SALU_CYCLE_1)
	s_and_not1_b32 vcc_lo, exec_lo, s9
	s_cbranch_vccnz .LBB158_4052
; %bb.4043:
	s_wait_xcnt 0x0
	v_and_b32_e32 v6, 0x7fffffff, v4
	s_mov_b32 s9, exec_lo
                                        ; implicit-def: $vgpr1
	s_delay_alu instid0(VALU_DEP_1)
	v_cmpx_gt_u32_e32 0x47800000, v6
	s_xor_b32 s9, exec_lo, s9
	s_cbranch_execz .LBB158_4049
; %bb.4044:
	s_mov_b32 s10, exec_lo
                                        ; implicit-def: $vgpr1
	v_cmpx_lt_u32_e32 0x387fffff, v6
	s_xor_b32 s10, exec_lo, s10
; %bb.4045:
	v_bfe_u32 v1, v4, 21, 1
	s_delay_alu instid0(VALU_DEP_1) | instskip(NEXT) | instid1(VALU_DEP_1)
	v_add3_u32 v1, v4, v1, 0x80fffff
	v_lshrrev_b32_e32 v1, 21, v1
; %bb.4046:
	s_and_not1_saveexec_b32 s10, s10
; %bb.4047:
	v_add_f32_e64 v1, 0x43000000, |v4|
; %bb.4048:
	s_or_b32 exec_lo, exec_lo, s10
                                        ; implicit-def: $vgpr6
.LBB158_4049:
	s_and_not1_saveexec_b32 s9, s9
; %bb.4050:
	v_mov_b32_e32 v1, 0x7f
	v_cmp_lt_u32_e32 vcc_lo, 0x7f800000, v6
	s_delay_alu instid0(VALU_DEP_2)
	v_cndmask_b32_e32 v1, 0x7c, v1, vcc_lo
; %bb.4051:
	s_or_b32 exec_lo, exec_lo, s9
	v_lshrrev_b32_e32 v6, 24, v4
	s_delay_alu instid0(VALU_DEP_1)
	v_and_or_b32 v1, 0x80, v6, v1
	global_store_b8 v[2:3], v1, off
.LBB158_4052:
	s_mov_b32 s9, 0
	s_mov_b32 s10, -1
.LBB158_4053:
	s_and_not1_b32 vcc_lo, exec_lo, s9
	s_mov_b32 s9, 0
	s_cbranch_vccnz .LBB158_4060
; %bb.4054:
	s_cmp_gt_i32 s8, 14
	s_mov_b32 s9, -1
	s_cbranch_scc0 .LBB158_4058
; %bb.4055:
	s_cmp_eq_u32 s8, 15
	s_mov_b32 s0, -1
	s_cbranch_scc0 .LBB158_4057
; %bb.4056:
	s_wait_xcnt 0x0
	v_bfe_u32 v1, v4, 16, 1
	v_cmp_o_f32_e32 vcc_lo, v4, v4
	s_mov_b32 s0, 0
	s_mov_b32 s10, -1
	s_delay_alu instid0(VALU_DEP_2) | instskip(NEXT) | instid1(VALU_DEP_1)
	v_add3_u32 v1, v4, v1, 0x7fff
	v_lshrrev_b32_e32 v1, 16, v1
	s_delay_alu instid0(VALU_DEP_1)
	v_cndmask_b32_e32 v1, 0x7fc0, v1, vcc_lo
	global_store_b16 v[2:3], v1, off
.LBB158_4057:
	s_mov_b32 s9, 0
.LBB158_4058:
	s_delay_alu instid0(SALU_CYCLE_1)
	s_and_b32 vcc_lo, exec_lo, s9
	s_mov_b32 s9, 0
	s_cbranch_vccz .LBB158_4060
; %bb.4059:
	s_cmp_lg_u32 s8, 11
	s_mov_b32 s9, -1
	s_cselect_b32 s0, -1, 0
.LBB158_4060:
	s_delay_alu instid0(SALU_CYCLE_1)
	s_and_b32 vcc_lo, exec_lo, s0
	s_cbranch_vccnz .LBB158_4245
; %bb.4061:
	s_and_not1_b32 vcc_lo, exec_lo, s9
	s_cbranch_vccnz .LBB158_4063
.LBB158_4062:
	v_cmp_neq_f32_e32 vcc_lo, 0, v4
	v_cmp_neq_f32_e64 s0, 0, v5
	s_mov_b32 s10, -1
	s_or_b32 s0, vcc_lo, s0
	s_wait_xcnt 0x0
	v_cndmask_b32_e64 v1, 0, 1, s0
	global_store_b8 v[2:3], v1, off
.LBB158_4063:
	s_mov_b32 s0, 0
	s_branch .LBB158_4065
.LBB158_4064:
	s_mov_b32 s0, -1
	s_mov_b32 s10, 0
.LBB158_4065:
	s_and_b32 vcc_lo, exec_lo, s0
	s_cbranch_vccz .LBB158_4104
; %bb.4066:
	s_and_b32 s0, 0xffff, s26
	s_mov_b32 s8, -1
	s_cmp_lt_i32 s0, 5
	s_cbranch_scc1 .LBB158_4087
; %bb.4067:
	s_cmp_lt_i32 s0, 8
	s_cbranch_scc1 .LBB158_4077
; %bb.4068:
	;; [unrolled: 3-line block ×3, first 2 shown]
	s_cmp_gt_i32 s0, 9
	s_cbranch_scc0 .LBB158_4071
; %bb.4070:
	s_wait_xcnt 0x0
	v_cvt_f64_f32_e32 v[6:7], v4
	v_cvt_f64_f32_e32 v[8:9], v5
	s_mov_b32 s8, 0
	global_store_b128 v[2:3], v[6:9], off
.LBB158_4071:
	s_and_not1_b32 vcc_lo, exec_lo, s8
	s_cbranch_vccnz .LBB158_4073
; %bb.4072:
	global_store_b64 v[2:3], v[4:5], off
.LBB158_4073:
	s_mov_b32 s8, 0
.LBB158_4074:
	s_delay_alu instid0(SALU_CYCLE_1)
	s_and_not1_b32 vcc_lo, exec_lo, s8
	s_cbranch_vccnz .LBB158_4076
; %bb.4075:
	s_wait_xcnt 0x0
	v_cvt_f16_f32_e32 v1, v5
	v_cvt_f16_f32_e32 v5, v4
	s_delay_alu instid0(VALU_DEP_2) | instskip(NEXT) | instid1(VALU_DEP_2)
	v_lshlrev_b32_e32 v1, 16, v1
	v_and_b32_e32 v5, 0xffff, v5
	s_delay_alu instid0(VALU_DEP_1)
	v_or_b32_e32 v1, v1, v5
	global_store_b32 v[2:3], v1, off
.LBB158_4076:
	s_mov_b32 s8, 0
.LBB158_4077:
	s_delay_alu instid0(SALU_CYCLE_1)
	s_and_not1_b32 vcc_lo, exec_lo, s8
	s_cbranch_vccnz .LBB158_4086
; %bb.4078:
	s_cmp_lt_i32 s0, 6
	s_mov_b32 s8, -1
	s_cbranch_scc1 .LBB158_4084
; %bb.4079:
	s_cmp_gt_i32 s0, 6
	s_cbranch_scc0 .LBB158_4081
; %bb.4080:
	s_wait_xcnt 0x0
	v_cvt_f64_f32_e32 v[6:7], v4
	s_mov_b32 s8, 0
	global_store_b64 v[2:3], v[6:7], off
.LBB158_4081:
	s_and_not1_b32 vcc_lo, exec_lo, s8
	s_cbranch_vccnz .LBB158_4083
; %bb.4082:
	global_store_b32 v[2:3], v4, off
.LBB158_4083:
	s_mov_b32 s8, 0
.LBB158_4084:
	s_delay_alu instid0(SALU_CYCLE_1)
	s_and_not1_b32 vcc_lo, exec_lo, s8
	s_cbranch_vccnz .LBB158_4086
; %bb.4085:
	s_wait_xcnt 0x0
	v_cvt_f16_f32_e32 v1, v4
	global_store_b16 v[2:3], v1, off
.LBB158_4086:
	s_mov_b32 s8, 0
.LBB158_4087:
	s_delay_alu instid0(SALU_CYCLE_1)
	s_and_not1_b32 vcc_lo, exec_lo, s8
	s_cbranch_vccnz .LBB158_4103
; %bb.4088:
	s_cmp_lt_i32 s0, 2
	s_mov_b32 s8, -1
	s_cbranch_scc1 .LBB158_4098
; %bb.4089:
	s_cmp_lt_i32 s0, 3
	s_cbranch_scc1 .LBB158_4095
; %bb.4090:
	s_cmp_gt_i32 s0, 3
	s_cbranch_scc0 .LBB158_4092
; %bb.4091:
	s_wait_xcnt 0x0
	v_trunc_f32_e32 v1, v4
	s_mov_b32 s8, 0
	s_delay_alu instid0(VALU_DEP_1) | instskip(SKIP_1) | instid1(VALU_DEP_2)
	v_mul_f32_e64 v5, 0x2f800000, |v1|
	v_ashrrev_i32_e32 v6, 31, v1
	v_floor_f32_e32 v5, v5
	s_delay_alu instid0(VALU_DEP_1) | instskip(SKIP_1) | instid1(VALU_DEP_2)
	v_fma_f32 v7, 0xcf800000, v5, |v1|
	v_cvt_u32_f32_e32 v1, v5
	v_cvt_u32_f32_e32 v5, v7
	s_delay_alu instid0(VALU_DEP_2) | instskip(NEXT) | instid1(VALU_DEP_2)
	v_dual_mov_b32 v7, v6 :: v_dual_bitop2_b32 v9, v1, v6 bitop3:0x14
	v_xor_b32_e32 v8, v5, v6
	s_delay_alu instid0(VALU_DEP_1)
	v_sub_nc_u64_e32 v[6:7], v[8:9], v[6:7]
	global_store_b64 v[2:3], v[6:7], off
.LBB158_4092:
	s_and_not1_b32 vcc_lo, exec_lo, s8
	s_cbranch_vccnz .LBB158_4094
; %bb.4093:
	s_wait_xcnt 0x0
	v_cvt_i32_f32_e32 v1, v4
	global_store_b32 v[2:3], v1, off
.LBB158_4094:
	s_mov_b32 s8, 0
.LBB158_4095:
	s_delay_alu instid0(SALU_CYCLE_1)
	s_and_not1_b32 vcc_lo, exec_lo, s8
	s_cbranch_vccnz .LBB158_4097
; %bb.4096:
	s_wait_xcnt 0x0
	v_cvt_i32_f32_e32 v1, v4
	global_store_b16 v[2:3], v1, off
.LBB158_4097:
	s_mov_b32 s8, 0
.LBB158_4098:
	s_delay_alu instid0(SALU_CYCLE_1)
	s_and_not1_b32 vcc_lo, exec_lo, s8
	s_cbranch_vccnz .LBB158_4103
; %bb.4099:
	s_cmp_gt_i32 s0, 0
	s_mov_b32 s0, -1
	s_cbranch_scc0 .LBB158_4101
; %bb.4100:
	s_wait_xcnt 0x0
	v_cvt_i32_f32_e32 v1, v4
	s_mov_b32 s0, 0
	global_store_b8 v[2:3], v1, off
.LBB158_4101:
	s_and_not1_b32 vcc_lo, exec_lo, s0
	s_cbranch_vccnz .LBB158_4103
; %bb.4102:
	s_wait_xcnt 0x0
	v_trunc_f32_e32 v1, v4
	s_delay_alu instid0(VALU_DEP_1) | instskip(NEXT) | instid1(VALU_DEP_1)
	v_mul_f32_e64 v4, 0x2f800000, |v1|
	v_floor_f32_e32 v4, v4
	s_delay_alu instid0(VALU_DEP_1) | instskip(SKIP_1) | instid1(VALU_DEP_2)
	v_fma_f32 v4, 0xcf800000, v4, |v1|
	v_ashrrev_i32_e32 v1, 31, v1
	v_cvt_u32_f32_e32 v4, v4
	s_delay_alu instid0(VALU_DEP_1) | instskip(NEXT) | instid1(VALU_DEP_1)
	v_xor_b32_e32 v4, v4, v1
	v_sub_nc_u32_e32 v1, v4, v1
	global_store_b8 v[2:3], v1, off
.LBB158_4103:
	s_mov_b32 s10, -1
.LBB158_4104:
	s_delay_alu instid0(SALU_CYCLE_1)
	s_and_not1_b32 vcc_lo, exec_lo, s10
	s_cbranch_vccnz .LBB158_4181
; %bb.4105:
	s_wait_xcnt 0x0
	v_mov_b64_e32 v[2:3], s[2:3]
	v_mov_b64_e32 v[4:5], s[18:19]
	;; [unrolled: 1-line block ×3, first 2 shown]
	v_dual_mov_b32 v9, v30 :: v_dual_add_nc_u32 v0, s1, v0
	v_mov_b64_e32 v[10:11], s[16:17]
	s_cmp_lt_i32 s26, 11
	v_pk_mul_f32 v[2:3], v[28:29], v[2:3]
	v_mov_b32_e32 v8, v31
	v_pk_mul_f32 v[4:5], v[28:29], v[4:5]
	v_pk_mul_f32 v[6:7], v[26:27], v[6:7] op_sel_hi:[0,1]
	s_delay_alu instid0(VALU_DEP_4) | instskip(NEXT) | instid1(VALU_DEP_3)
	v_dual_add_f32 v2, v2, v3 :: v_dual_ashrrev_i32 v1, 31, v0
	v_pk_add_f32 v[4:5], v[4:5], v[4:5] op_sel:[0,1] op_sel_hi:[0,1] neg_lo:[0,1] neg_hi:[0,1]
	s_delay_alu instid0(VALU_DEP_2) | instskip(NEXT) | instid1(VALU_DEP_3)
	v_add_nc_u64_e32 v[0:1], s[4:5], v[0:1]
	v_pk_mul_f32 v[2:3], v[2:3], v[8:9] op_sel_hi:[0,1]
	v_pk_fma_f32 v[8:9], v[22:23], v[10:11], v[6:7] op_sel_hi:[0,1,1]
	v_pk_fma_f32 v[6:7], v[22:23], v[10:11], v[6:7] op_sel_hi:[0,1,1] neg_lo:[0,0,1] neg_hi:[0,0,1]
	s_delay_alu instid0(VALU_DEP_3) | instskip(NEXT) | instid1(VALU_DEP_3)
	v_pk_fma_f32 v[12:13], v[4:5], v[30:31], v[2:3]
	v_mov_b32_e32 v7, v9
	v_pk_fma_f32 v[2:3], v[4:5], v[30:31], v[2:3] neg_lo:[0,0,1] neg_hi:[0,0,1]
	s_delay_alu instid0(VALU_DEP_3) | instskip(NEXT) | instid1(VALU_DEP_1)
	v_mov_b32_e32 v3, v13
	v_pk_add_f32 v[2:3], v[6:7], v[2:3]
	s_cbranch_scc1 .LBB158_4226
; %bb.4106:
	s_and_b32 s2, 0xffff, s26
	s_mov_b32 s3, -1
	s_mov_b32 s1, 0
	s_cmp_gt_i32 s2, 25
	s_mov_b32 s0, 0
	s_cbranch_scc0 .LBB158_4139
; %bb.4107:
	s_cmp_gt_i32 s2, 28
	s_cbranch_scc0 .LBB158_4123
; %bb.4108:
	s_cmp_gt_i32 s2, 43
	;; [unrolled: 3-line block ×3, first 2 shown]
	s_cbranch_scc0 .LBB158_4113
; %bb.4110:
	s_cmp_eq_u32 s2, 46
	s_mov_b32 s0, -1
	s_cbranch_scc0 .LBB158_4112
; %bb.4111:
	v_dual_lshrrev_b32 v4, 16, v2 :: v_dual_lshrrev_b32 v5, 16, v3
	v_cmp_o_f32_e32 vcc_lo, v2, v2
	s_mov_b32 s0, 0
	s_delay_alu instid0(VALU_DEP_2) | instskip(NEXT) | instid1(VALU_DEP_1)
	v_and_b32_e32 v4, 1, v4
	v_add3_u32 v4, v2, v4, 0x7fff
	s_delay_alu instid0(VALU_DEP_1) | instskip(NEXT) | instid1(VALU_DEP_1)
	v_dual_lshrrev_b32 v4, 16, v4 :: v_dual_bitop2_b32 v5, 1, v5 bitop3:0x40
	v_add3_u32 v5, v3, v5, 0x7fff
	s_delay_alu instid0(VALU_DEP_2) | instskip(NEXT) | instid1(VALU_DEP_2)
	v_cndmask_b32_e32 v4, 0x7fc0, v4, vcc_lo
	v_and_b32_e32 v5, 0xffff0000, v5
	v_cmp_o_f32_e32 vcc_lo, v3, v3
	s_delay_alu instid0(VALU_DEP_2) | instskip(NEXT) | instid1(VALU_DEP_1)
	v_cndmask_b32_e32 v5, 0x7fc00000, v5, vcc_lo
	v_or_b32_e32 v4, v5, v4
	global_store_b32 v[0:1], v4, off
.LBB158_4112:
	s_mov_b32 s3, 0
.LBB158_4113:
	s_delay_alu instid0(SALU_CYCLE_1)
	s_and_b32 vcc_lo, exec_lo, s3
	s_cbranch_vccz .LBB158_4118
; %bb.4114:
	s_cmp_eq_u32 s2, 44
	s_mov_b32 s0, -1
	s_cbranch_scc0 .LBB158_4118
; %bb.4115:
	v_bfe_u32 v5, v2, 23, 8
	s_wait_xcnt 0x0
	v_mov_b32_e32 v4, 0xff
	s_mov_b32 s3, exec_lo
	s_delay_alu instid0(VALU_DEP_2)
	v_cmpx_ne_u32_e32 0xff, v5
	s_cbranch_execz .LBB158_4117
; %bb.4116:
	v_and_b32_e32 v4, 0x400000, v2
	v_and_or_b32 v5, 0x3fffff, v2, v5
	s_delay_alu instid0(VALU_DEP_2) | instskip(NEXT) | instid1(VALU_DEP_2)
	v_cmp_ne_u32_e32 vcc_lo, 0, v4
	v_cmp_ne_u32_e64 s0, 0, v5
	v_lshrrev_b32_e32 v4, 23, v2
	s_and_b32 s0, vcc_lo, s0
	s_delay_alu instid0(SALU_CYCLE_1) | instskip(NEXT) | instid1(VALU_DEP_1)
	v_cndmask_b32_e64 v5, 0, 1, s0
	v_add_nc_u32_e32 v4, v4, v5
.LBB158_4117:
	s_or_b32 exec_lo, exec_lo, s3
	s_mov_b32 s0, 0
	global_store_b8 v[0:1], v4, off
.LBB158_4118:
	s_mov_b32 s3, 0
.LBB158_4119:
	s_delay_alu instid0(SALU_CYCLE_1)
	s_and_b32 vcc_lo, exec_lo, s3
	s_cbranch_vccz .LBB158_4122
; %bb.4120:
	s_cmp_eq_u32 s2, 29
	s_mov_b32 s0, -1
	s_cbranch_scc0 .LBB158_4122
; %bb.4121:
	s_wait_xcnt 0x0
	v_trunc_f32_e32 v4, v2
	s_mov_b32 s0, 0
	s_delay_alu instid0(VALU_DEP_1) | instskip(NEXT) | instid1(VALU_DEP_1)
	v_mul_f32_e32 v5, 0x2f800000, v4
	v_floor_f32_e32 v5, v5
	s_delay_alu instid0(VALU_DEP_1) | instskip(SKIP_1) | instid1(VALU_DEP_2)
	v_fmamk_f32 v4, v5, 0xcf800000, v4
	v_cvt_u32_f32_e32 v5, v5
	v_cvt_u32_f32_e32 v4, v4
	global_store_b64 v[0:1], v[4:5], off
.LBB158_4122:
	s_mov_b32 s3, 0
.LBB158_4123:
	s_delay_alu instid0(SALU_CYCLE_1)
	s_and_b32 vcc_lo, exec_lo, s3
	s_cbranch_vccz .LBB158_4138
; %bb.4124:
	s_cmp_lt_i32 s2, 27
	s_mov_b32 s3, -1
	s_cbranch_scc1 .LBB158_4130
; %bb.4125:
	s_wait_xcnt 0x0
	v_cvt_u32_f32_e32 v4, v2
	s_cmp_gt_i32 s2, 27
	s_cbranch_scc0 .LBB158_4127
; %bb.4126:
	s_mov_b32 s3, 0
	global_store_b32 v[0:1], v4, off
.LBB158_4127:
	s_and_not1_b32 vcc_lo, exec_lo, s3
	s_cbranch_vccnz .LBB158_4129
; %bb.4128:
	global_store_b16 v[0:1], v4, off
.LBB158_4129:
	s_mov_b32 s3, 0
.LBB158_4130:
	s_delay_alu instid0(SALU_CYCLE_1)
	s_and_not1_b32 vcc_lo, exec_lo, s3
	s_cbranch_vccnz .LBB158_4138
; %bb.4131:
	s_wait_xcnt 0x0
	v_and_b32_e32 v4, 0x7fffffff, v2
	v_mov_b32_e32 v5, 0x80
	s_mov_b32 s3, exec_lo
	s_delay_alu instid0(VALU_DEP_2)
	v_cmpx_gt_u32_e32 0x43800000, v4
	s_cbranch_execz .LBB158_4137
; %bb.4132:
	v_cmp_lt_u32_e32 vcc_lo, 0x3bffffff, v4
	s_mov_b32 s4, 0
                                        ; implicit-def: $vgpr4
	s_and_saveexec_b32 s5, vcc_lo
	s_delay_alu instid0(SALU_CYCLE_1)
	s_xor_b32 s5, exec_lo, s5
	s_cbranch_execnz .LBB158_4259
; %bb.4133:
	s_and_not1_saveexec_b32 s5, s5
	s_cbranch_execnz .LBB158_4260
.LBB158_4134:
	s_or_b32 exec_lo, exec_lo, s5
	v_mov_b32_e32 v5, 0
	s_and_saveexec_b32 s5, s4
.LBB158_4135:
	v_lshrrev_b32_e32 v5, 24, v2
	s_delay_alu instid0(VALU_DEP_1)
	v_and_or_b32 v5, 0x80, v5, v4
.LBB158_4136:
	s_or_b32 exec_lo, exec_lo, s5
.LBB158_4137:
	s_delay_alu instid0(SALU_CYCLE_1)
	s_or_b32 exec_lo, exec_lo, s3
	global_store_b8 v[0:1], v5, off
.LBB158_4138:
	s_mov_b32 s3, 0
.LBB158_4139:
	s_delay_alu instid0(SALU_CYCLE_1)
	s_and_b32 vcc_lo, exec_lo, s3
	s_cbranch_vccz .LBB158_4179
; %bb.4140:
	s_cmp_gt_i32 s2, 22
	s_mov_b32 s1, -1
	s_cbranch_scc0 .LBB158_4172
; %bb.4141:
	s_cmp_lt_i32 s2, 24
	s_cbranch_scc1 .LBB158_4161
; %bb.4142:
	s_cmp_gt_i32 s2, 24
	s_cbranch_scc0 .LBB158_4150
; %bb.4143:
	s_wait_xcnt 0x0
	v_and_b32_e32 v4, 0x7fffffff, v2
	v_mov_b32_e32 v5, 0x80
	s_mov_b32 s1, exec_lo
	s_delay_alu instid0(VALU_DEP_2)
	v_cmpx_gt_u32_e32 0x47800000, v4
	s_cbranch_execz .LBB158_4149
; %bb.4144:
	v_cmp_lt_u32_e32 vcc_lo, 0x37ffffff, v4
	s_mov_b32 s3, 0
                                        ; implicit-def: $vgpr4
	s_and_saveexec_b32 s4, vcc_lo
	s_delay_alu instid0(SALU_CYCLE_1)
	s_xor_b32 s4, exec_lo, s4
	s_cbranch_execnz .LBB158_4263
; %bb.4145:
	s_and_not1_saveexec_b32 s4, s4
	s_cbranch_execnz .LBB158_4264
.LBB158_4146:
	s_or_b32 exec_lo, exec_lo, s4
	v_mov_b32_e32 v5, 0
	s_and_saveexec_b32 s4, s3
.LBB158_4147:
	v_lshrrev_b32_e32 v5, 24, v2
	s_delay_alu instid0(VALU_DEP_1)
	v_and_or_b32 v5, 0x80, v5, v4
.LBB158_4148:
	s_or_b32 exec_lo, exec_lo, s4
.LBB158_4149:
	s_delay_alu instid0(SALU_CYCLE_1)
	s_or_b32 exec_lo, exec_lo, s1
	s_mov_b32 s1, 0
	global_store_b8 v[0:1], v5, off
.LBB158_4150:
	s_and_b32 vcc_lo, exec_lo, s1
	s_cbranch_vccz .LBB158_4160
; %bb.4151:
	s_wait_xcnt 0x0
	v_and_b32_e32 v5, 0x7fffffff, v2
	s_mov_b32 s1, exec_lo
                                        ; implicit-def: $vgpr4
	s_delay_alu instid0(VALU_DEP_1)
	v_cmpx_gt_u32_e32 0x43f00000, v5
	s_xor_b32 s1, exec_lo, s1
	s_cbranch_execz .LBB158_4157
; %bb.4152:
	s_mov_b32 s3, exec_lo
                                        ; implicit-def: $vgpr4
	v_cmpx_lt_u32_e32 0x3c7fffff, v5
	s_xor_b32 s3, exec_lo, s3
; %bb.4153:
	v_bfe_u32 v4, v2, 20, 1
	s_delay_alu instid0(VALU_DEP_1) | instskip(NEXT) | instid1(VALU_DEP_1)
	v_add3_u32 v4, v2, v4, 0x407ffff
	v_and_b32_e32 v5, 0xff00000, v4
	v_lshrrev_b32_e32 v4, 20, v4
	s_delay_alu instid0(VALU_DEP_2) | instskip(NEXT) | instid1(VALU_DEP_2)
	v_cmp_ne_u32_e32 vcc_lo, 0x7f00000, v5
	v_cndmask_b32_e32 v4, 0x7e, v4, vcc_lo
; %bb.4154:
	s_and_not1_saveexec_b32 s3, s3
; %bb.4155:
	v_add_f32_e64 v4, 0x46800000, |v2|
; %bb.4156:
	s_or_b32 exec_lo, exec_lo, s3
                                        ; implicit-def: $vgpr5
.LBB158_4157:
	s_and_not1_saveexec_b32 s1, s1
; %bb.4158:
	v_mov_b32_e32 v4, 0x7f
	v_cmp_lt_u32_e32 vcc_lo, 0x7f800000, v5
	s_delay_alu instid0(VALU_DEP_2)
	v_cndmask_b32_e32 v4, 0x7e, v4, vcc_lo
; %bb.4159:
	s_or_b32 exec_lo, exec_lo, s1
	v_lshrrev_b32_e32 v5, 24, v2
	s_delay_alu instid0(VALU_DEP_1)
	v_and_or_b32 v4, 0x80, v5, v4
	global_store_b8 v[0:1], v4, off
.LBB158_4160:
	s_mov_b32 s1, 0
.LBB158_4161:
	s_delay_alu instid0(SALU_CYCLE_1)
	s_and_not1_b32 vcc_lo, exec_lo, s1
	s_cbranch_vccnz .LBB158_4171
; %bb.4162:
	s_wait_xcnt 0x0
	v_and_b32_e32 v5, 0x7fffffff, v2
	s_mov_b32 s1, exec_lo
                                        ; implicit-def: $vgpr4
	s_delay_alu instid0(VALU_DEP_1)
	v_cmpx_gt_u32_e32 0x47800000, v5
	s_xor_b32 s1, exec_lo, s1
	s_cbranch_execz .LBB158_4168
; %bb.4163:
	s_mov_b32 s3, exec_lo
                                        ; implicit-def: $vgpr4
	v_cmpx_lt_u32_e32 0x387fffff, v5
	s_xor_b32 s3, exec_lo, s3
; %bb.4164:
	v_bfe_u32 v4, v2, 21, 1
	s_delay_alu instid0(VALU_DEP_1) | instskip(NEXT) | instid1(VALU_DEP_1)
	v_add3_u32 v4, v2, v4, 0x80fffff
	v_lshrrev_b32_e32 v4, 21, v4
; %bb.4165:
	s_and_not1_saveexec_b32 s3, s3
; %bb.4166:
	v_add_f32_e64 v4, 0x43000000, |v2|
; %bb.4167:
	s_or_b32 exec_lo, exec_lo, s3
                                        ; implicit-def: $vgpr5
.LBB158_4168:
	s_and_not1_saveexec_b32 s1, s1
; %bb.4169:
	v_mov_b32_e32 v4, 0x7f
	v_cmp_lt_u32_e32 vcc_lo, 0x7f800000, v5
	s_delay_alu instid0(VALU_DEP_2)
	v_cndmask_b32_e32 v4, 0x7c, v4, vcc_lo
; %bb.4170:
	s_or_b32 exec_lo, exec_lo, s1
	v_lshrrev_b32_e32 v5, 24, v2
	s_delay_alu instid0(VALU_DEP_1)
	v_and_or_b32 v4, 0x80, v5, v4
	global_store_b8 v[0:1], v4, off
.LBB158_4171:
	s_mov_b32 s1, 0
.LBB158_4172:
	s_delay_alu instid0(SALU_CYCLE_1)
	s_and_not1_b32 vcc_lo, exec_lo, s1
	s_mov_b32 s1, 0
	s_cbranch_vccnz .LBB158_4179
; %bb.4173:
	s_cmp_gt_i32 s2, 14
	s_mov_b32 s1, -1
	s_cbranch_scc0 .LBB158_4177
; %bb.4174:
	s_cmp_eq_u32 s2, 15
	s_mov_b32 s0, -1
	s_cbranch_scc0 .LBB158_4176
; %bb.4175:
	s_wait_xcnt 0x0
	v_bfe_u32 v4, v2, 16, 1
	v_cmp_o_f32_e32 vcc_lo, v2, v2
	s_mov_b32 s0, 0
	s_delay_alu instid0(VALU_DEP_2) | instskip(NEXT) | instid1(VALU_DEP_1)
	v_add3_u32 v4, v2, v4, 0x7fff
	v_lshrrev_b32_e32 v4, 16, v4
	s_delay_alu instid0(VALU_DEP_1)
	v_cndmask_b32_e32 v4, 0x7fc0, v4, vcc_lo
	global_store_b16 v[0:1], v4, off
.LBB158_4176:
	s_mov_b32 s1, 0
.LBB158_4177:
	s_delay_alu instid0(SALU_CYCLE_1)
	s_and_b32 vcc_lo, exec_lo, s1
	s_mov_b32 s1, 0
	s_cbranch_vccz .LBB158_4179
; %bb.4178:
	s_cmp_lg_u32 s2, 11
	s_mov_b32 s1, -1
	s_cselect_b32 s0, -1, 0
.LBB158_4179:
	s_delay_alu instid0(SALU_CYCLE_1)
	s_and_b32 vcc_lo, exec_lo, s0
	s_cbranch_vccnz .LBB158_4254
.LBB158_4180:
	s_mov_b32 s0, 0
	s_branch .LBB158_4182
.LBB158_4181:
	s_mov_b32 s0, 0
	s_mov_b32 s1, 0
                                        ; implicit-def: $sgpr26
                                        ; implicit-def: $vgpr0_vgpr1
                                        ; implicit-def: $vgpr2_vgpr3
.LBB158_4182:
	s_and_b32 s2, s0, exec_lo
	s_and_not1_b32 s0, s25, exec_lo
	s_and_b32 s3, s22, exec_lo
	s_and_b32 s22, s1, exec_lo
	s_or_b32 s25, s0, s3
.LBB158_4183:
	s_wait_xcnt 0x0
	s_or_b32 exec_lo, exec_lo, s24
	s_and_saveexec_b32 s0, s25
	s_cbranch_execnz .LBB158_4187
; %bb.4184:
	s_or_b32 exec_lo, exec_lo, s0
	s_and_saveexec_b32 s0, s22
	s_delay_alu instid0(SALU_CYCLE_1)
	s_xor_b32 s1, exec_lo, s0
	s_cbranch_execnz .LBB158_4188
.LBB158_4185:
	s_or_b32 exec_lo, exec_lo, s1
	s_and_saveexec_b32 s0, s2
	s_cbranch_execnz .LBB158_4189
.LBB158_4186:
	s_endpgm
.LBB158_4187:
	; divergent unreachable
	s_or_b32 exec_lo, exec_lo, s0
	s_and_saveexec_b32 s0, s22
	s_delay_alu instid0(SALU_CYCLE_1)
	s_xor_b32 s1, exec_lo, s0
	s_cbranch_execz .LBB158_4185
.LBB158_4188:
	v_cmp_neq_f32_e32 vcc_lo, 0, v2
	v_cmp_neq_f32_e64 s0, 0, v3
	s_or_b32 s0, vcc_lo, s0
	s_wait_loadcnt 0x0
	v_cndmask_b32_e64 v4, 0, 1, s0
	global_store_b8 v[0:1], v4, off
	s_wait_xcnt 0x0
	s_or_b32 exec_lo, exec_lo, s1
	s_and_saveexec_b32 s0, s2
	s_cbranch_execz .LBB158_4186
.LBB158_4189:
	s_sext_i32_i16 s1, s26
	s_mov_b32 s0, -1
	s_cmp_lt_i32 s1, 5
	s_cbranch_scc1 .LBB158_4210
; %bb.4190:
	s_cmp_lt_i32 s1, 8
	s_cbranch_scc1 .LBB158_4200
; %bb.4191:
	;; [unrolled: 3-line block ×3, first 2 shown]
	s_cmp_gt_i32 s1, 9
	s_cbranch_scc0 .LBB158_4194
; %bb.4193:
	s_wait_loadcnt 0x0
	v_cvt_f64_f32_e32 v[4:5], v2
	v_cvt_f64_f32_e32 v[6:7], v3
	s_mov_b32 s0, 0
	global_store_b128 v[0:1], v[4:7], off
.LBB158_4194:
	s_and_not1_b32 vcc_lo, exec_lo, s0
	s_cbranch_vccnz .LBB158_4196
; %bb.4195:
	s_wait_loadcnt 0x0
	global_store_b64 v[0:1], v[2:3], off
.LBB158_4196:
	s_mov_b32 s0, 0
.LBB158_4197:
	s_delay_alu instid0(SALU_CYCLE_1)
	s_and_not1_b32 vcc_lo, exec_lo, s0
	s_cbranch_vccnz .LBB158_4199
; %bb.4198:
	s_wait_xcnt 0x0
	v_cvt_f16_f32_e32 v3, v3
	s_wait_loadcnt 0x0
	v_cvt_f16_f32_e32 v4, v2
	s_delay_alu instid0(VALU_DEP_2) | instskip(NEXT) | instid1(VALU_DEP_2)
	v_lshlrev_b32_e32 v3, 16, v3
	v_and_b32_e32 v4, 0xffff, v4
	s_delay_alu instid0(VALU_DEP_1)
	v_or_b32_e32 v3, v3, v4
	global_store_b32 v[0:1], v3, off
.LBB158_4199:
	s_mov_b32 s0, 0
.LBB158_4200:
	s_delay_alu instid0(SALU_CYCLE_1)
	s_and_not1_b32 vcc_lo, exec_lo, s0
	s_cbranch_vccnz .LBB158_4209
; %bb.4201:
	s_sext_i32_i16 s1, s26
	s_mov_b32 s0, -1
	s_cmp_lt_i32 s1, 6
	s_cbranch_scc1 .LBB158_4207
; %bb.4202:
	s_cmp_gt_i32 s1, 6
	s_cbranch_scc0 .LBB158_4204
; %bb.4203:
	s_wait_loadcnt 0x0
	v_cvt_f64_f32_e32 v[4:5], v2
	s_mov_b32 s0, 0
	global_store_b64 v[0:1], v[4:5], off
.LBB158_4204:
	s_and_not1_b32 vcc_lo, exec_lo, s0
	s_cbranch_vccnz .LBB158_4206
; %bb.4205:
	s_wait_loadcnt 0x0
	global_store_b32 v[0:1], v2, off
.LBB158_4206:
	s_mov_b32 s0, 0
.LBB158_4207:
	s_delay_alu instid0(SALU_CYCLE_1)
	s_and_not1_b32 vcc_lo, exec_lo, s0
	s_cbranch_vccnz .LBB158_4209
; %bb.4208:
	s_wait_xcnt 0x0
	v_cvt_f16_f32_e32 v3, v2
	s_wait_loadcnt 0x0
	global_store_b16 v[0:1], v3, off
.LBB158_4209:
	s_mov_b32 s0, 0
.LBB158_4210:
	s_delay_alu instid0(SALU_CYCLE_1)
	s_and_not1_b32 vcc_lo, exec_lo, s0
	s_cbranch_vccnz .LBB158_4186
; %bb.4211:
	s_sext_i32_i16 s1, s26
	s_mov_b32 s0, -1
	s_cmp_lt_i32 s1, 2
	s_cbranch_scc1 .LBB158_4221
; %bb.4212:
	s_cmp_lt_i32 s1, 3
	s_cbranch_scc1 .LBB158_4218
; %bb.4213:
	s_cmp_gt_i32 s1, 3
	s_cbranch_scc0 .LBB158_4215
; %bb.4214:
	s_wait_xcnt 0x0
	v_trunc_f32_e32 v3, v2
	s_mov_b32 s0, 0
	s_wait_loadcnt 0x0
	s_delay_alu instid0(VALU_DEP_1) | instskip(NEXT) | instid1(VALU_DEP_1)
	v_mul_f32_e64 v4, 0x2f800000, |v3|
	v_floor_f32_e32 v5, v4
	v_ashrrev_i32_e32 v4, 31, v3
	s_delay_alu instid0(VALU_DEP_2) | instskip(SKIP_1) | instid1(VALU_DEP_3)
	v_fma_f32 v6, 0xcf800000, v5, |v3|
	v_cvt_u32_f32_e32 v3, v5
	v_mov_b32_e32 v5, v4
	s_delay_alu instid0(VALU_DEP_3) | instskip(NEXT) | instid1(VALU_DEP_3)
	v_cvt_u32_f32_e32 v6, v6
	v_xor_b32_e32 v7, v3, v4
	s_delay_alu instid0(VALU_DEP_2) | instskip(NEXT) | instid1(VALU_DEP_1)
	v_xor_b32_e32 v6, v6, v4
	v_sub_nc_u64_e32 v[4:5], v[6:7], v[4:5]
	global_store_b64 v[0:1], v[4:5], off
.LBB158_4215:
	s_and_not1_b32 vcc_lo, exec_lo, s0
	s_cbranch_vccnz .LBB158_4217
; %bb.4216:
	s_wait_xcnt 0x0
	v_cvt_i32_f32_e32 v3, v2
	s_wait_loadcnt 0x0
	global_store_b32 v[0:1], v3, off
.LBB158_4217:
	s_mov_b32 s0, 0
.LBB158_4218:
	s_delay_alu instid0(SALU_CYCLE_1)
	s_and_not1_b32 vcc_lo, exec_lo, s0
	s_cbranch_vccnz .LBB158_4220
; %bb.4219:
	s_wait_xcnt 0x0
	v_cvt_i32_f32_e32 v3, v2
	s_wait_loadcnt 0x0
	global_store_b16 v[0:1], v3, off
.LBB158_4220:
	s_mov_b32 s0, 0
.LBB158_4221:
	s_delay_alu instid0(SALU_CYCLE_1)
	s_and_not1_b32 vcc_lo, exec_lo, s0
	s_cbranch_vccnz .LBB158_4186
; %bb.4222:
	s_sext_i32_i16 s0, s26
	s_delay_alu instid0(SALU_CYCLE_1)
	s_cmp_gt_i32 s0, 0
	s_mov_b32 s0, -1
	s_cbranch_scc0 .LBB158_4224
; %bb.4223:
	s_wait_xcnt 0x0
	v_cvt_i32_f32_e32 v3, v2
	s_mov_b32 s0, 0
	s_wait_loadcnt 0x0
	global_store_b8 v[0:1], v3, off
.LBB158_4224:
	s_and_not1_b32 vcc_lo, exec_lo, s0
	s_cbranch_vccnz .LBB158_4186
; %bb.4225:
	s_wait_xcnt 0x0
	v_trunc_f32_e32 v2, v2
	s_delay_alu instid0(VALU_DEP_1) | instskip(NEXT) | instid1(VALU_DEP_1)
	v_mul_f32_e64 v3, 0x2f800000, |v2|
	v_floor_f32_e32 v3, v3
	s_delay_alu instid0(VALU_DEP_1) | instskip(SKIP_1) | instid1(VALU_DEP_2)
	v_fma_f32 v3, 0xcf800000, v3, |v2|
	v_ashrrev_i32_e32 v2, 31, v2
	v_cvt_u32_f32_e32 v3, v3
	s_delay_alu instid0(VALU_DEP_1) | instskip(NEXT) | instid1(VALU_DEP_1)
	v_xor_b32_e32 v3, v3, v2
	v_sub_nc_u32_e32 v2, v3, v2
	s_wait_loadcnt 0x0
	global_store_b8 v[0:1], v2, off
	s_endpgm
.LBB158_4226:
	s_mov_b32 s1, 0
	s_mov_b32 s0, -1
	s_branch .LBB158_4182
.LBB158_4227:
	s_mov_b32 s2, -1
	s_mov_b32 s6, exec_lo
	v_cmpx_eq_u16_e32 0x80, v1
; %bb.4228:
	s_xor_b32 s2, exec_lo, -1
; %bb.4229:
	s_or_b32 exec_lo, exec_lo, s6
	s_delay_alu instid0(SALU_CYCLE_1)
	s_and_b32 s2, s2, exec_lo
	s_or_saveexec_b32 s3, s3
	v_mov_b32_e32 v30, 0x7f800001
	s_xor_b32 exec_lo, exec_lo, s3
	s_cbranch_execz .LBB158_3675
.LBB158_4230:
	v_cmp_ne_u16_e32 vcc_lo, 0, v1
	v_mov_b32_e32 v30, 0
	s_and_not1_b32 s2, s2, exec_lo
	s_and_b32 s6, vcc_lo, exec_lo
	s_delay_alu instid0(SALU_CYCLE_1)
	s_or_b32 s2, s2, s6
	s_or_b32 exec_lo, exec_lo, s3
	s_and_saveexec_b32 s3, s2
	s_cbranch_execnz .LBB158_3676
	s_branch .LBB158_3677
.LBB158_4231:
	s_or_b32 s22, s22, exec_lo
	s_trap 2
	s_cbranch_execz .LBB158_3824
	s_branch .LBB158_3825
.LBB158_4232:
	v_bfe_u32 v5, v2, 20, 1
	s_mov_b32 s8, exec_lo
	s_delay_alu instid0(VALU_DEP_1) | instskip(NEXT) | instid1(VALU_DEP_1)
	v_add3_u32 v5, v2, v5, 0x487ffff
	v_lshrrev_b32_e32 v5, 20, v5
	s_and_not1_saveexec_b32 s9, s9
	s_cbranch_execz .LBB158_3776
.LBB158_4233:
	v_add_f32_e64 v5, 0x46000000, |v2|
	s_mov_b32 s10, s8
	s_mov_b32 s11, exec_lo
	s_delay_alu instid0(VALU_DEP_1) | instskip(NEXT) | instid1(VALU_DEP_1)
	v_and_b32_e32 v5, 0xff, v5
	v_cmpx_ne_u32_e32 0, v5
; %bb.4234:
	s_or_b32 s10, s8, exec_lo
; %bb.4235:
	s_or_b32 exec_lo, exec_lo, s11
	s_delay_alu instid0(SALU_CYCLE_1) | instskip(SKIP_1) | instid1(SALU_CYCLE_1)
	s_and_not1_b32 s8, s8, exec_lo
	s_and_b32 s10, s10, exec_lo
	s_or_b32 s8, s8, s10
	s_or_b32 exec_lo, exec_lo, s9
	v_mov_b32_e32 v7, 0
	s_and_saveexec_b32 s9, s8
	s_cbranch_execnz .LBB158_3777
	s_branch .LBB158_3778
.LBB158_4236:
	s_or_b32 s22, s22, exec_lo
	s_trap 2
	s_cbranch_execz .LBB158_3943
	s_branch .LBB158_3944
.LBB158_4237:
	v_bfe_u32 v5, v2, 21, 1
	s_mov_b32 s7, exec_lo
	s_delay_alu instid0(VALU_DEP_1) | instskip(NEXT) | instid1(VALU_DEP_1)
	v_add3_u32 v5, v2, v5, 0x88fffff
	v_lshrrev_b32_e32 v5, 21, v5
	s_and_not1_saveexec_b32 s8, s8
	s_cbranch_execz .LBB158_3789
.LBB158_4238:
	v_add_f32_e64 v5, 0x42800000, |v2|
	s_mov_b32 s9, s7
	s_mov_b32 s10, exec_lo
	s_delay_alu instid0(VALU_DEP_1) | instskip(NEXT) | instid1(VALU_DEP_1)
	v_and_b32_e32 v5, 0xff, v5
	v_cmpx_ne_u32_e32 0, v5
; %bb.4239:
	s_or_b32 s9, s7, exec_lo
; %bb.4240:
	s_or_b32 exec_lo, exec_lo, s10
	s_delay_alu instid0(SALU_CYCLE_1) | instskip(SKIP_1) | instid1(SALU_CYCLE_1)
	s_and_not1_b32 s7, s7, exec_lo
	s_and_b32 s9, s9, exec_lo
	s_or_b32 s7, s7, s9
	s_or_b32 exec_lo, exec_lo, s8
	v_mov_b32_e32 v7, 0
	s_and_saveexec_b32 s8, s7
	s_cbranch_execnz .LBB158_3790
	s_branch .LBB158_3791
.LBB158_4241:
	v_bfe_u32 v1, v4, 20, 1
	s_mov_b32 s11, exec_lo
	s_delay_alu instid0(VALU_DEP_1) | instskip(NEXT) | instid1(VALU_DEP_1)
	v_add3_u32 v1, v4, v1, 0x487ffff
	v_lshrrev_b32_e32 v1, 20, v1
	s_and_not1_saveexec_b32 s12, s12
	s_cbranch_execz .LBB158_3895
.LBB158_4242:
	v_add_f32_e64 v1, 0x46000000, |v4|
	s_mov_b32 s13, s11
	s_mov_b32 s14, exec_lo
	s_delay_alu instid0(VALU_DEP_1) | instskip(NEXT) | instid1(VALU_DEP_1)
	v_and_b32_e32 v1, 0xff, v1
	v_cmpx_ne_u32_e32 0, v1
; %bb.4243:
	s_or_b32 s13, s11, exec_lo
; %bb.4244:
	s_or_b32 exec_lo, exec_lo, s14
	s_delay_alu instid0(SALU_CYCLE_1) | instskip(SKIP_1) | instid1(SALU_CYCLE_1)
	s_and_not1_b32 s11, s11, exec_lo
	s_and_b32 s13, s13, exec_lo
	s_or_b32 s11, s11, s13
	s_or_b32 exec_lo, exec_lo, s12
	v_mov_b32_e32 v6, 0
	s_and_saveexec_b32 s12, s11
	s_cbranch_execnz .LBB158_3896
	s_branch .LBB158_3897
.LBB158_4245:
	s_or_b32 s22, s22, exec_lo
	s_trap 2
	s_cbranch_execz .LBB158_4062
	s_branch .LBB158_4063
.LBB158_4246:
	v_bfe_u32 v1, v4, 21, 1
	s_mov_b32 s10, exec_lo
	s_delay_alu instid0(VALU_DEP_1) | instskip(NEXT) | instid1(VALU_DEP_1)
	v_add3_u32 v1, v4, v1, 0x88fffff
	v_lshrrev_b32_e32 v1, 21, v1
	s_and_not1_saveexec_b32 s11, s11
	s_cbranch_execz .LBB158_3908
.LBB158_4247:
	v_add_f32_e64 v1, 0x42800000, |v4|
	s_mov_b32 s12, s10
	s_mov_b32 s13, exec_lo
	s_delay_alu instid0(VALU_DEP_1) | instskip(NEXT) | instid1(VALU_DEP_1)
	v_and_b32_e32 v1, 0xff, v1
	v_cmpx_ne_u32_e32 0, v1
; %bb.4248:
	s_or_b32 s12, s10, exec_lo
; %bb.4249:
	s_or_b32 exec_lo, exec_lo, s13
	s_delay_alu instid0(SALU_CYCLE_1) | instskip(SKIP_1) | instid1(SALU_CYCLE_1)
	s_and_not1_b32 s10, s10, exec_lo
	s_and_b32 s12, s12, exec_lo
	s_or_b32 s10, s10, s12
	s_or_b32 exec_lo, exec_lo, s11
	v_mov_b32_e32 v6, 0
	s_and_saveexec_b32 s11, s10
	s_cbranch_execnz .LBB158_3909
	s_branch .LBB158_3910
.LBB158_4250:
	v_bfe_u32 v1, v4, 20, 1
	s_mov_b32 s11, exec_lo
	s_delay_alu instid0(VALU_DEP_1) | instskip(NEXT) | instid1(VALU_DEP_1)
	v_add3_u32 v1, v4, v1, 0x487ffff
	v_lshrrev_b32_e32 v1, 20, v1
	s_and_not1_saveexec_b32 s12, s12
	s_cbranch_execz .LBB158_4014
.LBB158_4251:
	v_add_f32_e64 v1, 0x46000000, |v4|
	s_mov_b32 s13, s11
	s_mov_b32 s14, exec_lo
	s_delay_alu instid0(VALU_DEP_1) | instskip(NEXT) | instid1(VALU_DEP_1)
	v_and_b32_e32 v1, 0xff, v1
	v_cmpx_ne_u32_e32 0, v1
; %bb.4252:
	s_or_b32 s13, s11, exec_lo
; %bb.4253:
	s_or_b32 exec_lo, exec_lo, s14
	s_delay_alu instid0(SALU_CYCLE_1) | instskip(SKIP_1) | instid1(SALU_CYCLE_1)
	s_and_not1_b32 s11, s11, exec_lo
	s_and_b32 s13, s13, exec_lo
	s_or_b32 s11, s11, s13
	s_or_b32 exec_lo, exec_lo, s12
	v_mov_b32_e32 v6, 0
	s_and_saveexec_b32 s12, s11
	s_cbranch_execnz .LBB158_4015
	s_branch .LBB158_4016
.LBB158_4254:
	s_mov_b32 s1, 0
	s_or_b32 s22, s22, exec_lo
	s_trap 2
	s_branch .LBB158_4180
.LBB158_4255:
	v_bfe_u32 v1, v4, 21, 1
	s_mov_b32 s10, exec_lo
	s_delay_alu instid0(VALU_DEP_1) | instskip(NEXT) | instid1(VALU_DEP_1)
	v_add3_u32 v1, v4, v1, 0x88fffff
	v_lshrrev_b32_e32 v1, 21, v1
	s_and_not1_saveexec_b32 s11, s11
	s_cbranch_execz .LBB158_4027
.LBB158_4256:
	v_add_f32_e64 v1, 0x42800000, |v4|
	s_mov_b32 s12, s10
	s_mov_b32 s13, exec_lo
	s_delay_alu instid0(VALU_DEP_1) | instskip(NEXT) | instid1(VALU_DEP_1)
	v_and_b32_e32 v1, 0xff, v1
	v_cmpx_ne_u32_e32 0, v1
; %bb.4257:
	s_or_b32 s12, s10, exec_lo
; %bb.4258:
	s_or_b32 exec_lo, exec_lo, s13
	s_delay_alu instid0(SALU_CYCLE_1) | instskip(SKIP_1) | instid1(SALU_CYCLE_1)
	s_and_not1_b32 s10, s10, exec_lo
	s_and_b32 s12, s12, exec_lo
	s_or_b32 s10, s10, s12
	s_or_b32 exec_lo, exec_lo, s11
	v_mov_b32_e32 v6, 0
	s_and_saveexec_b32 s11, s10
	s_cbranch_execnz .LBB158_4028
	s_branch .LBB158_4029
.LBB158_4259:
	v_bfe_u32 v4, v2, 20, 1
	s_mov_b32 s4, exec_lo
	s_delay_alu instid0(VALU_DEP_1) | instskip(NEXT) | instid1(VALU_DEP_1)
	v_add3_u32 v4, v2, v4, 0x487ffff
	v_lshrrev_b32_e32 v4, 20, v4
	s_and_not1_saveexec_b32 s5, s5
	s_cbranch_execz .LBB158_4134
.LBB158_4260:
	v_add_f32_e64 v4, 0x46000000, |v2|
	s_mov_b32 s6, s4
	s_mov_b32 s7, exec_lo
	s_delay_alu instid0(VALU_DEP_1) | instskip(NEXT) | instid1(VALU_DEP_1)
	v_and_b32_e32 v4, 0xff, v4
	v_cmpx_ne_u32_e32 0, v4
; %bb.4261:
	s_or_b32 s6, s4, exec_lo
; %bb.4262:
	s_or_b32 exec_lo, exec_lo, s7
	s_delay_alu instid0(SALU_CYCLE_1) | instskip(SKIP_1) | instid1(SALU_CYCLE_1)
	s_and_not1_b32 s4, s4, exec_lo
	s_and_b32 s6, s6, exec_lo
	s_or_b32 s4, s4, s6
	s_or_b32 exec_lo, exec_lo, s5
	v_mov_b32_e32 v5, 0
	s_and_saveexec_b32 s5, s4
	s_cbranch_execnz .LBB158_4135
	s_branch .LBB158_4136
.LBB158_4263:
	v_bfe_u32 v4, v2, 21, 1
	s_mov_b32 s3, exec_lo
	s_delay_alu instid0(VALU_DEP_1) | instskip(NEXT) | instid1(VALU_DEP_1)
	v_add3_u32 v4, v2, v4, 0x88fffff
	v_lshrrev_b32_e32 v4, 21, v4
	s_and_not1_saveexec_b32 s4, s4
	s_cbranch_execz .LBB158_4146
.LBB158_4264:
	v_add_f32_e64 v4, 0x42800000, |v2|
	s_mov_b32 s5, s3
	s_mov_b32 s6, exec_lo
	s_delay_alu instid0(VALU_DEP_1) | instskip(NEXT) | instid1(VALU_DEP_1)
	v_and_b32_e32 v4, 0xff, v4
	v_cmpx_ne_u32_e32 0, v4
; %bb.4265:
	s_or_b32 s5, s3, exec_lo
; %bb.4266:
	s_or_b32 exec_lo, exec_lo, s6
	s_delay_alu instid0(SALU_CYCLE_1) | instskip(SKIP_1) | instid1(SALU_CYCLE_1)
	s_and_not1_b32 s3, s3, exec_lo
	s_and_b32 s5, s5, exec_lo
	s_or_b32 s3, s3, s5
	s_or_b32 exec_lo, exec_lo, s4
	v_mov_b32_e32 v5, 0
	s_and_saveexec_b32 s4, s3
	s_cbranch_execnz .LBB158_4147
	s_branch .LBB158_4148
	.section	.rodata,"a",@progbits
	.p2align	6, 0x0
	.amdhsa_kernel _ZN2at6native32elementwise_kernel_manual_unrollILi128ELi4EZNS0_15gpu_kernel_implIZZZNS0_12_GLOBAL__N_116addr_kernel_cudaERNS_14TensorIteratorERKN3c106ScalarES9_ENKUlvE_clEvENKUlvE7_clEvEUlNS6_7complexIfEESD_SD_E0_EEvRNS_18TensorIteratorBaseERKT_EUlibE_EEviT1_
		.amdhsa_group_segment_fixed_size 0
		.amdhsa_private_segment_fixed_size 0
		.amdhsa_kernarg_size 80
		.amdhsa_user_sgpr_count 2
		.amdhsa_user_sgpr_dispatch_ptr 0
		.amdhsa_user_sgpr_queue_ptr 0
		.amdhsa_user_sgpr_kernarg_segment_ptr 1
		.amdhsa_user_sgpr_dispatch_id 0
		.amdhsa_user_sgpr_kernarg_preload_length 0
		.amdhsa_user_sgpr_kernarg_preload_offset 0
		.amdhsa_user_sgpr_private_segment_size 0
		.amdhsa_wavefront_size32 1
		.amdhsa_uses_dynamic_stack 0
		.amdhsa_enable_private_segment 0
		.amdhsa_system_sgpr_workgroup_id_x 1
		.amdhsa_system_sgpr_workgroup_id_y 0
		.amdhsa_system_sgpr_workgroup_id_z 0
		.amdhsa_system_sgpr_workgroup_info 0
		.amdhsa_system_vgpr_workitem_id 0
		.amdhsa_next_free_vgpr 42
		.amdhsa_next_free_sgpr 48
		.amdhsa_named_barrier_count 0
		.amdhsa_reserve_vcc 1
		.amdhsa_float_round_mode_32 0
		.amdhsa_float_round_mode_16_64 0
		.amdhsa_float_denorm_mode_32 3
		.amdhsa_float_denorm_mode_16_64 3
		.amdhsa_fp16_overflow 0
		.amdhsa_memory_ordered 1
		.amdhsa_forward_progress 1
		.amdhsa_inst_pref_size 255
		.amdhsa_round_robin_scheduling 0
		.amdhsa_exception_fp_ieee_invalid_op 0
		.amdhsa_exception_fp_denorm_src 0
		.amdhsa_exception_fp_ieee_div_zero 0
		.amdhsa_exception_fp_ieee_overflow 0
		.amdhsa_exception_fp_ieee_underflow 0
		.amdhsa_exception_fp_ieee_inexact 0
		.amdhsa_exception_int_div_zero 0
	.end_amdhsa_kernel
	.section	.text._ZN2at6native32elementwise_kernel_manual_unrollILi128ELi4EZNS0_15gpu_kernel_implIZZZNS0_12_GLOBAL__N_116addr_kernel_cudaERNS_14TensorIteratorERKN3c106ScalarES9_ENKUlvE_clEvENKUlvE7_clEvEUlNS6_7complexIfEESD_SD_E0_EEvRNS_18TensorIteratorBaseERKT_EUlibE_EEviT1_,"axG",@progbits,_ZN2at6native32elementwise_kernel_manual_unrollILi128ELi4EZNS0_15gpu_kernel_implIZZZNS0_12_GLOBAL__N_116addr_kernel_cudaERNS_14TensorIteratorERKN3c106ScalarES9_ENKUlvE_clEvENKUlvE7_clEvEUlNS6_7complexIfEESD_SD_E0_EEvRNS_18TensorIteratorBaseERKT_EUlibE_EEviT1_,comdat
.Lfunc_end158:
	.size	_ZN2at6native32elementwise_kernel_manual_unrollILi128ELi4EZNS0_15gpu_kernel_implIZZZNS0_12_GLOBAL__N_116addr_kernel_cudaERNS_14TensorIteratorERKN3c106ScalarES9_ENKUlvE_clEvENKUlvE7_clEvEUlNS6_7complexIfEESD_SD_E0_EEvRNS_18TensorIteratorBaseERKT_EUlibE_EEviT1_, .Lfunc_end158-_ZN2at6native32elementwise_kernel_manual_unrollILi128ELi4EZNS0_15gpu_kernel_implIZZZNS0_12_GLOBAL__N_116addr_kernel_cudaERNS_14TensorIteratorERKN3c106ScalarES9_ENKUlvE_clEvENKUlvE7_clEvEUlNS6_7complexIfEESD_SD_E0_EEvRNS_18TensorIteratorBaseERKT_EUlibE_EEviT1_
                                        ; -- End function
	.set _ZN2at6native32elementwise_kernel_manual_unrollILi128ELi4EZNS0_15gpu_kernel_implIZZZNS0_12_GLOBAL__N_116addr_kernel_cudaERNS_14TensorIteratorERKN3c106ScalarES9_ENKUlvE_clEvENKUlvE7_clEvEUlNS6_7complexIfEESD_SD_E0_EEvRNS_18TensorIteratorBaseERKT_EUlibE_EEviT1_.num_vgpr, 42
	.set _ZN2at6native32elementwise_kernel_manual_unrollILi128ELi4EZNS0_15gpu_kernel_implIZZZNS0_12_GLOBAL__N_116addr_kernel_cudaERNS_14TensorIteratorERKN3c106ScalarES9_ENKUlvE_clEvENKUlvE7_clEvEUlNS6_7complexIfEESD_SD_E0_EEvRNS_18TensorIteratorBaseERKT_EUlibE_EEviT1_.num_agpr, 0
	.set _ZN2at6native32elementwise_kernel_manual_unrollILi128ELi4EZNS0_15gpu_kernel_implIZZZNS0_12_GLOBAL__N_116addr_kernel_cudaERNS_14TensorIteratorERKN3c106ScalarES9_ENKUlvE_clEvENKUlvE7_clEvEUlNS6_7complexIfEESD_SD_E0_EEvRNS_18TensorIteratorBaseERKT_EUlibE_EEviT1_.numbered_sgpr, 48
	.set _ZN2at6native32elementwise_kernel_manual_unrollILi128ELi4EZNS0_15gpu_kernel_implIZZZNS0_12_GLOBAL__N_116addr_kernel_cudaERNS_14TensorIteratorERKN3c106ScalarES9_ENKUlvE_clEvENKUlvE7_clEvEUlNS6_7complexIfEESD_SD_E0_EEvRNS_18TensorIteratorBaseERKT_EUlibE_EEviT1_.num_named_barrier, 0
	.set _ZN2at6native32elementwise_kernel_manual_unrollILi128ELi4EZNS0_15gpu_kernel_implIZZZNS0_12_GLOBAL__N_116addr_kernel_cudaERNS_14TensorIteratorERKN3c106ScalarES9_ENKUlvE_clEvENKUlvE7_clEvEUlNS6_7complexIfEESD_SD_E0_EEvRNS_18TensorIteratorBaseERKT_EUlibE_EEviT1_.private_seg_size, 0
	.set _ZN2at6native32elementwise_kernel_manual_unrollILi128ELi4EZNS0_15gpu_kernel_implIZZZNS0_12_GLOBAL__N_116addr_kernel_cudaERNS_14TensorIteratorERKN3c106ScalarES9_ENKUlvE_clEvENKUlvE7_clEvEUlNS6_7complexIfEESD_SD_E0_EEvRNS_18TensorIteratorBaseERKT_EUlibE_EEviT1_.uses_vcc, 1
	.set _ZN2at6native32elementwise_kernel_manual_unrollILi128ELi4EZNS0_15gpu_kernel_implIZZZNS0_12_GLOBAL__N_116addr_kernel_cudaERNS_14TensorIteratorERKN3c106ScalarES9_ENKUlvE_clEvENKUlvE7_clEvEUlNS6_7complexIfEESD_SD_E0_EEvRNS_18TensorIteratorBaseERKT_EUlibE_EEviT1_.uses_flat_scratch, 0
	.set _ZN2at6native32elementwise_kernel_manual_unrollILi128ELi4EZNS0_15gpu_kernel_implIZZZNS0_12_GLOBAL__N_116addr_kernel_cudaERNS_14TensorIteratorERKN3c106ScalarES9_ENKUlvE_clEvENKUlvE7_clEvEUlNS6_7complexIfEESD_SD_E0_EEvRNS_18TensorIteratorBaseERKT_EUlibE_EEviT1_.has_dyn_sized_stack, 0
	.set _ZN2at6native32elementwise_kernel_manual_unrollILi128ELi4EZNS0_15gpu_kernel_implIZZZNS0_12_GLOBAL__N_116addr_kernel_cudaERNS_14TensorIteratorERKN3c106ScalarES9_ENKUlvE_clEvENKUlvE7_clEvEUlNS6_7complexIfEESD_SD_E0_EEvRNS_18TensorIteratorBaseERKT_EUlibE_EEviT1_.has_recursion, 0
	.set _ZN2at6native32elementwise_kernel_manual_unrollILi128ELi4EZNS0_15gpu_kernel_implIZZZNS0_12_GLOBAL__N_116addr_kernel_cudaERNS_14TensorIteratorERKN3c106ScalarES9_ENKUlvE_clEvENKUlvE7_clEvEUlNS6_7complexIfEESD_SD_E0_EEvRNS_18TensorIteratorBaseERKT_EUlibE_EEviT1_.has_indirect_call, 0
	.section	.AMDGPU.csdata,"",@progbits
; Kernel info:
; codeLenInByte = 77168
; TotalNumSgprs: 50
; NumVgprs: 42
; ScratchSize: 0
; MemoryBound: 1
; FloatMode: 240
; IeeeMode: 1
; LDSByteSize: 0 bytes/workgroup (compile time only)
; SGPRBlocks: 0
; VGPRBlocks: 2
; NumSGPRsForWavesPerEU: 50
; NumVGPRsForWavesPerEU: 42
; NamedBarCnt: 0
; Occupancy: 16
; WaveLimiterHint : 0
; COMPUTE_PGM_RSRC2:SCRATCH_EN: 0
; COMPUTE_PGM_RSRC2:USER_SGPR: 2
; COMPUTE_PGM_RSRC2:TRAP_HANDLER: 0
; COMPUTE_PGM_RSRC2:TGID_X_EN: 1
; COMPUTE_PGM_RSRC2:TGID_Y_EN: 0
; COMPUTE_PGM_RSRC2:TGID_Z_EN: 0
; COMPUTE_PGM_RSRC2:TIDIG_COMP_CNT: 0
	.section	.text._ZN2at6native32elementwise_kernel_manual_unrollILi128ELi4EZNS0_15gpu_kernel_implIZZZNS0_12_GLOBAL__N_116addr_kernel_cudaERNS_14TensorIteratorERKN3c106ScalarES9_ENKUlvE_clEvENKUlvE7_clEvEUlNS6_7complexIfEESD_SD_E0_EEvRNS_18TensorIteratorBaseERKT_EUlibE0_EEviT1_,"axG",@progbits,_ZN2at6native32elementwise_kernel_manual_unrollILi128ELi4EZNS0_15gpu_kernel_implIZZZNS0_12_GLOBAL__N_116addr_kernel_cudaERNS_14TensorIteratorERKN3c106ScalarES9_ENKUlvE_clEvENKUlvE7_clEvEUlNS6_7complexIfEESD_SD_E0_EEvRNS_18TensorIteratorBaseERKT_EUlibE0_EEviT1_,comdat
	.globl	_ZN2at6native32elementwise_kernel_manual_unrollILi128ELi4EZNS0_15gpu_kernel_implIZZZNS0_12_GLOBAL__N_116addr_kernel_cudaERNS_14TensorIteratorERKN3c106ScalarES9_ENKUlvE_clEvENKUlvE7_clEvEUlNS6_7complexIfEESD_SD_E0_EEvRNS_18TensorIteratorBaseERKT_EUlibE0_EEviT1_ ; -- Begin function _ZN2at6native32elementwise_kernel_manual_unrollILi128ELi4EZNS0_15gpu_kernel_implIZZZNS0_12_GLOBAL__N_116addr_kernel_cudaERNS_14TensorIteratorERKN3c106ScalarES9_ENKUlvE_clEvENKUlvE7_clEvEUlNS6_7complexIfEESD_SD_E0_EEvRNS_18TensorIteratorBaseERKT_EUlibE0_EEviT1_
	.p2align	8
	.type	_ZN2at6native32elementwise_kernel_manual_unrollILi128ELi4EZNS0_15gpu_kernel_implIZZZNS0_12_GLOBAL__N_116addr_kernel_cudaERNS_14TensorIteratorERKN3c106ScalarES9_ENKUlvE_clEvENKUlvE7_clEvEUlNS6_7complexIfEESD_SD_E0_EEvRNS_18TensorIteratorBaseERKT_EUlibE0_EEviT1_,@function
_ZN2at6native32elementwise_kernel_manual_unrollILi128ELi4EZNS0_15gpu_kernel_implIZZZNS0_12_GLOBAL__N_116addr_kernel_cudaERNS_14TensorIteratorERKN3c106ScalarES9_ENKUlvE_clEvENKUlvE7_clEvEUlNS6_7complexIfEESD_SD_E0_EEvRNS_18TensorIteratorBaseERKT_EUlibE0_EEviT1_: ; @_ZN2at6native32elementwise_kernel_manual_unrollILi128ELi4EZNS0_15gpu_kernel_implIZZZNS0_12_GLOBAL__N_116addr_kernel_cudaERNS_14TensorIteratorERKN3c106ScalarES9_ENKUlvE_clEvENKUlvE7_clEvEUlNS6_7complexIfEESD_SD_E0_EEvRNS_18TensorIteratorBaseERKT_EUlibE0_EEviT1_
; %bb.0:
	s_clause 0x1
	s_load_b32 s33, s[0:1], 0x8
	s_load_b32 s48, s[0:1], 0x0
	s_bfe_u32 s2, ttmp6, 0x4000c
	s_and_b32 s3, ttmp6, 15
	s_add_co_i32 s2, s2, 1
	s_getreg_b32 s4, hwreg(HW_REG_IB_STS2, 6, 4)
	s_mul_i32 s2, ttmp9, s2
	s_mov_b32 s39, 0
	s_add_co_i32 s3, s3, s2
	s_cmp_eq_u32 s4, 0
	s_mov_b32 s36, -1
	s_cselect_b32 s2, ttmp9, s3
	s_mov_b32 s12, 0
	v_lshl_or_b32 v0, s2, 9, v0
	s_add_nc_u64 s[2:3], s[0:1], 8
	s_wait_xcnt 0x0
	s_mov_b32 s0, exec_lo
	s_delay_alu instid0(VALU_DEP_1) | instskip(SKIP_2) | instid1(SALU_CYCLE_1)
	v_or_b32_e32 v1, 0x180, v0
	s_wait_kmcnt 0x0
	s_add_co_i32 s38, s33, -1
	s_cmp_gt_u32 s38, 1
	s_cselect_b32 s40, -1, 0
	v_cmpx_le_i32_e64 s48, v1
	s_xor_b32 s41, exec_lo, s0
	s_cbranch_execz .LBB159_2162
; %bb.1:
	s_clause 0x5
	s_load_b128 s[24:27], s[2:3], 0x4
	s_load_b64 s[0:1], s[2:3], 0x14
	s_load_b32 s42, s[2:3], 0x1f8
	s_load_b128 s[20:23], s[2:3], 0x1e8
	s_load_b256 s[12:19], s[2:3], 0xc4
	s_load_b256 s[4:11], s[2:3], 0x1c8
	s_cmp_lg_u32 s33, 0
	s_mov_b32 s31, 0
	s_cselect_b32 s49, -1, 0
	s_min_u32 s47, s38, 15
	s_cmp_gt_u32 s33, 1
	s_mov_b32 s35, s31
	s_cselect_b32 s45, -1, 0
	s_mov_b32 s52, s31
	s_mov_b32 s51, s31
	;; [unrolled: 1-line block ×4, first 2 shown]
	s_mov_b32 s53, exec_lo
	s_wait_kmcnt 0x0
	s_mov_b32 s30, s25
	s_mov_b32 s34, s0
	s_lshr_b32 s43, s42, 16
	s_lshr_b32 s44, s42, 8
	;; [unrolled: 1-line block ×3, first 2 shown]
	s_mov_b32 s28, s23
	s_mov_b32 s29, s22
	v_cmpx_gt_i32_e64 s48, v0
	s_cbranch_execz .LBB159_537
; %bb.2:
	s_and_not1_b32 vcc_lo, exec_lo, s40
	s_cbranch_vccnz .LBB159_8
; %bb.3:
	s_and_not1_b32 vcc_lo, exec_lo, s49
	s_cbranch_vccnz .LBB159_9
; %bb.4:
	v_dual_mov_b32 v10, 0 :: v_dual_mov_b32 v1, v0
	v_dual_mov_b32 v8, 0 :: v_dual_mov_b32 v2, 0
	v_mov_b32_e32 v4, 0
	s_add_co_i32 s0, s47, 1
	s_mov_b64 s[22:23], 0xffffffffffffffe0
	s_and_b32 s0, s0, 30
	s_add_nc_u64 s[22:23], s[2:3], s[22:23]
	s_mov_b64 s[36:37], s[2:3]
.LBB159_5:                              ; =>This Inner Loop Header: Depth=1
	s_clause 0x1
	s_load_b128 s[64:67], s[36:37], 0x4
	s_load_b64 s[50:51], s[36:37], 0x14
	s_load_b256 s[56:63], s[22:23], 0xe4
	s_add_co_i32 s0, s0, -2
	s_wait_xcnt 0x0
	s_add_nc_u64 s[36:37], s[36:37], 24
	s_cmp_lg_u32 s0, 0
	s_add_nc_u64 s[22:23], s[22:23], 32
	s_wait_kmcnt 0x0
	v_mul_hi_u32 v3, s65, v1
	s_delay_alu instid0(VALU_DEP_1) | instskip(NEXT) | instid1(VALU_DEP_1)
	v_add_nc_u32_e32 v3, v1, v3
	v_lshrrev_b32_e32 v3, s66, v3
	s_delay_alu instid0(VALU_DEP_1) | instskip(SKIP_1) | instid1(VALU_DEP_1)
	v_mul_hi_u32 v5, s50, v3
	v_mul_lo_u32 v6, v3, s64
	v_dual_add_nc_u32 v5, v3, v5 :: v_dual_sub_nc_u32 v6, v1, v6
	s_delay_alu instid0(VALU_DEP_1) | instskip(NEXT) | instid1(VALU_DEP_2)
	v_lshrrev_b32_e32 v1, s51, v5
	v_mad_u32 v4, v6, s57, v4
	v_mad_u32 v2, v6, s56, v2
	;; [unrolled: 1-line block ×4, first 2 shown]
	v_mul_lo_u32 v5, v1, s67
	s_delay_alu instid0(VALU_DEP_1) | instskip(NEXT) | instid1(VALU_DEP_1)
	v_sub_nc_u32_e32 v3, v3, v5
	v_mad_u32 v4, v3, s61, v4
	v_mad_u32 v2, v3, s60, v2
	;; [unrolled: 1-line block ×4, first 2 shown]
	s_cbranch_scc1 .LBB159_5
; %bb.6:
	s_bitcmp1_b32 s47, 0
	s_cselect_b32 s0, -1, 0
	s_delay_alu instid0(SALU_CYCLE_1)
	s_and_b32 vcc_lo, exec_lo, s0
	s_cbranch_vccnz .LBB159_10
; %bb.7:
	s_load_b96 s[60:62], s[36:37], 0x4
	s_load_b128 s[56:59], s[22:23], 0xe4
	s_wait_kmcnt 0x0
	v_mul_hi_u32 v3, s61, v1
	s_delay_alu instid0(VALU_DEP_1) | instskip(NEXT) | instid1(VALU_DEP_1)
	v_add_nc_u32_e32 v3, v1, v3
	v_lshrrev_b32_e32 v3, s62, v3
	s_delay_alu instid0(VALU_DEP_1) | instskip(NEXT) | instid1(VALU_DEP_1)
	v_mul_lo_u32 v3, v3, s60
	v_sub_nc_u32_e32 v1, v1, v3
	s_delay_alu instid0(VALU_DEP_1)
	v_mad_u32 v2, v1, s56, v2
	v_mad_u32 v4, v1, s57, v4
	;; [unrolled: 1-line block ×4, first 2 shown]
	s_cbranch_execz .LBB159_11
	s_branch .LBB159_13
.LBB159_8:
                                        ; implicit-def: $vgpr4
                                        ; implicit-def: $vgpr2
                                        ; implicit-def: $vgpr8
                                        ; implicit-def: $vgpr10
	s_branch .LBB159_11
.LBB159_9:
	v_dual_mov_b32 v4, 0 :: v_dual_mov_b32 v2, 0
	v_dual_mov_b32 v8, 0 :: v_dual_mov_b32 v10, 0
.LBB159_10:
	s_cbranch_execnz .LBB159_13
.LBB159_11:
	v_mov_b32_e32 v1, 0
	s_and_not1_b32 vcc_lo, exec_lo, s45
	s_delay_alu instid0(VALU_DEP_1) | instskip(NEXT) | instid1(VALU_DEP_1)
	v_mul_u64_e32 v[2:3], s[30:31], v[0:1]
	v_add_nc_u32_e32 v2, v0, v3
	s_delay_alu instid0(VALU_DEP_1) | instskip(NEXT) | instid1(VALU_DEP_1)
	v_lshrrev_b32_e32 v6, s26, v2
	v_mul_lo_u32 v2, v6, s24
	s_delay_alu instid0(VALU_DEP_1) | instskip(NEXT) | instid1(VALU_DEP_1)
	v_sub_nc_u32_e32 v3, v0, v2
	v_mul_lo_u32 v4, v3, s13
	v_mul_lo_u32 v2, v3, s12
	;; [unrolled: 1-line block ×4, first 2 shown]
	s_cbranch_vccnz .LBB159_13
; %bb.12:
	v_mov_b32_e32 v7, v1
	s_delay_alu instid0(VALU_DEP_1) | instskip(NEXT) | instid1(VALU_DEP_1)
	v_mul_u64_e32 v[12:13], s[34:35], v[6:7]
	v_add_nc_u32_e32 v1, v6, v13
	s_delay_alu instid0(VALU_DEP_1) | instskip(NEXT) | instid1(VALU_DEP_1)
	v_lshrrev_b32_e32 v1, s1, v1
	v_mul_lo_u32 v1, v1, s27
	s_delay_alu instid0(VALU_DEP_1) | instskip(NEXT) | instid1(VALU_DEP_1)
	v_sub_nc_u32_e32 v1, v6, v1
	v_mad_u32 v2, v1, s16, v2
	v_mad_u32 v4, v1, s17, v4
	;; [unrolled: 1-line block ×4, first 2 shown]
.LBB159_13:
	v_mov_b32_e32 v5, 0
	s_and_b32 s0, s44, 0xff
	s_delay_alu instid0(SALU_CYCLE_1) | instskip(NEXT) | instid1(VALU_DEP_1)
	s_cmp_lt_i32 s0, 11
	v_add_nc_u64_e32 v[12:13], s[6:7], v[4:5]
	s_cbranch_scc1 .LBB159_20
; %bb.14:
	s_and_b32 s23, 0xffff, s0
	s_delay_alu instid0(SALU_CYCLE_1)
	s_cmp_gt_i32 s23, 25
	s_cbranch_scc0 .LBB159_29
; %bb.15:
	s_cmp_gt_i32 s23, 28
	s_cbranch_scc0 .LBB159_39
; %bb.16:
	;; [unrolled: 3-line block ×4, first 2 shown]
	s_cmp_eq_u32 s23, 46
	s_mov_b32 s37, 0
	s_cbranch_scc0 .LBB159_48
; %bb.19:
	global_load_b32 v1, v[12:13], off
	s_mov_b32 s36, -1
	s_mov_b32 s22, 0
	s_wait_loadcnt 0x0
	v_and_b32_e32 v6, 0xffff0000, v1
	v_lshlrev_b32_e32 v4, 16, v1
	s_branch .LBB159_50
.LBB159_20:
	s_mov_b32 s22, 0
	s_mov_b32 s36, 0
                                        ; implicit-def: $vgpr6
                                        ; implicit-def: $vgpr4
	s_cbranch_execnz .LBB159_114
.LBB159_21:
	s_and_not1_b32 vcc_lo, exec_lo, s36
	s_cbranch_vccnz .LBB159_163
.LBB159_22:
	v_mov_b32_e32 v11, 0
	s_and_b32 s0, s43, 0xff
	s_delay_alu instid0(SALU_CYCLE_1) | instskip(SKIP_1) | instid1(VALU_DEP_1)
	s_cmp_lt_i32 s0, 11
	s_wait_xcnt 0x0
	v_add_nc_u64_e32 v[12:13], s[8:9], v[10:11]
	s_cbranch_scc1 .LBB159_30
; %bb.23:
	s_and_b32 s36, 0xffff, s0
	s_delay_alu instid0(SALU_CYCLE_1)
	s_cmp_gt_i32 s36, 25
	s_cbranch_scc0 .LBB159_40
; %bb.24:
	s_cmp_gt_i32 s36, 28
	s_cbranch_scc0 .LBB159_43
; %bb.25:
	;; [unrolled: 3-line block ×4, first 2 shown]
	s_cmp_eq_u32 s36, 46
	s_mov_b32 s46, 0
	s_cbranch_scc0 .LBB159_168
; %bb.28:
	global_load_b32 v1, v[12:13], off
	s_mov_b32 s37, -1
	s_mov_b32 s23, 0
	s_wait_loadcnt 0x0
	v_and_b32_e32 v11, 0xffff0000, v1
	v_lshlrev_b32_e32 v10, 16, v1
	s_branch .LBB159_170
.LBB159_29:
	s_mov_b32 s22, 0
	s_mov_b32 s36, 0
                                        ; implicit-def: $vgpr6
                                        ; implicit-def: $vgpr4
	s_cbranch_execnz .LBB159_81
	s_branch .LBB159_113
.LBB159_30:
	s_mov_b32 s23, 0
	s_mov_b32 s37, 0
                                        ; implicit-def: $vgpr11
	s_cbranch_execnz .LBB159_235
.LBB159_31:
	s_and_not1_b32 vcc_lo, exec_lo, s37
	s_cbranch_vccnz .LBB159_285
.LBB159_32:
	v_mov_b32_e32 v9, 0
	s_and_b32 s0, 0xffff, s25
	s_delay_alu instid0(SALU_CYCLE_1) | instskip(NEXT) | instid1(VALU_DEP_1)
	s_cmp_lt_i32 s0, 11
	v_add_nc_u64_e32 v[8:9], s[10:11], v[8:9]
	s_cbranch_scc1 .LBB159_41
; %bb.33:
	s_cmp_gt_i32 s0, 25
	s_cbranch_scc0 .LBB159_44
; %bb.34:
	s_cmp_gt_i32 s0, 28
	s_cbranch_scc0 .LBB159_47
	;; [unrolled: 3-line block ×4, first 2 shown]
; %bb.37:
	s_cmp_eq_u32 s0, 46
	s_mov_b32 s46, 0
	s_cbranch_scc0 .LBB159_290
; %bb.38:
	global_load_b32 v1, v[8:9], off
	s_mov_b32 s37, -1
	s_mov_b32 s36, 0
	s_wait_loadcnt 0x0
	v_and_b32_e32 v13, 0xffff0000, v1
	v_lshlrev_b32_e32 v12, 16, v1
	s_branch .LBB159_292
.LBB159_39:
	s_mov_b32 s37, -1
	s_mov_b32 s22, 0
	s_mov_b32 s36, 0
                                        ; implicit-def: $vgpr6
                                        ; implicit-def: $vgpr4
	s_branch .LBB159_64
.LBB159_40:
	s_mov_b32 s46, -1
	s_mov_b32 s23, 0
	s_mov_b32 s37, 0
                                        ; implicit-def: $vgpr11
	s_branch .LBB159_200
.LBB159_41:
	s_mov_b32 s46, -1
	s_mov_b32 s36, 0
	s_mov_b32 s37, 0
                                        ; implicit-def: $vgpr13
	s_branch .LBB159_356
.LBB159_42:
	s_mov_b32 s37, -1
	s_mov_b32 s22, 0
	s_mov_b32 s36, 0
                                        ; implicit-def: $vgpr6
                                        ; implicit-def: $vgpr4
	s_branch .LBB159_58
.LBB159_43:
	s_mov_b32 s46, -1
	s_mov_b32 s23, 0
	s_mov_b32 s37, 0
                                        ; implicit-def: $vgpr11
	s_branch .LBB159_183
.LBB159_44:
	s_mov_b32 s46, -1
	s_mov_b32 s36, 0
	s_mov_b32 s37, 0
                                        ; implicit-def: $vgpr13
	s_branch .LBB159_321
.LBB159_45:
	s_mov_b32 s37, -1
	s_mov_b32 s22, 0
	s_branch .LBB159_49
.LBB159_46:
	s_mov_b32 s46, -1
	s_mov_b32 s23, 0
	s_mov_b32 s37, 0
                                        ; implicit-def: $vgpr11
	s_branch .LBB159_177
.LBB159_47:
	s_mov_b32 s46, -1
	s_mov_b32 s36, 0
	s_mov_b32 s37, 0
                                        ; implicit-def: $vgpr13
	s_branch .LBB159_304
.LBB159_48:
	s_mov_b32 s22, -1
.LBB159_49:
	s_mov_b32 s36, 0
                                        ; implicit-def: $vgpr6
                                        ; implicit-def: $vgpr4
.LBB159_50:
	s_and_b32 vcc_lo, exec_lo, s37
	s_cbranch_vccz .LBB159_57
; %bb.51:
	s_cmp_eq_u32 s23, 44
	s_cbranch_scc0 .LBB159_55
; %bb.52:
	global_load_u8 v1, v[12:13], off
	s_mov_b32 s22, 0
	s_mov_b32 s36, -1
	s_wait_loadcnt 0x0
	v_lshlrev_b32_e32 v3, 23, v1
	v_cmp_ne_u32_e32 vcc_lo, 0xff, v1
	s_delay_alu instid0(VALU_DEP_2) | instskip(SKIP_1) | instid1(VALU_DEP_2)
	v_cndmask_b32_e32 v3, 0x7f800001, v3, vcc_lo
	v_cmp_ne_u32_e32 vcc_lo, 0, v1
	v_cndmask_b32_e32 v4, 0x400000, v3, vcc_lo
	s_branch .LBB159_56
.LBB159_53:
	s_mov_b32 s46, -1
	s_mov_b32 s23, 0
	s_branch .LBB159_169
.LBB159_54:
	s_mov_b32 s46, -1
	s_mov_b32 s36, 0
	s_mov_b32 s37, 0
                                        ; implicit-def: $vgpr13
	s_branch .LBB159_298
.LBB159_55:
	s_mov_b32 s22, -1
                                        ; implicit-def: $vgpr4
.LBB159_56:
	v_mov_b32_e32 v6, 0
.LBB159_57:
	s_mov_b32 s37, 0
.LBB159_58:
	s_delay_alu instid0(SALU_CYCLE_1)
	s_and_b32 vcc_lo, exec_lo, s37
	s_cbranch_vccz .LBB159_63
; %bb.59:
	s_cmp_eq_u32 s23, 29
	s_cbranch_scc0 .LBB159_61
; %bb.60:
	global_load_b64 v[4:5], v[12:13], off
	s_mov_b32 s36, -1
	s_mov_b32 s22, 0
	s_wait_loadcnt 0x0
	v_clz_i32_u32_e32 v1, v5
	s_delay_alu instid0(VALU_DEP_1) | instskip(NEXT) | instid1(VALU_DEP_1)
	v_min_u32_e32 v1, 32, v1
	v_lshlrev_b64_e32 v[4:5], v1, v[4:5]
	v_sub_nc_u32_e32 v1, 32, v1
	s_delay_alu instid0(VALU_DEP_2) | instskip(NEXT) | instid1(VALU_DEP_1)
	v_min_u32_e32 v3, 1, v4
	v_or_b32_e32 v3, v5, v3
	s_delay_alu instid0(VALU_DEP_1) | instskip(NEXT) | instid1(VALU_DEP_1)
	v_cvt_f32_u32_e32 v3, v3
	v_ldexp_f32 v4, v3, v1
	s_branch .LBB159_62
.LBB159_61:
	s_mov_b32 s22, -1
                                        ; implicit-def: $vgpr4
.LBB159_62:
	v_mov_b32_e32 v6, 0
.LBB159_63:
	s_mov_b32 s37, 0
.LBB159_64:
	s_delay_alu instid0(SALU_CYCLE_1)
	s_and_b32 vcc_lo, exec_lo, s37
	s_cbranch_vccz .LBB159_80
; %bb.65:
	s_cmp_lt_i32 s23, 27
	s_cbranch_scc1 .LBB159_68
; %bb.66:
	s_cmp_gt_i32 s23, 27
	s_cbranch_scc0 .LBB159_69
; %bb.67:
	global_load_b32 v1, v[12:13], off
	s_mov_b32 s36, 0
	s_wait_loadcnt 0x0
	v_cvt_f32_u32_e32 v4, v1
	s_branch .LBB159_70
.LBB159_68:
	s_mov_b32 s36, -1
                                        ; implicit-def: $vgpr4
	s_branch .LBB159_73
.LBB159_69:
	s_mov_b32 s36, -1
                                        ; implicit-def: $vgpr4
.LBB159_70:
	s_delay_alu instid0(SALU_CYCLE_1)
	s_and_not1_b32 vcc_lo, exec_lo, s36
	s_cbranch_vccnz .LBB159_72
; %bb.71:
	global_load_u16 v1, v[12:13], off
	s_wait_loadcnt 0x0
	v_cvt_f32_u32_e32 v4, v1
.LBB159_72:
	s_mov_b32 s36, 0
.LBB159_73:
	s_delay_alu instid0(SALU_CYCLE_1)
	s_and_not1_b32 vcc_lo, exec_lo, s36
	s_cbranch_vccnz .LBB159_79
; %bb.74:
	global_load_u8 v1, v[12:13], off
	s_mov_b32 s36, 0
	s_mov_b32 s37, exec_lo
	s_wait_loadcnt 0x0
	v_cmpx_lt_i16_e32 0x7f, v1
	s_xor_b32 s37, exec_lo, s37
	s_cbranch_execnz .LBB159_91
; %bb.75:
	s_or_saveexec_b32 s37, s37
	v_mov_b32_e32 v4, 0x7f800001
	s_xor_b32 exec_lo, exec_lo, s37
	s_cbranch_execnz .LBB159_94
.LBB159_76:
	s_or_b32 exec_lo, exec_lo, s37
	s_and_saveexec_b32 s37, s36
	s_cbranch_execz .LBB159_78
.LBB159_77:
	v_and_b32_e32 v3, 0xffff, v1
	s_delay_alu instid0(VALU_DEP_1) | instskip(SKIP_1) | instid1(VALU_DEP_2)
	v_and_b32_e32 v4, 7, v3
	v_bfe_u32 v7, v3, 3, 4
	v_clz_i32_u32_e32 v5, v4
	s_delay_alu instid0(VALU_DEP_2) | instskip(NEXT) | instid1(VALU_DEP_2)
	v_cmp_eq_u32_e32 vcc_lo, 0, v7
	v_min_u32_e32 v5, 32, v5
	s_delay_alu instid0(VALU_DEP_1) | instskip(NEXT) | instid1(VALU_DEP_1)
	v_subrev_nc_u32_e32 v6, 28, v5
	v_dual_lshlrev_b32 v3, v6, v3 :: v_dual_sub_nc_u32 v5, 29, v5
	s_delay_alu instid0(VALU_DEP_1) | instskip(NEXT) | instid1(VALU_DEP_1)
	v_dual_lshlrev_b32 v1, 24, v1 :: v_dual_bitop2_b32 v3, 7, v3 bitop3:0x40
	v_dual_cndmask_b32 v3, v4, v3, vcc_lo :: v_dual_cndmask_b32 v5, v7, v5, vcc_lo
	s_delay_alu instid0(VALU_DEP_2) | instskip(NEXT) | instid1(VALU_DEP_2)
	v_and_b32_e32 v1, 0x80000000, v1
	v_lshlrev_b32_e32 v3, 20, v3
	s_delay_alu instid0(VALU_DEP_3) | instskip(NEXT) | instid1(VALU_DEP_1)
	v_lshl_add_u32 v4, v5, 23, 0x3b800000
	v_or3_b32 v4, v1, v4, v3
.LBB159_78:
	s_or_b32 exec_lo, exec_lo, s37
.LBB159_79:
	v_mov_b32_e32 v6, 0
	s_mov_b32 s36, -1
.LBB159_80:
	s_branch .LBB159_113
.LBB159_81:
	s_cmp_gt_i32 s23, 22
	s_cbranch_scc0 .LBB159_89
; %bb.82:
	s_cmp_lt_i32 s23, 24
	s_cbranch_scc1 .LBB159_90
; %bb.83:
	s_cmp_gt_i32 s23, 24
	s_cbranch_scc0 .LBB159_95
; %bb.84:
	global_load_u8 v1, v[12:13], off
	s_mov_b32 s36, 0
	s_mov_b32 s37, exec_lo
	s_wait_loadcnt 0x0
	v_cmpx_lt_i16_e32 0x7f, v1
	s_xor_b32 s37, exec_lo, s37
	s_cbranch_execnz .LBB159_164
; %bb.85:
	s_or_saveexec_b32 s37, s37
	v_mov_b32_e32 v4, 0x7f800001
	s_xor_b32 exec_lo, exec_lo, s37
	s_cbranch_execnz .LBB159_167
.LBB159_86:
	s_or_b32 exec_lo, exec_lo, s37
	s_and_saveexec_b32 s37, s36
	s_cbranch_execz .LBB159_88
.LBB159_87:
	v_and_b32_e32 v3, 0xffff, v1
	s_delay_alu instid0(VALU_DEP_1) | instskip(SKIP_1) | instid1(VALU_DEP_2)
	v_and_b32_e32 v4, 3, v3
	v_bfe_u32 v7, v3, 2, 5
	v_clz_i32_u32_e32 v5, v4
	s_delay_alu instid0(VALU_DEP_2) | instskip(NEXT) | instid1(VALU_DEP_2)
	v_cmp_eq_u32_e32 vcc_lo, 0, v7
	v_min_u32_e32 v5, 32, v5
	s_delay_alu instid0(VALU_DEP_1) | instskip(NEXT) | instid1(VALU_DEP_1)
	v_subrev_nc_u32_e32 v6, 29, v5
	v_dual_lshlrev_b32 v3, v6, v3 :: v_dual_sub_nc_u32 v5, 30, v5
	s_delay_alu instid0(VALU_DEP_1) | instskip(NEXT) | instid1(VALU_DEP_1)
	v_dual_lshlrev_b32 v1, 24, v1 :: v_dual_bitop2_b32 v3, 3, v3 bitop3:0x40
	v_dual_cndmask_b32 v3, v4, v3, vcc_lo :: v_dual_cndmask_b32 v5, v7, v5, vcc_lo
	s_delay_alu instid0(VALU_DEP_2) | instskip(NEXT) | instid1(VALU_DEP_2)
	v_and_b32_e32 v1, 0x80000000, v1
	v_lshlrev_b32_e32 v3, 21, v3
	s_delay_alu instid0(VALU_DEP_3) | instskip(NEXT) | instid1(VALU_DEP_1)
	v_lshl_add_u32 v4, v5, 23, 0x37800000
	v_or3_b32 v4, v1, v4, v3
.LBB159_88:
	s_or_b32 exec_lo, exec_lo, s37
	s_mov_b32 s36, 0
	s_branch .LBB159_96
.LBB159_89:
                                        ; implicit-def: $vgpr4
	s_branch .LBB159_102
.LBB159_90:
	s_mov_b32 s36, -1
                                        ; implicit-def: $vgpr4
	s_branch .LBB159_99
.LBB159_91:
	s_mov_b32 s36, -1
	s_mov_b32 s46, exec_lo
	v_cmpx_eq_u16_e32 0x80, v1
; %bb.92:
	s_xor_b32 s36, exec_lo, -1
; %bb.93:
	s_or_b32 exec_lo, exec_lo, s46
	s_delay_alu instid0(SALU_CYCLE_1)
	s_and_b32 s36, s36, exec_lo
	s_or_saveexec_b32 s37, s37
	v_mov_b32_e32 v4, 0x7f800001
	s_xor_b32 exec_lo, exec_lo, s37
	s_cbranch_execz .LBB159_76
.LBB159_94:
	v_cmp_ne_u16_e32 vcc_lo, 0, v1
	v_mov_b32_e32 v4, 0
	s_and_not1_b32 s36, s36, exec_lo
	s_and_b32 s46, vcc_lo, exec_lo
	s_delay_alu instid0(SALU_CYCLE_1)
	s_or_b32 s36, s36, s46
	s_or_b32 exec_lo, exec_lo, s37
	s_and_saveexec_b32 s37, s36
	s_cbranch_execnz .LBB159_77
	s_branch .LBB159_78
.LBB159_95:
	s_mov_b32 s36, -1
                                        ; implicit-def: $vgpr4
.LBB159_96:
	s_delay_alu instid0(SALU_CYCLE_1)
	s_and_b32 vcc_lo, exec_lo, s36
	s_cbranch_vccz .LBB159_98
; %bb.97:
	global_load_u8 v1, v[12:13], off
	s_wait_loadcnt 0x0
	v_lshlrev_b32_e32 v1, 24, v1
	s_delay_alu instid0(VALU_DEP_1) | instskip(NEXT) | instid1(VALU_DEP_1)
	v_and_b32_e32 v3, 0x7f000000, v1
	v_clz_i32_u32_e32 v4, v3
	v_cmp_ne_u32_e32 vcc_lo, 0, v3
	v_add_nc_u32_e32 v6, 0x1000000, v3
	s_delay_alu instid0(VALU_DEP_3) | instskip(NEXT) | instid1(VALU_DEP_1)
	v_min_u32_e32 v4, 32, v4
	v_sub_nc_u32_e64 v4, v4, 4 clamp
	s_delay_alu instid0(VALU_DEP_1) | instskip(NEXT) | instid1(VALU_DEP_1)
	v_dual_lshlrev_b32 v5, v4, v3 :: v_dual_lshlrev_b32 v4, 23, v4
	v_lshrrev_b32_e32 v5, 4, v5
	s_delay_alu instid0(VALU_DEP_1) | instskip(NEXT) | instid1(VALU_DEP_1)
	v_dual_sub_nc_u32 v4, v5, v4 :: v_dual_ashrrev_i32 v5, 8, v6
	v_add_nc_u32_e32 v4, 0x3c000000, v4
	s_delay_alu instid0(VALU_DEP_1) | instskip(NEXT) | instid1(VALU_DEP_1)
	v_and_or_b32 v4, 0x7f800000, v5, v4
	v_cndmask_b32_e32 v3, 0, v4, vcc_lo
	s_delay_alu instid0(VALU_DEP_1)
	v_and_or_b32 v4, 0x80000000, v1, v3
.LBB159_98:
	s_mov_b32 s36, 0
.LBB159_99:
	s_delay_alu instid0(SALU_CYCLE_1)
	s_and_not1_b32 vcc_lo, exec_lo, s36
	s_cbranch_vccnz .LBB159_101
; %bb.100:
	global_load_u8 v1, v[12:13], off
	s_wait_loadcnt 0x0
	v_lshlrev_b32_e32 v3, 25, v1
	v_lshlrev_b16 v1, 8, v1
	s_delay_alu instid0(VALU_DEP_1) | instskip(NEXT) | instid1(VALU_DEP_3)
	v_and_or_b32 v5, 0x7f00, v1, 0.5
	v_lshrrev_b32_e32 v4, 4, v3
	v_bfe_i32 v1, v1, 0, 16
	s_delay_alu instid0(VALU_DEP_3) | instskip(NEXT) | instid1(VALU_DEP_3)
	v_add_f32_e32 v5, -0.5, v5
	v_or_b32_e32 v4, 0x70000000, v4
	s_delay_alu instid0(VALU_DEP_1) | instskip(SKIP_1) | instid1(VALU_DEP_2)
	v_mul_f32_e32 v4, 0x7800000, v4
	v_cmp_gt_u32_e32 vcc_lo, 0x8000000, v3
	v_cndmask_b32_e32 v3, v4, v5, vcc_lo
	s_delay_alu instid0(VALU_DEP_1)
	v_and_or_b32 v4, 0x80000000, v1, v3
.LBB159_101:
	s_mov_b32 s36, -1
	s_cbranch_execnz .LBB159_112
.LBB159_102:
	s_cmp_gt_i32 s23, 14
	s_cbranch_scc0 .LBB159_105
; %bb.103:
	s_cmp_eq_u32 s23, 15
	s_cbranch_scc0 .LBB159_106
; %bb.104:
	global_load_u16 v1, v[12:13], off
	s_mov_b32 s36, -1
	s_mov_b32 s22, 0
	s_wait_loadcnt 0x0
	v_lshlrev_b32_e32 v4, 16, v1
	s_branch .LBB159_107
.LBB159_105:
	s_mov_b32 s37, -1
                                        ; implicit-def: $vgpr4
	s_branch .LBB159_108
.LBB159_106:
	s_mov_b32 s22, -1
                                        ; implicit-def: $vgpr4
.LBB159_107:
	s_mov_b32 s37, 0
.LBB159_108:
	s_delay_alu instid0(SALU_CYCLE_1)
	s_and_b32 vcc_lo, exec_lo, s37
	s_cbranch_vccz .LBB159_112
; %bb.109:
	s_cmp_eq_u32 s23, 11
	s_cbranch_scc0 .LBB159_111
; %bb.110:
	global_load_u8 v1, v[12:13], off
	s_mov_b32 s22, 0
	s_mov_b32 s36, -1
	v_mov_b32_e32 v6, 0
	s_wait_loadcnt 0x0
	v_cmp_ne_u16_e32 vcc_lo, 0, v1
	v_cndmask_b32_e64 v4, 0, 1.0, vcc_lo
	s_branch .LBB159_113
.LBB159_111:
	s_mov_b32 s22, -1
                                        ; implicit-def: $vgpr4
.LBB159_112:
	v_mov_b32_e32 v6, 0
.LBB159_113:
	s_branch .LBB159_21
.LBB159_114:
	s_and_b32 s0, 0xffff, s0
	s_delay_alu instid0(SALU_CYCLE_1)
	s_cmp_lt_i32 s0, 5
	s_cbranch_scc1 .LBB159_119
; %bb.115:
	s_cmp_lt_i32 s0, 8
	s_cbranch_scc1 .LBB159_120
; %bb.116:
	;; [unrolled: 3-line block ×3, first 2 shown]
	s_cmp_gt_i32 s0, 9
	s_cbranch_scc0 .LBB159_122
; %bb.118:
	global_load_b128 v[4:7], v[12:13], off
	s_mov_b32 s23, 0
	s_wait_loadcnt 0x0
	v_cvt_f32_f64_e32 v4, v[4:5]
	v_cvt_f32_f64_e32 v6, v[6:7]
	s_branch .LBB159_123
.LBB159_119:
                                        ; implicit-def: $vgpr6
                                        ; implicit-def: $vgpr4
	s_branch .LBB159_142
.LBB159_120:
	s_mov_b32 s23, -1
                                        ; implicit-def: $vgpr6
                                        ; implicit-def: $vgpr4
	s_branch .LBB159_129
.LBB159_121:
	s_mov_b32 s23, -1
                                        ; implicit-def: $vgpr6
                                        ; implicit-def: $vgpr4
	s_branch .LBB159_126
.LBB159_122:
	s_mov_b32 s23, -1
                                        ; implicit-def: $vgpr6
                                        ; implicit-def: $vgpr4
.LBB159_123:
	s_delay_alu instid0(SALU_CYCLE_1)
	s_and_not1_b32 vcc_lo, exec_lo, s23
	s_cbranch_vccnz .LBB159_125
; %bb.124:
	global_load_b64 v[4:5], v[12:13], off
	s_wait_loadcnt 0x0
	v_mov_b32_e32 v6, v5
.LBB159_125:
	s_mov_b32 s23, 0
.LBB159_126:
	s_delay_alu instid0(SALU_CYCLE_1)
	s_and_not1_b32 vcc_lo, exec_lo, s23
	s_cbranch_vccnz .LBB159_128
; %bb.127:
	global_load_b32 v1, v[12:13], off
	s_wait_loadcnt 0x0
	v_lshrrev_b32_e32 v3, 16, v1
	v_cvt_f32_f16_e32 v4, v1
	s_delay_alu instid0(VALU_DEP_2)
	v_cvt_f32_f16_e32 v6, v3
.LBB159_128:
	s_mov_b32 s23, 0
.LBB159_129:
	s_delay_alu instid0(SALU_CYCLE_1)
	s_and_not1_b32 vcc_lo, exec_lo, s23
	s_cbranch_vccnz .LBB159_141
; %bb.130:
	s_cmp_lt_i32 s0, 6
	s_cbranch_scc1 .LBB159_133
; %bb.131:
	s_cmp_gt_i32 s0, 6
	s_cbranch_scc0 .LBB159_134
; %bb.132:
	global_load_b64 v[4:5], v[12:13], off
	s_mov_b32 s23, 0
	s_wait_loadcnt 0x0
	v_cvt_f32_f64_e32 v4, v[4:5]
	s_branch .LBB159_135
.LBB159_133:
	s_mov_b32 s23, -1
                                        ; implicit-def: $vgpr4
	s_branch .LBB159_138
.LBB159_134:
	s_mov_b32 s23, -1
                                        ; implicit-def: $vgpr4
.LBB159_135:
	s_delay_alu instid0(SALU_CYCLE_1)
	s_and_not1_b32 vcc_lo, exec_lo, s23
	s_cbranch_vccnz .LBB159_137
; %bb.136:
	global_load_b32 v4, v[12:13], off
.LBB159_137:
	s_mov_b32 s23, 0
.LBB159_138:
	s_delay_alu instid0(SALU_CYCLE_1)
	s_and_not1_b32 vcc_lo, exec_lo, s23
	s_cbranch_vccnz .LBB159_140
; %bb.139:
	global_load_u16 v1, v[12:13], off
	s_wait_loadcnt 0x0
	v_cvt_f32_f16_e32 v4, v1
.LBB159_140:
	v_mov_b32_e32 v6, 0
.LBB159_141:
	s_cbranch_execnz .LBB159_162
.LBB159_142:
	s_cmp_lt_i32 s0, 2
	s_cbranch_scc1 .LBB159_146
; %bb.143:
	s_cmp_lt_i32 s0, 3
	s_cbranch_scc1 .LBB159_147
; %bb.144:
	s_cmp_gt_i32 s0, 3
	s_cbranch_scc0 .LBB159_148
; %bb.145:
	s_wait_loadcnt 0x0
	global_load_b64 v[4:5], v[12:13], off
	s_mov_b32 s23, 0
	s_wait_loadcnt 0x0
	v_xor_b32_e32 v1, v4, v5
	v_cls_i32_e32 v3, v5
	s_delay_alu instid0(VALU_DEP_2) | instskip(NEXT) | instid1(VALU_DEP_1)
	v_ashrrev_i32_e32 v1, 31, v1
	v_add_nc_u32_e32 v1, 32, v1
	s_delay_alu instid0(VALU_DEP_1) | instskip(NEXT) | instid1(VALU_DEP_1)
	v_add_min_u32_e64 v1, v3, -1, v1
	v_lshlrev_b64_e32 v[4:5], v1, v[4:5]
	v_sub_nc_u32_e32 v1, 32, v1
	s_delay_alu instid0(VALU_DEP_2) | instskip(NEXT) | instid1(VALU_DEP_1)
	v_min_u32_e32 v3, 1, v4
	v_or_b32_e32 v3, v5, v3
	s_delay_alu instid0(VALU_DEP_1) | instskip(NEXT) | instid1(VALU_DEP_1)
	v_cvt_f32_i32_e32 v3, v3
	v_ldexp_f32 v4, v3, v1
	s_branch .LBB159_149
.LBB159_146:
	s_mov_b32 s23, -1
                                        ; implicit-def: $vgpr4
	s_branch .LBB159_155
.LBB159_147:
	s_mov_b32 s23, -1
                                        ; implicit-def: $vgpr4
	s_branch .LBB159_152
.LBB159_148:
	s_mov_b32 s23, -1
                                        ; implicit-def: $vgpr4
.LBB159_149:
	s_delay_alu instid0(SALU_CYCLE_1)
	s_and_not1_b32 vcc_lo, exec_lo, s23
	s_cbranch_vccnz .LBB159_151
; %bb.150:
	global_load_b32 v1, v[12:13], off
	s_wait_loadcnt 0x0
	v_cvt_f32_i32_e32 v4, v1
.LBB159_151:
	s_mov_b32 s23, 0
.LBB159_152:
	s_delay_alu instid0(SALU_CYCLE_1)
	s_and_not1_b32 vcc_lo, exec_lo, s23
	s_cbranch_vccnz .LBB159_154
; %bb.153:
	global_load_i16 v1, v[12:13], off
	s_wait_loadcnt 0x0
	v_cvt_f32_i32_e32 v4, v1
.LBB159_154:
	s_mov_b32 s23, 0
.LBB159_155:
	s_delay_alu instid0(SALU_CYCLE_1)
	s_and_not1_b32 vcc_lo, exec_lo, s23
	s_cbranch_vccnz .LBB159_161
; %bb.156:
	s_cmp_gt_i32 s0, 0
	s_mov_b32 s0, 0
	s_cbranch_scc0 .LBB159_158
; %bb.157:
	global_load_i8 v1, v[12:13], off
	s_wait_loadcnt 0x0
	v_cvt_f32_i32_e32 v4, v1
	s_branch .LBB159_159
.LBB159_158:
	s_mov_b32 s0, -1
                                        ; implicit-def: $vgpr4
.LBB159_159:
	s_delay_alu instid0(SALU_CYCLE_1)
	s_and_not1_b32 vcc_lo, exec_lo, s0
	s_cbranch_vccnz .LBB159_161
; %bb.160:
	global_load_u8 v1, v[12:13], off
	s_wait_loadcnt 0x0
	v_cvt_f32_ubyte0_e32 v4, v1
.LBB159_161:
	v_mov_b32_e32 v6, 0
.LBB159_162:
	s_branch .LBB159_22
.LBB159_163:
	s_mov_b32 s0, 0
	s_mov_b32 s36, 0
	;; [unrolled: 1-line block ×3, first 2 shown]
	s_branch .LBB159_535
.LBB159_164:
	s_mov_b32 s36, -1
	s_mov_b32 s46, exec_lo
	v_cmpx_eq_u16_e32 0x80, v1
; %bb.165:
	s_xor_b32 s36, exec_lo, -1
; %bb.166:
	s_or_b32 exec_lo, exec_lo, s46
	s_delay_alu instid0(SALU_CYCLE_1)
	s_and_b32 s36, s36, exec_lo
	s_or_saveexec_b32 s37, s37
	v_mov_b32_e32 v4, 0x7f800001
	s_xor_b32 exec_lo, exec_lo, s37
	s_cbranch_execz .LBB159_86
.LBB159_167:
	v_cmp_ne_u16_e32 vcc_lo, 0, v1
	v_mov_b32_e32 v4, 0
	s_and_not1_b32 s36, s36, exec_lo
	s_and_b32 s46, vcc_lo, exec_lo
	s_delay_alu instid0(SALU_CYCLE_1)
	s_or_b32 s36, s36, s46
	s_or_b32 exec_lo, exec_lo, s37
	s_and_saveexec_b32 s37, s36
	s_cbranch_execnz .LBB159_87
	s_branch .LBB159_88
.LBB159_168:
	s_mov_b32 s23, -1
.LBB159_169:
	s_mov_b32 s37, 0
                                        ; implicit-def: $vgpr11
.LBB159_170:
	s_and_b32 vcc_lo, exec_lo, s46
	s_cbranch_vccz .LBB159_176
; %bb.171:
	s_cmp_eq_u32 s36, 44
	s_cbranch_scc0 .LBB159_174
; %bb.172:
	global_load_u8 v1, v[12:13], off
	s_mov_b32 s23, 0
	s_mov_b32 s37, -1
	s_wait_loadcnt 0x0
	v_lshlrev_b32_e32 v3, 23, v1
	v_cmp_ne_u32_e32 vcc_lo, 0xff, v1
	s_delay_alu instid0(VALU_DEP_2) | instskip(SKIP_1) | instid1(VALU_DEP_2)
	v_cndmask_b32_e32 v3, 0x7f800001, v3, vcc_lo
	v_cmp_ne_u32_e32 vcc_lo, 0, v1
	v_cndmask_b32_e32 v10, 0x400000, v3, vcc_lo
	s_branch .LBB159_175
.LBB159_173:
	s_mov_b32 s46, -1
	s_mov_b32 s36, 0
	s_branch .LBB159_291
.LBB159_174:
	s_mov_b32 s23, -1
                                        ; implicit-def: $vgpr10
.LBB159_175:
	v_mov_b32_e32 v11, 0
.LBB159_176:
	s_mov_b32 s46, 0
.LBB159_177:
	s_delay_alu instid0(SALU_CYCLE_1)
	s_and_b32 vcc_lo, exec_lo, s46
	s_cbranch_vccz .LBB159_182
; %bb.178:
	s_cmp_eq_u32 s36, 29
	s_cbranch_scc0 .LBB159_180
; %bb.179:
	global_load_b64 v[10:11], v[12:13], off
	s_mov_b32 s37, -1
	s_mov_b32 s23, 0
	s_wait_loadcnt 0x0
	v_clz_i32_u32_e32 v1, v11
	s_delay_alu instid0(VALU_DEP_1) | instskip(NEXT) | instid1(VALU_DEP_1)
	v_min_u32_e32 v1, 32, v1
	v_lshlrev_b64_e32 v[10:11], v1, v[10:11]
	v_sub_nc_u32_e32 v1, 32, v1
	s_delay_alu instid0(VALU_DEP_2) | instskip(NEXT) | instid1(VALU_DEP_1)
	v_min_u32_e32 v3, 1, v10
	v_or_b32_e32 v3, v11, v3
	s_delay_alu instid0(VALU_DEP_1) | instskip(NEXT) | instid1(VALU_DEP_1)
	v_cvt_f32_u32_e32 v3, v3
	v_ldexp_f32 v10, v3, v1
	s_branch .LBB159_181
.LBB159_180:
	s_mov_b32 s23, -1
                                        ; implicit-def: $vgpr10
.LBB159_181:
	v_mov_b32_e32 v11, 0
.LBB159_182:
	s_mov_b32 s46, 0
.LBB159_183:
	s_delay_alu instid0(SALU_CYCLE_1)
	s_and_b32 vcc_lo, exec_lo, s46
	s_cbranch_vccz .LBB159_199
; %bb.184:
	s_cmp_lt_i32 s36, 27
	s_cbranch_scc1 .LBB159_187
; %bb.185:
	s_cmp_gt_i32 s36, 27
	s_cbranch_scc0 .LBB159_188
; %bb.186:
	global_load_b32 v1, v[12:13], off
	s_mov_b32 s37, 0
	s_wait_loadcnt 0x0
	v_cvt_f32_u32_e32 v10, v1
	s_branch .LBB159_189
.LBB159_187:
	s_mov_b32 s37, -1
                                        ; implicit-def: $vgpr10
	s_branch .LBB159_192
.LBB159_188:
	s_mov_b32 s37, -1
                                        ; implicit-def: $vgpr10
.LBB159_189:
	s_delay_alu instid0(SALU_CYCLE_1)
	s_and_not1_b32 vcc_lo, exec_lo, s37
	s_cbranch_vccnz .LBB159_191
; %bb.190:
	global_load_u16 v1, v[12:13], off
	s_wait_loadcnt 0x0
	v_cvt_f32_u32_e32 v10, v1
.LBB159_191:
	s_mov_b32 s37, 0
.LBB159_192:
	s_delay_alu instid0(SALU_CYCLE_1)
	s_and_not1_b32 vcc_lo, exec_lo, s37
	s_cbranch_vccnz .LBB159_198
; %bb.193:
	global_load_u8 v1, v[12:13], off
	s_mov_b32 s37, 0
	s_mov_b32 s46, exec_lo
	s_wait_loadcnt 0x0
	v_cmpx_lt_i16_e32 0x7f, v1
	s_xor_b32 s46, exec_lo, s46
	s_cbranch_execnz .LBB159_211
; %bb.194:
	s_or_saveexec_b32 s46, s46
	v_mov_b32_e32 v10, 0x7f800001
	s_xor_b32 exec_lo, exec_lo, s46
	s_cbranch_execnz .LBB159_214
.LBB159_195:
	s_or_b32 exec_lo, exec_lo, s46
	s_and_saveexec_b32 s46, s37
	s_cbranch_execz .LBB159_197
.LBB159_196:
	v_and_b32_e32 v3, 0xffff, v1
	s_delay_alu instid0(VALU_DEP_1) | instskip(SKIP_1) | instid1(VALU_DEP_2)
	v_dual_lshlrev_b32 v1, 24, v1 :: v_dual_bitop2_b32 v5, 7, v3 bitop3:0x40
	v_bfe_u32 v10, v3, 3, 4
	v_and_b32_e32 v1, 0x80000000, v1
	s_delay_alu instid0(VALU_DEP_3) | instskip(NEXT) | instid1(VALU_DEP_3)
	v_clz_i32_u32_e32 v7, v5
	v_cmp_eq_u32_e32 vcc_lo, 0, v10
	s_delay_alu instid0(VALU_DEP_2) | instskip(NEXT) | instid1(VALU_DEP_1)
	v_min_u32_e32 v7, 32, v7
	v_subrev_nc_u32_e32 v9, 28, v7
	v_sub_nc_u32_e32 v7, 29, v7
	s_delay_alu instid0(VALU_DEP_2) | instskip(NEXT) | instid1(VALU_DEP_2)
	v_lshlrev_b32_e32 v3, v9, v3
	v_cndmask_b32_e32 v7, v10, v7, vcc_lo
	s_delay_alu instid0(VALU_DEP_2) | instskip(NEXT) | instid1(VALU_DEP_1)
	v_and_b32_e32 v3, 7, v3
	v_cndmask_b32_e32 v3, v5, v3, vcc_lo
	s_delay_alu instid0(VALU_DEP_3) | instskip(NEXT) | instid1(VALU_DEP_2)
	v_lshl_add_u32 v5, v7, 23, 0x3b800000
	v_lshlrev_b32_e32 v3, 20, v3
	s_delay_alu instid0(VALU_DEP_1)
	v_or3_b32 v10, v1, v5, v3
.LBB159_197:
	s_or_b32 exec_lo, exec_lo, s46
.LBB159_198:
	v_mov_b32_e32 v11, 0
	s_mov_b32 s37, -1
.LBB159_199:
	s_mov_b32 s46, 0
.LBB159_200:
	s_delay_alu instid0(SALU_CYCLE_1)
	s_and_b32 vcc_lo, exec_lo, s46
	s_cbranch_vccz .LBB159_234
; %bb.201:
	s_cmp_gt_i32 s36, 22
	s_cbranch_scc0 .LBB159_209
; %bb.202:
	s_cmp_lt_i32 s36, 24
	s_cbranch_scc1 .LBB159_210
; %bb.203:
	s_cmp_gt_i32 s36, 24
	s_cbranch_scc0 .LBB159_215
; %bb.204:
	global_load_u8 v1, v[12:13], off
	s_mov_b32 s37, 0
	s_mov_b32 s46, exec_lo
	s_wait_loadcnt 0x0
	v_cmpx_lt_i16_e32 0x7f, v1
	s_xor_b32 s46, exec_lo, s46
	s_cbranch_execnz .LBB159_286
; %bb.205:
	s_or_saveexec_b32 s46, s46
	v_mov_b32_e32 v10, 0x7f800001
	s_xor_b32 exec_lo, exec_lo, s46
	s_cbranch_execnz .LBB159_289
.LBB159_206:
	s_or_b32 exec_lo, exec_lo, s46
	s_and_saveexec_b32 s46, s37
	s_cbranch_execz .LBB159_208
.LBB159_207:
	v_and_b32_e32 v3, 0xffff, v1
	s_delay_alu instid0(VALU_DEP_1) | instskip(SKIP_1) | instid1(VALU_DEP_2)
	v_dual_lshlrev_b32 v1, 24, v1 :: v_dual_bitop2_b32 v5, 3, v3 bitop3:0x40
	v_bfe_u32 v10, v3, 2, 5
	v_and_b32_e32 v1, 0x80000000, v1
	s_delay_alu instid0(VALU_DEP_3) | instskip(NEXT) | instid1(VALU_DEP_3)
	v_clz_i32_u32_e32 v7, v5
	v_cmp_eq_u32_e32 vcc_lo, 0, v10
	s_delay_alu instid0(VALU_DEP_2) | instskip(NEXT) | instid1(VALU_DEP_1)
	v_min_u32_e32 v7, 32, v7
	v_subrev_nc_u32_e32 v9, 29, v7
	v_sub_nc_u32_e32 v7, 30, v7
	s_delay_alu instid0(VALU_DEP_2) | instskip(NEXT) | instid1(VALU_DEP_2)
	v_lshlrev_b32_e32 v3, v9, v3
	v_cndmask_b32_e32 v7, v10, v7, vcc_lo
	s_delay_alu instid0(VALU_DEP_2) | instskip(NEXT) | instid1(VALU_DEP_1)
	v_and_b32_e32 v3, 3, v3
	v_cndmask_b32_e32 v3, v5, v3, vcc_lo
	s_delay_alu instid0(VALU_DEP_3) | instskip(NEXT) | instid1(VALU_DEP_2)
	v_lshl_add_u32 v5, v7, 23, 0x37800000
	v_lshlrev_b32_e32 v3, 21, v3
	s_delay_alu instid0(VALU_DEP_1)
	v_or3_b32 v10, v1, v5, v3
.LBB159_208:
	s_or_b32 exec_lo, exec_lo, s46
	s_mov_b32 s37, 0
	s_branch .LBB159_216
.LBB159_209:
	s_mov_b32 s46, -1
                                        ; implicit-def: $vgpr10
	s_branch .LBB159_222
.LBB159_210:
	s_mov_b32 s37, -1
                                        ; implicit-def: $vgpr10
	s_branch .LBB159_219
.LBB159_211:
	s_mov_b32 s37, -1
	s_mov_b32 s50, exec_lo
	v_cmpx_eq_u16_e32 0x80, v1
; %bb.212:
	s_xor_b32 s37, exec_lo, -1
; %bb.213:
	s_or_b32 exec_lo, exec_lo, s50
	s_delay_alu instid0(SALU_CYCLE_1)
	s_and_b32 s37, s37, exec_lo
	s_or_saveexec_b32 s46, s46
	v_mov_b32_e32 v10, 0x7f800001
	s_xor_b32 exec_lo, exec_lo, s46
	s_cbranch_execz .LBB159_195
.LBB159_214:
	v_cmp_ne_u16_e32 vcc_lo, 0, v1
	v_mov_b32_e32 v10, 0
	s_and_not1_b32 s37, s37, exec_lo
	s_and_b32 s50, vcc_lo, exec_lo
	s_delay_alu instid0(SALU_CYCLE_1)
	s_or_b32 s37, s37, s50
	s_or_b32 exec_lo, exec_lo, s46
	s_and_saveexec_b32 s46, s37
	s_cbranch_execnz .LBB159_196
	s_branch .LBB159_197
.LBB159_215:
	s_mov_b32 s37, -1
                                        ; implicit-def: $vgpr10
.LBB159_216:
	s_delay_alu instid0(SALU_CYCLE_1)
	s_and_b32 vcc_lo, exec_lo, s37
	s_cbranch_vccz .LBB159_218
; %bb.217:
	global_load_u8 v1, v[12:13], off
	s_wait_loadcnt 0x0
	v_lshlrev_b32_e32 v1, 24, v1
	s_delay_alu instid0(VALU_DEP_1) | instskip(NEXT) | instid1(VALU_DEP_1)
	v_and_b32_e32 v3, 0x7f000000, v1
	v_clz_i32_u32_e32 v5, v3
	v_add_nc_u32_e32 v9, 0x1000000, v3
	v_cmp_ne_u32_e32 vcc_lo, 0, v3
	s_delay_alu instid0(VALU_DEP_3) | instskip(NEXT) | instid1(VALU_DEP_1)
	v_min_u32_e32 v5, 32, v5
	v_sub_nc_u32_e64 v5, v5, 4 clamp
	s_delay_alu instid0(VALU_DEP_1) | instskip(NEXT) | instid1(VALU_DEP_1)
	v_dual_lshlrev_b32 v7, v5, v3 :: v_dual_lshlrev_b32 v5, 23, v5
	v_lshrrev_b32_e32 v7, 4, v7
	s_delay_alu instid0(VALU_DEP_1) | instskip(SKIP_1) | instid1(VALU_DEP_2)
	v_sub_nc_u32_e32 v5, v7, v5
	v_ashrrev_i32_e32 v7, 8, v9
	v_add_nc_u32_e32 v5, 0x3c000000, v5
	s_delay_alu instid0(VALU_DEP_1) | instskip(NEXT) | instid1(VALU_DEP_1)
	v_and_or_b32 v5, 0x7f800000, v7, v5
	v_cndmask_b32_e32 v3, 0, v5, vcc_lo
	s_delay_alu instid0(VALU_DEP_1)
	v_and_or_b32 v10, 0x80000000, v1, v3
.LBB159_218:
	s_mov_b32 s37, 0
.LBB159_219:
	s_delay_alu instid0(SALU_CYCLE_1)
	s_and_not1_b32 vcc_lo, exec_lo, s37
	s_cbranch_vccnz .LBB159_221
; %bb.220:
	global_load_u8 v1, v[12:13], off
	s_wait_loadcnt 0x0
	v_lshlrev_b32_e32 v3, 25, v1
	v_lshlrev_b16 v1, 8, v1
	s_delay_alu instid0(VALU_DEP_1) | instskip(SKIP_1) | instid1(VALU_DEP_2)
	v_and_or_b32 v7, 0x7f00, v1, 0.5
	v_bfe_i32 v1, v1, 0, 16
	v_add_f32_e32 v7, -0.5, v7
	v_lshrrev_b32_e32 v5, 4, v3
	v_cmp_gt_u32_e32 vcc_lo, 0x8000000, v3
	s_delay_alu instid0(VALU_DEP_2) | instskip(NEXT) | instid1(VALU_DEP_1)
	v_or_b32_e32 v5, 0x70000000, v5
	v_mul_f32_e32 v5, 0x7800000, v5
	s_delay_alu instid0(VALU_DEP_1) | instskip(NEXT) | instid1(VALU_DEP_1)
	v_cndmask_b32_e32 v3, v5, v7, vcc_lo
	v_and_or_b32 v10, 0x80000000, v1, v3
.LBB159_221:
	s_mov_b32 s46, 0
	s_mov_b32 s37, -1
.LBB159_222:
	s_and_not1_b32 vcc_lo, exec_lo, s46
	s_cbranch_vccnz .LBB159_233
; %bb.223:
	s_cmp_gt_i32 s36, 14
	s_cbranch_scc0 .LBB159_226
; %bb.224:
	s_cmp_eq_u32 s36, 15
	s_cbranch_scc0 .LBB159_227
; %bb.225:
	global_load_u16 v1, v[12:13], off
	s_mov_b32 s37, -1
	s_mov_b32 s23, 0
	s_wait_loadcnt 0x0
	v_lshlrev_b32_e32 v10, 16, v1
	s_branch .LBB159_228
.LBB159_226:
	s_mov_b32 s46, -1
                                        ; implicit-def: $vgpr10
	s_branch .LBB159_229
.LBB159_227:
	s_mov_b32 s23, -1
                                        ; implicit-def: $vgpr10
.LBB159_228:
	s_mov_b32 s46, 0
.LBB159_229:
	s_delay_alu instid0(SALU_CYCLE_1)
	s_and_b32 vcc_lo, exec_lo, s46
	s_cbranch_vccz .LBB159_233
; %bb.230:
	s_cmp_eq_u32 s36, 11
	s_cbranch_scc0 .LBB159_232
; %bb.231:
	global_load_u8 v1, v[12:13], off
	s_mov_b32 s23, 0
	s_mov_b32 s37, -1
	v_mov_b32_e32 v11, 0
	s_wait_loadcnt 0x0
	v_cmp_ne_u16_e32 vcc_lo, 0, v1
	v_cndmask_b32_e64 v10, 0, 1.0, vcc_lo
	s_branch .LBB159_234
.LBB159_232:
	s_mov_b32 s23, -1
                                        ; implicit-def: $vgpr10
.LBB159_233:
	v_mov_b32_e32 v11, 0
.LBB159_234:
	s_branch .LBB159_31
.LBB159_235:
	s_and_b32 s0, 0xffff, s0
	s_delay_alu instid0(SALU_CYCLE_1)
	s_cmp_lt_i32 s0, 5
	s_cbranch_scc1 .LBB159_240
; %bb.236:
	s_cmp_lt_i32 s0, 8
	s_cbranch_scc1 .LBB159_241
; %bb.237:
	;; [unrolled: 3-line block ×3, first 2 shown]
	s_cmp_gt_i32 s0, 9
	s_cbranch_scc0 .LBB159_243
; %bb.239:
	global_load_b128 v[14:17], v[12:13], off
	s_mov_b32 s36, 0
	s_wait_loadcnt 0x0
	v_cvt_f32_f64_e32 v10, v[14:15]
	v_cvt_f32_f64_e32 v11, v[16:17]
	s_branch .LBB159_244
.LBB159_240:
	s_mov_b32 s36, -1
                                        ; implicit-def: $vgpr11
	s_branch .LBB159_263
.LBB159_241:
	s_mov_b32 s36, -1
                                        ; implicit-def: $vgpr11
	s_branch .LBB159_250
.LBB159_242:
	s_mov_b32 s36, -1
                                        ; implicit-def: $vgpr11
	s_branch .LBB159_247
.LBB159_243:
	s_mov_b32 s36, -1
                                        ; implicit-def: $vgpr11
.LBB159_244:
	s_delay_alu instid0(SALU_CYCLE_1)
	s_and_not1_b32 vcc_lo, exec_lo, s36
	s_cbranch_vccnz .LBB159_246
; %bb.245:
	global_load_b64 v[10:11], v[12:13], off
.LBB159_246:
	s_mov_b32 s36, 0
.LBB159_247:
	s_delay_alu instid0(SALU_CYCLE_1)
	s_and_not1_b32 vcc_lo, exec_lo, s36
	s_cbranch_vccnz .LBB159_249
; %bb.248:
	global_load_b32 v1, v[12:13], off
	s_wait_loadcnt 0x0
	v_lshrrev_b32_e32 v3, 16, v1
	v_cvt_f32_f16_e32 v10, v1
	s_delay_alu instid0(VALU_DEP_2)
	v_cvt_f32_f16_e32 v11, v3
.LBB159_249:
	s_mov_b32 s36, 0
.LBB159_250:
	s_delay_alu instid0(SALU_CYCLE_1)
	s_and_not1_b32 vcc_lo, exec_lo, s36
	s_cbranch_vccnz .LBB159_262
; %bb.251:
	s_cmp_lt_i32 s0, 6
	s_cbranch_scc1 .LBB159_254
; %bb.252:
	s_cmp_gt_i32 s0, 6
	s_cbranch_scc0 .LBB159_255
; %bb.253:
	s_wait_loadcnt 0x0
	global_load_b64 v[10:11], v[12:13], off
	s_mov_b32 s36, 0
	s_wait_loadcnt 0x0
	v_cvt_f32_f64_e32 v10, v[10:11]
	s_branch .LBB159_256
.LBB159_254:
	s_mov_b32 s36, -1
                                        ; implicit-def: $vgpr10
	s_branch .LBB159_259
.LBB159_255:
	s_mov_b32 s36, -1
                                        ; implicit-def: $vgpr10
.LBB159_256:
	s_delay_alu instid0(SALU_CYCLE_1)
	s_and_not1_b32 vcc_lo, exec_lo, s36
	s_cbranch_vccnz .LBB159_258
; %bb.257:
	s_wait_loadcnt 0x0
	global_load_b32 v10, v[12:13], off
.LBB159_258:
	s_mov_b32 s36, 0
.LBB159_259:
	s_delay_alu instid0(SALU_CYCLE_1)
	s_and_not1_b32 vcc_lo, exec_lo, s36
	s_cbranch_vccnz .LBB159_261
; %bb.260:
	global_load_u16 v1, v[12:13], off
	s_wait_loadcnt 0x0
	v_cvt_f32_f16_e32 v10, v1
.LBB159_261:
	s_wait_loadcnt 0x0
	v_mov_b32_e32 v11, 0
.LBB159_262:
	s_mov_b32 s36, 0
.LBB159_263:
	s_delay_alu instid0(SALU_CYCLE_1)
	s_and_not1_b32 vcc_lo, exec_lo, s36
	s_cbranch_vccnz .LBB159_284
; %bb.264:
	s_cmp_lt_i32 s0, 2
	s_cbranch_scc1 .LBB159_268
; %bb.265:
	s_cmp_lt_i32 s0, 3
	s_cbranch_scc1 .LBB159_269
; %bb.266:
	s_cmp_gt_i32 s0, 3
	s_cbranch_scc0 .LBB159_270
; %bb.267:
	s_wait_loadcnt 0x0
	global_load_b64 v[10:11], v[12:13], off
	s_mov_b32 s36, 0
	s_wait_loadcnt 0x0
	v_xor_b32_e32 v1, v10, v11
	v_cls_i32_e32 v3, v11
	s_delay_alu instid0(VALU_DEP_2) | instskip(NEXT) | instid1(VALU_DEP_1)
	v_ashrrev_i32_e32 v1, 31, v1
	v_add_nc_u32_e32 v1, 32, v1
	s_delay_alu instid0(VALU_DEP_1) | instskip(NEXT) | instid1(VALU_DEP_1)
	v_add_min_u32_e64 v1, v3, -1, v1
	v_lshlrev_b64_e32 v[10:11], v1, v[10:11]
	v_sub_nc_u32_e32 v1, 32, v1
	s_delay_alu instid0(VALU_DEP_2) | instskip(NEXT) | instid1(VALU_DEP_1)
	v_min_u32_e32 v3, 1, v10
	v_or_b32_e32 v3, v11, v3
	s_delay_alu instid0(VALU_DEP_1) | instskip(NEXT) | instid1(VALU_DEP_1)
	v_cvt_f32_i32_e32 v3, v3
	v_ldexp_f32 v10, v3, v1
	s_branch .LBB159_271
.LBB159_268:
	s_mov_b32 s36, -1
                                        ; implicit-def: $vgpr10
	s_branch .LBB159_277
.LBB159_269:
	s_mov_b32 s36, -1
                                        ; implicit-def: $vgpr10
	s_branch .LBB159_274
.LBB159_270:
	s_mov_b32 s36, -1
                                        ; implicit-def: $vgpr10
.LBB159_271:
	s_delay_alu instid0(SALU_CYCLE_1)
	s_and_not1_b32 vcc_lo, exec_lo, s36
	s_cbranch_vccnz .LBB159_273
; %bb.272:
	global_load_b32 v1, v[12:13], off
	s_wait_loadcnt 0x0
	v_cvt_f32_i32_e32 v10, v1
.LBB159_273:
	s_mov_b32 s36, 0
.LBB159_274:
	s_delay_alu instid0(SALU_CYCLE_1)
	s_and_not1_b32 vcc_lo, exec_lo, s36
	s_cbranch_vccnz .LBB159_276
; %bb.275:
	global_load_i16 v1, v[12:13], off
	s_wait_loadcnt 0x0
	v_cvt_f32_i32_e32 v10, v1
.LBB159_276:
	s_mov_b32 s36, 0
.LBB159_277:
	s_delay_alu instid0(SALU_CYCLE_1)
	s_and_not1_b32 vcc_lo, exec_lo, s36
	s_cbranch_vccnz .LBB159_283
; %bb.278:
	s_cmp_gt_i32 s0, 0
	s_mov_b32 s0, 0
	s_cbranch_scc0 .LBB159_280
; %bb.279:
	global_load_i8 v1, v[12:13], off
	s_wait_loadcnt 0x0
	v_cvt_f32_i32_e32 v10, v1
	s_branch .LBB159_281
.LBB159_280:
	s_mov_b32 s0, -1
                                        ; implicit-def: $vgpr10
.LBB159_281:
	s_delay_alu instid0(SALU_CYCLE_1)
	s_and_not1_b32 vcc_lo, exec_lo, s0
	s_cbranch_vccnz .LBB159_283
; %bb.282:
	global_load_u8 v1, v[12:13], off
	s_wait_loadcnt 0x0
	v_cvt_f32_ubyte0_e32 v10, v1
.LBB159_283:
	s_wait_loadcnt 0x0
	v_mov_b32_e32 v11, 0
.LBB159_284:
	s_branch .LBB159_32
.LBB159_285:
	s_mov_b32 s0, 0
	s_mov_b32 s36, 0
	s_branch .LBB159_535
.LBB159_286:
	s_mov_b32 s37, -1
	s_mov_b32 s50, exec_lo
	v_cmpx_eq_u16_e32 0x80, v1
; %bb.287:
	s_xor_b32 s37, exec_lo, -1
; %bb.288:
	s_or_b32 exec_lo, exec_lo, s50
	s_delay_alu instid0(SALU_CYCLE_1)
	s_and_b32 s37, s37, exec_lo
	s_or_saveexec_b32 s46, s46
	v_mov_b32_e32 v10, 0x7f800001
	s_xor_b32 exec_lo, exec_lo, s46
	s_cbranch_execz .LBB159_206
.LBB159_289:
	v_cmp_ne_u16_e32 vcc_lo, 0, v1
	v_mov_b32_e32 v10, 0
	s_and_not1_b32 s37, s37, exec_lo
	s_and_b32 s50, vcc_lo, exec_lo
	s_delay_alu instid0(SALU_CYCLE_1)
	s_or_b32 s37, s37, s50
	s_or_b32 exec_lo, exec_lo, s46
	s_and_saveexec_b32 s46, s37
	s_cbranch_execnz .LBB159_207
	s_branch .LBB159_208
.LBB159_290:
	s_mov_b32 s36, -1
.LBB159_291:
	s_mov_b32 s37, 0
                                        ; implicit-def: $vgpr13
.LBB159_292:
	s_and_b32 vcc_lo, exec_lo, s46
	s_cbranch_vccz .LBB159_297
; %bb.293:
	s_cmp_eq_u32 s0, 44
	s_cbranch_scc0 .LBB159_295
; %bb.294:
	global_load_u8 v1, v[8:9], off
	s_mov_b32 s36, 0
	s_mov_b32 s37, -1
	s_wait_loadcnt 0x0
	v_lshlrev_b32_e32 v3, 23, v1
	v_cmp_ne_u32_e32 vcc_lo, 0xff, v1
	s_delay_alu instid0(VALU_DEP_2) | instskip(SKIP_1) | instid1(VALU_DEP_2)
	v_cndmask_b32_e32 v3, 0x7f800001, v3, vcc_lo
	v_cmp_ne_u32_e32 vcc_lo, 0, v1
	v_cndmask_b32_e32 v12, 0x400000, v3, vcc_lo
	s_branch .LBB159_296
.LBB159_295:
	s_mov_b32 s36, -1
                                        ; implicit-def: $vgpr12
.LBB159_296:
	s_wait_xcnt 0x0
	v_mov_b32_e32 v13, 0
.LBB159_297:
	s_mov_b32 s46, 0
.LBB159_298:
	s_delay_alu instid0(SALU_CYCLE_1)
	s_and_b32 vcc_lo, exec_lo, s46
	s_cbranch_vccz .LBB159_303
; %bb.299:
	s_cmp_eq_u32 s0, 29
	s_cbranch_scc0 .LBB159_301
; %bb.300:
	global_load_b64 v[12:13], v[8:9], off
	s_mov_b32 s37, -1
	s_mov_b32 s36, 0
	s_wait_loadcnt 0x0
	v_clz_i32_u32_e32 v1, v13
	s_delay_alu instid0(VALU_DEP_1) | instskip(NEXT) | instid1(VALU_DEP_1)
	v_min_u32_e32 v1, 32, v1
	v_lshlrev_b64_e32 v[12:13], v1, v[12:13]
	v_sub_nc_u32_e32 v1, 32, v1
	s_delay_alu instid0(VALU_DEP_2) | instskip(NEXT) | instid1(VALU_DEP_1)
	v_min_u32_e32 v3, 1, v12
	v_or_b32_e32 v3, v13, v3
	s_delay_alu instid0(VALU_DEP_1) | instskip(NEXT) | instid1(VALU_DEP_1)
	v_cvt_f32_u32_e32 v3, v3
	v_ldexp_f32 v12, v3, v1
	s_branch .LBB159_302
.LBB159_301:
	s_mov_b32 s36, -1
                                        ; implicit-def: $vgpr12
.LBB159_302:
	s_wait_xcnt 0x0
	v_mov_b32_e32 v13, 0
.LBB159_303:
	s_mov_b32 s46, 0
.LBB159_304:
	s_delay_alu instid0(SALU_CYCLE_1)
	s_and_b32 vcc_lo, exec_lo, s46
	s_cbranch_vccz .LBB159_320
; %bb.305:
	s_cmp_lt_i32 s0, 27
	s_cbranch_scc1 .LBB159_308
; %bb.306:
	s_cmp_gt_i32 s0, 27
	s_cbranch_scc0 .LBB159_309
; %bb.307:
	global_load_b32 v1, v[8:9], off
	s_mov_b32 s37, 0
	s_wait_loadcnt 0x0
	v_cvt_f32_u32_e32 v12, v1
	s_branch .LBB159_310
.LBB159_308:
	s_mov_b32 s37, -1
                                        ; implicit-def: $vgpr12
	s_branch .LBB159_313
.LBB159_309:
	s_mov_b32 s37, -1
                                        ; implicit-def: $vgpr12
.LBB159_310:
	s_delay_alu instid0(SALU_CYCLE_1)
	s_and_not1_b32 vcc_lo, exec_lo, s37
	s_cbranch_vccnz .LBB159_312
; %bb.311:
	global_load_u16 v1, v[8:9], off
	s_wait_loadcnt 0x0
	v_cvt_f32_u32_e32 v12, v1
.LBB159_312:
	s_mov_b32 s37, 0
.LBB159_313:
	s_delay_alu instid0(SALU_CYCLE_1)
	s_and_not1_b32 vcc_lo, exec_lo, s37
	s_cbranch_vccnz .LBB159_319
; %bb.314:
	global_load_u8 v1, v[8:9], off
	s_mov_b32 s37, 0
	s_mov_b32 s46, exec_lo
	s_wait_loadcnt 0x0
	v_cmpx_lt_i16_e32 0x7f, v1
	s_xor_b32 s46, exec_lo, s46
	s_cbranch_execnz .LBB159_332
; %bb.315:
	s_or_saveexec_b32 s46, s46
	v_mov_b32_e32 v12, 0x7f800001
	s_xor_b32 exec_lo, exec_lo, s46
	s_cbranch_execnz .LBB159_335
.LBB159_316:
	s_or_b32 exec_lo, exec_lo, s46
	s_and_saveexec_b32 s46, s37
	s_cbranch_execz .LBB159_318
.LBB159_317:
	v_and_b32_e32 v3, 0xffff, v1
	s_delay_alu instid0(VALU_DEP_1) | instskip(SKIP_1) | instid1(VALU_DEP_2)
	v_dual_lshlrev_b32 v1, 24, v1 :: v_dual_bitop2_b32 v5, 7, v3 bitop3:0x40
	v_bfe_u32 v13, v3, 3, 4
	v_and_b32_e32 v1, 0x80000000, v1
	s_delay_alu instid0(VALU_DEP_3) | instskip(NEXT) | instid1(VALU_DEP_3)
	v_clz_i32_u32_e32 v7, v5
	v_cmp_eq_u32_e32 vcc_lo, 0, v13
	s_delay_alu instid0(VALU_DEP_2) | instskip(NEXT) | instid1(VALU_DEP_1)
	v_min_u32_e32 v7, 32, v7
	v_subrev_nc_u32_e32 v12, 28, v7
	v_sub_nc_u32_e32 v7, 29, v7
	s_delay_alu instid0(VALU_DEP_2) | instskip(NEXT) | instid1(VALU_DEP_2)
	v_lshlrev_b32_e32 v3, v12, v3
	v_cndmask_b32_e32 v7, v13, v7, vcc_lo
	s_delay_alu instid0(VALU_DEP_2) | instskip(NEXT) | instid1(VALU_DEP_1)
	v_and_b32_e32 v3, 7, v3
	v_cndmask_b32_e32 v3, v5, v3, vcc_lo
	s_delay_alu instid0(VALU_DEP_3) | instskip(NEXT) | instid1(VALU_DEP_2)
	v_lshl_add_u32 v5, v7, 23, 0x3b800000
	v_lshlrev_b32_e32 v3, 20, v3
	s_delay_alu instid0(VALU_DEP_1)
	v_or3_b32 v12, v1, v5, v3
.LBB159_318:
	s_or_b32 exec_lo, exec_lo, s46
.LBB159_319:
	s_wait_xcnt 0x0
	v_mov_b32_e32 v13, 0
	s_mov_b32 s37, -1
.LBB159_320:
	s_mov_b32 s46, 0
.LBB159_321:
	s_delay_alu instid0(SALU_CYCLE_1)
	s_and_b32 vcc_lo, exec_lo, s46
	s_cbranch_vccz .LBB159_355
; %bb.322:
	s_cmp_gt_i32 s0, 22
	s_cbranch_scc0 .LBB159_330
; %bb.323:
	s_cmp_lt_i32 s0, 24
	s_cbranch_scc1 .LBB159_331
; %bb.324:
	s_cmp_gt_i32 s0, 24
	s_cbranch_scc0 .LBB159_336
; %bb.325:
	global_load_u8 v1, v[8:9], off
	s_mov_b32 s37, 0
	s_mov_b32 s46, exec_lo
	s_wait_loadcnt 0x0
	v_cmpx_lt_i16_e32 0x7f, v1
	s_xor_b32 s46, exec_lo, s46
	s_cbranch_execnz .LBB159_420
; %bb.326:
	s_or_saveexec_b32 s46, s46
	v_mov_b32_e32 v12, 0x7f800001
	s_xor_b32 exec_lo, exec_lo, s46
	s_cbranch_execnz .LBB159_423
.LBB159_327:
	s_or_b32 exec_lo, exec_lo, s46
	s_and_saveexec_b32 s46, s37
	s_cbranch_execz .LBB159_329
.LBB159_328:
	v_and_b32_e32 v3, 0xffff, v1
	s_delay_alu instid0(VALU_DEP_1) | instskip(SKIP_1) | instid1(VALU_DEP_2)
	v_dual_lshlrev_b32 v1, 24, v1 :: v_dual_bitop2_b32 v5, 3, v3 bitop3:0x40
	v_bfe_u32 v13, v3, 2, 5
	v_and_b32_e32 v1, 0x80000000, v1
	s_delay_alu instid0(VALU_DEP_3) | instskip(NEXT) | instid1(VALU_DEP_3)
	v_clz_i32_u32_e32 v7, v5
	v_cmp_eq_u32_e32 vcc_lo, 0, v13
	s_delay_alu instid0(VALU_DEP_2) | instskip(NEXT) | instid1(VALU_DEP_1)
	v_min_u32_e32 v7, 32, v7
	v_subrev_nc_u32_e32 v12, 29, v7
	v_sub_nc_u32_e32 v7, 30, v7
	s_delay_alu instid0(VALU_DEP_2) | instskip(NEXT) | instid1(VALU_DEP_2)
	v_lshlrev_b32_e32 v3, v12, v3
	v_cndmask_b32_e32 v7, v13, v7, vcc_lo
	s_delay_alu instid0(VALU_DEP_2) | instskip(NEXT) | instid1(VALU_DEP_1)
	v_and_b32_e32 v3, 3, v3
	v_cndmask_b32_e32 v3, v5, v3, vcc_lo
	s_delay_alu instid0(VALU_DEP_3) | instskip(NEXT) | instid1(VALU_DEP_2)
	v_lshl_add_u32 v5, v7, 23, 0x37800000
	v_lshlrev_b32_e32 v3, 21, v3
	s_delay_alu instid0(VALU_DEP_1)
	v_or3_b32 v12, v1, v5, v3
.LBB159_329:
	s_or_b32 exec_lo, exec_lo, s46
	s_mov_b32 s37, 0
	s_branch .LBB159_337
.LBB159_330:
	s_mov_b32 s46, -1
                                        ; implicit-def: $vgpr12
	s_branch .LBB159_343
.LBB159_331:
	s_mov_b32 s37, -1
                                        ; implicit-def: $vgpr12
	s_branch .LBB159_340
.LBB159_332:
	s_mov_b32 s37, -1
	s_mov_b32 s50, exec_lo
	v_cmpx_eq_u16_e32 0x80, v1
; %bb.333:
	s_xor_b32 s37, exec_lo, -1
; %bb.334:
	s_or_b32 exec_lo, exec_lo, s50
	s_delay_alu instid0(SALU_CYCLE_1)
	s_and_b32 s37, s37, exec_lo
	s_or_saveexec_b32 s46, s46
	v_mov_b32_e32 v12, 0x7f800001
	s_xor_b32 exec_lo, exec_lo, s46
	s_cbranch_execz .LBB159_316
.LBB159_335:
	v_cmp_ne_u16_e32 vcc_lo, 0, v1
	v_mov_b32_e32 v12, 0
	s_and_not1_b32 s37, s37, exec_lo
	s_and_b32 s50, vcc_lo, exec_lo
	s_delay_alu instid0(SALU_CYCLE_1)
	s_or_b32 s37, s37, s50
	s_or_b32 exec_lo, exec_lo, s46
	s_and_saveexec_b32 s46, s37
	s_cbranch_execnz .LBB159_317
	s_branch .LBB159_318
.LBB159_336:
	s_mov_b32 s37, -1
                                        ; implicit-def: $vgpr12
.LBB159_337:
	s_delay_alu instid0(SALU_CYCLE_1)
	s_and_b32 vcc_lo, exec_lo, s37
	s_cbranch_vccz .LBB159_339
; %bb.338:
	global_load_u8 v1, v[8:9], off
	s_wait_loadcnt 0x0
	v_lshlrev_b32_e32 v1, 24, v1
	s_delay_alu instid0(VALU_DEP_1) | instskip(NEXT) | instid1(VALU_DEP_1)
	v_and_b32_e32 v3, 0x7f000000, v1
	v_clz_i32_u32_e32 v5, v3
	v_cmp_ne_u32_e32 vcc_lo, 0, v3
	v_add_nc_u32_e32 v12, 0x1000000, v3
	s_delay_alu instid0(VALU_DEP_3) | instskip(NEXT) | instid1(VALU_DEP_1)
	v_min_u32_e32 v5, 32, v5
	v_sub_nc_u32_e64 v5, v5, 4 clamp
	s_delay_alu instid0(VALU_DEP_1) | instskip(NEXT) | instid1(VALU_DEP_1)
	v_dual_lshlrev_b32 v7, v5, v3 :: v_dual_lshlrev_b32 v5, 23, v5
	v_lshrrev_b32_e32 v7, 4, v7
	s_delay_alu instid0(VALU_DEP_1) | instskip(NEXT) | instid1(VALU_DEP_1)
	v_dual_sub_nc_u32 v5, v7, v5 :: v_dual_ashrrev_i32 v7, 8, v12
	v_add_nc_u32_e32 v5, 0x3c000000, v5
	s_delay_alu instid0(VALU_DEP_1) | instskip(NEXT) | instid1(VALU_DEP_1)
	v_and_or_b32 v5, 0x7f800000, v7, v5
	v_cndmask_b32_e32 v3, 0, v5, vcc_lo
	s_delay_alu instid0(VALU_DEP_1)
	v_and_or_b32 v12, 0x80000000, v1, v3
.LBB159_339:
	s_mov_b32 s37, 0
.LBB159_340:
	s_delay_alu instid0(SALU_CYCLE_1)
	s_and_not1_b32 vcc_lo, exec_lo, s37
	s_cbranch_vccnz .LBB159_342
; %bb.341:
	global_load_u8 v1, v[8:9], off
	s_wait_loadcnt 0x0
	v_lshlrev_b32_e32 v3, 25, v1
	v_lshlrev_b16 v1, 8, v1
	s_delay_alu instid0(VALU_DEP_1) | instskip(SKIP_1) | instid1(VALU_DEP_2)
	v_and_or_b32 v7, 0x7f00, v1, 0.5
	v_bfe_i32 v1, v1, 0, 16
	v_add_f32_e32 v7, -0.5, v7
	v_lshrrev_b32_e32 v5, 4, v3
	v_cmp_gt_u32_e32 vcc_lo, 0x8000000, v3
	s_delay_alu instid0(VALU_DEP_2) | instskip(NEXT) | instid1(VALU_DEP_1)
	v_or_b32_e32 v5, 0x70000000, v5
	v_mul_f32_e32 v5, 0x7800000, v5
	s_delay_alu instid0(VALU_DEP_1) | instskip(NEXT) | instid1(VALU_DEP_1)
	v_cndmask_b32_e32 v3, v5, v7, vcc_lo
	v_and_or_b32 v12, 0x80000000, v1, v3
.LBB159_342:
	s_mov_b32 s46, 0
	s_mov_b32 s37, -1
.LBB159_343:
	s_and_not1_b32 vcc_lo, exec_lo, s46
	s_cbranch_vccnz .LBB159_354
; %bb.344:
	s_cmp_gt_i32 s0, 14
	s_cbranch_scc0 .LBB159_347
; %bb.345:
	s_cmp_eq_u32 s0, 15
	s_cbranch_scc0 .LBB159_348
; %bb.346:
	global_load_u16 v1, v[8:9], off
	s_mov_b32 s37, -1
	s_mov_b32 s36, 0
	s_wait_loadcnt 0x0
	v_lshlrev_b32_e32 v12, 16, v1
	s_branch .LBB159_349
.LBB159_347:
	s_mov_b32 s46, -1
                                        ; implicit-def: $vgpr12
	s_branch .LBB159_350
.LBB159_348:
	s_mov_b32 s36, -1
                                        ; implicit-def: $vgpr12
.LBB159_349:
	s_mov_b32 s46, 0
.LBB159_350:
	s_delay_alu instid0(SALU_CYCLE_1)
	s_and_b32 vcc_lo, exec_lo, s46
	s_cbranch_vccz .LBB159_354
; %bb.351:
	s_cmp_eq_u32 s0, 11
	s_cbranch_scc0 .LBB159_353
; %bb.352:
	global_load_u8 v1, v[8:9], off
	s_mov_b32 s36, 0
	s_mov_b32 s37, -1
	s_wait_xcnt 0x1
	v_mov_b32_e32 v13, 0
	s_wait_loadcnt 0x0
	v_cmp_ne_u16_e32 vcc_lo, 0, v1
	v_cndmask_b32_e64 v12, 0, 1.0, vcc_lo
	s_branch .LBB159_355
.LBB159_353:
	s_mov_b32 s36, -1
                                        ; implicit-def: $vgpr12
.LBB159_354:
	s_wait_xcnt 0x0
	v_mov_b32_e32 v13, 0
.LBB159_355:
	s_mov_b32 s46, 0
.LBB159_356:
	s_delay_alu instid0(SALU_CYCLE_1)
	s_and_b32 vcc_lo, exec_lo, s46
	s_cbranch_vccz .LBB159_407
; %bb.357:
	s_cmp_lt_i32 s0, 5
	s_cbranch_scc1 .LBB159_362
; %bb.358:
	s_cmp_lt_i32 s0, 8
	s_cbranch_scc1 .LBB159_363
	;; [unrolled: 3-line block ×3, first 2 shown]
; %bb.360:
	s_cmp_gt_i32 s0, 9
	s_cbranch_scc0 .LBB159_365
; %bb.361:
	global_load_b128 v[12:15], v[8:9], off
	s_mov_b32 s37, 0
	s_wait_loadcnt 0x0
	v_cvt_f32_f64_e32 v12, v[12:13]
	v_cvt_f32_f64_e32 v13, v[14:15]
	s_branch .LBB159_366
.LBB159_362:
	s_mov_b32 s37, -1
                                        ; implicit-def: $vgpr13
	s_branch .LBB159_385
.LBB159_363:
	s_mov_b32 s37, -1
                                        ; implicit-def: $vgpr13
	s_branch .LBB159_372
.LBB159_364:
	s_mov_b32 s37, -1
                                        ; implicit-def: $vgpr13
	s_branch .LBB159_369
.LBB159_365:
	s_mov_b32 s37, -1
                                        ; implicit-def: $vgpr13
.LBB159_366:
	s_delay_alu instid0(SALU_CYCLE_1)
	s_and_not1_b32 vcc_lo, exec_lo, s37
	s_cbranch_vccnz .LBB159_368
; %bb.367:
	global_load_b64 v[12:13], v[8:9], off
.LBB159_368:
	s_mov_b32 s37, 0
.LBB159_369:
	s_delay_alu instid0(SALU_CYCLE_1)
	s_and_not1_b32 vcc_lo, exec_lo, s37
	s_cbranch_vccnz .LBB159_371
; %bb.370:
	global_load_b32 v1, v[8:9], off
	s_wait_loadcnt 0x0
	v_lshrrev_b32_e32 v3, 16, v1
	v_cvt_f32_f16_e32 v12, v1
	s_delay_alu instid0(VALU_DEP_2)
	v_cvt_f32_f16_e32 v13, v3
.LBB159_371:
	s_mov_b32 s37, 0
.LBB159_372:
	s_delay_alu instid0(SALU_CYCLE_1)
	s_and_not1_b32 vcc_lo, exec_lo, s37
	s_cbranch_vccnz .LBB159_384
; %bb.373:
	s_cmp_lt_i32 s0, 6
	s_cbranch_scc1 .LBB159_376
; %bb.374:
	s_cmp_gt_i32 s0, 6
	s_cbranch_scc0 .LBB159_377
; %bb.375:
	s_wait_loadcnt 0x0
	global_load_b64 v[12:13], v[8:9], off
	s_mov_b32 s37, 0
	s_wait_loadcnt 0x0
	v_cvt_f32_f64_e32 v12, v[12:13]
	s_branch .LBB159_378
.LBB159_376:
	s_mov_b32 s37, -1
                                        ; implicit-def: $vgpr12
	s_branch .LBB159_381
.LBB159_377:
	s_mov_b32 s37, -1
                                        ; implicit-def: $vgpr12
.LBB159_378:
	s_delay_alu instid0(SALU_CYCLE_1)
	s_and_not1_b32 vcc_lo, exec_lo, s37
	s_cbranch_vccnz .LBB159_380
; %bb.379:
	s_wait_loadcnt 0x0
	global_load_b32 v12, v[8:9], off
.LBB159_380:
	s_mov_b32 s37, 0
.LBB159_381:
	s_delay_alu instid0(SALU_CYCLE_1)
	s_and_not1_b32 vcc_lo, exec_lo, s37
	s_cbranch_vccnz .LBB159_383
; %bb.382:
	global_load_u16 v1, v[8:9], off
	s_wait_loadcnt 0x0
	v_cvt_f32_f16_e32 v12, v1
.LBB159_383:
	s_wait_loadcnt 0x0
	v_mov_b32_e32 v13, 0
.LBB159_384:
	s_mov_b32 s37, 0
.LBB159_385:
	s_delay_alu instid0(SALU_CYCLE_1)
	s_and_not1_b32 vcc_lo, exec_lo, s37
	s_cbranch_vccnz .LBB159_406
; %bb.386:
	s_cmp_lt_i32 s0, 2
	s_cbranch_scc1 .LBB159_390
; %bb.387:
	s_cmp_lt_i32 s0, 3
	s_cbranch_scc1 .LBB159_391
; %bb.388:
	s_cmp_gt_i32 s0, 3
	s_cbranch_scc0 .LBB159_392
; %bb.389:
	s_wait_loadcnt 0x0
	global_load_b64 v[12:13], v[8:9], off
	s_mov_b32 s37, 0
	s_wait_loadcnt 0x0
	v_xor_b32_e32 v1, v12, v13
	v_cls_i32_e32 v3, v13
	s_delay_alu instid0(VALU_DEP_2) | instskip(NEXT) | instid1(VALU_DEP_1)
	v_ashrrev_i32_e32 v1, 31, v1
	v_add_nc_u32_e32 v1, 32, v1
	s_delay_alu instid0(VALU_DEP_1) | instskip(NEXT) | instid1(VALU_DEP_1)
	v_add_min_u32_e64 v1, v3, -1, v1
	v_lshlrev_b64_e32 v[12:13], v1, v[12:13]
	v_sub_nc_u32_e32 v1, 32, v1
	s_delay_alu instid0(VALU_DEP_2) | instskip(NEXT) | instid1(VALU_DEP_1)
	v_min_u32_e32 v3, 1, v12
	v_or_b32_e32 v3, v13, v3
	s_delay_alu instid0(VALU_DEP_1) | instskip(NEXT) | instid1(VALU_DEP_1)
	v_cvt_f32_i32_e32 v3, v3
	v_ldexp_f32 v12, v3, v1
	s_branch .LBB159_393
.LBB159_390:
	s_mov_b32 s37, -1
                                        ; implicit-def: $vgpr12
	s_branch .LBB159_399
.LBB159_391:
	s_mov_b32 s37, -1
                                        ; implicit-def: $vgpr12
	s_branch .LBB159_396
.LBB159_392:
	s_mov_b32 s37, -1
                                        ; implicit-def: $vgpr12
.LBB159_393:
	s_delay_alu instid0(SALU_CYCLE_1)
	s_and_not1_b32 vcc_lo, exec_lo, s37
	s_cbranch_vccnz .LBB159_395
; %bb.394:
	global_load_b32 v1, v[8:9], off
	s_wait_loadcnt 0x0
	v_cvt_f32_i32_e32 v12, v1
.LBB159_395:
	s_mov_b32 s37, 0
.LBB159_396:
	s_delay_alu instid0(SALU_CYCLE_1)
	s_and_not1_b32 vcc_lo, exec_lo, s37
	s_cbranch_vccnz .LBB159_398
; %bb.397:
	global_load_i16 v1, v[8:9], off
	s_wait_loadcnt 0x0
	v_cvt_f32_i32_e32 v12, v1
.LBB159_398:
	s_mov_b32 s37, 0
.LBB159_399:
	s_delay_alu instid0(SALU_CYCLE_1)
	s_and_not1_b32 vcc_lo, exec_lo, s37
	s_cbranch_vccnz .LBB159_405
; %bb.400:
	s_cmp_gt_i32 s0, 0
	s_mov_b32 s0, 0
	s_cbranch_scc0 .LBB159_402
; %bb.401:
	global_load_i8 v1, v[8:9], off
	s_wait_loadcnt 0x0
	v_cvt_f32_i32_e32 v12, v1
	s_branch .LBB159_403
.LBB159_402:
	s_mov_b32 s0, -1
                                        ; implicit-def: $vgpr12
.LBB159_403:
	s_delay_alu instid0(SALU_CYCLE_1)
	s_and_not1_b32 vcc_lo, exec_lo, s0
	s_cbranch_vccnz .LBB159_405
; %bb.404:
	global_load_u8 v1, v[8:9], off
	s_wait_loadcnt 0x0
	v_cvt_f32_ubyte0_e32 v12, v1
.LBB159_405:
	s_wait_loadcnt 0x0
	v_mov_b32_e32 v13, 0
.LBB159_406:
	s_mov_b32 s37, -1
.LBB159_407:
	s_delay_alu instid0(SALU_CYCLE_1)
	s_and_not1_b32 vcc_lo, exec_lo, s37
	s_cbranch_vccnz .LBB159_415
; %bb.408:
	s_wait_xcnt 0x0
	v_mov_b64_e32 v[8:9], s[28:29]
	v_mov_b64_e32 v[16:17], s[20:21]
	s_wait_loadcnt 0x0
	s_delay_alu instid0(VALU_DEP_3)
	v_dual_mov_b32 v18, v13 :: v_dual_mov_b32 v19, v12
	s_and_b32 s37, s42, 0xff
	v_mov_b32_e32 v3, 0
	s_cmp_lt_i32 s37, 11
	v_pk_mul_f32 v[14:15], v[10:11], v[8:9]
	v_pk_mul_f32 v[8:9], v[10:11], v[8:9] op_sel:[0,1] op_sel_hi:[1,0]
	v_pk_mul_f32 v[6:7], v[6:7], v[16:17] op_sel:[0,1] op_sel_hi:[0,0]
	v_add_nc_u64_e32 v[2:3], s[4:5], v[2:3]
	s_delay_alu instid0(VALU_DEP_4) | instskip(NEXT) | instid1(VALU_DEP_4)
	v_add_f32_e32 v10, v14, v15
	v_pk_add_f32 v[8:9], v[8:9], v[8:9] op_sel:[0,1] op_sel_hi:[0,1] neg_lo:[0,1] neg_hi:[0,1]
	s_delay_alu instid0(VALU_DEP_4) | instskip(SKIP_1) | instid1(VALU_DEP_4)
	v_pk_fma_f32 v[14:15], v[4:5], v[16:17], v[6:7] op_sel_hi:[0,1,1]
	v_pk_fma_f32 v[4:5], v[4:5], v[16:17], v[6:7] op_sel_hi:[0,1,1] neg_lo:[0,0,1] neg_hi:[0,0,1]
	v_pk_mul_f32 v[10:11], v[10:11], v[18:19] op_sel_hi:[0,1]
	s_delay_alu instid0(VALU_DEP_1) | instskip(SKIP_1) | instid1(VALU_DEP_2)
	v_pk_fma_f32 v[18:19], v[8:9], v[12:13], v[10:11]
	v_pk_fma_f32 v[6:7], v[8:9], v[12:13], v[10:11] neg_lo:[0,0,1] neg_hi:[0,0,1]
	v_dual_mov_b32 v5, v15 :: v_dual_mov_b32 v7, v19
	s_delay_alu instid0(VALU_DEP_1)
	v_pk_add_f32 v[4:5], v[4:5], v[6:7]
	s_cbranch_scc1 .LBB159_416
; %bb.409:
	s_and_b32 s46, 0xffff, s37
	s_delay_alu instid0(SALU_CYCLE_1)
	s_cmp_gt_i32 s46, 25
	s_cbranch_scc0 .LBB159_417
; %bb.410:
	s_cmp_gt_i32 s46, 28
	s_cbranch_scc0 .LBB159_418
; %bb.411:
	s_cmp_gt_i32 s46, 43
	s_cbranch_scc0 .LBB159_419
; %bb.412:
	s_cmp_gt_i32 s46, 45
	s_cbranch_scc0 .LBB159_424
; %bb.413:
	s_mov_b32 s51, 0
	s_mov_b32 s0, -1
	s_cmp_eq_u32 s46, 46
	s_mov_b32 s50, 0
	s_cbranch_scc0 .LBB159_425
; %bb.414:
	v_dual_lshrrev_b32 v1, 16, v4 :: v_dual_lshrrev_b32 v6, 16, v5
	v_cmp_o_f32_e32 vcc_lo, v4, v4
	s_mov_b32 s50, -1
	s_mov_b32 s0, 0
	s_delay_alu instid0(VALU_DEP_2) | instskip(NEXT) | instid1(VALU_DEP_1)
	v_and_b32_e32 v1, 1, v1
	v_add3_u32 v1, v4, v1, 0x7fff
	s_delay_alu instid0(VALU_DEP_1) | instskip(NEXT) | instid1(VALU_DEP_1)
	v_dual_lshrrev_b32 v1, 16, v1 :: v_dual_bitop2_b32 v6, 1, v6 bitop3:0x40
	v_add3_u32 v6, v5, v6, 0x7fff
	s_delay_alu instid0(VALU_DEP_2) | instskip(NEXT) | instid1(VALU_DEP_2)
	v_cndmask_b32_e32 v1, 0x7fc0, v1, vcc_lo
	v_and_b32_e32 v6, 0xffff0000, v6
	v_cmp_o_f32_e32 vcc_lo, v5, v5
	s_delay_alu instid0(VALU_DEP_2) | instskip(NEXT) | instid1(VALU_DEP_1)
	v_cndmask_b32_e32 v6, 0x7fc00000, v6, vcc_lo
	v_or_b32_e32 v1, v6, v1
	global_store_b32 v[2:3], v1, off
	s_branch .LBB159_425
.LBB159_415:
	s_mov_b32 s0, 0
	s_branch .LBB159_535
.LBB159_416:
	s_mov_b32 s46, -1
	s_mov_b32 s0, 0
	s_mov_b32 s50, 0
	s_branch .LBB159_494
.LBB159_417:
	s_mov_b32 s51, -1
	s_mov_b32 s0, 0
	s_mov_b32 s50, 0
	s_branch .LBB159_452
.LBB159_418:
	s_mov_b32 s51, -1
	s_mov_b32 s0, 0
	s_mov_b32 s50, 0
	s_branch .LBB159_435
.LBB159_419:
	s_mov_b32 s51, -1
	s_mov_b32 s0, 0
	s_mov_b32 s50, 0
	s_branch .LBB159_431
.LBB159_420:
	s_mov_b32 s37, -1
	s_mov_b32 s50, exec_lo
	v_cmpx_eq_u16_e32 0x80, v1
; %bb.421:
	s_xor_b32 s37, exec_lo, -1
; %bb.422:
	s_or_b32 exec_lo, exec_lo, s50
	s_delay_alu instid0(SALU_CYCLE_1)
	s_and_b32 s37, s37, exec_lo
	s_or_saveexec_b32 s46, s46
	v_mov_b32_e32 v12, 0x7f800001
	s_xor_b32 exec_lo, exec_lo, s46
	s_cbranch_execz .LBB159_327
.LBB159_423:
	v_cmp_ne_u16_e32 vcc_lo, 0, v1
	v_mov_b32_e32 v12, 0
	s_and_not1_b32 s37, s37, exec_lo
	s_and_b32 s50, vcc_lo, exec_lo
	s_delay_alu instid0(SALU_CYCLE_1)
	s_or_b32 s37, s37, s50
	s_or_b32 exec_lo, exec_lo, s46
	s_and_saveexec_b32 s46, s37
	s_cbranch_execnz .LBB159_328
	s_branch .LBB159_329
.LBB159_424:
	s_mov_b32 s51, -1
	s_mov_b32 s0, 0
	s_mov_b32 s50, 0
.LBB159_425:
	s_and_b32 vcc_lo, exec_lo, s51
	s_cbranch_vccz .LBB159_430
; %bb.426:
	s_cmp_eq_u32 s46, 44
	s_mov_b32 s0, -1
	s_cbranch_scc0 .LBB159_430
; %bb.427:
	v_bfe_u32 v6, v4, 23, 8
	s_wait_xcnt 0x0
	v_mov_b32_e32 v1, 0xff
	s_mov_b32 s50, exec_lo
	s_delay_alu instid0(VALU_DEP_2)
	v_cmpx_ne_u32_e32 0xff, v6
	s_cbranch_execz .LBB159_429
; %bb.428:
	v_and_b32_e32 v1, 0x400000, v4
	v_and_or_b32 v6, 0x3fffff, v4, v6
	s_delay_alu instid0(VALU_DEP_2) | instskip(NEXT) | instid1(VALU_DEP_2)
	v_cmp_ne_u32_e32 vcc_lo, 0, v1
	v_cmp_ne_u32_e64 s0, 0, v6
	v_lshrrev_b32_e32 v1, 23, v4
	s_and_b32 s0, vcc_lo, s0
	s_delay_alu instid0(SALU_CYCLE_1) | instskip(NEXT) | instid1(VALU_DEP_1)
	v_cndmask_b32_e64 v6, 0, 1, s0
	v_add_nc_u32_e32 v1, v1, v6
.LBB159_429:
	s_or_b32 exec_lo, exec_lo, s50
	s_mov_b32 s50, -1
	s_mov_b32 s0, 0
	global_store_b8 v[2:3], v1, off
.LBB159_430:
	s_mov_b32 s51, 0
.LBB159_431:
	s_delay_alu instid0(SALU_CYCLE_1)
	s_and_b32 vcc_lo, exec_lo, s51
	s_cbranch_vccz .LBB159_434
; %bb.432:
	s_cmp_eq_u32 s46, 29
	s_mov_b32 s0, -1
	s_cbranch_scc0 .LBB159_434
; %bb.433:
	s_wait_xcnt 0x0
	v_trunc_f32_e32 v1, v4
	s_mov_b32 s50, -1
	s_mov_b32 s0, 0
	s_mov_b32 s51, 0
	s_delay_alu instid0(VALU_DEP_1) | instskip(NEXT) | instid1(VALU_DEP_1)
	v_mul_f32_e32 v6, 0x2f800000, v1
	v_floor_f32_e32 v6, v6
	s_delay_alu instid0(VALU_DEP_1) | instskip(SKIP_1) | instid1(VALU_DEP_2)
	v_fmamk_f32 v1, v6, 0xcf800000, v1
	v_cvt_u32_f32_e32 v7, v6
	v_cvt_u32_f32_e32 v6, v1
	global_store_b64 v[2:3], v[6:7], off
	s_branch .LBB159_435
.LBB159_434:
	s_mov_b32 s51, 0
.LBB159_435:
	s_delay_alu instid0(SALU_CYCLE_1)
	s_and_b32 vcc_lo, exec_lo, s51
	s_cbranch_vccz .LBB159_451
; %bb.436:
	s_cmp_lt_i32 s46, 27
	s_mov_b32 s50, -1
	s_cbranch_scc1 .LBB159_442
; %bb.437:
	s_wait_xcnt 0x0
	v_cvt_u32_f32_e32 v1, v4
	s_cmp_gt_i32 s46, 27
	s_cbranch_scc0 .LBB159_439
; %bb.438:
	s_mov_b32 s50, 0
	global_store_b32 v[2:3], v1, off
.LBB159_439:
	s_and_not1_b32 vcc_lo, exec_lo, s50
	s_cbranch_vccnz .LBB159_441
; %bb.440:
	global_store_b16 v[2:3], v1, off
.LBB159_441:
	s_mov_b32 s50, 0
.LBB159_442:
	s_delay_alu instid0(SALU_CYCLE_1)
	s_and_not1_b32 vcc_lo, exec_lo, s50
	s_cbranch_vccnz .LBB159_450
; %bb.443:
	s_wait_xcnt 0x0
	v_and_b32_e32 v1, 0x7fffffff, v4
	v_mov_b32_e32 v6, 0x80
	s_mov_b32 s50, exec_lo
	s_delay_alu instid0(VALU_DEP_2)
	v_cmpx_gt_u32_e32 0x43800000, v1
	s_cbranch_execz .LBB159_449
; %bb.444:
	v_cmp_lt_u32_e32 vcc_lo, 0x3bffffff, v1
	s_mov_b32 s51, 0
                                        ; implicit-def: $vgpr1
	s_and_saveexec_b32 s52, vcc_lo
	s_delay_alu instid0(SALU_CYCLE_1)
	s_xor_b32 s52, exec_lo, s52
	s_cbranch_execnz .LBB159_834
; %bb.445:
	s_and_not1_saveexec_b32 s52, s52
	s_cbranch_execnz .LBB159_835
.LBB159_446:
	s_or_b32 exec_lo, exec_lo, s52
	v_mov_b32_e32 v6, 0
	s_and_saveexec_b32 s52, s51
.LBB159_447:
	v_lshrrev_b32_e32 v6, 24, v4
	s_delay_alu instid0(VALU_DEP_1)
	v_and_or_b32 v6, 0x80, v6, v1
.LBB159_448:
	s_or_b32 exec_lo, exec_lo, s52
.LBB159_449:
	s_delay_alu instid0(SALU_CYCLE_1)
	s_or_b32 exec_lo, exec_lo, s50
	global_store_b8 v[2:3], v6, off
.LBB159_450:
	s_mov_b32 s50, -1
.LBB159_451:
	s_mov_b32 s51, 0
.LBB159_452:
	s_delay_alu instid0(SALU_CYCLE_1)
	s_and_b32 vcc_lo, exec_lo, s51
	s_cbranch_vccz .LBB159_493
; %bb.453:
	s_cmp_gt_i32 s46, 22
	s_mov_b32 s51, -1
	s_cbranch_scc0 .LBB159_485
; %bb.454:
	s_cmp_lt_i32 s46, 24
	s_mov_b32 s50, -1
	s_cbranch_scc1 .LBB159_474
; %bb.455:
	s_cmp_gt_i32 s46, 24
	s_cbranch_scc0 .LBB159_463
; %bb.456:
	s_wait_xcnt 0x0
	v_and_b32_e32 v1, 0x7fffffff, v4
	v_mov_b32_e32 v6, 0x80
	s_mov_b32 s50, exec_lo
	s_delay_alu instid0(VALU_DEP_2)
	v_cmpx_gt_u32_e32 0x47800000, v1
	s_cbranch_execz .LBB159_462
; %bb.457:
	v_cmp_lt_u32_e32 vcc_lo, 0x37ffffff, v1
	s_mov_b32 s51, 0
                                        ; implicit-def: $vgpr1
	s_and_saveexec_b32 s52, vcc_lo
	s_delay_alu instid0(SALU_CYCLE_1)
	s_xor_b32 s52, exec_lo, s52
	s_cbranch_execnz .LBB159_1380
; %bb.458:
	s_and_not1_saveexec_b32 s52, s52
	s_cbranch_execnz .LBB159_1381
.LBB159_459:
	s_or_b32 exec_lo, exec_lo, s52
	v_mov_b32_e32 v6, 0
	s_and_saveexec_b32 s52, s51
.LBB159_460:
	v_lshrrev_b32_e32 v6, 24, v4
	s_delay_alu instid0(VALU_DEP_1)
	v_and_or_b32 v6, 0x80, v6, v1
.LBB159_461:
	s_or_b32 exec_lo, exec_lo, s52
.LBB159_462:
	s_delay_alu instid0(SALU_CYCLE_1)
	s_or_b32 exec_lo, exec_lo, s50
	s_mov_b32 s50, 0
	global_store_b8 v[2:3], v6, off
.LBB159_463:
	s_and_b32 vcc_lo, exec_lo, s50
	s_cbranch_vccz .LBB159_473
; %bb.464:
	s_wait_xcnt 0x0
	v_and_b32_e32 v6, 0x7fffffff, v4
	s_mov_b32 s50, exec_lo
                                        ; implicit-def: $vgpr1
	s_delay_alu instid0(VALU_DEP_1)
	v_cmpx_gt_u32_e32 0x43f00000, v6
	s_xor_b32 s50, exec_lo, s50
	s_cbranch_execz .LBB159_470
; %bb.465:
	s_mov_b32 s51, exec_lo
                                        ; implicit-def: $vgpr1
	v_cmpx_lt_u32_e32 0x3c7fffff, v6
	s_xor_b32 s51, exec_lo, s51
; %bb.466:
	v_bfe_u32 v1, v4, 20, 1
	s_delay_alu instid0(VALU_DEP_1) | instskip(NEXT) | instid1(VALU_DEP_1)
	v_add3_u32 v1, v4, v1, 0x407ffff
	v_and_b32_e32 v6, 0xff00000, v1
	v_lshrrev_b32_e32 v1, 20, v1
	s_delay_alu instid0(VALU_DEP_2) | instskip(NEXT) | instid1(VALU_DEP_2)
	v_cmp_ne_u32_e32 vcc_lo, 0x7f00000, v6
	v_cndmask_b32_e32 v1, 0x7e, v1, vcc_lo
; %bb.467:
	s_and_not1_saveexec_b32 s51, s51
; %bb.468:
	v_add_f32_e64 v1, 0x46800000, |v4|
; %bb.469:
	s_or_b32 exec_lo, exec_lo, s51
                                        ; implicit-def: $vgpr6
.LBB159_470:
	s_and_not1_saveexec_b32 s50, s50
; %bb.471:
	v_mov_b32_e32 v1, 0x7f
	v_cmp_lt_u32_e32 vcc_lo, 0x7f800000, v6
	s_delay_alu instid0(VALU_DEP_2)
	v_cndmask_b32_e32 v1, 0x7e, v1, vcc_lo
; %bb.472:
	s_or_b32 exec_lo, exec_lo, s50
	v_lshrrev_b32_e32 v6, 24, v4
	s_delay_alu instid0(VALU_DEP_1)
	v_and_or_b32 v1, 0x80, v6, v1
	global_store_b8 v[2:3], v1, off
.LBB159_473:
	s_mov_b32 s50, 0
.LBB159_474:
	s_delay_alu instid0(SALU_CYCLE_1)
	s_and_not1_b32 vcc_lo, exec_lo, s50
	s_cbranch_vccnz .LBB159_484
; %bb.475:
	s_wait_xcnt 0x0
	v_and_b32_e32 v6, 0x7fffffff, v4
	s_mov_b32 s50, exec_lo
                                        ; implicit-def: $vgpr1
	s_delay_alu instid0(VALU_DEP_1)
	v_cmpx_gt_u32_e32 0x47800000, v6
	s_xor_b32 s50, exec_lo, s50
	s_cbranch_execz .LBB159_481
; %bb.476:
	s_mov_b32 s51, exec_lo
                                        ; implicit-def: $vgpr1
	v_cmpx_lt_u32_e32 0x387fffff, v6
	s_xor_b32 s51, exec_lo, s51
; %bb.477:
	v_bfe_u32 v1, v4, 21, 1
	s_delay_alu instid0(VALU_DEP_1) | instskip(NEXT) | instid1(VALU_DEP_1)
	v_add3_u32 v1, v4, v1, 0x80fffff
	v_lshrrev_b32_e32 v1, 21, v1
; %bb.478:
	s_and_not1_saveexec_b32 s51, s51
; %bb.479:
	v_add_f32_e64 v1, 0x43000000, |v4|
; %bb.480:
	s_or_b32 exec_lo, exec_lo, s51
                                        ; implicit-def: $vgpr6
.LBB159_481:
	s_and_not1_saveexec_b32 s50, s50
; %bb.482:
	v_mov_b32_e32 v1, 0x7f
	v_cmp_lt_u32_e32 vcc_lo, 0x7f800000, v6
	s_delay_alu instid0(VALU_DEP_2)
	v_cndmask_b32_e32 v1, 0x7c, v1, vcc_lo
; %bb.483:
	s_or_b32 exec_lo, exec_lo, s50
	v_lshrrev_b32_e32 v6, 24, v4
	s_delay_alu instid0(VALU_DEP_1)
	v_and_or_b32 v1, 0x80, v6, v1
	global_store_b8 v[2:3], v1, off
.LBB159_484:
	s_mov_b32 s51, 0
	s_mov_b32 s50, -1
.LBB159_485:
	s_and_not1_b32 vcc_lo, exec_lo, s51
	s_cbranch_vccnz .LBB159_493
; %bb.486:
	s_cmp_gt_i32 s46, 14
	s_mov_b32 s51, -1
	s_cbranch_scc0 .LBB159_490
; %bb.487:
	s_cmp_eq_u32 s46, 15
	s_mov_b32 s0, -1
	s_cbranch_scc0 .LBB159_489
; %bb.488:
	s_wait_xcnt 0x0
	v_bfe_u32 v1, v4, 16, 1
	v_cmp_o_f32_e32 vcc_lo, v4, v4
	s_mov_b32 s50, -1
	s_mov_b32 s0, 0
	s_delay_alu instid0(VALU_DEP_2) | instskip(NEXT) | instid1(VALU_DEP_1)
	v_add3_u32 v1, v4, v1, 0x7fff
	v_lshrrev_b32_e32 v1, 16, v1
	s_delay_alu instid0(VALU_DEP_1)
	v_cndmask_b32_e32 v1, 0x7fc0, v1, vcc_lo
	global_store_b16 v[2:3], v1, off
.LBB159_489:
	s_mov_b32 s51, 0
.LBB159_490:
	s_delay_alu instid0(SALU_CYCLE_1)
	s_and_b32 vcc_lo, exec_lo, s51
	s_cbranch_vccz .LBB159_493
; %bb.491:
	s_cmp_eq_u32 s46, 11
	s_mov_b32 s0, -1
	s_cbranch_scc0 .LBB159_493
; %bb.492:
	v_cmp_neq_f32_e32 vcc_lo, 0, v4
	v_cmp_neq_f32_e64 s0, 0, v5
	s_mov_b32 s50, -1
	s_or_b32 s0, vcc_lo, s0
	s_wait_xcnt 0x0
	v_cndmask_b32_e64 v1, 0, 1, s0
	s_mov_b32 s0, 0
	global_store_b8 v[2:3], v1, off
.LBB159_493:
	s_mov_b32 s46, 0
.LBB159_494:
	s_delay_alu instid0(SALU_CYCLE_1)
	s_and_b32 vcc_lo, exec_lo, s46
	s_cbranch_vccz .LBB159_533
; %bb.495:
	s_and_b32 s37, 0xffff, s37
	s_mov_b32 s46, -1
	s_cmp_lt_i32 s37, 5
	s_cbranch_scc1 .LBB159_516
; %bb.496:
	s_cmp_lt_i32 s37, 8
	s_cbranch_scc1 .LBB159_506
; %bb.497:
	;; [unrolled: 3-line block ×3, first 2 shown]
	s_cmp_gt_i32 s37, 9
	s_cbranch_scc0 .LBB159_500
; %bb.499:
	s_wait_xcnt 0x0
	v_cvt_f64_f32_e32 v[6:7], v4
	v_cvt_f64_f32_e32 v[8:9], v5
	s_mov_b32 s46, 0
	global_store_b128 v[2:3], v[6:9], off
.LBB159_500:
	s_and_not1_b32 vcc_lo, exec_lo, s46
	s_cbranch_vccnz .LBB159_502
; %bb.501:
	global_store_b64 v[2:3], v[4:5], off
.LBB159_502:
	s_mov_b32 s46, 0
.LBB159_503:
	s_delay_alu instid0(SALU_CYCLE_1)
	s_and_not1_b32 vcc_lo, exec_lo, s46
	s_cbranch_vccnz .LBB159_505
; %bb.504:
	s_wait_xcnt 0x0
	v_cvt_f16_f32_e32 v1, v5
	v_cvt_f16_f32_e32 v5, v4
	s_delay_alu instid0(VALU_DEP_2) | instskip(NEXT) | instid1(VALU_DEP_2)
	v_lshlrev_b32_e32 v1, 16, v1
	v_and_b32_e32 v5, 0xffff, v5
	s_delay_alu instid0(VALU_DEP_1)
	v_or_b32_e32 v1, v1, v5
	global_store_b32 v[2:3], v1, off
.LBB159_505:
	s_mov_b32 s46, 0
.LBB159_506:
	s_delay_alu instid0(SALU_CYCLE_1)
	s_and_not1_b32 vcc_lo, exec_lo, s46
	s_cbranch_vccnz .LBB159_515
; %bb.507:
	s_cmp_lt_i32 s37, 6
	s_mov_b32 s46, -1
	s_cbranch_scc1 .LBB159_513
; %bb.508:
	s_cmp_gt_i32 s37, 6
	s_cbranch_scc0 .LBB159_510
; %bb.509:
	s_wait_xcnt 0x0
	v_cvt_f64_f32_e32 v[6:7], v4
	s_mov_b32 s46, 0
	global_store_b64 v[2:3], v[6:7], off
.LBB159_510:
	s_and_not1_b32 vcc_lo, exec_lo, s46
	s_cbranch_vccnz .LBB159_512
; %bb.511:
	global_store_b32 v[2:3], v4, off
.LBB159_512:
	s_mov_b32 s46, 0
.LBB159_513:
	s_delay_alu instid0(SALU_CYCLE_1)
	s_and_not1_b32 vcc_lo, exec_lo, s46
	s_cbranch_vccnz .LBB159_515
; %bb.514:
	s_wait_xcnt 0x0
	v_cvt_f16_f32_e32 v1, v4
	global_store_b16 v[2:3], v1, off
.LBB159_515:
	s_mov_b32 s46, 0
.LBB159_516:
	s_delay_alu instid0(SALU_CYCLE_1)
	s_and_not1_b32 vcc_lo, exec_lo, s46
	s_cbranch_vccnz .LBB159_532
; %bb.517:
	s_cmp_lt_i32 s37, 2
	s_mov_b32 s46, -1
	s_cbranch_scc1 .LBB159_527
; %bb.518:
	s_cmp_lt_i32 s37, 3
	s_cbranch_scc1 .LBB159_524
; %bb.519:
	s_cmp_gt_i32 s37, 3
	s_cbranch_scc0 .LBB159_521
; %bb.520:
	s_wait_xcnt 0x0
	v_trunc_f32_e32 v1, v4
	s_mov_b32 s46, 0
	s_delay_alu instid0(VALU_DEP_1) | instskip(SKIP_1) | instid1(VALU_DEP_2)
	v_mul_f32_e64 v5, 0x2f800000, |v1|
	v_ashrrev_i32_e32 v6, 31, v1
	v_floor_f32_e32 v5, v5
	s_delay_alu instid0(VALU_DEP_1) | instskip(SKIP_1) | instid1(VALU_DEP_2)
	v_fma_f32 v7, 0xcf800000, v5, |v1|
	v_cvt_u32_f32_e32 v1, v5
	v_cvt_u32_f32_e32 v5, v7
	s_delay_alu instid0(VALU_DEP_2) | instskip(NEXT) | instid1(VALU_DEP_2)
	v_dual_mov_b32 v7, v6 :: v_dual_bitop2_b32 v9, v1, v6 bitop3:0x14
	v_xor_b32_e32 v8, v5, v6
	s_delay_alu instid0(VALU_DEP_1)
	v_sub_nc_u64_e32 v[6:7], v[8:9], v[6:7]
	global_store_b64 v[2:3], v[6:7], off
.LBB159_521:
	s_and_not1_b32 vcc_lo, exec_lo, s46
	s_cbranch_vccnz .LBB159_523
; %bb.522:
	s_wait_xcnt 0x0
	v_cvt_i32_f32_e32 v1, v4
	global_store_b32 v[2:3], v1, off
.LBB159_523:
	s_mov_b32 s46, 0
.LBB159_524:
	s_delay_alu instid0(SALU_CYCLE_1)
	s_and_not1_b32 vcc_lo, exec_lo, s46
	s_cbranch_vccnz .LBB159_526
; %bb.525:
	s_wait_xcnt 0x0
	v_cvt_i32_f32_e32 v1, v4
	global_store_b16 v[2:3], v1, off
.LBB159_526:
	s_mov_b32 s46, 0
.LBB159_527:
	s_delay_alu instid0(SALU_CYCLE_1)
	s_and_not1_b32 vcc_lo, exec_lo, s46
	s_cbranch_vccnz .LBB159_532
; %bb.528:
	s_cmp_gt_i32 s37, 0
	s_mov_b32 s37, -1
	s_cbranch_scc0 .LBB159_530
; %bb.529:
	s_wait_xcnt 0x0
	v_cvt_i32_f32_e32 v1, v4
	s_mov_b32 s37, 0
	global_store_b8 v[2:3], v1, off
.LBB159_530:
	s_and_not1_b32 vcc_lo, exec_lo, s37
	s_cbranch_vccnz .LBB159_532
; %bb.531:
	s_wait_xcnt 0x0
	v_trunc_f32_e32 v1, v4
	s_delay_alu instid0(VALU_DEP_1) | instskip(NEXT) | instid1(VALU_DEP_1)
	v_mul_f32_e64 v4, 0x2f800000, |v1|
	v_floor_f32_e32 v4, v4
	s_delay_alu instid0(VALU_DEP_1) | instskip(SKIP_1) | instid1(VALU_DEP_2)
	v_fma_f32 v4, 0xcf800000, v4, |v1|
	v_ashrrev_i32_e32 v1, 31, v1
	v_cvt_u32_f32_e32 v4, v4
	s_delay_alu instid0(VALU_DEP_1) | instskip(NEXT) | instid1(VALU_DEP_1)
	v_xor_b32_e32 v4, v4, v1
	v_sub_nc_u32_e32 v1, v4, v1
	global_store_b8 v[2:3], v1, off
.LBB159_532:
	s_mov_b32 s50, -1
.LBB159_533:
	s_delay_alu instid0(SALU_CYCLE_1)
	s_and_not1_b32 vcc_lo, exec_lo, s50
	s_cbranch_vccnz .LBB159_535
; %bb.534:
	v_add_nc_u32_e32 v0, 0x80, v0
	s_mov_b32 s37, -1
	s_branch .LBB159_536
.LBB159_535:
	s_mov_b32 s37, 0
                                        ; implicit-def: $vgpr0
.LBB159_536:
	s_and_b32 s46, s0, exec_lo
	s_and_b32 s50, s36, exec_lo
	;; [unrolled: 1-line block ×4, first 2 shown]
	s_or_not1_b32 s36, s37, exec_lo
.LBB159_537:
	s_wait_xcnt 0x0
	s_or_b32 exec_lo, exec_lo, s53
	s_mov_b32 s23, 0
	s_mov_b32 s22, 0
                                        ; implicit-def: $sgpr0
                                        ; implicit-def: $vgpr12_vgpr13
                                        ; implicit-def: $vgpr2
                                        ; implicit-def: $vgpr8
                                        ; implicit-def: $vgpr10
                                        ; implicit-def: $vgpr6
                                        ; implicit-def: $vgpr4
	s_and_saveexec_b32 s53, s36
	s_cbranch_execnz .LBB159_541
; %bb.538:
	s_or_b32 exec_lo, exec_lo, s53
	s_mov_b32 s1, 0
	s_and_saveexec_b32 s6, s52
	s_cbranch_execnz .LBB159_1726
.LBB159_539:
	s_or_b32 exec_lo, exec_lo, s6
	s_and_saveexec_b32 s6, s31
	s_delay_alu instid0(SALU_CYCLE_1)
	s_xor_b32 s6, exec_lo, s6
	s_cbranch_execnz .LBB159_1727
.LBB159_540:
	s_or_b32 exec_lo, exec_lo, s6
	s_and_saveexec_b32 s6, s23
	s_cbranch_execnz .LBB159_1728
	s_branch .LBB159_1775
.LBB159_541:
	s_mov_b32 s37, -1
	s_mov_b32 s54, s52
	s_mov_b32 s57, s51
	;; [unrolled: 1-line block ×4, first 2 shown]
	s_mov_b32 s58, exec_lo
	v_cmpx_gt_i32_e64 s48, v0
	s_cbranch_execz .LBB159_1084
; %bb.542:
	s_and_not1_b32 vcc_lo, exec_lo, s40
	s_cbranch_vccnz .LBB159_548
; %bb.543:
	s_and_not1_b32 vcc_lo, exec_lo, s49
	s_cbranch_vccnz .LBB159_549
; %bb.544:
	s_wait_loadcnt 0x0
	v_dual_mov_b32 v10, 0 :: v_dual_mov_b32 v1, v0
	v_dual_mov_b32 v8, 0 :: v_dual_mov_b32 v2, 0
	v_mov_b32_e32 v4, 0
	s_add_co_i32 s0, s47, 1
	s_mov_b64 s[22:23], 0xffffffffffffffe0
	s_and_b32 s0, s0, 30
	s_add_nc_u64 s[22:23], s[2:3], s[22:23]
	s_mov_b64 s[36:37], s[2:3]
.LBB159_545:                            ; =>This Inner Loop Header: Depth=1
	s_clause 0x1
	s_load_b128 s[68:71], s[36:37], 0x4
	s_load_b64 s[54:55], s[36:37], 0x14
	s_load_b256 s[60:67], s[22:23], 0xe4
	s_add_co_i32 s0, s0, -2
	s_wait_xcnt 0x0
	s_add_nc_u64 s[36:37], s[36:37], 24
	s_cmp_eq_u32 s0, 0
	s_add_nc_u64 s[22:23], s[22:23], 32
	s_wait_kmcnt 0x0
	v_mul_hi_u32 v3, s69, v1
	s_delay_alu instid0(VALU_DEP_1) | instskip(NEXT) | instid1(VALU_DEP_1)
	v_add_nc_u32_e32 v3, v1, v3
	v_lshrrev_b32_e32 v3, s70, v3
	s_delay_alu instid0(VALU_DEP_1) | instskip(SKIP_1) | instid1(VALU_DEP_1)
	v_mul_hi_u32 v5, s54, v3
	v_mul_lo_u32 v6, v3, s68
	v_dual_add_nc_u32 v5, v3, v5 :: v_dual_sub_nc_u32 v6, v1, v6
	s_delay_alu instid0(VALU_DEP_1) | instskip(NEXT) | instid1(VALU_DEP_2)
	v_lshrrev_b32_e32 v1, s55, v5
	v_mad_u32 v4, v6, s61, v4
	v_mad_u32 v2, v6, s60, v2
	v_mad_u32 v7, v6, s63, v8
	v_mad_u32 v6, v6, s62, v10
	v_mul_lo_u32 v5, v1, s71
	s_delay_alu instid0(VALU_DEP_1) | instskip(NEXT) | instid1(VALU_DEP_1)
	v_sub_nc_u32_e32 v3, v3, v5
	v_mad_u32 v4, v3, s65, v4
	v_mad_u32 v2, v3, s64, v2
	v_mad_u32 v8, v3, s67, v7
	v_mad_u32 v10, v3, s66, v6
	s_cbranch_scc0 .LBB159_545
; %bb.546:
	s_bitcmp1_b32 s47, 0
	s_cselect_b32 s0, -1, 0
	s_delay_alu instid0(SALU_CYCLE_1)
	s_and_b32 vcc_lo, exec_lo, s0
	s_cbranch_vccnz .LBB159_550
; %bb.547:
	s_load_b96 s[64:66], s[36:37], 0x4
	s_load_b128 s[60:63], s[22:23], 0xe4
	s_wait_kmcnt 0x0
	v_mul_hi_u32 v3, s65, v1
	s_delay_alu instid0(VALU_DEP_1) | instskip(NEXT) | instid1(VALU_DEP_1)
	v_add_nc_u32_e32 v3, v1, v3
	v_lshrrev_b32_e32 v3, s66, v3
	s_delay_alu instid0(VALU_DEP_1) | instskip(NEXT) | instid1(VALU_DEP_1)
	v_mul_lo_u32 v3, v3, s64
	v_sub_nc_u32_e32 v1, v1, v3
	s_delay_alu instid0(VALU_DEP_1)
	v_mad_u32 v2, v1, s60, v2
	v_mad_u32 v4, v1, s61, v4
	;; [unrolled: 1-line block ×4, first 2 shown]
	s_branch .LBB159_550
.LBB159_548:
                                        ; implicit-def: $vgpr4
                                        ; implicit-def: $vgpr2
                                        ; implicit-def: $vgpr8
                                        ; implicit-def: $vgpr10
	s_branch .LBB159_551
.LBB159_549:
	s_wait_loadcnt 0x0
	v_dual_mov_b32 v4, 0 :: v_dual_mov_b32 v2, 0
	v_dual_mov_b32 v8, 0 :: v_dual_mov_b32 v10, 0
.LBB159_550:
	s_cbranch_execnz .LBB159_553
.LBB159_551:
	v_mov_b32_e32 v1, 0
	s_and_not1_b32 vcc_lo, exec_lo, s45
	s_delay_alu instid0(VALU_DEP_1) | instskip(NEXT) | instid1(VALU_DEP_1)
	v_mul_u64_e32 v[2:3], s[30:31], v[0:1]
	v_add_nc_u32_e32 v2, v0, v3
	s_delay_alu instid0(VALU_DEP_1) | instskip(NEXT) | instid1(VALU_DEP_1)
	v_lshrrev_b32_e32 v6, s26, v2
	v_mul_lo_u32 v2, v6, s24
	s_delay_alu instid0(VALU_DEP_1) | instskip(SKIP_1) | instid1(VALU_DEP_1)
	v_sub_nc_u32_e32 v3, v0, v2
	s_wait_loadcnt 0x0
	v_mul_lo_u32 v4, v3, s13
	v_mul_lo_u32 v2, v3, s12
	;; [unrolled: 1-line block ×4, first 2 shown]
	s_cbranch_vccnz .LBB159_553
; %bb.552:
	v_mov_b32_e32 v7, v1
	s_delay_alu instid0(VALU_DEP_1) | instskip(NEXT) | instid1(VALU_DEP_1)
	v_mul_u64_e32 v[12:13], s[34:35], v[6:7]
	v_add_nc_u32_e32 v1, v6, v13
	s_delay_alu instid0(VALU_DEP_1) | instskip(NEXT) | instid1(VALU_DEP_1)
	v_lshrrev_b32_e32 v1, s1, v1
	v_mul_lo_u32 v1, v1, s27
	s_delay_alu instid0(VALU_DEP_1) | instskip(NEXT) | instid1(VALU_DEP_1)
	v_sub_nc_u32_e32 v1, v6, v1
	v_mad_u32 v2, v1, s16, v2
	v_mad_u32 v4, v1, s17, v4
	;; [unrolled: 1-line block ×4, first 2 shown]
.LBB159_553:
	v_mov_b32_e32 v5, 0
	s_and_b32 s0, s44, 0xff
	s_delay_alu instid0(SALU_CYCLE_1) | instskip(SKIP_1) | instid1(VALU_DEP_1)
	s_cmp_lt_i32 s0, 11
	s_wait_loadcnt 0x0
	v_add_nc_u64_e32 v[12:13], s[6:7], v[4:5]
	s_cbranch_scc1 .LBB159_560
; %bb.554:
	s_and_b32 s23, 0xffff, s0
	s_delay_alu instid0(SALU_CYCLE_1)
	s_cmp_gt_i32 s23, 25
	s_cbranch_scc0 .LBB159_569
; %bb.555:
	s_cmp_gt_i32 s23, 28
	s_cbranch_scc0 .LBB159_571
; %bb.556:
	;; [unrolled: 3-line block ×4, first 2 shown]
	s_cmp_eq_u32 s23, 46
	s_mov_b32 s37, 0
	s_cbranch_scc0 .LBB159_577
; %bb.559:
	global_load_b32 v1, v[12:13], off
	s_mov_b32 s36, -1
	s_mov_b32 s22, 0
	s_wait_loadcnt 0x0
	v_and_b32_e32 v6, 0xffff0000, v1
	v_lshlrev_b32_e32 v4, 16, v1
	s_branch .LBB159_579
.LBB159_560:
	s_mov_b32 s36, 0
	s_mov_b32 s22, s52
                                        ; implicit-def: $vgpr6
                                        ; implicit-def: $vgpr4
	s_cbranch_execnz .LBB159_644
.LBB159_561:
	s_and_not1_b32 vcc_lo, exec_lo, s36
	s_cbranch_vccnz .LBB159_694
.LBB159_562:
	v_mov_b32_e32 v11, 0
	s_and_b32 s0, s43, 0xff
	s_delay_alu instid0(SALU_CYCLE_1) | instskip(SKIP_1) | instid1(VALU_DEP_1)
	s_cmp_lt_i32 s0, 11
	s_wait_xcnt 0x0
	v_add_nc_u64_e32 v[12:13], s[8:9], v[10:11]
	s_cbranch_scc1 .LBB159_570
; %bb.563:
	s_and_b32 s36, 0xffff, s0
	s_delay_alu instid0(SALU_CYCLE_1)
	s_cmp_gt_i32 s36, 25
	s_cbranch_scc0 .LBB159_572
; %bb.564:
	s_cmp_gt_i32 s36, 28
	s_cbranch_scc0 .LBB159_574
; %bb.565:
	;; [unrolled: 3-line block ×4, first 2 shown]
	s_cmp_eq_u32 s36, 46
	s_mov_b32 s54, 0
	s_cbranch_scc0 .LBB159_699
; %bb.568:
	global_load_b32 v1, v[12:13], off
	s_mov_b32 s37, -1
	s_mov_b32 s23, 0
	s_wait_loadcnt 0x0
	v_and_b32_e32 v11, 0xffff0000, v1
	v_lshlrev_b32_e32 v10, 16, v1
	s_branch .LBB159_701
.LBB159_569:
	s_mov_b32 s37, -1
	s_mov_b32 s36, 0
	s_mov_b32 s22, s52
                                        ; implicit-def: $vgpr6
                                        ; implicit-def: $vgpr4
	s_branch .LBB159_609
.LBB159_570:
	s_mov_b32 s36, -1
	s_mov_b32 s37, 0
	s_mov_b32 s23, s51
                                        ; implicit-def: $vgpr11
	s_branch .LBB159_765
.LBB159_571:
	s_mov_b32 s37, -1
	s_mov_b32 s36, 0
	s_mov_b32 s22, s52
                                        ; implicit-def: $vgpr6
                                        ; implicit-def: $vgpr4
	s_branch .LBB159_592
.LBB159_572:
	s_mov_b32 s54, -1
	s_mov_b32 s37, 0
	s_mov_b32 s23, s51
                                        ; implicit-def: $vgpr11
	s_branch .LBB159_730
.LBB159_573:
	s_mov_b32 s37, -1
	s_mov_b32 s36, 0
	s_mov_b32 s22, s52
                                        ; implicit-def: $vgpr6
                                        ; implicit-def: $vgpr4
	s_branch .LBB159_586
.LBB159_574:
	s_mov_b32 s54, -1
	s_mov_b32 s37, 0
	s_mov_b32 s23, s51
                                        ; implicit-def: $vgpr11
	s_branch .LBB159_713
.LBB159_575:
	s_mov_b32 s37, -1
	s_mov_b32 s36, 0
	s_mov_b32 s22, s52
	s_branch .LBB159_578
.LBB159_576:
	s_mov_b32 s54, -1
	s_mov_b32 s37, 0
	s_mov_b32 s23, s51
                                        ; implicit-def: $vgpr11
	s_branch .LBB159_707
.LBB159_577:
	s_mov_b32 s22, -1
	s_mov_b32 s36, 0
.LBB159_578:
                                        ; implicit-def: $vgpr6
                                        ; implicit-def: $vgpr4
.LBB159_579:
	s_and_b32 vcc_lo, exec_lo, s37
	s_cbranch_vccz .LBB159_585
; %bb.580:
	s_cmp_eq_u32 s23, 44
	s_cbranch_scc0 .LBB159_583
; %bb.581:
	global_load_u8 v1, v[12:13], off
	s_mov_b32 s22, 0
	s_mov_b32 s36, -1
	s_wait_loadcnt 0x0
	v_lshlrev_b32_e32 v3, 23, v1
	v_cmp_ne_u32_e32 vcc_lo, 0xff, v1
	s_delay_alu instid0(VALU_DEP_2) | instskip(SKIP_1) | instid1(VALU_DEP_2)
	v_cndmask_b32_e32 v3, 0x7f800001, v3, vcc_lo
	v_cmp_ne_u32_e32 vcc_lo, 0, v1
	v_cndmask_b32_e32 v4, 0x400000, v3, vcc_lo
	s_branch .LBB159_584
.LBB159_582:
	s_mov_b32 s54, -1
	s_mov_b32 s37, 0
	s_mov_b32 s23, s51
	s_branch .LBB159_700
.LBB159_583:
	s_mov_b32 s22, -1
                                        ; implicit-def: $vgpr4
.LBB159_584:
	v_mov_b32_e32 v6, 0
.LBB159_585:
	s_mov_b32 s37, 0
.LBB159_586:
	s_delay_alu instid0(SALU_CYCLE_1)
	s_and_b32 vcc_lo, exec_lo, s37
	s_cbranch_vccz .LBB159_591
; %bb.587:
	s_cmp_eq_u32 s23, 29
	s_cbranch_scc0 .LBB159_589
; %bb.588:
	global_load_b64 v[4:5], v[12:13], off
	s_mov_b32 s36, -1
	s_mov_b32 s22, 0
	s_wait_loadcnt 0x0
	v_clz_i32_u32_e32 v1, v5
	s_delay_alu instid0(VALU_DEP_1) | instskip(NEXT) | instid1(VALU_DEP_1)
	v_min_u32_e32 v1, 32, v1
	v_lshlrev_b64_e32 v[4:5], v1, v[4:5]
	v_sub_nc_u32_e32 v1, 32, v1
	s_delay_alu instid0(VALU_DEP_2) | instskip(NEXT) | instid1(VALU_DEP_1)
	v_min_u32_e32 v3, 1, v4
	v_or_b32_e32 v3, v5, v3
	s_delay_alu instid0(VALU_DEP_1) | instskip(NEXT) | instid1(VALU_DEP_1)
	v_cvt_f32_u32_e32 v3, v3
	v_ldexp_f32 v4, v3, v1
	s_branch .LBB159_590
.LBB159_589:
	s_mov_b32 s22, -1
                                        ; implicit-def: $vgpr4
.LBB159_590:
	v_mov_b32_e32 v6, 0
.LBB159_591:
	s_mov_b32 s37, 0
.LBB159_592:
	s_delay_alu instid0(SALU_CYCLE_1)
	s_and_b32 vcc_lo, exec_lo, s37
	s_cbranch_vccz .LBB159_608
; %bb.593:
	s_cmp_lt_i32 s23, 27
	s_cbranch_scc1 .LBB159_596
; %bb.594:
	s_cmp_gt_i32 s23, 27
	s_cbranch_scc0 .LBB159_597
; %bb.595:
	global_load_b32 v1, v[12:13], off
	s_mov_b32 s36, 0
	s_wait_loadcnt 0x0
	v_cvt_f32_u32_e32 v4, v1
	s_branch .LBB159_598
.LBB159_596:
	s_mov_b32 s36, -1
                                        ; implicit-def: $vgpr4
	s_branch .LBB159_601
.LBB159_597:
	s_mov_b32 s36, -1
                                        ; implicit-def: $vgpr4
.LBB159_598:
	s_delay_alu instid0(SALU_CYCLE_1)
	s_and_not1_b32 vcc_lo, exec_lo, s36
	s_cbranch_vccnz .LBB159_600
; %bb.599:
	global_load_u16 v1, v[12:13], off
	s_wait_loadcnt 0x0
	v_cvt_f32_u32_e32 v4, v1
.LBB159_600:
	s_mov_b32 s36, 0
.LBB159_601:
	s_delay_alu instid0(SALU_CYCLE_1)
	s_and_not1_b32 vcc_lo, exec_lo, s36
	s_cbranch_vccnz .LBB159_607
; %bb.602:
	global_load_u8 v1, v[12:13], off
	s_mov_b32 s36, 0
	s_mov_b32 s37, exec_lo
	s_wait_loadcnt 0x0
	v_cmpx_lt_i16_e32 0x7f, v1
	s_xor_b32 s37, exec_lo, s37
	s_cbranch_execnz .LBB159_620
; %bb.603:
	s_or_saveexec_b32 s37, s37
	v_mov_b32_e32 v4, 0x7f800001
	s_xor_b32 exec_lo, exec_lo, s37
	s_cbranch_execnz .LBB159_623
.LBB159_604:
	s_or_b32 exec_lo, exec_lo, s37
	s_and_saveexec_b32 s37, s36
	s_cbranch_execz .LBB159_606
.LBB159_605:
	v_and_b32_e32 v3, 0xffff, v1
	s_delay_alu instid0(VALU_DEP_1) | instskip(SKIP_1) | instid1(VALU_DEP_2)
	v_and_b32_e32 v4, 7, v3
	v_bfe_u32 v7, v3, 3, 4
	v_clz_i32_u32_e32 v5, v4
	s_delay_alu instid0(VALU_DEP_2) | instskip(NEXT) | instid1(VALU_DEP_2)
	v_cmp_eq_u32_e32 vcc_lo, 0, v7
	v_min_u32_e32 v5, 32, v5
	s_delay_alu instid0(VALU_DEP_1) | instskip(NEXT) | instid1(VALU_DEP_1)
	v_subrev_nc_u32_e32 v6, 28, v5
	v_dual_lshlrev_b32 v3, v6, v3 :: v_dual_sub_nc_u32 v5, 29, v5
	s_delay_alu instid0(VALU_DEP_1) | instskip(NEXT) | instid1(VALU_DEP_1)
	v_dual_lshlrev_b32 v1, 24, v1 :: v_dual_bitop2_b32 v3, 7, v3 bitop3:0x40
	v_dual_cndmask_b32 v3, v4, v3, vcc_lo :: v_dual_cndmask_b32 v5, v7, v5, vcc_lo
	s_delay_alu instid0(VALU_DEP_2) | instskip(NEXT) | instid1(VALU_DEP_2)
	v_and_b32_e32 v1, 0x80000000, v1
	v_lshlrev_b32_e32 v3, 20, v3
	s_delay_alu instid0(VALU_DEP_3) | instskip(NEXT) | instid1(VALU_DEP_1)
	v_lshl_add_u32 v4, v5, 23, 0x3b800000
	v_or3_b32 v4, v1, v4, v3
.LBB159_606:
	s_or_b32 exec_lo, exec_lo, s37
.LBB159_607:
	v_mov_b32_e32 v6, 0
	s_mov_b32 s36, -1
.LBB159_608:
	s_mov_b32 s37, 0
.LBB159_609:
	s_delay_alu instid0(SALU_CYCLE_1)
	s_and_b32 vcc_lo, exec_lo, s37
	s_cbranch_vccz .LBB159_643
; %bb.610:
	s_cmp_gt_i32 s23, 22
	s_cbranch_scc0 .LBB159_618
; %bb.611:
	s_cmp_lt_i32 s23, 24
	s_cbranch_scc1 .LBB159_619
; %bb.612:
	s_cmp_gt_i32 s23, 24
	s_cbranch_scc0 .LBB159_624
; %bb.613:
	global_load_u8 v1, v[12:13], off
	s_mov_b32 s36, 0
	s_mov_b32 s37, exec_lo
	s_wait_loadcnt 0x0
	v_cmpx_lt_i16_e32 0x7f, v1
	s_xor_b32 s37, exec_lo, s37
	s_cbranch_execnz .LBB159_695
; %bb.614:
	s_or_saveexec_b32 s37, s37
	v_mov_b32_e32 v4, 0x7f800001
	s_xor_b32 exec_lo, exec_lo, s37
	s_cbranch_execnz .LBB159_698
.LBB159_615:
	s_or_b32 exec_lo, exec_lo, s37
	s_and_saveexec_b32 s37, s36
	s_cbranch_execz .LBB159_617
.LBB159_616:
	v_and_b32_e32 v3, 0xffff, v1
	s_delay_alu instid0(VALU_DEP_1) | instskip(SKIP_1) | instid1(VALU_DEP_2)
	v_and_b32_e32 v4, 3, v3
	v_bfe_u32 v7, v3, 2, 5
	v_clz_i32_u32_e32 v5, v4
	s_delay_alu instid0(VALU_DEP_2) | instskip(NEXT) | instid1(VALU_DEP_2)
	v_cmp_eq_u32_e32 vcc_lo, 0, v7
	v_min_u32_e32 v5, 32, v5
	s_delay_alu instid0(VALU_DEP_1) | instskip(NEXT) | instid1(VALU_DEP_1)
	v_subrev_nc_u32_e32 v6, 29, v5
	v_dual_lshlrev_b32 v3, v6, v3 :: v_dual_sub_nc_u32 v5, 30, v5
	s_delay_alu instid0(VALU_DEP_1) | instskip(NEXT) | instid1(VALU_DEP_1)
	v_dual_lshlrev_b32 v1, 24, v1 :: v_dual_bitop2_b32 v3, 3, v3 bitop3:0x40
	v_dual_cndmask_b32 v3, v4, v3, vcc_lo :: v_dual_cndmask_b32 v5, v7, v5, vcc_lo
	s_delay_alu instid0(VALU_DEP_2) | instskip(NEXT) | instid1(VALU_DEP_2)
	v_and_b32_e32 v1, 0x80000000, v1
	v_lshlrev_b32_e32 v3, 21, v3
	s_delay_alu instid0(VALU_DEP_3) | instskip(NEXT) | instid1(VALU_DEP_1)
	v_lshl_add_u32 v4, v5, 23, 0x37800000
	v_or3_b32 v4, v1, v4, v3
.LBB159_617:
	s_or_b32 exec_lo, exec_lo, s37
	s_mov_b32 s36, 0
	s_branch .LBB159_625
.LBB159_618:
	s_mov_b32 s37, -1
                                        ; implicit-def: $vgpr4
	s_branch .LBB159_631
.LBB159_619:
	s_mov_b32 s36, -1
                                        ; implicit-def: $vgpr4
	s_branch .LBB159_628
.LBB159_620:
	s_mov_b32 s36, -1
	s_mov_b32 s54, exec_lo
	v_cmpx_eq_u16_e32 0x80, v1
; %bb.621:
	s_xor_b32 s36, exec_lo, -1
; %bb.622:
	s_or_b32 exec_lo, exec_lo, s54
	s_delay_alu instid0(SALU_CYCLE_1)
	s_and_b32 s36, s36, exec_lo
	s_or_saveexec_b32 s37, s37
	v_mov_b32_e32 v4, 0x7f800001
	s_xor_b32 exec_lo, exec_lo, s37
	s_cbranch_execz .LBB159_604
.LBB159_623:
	v_cmp_ne_u16_e32 vcc_lo, 0, v1
	v_mov_b32_e32 v4, 0
	s_and_not1_b32 s36, s36, exec_lo
	s_and_b32 s54, vcc_lo, exec_lo
	s_delay_alu instid0(SALU_CYCLE_1)
	s_or_b32 s36, s36, s54
	s_or_b32 exec_lo, exec_lo, s37
	s_and_saveexec_b32 s37, s36
	s_cbranch_execnz .LBB159_605
	s_branch .LBB159_606
.LBB159_624:
	s_mov_b32 s36, -1
                                        ; implicit-def: $vgpr4
.LBB159_625:
	s_delay_alu instid0(SALU_CYCLE_1)
	s_and_b32 vcc_lo, exec_lo, s36
	s_cbranch_vccz .LBB159_627
; %bb.626:
	global_load_u8 v1, v[12:13], off
	s_wait_loadcnt 0x0
	v_lshlrev_b32_e32 v1, 24, v1
	s_delay_alu instid0(VALU_DEP_1) | instskip(NEXT) | instid1(VALU_DEP_1)
	v_and_b32_e32 v3, 0x7f000000, v1
	v_clz_i32_u32_e32 v4, v3
	v_cmp_ne_u32_e32 vcc_lo, 0, v3
	v_add_nc_u32_e32 v6, 0x1000000, v3
	s_delay_alu instid0(VALU_DEP_3) | instskip(NEXT) | instid1(VALU_DEP_1)
	v_min_u32_e32 v4, 32, v4
	v_sub_nc_u32_e64 v4, v4, 4 clamp
	s_delay_alu instid0(VALU_DEP_1) | instskip(NEXT) | instid1(VALU_DEP_1)
	v_dual_lshlrev_b32 v5, v4, v3 :: v_dual_lshlrev_b32 v4, 23, v4
	v_lshrrev_b32_e32 v5, 4, v5
	s_delay_alu instid0(VALU_DEP_1) | instskip(NEXT) | instid1(VALU_DEP_1)
	v_dual_sub_nc_u32 v4, v5, v4 :: v_dual_ashrrev_i32 v5, 8, v6
	v_add_nc_u32_e32 v4, 0x3c000000, v4
	s_delay_alu instid0(VALU_DEP_1) | instskip(NEXT) | instid1(VALU_DEP_1)
	v_and_or_b32 v4, 0x7f800000, v5, v4
	v_cndmask_b32_e32 v3, 0, v4, vcc_lo
	s_delay_alu instid0(VALU_DEP_1)
	v_and_or_b32 v4, 0x80000000, v1, v3
.LBB159_627:
	s_mov_b32 s36, 0
.LBB159_628:
	s_delay_alu instid0(SALU_CYCLE_1)
	s_and_not1_b32 vcc_lo, exec_lo, s36
	s_cbranch_vccnz .LBB159_630
; %bb.629:
	global_load_u8 v1, v[12:13], off
	s_wait_loadcnt 0x0
	v_lshlrev_b32_e32 v3, 25, v1
	v_lshlrev_b16 v1, 8, v1
	s_delay_alu instid0(VALU_DEP_1) | instskip(NEXT) | instid1(VALU_DEP_3)
	v_and_or_b32 v5, 0x7f00, v1, 0.5
	v_lshrrev_b32_e32 v4, 4, v3
	v_bfe_i32 v1, v1, 0, 16
	s_delay_alu instid0(VALU_DEP_3) | instskip(NEXT) | instid1(VALU_DEP_3)
	v_add_f32_e32 v5, -0.5, v5
	v_or_b32_e32 v4, 0x70000000, v4
	s_delay_alu instid0(VALU_DEP_1) | instskip(SKIP_1) | instid1(VALU_DEP_2)
	v_mul_f32_e32 v4, 0x7800000, v4
	v_cmp_gt_u32_e32 vcc_lo, 0x8000000, v3
	v_cndmask_b32_e32 v3, v4, v5, vcc_lo
	s_delay_alu instid0(VALU_DEP_1)
	v_and_or_b32 v4, 0x80000000, v1, v3
.LBB159_630:
	s_mov_b32 s37, 0
	s_mov_b32 s36, -1
.LBB159_631:
	s_and_not1_b32 vcc_lo, exec_lo, s37
	s_cbranch_vccnz .LBB159_642
; %bb.632:
	s_cmp_gt_i32 s23, 14
	s_cbranch_scc0 .LBB159_635
; %bb.633:
	s_cmp_eq_u32 s23, 15
	s_cbranch_scc0 .LBB159_636
; %bb.634:
	global_load_u16 v1, v[12:13], off
	s_mov_b32 s36, -1
	s_mov_b32 s22, 0
	s_wait_loadcnt 0x0
	v_lshlrev_b32_e32 v4, 16, v1
	s_branch .LBB159_637
.LBB159_635:
	s_mov_b32 s37, -1
                                        ; implicit-def: $vgpr4
	s_branch .LBB159_638
.LBB159_636:
	s_mov_b32 s22, -1
                                        ; implicit-def: $vgpr4
.LBB159_637:
	s_mov_b32 s37, 0
.LBB159_638:
	s_delay_alu instid0(SALU_CYCLE_1)
	s_and_b32 vcc_lo, exec_lo, s37
	s_cbranch_vccz .LBB159_642
; %bb.639:
	s_cmp_eq_u32 s23, 11
	s_cbranch_scc0 .LBB159_641
; %bb.640:
	global_load_u8 v1, v[12:13], off
	s_mov_b32 s22, 0
	s_mov_b32 s36, -1
	v_mov_b32_e32 v6, 0
	s_wait_loadcnt 0x0
	v_cmp_ne_u16_e32 vcc_lo, 0, v1
	v_cndmask_b32_e64 v4, 0, 1.0, vcc_lo
	s_branch .LBB159_643
.LBB159_641:
	s_mov_b32 s22, -1
                                        ; implicit-def: $vgpr4
.LBB159_642:
	v_mov_b32_e32 v6, 0
.LBB159_643:
	s_branch .LBB159_561
.LBB159_644:
	s_and_b32 s0, 0xffff, s0
	s_delay_alu instid0(SALU_CYCLE_1)
	s_cmp_lt_i32 s0, 5
	s_cbranch_scc1 .LBB159_649
; %bb.645:
	s_cmp_lt_i32 s0, 8
	s_cbranch_scc1 .LBB159_650
; %bb.646:
	;; [unrolled: 3-line block ×3, first 2 shown]
	s_cmp_gt_i32 s0, 9
	s_cbranch_scc0 .LBB159_652
; %bb.648:
	global_load_b128 v[4:7], v[12:13], off
	s_mov_b32 s23, 0
	s_wait_loadcnt 0x0
	v_cvt_f32_f64_e32 v4, v[4:5]
	v_cvt_f32_f64_e32 v6, v[6:7]
	s_branch .LBB159_653
.LBB159_649:
	s_mov_b32 s23, -1
                                        ; implicit-def: $vgpr6
                                        ; implicit-def: $vgpr4
	s_branch .LBB159_672
.LBB159_650:
	s_mov_b32 s23, -1
                                        ; implicit-def: $vgpr6
                                        ; implicit-def: $vgpr4
	s_branch .LBB159_659
.LBB159_651:
	s_mov_b32 s23, -1
                                        ; implicit-def: $vgpr6
                                        ; implicit-def: $vgpr4
	s_branch .LBB159_656
.LBB159_652:
	s_mov_b32 s23, -1
                                        ; implicit-def: $vgpr6
                                        ; implicit-def: $vgpr4
.LBB159_653:
	s_delay_alu instid0(SALU_CYCLE_1)
	s_and_not1_b32 vcc_lo, exec_lo, s23
	s_cbranch_vccnz .LBB159_655
; %bb.654:
	global_load_b64 v[4:5], v[12:13], off
	s_wait_loadcnt 0x0
	v_mov_b32_e32 v6, v5
.LBB159_655:
	s_mov_b32 s23, 0
.LBB159_656:
	s_delay_alu instid0(SALU_CYCLE_1)
	s_and_not1_b32 vcc_lo, exec_lo, s23
	s_cbranch_vccnz .LBB159_658
; %bb.657:
	global_load_b32 v1, v[12:13], off
	s_wait_loadcnt 0x0
	v_lshrrev_b32_e32 v3, 16, v1
	v_cvt_f32_f16_e32 v4, v1
	s_delay_alu instid0(VALU_DEP_2)
	v_cvt_f32_f16_e32 v6, v3
.LBB159_658:
	s_mov_b32 s23, 0
.LBB159_659:
	s_delay_alu instid0(SALU_CYCLE_1)
	s_and_not1_b32 vcc_lo, exec_lo, s23
	s_cbranch_vccnz .LBB159_671
; %bb.660:
	s_cmp_lt_i32 s0, 6
	s_cbranch_scc1 .LBB159_663
; %bb.661:
	s_cmp_gt_i32 s0, 6
	s_cbranch_scc0 .LBB159_664
; %bb.662:
	global_load_b64 v[4:5], v[12:13], off
	s_mov_b32 s23, 0
	s_wait_loadcnt 0x0
	v_cvt_f32_f64_e32 v4, v[4:5]
	s_branch .LBB159_665
.LBB159_663:
	s_mov_b32 s23, -1
                                        ; implicit-def: $vgpr4
	s_branch .LBB159_668
.LBB159_664:
	s_mov_b32 s23, -1
                                        ; implicit-def: $vgpr4
.LBB159_665:
	s_delay_alu instid0(SALU_CYCLE_1)
	s_and_not1_b32 vcc_lo, exec_lo, s23
	s_cbranch_vccnz .LBB159_667
; %bb.666:
	global_load_b32 v4, v[12:13], off
.LBB159_667:
	s_mov_b32 s23, 0
.LBB159_668:
	s_delay_alu instid0(SALU_CYCLE_1)
	s_and_not1_b32 vcc_lo, exec_lo, s23
	s_cbranch_vccnz .LBB159_670
; %bb.669:
	global_load_u16 v1, v[12:13], off
	s_wait_loadcnt 0x0
	v_cvt_f32_f16_e32 v4, v1
.LBB159_670:
	v_mov_b32_e32 v6, 0
.LBB159_671:
	s_mov_b32 s23, 0
.LBB159_672:
	s_delay_alu instid0(SALU_CYCLE_1)
	s_and_not1_b32 vcc_lo, exec_lo, s23
	s_cbranch_vccnz .LBB159_693
; %bb.673:
	s_cmp_lt_i32 s0, 2
	s_cbranch_scc1 .LBB159_677
; %bb.674:
	s_cmp_lt_i32 s0, 3
	s_cbranch_scc1 .LBB159_678
; %bb.675:
	s_cmp_gt_i32 s0, 3
	s_cbranch_scc0 .LBB159_679
; %bb.676:
	s_wait_loadcnt 0x0
	global_load_b64 v[4:5], v[12:13], off
	s_mov_b32 s23, 0
	s_wait_loadcnt 0x0
	v_xor_b32_e32 v1, v4, v5
	v_cls_i32_e32 v3, v5
	s_delay_alu instid0(VALU_DEP_2) | instskip(NEXT) | instid1(VALU_DEP_1)
	v_ashrrev_i32_e32 v1, 31, v1
	v_add_nc_u32_e32 v1, 32, v1
	s_delay_alu instid0(VALU_DEP_1) | instskip(NEXT) | instid1(VALU_DEP_1)
	v_add_min_u32_e64 v1, v3, -1, v1
	v_lshlrev_b64_e32 v[4:5], v1, v[4:5]
	v_sub_nc_u32_e32 v1, 32, v1
	s_delay_alu instid0(VALU_DEP_2) | instskip(NEXT) | instid1(VALU_DEP_1)
	v_min_u32_e32 v3, 1, v4
	v_or_b32_e32 v3, v5, v3
	s_delay_alu instid0(VALU_DEP_1) | instskip(NEXT) | instid1(VALU_DEP_1)
	v_cvt_f32_i32_e32 v3, v3
	v_ldexp_f32 v4, v3, v1
	s_branch .LBB159_680
.LBB159_677:
	s_mov_b32 s23, -1
                                        ; implicit-def: $vgpr4
	s_branch .LBB159_686
.LBB159_678:
	s_mov_b32 s23, -1
                                        ; implicit-def: $vgpr4
	s_branch .LBB159_683
.LBB159_679:
	s_mov_b32 s23, -1
                                        ; implicit-def: $vgpr4
.LBB159_680:
	s_delay_alu instid0(SALU_CYCLE_1)
	s_and_not1_b32 vcc_lo, exec_lo, s23
	s_cbranch_vccnz .LBB159_682
; %bb.681:
	global_load_b32 v1, v[12:13], off
	s_wait_loadcnt 0x0
	v_cvt_f32_i32_e32 v4, v1
.LBB159_682:
	s_mov_b32 s23, 0
.LBB159_683:
	s_delay_alu instid0(SALU_CYCLE_1)
	s_and_not1_b32 vcc_lo, exec_lo, s23
	s_cbranch_vccnz .LBB159_685
; %bb.684:
	global_load_i16 v1, v[12:13], off
	s_wait_loadcnt 0x0
	v_cvt_f32_i32_e32 v4, v1
.LBB159_685:
	s_mov_b32 s23, 0
.LBB159_686:
	s_delay_alu instid0(SALU_CYCLE_1)
	s_and_not1_b32 vcc_lo, exec_lo, s23
	s_cbranch_vccnz .LBB159_692
; %bb.687:
	s_cmp_gt_i32 s0, 0
	s_mov_b32 s0, 0
	s_cbranch_scc0 .LBB159_689
; %bb.688:
	global_load_i8 v1, v[12:13], off
	s_wait_loadcnt 0x0
	v_cvt_f32_i32_e32 v4, v1
	s_branch .LBB159_690
.LBB159_689:
	s_mov_b32 s0, -1
                                        ; implicit-def: $vgpr4
.LBB159_690:
	s_delay_alu instid0(SALU_CYCLE_1)
	s_and_not1_b32 vcc_lo, exec_lo, s0
	s_cbranch_vccnz .LBB159_692
; %bb.691:
	global_load_u8 v1, v[12:13], off
	s_wait_loadcnt 0x0
	v_cvt_f32_ubyte0_e32 v4, v1
.LBB159_692:
	v_mov_b32_e32 v6, 0
.LBB159_693:
	s_branch .LBB159_562
.LBB159_694:
	s_mov_b32 s37, 0
	s_mov_b32 s0, s46
	;; [unrolled: 1-line block ×4, first 2 shown]
	s_branch .LBB159_1082
.LBB159_695:
	s_mov_b32 s36, -1
	s_mov_b32 s54, exec_lo
	v_cmpx_eq_u16_e32 0x80, v1
; %bb.696:
	s_xor_b32 s36, exec_lo, -1
; %bb.697:
	s_or_b32 exec_lo, exec_lo, s54
	s_delay_alu instid0(SALU_CYCLE_1)
	s_and_b32 s36, s36, exec_lo
	s_or_saveexec_b32 s37, s37
	v_mov_b32_e32 v4, 0x7f800001
	s_xor_b32 exec_lo, exec_lo, s37
	s_cbranch_execz .LBB159_615
.LBB159_698:
	v_cmp_ne_u16_e32 vcc_lo, 0, v1
	v_mov_b32_e32 v4, 0
	s_and_not1_b32 s36, s36, exec_lo
	s_and_b32 s54, vcc_lo, exec_lo
	s_delay_alu instid0(SALU_CYCLE_1)
	s_or_b32 s36, s36, s54
	s_or_b32 exec_lo, exec_lo, s37
	s_and_saveexec_b32 s37, s36
	s_cbranch_execnz .LBB159_616
	s_branch .LBB159_617
.LBB159_699:
	s_mov_b32 s23, -1
	s_mov_b32 s37, 0
.LBB159_700:
                                        ; implicit-def: $vgpr11
.LBB159_701:
	s_and_b32 vcc_lo, exec_lo, s54
	s_cbranch_vccz .LBB159_706
; %bb.702:
	s_cmp_eq_u32 s36, 44
	s_cbranch_scc0 .LBB159_704
; %bb.703:
	global_load_u8 v1, v[12:13], off
	s_mov_b32 s23, 0
	s_mov_b32 s37, -1
	s_wait_loadcnt 0x0
	v_lshlrev_b32_e32 v3, 23, v1
	v_cmp_ne_u32_e32 vcc_lo, 0xff, v1
	s_delay_alu instid0(VALU_DEP_2) | instskip(SKIP_1) | instid1(VALU_DEP_2)
	v_cndmask_b32_e32 v3, 0x7f800001, v3, vcc_lo
	v_cmp_ne_u32_e32 vcc_lo, 0, v1
	v_cndmask_b32_e32 v10, 0x400000, v3, vcc_lo
	s_branch .LBB159_705
.LBB159_704:
	s_mov_b32 s23, -1
                                        ; implicit-def: $vgpr10
.LBB159_705:
	v_mov_b32_e32 v11, 0
.LBB159_706:
	s_mov_b32 s54, 0
.LBB159_707:
	s_delay_alu instid0(SALU_CYCLE_1)
	s_and_b32 vcc_lo, exec_lo, s54
	s_cbranch_vccz .LBB159_712
; %bb.708:
	s_cmp_eq_u32 s36, 29
	s_cbranch_scc0 .LBB159_710
; %bb.709:
	global_load_b64 v[10:11], v[12:13], off
	s_mov_b32 s37, -1
	s_mov_b32 s23, 0
	s_wait_loadcnt 0x0
	v_clz_i32_u32_e32 v1, v11
	s_delay_alu instid0(VALU_DEP_1) | instskip(NEXT) | instid1(VALU_DEP_1)
	v_min_u32_e32 v1, 32, v1
	v_lshlrev_b64_e32 v[10:11], v1, v[10:11]
	v_sub_nc_u32_e32 v1, 32, v1
	s_delay_alu instid0(VALU_DEP_2) | instskip(NEXT) | instid1(VALU_DEP_1)
	v_min_u32_e32 v3, 1, v10
	v_or_b32_e32 v3, v11, v3
	s_delay_alu instid0(VALU_DEP_1) | instskip(NEXT) | instid1(VALU_DEP_1)
	v_cvt_f32_u32_e32 v3, v3
	v_ldexp_f32 v10, v3, v1
	s_branch .LBB159_711
.LBB159_710:
	s_mov_b32 s23, -1
                                        ; implicit-def: $vgpr10
.LBB159_711:
	v_mov_b32_e32 v11, 0
.LBB159_712:
	s_mov_b32 s54, 0
.LBB159_713:
	s_delay_alu instid0(SALU_CYCLE_1)
	s_and_b32 vcc_lo, exec_lo, s54
	s_cbranch_vccz .LBB159_729
; %bb.714:
	s_cmp_lt_i32 s36, 27
	s_cbranch_scc1 .LBB159_717
; %bb.715:
	s_cmp_gt_i32 s36, 27
	s_cbranch_scc0 .LBB159_718
; %bb.716:
	global_load_b32 v1, v[12:13], off
	s_mov_b32 s37, 0
	s_wait_loadcnt 0x0
	v_cvt_f32_u32_e32 v10, v1
	s_branch .LBB159_719
.LBB159_717:
	s_mov_b32 s37, -1
                                        ; implicit-def: $vgpr10
	s_branch .LBB159_722
.LBB159_718:
	s_mov_b32 s37, -1
                                        ; implicit-def: $vgpr10
.LBB159_719:
	s_delay_alu instid0(SALU_CYCLE_1)
	s_and_not1_b32 vcc_lo, exec_lo, s37
	s_cbranch_vccnz .LBB159_721
; %bb.720:
	global_load_u16 v1, v[12:13], off
	s_wait_loadcnt 0x0
	v_cvt_f32_u32_e32 v10, v1
.LBB159_721:
	s_mov_b32 s37, 0
.LBB159_722:
	s_delay_alu instid0(SALU_CYCLE_1)
	s_and_not1_b32 vcc_lo, exec_lo, s37
	s_cbranch_vccnz .LBB159_728
; %bb.723:
	global_load_u8 v1, v[12:13], off
	s_mov_b32 s37, 0
	s_mov_b32 s54, exec_lo
	s_wait_loadcnt 0x0
	v_cmpx_lt_i16_e32 0x7f, v1
	s_xor_b32 s54, exec_lo, s54
	s_cbranch_execnz .LBB159_741
; %bb.724:
	s_or_saveexec_b32 s54, s54
	v_mov_b32_e32 v10, 0x7f800001
	s_xor_b32 exec_lo, exec_lo, s54
	s_cbranch_execnz .LBB159_744
.LBB159_725:
	s_or_b32 exec_lo, exec_lo, s54
	s_and_saveexec_b32 s54, s37
	s_cbranch_execz .LBB159_727
.LBB159_726:
	v_and_b32_e32 v3, 0xffff, v1
	s_delay_alu instid0(VALU_DEP_1) | instskip(SKIP_1) | instid1(VALU_DEP_2)
	v_dual_lshlrev_b32 v1, 24, v1 :: v_dual_bitop2_b32 v5, 7, v3 bitop3:0x40
	v_bfe_u32 v10, v3, 3, 4
	v_and_b32_e32 v1, 0x80000000, v1
	s_delay_alu instid0(VALU_DEP_3) | instskip(NEXT) | instid1(VALU_DEP_3)
	v_clz_i32_u32_e32 v7, v5
	v_cmp_eq_u32_e32 vcc_lo, 0, v10
	s_delay_alu instid0(VALU_DEP_2) | instskip(NEXT) | instid1(VALU_DEP_1)
	v_min_u32_e32 v7, 32, v7
	v_subrev_nc_u32_e32 v9, 28, v7
	v_sub_nc_u32_e32 v7, 29, v7
	s_delay_alu instid0(VALU_DEP_2) | instskip(NEXT) | instid1(VALU_DEP_2)
	v_lshlrev_b32_e32 v3, v9, v3
	v_cndmask_b32_e32 v7, v10, v7, vcc_lo
	s_delay_alu instid0(VALU_DEP_2) | instskip(NEXT) | instid1(VALU_DEP_1)
	v_and_b32_e32 v3, 7, v3
	v_cndmask_b32_e32 v3, v5, v3, vcc_lo
	s_delay_alu instid0(VALU_DEP_3) | instskip(NEXT) | instid1(VALU_DEP_2)
	v_lshl_add_u32 v5, v7, 23, 0x3b800000
	v_lshlrev_b32_e32 v3, 20, v3
	s_delay_alu instid0(VALU_DEP_1)
	v_or3_b32 v10, v1, v5, v3
.LBB159_727:
	s_or_b32 exec_lo, exec_lo, s54
.LBB159_728:
	v_mov_b32_e32 v11, 0
	s_mov_b32 s37, -1
.LBB159_729:
	s_mov_b32 s54, 0
.LBB159_730:
	s_delay_alu instid0(SALU_CYCLE_1)
	s_and_b32 vcc_lo, exec_lo, s54
	s_cbranch_vccz .LBB159_764
; %bb.731:
	s_cmp_gt_i32 s36, 22
	s_cbranch_scc0 .LBB159_739
; %bb.732:
	s_cmp_lt_i32 s36, 24
	s_cbranch_scc1 .LBB159_740
; %bb.733:
	s_cmp_gt_i32 s36, 24
	s_cbranch_scc0 .LBB159_745
; %bb.734:
	global_load_u8 v1, v[12:13], off
	s_mov_b32 s37, 0
	s_mov_b32 s54, exec_lo
	s_wait_loadcnt 0x0
	v_cmpx_lt_i16_e32 0x7f, v1
	s_xor_b32 s54, exec_lo, s54
	s_cbranch_execnz .LBB159_829
; %bb.735:
	s_or_saveexec_b32 s54, s54
	v_mov_b32_e32 v10, 0x7f800001
	s_xor_b32 exec_lo, exec_lo, s54
	s_cbranch_execnz .LBB159_832
.LBB159_736:
	s_or_b32 exec_lo, exec_lo, s54
	s_and_saveexec_b32 s54, s37
	s_cbranch_execz .LBB159_738
.LBB159_737:
	v_and_b32_e32 v3, 0xffff, v1
	s_delay_alu instid0(VALU_DEP_1) | instskip(SKIP_1) | instid1(VALU_DEP_2)
	v_dual_lshlrev_b32 v1, 24, v1 :: v_dual_bitop2_b32 v5, 3, v3 bitop3:0x40
	v_bfe_u32 v10, v3, 2, 5
	v_and_b32_e32 v1, 0x80000000, v1
	s_delay_alu instid0(VALU_DEP_3) | instskip(NEXT) | instid1(VALU_DEP_3)
	v_clz_i32_u32_e32 v7, v5
	v_cmp_eq_u32_e32 vcc_lo, 0, v10
	s_delay_alu instid0(VALU_DEP_2) | instskip(NEXT) | instid1(VALU_DEP_1)
	v_min_u32_e32 v7, 32, v7
	v_subrev_nc_u32_e32 v9, 29, v7
	v_sub_nc_u32_e32 v7, 30, v7
	s_delay_alu instid0(VALU_DEP_2) | instskip(NEXT) | instid1(VALU_DEP_2)
	v_lshlrev_b32_e32 v3, v9, v3
	v_cndmask_b32_e32 v7, v10, v7, vcc_lo
	s_delay_alu instid0(VALU_DEP_2) | instskip(NEXT) | instid1(VALU_DEP_1)
	v_and_b32_e32 v3, 3, v3
	v_cndmask_b32_e32 v3, v5, v3, vcc_lo
	s_delay_alu instid0(VALU_DEP_3) | instskip(NEXT) | instid1(VALU_DEP_2)
	v_lshl_add_u32 v5, v7, 23, 0x37800000
	v_lshlrev_b32_e32 v3, 21, v3
	s_delay_alu instid0(VALU_DEP_1)
	v_or3_b32 v10, v1, v5, v3
.LBB159_738:
	s_or_b32 exec_lo, exec_lo, s54
	s_mov_b32 s37, 0
	s_branch .LBB159_746
.LBB159_739:
	s_mov_b32 s54, -1
                                        ; implicit-def: $vgpr10
	s_branch .LBB159_752
.LBB159_740:
	s_mov_b32 s37, -1
                                        ; implicit-def: $vgpr10
	s_branch .LBB159_749
.LBB159_741:
	s_mov_b32 s37, -1
	s_mov_b32 s55, exec_lo
	v_cmpx_eq_u16_e32 0x80, v1
; %bb.742:
	s_xor_b32 s37, exec_lo, -1
; %bb.743:
	s_or_b32 exec_lo, exec_lo, s55
	s_delay_alu instid0(SALU_CYCLE_1)
	s_and_b32 s37, s37, exec_lo
	s_or_saveexec_b32 s54, s54
	v_mov_b32_e32 v10, 0x7f800001
	s_xor_b32 exec_lo, exec_lo, s54
	s_cbranch_execz .LBB159_725
.LBB159_744:
	v_cmp_ne_u16_e32 vcc_lo, 0, v1
	v_mov_b32_e32 v10, 0
	s_and_not1_b32 s37, s37, exec_lo
	s_and_b32 s55, vcc_lo, exec_lo
	s_delay_alu instid0(SALU_CYCLE_1)
	s_or_b32 s37, s37, s55
	s_or_b32 exec_lo, exec_lo, s54
	s_and_saveexec_b32 s54, s37
	s_cbranch_execnz .LBB159_726
	s_branch .LBB159_727
.LBB159_745:
	s_mov_b32 s37, -1
                                        ; implicit-def: $vgpr10
.LBB159_746:
	s_delay_alu instid0(SALU_CYCLE_1)
	s_and_b32 vcc_lo, exec_lo, s37
	s_cbranch_vccz .LBB159_748
; %bb.747:
	global_load_u8 v1, v[12:13], off
	s_wait_loadcnt 0x0
	v_lshlrev_b32_e32 v1, 24, v1
	s_delay_alu instid0(VALU_DEP_1) | instskip(NEXT) | instid1(VALU_DEP_1)
	v_and_b32_e32 v3, 0x7f000000, v1
	v_clz_i32_u32_e32 v5, v3
	v_add_nc_u32_e32 v9, 0x1000000, v3
	v_cmp_ne_u32_e32 vcc_lo, 0, v3
	s_delay_alu instid0(VALU_DEP_3) | instskip(NEXT) | instid1(VALU_DEP_1)
	v_min_u32_e32 v5, 32, v5
	v_sub_nc_u32_e64 v5, v5, 4 clamp
	s_delay_alu instid0(VALU_DEP_1) | instskip(NEXT) | instid1(VALU_DEP_1)
	v_dual_lshlrev_b32 v7, v5, v3 :: v_dual_lshlrev_b32 v5, 23, v5
	v_lshrrev_b32_e32 v7, 4, v7
	s_delay_alu instid0(VALU_DEP_1) | instskip(SKIP_1) | instid1(VALU_DEP_2)
	v_sub_nc_u32_e32 v5, v7, v5
	v_ashrrev_i32_e32 v7, 8, v9
	v_add_nc_u32_e32 v5, 0x3c000000, v5
	s_delay_alu instid0(VALU_DEP_1) | instskip(NEXT) | instid1(VALU_DEP_1)
	v_and_or_b32 v5, 0x7f800000, v7, v5
	v_cndmask_b32_e32 v3, 0, v5, vcc_lo
	s_delay_alu instid0(VALU_DEP_1)
	v_and_or_b32 v10, 0x80000000, v1, v3
.LBB159_748:
	s_mov_b32 s37, 0
.LBB159_749:
	s_delay_alu instid0(SALU_CYCLE_1)
	s_and_not1_b32 vcc_lo, exec_lo, s37
	s_cbranch_vccnz .LBB159_751
; %bb.750:
	global_load_u8 v1, v[12:13], off
	s_wait_loadcnt 0x0
	v_lshlrev_b32_e32 v3, 25, v1
	v_lshlrev_b16 v1, 8, v1
	s_delay_alu instid0(VALU_DEP_1) | instskip(SKIP_1) | instid1(VALU_DEP_2)
	v_and_or_b32 v7, 0x7f00, v1, 0.5
	v_bfe_i32 v1, v1, 0, 16
	v_add_f32_e32 v7, -0.5, v7
	v_lshrrev_b32_e32 v5, 4, v3
	v_cmp_gt_u32_e32 vcc_lo, 0x8000000, v3
	s_delay_alu instid0(VALU_DEP_2) | instskip(NEXT) | instid1(VALU_DEP_1)
	v_or_b32_e32 v5, 0x70000000, v5
	v_mul_f32_e32 v5, 0x7800000, v5
	s_delay_alu instid0(VALU_DEP_1) | instskip(NEXT) | instid1(VALU_DEP_1)
	v_cndmask_b32_e32 v3, v5, v7, vcc_lo
	v_and_or_b32 v10, 0x80000000, v1, v3
.LBB159_751:
	s_mov_b32 s54, 0
	s_mov_b32 s37, -1
.LBB159_752:
	s_and_not1_b32 vcc_lo, exec_lo, s54
	s_cbranch_vccnz .LBB159_763
; %bb.753:
	s_cmp_gt_i32 s36, 14
	s_cbranch_scc0 .LBB159_756
; %bb.754:
	s_cmp_eq_u32 s36, 15
	s_cbranch_scc0 .LBB159_757
; %bb.755:
	global_load_u16 v1, v[12:13], off
	s_mov_b32 s37, -1
	s_mov_b32 s23, 0
	s_wait_loadcnt 0x0
	v_lshlrev_b32_e32 v10, 16, v1
	s_branch .LBB159_758
.LBB159_756:
	s_mov_b32 s54, -1
                                        ; implicit-def: $vgpr10
	s_branch .LBB159_759
.LBB159_757:
	s_mov_b32 s23, -1
                                        ; implicit-def: $vgpr10
.LBB159_758:
	s_mov_b32 s54, 0
.LBB159_759:
	s_delay_alu instid0(SALU_CYCLE_1)
	s_and_b32 vcc_lo, exec_lo, s54
	s_cbranch_vccz .LBB159_763
; %bb.760:
	s_cmp_eq_u32 s36, 11
	s_cbranch_scc0 .LBB159_762
; %bb.761:
	global_load_u8 v1, v[12:13], off
	s_mov_b32 s23, 0
	s_mov_b32 s37, -1
	v_mov_b32_e32 v11, 0
	s_wait_loadcnt 0x0
	v_cmp_ne_u16_e32 vcc_lo, 0, v1
	v_cndmask_b32_e64 v10, 0, 1.0, vcc_lo
	s_branch .LBB159_764
.LBB159_762:
	s_mov_b32 s23, -1
                                        ; implicit-def: $vgpr10
.LBB159_763:
	v_mov_b32_e32 v11, 0
.LBB159_764:
	s_mov_b32 s36, 0
.LBB159_765:
	s_delay_alu instid0(SALU_CYCLE_1)
	s_and_b32 vcc_lo, exec_lo, s36
	s_cbranch_vccz .LBB159_816
; %bb.766:
	s_and_b32 s0, 0xffff, s0
	s_delay_alu instid0(SALU_CYCLE_1)
	s_cmp_lt_i32 s0, 5
	s_cbranch_scc1 .LBB159_771
; %bb.767:
	s_cmp_lt_i32 s0, 8
	s_cbranch_scc1 .LBB159_772
; %bb.768:
	;; [unrolled: 3-line block ×3, first 2 shown]
	s_cmp_gt_i32 s0, 9
	s_cbranch_scc0 .LBB159_774
; %bb.770:
	global_load_b128 v[14:17], v[12:13], off
	s_mov_b32 s36, 0
	s_wait_loadcnt 0x0
	v_cvt_f32_f64_e32 v10, v[14:15]
	v_cvt_f32_f64_e32 v11, v[16:17]
	s_branch .LBB159_775
.LBB159_771:
	s_mov_b32 s36, -1
                                        ; implicit-def: $vgpr11
	s_branch .LBB159_794
.LBB159_772:
	s_mov_b32 s36, -1
                                        ; implicit-def: $vgpr11
	s_branch .LBB159_781
.LBB159_773:
	s_mov_b32 s36, -1
                                        ; implicit-def: $vgpr11
	s_branch .LBB159_778
.LBB159_774:
	s_mov_b32 s36, -1
                                        ; implicit-def: $vgpr11
.LBB159_775:
	s_delay_alu instid0(SALU_CYCLE_1)
	s_and_not1_b32 vcc_lo, exec_lo, s36
	s_cbranch_vccnz .LBB159_777
; %bb.776:
	global_load_b64 v[10:11], v[12:13], off
.LBB159_777:
	s_mov_b32 s36, 0
.LBB159_778:
	s_delay_alu instid0(SALU_CYCLE_1)
	s_and_not1_b32 vcc_lo, exec_lo, s36
	s_cbranch_vccnz .LBB159_780
; %bb.779:
	global_load_b32 v1, v[12:13], off
	s_wait_loadcnt 0x0
	v_lshrrev_b32_e32 v3, 16, v1
	v_cvt_f32_f16_e32 v10, v1
	s_delay_alu instid0(VALU_DEP_2)
	v_cvt_f32_f16_e32 v11, v3
.LBB159_780:
	s_mov_b32 s36, 0
.LBB159_781:
	s_delay_alu instid0(SALU_CYCLE_1)
	s_and_not1_b32 vcc_lo, exec_lo, s36
	s_cbranch_vccnz .LBB159_793
; %bb.782:
	s_cmp_lt_i32 s0, 6
	s_cbranch_scc1 .LBB159_785
; %bb.783:
	s_cmp_gt_i32 s0, 6
	s_cbranch_scc0 .LBB159_786
; %bb.784:
	s_wait_loadcnt 0x0
	global_load_b64 v[10:11], v[12:13], off
	s_mov_b32 s36, 0
	s_wait_loadcnt 0x0
	v_cvt_f32_f64_e32 v10, v[10:11]
	s_branch .LBB159_787
.LBB159_785:
	s_mov_b32 s36, -1
                                        ; implicit-def: $vgpr10
	s_branch .LBB159_790
.LBB159_786:
	s_mov_b32 s36, -1
                                        ; implicit-def: $vgpr10
.LBB159_787:
	s_delay_alu instid0(SALU_CYCLE_1)
	s_and_not1_b32 vcc_lo, exec_lo, s36
	s_cbranch_vccnz .LBB159_789
; %bb.788:
	s_wait_loadcnt 0x0
	global_load_b32 v10, v[12:13], off
.LBB159_789:
	s_mov_b32 s36, 0
.LBB159_790:
	s_delay_alu instid0(SALU_CYCLE_1)
	s_and_not1_b32 vcc_lo, exec_lo, s36
	s_cbranch_vccnz .LBB159_792
; %bb.791:
	global_load_u16 v1, v[12:13], off
	s_wait_loadcnt 0x0
	v_cvt_f32_f16_e32 v10, v1
.LBB159_792:
	s_wait_loadcnt 0x0
	v_mov_b32_e32 v11, 0
.LBB159_793:
	s_mov_b32 s36, 0
.LBB159_794:
	s_delay_alu instid0(SALU_CYCLE_1)
	s_and_not1_b32 vcc_lo, exec_lo, s36
	s_cbranch_vccnz .LBB159_815
; %bb.795:
	s_cmp_lt_i32 s0, 2
	s_cbranch_scc1 .LBB159_799
; %bb.796:
	s_cmp_lt_i32 s0, 3
	s_cbranch_scc1 .LBB159_800
; %bb.797:
	s_cmp_gt_i32 s0, 3
	s_cbranch_scc0 .LBB159_801
; %bb.798:
	s_wait_loadcnt 0x0
	global_load_b64 v[10:11], v[12:13], off
	s_mov_b32 s36, 0
	s_wait_loadcnt 0x0
	v_xor_b32_e32 v1, v10, v11
	v_cls_i32_e32 v3, v11
	s_delay_alu instid0(VALU_DEP_2) | instskip(NEXT) | instid1(VALU_DEP_1)
	v_ashrrev_i32_e32 v1, 31, v1
	v_add_nc_u32_e32 v1, 32, v1
	s_delay_alu instid0(VALU_DEP_1) | instskip(NEXT) | instid1(VALU_DEP_1)
	v_add_min_u32_e64 v1, v3, -1, v1
	v_lshlrev_b64_e32 v[10:11], v1, v[10:11]
	v_sub_nc_u32_e32 v1, 32, v1
	s_delay_alu instid0(VALU_DEP_2) | instskip(NEXT) | instid1(VALU_DEP_1)
	v_min_u32_e32 v3, 1, v10
	v_or_b32_e32 v3, v11, v3
	s_delay_alu instid0(VALU_DEP_1) | instskip(NEXT) | instid1(VALU_DEP_1)
	v_cvt_f32_i32_e32 v3, v3
	v_ldexp_f32 v10, v3, v1
	s_branch .LBB159_802
.LBB159_799:
	s_mov_b32 s36, -1
                                        ; implicit-def: $vgpr10
	s_branch .LBB159_808
.LBB159_800:
	s_mov_b32 s36, -1
                                        ; implicit-def: $vgpr10
	s_branch .LBB159_805
.LBB159_801:
	s_mov_b32 s36, -1
                                        ; implicit-def: $vgpr10
.LBB159_802:
	s_delay_alu instid0(SALU_CYCLE_1)
	s_and_not1_b32 vcc_lo, exec_lo, s36
	s_cbranch_vccnz .LBB159_804
; %bb.803:
	global_load_b32 v1, v[12:13], off
	s_wait_loadcnt 0x0
	v_cvt_f32_i32_e32 v10, v1
.LBB159_804:
	s_mov_b32 s36, 0
.LBB159_805:
	s_delay_alu instid0(SALU_CYCLE_1)
	s_and_not1_b32 vcc_lo, exec_lo, s36
	s_cbranch_vccnz .LBB159_807
; %bb.806:
	global_load_i16 v1, v[12:13], off
	s_wait_loadcnt 0x0
	v_cvt_f32_i32_e32 v10, v1
.LBB159_807:
	s_mov_b32 s36, 0
.LBB159_808:
	s_delay_alu instid0(SALU_CYCLE_1)
	s_and_not1_b32 vcc_lo, exec_lo, s36
	s_cbranch_vccnz .LBB159_814
; %bb.809:
	s_cmp_gt_i32 s0, 0
	s_mov_b32 s0, 0
	s_cbranch_scc0 .LBB159_811
; %bb.810:
	global_load_i8 v1, v[12:13], off
	s_wait_loadcnt 0x0
	v_cvt_f32_i32_e32 v10, v1
	s_branch .LBB159_812
.LBB159_811:
	s_mov_b32 s0, -1
                                        ; implicit-def: $vgpr10
.LBB159_812:
	s_delay_alu instid0(SALU_CYCLE_1)
	s_and_not1_b32 vcc_lo, exec_lo, s0
	s_cbranch_vccnz .LBB159_814
; %bb.813:
	global_load_u8 v1, v[12:13], off
	s_wait_loadcnt 0x0
	v_cvt_f32_ubyte0_e32 v10, v1
.LBB159_814:
	s_wait_loadcnt 0x0
	v_mov_b32_e32 v11, 0
.LBB159_815:
	s_mov_b32 s37, -1
.LBB159_816:
	s_delay_alu instid0(SALU_CYCLE_1)
	s_and_not1_b32 vcc_lo, exec_lo, s37
	s_cbranch_vccnz .LBB159_824
; %bb.817:
	v_mov_b32_e32 v9, 0
	s_and_b32 s0, 0xffff, s25
	s_delay_alu instid0(SALU_CYCLE_1) | instskip(NEXT) | instid1(VALU_DEP_1)
	s_cmp_lt_i32 s0, 11
	v_add_nc_u64_e32 v[8:9], s[10:11], v[8:9]
	s_cbranch_scc1 .LBB159_825
; %bb.818:
	s_cmp_gt_i32 s0, 25
	s_cbranch_scc0 .LBB159_826
; %bb.819:
	s_cmp_gt_i32 s0, 28
	s_cbranch_scc0 .LBB159_827
	;; [unrolled: 3-line block ×4, first 2 shown]
; %bb.822:
	s_cmp_eq_u32 s0, 46
	s_mov_b32 s54, 0
	s_cbranch_scc0 .LBB159_836
; %bb.823:
	global_load_b32 v1, v[8:9], off
	s_mov_b32 s37, -1
	s_mov_b32 s36, 0
	s_wait_loadcnt 0x0
	s_wait_xcnt 0x1
	v_and_b32_e32 v13, 0xffff0000, v1
	v_lshlrev_b32_e32 v12, 16, v1
	s_branch .LBB159_838
.LBB159_824:
	s_mov_b32 s37, 0
	s_mov_b32 s0, s46
	s_mov_b32 s36, s50
	s_branch .LBB159_1082
.LBB159_825:
	s_mov_b32 s54, -1
	s_mov_b32 s37, 0
	s_mov_b32 s36, s50
                                        ; implicit-def: $vgpr13
	s_branch .LBB159_902
.LBB159_826:
	s_mov_b32 s54, -1
	s_mov_b32 s37, 0
	s_mov_b32 s36, s50
                                        ; implicit-def: $vgpr13
	s_branch .LBB159_867
.LBB159_827:
	s_mov_b32 s54, -1
	s_mov_b32 s37, 0
	s_mov_b32 s36, s50
                                        ; implicit-def: $vgpr13
	s_branch .LBB159_850
.LBB159_828:
	s_mov_b32 s54, -1
	s_mov_b32 s37, 0
	s_mov_b32 s36, s50
                                        ; implicit-def: $vgpr13
	s_branch .LBB159_844
.LBB159_829:
	s_mov_b32 s37, -1
	s_mov_b32 s55, exec_lo
	v_cmpx_eq_u16_e32 0x80, v1
; %bb.830:
	s_xor_b32 s37, exec_lo, -1
; %bb.831:
	s_or_b32 exec_lo, exec_lo, s55
	s_delay_alu instid0(SALU_CYCLE_1)
	s_and_b32 s37, s37, exec_lo
	s_or_saveexec_b32 s54, s54
	v_mov_b32_e32 v10, 0x7f800001
	s_xor_b32 exec_lo, exec_lo, s54
	s_cbranch_execz .LBB159_736
.LBB159_832:
	v_cmp_ne_u16_e32 vcc_lo, 0, v1
	v_mov_b32_e32 v10, 0
	s_and_not1_b32 s37, s37, exec_lo
	s_and_b32 s55, vcc_lo, exec_lo
	s_delay_alu instid0(SALU_CYCLE_1)
	s_or_b32 s37, s37, s55
	s_or_b32 exec_lo, exec_lo, s54
	s_and_saveexec_b32 s54, s37
	s_cbranch_execnz .LBB159_737
	s_branch .LBB159_738
.LBB159_833:
	s_mov_b32 s54, -1
	s_mov_b32 s37, 0
	s_mov_b32 s36, s50
	s_branch .LBB159_837
.LBB159_834:
	v_bfe_u32 v1, v4, 20, 1
	s_mov_b32 s51, exec_lo
	s_delay_alu instid0(VALU_DEP_1) | instskip(NEXT) | instid1(VALU_DEP_1)
	v_add3_u32 v1, v4, v1, 0x487ffff
	v_lshrrev_b32_e32 v1, 20, v1
	s_and_not1_saveexec_b32 s52, s52
	s_cbranch_execz .LBB159_446
.LBB159_835:
	v_add_f32_e64 v1, 0x46000000, |v4|
	s_and_not1_b32 s51, s51, exec_lo
	s_delay_alu instid0(VALU_DEP_1) | instskip(NEXT) | instid1(VALU_DEP_1)
	v_and_b32_e32 v1, 0xff, v1
	v_cmp_ne_u32_e32 vcc_lo, 0, v1
	s_and_b32 s54, vcc_lo, exec_lo
	s_delay_alu instid0(SALU_CYCLE_1)
	s_or_b32 s51, s51, s54
	s_or_b32 exec_lo, exec_lo, s52
	v_mov_b32_e32 v6, 0
	s_and_saveexec_b32 s52, s51
	s_cbranch_execnz .LBB159_447
	s_branch .LBB159_448
.LBB159_836:
	s_mov_b32 s36, -1
	s_mov_b32 s37, 0
.LBB159_837:
                                        ; implicit-def: $vgpr13
.LBB159_838:
	s_and_b32 vcc_lo, exec_lo, s54
	s_cbranch_vccz .LBB159_843
; %bb.839:
	s_cmp_eq_u32 s0, 44
	s_cbranch_scc0 .LBB159_841
; %bb.840:
	global_load_u8 v1, v[8:9], off
	s_mov_b32 s36, 0
	s_mov_b32 s37, -1
	s_wait_loadcnt 0x0
	v_lshlrev_b32_e32 v3, 23, v1
	v_cmp_ne_u32_e32 vcc_lo, 0xff, v1
	s_delay_alu instid0(VALU_DEP_2) | instskip(SKIP_2) | instid1(VALU_DEP_2)
	v_cndmask_b32_e32 v3, 0x7f800001, v3, vcc_lo
	v_cmp_ne_u32_e32 vcc_lo, 0, v1
	s_wait_xcnt 0x1
	v_cndmask_b32_e32 v12, 0x400000, v3, vcc_lo
	s_branch .LBB159_842
.LBB159_841:
	s_mov_b32 s36, -1
                                        ; implicit-def: $vgpr12
.LBB159_842:
	s_wait_xcnt 0x0
	v_mov_b32_e32 v13, 0
.LBB159_843:
	s_mov_b32 s54, 0
.LBB159_844:
	s_delay_alu instid0(SALU_CYCLE_1)
	s_and_b32 vcc_lo, exec_lo, s54
	s_cbranch_vccz .LBB159_849
; %bb.845:
	s_cmp_eq_u32 s0, 29
	s_cbranch_scc0 .LBB159_847
; %bb.846:
	global_load_b64 v[12:13], v[8:9], off
	s_mov_b32 s37, -1
	s_mov_b32 s36, 0
	s_wait_loadcnt 0x0
	v_clz_i32_u32_e32 v1, v13
	s_delay_alu instid0(VALU_DEP_1) | instskip(NEXT) | instid1(VALU_DEP_1)
	v_min_u32_e32 v1, 32, v1
	v_lshlrev_b64_e32 v[12:13], v1, v[12:13]
	v_sub_nc_u32_e32 v1, 32, v1
	s_delay_alu instid0(VALU_DEP_2) | instskip(NEXT) | instid1(VALU_DEP_1)
	v_min_u32_e32 v3, 1, v12
	v_or_b32_e32 v3, v13, v3
	s_delay_alu instid0(VALU_DEP_1) | instskip(NEXT) | instid1(VALU_DEP_1)
	v_cvt_f32_u32_e32 v3, v3
	v_ldexp_f32 v12, v3, v1
	s_branch .LBB159_848
.LBB159_847:
	s_mov_b32 s36, -1
                                        ; implicit-def: $vgpr12
.LBB159_848:
	s_wait_xcnt 0x0
	v_mov_b32_e32 v13, 0
.LBB159_849:
	s_mov_b32 s54, 0
.LBB159_850:
	s_delay_alu instid0(SALU_CYCLE_1)
	s_and_b32 vcc_lo, exec_lo, s54
	s_cbranch_vccz .LBB159_866
; %bb.851:
	s_cmp_lt_i32 s0, 27
	s_cbranch_scc1 .LBB159_854
; %bb.852:
	s_cmp_gt_i32 s0, 27
	s_cbranch_scc0 .LBB159_855
; %bb.853:
	global_load_b32 v1, v[8:9], off
	s_mov_b32 s37, 0
	s_wait_loadcnt 0x0
	s_wait_xcnt 0x1
	v_cvt_f32_u32_e32 v12, v1
	s_branch .LBB159_856
.LBB159_854:
	s_mov_b32 s37, -1
                                        ; implicit-def: $vgpr12
	s_branch .LBB159_859
.LBB159_855:
	s_mov_b32 s37, -1
                                        ; implicit-def: $vgpr12
.LBB159_856:
	s_delay_alu instid0(SALU_CYCLE_1)
	s_and_not1_b32 vcc_lo, exec_lo, s37
	s_cbranch_vccnz .LBB159_858
; %bb.857:
	global_load_u16 v1, v[8:9], off
	s_wait_loadcnt 0x0
	s_wait_xcnt 0x1
	v_cvt_f32_u32_e32 v12, v1
.LBB159_858:
	s_mov_b32 s37, 0
.LBB159_859:
	s_delay_alu instid0(SALU_CYCLE_1)
	s_and_not1_b32 vcc_lo, exec_lo, s37
	s_cbranch_vccnz .LBB159_865
; %bb.860:
	global_load_u8 v1, v[8:9], off
	s_mov_b32 s37, 0
	s_mov_b32 s54, exec_lo
	s_wait_loadcnt 0x0
	v_cmpx_lt_i16_e32 0x7f, v1
	s_xor_b32 s54, exec_lo, s54
	s_cbranch_execnz .LBB159_878
; %bb.861:
	s_or_saveexec_b32 s54, s54
	v_mov_b32_e32 v12, 0x7f800001
	s_xor_b32 exec_lo, exec_lo, s54
	s_cbranch_execnz .LBB159_881
.LBB159_862:
	s_or_b32 exec_lo, exec_lo, s54
	s_and_saveexec_b32 s54, s37
	s_cbranch_execz .LBB159_864
.LBB159_863:
	v_and_b32_e32 v3, 0xffff, v1
	s_delay_alu instid0(VALU_DEP_1) | instskip(SKIP_1) | instid1(VALU_DEP_2)
	v_dual_lshlrev_b32 v1, 24, v1 :: v_dual_bitop2_b32 v5, 7, v3 bitop3:0x40
	v_bfe_u32 v13, v3, 3, 4
	v_and_b32_e32 v1, 0x80000000, v1
	s_delay_alu instid0(VALU_DEP_3) | instskip(NEXT) | instid1(VALU_DEP_3)
	v_clz_i32_u32_e32 v7, v5
	v_cmp_eq_u32_e32 vcc_lo, 0, v13
	s_delay_alu instid0(VALU_DEP_2) | instskip(NEXT) | instid1(VALU_DEP_1)
	v_min_u32_e32 v7, 32, v7
	v_subrev_nc_u32_e32 v12, 28, v7
	v_sub_nc_u32_e32 v7, 29, v7
	s_delay_alu instid0(VALU_DEP_2) | instskip(NEXT) | instid1(VALU_DEP_2)
	v_lshlrev_b32_e32 v3, v12, v3
	v_cndmask_b32_e32 v7, v13, v7, vcc_lo
	s_delay_alu instid0(VALU_DEP_2) | instskip(NEXT) | instid1(VALU_DEP_1)
	v_and_b32_e32 v3, 7, v3
	v_cndmask_b32_e32 v3, v5, v3, vcc_lo
	s_delay_alu instid0(VALU_DEP_3) | instskip(NEXT) | instid1(VALU_DEP_2)
	v_lshl_add_u32 v5, v7, 23, 0x3b800000
	v_lshlrev_b32_e32 v3, 20, v3
	s_delay_alu instid0(VALU_DEP_1)
	v_or3_b32 v12, v1, v5, v3
.LBB159_864:
	s_or_b32 exec_lo, exec_lo, s54
.LBB159_865:
	s_wait_xcnt 0x0
	v_mov_b32_e32 v13, 0
	s_mov_b32 s37, -1
.LBB159_866:
	s_mov_b32 s54, 0
.LBB159_867:
	s_delay_alu instid0(SALU_CYCLE_1)
	s_and_b32 vcc_lo, exec_lo, s54
	s_cbranch_vccz .LBB159_901
; %bb.868:
	s_cmp_gt_i32 s0, 22
	s_cbranch_scc0 .LBB159_876
; %bb.869:
	s_cmp_lt_i32 s0, 24
	s_cbranch_scc1 .LBB159_877
; %bb.870:
	s_cmp_gt_i32 s0, 24
	s_cbranch_scc0 .LBB159_882
; %bb.871:
	global_load_u8 v1, v[8:9], off
	s_mov_b32 s37, 0
	s_mov_b32 s54, exec_lo
	s_wait_loadcnt 0x0
	v_cmpx_lt_i16_e32 0x7f, v1
	s_xor_b32 s54, exec_lo, s54
	s_cbranch_execnz .LBB159_966
; %bb.872:
	s_or_saveexec_b32 s54, s54
	v_mov_b32_e32 v12, 0x7f800001
	s_xor_b32 exec_lo, exec_lo, s54
	s_cbranch_execnz .LBB159_969
.LBB159_873:
	s_or_b32 exec_lo, exec_lo, s54
	s_and_saveexec_b32 s54, s37
	s_cbranch_execz .LBB159_875
.LBB159_874:
	v_and_b32_e32 v3, 0xffff, v1
	s_delay_alu instid0(VALU_DEP_1) | instskip(SKIP_1) | instid1(VALU_DEP_2)
	v_dual_lshlrev_b32 v1, 24, v1 :: v_dual_bitop2_b32 v5, 3, v3 bitop3:0x40
	v_bfe_u32 v13, v3, 2, 5
	v_and_b32_e32 v1, 0x80000000, v1
	s_delay_alu instid0(VALU_DEP_3) | instskip(NEXT) | instid1(VALU_DEP_3)
	v_clz_i32_u32_e32 v7, v5
	v_cmp_eq_u32_e32 vcc_lo, 0, v13
	s_delay_alu instid0(VALU_DEP_2) | instskip(NEXT) | instid1(VALU_DEP_1)
	v_min_u32_e32 v7, 32, v7
	v_subrev_nc_u32_e32 v12, 29, v7
	v_sub_nc_u32_e32 v7, 30, v7
	s_delay_alu instid0(VALU_DEP_2) | instskip(NEXT) | instid1(VALU_DEP_2)
	v_lshlrev_b32_e32 v3, v12, v3
	v_cndmask_b32_e32 v7, v13, v7, vcc_lo
	s_delay_alu instid0(VALU_DEP_2) | instskip(NEXT) | instid1(VALU_DEP_1)
	v_and_b32_e32 v3, 3, v3
	v_cndmask_b32_e32 v3, v5, v3, vcc_lo
	s_delay_alu instid0(VALU_DEP_3) | instskip(NEXT) | instid1(VALU_DEP_2)
	v_lshl_add_u32 v5, v7, 23, 0x37800000
	v_lshlrev_b32_e32 v3, 21, v3
	s_delay_alu instid0(VALU_DEP_1)
	v_or3_b32 v12, v1, v5, v3
.LBB159_875:
	s_or_b32 exec_lo, exec_lo, s54
	s_mov_b32 s37, 0
	s_branch .LBB159_883
.LBB159_876:
	s_mov_b32 s54, -1
                                        ; implicit-def: $vgpr12
	s_branch .LBB159_889
.LBB159_877:
	s_mov_b32 s37, -1
                                        ; implicit-def: $vgpr12
	s_branch .LBB159_886
.LBB159_878:
	s_mov_b32 s37, -1
	s_mov_b32 s55, exec_lo
	v_cmpx_eq_u16_e32 0x80, v1
; %bb.879:
	s_xor_b32 s37, exec_lo, -1
; %bb.880:
	s_or_b32 exec_lo, exec_lo, s55
	s_delay_alu instid0(SALU_CYCLE_1)
	s_and_b32 s37, s37, exec_lo
	s_or_saveexec_b32 s54, s54
	v_mov_b32_e32 v12, 0x7f800001
	s_xor_b32 exec_lo, exec_lo, s54
	s_cbranch_execz .LBB159_862
.LBB159_881:
	v_cmp_ne_u16_e32 vcc_lo, 0, v1
	v_mov_b32_e32 v12, 0
	s_and_not1_b32 s37, s37, exec_lo
	s_and_b32 s55, vcc_lo, exec_lo
	s_delay_alu instid0(SALU_CYCLE_1)
	s_or_b32 s37, s37, s55
	s_or_b32 exec_lo, exec_lo, s54
	s_and_saveexec_b32 s54, s37
	s_cbranch_execnz .LBB159_863
	s_branch .LBB159_864
.LBB159_882:
	s_mov_b32 s37, -1
                                        ; implicit-def: $vgpr12
.LBB159_883:
	s_delay_alu instid0(SALU_CYCLE_1)
	s_and_b32 vcc_lo, exec_lo, s37
	s_cbranch_vccz .LBB159_885
; %bb.884:
	global_load_u8 v1, v[8:9], off
	s_wait_loadcnt 0x0
	v_lshlrev_b32_e32 v1, 24, v1
	s_delay_alu instid0(VALU_DEP_1) | instskip(NEXT) | instid1(VALU_DEP_1)
	v_and_b32_e32 v3, 0x7f000000, v1
	v_clz_i32_u32_e32 v5, v3
	v_cmp_ne_u32_e32 vcc_lo, 0, v3
	s_wait_xcnt 0x1
	v_add_nc_u32_e32 v12, 0x1000000, v3
	s_delay_alu instid0(VALU_DEP_3) | instskip(NEXT) | instid1(VALU_DEP_1)
	v_min_u32_e32 v5, 32, v5
	v_sub_nc_u32_e64 v5, v5, 4 clamp
	s_delay_alu instid0(VALU_DEP_1) | instskip(NEXT) | instid1(VALU_DEP_1)
	v_dual_lshlrev_b32 v7, v5, v3 :: v_dual_lshlrev_b32 v5, 23, v5
	v_lshrrev_b32_e32 v7, 4, v7
	s_delay_alu instid0(VALU_DEP_1) | instskip(NEXT) | instid1(VALU_DEP_1)
	v_dual_sub_nc_u32 v5, v7, v5 :: v_dual_ashrrev_i32 v7, 8, v12
	v_add_nc_u32_e32 v5, 0x3c000000, v5
	s_delay_alu instid0(VALU_DEP_1) | instskip(NEXT) | instid1(VALU_DEP_1)
	v_and_or_b32 v5, 0x7f800000, v7, v5
	v_cndmask_b32_e32 v3, 0, v5, vcc_lo
	s_delay_alu instid0(VALU_DEP_1)
	v_and_or_b32 v12, 0x80000000, v1, v3
.LBB159_885:
	s_mov_b32 s37, 0
.LBB159_886:
	s_delay_alu instid0(SALU_CYCLE_1)
	s_and_not1_b32 vcc_lo, exec_lo, s37
	s_cbranch_vccnz .LBB159_888
; %bb.887:
	global_load_u8 v1, v[8:9], off
	s_wait_loadcnt 0x0
	v_lshlrev_b32_e32 v3, 25, v1
	v_lshlrev_b16 v1, 8, v1
	s_delay_alu instid0(VALU_DEP_1) | instskip(SKIP_1) | instid1(VALU_DEP_2)
	v_and_or_b32 v7, 0x7f00, v1, 0.5
	v_bfe_i32 v1, v1, 0, 16
	v_add_f32_e32 v7, -0.5, v7
	v_lshrrev_b32_e32 v5, 4, v3
	v_cmp_gt_u32_e32 vcc_lo, 0x8000000, v3
	s_delay_alu instid0(VALU_DEP_2) | instskip(NEXT) | instid1(VALU_DEP_1)
	v_or_b32_e32 v5, 0x70000000, v5
	v_mul_f32_e32 v5, 0x7800000, v5
	s_delay_alu instid0(VALU_DEP_1) | instskip(SKIP_1) | instid1(VALU_DEP_1)
	v_cndmask_b32_e32 v3, v5, v7, vcc_lo
	s_wait_xcnt 0x1
	v_and_or_b32 v12, 0x80000000, v1, v3
.LBB159_888:
	s_mov_b32 s54, 0
	s_mov_b32 s37, -1
.LBB159_889:
	s_and_not1_b32 vcc_lo, exec_lo, s54
	s_cbranch_vccnz .LBB159_900
; %bb.890:
	s_cmp_gt_i32 s0, 14
	s_cbranch_scc0 .LBB159_893
; %bb.891:
	s_cmp_eq_u32 s0, 15
	s_cbranch_scc0 .LBB159_894
; %bb.892:
	global_load_u16 v1, v[8:9], off
	s_mov_b32 s37, -1
	s_mov_b32 s36, 0
	s_wait_loadcnt 0x0
	s_wait_xcnt 0x1
	v_lshlrev_b32_e32 v12, 16, v1
	s_branch .LBB159_895
.LBB159_893:
	s_mov_b32 s54, -1
                                        ; implicit-def: $vgpr12
	s_branch .LBB159_896
.LBB159_894:
	s_mov_b32 s36, -1
                                        ; implicit-def: $vgpr12
.LBB159_895:
	s_mov_b32 s54, 0
.LBB159_896:
	s_delay_alu instid0(SALU_CYCLE_1)
	s_and_b32 vcc_lo, exec_lo, s54
	s_cbranch_vccz .LBB159_900
; %bb.897:
	s_cmp_eq_u32 s0, 11
	s_cbranch_scc0 .LBB159_899
; %bb.898:
	global_load_u8 v1, v[8:9], off
	s_mov_b32 s36, 0
	s_mov_b32 s37, -1
	s_wait_xcnt 0x1
	v_mov_b32_e32 v13, 0
	s_wait_loadcnt 0x0
	v_cmp_ne_u16_e32 vcc_lo, 0, v1
	v_cndmask_b32_e64 v12, 0, 1.0, vcc_lo
	s_branch .LBB159_901
.LBB159_899:
	s_mov_b32 s36, -1
                                        ; implicit-def: $vgpr12
.LBB159_900:
	s_wait_xcnt 0x0
	v_mov_b32_e32 v13, 0
.LBB159_901:
	s_mov_b32 s54, 0
.LBB159_902:
	s_delay_alu instid0(SALU_CYCLE_1)
	s_and_b32 vcc_lo, exec_lo, s54
	s_cbranch_vccz .LBB159_953
; %bb.903:
	s_cmp_lt_i32 s0, 5
	s_cbranch_scc1 .LBB159_908
; %bb.904:
	s_cmp_lt_i32 s0, 8
	s_cbranch_scc1 .LBB159_909
	;; [unrolled: 3-line block ×3, first 2 shown]
; %bb.906:
	s_cmp_gt_i32 s0, 9
	s_cbranch_scc0 .LBB159_911
; %bb.907:
	global_load_b128 v[12:15], v[8:9], off
	s_mov_b32 s37, 0
	s_wait_loadcnt 0x0
	v_cvt_f32_f64_e32 v12, v[12:13]
	v_cvt_f32_f64_e32 v13, v[14:15]
	s_branch .LBB159_912
.LBB159_908:
	s_mov_b32 s37, -1
                                        ; implicit-def: $vgpr13
	s_branch .LBB159_931
.LBB159_909:
	s_mov_b32 s37, -1
                                        ; implicit-def: $vgpr13
	s_branch .LBB159_918
.LBB159_910:
	s_mov_b32 s37, -1
                                        ; implicit-def: $vgpr13
	s_branch .LBB159_915
.LBB159_911:
	s_mov_b32 s37, -1
                                        ; implicit-def: $vgpr13
.LBB159_912:
	s_delay_alu instid0(SALU_CYCLE_1)
	s_and_not1_b32 vcc_lo, exec_lo, s37
	s_cbranch_vccnz .LBB159_914
; %bb.913:
	global_load_b64 v[12:13], v[8:9], off
.LBB159_914:
	s_mov_b32 s37, 0
.LBB159_915:
	s_delay_alu instid0(SALU_CYCLE_1)
	s_and_not1_b32 vcc_lo, exec_lo, s37
	s_cbranch_vccnz .LBB159_917
; %bb.916:
	global_load_b32 v1, v[8:9], off
	s_wait_loadcnt 0x0
	v_lshrrev_b32_e32 v3, 16, v1
	s_wait_xcnt 0x1
	v_cvt_f32_f16_e32 v12, v1
	s_delay_alu instid0(VALU_DEP_2)
	v_cvt_f32_f16_e32 v13, v3
.LBB159_917:
	s_mov_b32 s37, 0
.LBB159_918:
	s_delay_alu instid0(SALU_CYCLE_1)
	s_and_not1_b32 vcc_lo, exec_lo, s37
	s_cbranch_vccnz .LBB159_930
; %bb.919:
	s_cmp_lt_i32 s0, 6
	s_cbranch_scc1 .LBB159_922
; %bb.920:
	s_cmp_gt_i32 s0, 6
	s_cbranch_scc0 .LBB159_923
; %bb.921:
	s_wait_loadcnt 0x0
	global_load_b64 v[12:13], v[8:9], off
	s_mov_b32 s37, 0
	s_wait_loadcnt 0x0
	v_cvt_f32_f64_e32 v12, v[12:13]
	s_branch .LBB159_924
.LBB159_922:
	s_mov_b32 s37, -1
                                        ; implicit-def: $vgpr12
	s_branch .LBB159_927
.LBB159_923:
	s_mov_b32 s37, -1
                                        ; implicit-def: $vgpr12
.LBB159_924:
	s_delay_alu instid0(SALU_CYCLE_1)
	s_and_not1_b32 vcc_lo, exec_lo, s37
	s_cbranch_vccnz .LBB159_926
; %bb.925:
	s_wait_loadcnt 0x0
	global_load_b32 v12, v[8:9], off
.LBB159_926:
	s_mov_b32 s37, 0
.LBB159_927:
	s_delay_alu instid0(SALU_CYCLE_1)
	s_and_not1_b32 vcc_lo, exec_lo, s37
	s_cbranch_vccnz .LBB159_929
; %bb.928:
	global_load_u16 v1, v[8:9], off
	s_wait_loadcnt 0x0
	s_wait_xcnt 0x1
	v_cvt_f32_f16_e32 v12, v1
.LBB159_929:
	s_wait_loadcnt 0x0
	v_mov_b32_e32 v13, 0
.LBB159_930:
	s_mov_b32 s37, 0
.LBB159_931:
	s_delay_alu instid0(SALU_CYCLE_1)
	s_and_not1_b32 vcc_lo, exec_lo, s37
	s_cbranch_vccnz .LBB159_952
; %bb.932:
	s_cmp_lt_i32 s0, 2
	s_cbranch_scc1 .LBB159_936
; %bb.933:
	s_cmp_lt_i32 s0, 3
	s_cbranch_scc1 .LBB159_937
; %bb.934:
	s_cmp_gt_i32 s0, 3
	s_cbranch_scc0 .LBB159_938
; %bb.935:
	s_wait_loadcnt 0x0
	global_load_b64 v[12:13], v[8:9], off
	s_mov_b32 s37, 0
	s_wait_loadcnt 0x0
	v_xor_b32_e32 v1, v12, v13
	v_cls_i32_e32 v3, v13
	s_delay_alu instid0(VALU_DEP_2) | instskip(NEXT) | instid1(VALU_DEP_1)
	v_ashrrev_i32_e32 v1, 31, v1
	v_add_nc_u32_e32 v1, 32, v1
	s_delay_alu instid0(VALU_DEP_1) | instskip(NEXT) | instid1(VALU_DEP_1)
	v_add_min_u32_e64 v1, v3, -1, v1
	v_lshlrev_b64_e32 v[12:13], v1, v[12:13]
	v_sub_nc_u32_e32 v1, 32, v1
	s_delay_alu instid0(VALU_DEP_2) | instskip(NEXT) | instid1(VALU_DEP_1)
	v_min_u32_e32 v3, 1, v12
	v_or_b32_e32 v3, v13, v3
	s_delay_alu instid0(VALU_DEP_1) | instskip(NEXT) | instid1(VALU_DEP_1)
	v_cvt_f32_i32_e32 v3, v3
	v_ldexp_f32 v12, v3, v1
	s_branch .LBB159_939
.LBB159_936:
	s_mov_b32 s37, -1
                                        ; implicit-def: $vgpr12
	s_branch .LBB159_945
.LBB159_937:
	s_mov_b32 s37, -1
                                        ; implicit-def: $vgpr12
	s_branch .LBB159_942
.LBB159_938:
	s_mov_b32 s37, -1
                                        ; implicit-def: $vgpr12
.LBB159_939:
	s_delay_alu instid0(SALU_CYCLE_1)
	s_and_not1_b32 vcc_lo, exec_lo, s37
	s_cbranch_vccnz .LBB159_941
; %bb.940:
	global_load_b32 v1, v[8:9], off
	s_wait_loadcnt 0x0
	s_wait_xcnt 0x1
	v_cvt_f32_i32_e32 v12, v1
.LBB159_941:
	s_mov_b32 s37, 0
.LBB159_942:
	s_delay_alu instid0(SALU_CYCLE_1)
	s_and_not1_b32 vcc_lo, exec_lo, s37
	s_cbranch_vccnz .LBB159_944
; %bb.943:
	global_load_i16 v1, v[8:9], off
	s_wait_loadcnt 0x0
	s_wait_xcnt 0x1
	v_cvt_f32_i32_e32 v12, v1
.LBB159_944:
	s_mov_b32 s37, 0
.LBB159_945:
	s_delay_alu instid0(SALU_CYCLE_1)
	s_and_not1_b32 vcc_lo, exec_lo, s37
	s_cbranch_vccnz .LBB159_951
; %bb.946:
	s_cmp_gt_i32 s0, 0
	s_mov_b32 s0, 0
	s_cbranch_scc0 .LBB159_948
; %bb.947:
	global_load_i8 v1, v[8:9], off
	s_wait_loadcnt 0x0
	s_wait_xcnt 0x1
	v_cvt_f32_i32_e32 v12, v1
	s_branch .LBB159_949
.LBB159_948:
	s_mov_b32 s0, -1
                                        ; implicit-def: $vgpr12
.LBB159_949:
	s_delay_alu instid0(SALU_CYCLE_1)
	s_and_not1_b32 vcc_lo, exec_lo, s0
	s_cbranch_vccnz .LBB159_951
; %bb.950:
	global_load_u8 v1, v[8:9], off
	s_wait_loadcnt 0x0
	s_wait_xcnt 0x1
	v_cvt_f32_ubyte0_e32 v12, v1
.LBB159_951:
	s_wait_loadcnt 0x0
	v_mov_b32_e32 v13, 0
.LBB159_952:
	s_mov_b32 s37, -1
.LBB159_953:
	s_delay_alu instid0(SALU_CYCLE_1)
	s_and_not1_b32 vcc_lo, exec_lo, s37
	s_cbranch_vccnz .LBB159_961
; %bb.954:
	s_wait_xcnt 0x0
	v_mov_b64_e32 v[8:9], s[28:29]
	v_mov_b64_e32 v[16:17], s[20:21]
	s_wait_loadcnt 0x0
	s_delay_alu instid0(VALU_DEP_3)
	v_dual_mov_b32 v18, v13 :: v_dual_mov_b32 v19, v12
	s_and_b32 s37, s42, 0xff
	v_mov_b32_e32 v3, 0
	s_cmp_lt_i32 s37, 11
	v_pk_mul_f32 v[14:15], v[10:11], v[8:9]
	v_pk_mul_f32 v[8:9], v[10:11], v[8:9] op_sel:[0,1] op_sel_hi:[1,0]
	v_pk_mul_f32 v[6:7], v[6:7], v[16:17] op_sel:[0,1] op_sel_hi:[0,0]
	v_add_nc_u64_e32 v[2:3], s[4:5], v[2:3]
	s_delay_alu instid0(VALU_DEP_4) | instskip(NEXT) | instid1(VALU_DEP_4)
	v_add_f32_e32 v10, v14, v15
	v_pk_add_f32 v[8:9], v[8:9], v[8:9] op_sel:[0,1] op_sel_hi:[0,1] neg_lo:[0,1] neg_hi:[0,1]
	s_delay_alu instid0(VALU_DEP_4) | instskip(SKIP_1) | instid1(VALU_DEP_4)
	v_pk_fma_f32 v[14:15], v[4:5], v[16:17], v[6:7] op_sel_hi:[0,1,1]
	v_pk_fma_f32 v[4:5], v[4:5], v[16:17], v[6:7] op_sel_hi:[0,1,1] neg_lo:[0,0,1] neg_hi:[0,0,1]
	v_pk_mul_f32 v[10:11], v[10:11], v[18:19] op_sel_hi:[0,1]
	s_delay_alu instid0(VALU_DEP_1) | instskip(SKIP_1) | instid1(VALU_DEP_2)
	v_pk_fma_f32 v[18:19], v[8:9], v[12:13], v[10:11]
	v_pk_fma_f32 v[6:7], v[8:9], v[12:13], v[10:11] neg_lo:[0,0,1] neg_hi:[0,0,1]
	v_dual_mov_b32 v5, v15 :: v_dual_mov_b32 v7, v19
	s_delay_alu instid0(VALU_DEP_1)
	v_pk_add_f32 v[4:5], v[4:5], v[6:7]
	s_cbranch_scc1 .LBB159_962
; %bb.955:
	s_and_b32 s54, 0xffff, s37
	s_delay_alu instid0(SALU_CYCLE_1)
	s_cmp_gt_i32 s54, 25
	s_cbranch_scc0 .LBB159_963
; %bb.956:
	s_cmp_gt_i32 s54, 28
	s_cbranch_scc0 .LBB159_964
; %bb.957:
	;; [unrolled: 3-line block ×4, first 2 shown]
	s_mov_b32 s56, 0
	s_mov_b32 s0, -1
	s_cmp_eq_u32 s54, 46
	s_mov_b32 s55, 0
	s_cbranch_scc0 .LBB159_971
; %bb.960:
	v_dual_lshrrev_b32 v1, 16, v4 :: v_dual_lshrrev_b32 v6, 16, v5
	v_cmp_o_f32_e32 vcc_lo, v4, v4
	s_mov_b32 s55, -1
	s_mov_b32 s0, 0
	s_delay_alu instid0(VALU_DEP_2) | instskip(NEXT) | instid1(VALU_DEP_1)
	v_and_b32_e32 v1, 1, v1
	v_add3_u32 v1, v4, v1, 0x7fff
	s_delay_alu instid0(VALU_DEP_1) | instskip(NEXT) | instid1(VALU_DEP_1)
	v_dual_lshrrev_b32 v1, 16, v1 :: v_dual_bitop2_b32 v6, 1, v6 bitop3:0x40
	v_add3_u32 v6, v5, v6, 0x7fff
	s_delay_alu instid0(VALU_DEP_2) | instskip(NEXT) | instid1(VALU_DEP_2)
	v_cndmask_b32_e32 v1, 0x7fc0, v1, vcc_lo
	v_and_b32_e32 v6, 0xffff0000, v6
	v_cmp_o_f32_e32 vcc_lo, v5, v5
	s_delay_alu instid0(VALU_DEP_2) | instskip(NEXT) | instid1(VALU_DEP_1)
	v_cndmask_b32_e32 v6, 0x7fc00000, v6, vcc_lo
	v_or_b32_e32 v1, v6, v1
	global_store_b32 v[2:3], v1, off
	s_branch .LBB159_971
.LBB159_961:
	s_mov_b32 s37, 0
	s_mov_b32 s0, s46
	s_branch .LBB159_1082
.LBB159_962:
	s_mov_b32 s54, -1
	s_mov_b32 s55, 0
	s_mov_b32 s0, s46
	s_branch .LBB159_1040
.LBB159_963:
	s_mov_b32 s56, -1
	s_mov_b32 s55, 0
	s_mov_b32 s0, s46
	s_branch .LBB159_998
.LBB159_964:
	s_mov_b32 s56, -1
	s_mov_b32 s55, 0
	s_mov_b32 s0, s46
	s_branch .LBB159_981
.LBB159_965:
	s_mov_b32 s56, -1
	s_mov_b32 s55, 0
	s_mov_b32 s0, s46
	s_branch .LBB159_977
.LBB159_966:
	s_mov_b32 s37, -1
	s_mov_b32 s55, exec_lo
	v_cmpx_eq_u16_e32 0x80, v1
; %bb.967:
	s_xor_b32 s37, exec_lo, -1
; %bb.968:
	s_or_b32 exec_lo, exec_lo, s55
	s_delay_alu instid0(SALU_CYCLE_1)
	s_and_b32 s37, s37, exec_lo
	s_or_saveexec_b32 s54, s54
	v_mov_b32_e32 v12, 0x7f800001
	s_xor_b32 exec_lo, exec_lo, s54
	s_cbranch_execz .LBB159_873
.LBB159_969:
	v_cmp_ne_u16_e32 vcc_lo, 0, v1
	v_mov_b32_e32 v12, 0
	s_and_not1_b32 s37, s37, exec_lo
	s_and_b32 s55, vcc_lo, exec_lo
	s_delay_alu instid0(SALU_CYCLE_1)
	s_or_b32 s37, s37, s55
	s_or_b32 exec_lo, exec_lo, s54
	s_and_saveexec_b32 s54, s37
	s_cbranch_execnz .LBB159_874
	s_branch .LBB159_875
.LBB159_970:
	s_mov_b32 s56, -1
	s_mov_b32 s55, 0
	s_mov_b32 s0, s46
.LBB159_971:
	s_and_b32 vcc_lo, exec_lo, s56
	s_cbranch_vccz .LBB159_976
; %bb.972:
	s_cmp_eq_u32 s54, 44
	s_mov_b32 s0, -1
	s_cbranch_scc0 .LBB159_976
; %bb.973:
	v_bfe_u32 v6, v4, 23, 8
	s_wait_xcnt 0x0
	v_mov_b32_e32 v1, 0xff
	s_mov_b32 s55, exec_lo
	s_delay_alu instid0(VALU_DEP_2)
	v_cmpx_ne_u32_e32 0xff, v6
	s_cbranch_execz .LBB159_975
; %bb.974:
	v_and_b32_e32 v1, 0x400000, v4
	v_and_or_b32 v6, 0x3fffff, v4, v6
	s_delay_alu instid0(VALU_DEP_2) | instskip(NEXT) | instid1(VALU_DEP_2)
	v_cmp_ne_u32_e32 vcc_lo, 0, v1
	v_cmp_ne_u32_e64 s0, 0, v6
	v_lshrrev_b32_e32 v1, 23, v4
	s_and_b32 s0, vcc_lo, s0
	s_delay_alu instid0(SALU_CYCLE_1) | instskip(NEXT) | instid1(VALU_DEP_1)
	v_cndmask_b32_e64 v6, 0, 1, s0
	v_add_nc_u32_e32 v1, v1, v6
.LBB159_975:
	s_or_b32 exec_lo, exec_lo, s55
	s_mov_b32 s55, -1
	s_mov_b32 s0, 0
	global_store_b8 v[2:3], v1, off
.LBB159_976:
	s_mov_b32 s56, 0
.LBB159_977:
	s_delay_alu instid0(SALU_CYCLE_1)
	s_and_b32 vcc_lo, exec_lo, s56
	s_cbranch_vccz .LBB159_980
; %bb.978:
	s_cmp_eq_u32 s54, 29
	s_mov_b32 s0, -1
	s_cbranch_scc0 .LBB159_980
; %bb.979:
	s_wait_xcnt 0x0
	v_trunc_f32_e32 v1, v4
	s_mov_b32 s55, -1
	s_mov_b32 s0, 0
	s_mov_b32 s56, 0
	s_delay_alu instid0(VALU_DEP_1) | instskip(NEXT) | instid1(VALU_DEP_1)
	v_mul_f32_e32 v6, 0x2f800000, v1
	v_floor_f32_e32 v6, v6
	s_delay_alu instid0(VALU_DEP_1) | instskip(SKIP_1) | instid1(VALU_DEP_2)
	v_fmamk_f32 v1, v6, 0xcf800000, v1
	v_cvt_u32_f32_e32 v7, v6
	v_cvt_u32_f32_e32 v6, v1
	global_store_b64 v[2:3], v[6:7], off
	s_branch .LBB159_981
.LBB159_980:
	s_mov_b32 s56, 0
.LBB159_981:
	s_delay_alu instid0(SALU_CYCLE_1)
	s_and_b32 vcc_lo, exec_lo, s56
	s_cbranch_vccz .LBB159_997
; %bb.982:
	s_cmp_lt_i32 s54, 27
	s_mov_b32 s55, -1
	s_cbranch_scc1 .LBB159_988
; %bb.983:
	s_cmp_gt_i32 s54, 27
	s_cbranch_scc0 .LBB159_985
; %bb.984:
	s_wait_xcnt 0x0
	v_cvt_u32_f32_e32 v1, v4
	s_mov_b32 s55, 0
	global_store_b32 v[2:3], v1, off
.LBB159_985:
	s_and_not1_b32 vcc_lo, exec_lo, s55
	s_cbranch_vccnz .LBB159_987
; %bb.986:
	s_wait_xcnt 0x0
	v_cvt_u32_f32_e32 v1, v4
	global_store_b16 v[2:3], v1, off
.LBB159_987:
	s_mov_b32 s55, 0
.LBB159_988:
	s_delay_alu instid0(SALU_CYCLE_1)
	s_and_not1_b32 vcc_lo, exec_lo, s55
	s_cbranch_vccnz .LBB159_996
; %bb.989:
	s_wait_xcnt 0x0
	v_and_b32_e32 v1, 0x7fffffff, v4
	v_mov_b32_e32 v6, 0x80
	s_mov_b32 s55, exec_lo
	s_delay_alu instid0(VALU_DEP_2)
	v_cmpx_gt_u32_e32 0x43800000, v1
	s_cbranch_execz .LBB159_995
; %bb.990:
	v_cmp_lt_u32_e32 vcc_lo, 0x3bffffff, v1
	s_mov_b32 s56, 0
                                        ; implicit-def: $vgpr1
	s_and_saveexec_b32 s57, vcc_lo
	s_delay_alu instid0(SALU_CYCLE_1)
	s_xor_b32 s57, exec_lo, s57
	s_cbranch_execnz .LBB159_1382
; %bb.991:
	s_and_not1_saveexec_b32 s57, s57
	s_cbranch_execnz .LBB159_1383
.LBB159_992:
	s_or_b32 exec_lo, exec_lo, s57
	v_mov_b32_e32 v6, 0
	s_and_saveexec_b32 s57, s56
.LBB159_993:
	v_lshrrev_b32_e32 v6, 24, v4
	s_delay_alu instid0(VALU_DEP_1)
	v_and_or_b32 v6, 0x80, v6, v1
.LBB159_994:
	s_or_b32 exec_lo, exec_lo, s57
.LBB159_995:
	s_delay_alu instid0(SALU_CYCLE_1)
	s_or_b32 exec_lo, exec_lo, s55
	global_store_b8 v[2:3], v6, off
.LBB159_996:
	s_mov_b32 s55, -1
.LBB159_997:
	s_mov_b32 s56, 0
.LBB159_998:
	s_delay_alu instid0(SALU_CYCLE_1)
	s_and_b32 vcc_lo, exec_lo, s56
	s_cbranch_vccz .LBB159_1039
; %bb.999:
	s_cmp_gt_i32 s54, 22
	s_mov_b32 s56, -1
	s_cbranch_scc0 .LBB159_1031
; %bb.1000:
	s_cmp_lt_i32 s54, 24
	s_mov_b32 s55, -1
	s_cbranch_scc1 .LBB159_1020
; %bb.1001:
	s_cmp_gt_i32 s54, 24
	s_cbranch_scc0 .LBB159_1009
; %bb.1002:
	s_wait_xcnt 0x0
	v_and_b32_e32 v1, 0x7fffffff, v4
	v_mov_b32_e32 v6, 0x80
	s_mov_b32 s55, exec_lo
	s_delay_alu instid0(VALU_DEP_2)
	v_cmpx_gt_u32_e32 0x47800000, v1
	s_cbranch_execz .LBB159_1008
; %bb.1003:
	v_cmp_lt_u32_e32 vcc_lo, 0x37ffffff, v1
	s_mov_b32 s56, 0
                                        ; implicit-def: $vgpr1
	s_and_saveexec_b32 s57, vcc_lo
	s_delay_alu instid0(SALU_CYCLE_1)
	s_xor_b32 s57, exec_lo, s57
	s_cbranch_execnz .LBB159_3032
; %bb.1004:
	s_and_not1_saveexec_b32 s57, s57
	s_cbranch_execnz .LBB159_3033
.LBB159_1005:
	s_or_b32 exec_lo, exec_lo, s57
	v_mov_b32_e32 v6, 0
	s_and_saveexec_b32 s57, s56
.LBB159_1006:
	v_lshrrev_b32_e32 v6, 24, v4
	s_delay_alu instid0(VALU_DEP_1)
	v_and_or_b32 v6, 0x80, v6, v1
.LBB159_1007:
	s_or_b32 exec_lo, exec_lo, s57
.LBB159_1008:
	s_delay_alu instid0(SALU_CYCLE_1)
	s_or_b32 exec_lo, exec_lo, s55
	s_mov_b32 s55, 0
	global_store_b8 v[2:3], v6, off
.LBB159_1009:
	s_and_b32 vcc_lo, exec_lo, s55
	s_cbranch_vccz .LBB159_1019
; %bb.1010:
	s_wait_xcnt 0x0
	v_and_b32_e32 v6, 0x7fffffff, v4
	s_mov_b32 s55, exec_lo
                                        ; implicit-def: $vgpr1
	s_delay_alu instid0(VALU_DEP_1)
	v_cmpx_gt_u32_e32 0x43f00000, v6
	s_xor_b32 s55, exec_lo, s55
	s_cbranch_execz .LBB159_1016
; %bb.1011:
	s_mov_b32 s56, exec_lo
                                        ; implicit-def: $vgpr1
	v_cmpx_lt_u32_e32 0x3c7fffff, v6
	s_xor_b32 s56, exec_lo, s56
; %bb.1012:
	v_bfe_u32 v1, v4, 20, 1
	s_delay_alu instid0(VALU_DEP_1) | instskip(NEXT) | instid1(VALU_DEP_1)
	v_add3_u32 v1, v4, v1, 0x407ffff
	v_and_b32_e32 v6, 0xff00000, v1
	v_lshrrev_b32_e32 v1, 20, v1
	s_delay_alu instid0(VALU_DEP_2) | instskip(NEXT) | instid1(VALU_DEP_2)
	v_cmp_ne_u32_e32 vcc_lo, 0x7f00000, v6
	v_cndmask_b32_e32 v1, 0x7e, v1, vcc_lo
; %bb.1013:
	s_and_not1_saveexec_b32 s56, s56
; %bb.1014:
	v_add_f32_e64 v1, 0x46800000, |v4|
; %bb.1015:
	s_or_b32 exec_lo, exec_lo, s56
                                        ; implicit-def: $vgpr6
.LBB159_1016:
	s_and_not1_saveexec_b32 s55, s55
; %bb.1017:
	v_mov_b32_e32 v1, 0x7f
	v_cmp_lt_u32_e32 vcc_lo, 0x7f800000, v6
	s_delay_alu instid0(VALU_DEP_2)
	v_cndmask_b32_e32 v1, 0x7e, v1, vcc_lo
; %bb.1018:
	s_or_b32 exec_lo, exec_lo, s55
	v_lshrrev_b32_e32 v6, 24, v4
	s_delay_alu instid0(VALU_DEP_1)
	v_and_or_b32 v1, 0x80, v6, v1
	global_store_b8 v[2:3], v1, off
.LBB159_1019:
	s_mov_b32 s55, 0
.LBB159_1020:
	s_delay_alu instid0(SALU_CYCLE_1)
	s_and_not1_b32 vcc_lo, exec_lo, s55
	s_cbranch_vccnz .LBB159_1030
; %bb.1021:
	s_wait_xcnt 0x0
	v_and_b32_e32 v6, 0x7fffffff, v4
	s_mov_b32 s55, exec_lo
                                        ; implicit-def: $vgpr1
	s_delay_alu instid0(VALU_DEP_1)
	v_cmpx_gt_u32_e32 0x47800000, v6
	s_xor_b32 s55, exec_lo, s55
	s_cbranch_execz .LBB159_1027
; %bb.1022:
	s_mov_b32 s56, exec_lo
                                        ; implicit-def: $vgpr1
	v_cmpx_lt_u32_e32 0x387fffff, v6
	s_xor_b32 s56, exec_lo, s56
; %bb.1023:
	v_bfe_u32 v1, v4, 21, 1
	s_delay_alu instid0(VALU_DEP_1) | instskip(NEXT) | instid1(VALU_DEP_1)
	v_add3_u32 v1, v4, v1, 0x80fffff
	v_lshrrev_b32_e32 v1, 21, v1
; %bb.1024:
	s_and_not1_saveexec_b32 s56, s56
; %bb.1025:
	v_add_f32_e64 v1, 0x43000000, |v4|
; %bb.1026:
	s_or_b32 exec_lo, exec_lo, s56
                                        ; implicit-def: $vgpr6
.LBB159_1027:
	s_and_not1_saveexec_b32 s55, s55
; %bb.1028:
	v_mov_b32_e32 v1, 0x7f
	v_cmp_lt_u32_e32 vcc_lo, 0x7f800000, v6
	s_delay_alu instid0(VALU_DEP_2)
	v_cndmask_b32_e32 v1, 0x7c, v1, vcc_lo
; %bb.1029:
	s_or_b32 exec_lo, exec_lo, s55
	v_lshrrev_b32_e32 v6, 24, v4
	s_delay_alu instid0(VALU_DEP_1)
	v_and_or_b32 v1, 0x80, v6, v1
	global_store_b8 v[2:3], v1, off
.LBB159_1030:
	s_mov_b32 s56, 0
	s_mov_b32 s55, -1
.LBB159_1031:
	s_and_not1_b32 vcc_lo, exec_lo, s56
	s_cbranch_vccnz .LBB159_1039
; %bb.1032:
	s_cmp_gt_i32 s54, 14
	s_mov_b32 s56, -1
	s_cbranch_scc0 .LBB159_1036
; %bb.1033:
	s_cmp_eq_u32 s54, 15
	s_mov_b32 s0, -1
	s_cbranch_scc0 .LBB159_1035
; %bb.1034:
	s_wait_xcnt 0x0
	v_bfe_u32 v1, v4, 16, 1
	v_cmp_o_f32_e32 vcc_lo, v4, v4
	s_mov_b32 s55, -1
	s_mov_b32 s0, 0
	s_delay_alu instid0(VALU_DEP_2) | instskip(NEXT) | instid1(VALU_DEP_1)
	v_add3_u32 v1, v4, v1, 0x7fff
	v_lshrrev_b32_e32 v1, 16, v1
	s_delay_alu instid0(VALU_DEP_1)
	v_cndmask_b32_e32 v1, 0x7fc0, v1, vcc_lo
	global_store_b16 v[2:3], v1, off
.LBB159_1035:
	s_mov_b32 s56, 0
.LBB159_1036:
	s_delay_alu instid0(SALU_CYCLE_1)
	s_and_b32 vcc_lo, exec_lo, s56
	s_cbranch_vccz .LBB159_1039
; %bb.1037:
	s_cmp_eq_u32 s54, 11
	s_mov_b32 s0, -1
	s_cbranch_scc0 .LBB159_1039
; %bb.1038:
	v_cmp_neq_f32_e32 vcc_lo, 0, v4
	v_cmp_neq_f32_e64 s0, 0, v5
	s_mov_b32 s55, -1
	s_or_b32 s0, vcc_lo, s0
	s_wait_xcnt 0x0
	v_cndmask_b32_e64 v1, 0, 1, s0
	s_mov_b32 s0, 0
	global_store_b8 v[2:3], v1, off
.LBB159_1039:
	s_mov_b32 s54, 0
.LBB159_1040:
	s_delay_alu instid0(SALU_CYCLE_1)
	s_and_b32 vcc_lo, exec_lo, s54
	s_cbranch_vccz .LBB159_1079
; %bb.1041:
	s_and_b32 s37, 0xffff, s37
	s_mov_b32 s54, -1
	s_cmp_lt_i32 s37, 5
	s_cbranch_scc1 .LBB159_1062
; %bb.1042:
	s_cmp_lt_i32 s37, 8
	s_cbranch_scc1 .LBB159_1052
; %bb.1043:
	s_cmp_lt_i32 s37, 9
	s_cbranch_scc1 .LBB159_1049
; %bb.1044:
	s_cmp_gt_i32 s37, 9
	s_cbranch_scc0 .LBB159_1046
; %bb.1045:
	s_wait_xcnt 0x0
	v_cvt_f64_f32_e32 v[6:7], v4
	v_cvt_f64_f32_e32 v[8:9], v5
	s_mov_b32 s54, 0
	global_store_b128 v[2:3], v[6:9], off
.LBB159_1046:
	s_and_not1_b32 vcc_lo, exec_lo, s54
	s_cbranch_vccnz .LBB159_1048
; %bb.1047:
	global_store_b64 v[2:3], v[4:5], off
.LBB159_1048:
	s_mov_b32 s54, 0
.LBB159_1049:
	s_delay_alu instid0(SALU_CYCLE_1)
	s_and_not1_b32 vcc_lo, exec_lo, s54
	s_cbranch_vccnz .LBB159_1051
; %bb.1050:
	s_wait_xcnt 0x0
	v_cvt_f16_f32_e32 v1, v5
	v_cvt_f16_f32_e32 v5, v4
	s_delay_alu instid0(VALU_DEP_2) | instskip(NEXT) | instid1(VALU_DEP_2)
	v_lshlrev_b32_e32 v1, 16, v1
	v_and_b32_e32 v5, 0xffff, v5
	s_delay_alu instid0(VALU_DEP_1)
	v_or_b32_e32 v1, v1, v5
	global_store_b32 v[2:3], v1, off
.LBB159_1051:
	s_mov_b32 s54, 0
.LBB159_1052:
	s_delay_alu instid0(SALU_CYCLE_1)
	s_and_not1_b32 vcc_lo, exec_lo, s54
	s_cbranch_vccnz .LBB159_1061
; %bb.1053:
	s_cmp_lt_i32 s37, 6
	s_mov_b32 s54, -1
	s_cbranch_scc1 .LBB159_1059
; %bb.1054:
	s_cmp_gt_i32 s37, 6
	s_cbranch_scc0 .LBB159_1056
; %bb.1055:
	s_wait_xcnt 0x0
	v_cvt_f64_f32_e32 v[6:7], v4
	s_mov_b32 s54, 0
	global_store_b64 v[2:3], v[6:7], off
.LBB159_1056:
	s_and_not1_b32 vcc_lo, exec_lo, s54
	s_cbranch_vccnz .LBB159_1058
; %bb.1057:
	global_store_b32 v[2:3], v4, off
.LBB159_1058:
	s_mov_b32 s54, 0
.LBB159_1059:
	s_delay_alu instid0(SALU_CYCLE_1)
	s_and_not1_b32 vcc_lo, exec_lo, s54
	s_cbranch_vccnz .LBB159_1061
; %bb.1060:
	s_wait_xcnt 0x0
	v_cvt_f16_f32_e32 v1, v4
	global_store_b16 v[2:3], v1, off
.LBB159_1061:
	s_mov_b32 s54, 0
.LBB159_1062:
	s_delay_alu instid0(SALU_CYCLE_1)
	s_and_not1_b32 vcc_lo, exec_lo, s54
	s_cbranch_vccnz .LBB159_1078
; %bb.1063:
	s_cmp_lt_i32 s37, 2
	s_mov_b32 s54, -1
	s_cbranch_scc1 .LBB159_1073
; %bb.1064:
	s_cmp_lt_i32 s37, 3
	s_cbranch_scc1 .LBB159_1070
; %bb.1065:
	s_cmp_gt_i32 s37, 3
	s_cbranch_scc0 .LBB159_1067
; %bb.1066:
	s_wait_xcnt 0x0
	v_trunc_f32_e32 v1, v4
	s_mov_b32 s54, 0
	s_delay_alu instid0(VALU_DEP_1) | instskip(SKIP_1) | instid1(VALU_DEP_2)
	v_mul_f32_e64 v5, 0x2f800000, |v1|
	v_ashrrev_i32_e32 v6, 31, v1
	v_floor_f32_e32 v5, v5
	s_delay_alu instid0(VALU_DEP_1) | instskip(SKIP_1) | instid1(VALU_DEP_2)
	v_fma_f32 v7, 0xcf800000, v5, |v1|
	v_cvt_u32_f32_e32 v1, v5
	v_cvt_u32_f32_e32 v5, v7
	s_delay_alu instid0(VALU_DEP_2) | instskip(NEXT) | instid1(VALU_DEP_2)
	v_dual_mov_b32 v7, v6 :: v_dual_bitop2_b32 v9, v1, v6 bitop3:0x14
	v_xor_b32_e32 v8, v5, v6
	s_delay_alu instid0(VALU_DEP_1)
	v_sub_nc_u64_e32 v[6:7], v[8:9], v[6:7]
	global_store_b64 v[2:3], v[6:7], off
.LBB159_1067:
	s_and_not1_b32 vcc_lo, exec_lo, s54
	s_cbranch_vccnz .LBB159_1069
; %bb.1068:
	s_wait_xcnt 0x0
	v_cvt_i32_f32_e32 v1, v4
	global_store_b32 v[2:3], v1, off
.LBB159_1069:
	s_mov_b32 s54, 0
.LBB159_1070:
	s_delay_alu instid0(SALU_CYCLE_1)
	s_and_not1_b32 vcc_lo, exec_lo, s54
	s_cbranch_vccnz .LBB159_1072
; %bb.1071:
	s_wait_xcnt 0x0
	v_cvt_i32_f32_e32 v1, v4
	global_store_b16 v[2:3], v1, off
.LBB159_1072:
	s_mov_b32 s54, 0
.LBB159_1073:
	s_delay_alu instid0(SALU_CYCLE_1)
	s_and_not1_b32 vcc_lo, exec_lo, s54
	s_cbranch_vccnz .LBB159_1078
; %bb.1074:
	s_cmp_gt_i32 s37, 0
	s_mov_b32 s37, -1
	s_cbranch_scc0 .LBB159_1076
; %bb.1075:
	s_wait_xcnt 0x0
	v_cvt_i32_f32_e32 v1, v4
	s_mov_b32 s37, 0
	global_store_b8 v[2:3], v1, off
.LBB159_1076:
	s_and_not1_b32 vcc_lo, exec_lo, s37
	s_cbranch_vccnz .LBB159_1078
; %bb.1077:
	s_wait_xcnt 0x0
	v_trunc_f32_e32 v1, v4
	s_delay_alu instid0(VALU_DEP_1) | instskip(NEXT) | instid1(VALU_DEP_1)
	v_mul_f32_e64 v4, 0x2f800000, |v1|
	v_floor_f32_e32 v4, v4
	s_delay_alu instid0(VALU_DEP_1) | instskip(SKIP_1) | instid1(VALU_DEP_2)
	v_fma_f32 v4, 0xcf800000, v4, |v1|
	v_ashrrev_i32_e32 v1, 31, v1
	v_cvt_u32_f32_e32 v4, v4
	s_delay_alu instid0(VALU_DEP_1) | instskip(NEXT) | instid1(VALU_DEP_1)
	v_xor_b32_e32 v4, v4, v1
	v_sub_nc_u32_e32 v1, v4, v1
	global_store_b8 v[2:3], v1, off
.LBB159_1078:
	s_mov_b32 s55, -1
.LBB159_1079:
	s_delay_alu instid0(SALU_CYCLE_1)
	s_and_not1_b32 vcc_lo, exec_lo, s55
	s_cbranch_vccnz .LBB159_1081
; %bb.1080:
	v_add_nc_u32_e32 v0, 0x80, v0
	s_mov_b32 s37, -1
	s_branch .LBB159_1083
.LBB159_1081:
	s_mov_b32 s37, 0
.LBB159_1082:
                                        ; implicit-def: $vgpr0
.LBB159_1083:
	s_and_not1_b32 s54, s46, exec_lo
	s_and_b32 s0, s0, exec_lo
	s_and_not1_b32 s56, s50, exec_lo
	s_and_b32 s36, s36, exec_lo
	s_or_b32 s55, s54, s0
	s_or_b32 s56, s56, s36
	s_and_not1_b32 s0, s51, exec_lo
	s_and_b32 s23, s23, exec_lo
	s_and_not1_b32 s36, s52, exec_lo
	s_and_b32 s22, s22, exec_lo
	s_or_b32 s57, s0, s23
	s_or_b32 s54, s36, s22
	s_or_not1_b32 s37, s37, exec_lo
.LBB159_1084:
	s_wait_xcnt 0x0
	s_or_b32 exec_lo, exec_lo, s58
	s_mov_b32 s36, 0
	s_mov_b32 s23, 0
	;; [unrolled: 1-line block ×3, first 2 shown]
                                        ; implicit-def: $sgpr0
                                        ; implicit-def: $vgpr12_vgpr13
                                        ; implicit-def: $vgpr2
                                        ; implicit-def: $vgpr8
                                        ; implicit-def: $vgpr10
                                        ; implicit-def: $vgpr6
                                        ; implicit-def: $vgpr4
	s_and_saveexec_b32 s58, s37
	s_cbranch_execz .LBB159_1725
; %bb.1085:
	s_mov_b32 s37, -1
	s_mov_b32 s60, s54
	s_mov_b32 s62, s57
	;; [unrolled: 1-line block ×4, first 2 shown]
	s_mov_b32 s59, exec_lo
	v_cmpx_gt_i32_e64 s48, v0
	s_cbranch_execz .LBB159_1632
; %bb.1086:
	s_and_not1_b32 vcc_lo, exec_lo, s40
	s_cbranch_vccnz .LBB159_1092
; %bb.1087:
	s_and_not1_b32 vcc_lo, exec_lo, s49
	s_cbranch_vccnz .LBB159_1093
; %bb.1088:
	s_wait_loadcnt 0x0
	v_dual_mov_b32 v10, 0 :: v_dual_mov_b32 v1, v0
	v_dual_mov_b32 v8, 0 :: v_dual_mov_b32 v2, 0
	v_mov_b32_e32 v4, 0
	s_add_co_i32 s0, s47, 1
	s_mov_b64 s[22:23], 0xffffffffffffffe0
	s_and_b32 s0, s0, 30
	s_add_nc_u64 s[22:23], s[2:3], s[22:23]
	s_mov_b64 s[36:37], s[2:3]
.LBB159_1089:                           ; =>This Inner Loop Header: Depth=1
	s_clause 0x1
	s_load_b128 s[68:71], s[36:37], 0x4
	s_load_b64 s[72:73], s[36:37], 0x14
	s_load_b256 s[60:67], s[22:23], 0xe4
	s_add_co_i32 s0, s0, -2
	s_wait_xcnt 0x0
	s_add_nc_u64 s[36:37], s[36:37], 24
	s_cmp_eq_u32 s0, 0
	s_add_nc_u64 s[22:23], s[22:23], 32
	s_wait_kmcnt 0x0
	v_mul_hi_u32 v3, s69, v1
	s_delay_alu instid0(VALU_DEP_1) | instskip(NEXT) | instid1(VALU_DEP_1)
	v_add_nc_u32_e32 v3, v1, v3
	v_lshrrev_b32_e32 v3, s70, v3
	s_delay_alu instid0(VALU_DEP_1) | instskip(SKIP_1) | instid1(VALU_DEP_1)
	v_mul_hi_u32 v5, s72, v3
	v_mul_lo_u32 v6, v3, s68
	v_dual_add_nc_u32 v5, v3, v5 :: v_dual_sub_nc_u32 v6, v1, v6
	s_delay_alu instid0(VALU_DEP_1) | instskip(NEXT) | instid1(VALU_DEP_2)
	v_lshrrev_b32_e32 v1, s73, v5
	v_mad_u32 v4, v6, s61, v4
	v_mad_u32 v2, v6, s60, v2
	;; [unrolled: 1-line block ×4, first 2 shown]
	v_mul_lo_u32 v5, v1, s71
	s_delay_alu instid0(VALU_DEP_1) | instskip(NEXT) | instid1(VALU_DEP_1)
	v_sub_nc_u32_e32 v3, v3, v5
	v_mad_u32 v4, v3, s65, v4
	v_mad_u32 v2, v3, s64, v2
	;; [unrolled: 1-line block ×4, first 2 shown]
	s_cbranch_scc0 .LBB159_1089
; %bb.1090:
	s_bitcmp1_b32 s47, 0
	s_cselect_b32 s0, -1, 0
	s_delay_alu instid0(SALU_CYCLE_1)
	s_and_b32 vcc_lo, exec_lo, s0
	s_cbranch_vccnz .LBB159_1094
; %bb.1091:
	s_load_b96 s[64:66], s[36:37], 0x4
	s_load_b128 s[60:63], s[22:23], 0xe4
	s_wait_kmcnt 0x0
	v_mul_hi_u32 v3, s65, v1
	s_delay_alu instid0(VALU_DEP_1) | instskip(NEXT) | instid1(VALU_DEP_1)
	v_add_nc_u32_e32 v3, v1, v3
	v_lshrrev_b32_e32 v3, s66, v3
	s_delay_alu instid0(VALU_DEP_1) | instskip(NEXT) | instid1(VALU_DEP_1)
	v_mul_lo_u32 v3, v3, s64
	v_sub_nc_u32_e32 v1, v1, v3
	s_delay_alu instid0(VALU_DEP_1)
	v_mad_u32 v2, v1, s60, v2
	v_mad_u32 v4, v1, s61, v4
	;; [unrolled: 1-line block ×4, first 2 shown]
	s_branch .LBB159_1094
.LBB159_1092:
	s_mov_b32 s0, -1
                                        ; implicit-def: $vgpr4
                                        ; implicit-def: $vgpr2
                                        ; implicit-def: $vgpr8
                                        ; implicit-def: $vgpr10
	s_branch .LBB159_1095
.LBB159_1093:
	s_wait_loadcnt 0x0
	v_dual_mov_b32 v4, 0 :: v_dual_mov_b32 v2, 0
	v_dual_mov_b32 v8, 0 :: v_dual_mov_b32 v10, 0
.LBB159_1094:
	s_mov_b32 s0, 0
.LBB159_1095:
	s_delay_alu instid0(SALU_CYCLE_1)
	s_and_not1_b32 vcc_lo, exec_lo, s0
	s_cbranch_vccnz .LBB159_1098
; %bb.1096:
	v_mov_b32_e32 v1, 0
	s_and_not1_b32 vcc_lo, exec_lo, s45
	s_delay_alu instid0(VALU_DEP_1) | instskip(NEXT) | instid1(VALU_DEP_1)
	v_mul_u64_e32 v[2:3], s[30:31], v[0:1]
	v_add_nc_u32_e32 v2, v0, v3
	s_delay_alu instid0(VALU_DEP_1) | instskip(NEXT) | instid1(VALU_DEP_1)
	v_lshrrev_b32_e32 v6, s26, v2
	v_mul_lo_u32 v2, v6, s24
	s_delay_alu instid0(VALU_DEP_1) | instskip(SKIP_1) | instid1(VALU_DEP_1)
	v_sub_nc_u32_e32 v3, v0, v2
	s_wait_loadcnt 0x0
	v_mul_lo_u32 v4, v3, s13
	v_mul_lo_u32 v2, v3, s12
	;; [unrolled: 1-line block ×4, first 2 shown]
	s_cbranch_vccnz .LBB159_1098
; %bb.1097:
	v_mov_b32_e32 v7, v1
	s_delay_alu instid0(VALU_DEP_1) | instskip(NEXT) | instid1(VALU_DEP_1)
	v_mul_u64_e32 v[12:13], s[34:35], v[6:7]
	v_add_nc_u32_e32 v1, v6, v13
	s_delay_alu instid0(VALU_DEP_1) | instskip(NEXT) | instid1(VALU_DEP_1)
	v_lshrrev_b32_e32 v1, s1, v1
	v_mul_lo_u32 v1, v1, s27
	s_delay_alu instid0(VALU_DEP_1) | instskip(NEXT) | instid1(VALU_DEP_1)
	v_sub_nc_u32_e32 v1, v6, v1
	v_mad_u32 v2, v1, s16, v2
	v_mad_u32 v4, v1, s17, v4
	v_mad_u32 v10, v1, s18, v10
	v_mad_u32 v8, v1, s19, v8
.LBB159_1098:
	v_mov_b32_e32 v5, 0
	s_and_b32 s0, s44, 0xff
	s_delay_alu instid0(SALU_CYCLE_1) | instskip(SKIP_1) | instid1(VALU_DEP_1)
	s_cmp_lt_i32 s0, 11
	s_wait_loadcnt 0x0
	v_add_nc_u64_e32 v[12:13], s[6:7], v[4:5]
	s_cbranch_scc1 .LBB159_1105
; %bb.1099:
	s_and_b32 s23, 0xffff, s0
	s_delay_alu instid0(SALU_CYCLE_1)
	s_cmp_gt_i32 s23, 25
	s_cbranch_scc0 .LBB159_1106
; %bb.1100:
	s_cmp_gt_i32 s23, 28
	s_cbranch_scc0 .LBB159_1107
; %bb.1101:
	;; [unrolled: 3-line block ×4, first 2 shown]
	s_cmp_eq_u32 s23, 46
	s_mov_b32 s37, 0
	s_cbranch_scc0 .LBB159_1110
; %bb.1104:
	global_load_b32 v1, v[12:13], off
	s_mov_b32 s36, -1
	s_mov_b32 s22, 0
	s_wait_loadcnt 0x0
	v_and_b32_e32 v6, 0xffff0000, v1
	v_lshlrev_b32_e32 v4, 16, v1
	s_branch .LBB159_1112
.LBB159_1105:
	s_mov_b32 s23, -1
	s_mov_b32 s36, 0
	s_mov_b32 s22, s54
                                        ; implicit-def: $vgpr6
                                        ; implicit-def: $vgpr4
	s_branch .LBB159_1176
.LBB159_1106:
	s_mov_b32 s37, -1
	s_mov_b32 s36, 0
	s_mov_b32 s22, s54
                                        ; implicit-def: $vgpr6
                                        ; implicit-def: $vgpr4
	s_branch .LBB159_1141
.LBB159_1107:
	s_mov_b32 s37, -1
	s_mov_b32 s36, 0
	s_mov_b32 s22, s54
                                        ; implicit-def: $vgpr6
                                        ; implicit-def: $vgpr4
	s_branch .LBB159_1124
.LBB159_1108:
	s_mov_b32 s37, -1
	s_mov_b32 s36, 0
	s_mov_b32 s22, s54
                                        ; implicit-def: $vgpr6
                                        ; implicit-def: $vgpr4
	s_branch .LBB159_1118
.LBB159_1109:
	s_mov_b32 s37, -1
	s_mov_b32 s36, 0
	s_mov_b32 s22, s54
	s_branch .LBB159_1111
.LBB159_1110:
	s_mov_b32 s22, -1
	s_mov_b32 s36, 0
.LBB159_1111:
                                        ; implicit-def: $vgpr6
                                        ; implicit-def: $vgpr4
.LBB159_1112:
	s_and_b32 vcc_lo, exec_lo, s37
	s_cbranch_vccz .LBB159_1117
; %bb.1113:
	s_cmp_eq_u32 s23, 44
	s_cbranch_scc0 .LBB159_1115
; %bb.1114:
	global_load_u8 v1, v[12:13], off
	s_mov_b32 s22, 0
	s_mov_b32 s36, -1
	s_wait_loadcnt 0x0
	v_lshlrev_b32_e32 v3, 23, v1
	v_cmp_ne_u32_e32 vcc_lo, 0xff, v1
	s_delay_alu instid0(VALU_DEP_2) | instskip(SKIP_1) | instid1(VALU_DEP_2)
	v_cndmask_b32_e32 v3, 0x7f800001, v3, vcc_lo
	v_cmp_ne_u32_e32 vcc_lo, 0, v1
	v_cndmask_b32_e32 v4, 0x400000, v3, vcc_lo
	s_branch .LBB159_1116
.LBB159_1115:
	s_mov_b32 s22, -1
                                        ; implicit-def: $vgpr4
.LBB159_1116:
	v_mov_b32_e32 v6, 0
.LBB159_1117:
	s_mov_b32 s37, 0
.LBB159_1118:
	s_delay_alu instid0(SALU_CYCLE_1)
	s_and_b32 vcc_lo, exec_lo, s37
	s_cbranch_vccz .LBB159_1123
; %bb.1119:
	s_cmp_eq_u32 s23, 29
	s_cbranch_scc0 .LBB159_1121
; %bb.1120:
	global_load_b64 v[4:5], v[12:13], off
	s_mov_b32 s36, -1
	s_mov_b32 s22, 0
	s_wait_loadcnt 0x0
	v_clz_i32_u32_e32 v1, v5
	s_delay_alu instid0(VALU_DEP_1) | instskip(NEXT) | instid1(VALU_DEP_1)
	v_min_u32_e32 v1, 32, v1
	v_lshlrev_b64_e32 v[4:5], v1, v[4:5]
	v_sub_nc_u32_e32 v1, 32, v1
	s_delay_alu instid0(VALU_DEP_2) | instskip(NEXT) | instid1(VALU_DEP_1)
	v_min_u32_e32 v3, 1, v4
	v_or_b32_e32 v3, v5, v3
	s_delay_alu instid0(VALU_DEP_1) | instskip(NEXT) | instid1(VALU_DEP_1)
	v_cvt_f32_u32_e32 v3, v3
	v_ldexp_f32 v4, v3, v1
	s_branch .LBB159_1122
.LBB159_1121:
	s_mov_b32 s22, -1
                                        ; implicit-def: $vgpr4
.LBB159_1122:
	v_mov_b32_e32 v6, 0
.LBB159_1123:
	s_mov_b32 s37, 0
.LBB159_1124:
	s_delay_alu instid0(SALU_CYCLE_1)
	s_and_b32 vcc_lo, exec_lo, s37
	s_cbranch_vccz .LBB159_1140
; %bb.1125:
	s_cmp_lt_i32 s23, 27
	s_cbranch_scc1 .LBB159_1128
; %bb.1126:
	s_cmp_gt_i32 s23, 27
	s_cbranch_scc0 .LBB159_1129
; %bb.1127:
	global_load_b32 v1, v[12:13], off
	s_mov_b32 s36, 0
	s_wait_loadcnt 0x0
	v_cvt_f32_u32_e32 v4, v1
	s_branch .LBB159_1130
.LBB159_1128:
	s_mov_b32 s36, -1
                                        ; implicit-def: $vgpr4
	s_branch .LBB159_1133
.LBB159_1129:
	s_mov_b32 s36, -1
                                        ; implicit-def: $vgpr4
.LBB159_1130:
	s_delay_alu instid0(SALU_CYCLE_1)
	s_and_not1_b32 vcc_lo, exec_lo, s36
	s_cbranch_vccnz .LBB159_1132
; %bb.1131:
	global_load_u16 v1, v[12:13], off
	s_wait_loadcnt 0x0
	v_cvt_f32_u32_e32 v4, v1
.LBB159_1132:
	s_mov_b32 s36, 0
.LBB159_1133:
	s_delay_alu instid0(SALU_CYCLE_1)
	s_and_not1_b32 vcc_lo, exec_lo, s36
	s_cbranch_vccnz .LBB159_1139
; %bb.1134:
	global_load_u8 v1, v[12:13], off
	s_mov_b32 s36, 0
	s_mov_b32 s37, exec_lo
	s_wait_loadcnt 0x0
	v_cmpx_lt_i16_e32 0x7f, v1
	s_xor_b32 s37, exec_lo, s37
	s_cbranch_execnz .LBB159_1152
; %bb.1135:
	s_or_saveexec_b32 s37, s37
	v_mov_b32_e32 v4, 0x7f800001
	s_xor_b32 exec_lo, exec_lo, s37
	s_cbranch_execnz .LBB159_1155
.LBB159_1136:
	s_or_b32 exec_lo, exec_lo, s37
	s_and_saveexec_b32 s37, s36
	s_cbranch_execz .LBB159_1138
.LBB159_1137:
	v_and_b32_e32 v3, 0xffff, v1
	s_delay_alu instid0(VALU_DEP_1) | instskip(SKIP_1) | instid1(VALU_DEP_2)
	v_and_b32_e32 v4, 7, v3
	v_bfe_u32 v7, v3, 3, 4
	v_clz_i32_u32_e32 v5, v4
	s_delay_alu instid0(VALU_DEP_2) | instskip(NEXT) | instid1(VALU_DEP_2)
	v_cmp_eq_u32_e32 vcc_lo, 0, v7
	v_min_u32_e32 v5, 32, v5
	s_delay_alu instid0(VALU_DEP_1) | instskip(NEXT) | instid1(VALU_DEP_1)
	v_subrev_nc_u32_e32 v6, 28, v5
	v_dual_lshlrev_b32 v3, v6, v3 :: v_dual_sub_nc_u32 v5, 29, v5
	s_delay_alu instid0(VALU_DEP_1) | instskip(NEXT) | instid1(VALU_DEP_1)
	v_dual_lshlrev_b32 v1, 24, v1 :: v_dual_bitop2_b32 v3, 7, v3 bitop3:0x40
	v_dual_cndmask_b32 v3, v4, v3, vcc_lo :: v_dual_cndmask_b32 v5, v7, v5, vcc_lo
	s_delay_alu instid0(VALU_DEP_2) | instskip(NEXT) | instid1(VALU_DEP_2)
	v_and_b32_e32 v1, 0x80000000, v1
	v_lshlrev_b32_e32 v3, 20, v3
	s_delay_alu instid0(VALU_DEP_3) | instskip(NEXT) | instid1(VALU_DEP_1)
	v_lshl_add_u32 v4, v5, 23, 0x3b800000
	v_or3_b32 v4, v1, v4, v3
.LBB159_1138:
	s_or_b32 exec_lo, exec_lo, s37
.LBB159_1139:
	v_mov_b32_e32 v6, 0
	s_mov_b32 s36, -1
.LBB159_1140:
	s_mov_b32 s37, 0
.LBB159_1141:
	s_delay_alu instid0(SALU_CYCLE_1)
	s_and_b32 vcc_lo, exec_lo, s37
	s_cbranch_vccz .LBB159_1175
; %bb.1142:
	s_cmp_gt_i32 s23, 22
	s_cbranch_scc0 .LBB159_1150
; %bb.1143:
	s_cmp_lt_i32 s23, 24
	s_cbranch_scc1 .LBB159_1151
; %bb.1144:
	s_cmp_gt_i32 s23, 24
	s_cbranch_scc0 .LBB159_1156
; %bb.1145:
	global_load_u8 v1, v[12:13], off
	s_mov_b32 s36, 0
	s_mov_b32 s37, exec_lo
	s_wait_loadcnt 0x0
	v_cmpx_lt_i16_e32 0x7f, v1
	s_xor_b32 s37, exec_lo, s37
	s_cbranch_execnz .LBB159_1240
; %bb.1146:
	s_or_saveexec_b32 s37, s37
	v_mov_b32_e32 v4, 0x7f800001
	s_xor_b32 exec_lo, exec_lo, s37
	s_cbranch_execnz .LBB159_1243
.LBB159_1147:
	s_or_b32 exec_lo, exec_lo, s37
	s_and_saveexec_b32 s37, s36
	s_cbranch_execz .LBB159_1149
.LBB159_1148:
	v_and_b32_e32 v3, 0xffff, v1
	s_delay_alu instid0(VALU_DEP_1) | instskip(SKIP_1) | instid1(VALU_DEP_2)
	v_and_b32_e32 v4, 3, v3
	v_bfe_u32 v7, v3, 2, 5
	v_clz_i32_u32_e32 v5, v4
	s_delay_alu instid0(VALU_DEP_2) | instskip(NEXT) | instid1(VALU_DEP_2)
	v_cmp_eq_u32_e32 vcc_lo, 0, v7
	v_min_u32_e32 v5, 32, v5
	s_delay_alu instid0(VALU_DEP_1) | instskip(NEXT) | instid1(VALU_DEP_1)
	v_subrev_nc_u32_e32 v6, 29, v5
	v_dual_lshlrev_b32 v3, v6, v3 :: v_dual_sub_nc_u32 v5, 30, v5
	s_delay_alu instid0(VALU_DEP_1) | instskip(NEXT) | instid1(VALU_DEP_1)
	v_dual_lshlrev_b32 v1, 24, v1 :: v_dual_bitop2_b32 v3, 3, v3 bitop3:0x40
	v_dual_cndmask_b32 v3, v4, v3, vcc_lo :: v_dual_cndmask_b32 v5, v7, v5, vcc_lo
	s_delay_alu instid0(VALU_DEP_2) | instskip(NEXT) | instid1(VALU_DEP_2)
	v_and_b32_e32 v1, 0x80000000, v1
	v_lshlrev_b32_e32 v3, 21, v3
	s_delay_alu instid0(VALU_DEP_3) | instskip(NEXT) | instid1(VALU_DEP_1)
	v_lshl_add_u32 v4, v5, 23, 0x37800000
	v_or3_b32 v4, v1, v4, v3
.LBB159_1149:
	s_or_b32 exec_lo, exec_lo, s37
	s_mov_b32 s36, 0
	s_branch .LBB159_1157
.LBB159_1150:
	s_mov_b32 s37, -1
                                        ; implicit-def: $vgpr4
	s_branch .LBB159_1163
.LBB159_1151:
	s_mov_b32 s36, -1
                                        ; implicit-def: $vgpr4
	s_branch .LBB159_1160
.LBB159_1152:
	s_mov_b32 s36, -1
	s_mov_b32 s60, exec_lo
	v_cmpx_eq_u16_e32 0x80, v1
; %bb.1153:
	s_xor_b32 s36, exec_lo, -1
; %bb.1154:
	s_or_b32 exec_lo, exec_lo, s60
	s_delay_alu instid0(SALU_CYCLE_1)
	s_and_b32 s36, s36, exec_lo
	s_or_saveexec_b32 s37, s37
	v_mov_b32_e32 v4, 0x7f800001
	s_xor_b32 exec_lo, exec_lo, s37
	s_cbranch_execz .LBB159_1136
.LBB159_1155:
	v_cmp_ne_u16_e32 vcc_lo, 0, v1
	v_mov_b32_e32 v4, 0
	s_and_not1_b32 s36, s36, exec_lo
	s_and_b32 s60, vcc_lo, exec_lo
	s_delay_alu instid0(SALU_CYCLE_1)
	s_or_b32 s36, s36, s60
	s_or_b32 exec_lo, exec_lo, s37
	s_and_saveexec_b32 s37, s36
	s_cbranch_execnz .LBB159_1137
	s_branch .LBB159_1138
.LBB159_1156:
	s_mov_b32 s36, -1
                                        ; implicit-def: $vgpr4
.LBB159_1157:
	s_delay_alu instid0(SALU_CYCLE_1)
	s_and_b32 vcc_lo, exec_lo, s36
	s_cbranch_vccz .LBB159_1159
; %bb.1158:
	global_load_u8 v1, v[12:13], off
	s_wait_loadcnt 0x0
	v_lshlrev_b32_e32 v1, 24, v1
	s_delay_alu instid0(VALU_DEP_1) | instskip(NEXT) | instid1(VALU_DEP_1)
	v_and_b32_e32 v3, 0x7f000000, v1
	v_clz_i32_u32_e32 v4, v3
	v_cmp_ne_u32_e32 vcc_lo, 0, v3
	v_add_nc_u32_e32 v6, 0x1000000, v3
	s_delay_alu instid0(VALU_DEP_3) | instskip(NEXT) | instid1(VALU_DEP_1)
	v_min_u32_e32 v4, 32, v4
	v_sub_nc_u32_e64 v4, v4, 4 clamp
	s_delay_alu instid0(VALU_DEP_1) | instskip(NEXT) | instid1(VALU_DEP_1)
	v_dual_lshlrev_b32 v5, v4, v3 :: v_dual_lshlrev_b32 v4, 23, v4
	v_lshrrev_b32_e32 v5, 4, v5
	s_delay_alu instid0(VALU_DEP_1) | instskip(NEXT) | instid1(VALU_DEP_1)
	v_dual_sub_nc_u32 v4, v5, v4 :: v_dual_ashrrev_i32 v5, 8, v6
	v_add_nc_u32_e32 v4, 0x3c000000, v4
	s_delay_alu instid0(VALU_DEP_1) | instskip(NEXT) | instid1(VALU_DEP_1)
	v_and_or_b32 v4, 0x7f800000, v5, v4
	v_cndmask_b32_e32 v3, 0, v4, vcc_lo
	s_delay_alu instid0(VALU_DEP_1)
	v_and_or_b32 v4, 0x80000000, v1, v3
.LBB159_1159:
	s_mov_b32 s36, 0
.LBB159_1160:
	s_delay_alu instid0(SALU_CYCLE_1)
	s_and_not1_b32 vcc_lo, exec_lo, s36
	s_cbranch_vccnz .LBB159_1162
; %bb.1161:
	global_load_u8 v1, v[12:13], off
	s_wait_loadcnt 0x0
	v_lshlrev_b32_e32 v3, 25, v1
	v_lshlrev_b16 v1, 8, v1
	s_delay_alu instid0(VALU_DEP_1) | instskip(NEXT) | instid1(VALU_DEP_3)
	v_and_or_b32 v5, 0x7f00, v1, 0.5
	v_lshrrev_b32_e32 v4, 4, v3
	v_bfe_i32 v1, v1, 0, 16
	s_delay_alu instid0(VALU_DEP_3) | instskip(NEXT) | instid1(VALU_DEP_3)
	v_add_f32_e32 v5, -0.5, v5
	v_or_b32_e32 v4, 0x70000000, v4
	s_delay_alu instid0(VALU_DEP_1) | instskip(SKIP_1) | instid1(VALU_DEP_2)
	v_mul_f32_e32 v4, 0x7800000, v4
	v_cmp_gt_u32_e32 vcc_lo, 0x8000000, v3
	v_cndmask_b32_e32 v3, v4, v5, vcc_lo
	s_delay_alu instid0(VALU_DEP_1)
	v_and_or_b32 v4, 0x80000000, v1, v3
.LBB159_1162:
	s_mov_b32 s37, 0
	s_mov_b32 s36, -1
.LBB159_1163:
	s_and_not1_b32 vcc_lo, exec_lo, s37
	s_cbranch_vccnz .LBB159_1174
; %bb.1164:
	s_cmp_gt_i32 s23, 14
	s_cbranch_scc0 .LBB159_1167
; %bb.1165:
	s_cmp_eq_u32 s23, 15
	s_cbranch_scc0 .LBB159_1168
; %bb.1166:
	global_load_u16 v1, v[12:13], off
	s_mov_b32 s36, -1
	s_mov_b32 s22, 0
	s_wait_loadcnt 0x0
	v_lshlrev_b32_e32 v4, 16, v1
	s_branch .LBB159_1169
.LBB159_1167:
	s_mov_b32 s37, -1
                                        ; implicit-def: $vgpr4
	s_branch .LBB159_1170
.LBB159_1168:
	s_mov_b32 s22, -1
                                        ; implicit-def: $vgpr4
.LBB159_1169:
	s_mov_b32 s37, 0
.LBB159_1170:
	s_delay_alu instid0(SALU_CYCLE_1)
	s_and_b32 vcc_lo, exec_lo, s37
	s_cbranch_vccz .LBB159_1174
; %bb.1171:
	s_cmp_eq_u32 s23, 11
	s_cbranch_scc0 .LBB159_1173
; %bb.1172:
	global_load_u8 v1, v[12:13], off
	s_mov_b32 s22, 0
	s_mov_b32 s36, -1
	v_mov_b32_e32 v6, 0
	s_wait_loadcnt 0x0
	v_cmp_ne_u16_e32 vcc_lo, 0, v1
	v_cndmask_b32_e64 v4, 0, 1.0, vcc_lo
	s_branch .LBB159_1175
.LBB159_1173:
	s_mov_b32 s22, -1
                                        ; implicit-def: $vgpr4
.LBB159_1174:
	v_mov_b32_e32 v6, 0
.LBB159_1175:
	s_mov_b32 s23, 0
.LBB159_1176:
	s_delay_alu instid0(SALU_CYCLE_1)
	s_and_b32 vcc_lo, exec_lo, s23
	s_cbranch_vccz .LBB159_1227
; %bb.1177:
	s_and_b32 s0, 0xffff, s0
	s_delay_alu instid0(SALU_CYCLE_1)
	s_cmp_lt_i32 s0, 5
	s_cbranch_scc1 .LBB159_1182
; %bb.1178:
	s_cmp_lt_i32 s0, 8
	s_cbranch_scc1 .LBB159_1183
; %bb.1179:
	;; [unrolled: 3-line block ×3, first 2 shown]
	s_cmp_gt_i32 s0, 9
	s_cbranch_scc0 .LBB159_1185
; %bb.1181:
	global_load_b128 v[4:7], v[12:13], off
	s_mov_b32 s23, 0
	s_wait_loadcnt 0x0
	v_cvt_f32_f64_e32 v4, v[4:5]
	v_cvt_f32_f64_e32 v6, v[6:7]
	s_branch .LBB159_1186
.LBB159_1182:
	s_mov_b32 s23, -1
                                        ; implicit-def: $vgpr6
                                        ; implicit-def: $vgpr4
	s_branch .LBB159_1205
.LBB159_1183:
	s_mov_b32 s23, -1
                                        ; implicit-def: $vgpr6
                                        ; implicit-def: $vgpr4
	s_branch .LBB159_1192
.LBB159_1184:
	s_mov_b32 s23, -1
                                        ; implicit-def: $vgpr6
                                        ; implicit-def: $vgpr4
	s_branch .LBB159_1189
.LBB159_1185:
	s_mov_b32 s23, -1
                                        ; implicit-def: $vgpr6
                                        ; implicit-def: $vgpr4
.LBB159_1186:
	s_delay_alu instid0(SALU_CYCLE_1)
	s_and_not1_b32 vcc_lo, exec_lo, s23
	s_cbranch_vccnz .LBB159_1188
; %bb.1187:
	global_load_b64 v[4:5], v[12:13], off
	s_wait_loadcnt 0x0
	v_mov_b32_e32 v6, v5
.LBB159_1188:
	s_mov_b32 s23, 0
.LBB159_1189:
	s_delay_alu instid0(SALU_CYCLE_1)
	s_and_not1_b32 vcc_lo, exec_lo, s23
	s_cbranch_vccnz .LBB159_1191
; %bb.1190:
	global_load_b32 v1, v[12:13], off
	s_wait_loadcnt 0x0
	v_lshrrev_b32_e32 v3, 16, v1
	v_cvt_f32_f16_e32 v4, v1
	s_delay_alu instid0(VALU_DEP_2)
	v_cvt_f32_f16_e32 v6, v3
.LBB159_1191:
	s_mov_b32 s23, 0
.LBB159_1192:
	s_delay_alu instid0(SALU_CYCLE_1)
	s_and_not1_b32 vcc_lo, exec_lo, s23
	s_cbranch_vccnz .LBB159_1204
; %bb.1193:
	s_cmp_lt_i32 s0, 6
	s_cbranch_scc1 .LBB159_1196
; %bb.1194:
	s_cmp_gt_i32 s0, 6
	s_cbranch_scc0 .LBB159_1197
; %bb.1195:
	global_load_b64 v[4:5], v[12:13], off
	s_mov_b32 s23, 0
	s_wait_loadcnt 0x0
	v_cvt_f32_f64_e32 v4, v[4:5]
	s_branch .LBB159_1198
.LBB159_1196:
	s_mov_b32 s23, -1
                                        ; implicit-def: $vgpr4
	s_branch .LBB159_1201
.LBB159_1197:
	s_mov_b32 s23, -1
                                        ; implicit-def: $vgpr4
.LBB159_1198:
	s_delay_alu instid0(SALU_CYCLE_1)
	s_and_not1_b32 vcc_lo, exec_lo, s23
	s_cbranch_vccnz .LBB159_1200
; %bb.1199:
	global_load_b32 v4, v[12:13], off
.LBB159_1200:
	s_mov_b32 s23, 0
.LBB159_1201:
	s_delay_alu instid0(SALU_CYCLE_1)
	s_and_not1_b32 vcc_lo, exec_lo, s23
	s_cbranch_vccnz .LBB159_1203
; %bb.1202:
	global_load_u16 v1, v[12:13], off
	s_wait_loadcnt 0x0
	v_cvt_f32_f16_e32 v4, v1
.LBB159_1203:
	v_mov_b32_e32 v6, 0
.LBB159_1204:
	s_mov_b32 s23, 0
.LBB159_1205:
	s_delay_alu instid0(SALU_CYCLE_1)
	s_and_not1_b32 vcc_lo, exec_lo, s23
	s_cbranch_vccnz .LBB159_1226
; %bb.1206:
	s_cmp_lt_i32 s0, 2
	s_cbranch_scc1 .LBB159_1210
; %bb.1207:
	s_cmp_lt_i32 s0, 3
	s_cbranch_scc1 .LBB159_1211
; %bb.1208:
	s_cmp_gt_i32 s0, 3
	s_cbranch_scc0 .LBB159_1212
; %bb.1209:
	s_wait_loadcnt 0x0
	global_load_b64 v[4:5], v[12:13], off
	s_mov_b32 s23, 0
	s_wait_loadcnt 0x0
	v_xor_b32_e32 v1, v4, v5
	v_cls_i32_e32 v3, v5
	s_delay_alu instid0(VALU_DEP_2) | instskip(NEXT) | instid1(VALU_DEP_1)
	v_ashrrev_i32_e32 v1, 31, v1
	v_add_nc_u32_e32 v1, 32, v1
	s_delay_alu instid0(VALU_DEP_1) | instskip(NEXT) | instid1(VALU_DEP_1)
	v_add_min_u32_e64 v1, v3, -1, v1
	v_lshlrev_b64_e32 v[4:5], v1, v[4:5]
	v_sub_nc_u32_e32 v1, 32, v1
	s_delay_alu instid0(VALU_DEP_2) | instskip(NEXT) | instid1(VALU_DEP_1)
	v_min_u32_e32 v3, 1, v4
	v_or_b32_e32 v3, v5, v3
	s_delay_alu instid0(VALU_DEP_1) | instskip(NEXT) | instid1(VALU_DEP_1)
	v_cvt_f32_i32_e32 v3, v3
	v_ldexp_f32 v4, v3, v1
	s_branch .LBB159_1213
.LBB159_1210:
	s_mov_b32 s23, -1
                                        ; implicit-def: $vgpr4
	s_branch .LBB159_1219
.LBB159_1211:
	s_mov_b32 s23, -1
                                        ; implicit-def: $vgpr4
	s_branch .LBB159_1216
.LBB159_1212:
	s_mov_b32 s23, -1
                                        ; implicit-def: $vgpr4
.LBB159_1213:
	s_delay_alu instid0(SALU_CYCLE_1)
	s_and_not1_b32 vcc_lo, exec_lo, s23
	s_cbranch_vccnz .LBB159_1215
; %bb.1214:
	global_load_b32 v1, v[12:13], off
	s_wait_loadcnt 0x0
	v_cvt_f32_i32_e32 v4, v1
.LBB159_1215:
	s_mov_b32 s23, 0
.LBB159_1216:
	s_delay_alu instid0(SALU_CYCLE_1)
	s_and_not1_b32 vcc_lo, exec_lo, s23
	s_cbranch_vccnz .LBB159_1218
; %bb.1217:
	global_load_i16 v1, v[12:13], off
	s_wait_loadcnt 0x0
	v_cvt_f32_i32_e32 v4, v1
.LBB159_1218:
	s_mov_b32 s23, 0
.LBB159_1219:
	s_delay_alu instid0(SALU_CYCLE_1)
	s_and_not1_b32 vcc_lo, exec_lo, s23
	s_cbranch_vccnz .LBB159_1225
; %bb.1220:
	s_cmp_gt_i32 s0, 0
	s_mov_b32 s0, 0
	s_cbranch_scc0 .LBB159_1222
; %bb.1221:
	global_load_i8 v1, v[12:13], off
	s_wait_loadcnt 0x0
	v_cvt_f32_i32_e32 v4, v1
	s_branch .LBB159_1223
.LBB159_1222:
	s_mov_b32 s0, -1
                                        ; implicit-def: $vgpr4
.LBB159_1223:
	s_delay_alu instid0(SALU_CYCLE_1)
	s_and_not1_b32 vcc_lo, exec_lo, s0
	s_cbranch_vccnz .LBB159_1225
; %bb.1224:
	global_load_u8 v1, v[12:13], off
	s_wait_loadcnt 0x0
	v_cvt_f32_ubyte0_e32 v4, v1
.LBB159_1225:
	v_mov_b32_e32 v6, 0
.LBB159_1226:
	s_mov_b32 s36, -1
.LBB159_1227:
	s_delay_alu instid0(SALU_CYCLE_1)
	s_and_not1_b32 vcc_lo, exec_lo, s36
	s_cbranch_vccnz .LBB159_1235
; %bb.1228:
	v_mov_b32_e32 v11, 0
	s_and_b32 s0, s43, 0xff
	s_delay_alu instid0(SALU_CYCLE_1) | instskip(SKIP_1) | instid1(VALU_DEP_1)
	s_cmp_lt_i32 s0, 11
	s_wait_xcnt 0x0
	v_add_nc_u64_e32 v[12:13], s[8:9], v[10:11]
	s_cbranch_scc1 .LBB159_1236
; %bb.1229:
	s_and_b32 s36, 0xffff, s0
	s_delay_alu instid0(SALU_CYCLE_1)
	s_cmp_gt_i32 s36, 25
	s_cbranch_scc0 .LBB159_1237
; %bb.1230:
	s_cmp_gt_i32 s36, 28
	s_cbranch_scc0 .LBB159_1238
; %bb.1231:
	;; [unrolled: 3-line block ×4, first 2 shown]
	s_cmp_eq_u32 s36, 46
	s_mov_b32 s60, 0
	s_cbranch_scc0 .LBB159_1245
; %bb.1234:
	global_load_b32 v1, v[12:13], off
	s_mov_b32 s37, -1
	s_mov_b32 s23, 0
	s_wait_loadcnt 0x0
	v_and_b32_e32 v11, 0xffff0000, v1
	v_lshlrev_b32_e32 v10, 16, v1
	s_branch .LBB159_1247
.LBB159_1235:
	s_mov_b32 s37, 0
	s_mov_b32 s0, s55
	;; [unrolled: 1-line block ×4, first 2 shown]
	s_branch .LBB159_1630
.LBB159_1236:
	s_mov_b32 s36, -1
	s_mov_b32 s37, 0
	s_mov_b32 s23, s57
                                        ; implicit-def: $vgpr11
	s_branch .LBB159_1311
.LBB159_1237:
	s_mov_b32 s60, -1
	s_mov_b32 s37, 0
	s_mov_b32 s23, s57
                                        ; implicit-def: $vgpr11
	s_branch .LBB159_1276
.LBB159_1238:
	s_mov_b32 s60, -1
	s_mov_b32 s37, 0
	s_mov_b32 s23, s57
                                        ; implicit-def: $vgpr11
	s_branch .LBB159_1259
.LBB159_1239:
	s_mov_b32 s60, -1
	s_mov_b32 s37, 0
	s_mov_b32 s23, s57
                                        ; implicit-def: $vgpr11
	s_branch .LBB159_1253
.LBB159_1240:
	s_mov_b32 s36, -1
	s_mov_b32 s60, exec_lo
	v_cmpx_eq_u16_e32 0x80, v1
; %bb.1241:
	s_xor_b32 s36, exec_lo, -1
; %bb.1242:
	s_or_b32 exec_lo, exec_lo, s60
	s_delay_alu instid0(SALU_CYCLE_1)
	s_and_b32 s36, s36, exec_lo
	s_or_saveexec_b32 s37, s37
	v_mov_b32_e32 v4, 0x7f800001
	s_xor_b32 exec_lo, exec_lo, s37
	s_cbranch_execz .LBB159_1147
.LBB159_1243:
	v_cmp_ne_u16_e32 vcc_lo, 0, v1
	v_mov_b32_e32 v4, 0
	s_and_not1_b32 s36, s36, exec_lo
	s_and_b32 s60, vcc_lo, exec_lo
	s_delay_alu instid0(SALU_CYCLE_1)
	s_or_b32 s36, s36, s60
	s_or_b32 exec_lo, exec_lo, s37
	s_and_saveexec_b32 s37, s36
	s_cbranch_execnz .LBB159_1148
	s_branch .LBB159_1149
.LBB159_1244:
	s_mov_b32 s60, -1
	s_mov_b32 s37, 0
	s_mov_b32 s23, s57
	s_branch .LBB159_1246
.LBB159_1245:
	s_mov_b32 s23, -1
	s_mov_b32 s37, 0
.LBB159_1246:
                                        ; implicit-def: $vgpr11
.LBB159_1247:
	s_and_b32 vcc_lo, exec_lo, s60
	s_cbranch_vccz .LBB159_1252
; %bb.1248:
	s_cmp_eq_u32 s36, 44
	s_cbranch_scc0 .LBB159_1250
; %bb.1249:
	global_load_u8 v1, v[12:13], off
	s_mov_b32 s23, 0
	s_mov_b32 s37, -1
	s_wait_loadcnt 0x0
	v_lshlrev_b32_e32 v3, 23, v1
	v_cmp_ne_u32_e32 vcc_lo, 0xff, v1
	s_delay_alu instid0(VALU_DEP_2) | instskip(SKIP_1) | instid1(VALU_DEP_2)
	v_cndmask_b32_e32 v3, 0x7f800001, v3, vcc_lo
	v_cmp_ne_u32_e32 vcc_lo, 0, v1
	v_cndmask_b32_e32 v10, 0x400000, v3, vcc_lo
	s_branch .LBB159_1251
.LBB159_1250:
	s_mov_b32 s23, -1
                                        ; implicit-def: $vgpr10
.LBB159_1251:
	v_mov_b32_e32 v11, 0
.LBB159_1252:
	s_mov_b32 s60, 0
.LBB159_1253:
	s_delay_alu instid0(SALU_CYCLE_1)
	s_and_b32 vcc_lo, exec_lo, s60
	s_cbranch_vccz .LBB159_1258
; %bb.1254:
	s_cmp_eq_u32 s36, 29
	s_cbranch_scc0 .LBB159_1256
; %bb.1255:
	global_load_b64 v[10:11], v[12:13], off
	s_mov_b32 s37, -1
	s_mov_b32 s23, 0
	s_wait_loadcnt 0x0
	v_clz_i32_u32_e32 v1, v11
	s_delay_alu instid0(VALU_DEP_1) | instskip(NEXT) | instid1(VALU_DEP_1)
	v_min_u32_e32 v1, 32, v1
	v_lshlrev_b64_e32 v[10:11], v1, v[10:11]
	v_sub_nc_u32_e32 v1, 32, v1
	s_delay_alu instid0(VALU_DEP_2) | instskip(NEXT) | instid1(VALU_DEP_1)
	v_min_u32_e32 v3, 1, v10
	v_or_b32_e32 v3, v11, v3
	s_delay_alu instid0(VALU_DEP_1) | instskip(NEXT) | instid1(VALU_DEP_1)
	v_cvt_f32_u32_e32 v3, v3
	v_ldexp_f32 v10, v3, v1
	s_branch .LBB159_1257
.LBB159_1256:
	s_mov_b32 s23, -1
                                        ; implicit-def: $vgpr10
.LBB159_1257:
	v_mov_b32_e32 v11, 0
.LBB159_1258:
	s_mov_b32 s60, 0
.LBB159_1259:
	s_delay_alu instid0(SALU_CYCLE_1)
	s_and_b32 vcc_lo, exec_lo, s60
	s_cbranch_vccz .LBB159_1275
; %bb.1260:
	s_cmp_lt_i32 s36, 27
	s_cbranch_scc1 .LBB159_1263
; %bb.1261:
	s_cmp_gt_i32 s36, 27
	s_cbranch_scc0 .LBB159_1264
; %bb.1262:
	global_load_b32 v1, v[12:13], off
	s_mov_b32 s37, 0
	s_wait_loadcnt 0x0
	v_cvt_f32_u32_e32 v10, v1
	s_branch .LBB159_1265
.LBB159_1263:
	s_mov_b32 s37, -1
                                        ; implicit-def: $vgpr10
	s_branch .LBB159_1268
.LBB159_1264:
	s_mov_b32 s37, -1
                                        ; implicit-def: $vgpr10
.LBB159_1265:
	s_delay_alu instid0(SALU_CYCLE_1)
	s_and_not1_b32 vcc_lo, exec_lo, s37
	s_cbranch_vccnz .LBB159_1267
; %bb.1266:
	global_load_u16 v1, v[12:13], off
	s_wait_loadcnt 0x0
	v_cvt_f32_u32_e32 v10, v1
.LBB159_1267:
	s_mov_b32 s37, 0
.LBB159_1268:
	s_delay_alu instid0(SALU_CYCLE_1)
	s_and_not1_b32 vcc_lo, exec_lo, s37
	s_cbranch_vccnz .LBB159_1274
; %bb.1269:
	global_load_u8 v1, v[12:13], off
	s_mov_b32 s37, 0
	s_mov_b32 s60, exec_lo
	s_wait_loadcnt 0x0
	v_cmpx_lt_i16_e32 0x7f, v1
	s_xor_b32 s60, exec_lo, s60
	s_cbranch_execnz .LBB159_1287
; %bb.1270:
	s_or_saveexec_b32 s60, s60
	v_mov_b32_e32 v10, 0x7f800001
	s_xor_b32 exec_lo, exec_lo, s60
	s_cbranch_execnz .LBB159_1290
.LBB159_1271:
	s_or_b32 exec_lo, exec_lo, s60
	s_and_saveexec_b32 s60, s37
	s_cbranch_execz .LBB159_1273
.LBB159_1272:
	v_and_b32_e32 v3, 0xffff, v1
	s_delay_alu instid0(VALU_DEP_1) | instskip(SKIP_1) | instid1(VALU_DEP_2)
	v_dual_lshlrev_b32 v1, 24, v1 :: v_dual_bitop2_b32 v5, 7, v3 bitop3:0x40
	v_bfe_u32 v10, v3, 3, 4
	v_and_b32_e32 v1, 0x80000000, v1
	s_delay_alu instid0(VALU_DEP_3) | instskip(NEXT) | instid1(VALU_DEP_3)
	v_clz_i32_u32_e32 v7, v5
	v_cmp_eq_u32_e32 vcc_lo, 0, v10
	s_delay_alu instid0(VALU_DEP_2) | instskip(NEXT) | instid1(VALU_DEP_1)
	v_min_u32_e32 v7, 32, v7
	v_subrev_nc_u32_e32 v9, 28, v7
	v_sub_nc_u32_e32 v7, 29, v7
	s_delay_alu instid0(VALU_DEP_2) | instskip(NEXT) | instid1(VALU_DEP_2)
	v_lshlrev_b32_e32 v3, v9, v3
	v_cndmask_b32_e32 v7, v10, v7, vcc_lo
	s_delay_alu instid0(VALU_DEP_2) | instskip(NEXT) | instid1(VALU_DEP_1)
	v_and_b32_e32 v3, 7, v3
	v_cndmask_b32_e32 v3, v5, v3, vcc_lo
	s_delay_alu instid0(VALU_DEP_3) | instskip(NEXT) | instid1(VALU_DEP_2)
	v_lshl_add_u32 v5, v7, 23, 0x3b800000
	v_lshlrev_b32_e32 v3, 20, v3
	s_delay_alu instid0(VALU_DEP_1)
	v_or3_b32 v10, v1, v5, v3
.LBB159_1273:
	s_or_b32 exec_lo, exec_lo, s60
.LBB159_1274:
	v_mov_b32_e32 v11, 0
	s_mov_b32 s37, -1
.LBB159_1275:
	s_mov_b32 s60, 0
.LBB159_1276:
	s_delay_alu instid0(SALU_CYCLE_1)
	s_and_b32 vcc_lo, exec_lo, s60
	s_cbranch_vccz .LBB159_1310
; %bb.1277:
	s_cmp_gt_i32 s36, 22
	s_cbranch_scc0 .LBB159_1285
; %bb.1278:
	s_cmp_lt_i32 s36, 24
	s_cbranch_scc1 .LBB159_1286
; %bb.1279:
	s_cmp_gt_i32 s36, 24
	s_cbranch_scc0 .LBB159_1291
; %bb.1280:
	global_load_u8 v1, v[12:13], off
	s_mov_b32 s37, 0
	s_mov_b32 s60, exec_lo
	s_wait_loadcnt 0x0
	v_cmpx_lt_i16_e32 0x7f, v1
	s_xor_b32 s60, exec_lo, s60
	s_cbranch_execnz .LBB159_1375
; %bb.1281:
	s_or_saveexec_b32 s60, s60
	v_mov_b32_e32 v10, 0x7f800001
	s_xor_b32 exec_lo, exec_lo, s60
	s_cbranch_execnz .LBB159_1378
.LBB159_1282:
	s_or_b32 exec_lo, exec_lo, s60
	s_and_saveexec_b32 s60, s37
	s_cbranch_execz .LBB159_1284
.LBB159_1283:
	v_and_b32_e32 v3, 0xffff, v1
	s_delay_alu instid0(VALU_DEP_1) | instskip(SKIP_1) | instid1(VALU_DEP_2)
	v_dual_lshlrev_b32 v1, 24, v1 :: v_dual_bitop2_b32 v5, 3, v3 bitop3:0x40
	v_bfe_u32 v10, v3, 2, 5
	v_and_b32_e32 v1, 0x80000000, v1
	s_delay_alu instid0(VALU_DEP_3) | instskip(NEXT) | instid1(VALU_DEP_3)
	v_clz_i32_u32_e32 v7, v5
	v_cmp_eq_u32_e32 vcc_lo, 0, v10
	s_delay_alu instid0(VALU_DEP_2) | instskip(NEXT) | instid1(VALU_DEP_1)
	v_min_u32_e32 v7, 32, v7
	v_subrev_nc_u32_e32 v9, 29, v7
	v_sub_nc_u32_e32 v7, 30, v7
	s_delay_alu instid0(VALU_DEP_2) | instskip(NEXT) | instid1(VALU_DEP_2)
	v_lshlrev_b32_e32 v3, v9, v3
	v_cndmask_b32_e32 v7, v10, v7, vcc_lo
	s_delay_alu instid0(VALU_DEP_2) | instskip(NEXT) | instid1(VALU_DEP_1)
	v_and_b32_e32 v3, 3, v3
	v_cndmask_b32_e32 v3, v5, v3, vcc_lo
	s_delay_alu instid0(VALU_DEP_3) | instskip(NEXT) | instid1(VALU_DEP_2)
	v_lshl_add_u32 v5, v7, 23, 0x37800000
	v_lshlrev_b32_e32 v3, 21, v3
	s_delay_alu instid0(VALU_DEP_1)
	v_or3_b32 v10, v1, v5, v3
.LBB159_1284:
	s_or_b32 exec_lo, exec_lo, s60
	s_mov_b32 s37, 0
	s_branch .LBB159_1292
.LBB159_1285:
	s_mov_b32 s60, -1
                                        ; implicit-def: $vgpr10
	s_branch .LBB159_1298
.LBB159_1286:
	s_mov_b32 s37, -1
                                        ; implicit-def: $vgpr10
	s_branch .LBB159_1295
.LBB159_1287:
	s_mov_b32 s37, -1
	s_mov_b32 s61, exec_lo
	v_cmpx_eq_u16_e32 0x80, v1
; %bb.1288:
	s_xor_b32 s37, exec_lo, -1
; %bb.1289:
	s_or_b32 exec_lo, exec_lo, s61
	s_delay_alu instid0(SALU_CYCLE_1)
	s_and_b32 s37, s37, exec_lo
	s_or_saveexec_b32 s60, s60
	v_mov_b32_e32 v10, 0x7f800001
	s_xor_b32 exec_lo, exec_lo, s60
	s_cbranch_execz .LBB159_1271
.LBB159_1290:
	v_cmp_ne_u16_e32 vcc_lo, 0, v1
	v_mov_b32_e32 v10, 0
	s_and_not1_b32 s37, s37, exec_lo
	s_and_b32 s61, vcc_lo, exec_lo
	s_delay_alu instid0(SALU_CYCLE_1)
	s_or_b32 s37, s37, s61
	s_or_b32 exec_lo, exec_lo, s60
	s_and_saveexec_b32 s60, s37
	s_cbranch_execnz .LBB159_1272
	s_branch .LBB159_1273
.LBB159_1291:
	s_mov_b32 s37, -1
                                        ; implicit-def: $vgpr10
.LBB159_1292:
	s_delay_alu instid0(SALU_CYCLE_1)
	s_and_b32 vcc_lo, exec_lo, s37
	s_cbranch_vccz .LBB159_1294
; %bb.1293:
	global_load_u8 v1, v[12:13], off
	s_wait_loadcnt 0x0
	v_lshlrev_b32_e32 v1, 24, v1
	s_delay_alu instid0(VALU_DEP_1) | instskip(NEXT) | instid1(VALU_DEP_1)
	v_and_b32_e32 v3, 0x7f000000, v1
	v_clz_i32_u32_e32 v5, v3
	v_add_nc_u32_e32 v9, 0x1000000, v3
	v_cmp_ne_u32_e32 vcc_lo, 0, v3
	s_delay_alu instid0(VALU_DEP_3) | instskip(NEXT) | instid1(VALU_DEP_1)
	v_min_u32_e32 v5, 32, v5
	v_sub_nc_u32_e64 v5, v5, 4 clamp
	s_delay_alu instid0(VALU_DEP_1) | instskip(NEXT) | instid1(VALU_DEP_1)
	v_dual_lshlrev_b32 v7, v5, v3 :: v_dual_lshlrev_b32 v5, 23, v5
	v_lshrrev_b32_e32 v7, 4, v7
	s_delay_alu instid0(VALU_DEP_1) | instskip(SKIP_1) | instid1(VALU_DEP_2)
	v_sub_nc_u32_e32 v5, v7, v5
	v_ashrrev_i32_e32 v7, 8, v9
	v_add_nc_u32_e32 v5, 0x3c000000, v5
	s_delay_alu instid0(VALU_DEP_1) | instskip(NEXT) | instid1(VALU_DEP_1)
	v_and_or_b32 v5, 0x7f800000, v7, v5
	v_cndmask_b32_e32 v3, 0, v5, vcc_lo
	s_delay_alu instid0(VALU_DEP_1)
	v_and_or_b32 v10, 0x80000000, v1, v3
.LBB159_1294:
	s_mov_b32 s37, 0
.LBB159_1295:
	s_delay_alu instid0(SALU_CYCLE_1)
	s_and_not1_b32 vcc_lo, exec_lo, s37
	s_cbranch_vccnz .LBB159_1297
; %bb.1296:
	global_load_u8 v1, v[12:13], off
	s_wait_loadcnt 0x0
	v_lshlrev_b32_e32 v3, 25, v1
	v_lshlrev_b16 v1, 8, v1
	s_delay_alu instid0(VALU_DEP_1) | instskip(SKIP_1) | instid1(VALU_DEP_2)
	v_and_or_b32 v7, 0x7f00, v1, 0.5
	v_bfe_i32 v1, v1, 0, 16
	v_add_f32_e32 v7, -0.5, v7
	v_lshrrev_b32_e32 v5, 4, v3
	v_cmp_gt_u32_e32 vcc_lo, 0x8000000, v3
	s_delay_alu instid0(VALU_DEP_2) | instskip(NEXT) | instid1(VALU_DEP_1)
	v_or_b32_e32 v5, 0x70000000, v5
	v_mul_f32_e32 v5, 0x7800000, v5
	s_delay_alu instid0(VALU_DEP_1) | instskip(NEXT) | instid1(VALU_DEP_1)
	v_cndmask_b32_e32 v3, v5, v7, vcc_lo
	v_and_or_b32 v10, 0x80000000, v1, v3
.LBB159_1297:
	s_mov_b32 s60, 0
	s_mov_b32 s37, -1
.LBB159_1298:
	s_and_not1_b32 vcc_lo, exec_lo, s60
	s_cbranch_vccnz .LBB159_1309
; %bb.1299:
	s_cmp_gt_i32 s36, 14
	s_cbranch_scc0 .LBB159_1302
; %bb.1300:
	s_cmp_eq_u32 s36, 15
	s_cbranch_scc0 .LBB159_1303
; %bb.1301:
	global_load_u16 v1, v[12:13], off
	s_mov_b32 s37, -1
	s_mov_b32 s23, 0
	s_wait_loadcnt 0x0
	v_lshlrev_b32_e32 v10, 16, v1
	s_branch .LBB159_1304
.LBB159_1302:
	s_mov_b32 s60, -1
                                        ; implicit-def: $vgpr10
	s_branch .LBB159_1305
.LBB159_1303:
	s_mov_b32 s23, -1
                                        ; implicit-def: $vgpr10
.LBB159_1304:
	s_mov_b32 s60, 0
.LBB159_1305:
	s_delay_alu instid0(SALU_CYCLE_1)
	s_and_b32 vcc_lo, exec_lo, s60
	s_cbranch_vccz .LBB159_1309
; %bb.1306:
	s_cmp_eq_u32 s36, 11
	s_cbranch_scc0 .LBB159_1308
; %bb.1307:
	global_load_u8 v1, v[12:13], off
	s_mov_b32 s23, 0
	s_mov_b32 s37, -1
	v_mov_b32_e32 v11, 0
	s_wait_loadcnt 0x0
	v_cmp_ne_u16_e32 vcc_lo, 0, v1
	v_cndmask_b32_e64 v10, 0, 1.0, vcc_lo
	s_branch .LBB159_1310
.LBB159_1308:
	s_mov_b32 s23, -1
                                        ; implicit-def: $vgpr10
.LBB159_1309:
	v_mov_b32_e32 v11, 0
.LBB159_1310:
	s_mov_b32 s36, 0
.LBB159_1311:
	s_delay_alu instid0(SALU_CYCLE_1)
	s_and_b32 vcc_lo, exec_lo, s36
	s_cbranch_vccz .LBB159_1362
; %bb.1312:
	s_and_b32 s0, 0xffff, s0
	s_delay_alu instid0(SALU_CYCLE_1)
	s_cmp_lt_i32 s0, 5
	s_cbranch_scc1 .LBB159_1317
; %bb.1313:
	s_cmp_lt_i32 s0, 8
	s_cbranch_scc1 .LBB159_1318
; %bb.1314:
	;; [unrolled: 3-line block ×3, first 2 shown]
	s_cmp_gt_i32 s0, 9
	s_cbranch_scc0 .LBB159_1320
; %bb.1316:
	global_load_b128 v[14:17], v[12:13], off
	s_mov_b32 s36, 0
	s_wait_loadcnt 0x0
	v_cvt_f32_f64_e32 v10, v[14:15]
	v_cvt_f32_f64_e32 v11, v[16:17]
	s_branch .LBB159_1321
.LBB159_1317:
	s_mov_b32 s36, -1
                                        ; implicit-def: $vgpr11
	s_branch .LBB159_1340
.LBB159_1318:
	s_mov_b32 s36, -1
                                        ; implicit-def: $vgpr11
	s_branch .LBB159_1327
.LBB159_1319:
	s_mov_b32 s36, -1
                                        ; implicit-def: $vgpr11
	s_branch .LBB159_1324
.LBB159_1320:
	s_mov_b32 s36, -1
                                        ; implicit-def: $vgpr11
.LBB159_1321:
	s_delay_alu instid0(SALU_CYCLE_1)
	s_and_not1_b32 vcc_lo, exec_lo, s36
	s_cbranch_vccnz .LBB159_1323
; %bb.1322:
	global_load_b64 v[10:11], v[12:13], off
.LBB159_1323:
	s_mov_b32 s36, 0
.LBB159_1324:
	s_delay_alu instid0(SALU_CYCLE_1)
	s_and_not1_b32 vcc_lo, exec_lo, s36
	s_cbranch_vccnz .LBB159_1326
; %bb.1325:
	global_load_b32 v1, v[12:13], off
	s_wait_loadcnt 0x0
	v_lshrrev_b32_e32 v3, 16, v1
	v_cvt_f32_f16_e32 v10, v1
	s_delay_alu instid0(VALU_DEP_2)
	v_cvt_f32_f16_e32 v11, v3
.LBB159_1326:
	s_mov_b32 s36, 0
.LBB159_1327:
	s_delay_alu instid0(SALU_CYCLE_1)
	s_and_not1_b32 vcc_lo, exec_lo, s36
	s_cbranch_vccnz .LBB159_1339
; %bb.1328:
	s_cmp_lt_i32 s0, 6
	s_cbranch_scc1 .LBB159_1331
; %bb.1329:
	s_cmp_gt_i32 s0, 6
	s_cbranch_scc0 .LBB159_1332
; %bb.1330:
	s_wait_loadcnt 0x0
	global_load_b64 v[10:11], v[12:13], off
	s_mov_b32 s36, 0
	s_wait_loadcnt 0x0
	v_cvt_f32_f64_e32 v10, v[10:11]
	s_branch .LBB159_1333
.LBB159_1331:
	s_mov_b32 s36, -1
                                        ; implicit-def: $vgpr10
	s_branch .LBB159_1336
.LBB159_1332:
	s_mov_b32 s36, -1
                                        ; implicit-def: $vgpr10
.LBB159_1333:
	s_delay_alu instid0(SALU_CYCLE_1)
	s_and_not1_b32 vcc_lo, exec_lo, s36
	s_cbranch_vccnz .LBB159_1335
; %bb.1334:
	s_wait_loadcnt 0x0
	global_load_b32 v10, v[12:13], off
.LBB159_1335:
	s_mov_b32 s36, 0
.LBB159_1336:
	s_delay_alu instid0(SALU_CYCLE_1)
	s_and_not1_b32 vcc_lo, exec_lo, s36
	s_cbranch_vccnz .LBB159_1338
; %bb.1337:
	global_load_u16 v1, v[12:13], off
	s_wait_loadcnt 0x0
	v_cvt_f32_f16_e32 v10, v1
.LBB159_1338:
	s_wait_loadcnt 0x0
	v_mov_b32_e32 v11, 0
.LBB159_1339:
	s_mov_b32 s36, 0
.LBB159_1340:
	s_delay_alu instid0(SALU_CYCLE_1)
	s_and_not1_b32 vcc_lo, exec_lo, s36
	s_cbranch_vccnz .LBB159_1361
; %bb.1341:
	s_cmp_lt_i32 s0, 2
	s_cbranch_scc1 .LBB159_1345
; %bb.1342:
	s_cmp_lt_i32 s0, 3
	s_cbranch_scc1 .LBB159_1346
; %bb.1343:
	s_cmp_gt_i32 s0, 3
	s_cbranch_scc0 .LBB159_1347
; %bb.1344:
	s_wait_loadcnt 0x0
	global_load_b64 v[10:11], v[12:13], off
	s_mov_b32 s36, 0
	s_wait_loadcnt 0x0
	v_xor_b32_e32 v1, v10, v11
	v_cls_i32_e32 v3, v11
	s_delay_alu instid0(VALU_DEP_2) | instskip(NEXT) | instid1(VALU_DEP_1)
	v_ashrrev_i32_e32 v1, 31, v1
	v_add_nc_u32_e32 v1, 32, v1
	s_delay_alu instid0(VALU_DEP_1) | instskip(NEXT) | instid1(VALU_DEP_1)
	v_add_min_u32_e64 v1, v3, -1, v1
	v_lshlrev_b64_e32 v[10:11], v1, v[10:11]
	v_sub_nc_u32_e32 v1, 32, v1
	s_delay_alu instid0(VALU_DEP_2) | instskip(NEXT) | instid1(VALU_DEP_1)
	v_min_u32_e32 v3, 1, v10
	v_or_b32_e32 v3, v11, v3
	s_delay_alu instid0(VALU_DEP_1) | instskip(NEXT) | instid1(VALU_DEP_1)
	v_cvt_f32_i32_e32 v3, v3
	v_ldexp_f32 v10, v3, v1
	s_branch .LBB159_1348
.LBB159_1345:
	s_mov_b32 s36, -1
                                        ; implicit-def: $vgpr10
	s_branch .LBB159_1354
.LBB159_1346:
	s_mov_b32 s36, -1
                                        ; implicit-def: $vgpr10
	s_branch .LBB159_1351
.LBB159_1347:
	s_mov_b32 s36, -1
                                        ; implicit-def: $vgpr10
.LBB159_1348:
	s_delay_alu instid0(SALU_CYCLE_1)
	s_and_not1_b32 vcc_lo, exec_lo, s36
	s_cbranch_vccnz .LBB159_1350
; %bb.1349:
	global_load_b32 v1, v[12:13], off
	s_wait_loadcnt 0x0
	v_cvt_f32_i32_e32 v10, v1
.LBB159_1350:
	s_mov_b32 s36, 0
.LBB159_1351:
	s_delay_alu instid0(SALU_CYCLE_1)
	s_and_not1_b32 vcc_lo, exec_lo, s36
	s_cbranch_vccnz .LBB159_1353
; %bb.1352:
	global_load_i16 v1, v[12:13], off
	s_wait_loadcnt 0x0
	v_cvt_f32_i32_e32 v10, v1
.LBB159_1353:
	s_mov_b32 s36, 0
.LBB159_1354:
	s_delay_alu instid0(SALU_CYCLE_1)
	s_and_not1_b32 vcc_lo, exec_lo, s36
	s_cbranch_vccnz .LBB159_1360
; %bb.1355:
	s_cmp_gt_i32 s0, 0
	s_mov_b32 s0, 0
	s_cbranch_scc0 .LBB159_1357
; %bb.1356:
	global_load_i8 v1, v[12:13], off
	s_wait_loadcnt 0x0
	v_cvt_f32_i32_e32 v10, v1
	s_branch .LBB159_1358
.LBB159_1357:
	s_mov_b32 s0, -1
                                        ; implicit-def: $vgpr10
.LBB159_1358:
	s_delay_alu instid0(SALU_CYCLE_1)
	s_and_not1_b32 vcc_lo, exec_lo, s0
	s_cbranch_vccnz .LBB159_1360
; %bb.1359:
	global_load_u8 v1, v[12:13], off
	s_wait_loadcnt 0x0
	v_cvt_f32_ubyte0_e32 v10, v1
.LBB159_1360:
	s_wait_loadcnt 0x0
	v_mov_b32_e32 v11, 0
.LBB159_1361:
	s_mov_b32 s37, -1
.LBB159_1362:
	s_delay_alu instid0(SALU_CYCLE_1)
	s_and_not1_b32 vcc_lo, exec_lo, s37
	s_cbranch_vccnz .LBB159_1370
; %bb.1363:
	v_mov_b32_e32 v9, 0
	s_and_b32 s0, 0xffff, s25
	s_delay_alu instid0(SALU_CYCLE_1) | instskip(NEXT) | instid1(VALU_DEP_1)
	s_cmp_lt_i32 s0, 11
	v_add_nc_u64_e32 v[8:9], s[10:11], v[8:9]
	s_cbranch_scc1 .LBB159_1371
; %bb.1364:
	s_cmp_gt_i32 s0, 25
	s_cbranch_scc0 .LBB159_1372
; %bb.1365:
	s_cmp_gt_i32 s0, 28
	s_cbranch_scc0 .LBB159_1373
; %bb.1366:
	s_cmp_gt_i32 s0, 43
	s_cbranch_scc0 .LBB159_1374
; %bb.1367:
	s_cmp_gt_i32 s0, 45
	s_cbranch_scc0 .LBB159_1379
; %bb.1368:
	s_cmp_eq_u32 s0, 46
	s_mov_b32 s60, 0
	s_cbranch_scc0 .LBB159_1384
; %bb.1369:
	global_load_b32 v1, v[8:9], off
	s_mov_b32 s37, -1
	s_mov_b32 s36, 0
	s_wait_loadcnt 0x0
	s_wait_xcnt 0x1
	v_and_b32_e32 v13, 0xffff0000, v1
	v_lshlrev_b32_e32 v12, 16, v1
	s_branch .LBB159_1386
.LBB159_1370:
	s_mov_b32 s37, 0
	s_mov_b32 s0, s55
	;; [unrolled: 1-line block ×3, first 2 shown]
	s_branch .LBB159_1630
.LBB159_1371:
	s_mov_b32 s60, -1
	s_mov_b32 s37, 0
	s_mov_b32 s36, s56
                                        ; implicit-def: $vgpr13
	s_branch .LBB159_1450
.LBB159_1372:
	s_mov_b32 s60, -1
	s_mov_b32 s37, 0
	s_mov_b32 s36, s56
                                        ; implicit-def: $vgpr13
	s_branch .LBB159_1415
.LBB159_1373:
	s_mov_b32 s60, -1
	s_mov_b32 s37, 0
	s_mov_b32 s36, s56
                                        ; implicit-def: $vgpr13
	s_branch .LBB159_1398
.LBB159_1374:
	s_mov_b32 s60, -1
	s_mov_b32 s37, 0
	s_mov_b32 s36, s56
                                        ; implicit-def: $vgpr13
	s_branch .LBB159_1392
.LBB159_1375:
	s_mov_b32 s37, -1
	s_mov_b32 s61, exec_lo
	v_cmpx_eq_u16_e32 0x80, v1
; %bb.1376:
	s_xor_b32 s37, exec_lo, -1
; %bb.1377:
	s_or_b32 exec_lo, exec_lo, s61
	s_delay_alu instid0(SALU_CYCLE_1)
	s_and_b32 s37, s37, exec_lo
	s_or_saveexec_b32 s60, s60
	v_mov_b32_e32 v10, 0x7f800001
	s_xor_b32 exec_lo, exec_lo, s60
	s_cbranch_execz .LBB159_1282
.LBB159_1378:
	v_cmp_ne_u16_e32 vcc_lo, 0, v1
	v_mov_b32_e32 v10, 0
	s_and_not1_b32 s37, s37, exec_lo
	s_and_b32 s61, vcc_lo, exec_lo
	s_delay_alu instid0(SALU_CYCLE_1)
	s_or_b32 s37, s37, s61
	s_or_b32 exec_lo, exec_lo, s60
	s_and_saveexec_b32 s60, s37
	s_cbranch_execnz .LBB159_1283
	s_branch .LBB159_1284
.LBB159_1379:
	s_mov_b32 s60, -1
	s_mov_b32 s37, 0
	s_mov_b32 s36, s56
	s_branch .LBB159_1385
.LBB159_1380:
	v_bfe_u32 v1, v4, 21, 1
	s_mov_b32 s51, exec_lo
	s_delay_alu instid0(VALU_DEP_1) | instskip(NEXT) | instid1(VALU_DEP_1)
	v_add3_u32 v1, v4, v1, 0x88fffff
	v_lshrrev_b32_e32 v1, 21, v1
	s_and_not1_saveexec_b32 s52, s52
	s_cbranch_execz .LBB159_459
.LBB159_1381:
	v_add_f32_e64 v1, 0x42800000, |v4|
	s_and_not1_b32 s51, s51, exec_lo
	s_delay_alu instid0(VALU_DEP_1) | instskip(NEXT) | instid1(VALU_DEP_1)
	v_and_b32_e32 v1, 0xff, v1
	v_cmp_ne_u32_e32 vcc_lo, 0, v1
	s_and_b32 s54, vcc_lo, exec_lo
	s_delay_alu instid0(SALU_CYCLE_1)
	s_or_b32 s51, s51, s54
	s_or_b32 exec_lo, exec_lo, s52
	v_mov_b32_e32 v6, 0
	s_and_saveexec_b32 s52, s51
	s_cbranch_execnz .LBB159_460
	s_branch .LBB159_461
.LBB159_1382:
	v_bfe_u32 v1, v4, 20, 1
	s_mov_b32 s56, exec_lo
	s_delay_alu instid0(VALU_DEP_1) | instskip(NEXT) | instid1(VALU_DEP_1)
	v_add3_u32 v1, v4, v1, 0x487ffff
	v_lshrrev_b32_e32 v1, 20, v1
	s_and_not1_saveexec_b32 s57, s57
	s_cbranch_execz .LBB159_992
.LBB159_1383:
	v_add_f32_e64 v1, 0x46000000, |v4|
	s_and_not1_b32 s56, s56, exec_lo
	s_delay_alu instid0(VALU_DEP_1) | instskip(NEXT) | instid1(VALU_DEP_1)
	v_and_b32_e32 v1, 0xff, v1
	v_cmp_ne_u32_e32 vcc_lo, 0, v1
	s_and_b32 s59, vcc_lo, exec_lo
	s_delay_alu instid0(SALU_CYCLE_1)
	s_or_b32 s56, s56, s59
	s_or_b32 exec_lo, exec_lo, s57
	v_mov_b32_e32 v6, 0
	s_and_saveexec_b32 s57, s56
	s_cbranch_execnz .LBB159_993
	s_branch .LBB159_994
.LBB159_1384:
	s_mov_b32 s36, -1
	s_mov_b32 s37, 0
.LBB159_1385:
                                        ; implicit-def: $vgpr13
.LBB159_1386:
	s_and_b32 vcc_lo, exec_lo, s60
	s_cbranch_vccz .LBB159_1391
; %bb.1387:
	s_cmp_eq_u32 s0, 44
	s_cbranch_scc0 .LBB159_1389
; %bb.1388:
	global_load_u8 v1, v[8:9], off
	s_mov_b32 s36, 0
	s_mov_b32 s37, -1
	s_wait_loadcnt 0x0
	v_lshlrev_b32_e32 v3, 23, v1
	v_cmp_ne_u32_e32 vcc_lo, 0xff, v1
	s_delay_alu instid0(VALU_DEP_2) | instskip(SKIP_2) | instid1(VALU_DEP_2)
	v_cndmask_b32_e32 v3, 0x7f800001, v3, vcc_lo
	v_cmp_ne_u32_e32 vcc_lo, 0, v1
	s_wait_xcnt 0x1
	v_cndmask_b32_e32 v12, 0x400000, v3, vcc_lo
	s_branch .LBB159_1390
.LBB159_1389:
	s_mov_b32 s36, -1
                                        ; implicit-def: $vgpr12
.LBB159_1390:
	s_wait_xcnt 0x0
	v_mov_b32_e32 v13, 0
.LBB159_1391:
	s_mov_b32 s60, 0
.LBB159_1392:
	s_delay_alu instid0(SALU_CYCLE_1)
	s_and_b32 vcc_lo, exec_lo, s60
	s_cbranch_vccz .LBB159_1397
; %bb.1393:
	s_cmp_eq_u32 s0, 29
	s_cbranch_scc0 .LBB159_1395
; %bb.1394:
	global_load_b64 v[12:13], v[8:9], off
	s_mov_b32 s37, -1
	s_mov_b32 s36, 0
	s_wait_loadcnt 0x0
	v_clz_i32_u32_e32 v1, v13
	s_delay_alu instid0(VALU_DEP_1) | instskip(NEXT) | instid1(VALU_DEP_1)
	v_min_u32_e32 v1, 32, v1
	v_lshlrev_b64_e32 v[12:13], v1, v[12:13]
	v_sub_nc_u32_e32 v1, 32, v1
	s_delay_alu instid0(VALU_DEP_2) | instskip(NEXT) | instid1(VALU_DEP_1)
	v_min_u32_e32 v3, 1, v12
	v_or_b32_e32 v3, v13, v3
	s_delay_alu instid0(VALU_DEP_1) | instskip(NEXT) | instid1(VALU_DEP_1)
	v_cvt_f32_u32_e32 v3, v3
	v_ldexp_f32 v12, v3, v1
	s_branch .LBB159_1396
.LBB159_1395:
	s_mov_b32 s36, -1
                                        ; implicit-def: $vgpr12
.LBB159_1396:
	s_wait_xcnt 0x0
	v_mov_b32_e32 v13, 0
.LBB159_1397:
	s_mov_b32 s60, 0
.LBB159_1398:
	s_delay_alu instid0(SALU_CYCLE_1)
	s_and_b32 vcc_lo, exec_lo, s60
	s_cbranch_vccz .LBB159_1414
; %bb.1399:
	s_cmp_lt_i32 s0, 27
	s_cbranch_scc1 .LBB159_1402
; %bb.1400:
	s_cmp_gt_i32 s0, 27
	s_cbranch_scc0 .LBB159_1403
; %bb.1401:
	global_load_b32 v1, v[8:9], off
	s_mov_b32 s37, 0
	s_wait_loadcnt 0x0
	s_wait_xcnt 0x1
	v_cvt_f32_u32_e32 v12, v1
	s_branch .LBB159_1404
.LBB159_1402:
	s_mov_b32 s37, -1
                                        ; implicit-def: $vgpr12
	s_branch .LBB159_1407
.LBB159_1403:
	s_mov_b32 s37, -1
                                        ; implicit-def: $vgpr12
.LBB159_1404:
	s_delay_alu instid0(SALU_CYCLE_1)
	s_and_not1_b32 vcc_lo, exec_lo, s37
	s_cbranch_vccnz .LBB159_1406
; %bb.1405:
	global_load_u16 v1, v[8:9], off
	s_wait_loadcnt 0x0
	s_wait_xcnt 0x1
	v_cvt_f32_u32_e32 v12, v1
.LBB159_1406:
	s_mov_b32 s37, 0
.LBB159_1407:
	s_delay_alu instid0(SALU_CYCLE_1)
	s_and_not1_b32 vcc_lo, exec_lo, s37
	s_cbranch_vccnz .LBB159_1413
; %bb.1408:
	global_load_u8 v1, v[8:9], off
	s_mov_b32 s37, 0
	s_mov_b32 s60, exec_lo
	s_wait_loadcnt 0x0
	v_cmpx_lt_i16_e32 0x7f, v1
	s_xor_b32 s60, exec_lo, s60
	s_cbranch_execnz .LBB159_1426
; %bb.1409:
	s_or_saveexec_b32 s60, s60
	v_mov_b32_e32 v12, 0x7f800001
	s_xor_b32 exec_lo, exec_lo, s60
	s_cbranch_execnz .LBB159_1429
.LBB159_1410:
	s_or_b32 exec_lo, exec_lo, s60
	s_and_saveexec_b32 s60, s37
	s_cbranch_execz .LBB159_1412
.LBB159_1411:
	v_and_b32_e32 v3, 0xffff, v1
	s_delay_alu instid0(VALU_DEP_1) | instskip(SKIP_1) | instid1(VALU_DEP_2)
	v_dual_lshlrev_b32 v1, 24, v1 :: v_dual_bitop2_b32 v5, 7, v3 bitop3:0x40
	v_bfe_u32 v13, v3, 3, 4
	v_and_b32_e32 v1, 0x80000000, v1
	s_delay_alu instid0(VALU_DEP_3) | instskip(NEXT) | instid1(VALU_DEP_3)
	v_clz_i32_u32_e32 v7, v5
	v_cmp_eq_u32_e32 vcc_lo, 0, v13
	s_delay_alu instid0(VALU_DEP_2) | instskip(NEXT) | instid1(VALU_DEP_1)
	v_min_u32_e32 v7, 32, v7
	v_subrev_nc_u32_e32 v12, 28, v7
	v_sub_nc_u32_e32 v7, 29, v7
	s_delay_alu instid0(VALU_DEP_2) | instskip(NEXT) | instid1(VALU_DEP_2)
	v_lshlrev_b32_e32 v3, v12, v3
	v_cndmask_b32_e32 v7, v13, v7, vcc_lo
	s_delay_alu instid0(VALU_DEP_2) | instskip(NEXT) | instid1(VALU_DEP_1)
	v_and_b32_e32 v3, 7, v3
	v_cndmask_b32_e32 v3, v5, v3, vcc_lo
	s_delay_alu instid0(VALU_DEP_3) | instskip(NEXT) | instid1(VALU_DEP_2)
	v_lshl_add_u32 v5, v7, 23, 0x3b800000
	v_lshlrev_b32_e32 v3, 20, v3
	s_delay_alu instid0(VALU_DEP_1)
	v_or3_b32 v12, v1, v5, v3
.LBB159_1412:
	s_or_b32 exec_lo, exec_lo, s60
.LBB159_1413:
	s_wait_xcnt 0x0
	v_mov_b32_e32 v13, 0
	s_mov_b32 s37, -1
.LBB159_1414:
	s_mov_b32 s60, 0
.LBB159_1415:
	s_delay_alu instid0(SALU_CYCLE_1)
	s_and_b32 vcc_lo, exec_lo, s60
	s_cbranch_vccz .LBB159_1449
; %bb.1416:
	s_cmp_gt_i32 s0, 22
	s_cbranch_scc0 .LBB159_1424
; %bb.1417:
	s_cmp_lt_i32 s0, 24
	s_cbranch_scc1 .LBB159_1425
; %bb.1418:
	s_cmp_gt_i32 s0, 24
	s_cbranch_scc0 .LBB159_1430
; %bb.1419:
	global_load_u8 v1, v[8:9], off
	s_mov_b32 s37, 0
	s_mov_b32 s60, exec_lo
	s_wait_loadcnt 0x0
	v_cmpx_lt_i16_e32 0x7f, v1
	s_xor_b32 s60, exec_lo, s60
	s_cbranch_execnz .LBB159_1514
; %bb.1420:
	s_or_saveexec_b32 s60, s60
	v_mov_b32_e32 v12, 0x7f800001
	s_xor_b32 exec_lo, exec_lo, s60
	s_cbranch_execnz .LBB159_1517
.LBB159_1421:
	s_or_b32 exec_lo, exec_lo, s60
	s_and_saveexec_b32 s60, s37
	s_cbranch_execz .LBB159_1423
.LBB159_1422:
	v_and_b32_e32 v3, 0xffff, v1
	s_delay_alu instid0(VALU_DEP_1) | instskip(SKIP_1) | instid1(VALU_DEP_2)
	v_dual_lshlrev_b32 v1, 24, v1 :: v_dual_bitop2_b32 v5, 3, v3 bitop3:0x40
	v_bfe_u32 v13, v3, 2, 5
	v_and_b32_e32 v1, 0x80000000, v1
	s_delay_alu instid0(VALU_DEP_3) | instskip(NEXT) | instid1(VALU_DEP_3)
	v_clz_i32_u32_e32 v7, v5
	v_cmp_eq_u32_e32 vcc_lo, 0, v13
	s_delay_alu instid0(VALU_DEP_2) | instskip(NEXT) | instid1(VALU_DEP_1)
	v_min_u32_e32 v7, 32, v7
	v_subrev_nc_u32_e32 v12, 29, v7
	v_sub_nc_u32_e32 v7, 30, v7
	s_delay_alu instid0(VALU_DEP_2) | instskip(NEXT) | instid1(VALU_DEP_2)
	v_lshlrev_b32_e32 v3, v12, v3
	v_cndmask_b32_e32 v7, v13, v7, vcc_lo
	s_delay_alu instid0(VALU_DEP_2) | instskip(NEXT) | instid1(VALU_DEP_1)
	v_and_b32_e32 v3, 3, v3
	v_cndmask_b32_e32 v3, v5, v3, vcc_lo
	s_delay_alu instid0(VALU_DEP_3) | instskip(NEXT) | instid1(VALU_DEP_2)
	v_lshl_add_u32 v5, v7, 23, 0x37800000
	v_lshlrev_b32_e32 v3, 21, v3
	s_delay_alu instid0(VALU_DEP_1)
	v_or3_b32 v12, v1, v5, v3
.LBB159_1423:
	s_or_b32 exec_lo, exec_lo, s60
	s_mov_b32 s37, 0
	s_branch .LBB159_1431
.LBB159_1424:
	s_mov_b32 s60, -1
                                        ; implicit-def: $vgpr12
	s_branch .LBB159_1437
.LBB159_1425:
	s_mov_b32 s37, -1
                                        ; implicit-def: $vgpr12
	s_branch .LBB159_1434
.LBB159_1426:
	s_mov_b32 s37, -1
	s_mov_b32 s61, exec_lo
	v_cmpx_eq_u16_e32 0x80, v1
; %bb.1427:
	s_xor_b32 s37, exec_lo, -1
; %bb.1428:
	s_or_b32 exec_lo, exec_lo, s61
	s_delay_alu instid0(SALU_CYCLE_1)
	s_and_b32 s37, s37, exec_lo
	s_or_saveexec_b32 s60, s60
	v_mov_b32_e32 v12, 0x7f800001
	s_xor_b32 exec_lo, exec_lo, s60
	s_cbranch_execz .LBB159_1410
.LBB159_1429:
	v_cmp_ne_u16_e32 vcc_lo, 0, v1
	v_mov_b32_e32 v12, 0
	s_and_not1_b32 s37, s37, exec_lo
	s_and_b32 s61, vcc_lo, exec_lo
	s_delay_alu instid0(SALU_CYCLE_1)
	s_or_b32 s37, s37, s61
	s_or_b32 exec_lo, exec_lo, s60
	s_and_saveexec_b32 s60, s37
	s_cbranch_execnz .LBB159_1411
	s_branch .LBB159_1412
.LBB159_1430:
	s_mov_b32 s37, -1
                                        ; implicit-def: $vgpr12
.LBB159_1431:
	s_delay_alu instid0(SALU_CYCLE_1)
	s_and_b32 vcc_lo, exec_lo, s37
	s_cbranch_vccz .LBB159_1433
; %bb.1432:
	global_load_u8 v1, v[8:9], off
	s_wait_loadcnt 0x0
	v_lshlrev_b32_e32 v1, 24, v1
	s_delay_alu instid0(VALU_DEP_1) | instskip(NEXT) | instid1(VALU_DEP_1)
	v_and_b32_e32 v3, 0x7f000000, v1
	v_clz_i32_u32_e32 v5, v3
	v_cmp_ne_u32_e32 vcc_lo, 0, v3
	s_wait_xcnt 0x1
	v_add_nc_u32_e32 v12, 0x1000000, v3
	s_delay_alu instid0(VALU_DEP_3) | instskip(NEXT) | instid1(VALU_DEP_1)
	v_min_u32_e32 v5, 32, v5
	v_sub_nc_u32_e64 v5, v5, 4 clamp
	s_delay_alu instid0(VALU_DEP_1) | instskip(NEXT) | instid1(VALU_DEP_1)
	v_dual_lshlrev_b32 v7, v5, v3 :: v_dual_lshlrev_b32 v5, 23, v5
	v_lshrrev_b32_e32 v7, 4, v7
	s_delay_alu instid0(VALU_DEP_1) | instskip(NEXT) | instid1(VALU_DEP_1)
	v_dual_sub_nc_u32 v5, v7, v5 :: v_dual_ashrrev_i32 v7, 8, v12
	v_add_nc_u32_e32 v5, 0x3c000000, v5
	s_delay_alu instid0(VALU_DEP_1) | instskip(NEXT) | instid1(VALU_DEP_1)
	v_and_or_b32 v5, 0x7f800000, v7, v5
	v_cndmask_b32_e32 v3, 0, v5, vcc_lo
	s_delay_alu instid0(VALU_DEP_1)
	v_and_or_b32 v12, 0x80000000, v1, v3
.LBB159_1433:
	s_mov_b32 s37, 0
.LBB159_1434:
	s_delay_alu instid0(SALU_CYCLE_1)
	s_and_not1_b32 vcc_lo, exec_lo, s37
	s_cbranch_vccnz .LBB159_1436
; %bb.1435:
	global_load_u8 v1, v[8:9], off
	s_wait_loadcnt 0x0
	v_lshlrev_b32_e32 v3, 25, v1
	v_lshlrev_b16 v1, 8, v1
	s_delay_alu instid0(VALU_DEP_1) | instskip(SKIP_1) | instid1(VALU_DEP_2)
	v_and_or_b32 v7, 0x7f00, v1, 0.5
	v_bfe_i32 v1, v1, 0, 16
	v_add_f32_e32 v7, -0.5, v7
	v_lshrrev_b32_e32 v5, 4, v3
	v_cmp_gt_u32_e32 vcc_lo, 0x8000000, v3
	s_delay_alu instid0(VALU_DEP_2) | instskip(NEXT) | instid1(VALU_DEP_1)
	v_or_b32_e32 v5, 0x70000000, v5
	v_mul_f32_e32 v5, 0x7800000, v5
	s_delay_alu instid0(VALU_DEP_1) | instskip(SKIP_1) | instid1(VALU_DEP_1)
	v_cndmask_b32_e32 v3, v5, v7, vcc_lo
	s_wait_xcnt 0x1
	v_and_or_b32 v12, 0x80000000, v1, v3
.LBB159_1436:
	s_mov_b32 s60, 0
	s_mov_b32 s37, -1
.LBB159_1437:
	s_and_not1_b32 vcc_lo, exec_lo, s60
	s_cbranch_vccnz .LBB159_1448
; %bb.1438:
	s_cmp_gt_i32 s0, 14
	s_cbranch_scc0 .LBB159_1441
; %bb.1439:
	s_cmp_eq_u32 s0, 15
	s_cbranch_scc0 .LBB159_1442
; %bb.1440:
	global_load_u16 v1, v[8:9], off
	s_mov_b32 s37, -1
	s_mov_b32 s36, 0
	s_wait_loadcnt 0x0
	s_wait_xcnt 0x1
	v_lshlrev_b32_e32 v12, 16, v1
	s_branch .LBB159_1443
.LBB159_1441:
	s_mov_b32 s60, -1
                                        ; implicit-def: $vgpr12
	s_branch .LBB159_1444
.LBB159_1442:
	s_mov_b32 s36, -1
                                        ; implicit-def: $vgpr12
.LBB159_1443:
	s_mov_b32 s60, 0
.LBB159_1444:
	s_delay_alu instid0(SALU_CYCLE_1)
	s_and_b32 vcc_lo, exec_lo, s60
	s_cbranch_vccz .LBB159_1448
; %bb.1445:
	s_cmp_eq_u32 s0, 11
	s_cbranch_scc0 .LBB159_1447
; %bb.1446:
	global_load_u8 v1, v[8:9], off
	s_mov_b32 s36, 0
	s_mov_b32 s37, -1
	s_wait_xcnt 0x1
	v_mov_b32_e32 v13, 0
	s_wait_loadcnt 0x0
	v_cmp_ne_u16_e32 vcc_lo, 0, v1
	v_cndmask_b32_e64 v12, 0, 1.0, vcc_lo
	s_branch .LBB159_1449
.LBB159_1447:
	s_mov_b32 s36, -1
                                        ; implicit-def: $vgpr12
.LBB159_1448:
	s_wait_xcnt 0x0
	v_mov_b32_e32 v13, 0
.LBB159_1449:
	s_mov_b32 s60, 0
.LBB159_1450:
	s_delay_alu instid0(SALU_CYCLE_1)
	s_and_b32 vcc_lo, exec_lo, s60
	s_cbranch_vccz .LBB159_1501
; %bb.1451:
	s_cmp_lt_i32 s0, 5
	s_cbranch_scc1 .LBB159_1456
; %bb.1452:
	s_cmp_lt_i32 s0, 8
	s_cbranch_scc1 .LBB159_1457
	;; [unrolled: 3-line block ×3, first 2 shown]
; %bb.1454:
	s_cmp_gt_i32 s0, 9
	s_cbranch_scc0 .LBB159_1459
; %bb.1455:
	global_load_b128 v[12:15], v[8:9], off
	s_mov_b32 s37, 0
	s_wait_loadcnt 0x0
	v_cvt_f32_f64_e32 v12, v[12:13]
	v_cvt_f32_f64_e32 v13, v[14:15]
	s_branch .LBB159_1460
.LBB159_1456:
	s_mov_b32 s37, -1
                                        ; implicit-def: $vgpr13
	s_branch .LBB159_1479
.LBB159_1457:
	s_mov_b32 s37, -1
                                        ; implicit-def: $vgpr13
	s_branch .LBB159_1466
.LBB159_1458:
	s_mov_b32 s37, -1
                                        ; implicit-def: $vgpr13
	s_branch .LBB159_1463
.LBB159_1459:
	s_mov_b32 s37, -1
                                        ; implicit-def: $vgpr13
.LBB159_1460:
	s_delay_alu instid0(SALU_CYCLE_1)
	s_and_not1_b32 vcc_lo, exec_lo, s37
	s_cbranch_vccnz .LBB159_1462
; %bb.1461:
	global_load_b64 v[12:13], v[8:9], off
.LBB159_1462:
	s_mov_b32 s37, 0
.LBB159_1463:
	s_delay_alu instid0(SALU_CYCLE_1)
	s_and_not1_b32 vcc_lo, exec_lo, s37
	s_cbranch_vccnz .LBB159_1465
; %bb.1464:
	global_load_b32 v1, v[8:9], off
	s_wait_loadcnt 0x0
	v_lshrrev_b32_e32 v3, 16, v1
	s_wait_xcnt 0x1
	v_cvt_f32_f16_e32 v12, v1
	s_delay_alu instid0(VALU_DEP_2)
	v_cvt_f32_f16_e32 v13, v3
.LBB159_1465:
	s_mov_b32 s37, 0
.LBB159_1466:
	s_delay_alu instid0(SALU_CYCLE_1)
	s_and_not1_b32 vcc_lo, exec_lo, s37
	s_cbranch_vccnz .LBB159_1478
; %bb.1467:
	s_cmp_lt_i32 s0, 6
	s_cbranch_scc1 .LBB159_1470
; %bb.1468:
	s_cmp_gt_i32 s0, 6
	s_cbranch_scc0 .LBB159_1471
; %bb.1469:
	s_wait_loadcnt 0x0
	global_load_b64 v[12:13], v[8:9], off
	s_mov_b32 s37, 0
	s_wait_loadcnt 0x0
	v_cvt_f32_f64_e32 v12, v[12:13]
	s_branch .LBB159_1472
.LBB159_1470:
	s_mov_b32 s37, -1
                                        ; implicit-def: $vgpr12
	s_branch .LBB159_1475
.LBB159_1471:
	s_mov_b32 s37, -1
                                        ; implicit-def: $vgpr12
.LBB159_1472:
	s_delay_alu instid0(SALU_CYCLE_1)
	s_and_not1_b32 vcc_lo, exec_lo, s37
	s_cbranch_vccnz .LBB159_1474
; %bb.1473:
	s_wait_loadcnt 0x0
	global_load_b32 v12, v[8:9], off
.LBB159_1474:
	s_mov_b32 s37, 0
.LBB159_1475:
	s_delay_alu instid0(SALU_CYCLE_1)
	s_and_not1_b32 vcc_lo, exec_lo, s37
	s_cbranch_vccnz .LBB159_1477
; %bb.1476:
	global_load_u16 v1, v[8:9], off
	s_wait_loadcnt 0x0
	s_wait_xcnt 0x1
	v_cvt_f32_f16_e32 v12, v1
.LBB159_1477:
	s_wait_loadcnt 0x0
	v_mov_b32_e32 v13, 0
.LBB159_1478:
	s_mov_b32 s37, 0
.LBB159_1479:
	s_delay_alu instid0(SALU_CYCLE_1)
	s_and_not1_b32 vcc_lo, exec_lo, s37
	s_cbranch_vccnz .LBB159_1500
; %bb.1480:
	s_cmp_lt_i32 s0, 2
	s_cbranch_scc1 .LBB159_1484
; %bb.1481:
	s_cmp_lt_i32 s0, 3
	s_cbranch_scc1 .LBB159_1485
; %bb.1482:
	s_cmp_gt_i32 s0, 3
	s_cbranch_scc0 .LBB159_1486
; %bb.1483:
	s_wait_loadcnt 0x0
	global_load_b64 v[12:13], v[8:9], off
	s_mov_b32 s37, 0
	s_wait_loadcnt 0x0
	v_xor_b32_e32 v1, v12, v13
	v_cls_i32_e32 v3, v13
	s_delay_alu instid0(VALU_DEP_2) | instskip(NEXT) | instid1(VALU_DEP_1)
	v_ashrrev_i32_e32 v1, 31, v1
	v_add_nc_u32_e32 v1, 32, v1
	s_delay_alu instid0(VALU_DEP_1) | instskip(NEXT) | instid1(VALU_DEP_1)
	v_add_min_u32_e64 v1, v3, -1, v1
	v_lshlrev_b64_e32 v[12:13], v1, v[12:13]
	v_sub_nc_u32_e32 v1, 32, v1
	s_delay_alu instid0(VALU_DEP_2) | instskip(NEXT) | instid1(VALU_DEP_1)
	v_min_u32_e32 v3, 1, v12
	v_or_b32_e32 v3, v13, v3
	s_delay_alu instid0(VALU_DEP_1) | instskip(NEXT) | instid1(VALU_DEP_1)
	v_cvt_f32_i32_e32 v3, v3
	v_ldexp_f32 v12, v3, v1
	s_branch .LBB159_1487
.LBB159_1484:
	s_mov_b32 s37, -1
                                        ; implicit-def: $vgpr12
	s_branch .LBB159_1493
.LBB159_1485:
	s_mov_b32 s37, -1
                                        ; implicit-def: $vgpr12
	s_branch .LBB159_1490
.LBB159_1486:
	s_mov_b32 s37, -1
                                        ; implicit-def: $vgpr12
.LBB159_1487:
	s_delay_alu instid0(SALU_CYCLE_1)
	s_and_not1_b32 vcc_lo, exec_lo, s37
	s_cbranch_vccnz .LBB159_1489
; %bb.1488:
	global_load_b32 v1, v[8:9], off
	s_wait_loadcnt 0x0
	s_wait_xcnt 0x1
	v_cvt_f32_i32_e32 v12, v1
.LBB159_1489:
	s_mov_b32 s37, 0
.LBB159_1490:
	s_delay_alu instid0(SALU_CYCLE_1)
	s_and_not1_b32 vcc_lo, exec_lo, s37
	s_cbranch_vccnz .LBB159_1492
; %bb.1491:
	global_load_i16 v1, v[8:9], off
	s_wait_loadcnt 0x0
	s_wait_xcnt 0x1
	v_cvt_f32_i32_e32 v12, v1
.LBB159_1492:
	s_mov_b32 s37, 0
.LBB159_1493:
	s_delay_alu instid0(SALU_CYCLE_1)
	s_and_not1_b32 vcc_lo, exec_lo, s37
	s_cbranch_vccnz .LBB159_1499
; %bb.1494:
	s_cmp_gt_i32 s0, 0
	s_mov_b32 s0, 0
	s_cbranch_scc0 .LBB159_1496
; %bb.1495:
	global_load_i8 v1, v[8:9], off
	s_wait_loadcnt 0x0
	s_wait_xcnt 0x1
	v_cvt_f32_i32_e32 v12, v1
	s_branch .LBB159_1497
.LBB159_1496:
	s_mov_b32 s0, -1
                                        ; implicit-def: $vgpr12
.LBB159_1497:
	s_delay_alu instid0(SALU_CYCLE_1)
	s_and_not1_b32 vcc_lo, exec_lo, s0
	s_cbranch_vccnz .LBB159_1499
; %bb.1498:
	global_load_u8 v1, v[8:9], off
	s_wait_loadcnt 0x0
	s_wait_xcnt 0x1
	v_cvt_f32_ubyte0_e32 v12, v1
.LBB159_1499:
	s_wait_loadcnt 0x0
	v_mov_b32_e32 v13, 0
.LBB159_1500:
	s_mov_b32 s37, -1
.LBB159_1501:
	s_delay_alu instid0(SALU_CYCLE_1)
	s_and_not1_b32 vcc_lo, exec_lo, s37
	s_cbranch_vccnz .LBB159_1509
; %bb.1502:
	s_wait_xcnt 0x0
	v_mov_b64_e32 v[8:9], s[28:29]
	v_mov_b64_e32 v[16:17], s[20:21]
	s_wait_loadcnt 0x0
	s_delay_alu instid0(VALU_DEP_3)
	v_dual_mov_b32 v18, v13 :: v_dual_mov_b32 v19, v12
	s_and_b32 s37, s42, 0xff
	v_mov_b32_e32 v3, 0
	s_cmp_lt_i32 s37, 11
	v_pk_mul_f32 v[14:15], v[10:11], v[8:9]
	v_pk_mul_f32 v[8:9], v[10:11], v[8:9] op_sel:[0,1] op_sel_hi:[1,0]
	v_pk_mul_f32 v[6:7], v[6:7], v[16:17] op_sel:[0,1] op_sel_hi:[0,0]
	v_add_nc_u64_e32 v[2:3], s[4:5], v[2:3]
	s_delay_alu instid0(VALU_DEP_4) | instskip(NEXT) | instid1(VALU_DEP_4)
	v_add_f32_e32 v10, v14, v15
	v_pk_add_f32 v[8:9], v[8:9], v[8:9] op_sel:[0,1] op_sel_hi:[0,1] neg_lo:[0,1] neg_hi:[0,1]
	s_delay_alu instid0(VALU_DEP_4) | instskip(SKIP_1) | instid1(VALU_DEP_4)
	v_pk_fma_f32 v[14:15], v[4:5], v[16:17], v[6:7] op_sel_hi:[0,1,1]
	v_pk_fma_f32 v[4:5], v[4:5], v[16:17], v[6:7] op_sel_hi:[0,1,1] neg_lo:[0,0,1] neg_hi:[0,0,1]
	v_pk_mul_f32 v[10:11], v[10:11], v[18:19] op_sel_hi:[0,1]
	s_delay_alu instid0(VALU_DEP_1) | instskip(SKIP_1) | instid1(VALU_DEP_2)
	v_pk_fma_f32 v[18:19], v[8:9], v[12:13], v[10:11]
	v_pk_fma_f32 v[6:7], v[8:9], v[12:13], v[10:11] neg_lo:[0,0,1] neg_hi:[0,0,1]
	v_dual_mov_b32 v5, v15 :: v_dual_mov_b32 v7, v19
	s_delay_alu instid0(VALU_DEP_1)
	v_pk_add_f32 v[4:5], v[4:5], v[6:7]
	s_cbranch_scc1 .LBB159_1510
; %bb.1503:
	s_and_b32 s60, 0xffff, s37
	s_delay_alu instid0(SALU_CYCLE_1)
	s_cmp_gt_i32 s60, 25
	s_cbranch_scc0 .LBB159_1511
; %bb.1504:
	s_cmp_gt_i32 s60, 28
	s_cbranch_scc0 .LBB159_1512
; %bb.1505:
	;; [unrolled: 3-line block ×4, first 2 shown]
	s_mov_b32 s62, 0
	s_mov_b32 s0, -1
	s_cmp_eq_u32 s60, 46
	s_mov_b32 s61, 0
	s_cbranch_scc0 .LBB159_1519
; %bb.1508:
	v_dual_lshrrev_b32 v1, 16, v4 :: v_dual_lshrrev_b32 v6, 16, v5
	v_cmp_o_f32_e32 vcc_lo, v4, v4
	s_mov_b32 s61, -1
	s_mov_b32 s0, 0
	s_delay_alu instid0(VALU_DEP_2) | instskip(NEXT) | instid1(VALU_DEP_1)
	v_and_b32_e32 v1, 1, v1
	v_add3_u32 v1, v4, v1, 0x7fff
	s_delay_alu instid0(VALU_DEP_1) | instskip(NEXT) | instid1(VALU_DEP_1)
	v_dual_lshrrev_b32 v1, 16, v1 :: v_dual_bitop2_b32 v6, 1, v6 bitop3:0x40
	v_add3_u32 v6, v5, v6, 0x7fff
	s_delay_alu instid0(VALU_DEP_2) | instskip(NEXT) | instid1(VALU_DEP_2)
	v_cndmask_b32_e32 v1, 0x7fc0, v1, vcc_lo
	v_and_b32_e32 v6, 0xffff0000, v6
	v_cmp_o_f32_e32 vcc_lo, v5, v5
	s_delay_alu instid0(VALU_DEP_2) | instskip(NEXT) | instid1(VALU_DEP_1)
	v_cndmask_b32_e32 v6, 0x7fc00000, v6, vcc_lo
	v_or_b32_e32 v1, v6, v1
	global_store_b32 v[2:3], v1, off
	s_branch .LBB159_1519
.LBB159_1509:
	s_mov_b32 s37, 0
	s_mov_b32 s0, s55
	s_branch .LBB159_1630
.LBB159_1510:
	s_mov_b32 s60, -1
	s_mov_b32 s61, 0
	s_mov_b32 s0, s55
	s_branch .LBB159_1588
.LBB159_1511:
	s_mov_b32 s62, -1
	s_mov_b32 s61, 0
	s_mov_b32 s0, s55
	s_branch .LBB159_1546
.LBB159_1512:
	s_mov_b32 s62, -1
	s_mov_b32 s61, 0
	s_mov_b32 s0, s55
	s_branch .LBB159_1529
.LBB159_1513:
	s_mov_b32 s62, -1
	s_mov_b32 s61, 0
	s_mov_b32 s0, s55
	s_branch .LBB159_1525
.LBB159_1514:
	s_mov_b32 s37, -1
	s_mov_b32 s61, exec_lo
	v_cmpx_eq_u16_e32 0x80, v1
; %bb.1515:
	s_xor_b32 s37, exec_lo, -1
; %bb.1516:
	s_or_b32 exec_lo, exec_lo, s61
	s_delay_alu instid0(SALU_CYCLE_1)
	s_and_b32 s37, s37, exec_lo
	s_or_saveexec_b32 s60, s60
	v_mov_b32_e32 v12, 0x7f800001
	s_xor_b32 exec_lo, exec_lo, s60
	s_cbranch_execz .LBB159_1421
.LBB159_1517:
	v_cmp_ne_u16_e32 vcc_lo, 0, v1
	v_mov_b32_e32 v12, 0
	s_and_not1_b32 s37, s37, exec_lo
	s_and_b32 s61, vcc_lo, exec_lo
	s_delay_alu instid0(SALU_CYCLE_1)
	s_or_b32 s37, s37, s61
	s_or_b32 exec_lo, exec_lo, s60
	s_and_saveexec_b32 s60, s37
	s_cbranch_execnz .LBB159_1422
	s_branch .LBB159_1423
.LBB159_1518:
	s_mov_b32 s62, -1
	s_mov_b32 s61, 0
	s_mov_b32 s0, s55
.LBB159_1519:
	s_and_b32 vcc_lo, exec_lo, s62
	s_cbranch_vccz .LBB159_1524
; %bb.1520:
	s_cmp_eq_u32 s60, 44
	s_mov_b32 s0, -1
	s_cbranch_scc0 .LBB159_1524
; %bb.1521:
	v_bfe_u32 v6, v4, 23, 8
	s_wait_xcnt 0x0
	v_mov_b32_e32 v1, 0xff
	s_mov_b32 s61, exec_lo
	s_delay_alu instid0(VALU_DEP_2)
	v_cmpx_ne_u32_e32 0xff, v6
	s_cbranch_execz .LBB159_1523
; %bb.1522:
	v_and_b32_e32 v1, 0x400000, v4
	v_and_or_b32 v6, 0x3fffff, v4, v6
	s_delay_alu instid0(VALU_DEP_2) | instskip(NEXT) | instid1(VALU_DEP_2)
	v_cmp_ne_u32_e32 vcc_lo, 0, v1
	v_cmp_ne_u32_e64 s0, 0, v6
	v_lshrrev_b32_e32 v1, 23, v4
	s_and_b32 s0, vcc_lo, s0
	s_delay_alu instid0(SALU_CYCLE_1) | instskip(NEXT) | instid1(VALU_DEP_1)
	v_cndmask_b32_e64 v6, 0, 1, s0
	v_add_nc_u32_e32 v1, v1, v6
.LBB159_1523:
	s_or_b32 exec_lo, exec_lo, s61
	s_mov_b32 s61, -1
	s_mov_b32 s0, 0
	global_store_b8 v[2:3], v1, off
.LBB159_1524:
	s_mov_b32 s62, 0
.LBB159_1525:
	s_delay_alu instid0(SALU_CYCLE_1)
	s_and_b32 vcc_lo, exec_lo, s62
	s_cbranch_vccz .LBB159_1528
; %bb.1526:
	s_cmp_eq_u32 s60, 29
	s_mov_b32 s0, -1
	s_cbranch_scc0 .LBB159_1528
; %bb.1527:
	s_wait_xcnt 0x0
	v_trunc_f32_e32 v1, v4
	s_mov_b32 s61, -1
	s_mov_b32 s0, 0
	s_mov_b32 s62, 0
	s_delay_alu instid0(VALU_DEP_1) | instskip(NEXT) | instid1(VALU_DEP_1)
	v_mul_f32_e32 v6, 0x2f800000, v1
	v_floor_f32_e32 v6, v6
	s_delay_alu instid0(VALU_DEP_1) | instskip(SKIP_1) | instid1(VALU_DEP_2)
	v_fmamk_f32 v1, v6, 0xcf800000, v1
	v_cvt_u32_f32_e32 v7, v6
	v_cvt_u32_f32_e32 v6, v1
	global_store_b64 v[2:3], v[6:7], off
	s_branch .LBB159_1529
.LBB159_1528:
	s_mov_b32 s62, 0
.LBB159_1529:
	s_delay_alu instid0(SALU_CYCLE_1)
	s_and_b32 vcc_lo, exec_lo, s62
	s_cbranch_vccz .LBB159_1545
; %bb.1530:
	s_cmp_lt_i32 s60, 27
	s_mov_b32 s61, -1
	s_cbranch_scc1 .LBB159_1536
; %bb.1531:
	s_cmp_gt_i32 s60, 27
	s_cbranch_scc0 .LBB159_1533
; %bb.1532:
	s_wait_xcnt 0x0
	v_cvt_u32_f32_e32 v1, v4
	s_mov_b32 s61, 0
	global_store_b32 v[2:3], v1, off
.LBB159_1533:
	s_and_not1_b32 vcc_lo, exec_lo, s61
	s_cbranch_vccnz .LBB159_1535
; %bb.1534:
	s_wait_xcnt 0x0
	v_cvt_u32_f32_e32 v1, v4
	global_store_b16 v[2:3], v1, off
.LBB159_1535:
	s_mov_b32 s61, 0
.LBB159_1536:
	s_delay_alu instid0(SALU_CYCLE_1)
	s_and_not1_b32 vcc_lo, exec_lo, s61
	s_cbranch_vccnz .LBB159_1544
; %bb.1537:
	s_wait_xcnt 0x0
	v_and_b32_e32 v1, 0x7fffffff, v4
	v_mov_b32_e32 v6, 0x80
	s_mov_b32 s61, exec_lo
	s_delay_alu instid0(VALU_DEP_2)
	v_cmpx_gt_u32_e32 0x43800000, v1
	s_cbranch_execz .LBB159_1543
; %bb.1538:
	v_cmp_lt_u32_e32 vcc_lo, 0x3bffffff, v1
	s_mov_b32 s62, 0
                                        ; implicit-def: $vgpr1
	s_and_saveexec_b32 s63, vcc_lo
	s_delay_alu instid0(SALU_CYCLE_1)
	s_xor_b32 s63, exec_lo, s63
	s_cbranch_execnz .LBB159_3034
; %bb.1539:
	s_and_not1_saveexec_b32 s63, s63
	s_cbranch_execnz .LBB159_3035
.LBB159_1540:
	s_or_b32 exec_lo, exec_lo, s63
	v_mov_b32_e32 v6, 0
	s_and_saveexec_b32 s63, s62
.LBB159_1541:
	v_lshrrev_b32_e32 v6, 24, v4
	s_delay_alu instid0(VALU_DEP_1)
	v_and_or_b32 v6, 0x80, v6, v1
.LBB159_1542:
	s_or_b32 exec_lo, exec_lo, s63
.LBB159_1543:
	s_delay_alu instid0(SALU_CYCLE_1)
	s_or_b32 exec_lo, exec_lo, s61
	global_store_b8 v[2:3], v6, off
.LBB159_1544:
	s_mov_b32 s61, -1
.LBB159_1545:
	s_mov_b32 s62, 0
.LBB159_1546:
	s_delay_alu instid0(SALU_CYCLE_1)
	s_and_b32 vcc_lo, exec_lo, s62
	s_cbranch_vccz .LBB159_1587
; %bb.1547:
	s_cmp_gt_i32 s60, 22
	s_mov_b32 s62, -1
	s_cbranch_scc0 .LBB159_1579
; %bb.1548:
	s_cmp_lt_i32 s60, 24
	s_mov_b32 s61, -1
	s_cbranch_scc1 .LBB159_1568
; %bb.1549:
	s_cmp_gt_i32 s60, 24
	s_cbranch_scc0 .LBB159_1557
; %bb.1550:
	s_wait_xcnt 0x0
	v_and_b32_e32 v1, 0x7fffffff, v4
	v_mov_b32_e32 v6, 0x80
	s_mov_b32 s61, exec_lo
	s_delay_alu instid0(VALU_DEP_2)
	v_cmpx_gt_u32_e32 0x47800000, v1
	s_cbranch_execz .LBB159_1556
; %bb.1551:
	v_cmp_lt_u32_e32 vcc_lo, 0x37ffffff, v1
	s_mov_b32 s62, 0
                                        ; implicit-def: $vgpr1
	s_and_saveexec_b32 s63, vcc_lo
	s_delay_alu instid0(SALU_CYCLE_1)
	s_xor_b32 s63, exec_lo, s63
	s_cbranch_execnz .LBB159_3172
; %bb.1552:
	s_and_not1_saveexec_b32 s63, s63
	s_cbranch_execnz .LBB159_3173
.LBB159_1553:
	s_or_b32 exec_lo, exec_lo, s63
	v_mov_b32_e32 v6, 0
	s_and_saveexec_b32 s63, s62
.LBB159_1554:
	v_lshrrev_b32_e32 v6, 24, v4
	s_delay_alu instid0(VALU_DEP_1)
	v_and_or_b32 v6, 0x80, v6, v1
.LBB159_1555:
	s_or_b32 exec_lo, exec_lo, s63
.LBB159_1556:
	s_delay_alu instid0(SALU_CYCLE_1)
	s_or_b32 exec_lo, exec_lo, s61
	s_mov_b32 s61, 0
	global_store_b8 v[2:3], v6, off
.LBB159_1557:
	s_and_b32 vcc_lo, exec_lo, s61
	s_cbranch_vccz .LBB159_1567
; %bb.1558:
	s_wait_xcnt 0x0
	v_and_b32_e32 v6, 0x7fffffff, v4
	s_mov_b32 s61, exec_lo
                                        ; implicit-def: $vgpr1
	s_delay_alu instid0(VALU_DEP_1)
	v_cmpx_gt_u32_e32 0x43f00000, v6
	s_xor_b32 s61, exec_lo, s61
	s_cbranch_execz .LBB159_1564
; %bb.1559:
	s_mov_b32 s62, exec_lo
                                        ; implicit-def: $vgpr1
	v_cmpx_lt_u32_e32 0x3c7fffff, v6
	s_xor_b32 s62, exec_lo, s62
; %bb.1560:
	v_bfe_u32 v1, v4, 20, 1
	s_delay_alu instid0(VALU_DEP_1) | instskip(NEXT) | instid1(VALU_DEP_1)
	v_add3_u32 v1, v4, v1, 0x407ffff
	v_and_b32_e32 v6, 0xff00000, v1
	v_lshrrev_b32_e32 v1, 20, v1
	s_delay_alu instid0(VALU_DEP_2) | instskip(NEXT) | instid1(VALU_DEP_2)
	v_cmp_ne_u32_e32 vcc_lo, 0x7f00000, v6
	v_cndmask_b32_e32 v1, 0x7e, v1, vcc_lo
; %bb.1561:
	s_and_not1_saveexec_b32 s62, s62
; %bb.1562:
	v_add_f32_e64 v1, 0x46800000, |v4|
; %bb.1563:
	s_or_b32 exec_lo, exec_lo, s62
                                        ; implicit-def: $vgpr6
.LBB159_1564:
	s_and_not1_saveexec_b32 s61, s61
; %bb.1565:
	v_mov_b32_e32 v1, 0x7f
	v_cmp_lt_u32_e32 vcc_lo, 0x7f800000, v6
	s_delay_alu instid0(VALU_DEP_2)
	v_cndmask_b32_e32 v1, 0x7e, v1, vcc_lo
; %bb.1566:
	s_or_b32 exec_lo, exec_lo, s61
	v_lshrrev_b32_e32 v6, 24, v4
	s_delay_alu instid0(VALU_DEP_1)
	v_and_or_b32 v1, 0x80, v6, v1
	global_store_b8 v[2:3], v1, off
.LBB159_1567:
	s_mov_b32 s61, 0
.LBB159_1568:
	s_delay_alu instid0(SALU_CYCLE_1)
	s_and_not1_b32 vcc_lo, exec_lo, s61
	s_cbranch_vccnz .LBB159_1578
; %bb.1569:
	s_wait_xcnt 0x0
	v_and_b32_e32 v6, 0x7fffffff, v4
	s_mov_b32 s61, exec_lo
                                        ; implicit-def: $vgpr1
	s_delay_alu instid0(VALU_DEP_1)
	v_cmpx_gt_u32_e32 0x47800000, v6
	s_xor_b32 s61, exec_lo, s61
	s_cbranch_execz .LBB159_1575
; %bb.1570:
	s_mov_b32 s62, exec_lo
                                        ; implicit-def: $vgpr1
	v_cmpx_lt_u32_e32 0x387fffff, v6
	s_xor_b32 s62, exec_lo, s62
; %bb.1571:
	v_bfe_u32 v1, v4, 21, 1
	s_delay_alu instid0(VALU_DEP_1) | instskip(NEXT) | instid1(VALU_DEP_1)
	v_add3_u32 v1, v4, v1, 0x80fffff
	v_lshrrev_b32_e32 v1, 21, v1
; %bb.1572:
	s_and_not1_saveexec_b32 s62, s62
; %bb.1573:
	v_add_f32_e64 v1, 0x43000000, |v4|
; %bb.1574:
	s_or_b32 exec_lo, exec_lo, s62
                                        ; implicit-def: $vgpr6
.LBB159_1575:
	s_and_not1_saveexec_b32 s61, s61
; %bb.1576:
	v_mov_b32_e32 v1, 0x7f
	v_cmp_lt_u32_e32 vcc_lo, 0x7f800000, v6
	s_delay_alu instid0(VALU_DEP_2)
	v_cndmask_b32_e32 v1, 0x7c, v1, vcc_lo
; %bb.1577:
	s_or_b32 exec_lo, exec_lo, s61
	v_lshrrev_b32_e32 v6, 24, v4
	s_delay_alu instid0(VALU_DEP_1)
	v_and_or_b32 v1, 0x80, v6, v1
	global_store_b8 v[2:3], v1, off
.LBB159_1578:
	s_mov_b32 s62, 0
	s_mov_b32 s61, -1
.LBB159_1579:
	s_and_not1_b32 vcc_lo, exec_lo, s62
	s_cbranch_vccnz .LBB159_1587
; %bb.1580:
	s_cmp_gt_i32 s60, 14
	s_mov_b32 s62, -1
	s_cbranch_scc0 .LBB159_1584
; %bb.1581:
	s_cmp_eq_u32 s60, 15
	s_mov_b32 s0, -1
	s_cbranch_scc0 .LBB159_1583
; %bb.1582:
	s_wait_xcnt 0x0
	v_bfe_u32 v1, v4, 16, 1
	v_cmp_o_f32_e32 vcc_lo, v4, v4
	s_mov_b32 s61, -1
	s_mov_b32 s0, 0
	s_delay_alu instid0(VALU_DEP_2) | instskip(NEXT) | instid1(VALU_DEP_1)
	v_add3_u32 v1, v4, v1, 0x7fff
	v_lshrrev_b32_e32 v1, 16, v1
	s_delay_alu instid0(VALU_DEP_1)
	v_cndmask_b32_e32 v1, 0x7fc0, v1, vcc_lo
	global_store_b16 v[2:3], v1, off
.LBB159_1583:
	s_mov_b32 s62, 0
.LBB159_1584:
	s_delay_alu instid0(SALU_CYCLE_1)
	s_and_b32 vcc_lo, exec_lo, s62
	s_cbranch_vccz .LBB159_1587
; %bb.1585:
	s_cmp_eq_u32 s60, 11
	s_mov_b32 s0, -1
	s_cbranch_scc0 .LBB159_1587
; %bb.1586:
	v_cmp_neq_f32_e32 vcc_lo, 0, v4
	v_cmp_neq_f32_e64 s0, 0, v5
	s_mov_b32 s61, -1
	s_or_b32 s0, vcc_lo, s0
	s_wait_xcnt 0x0
	v_cndmask_b32_e64 v1, 0, 1, s0
	s_mov_b32 s0, 0
	global_store_b8 v[2:3], v1, off
.LBB159_1587:
	s_mov_b32 s60, 0
.LBB159_1588:
	s_delay_alu instid0(SALU_CYCLE_1)
	s_and_b32 vcc_lo, exec_lo, s60
	s_cbranch_vccz .LBB159_1627
; %bb.1589:
	s_and_b32 s37, 0xffff, s37
	s_mov_b32 s60, -1
	s_cmp_lt_i32 s37, 5
	s_cbranch_scc1 .LBB159_1610
; %bb.1590:
	s_cmp_lt_i32 s37, 8
	s_cbranch_scc1 .LBB159_1600
; %bb.1591:
	;; [unrolled: 3-line block ×3, first 2 shown]
	s_cmp_gt_i32 s37, 9
	s_cbranch_scc0 .LBB159_1594
; %bb.1593:
	s_wait_xcnt 0x0
	v_cvt_f64_f32_e32 v[6:7], v4
	v_cvt_f64_f32_e32 v[8:9], v5
	s_mov_b32 s60, 0
	global_store_b128 v[2:3], v[6:9], off
.LBB159_1594:
	s_and_not1_b32 vcc_lo, exec_lo, s60
	s_cbranch_vccnz .LBB159_1596
; %bb.1595:
	global_store_b64 v[2:3], v[4:5], off
.LBB159_1596:
	s_mov_b32 s60, 0
.LBB159_1597:
	s_delay_alu instid0(SALU_CYCLE_1)
	s_and_not1_b32 vcc_lo, exec_lo, s60
	s_cbranch_vccnz .LBB159_1599
; %bb.1598:
	s_wait_xcnt 0x0
	v_cvt_f16_f32_e32 v1, v5
	v_cvt_f16_f32_e32 v5, v4
	s_delay_alu instid0(VALU_DEP_2) | instskip(NEXT) | instid1(VALU_DEP_2)
	v_lshlrev_b32_e32 v1, 16, v1
	v_and_b32_e32 v5, 0xffff, v5
	s_delay_alu instid0(VALU_DEP_1)
	v_or_b32_e32 v1, v1, v5
	global_store_b32 v[2:3], v1, off
.LBB159_1599:
	s_mov_b32 s60, 0
.LBB159_1600:
	s_delay_alu instid0(SALU_CYCLE_1)
	s_and_not1_b32 vcc_lo, exec_lo, s60
	s_cbranch_vccnz .LBB159_1609
; %bb.1601:
	s_cmp_lt_i32 s37, 6
	s_mov_b32 s60, -1
	s_cbranch_scc1 .LBB159_1607
; %bb.1602:
	s_cmp_gt_i32 s37, 6
	s_cbranch_scc0 .LBB159_1604
; %bb.1603:
	s_wait_xcnt 0x0
	v_cvt_f64_f32_e32 v[6:7], v4
	s_mov_b32 s60, 0
	global_store_b64 v[2:3], v[6:7], off
.LBB159_1604:
	s_and_not1_b32 vcc_lo, exec_lo, s60
	s_cbranch_vccnz .LBB159_1606
; %bb.1605:
	global_store_b32 v[2:3], v4, off
.LBB159_1606:
	s_mov_b32 s60, 0
.LBB159_1607:
	s_delay_alu instid0(SALU_CYCLE_1)
	s_and_not1_b32 vcc_lo, exec_lo, s60
	s_cbranch_vccnz .LBB159_1609
; %bb.1608:
	s_wait_xcnt 0x0
	v_cvt_f16_f32_e32 v1, v4
	global_store_b16 v[2:3], v1, off
.LBB159_1609:
	s_mov_b32 s60, 0
.LBB159_1610:
	s_delay_alu instid0(SALU_CYCLE_1)
	s_and_not1_b32 vcc_lo, exec_lo, s60
	s_cbranch_vccnz .LBB159_1626
; %bb.1611:
	s_cmp_lt_i32 s37, 2
	s_mov_b32 s60, -1
	s_cbranch_scc1 .LBB159_1621
; %bb.1612:
	s_cmp_lt_i32 s37, 3
	s_cbranch_scc1 .LBB159_1618
; %bb.1613:
	s_cmp_gt_i32 s37, 3
	s_cbranch_scc0 .LBB159_1615
; %bb.1614:
	s_wait_xcnt 0x0
	v_trunc_f32_e32 v1, v4
	s_mov_b32 s60, 0
	s_delay_alu instid0(VALU_DEP_1) | instskip(SKIP_1) | instid1(VALU_DEP_2)
	v_mul_f32_e64 v5, 0x2f800000, |v1|
	v_ashrrev_i32_e32 v6, 31, v1
	v_floor_f32_e32 v5, v5
	s_delay_alu instid0(VALU_DEP_1) | instskip(SKIP_1) | instid1(VALU_DEP_2)
	v_fma_f32 v7, 0xcf800000, v5, |v1|
	v_cvt_u32_f32_e32 v1, v5
	v_cvt_u32_f32_e32 v5, v7
	s_delay_alu instid0(VALU_DEP_2) | instskip(NEXT) | instid1(VALU_DEP_2)
	v_dual_mov_b32 v7, v6 :: v_dual_bitop2_b32 v9, v1, v6 bitop3:0x14
	v_xor_b32_e32 v8, v5, v6
	s_delay_alu instid0(VALU_DEP_1)
	v_sub_nc_u64_e32 v[6:7], v[8:9], v[6:7]
	global_store_b64 v[2:3], v[6:7], off
.LBB159_1615:
	s_and_not1_b32 vcc_lo, exec_lo, s60
	s_cbranch_vccnz .LBB159_1617
; %bb.1616:
	s_wait_xcnt 0x0
	v_cvt_i32_f32_e32 v1, v4
	global_store_b32 v[2:3], v1, off
.LBB159_1617:
	s_mov_b32 s60, 0
.LBB159_1618:
	s_delay_alu instid0(SALU_CYCLE_1)
	s_and_not1_b32 vcc_lo, exec_lo, s60
	s_cbranch_vccnz .LBB159_1620
; %bb.1619:
	s_wait_xcnt 0x0
	v_cvt_i32_f32_e32 v1, v4
	global_store_b16 v[2:3], v1, off
.LBB159_1620:
	s_mov_b32 s60, 0
.LBB159_1621:
	s_delay_alu instid0(SALU_CYCLE_1)
	s_and_not1_b32 vcc_lo, exec_lo, s60
	s_cbranch_vccnz .LBB159_1626
; %bb.1622:
	s_cmp_gt_i32 s37, 0
	s_mov_b32 s37, -1
	s_cbranch_scc0 .LBB159_1624
; %bb.1623:
	s_wait_xcnt 0x0
	v_cvt_i32_f32_e32 v1, v4
	s_mov_b32 s37, 0
	global_store_b8 v[2:3], v1, off
.LBB159_1624:
	s_and_not1_b32 vcc_lo, exec_lo, s37
	s_cbranch_vccnz .LBB159_1626
; %bb.1625:
	s_wait_xcnt 0x0
	v_trunc_f32_e32 v1, v4
	s_delay_alu instid0(VALU_DEP_1) | instskip(NEXT) | instid1(VALU_DEP_1)
	v_mul_f32_e64 v4, 0x2f800000, |v1|
	v_floor_f32_e32 v4, v4
	s_delay_alu instid0(VALU_DEP_1) | instskip(SKIP_1) | instid1(VALU_DEP_2)
	v_fma_f32 v4, 0xcf800000, v4, |v1|
	v_ashrrev_i32_e32 v1, 31, v1
	v_cvt_u32_f32_e32 v4, v4
	s_delay_alu instid0(VALU_DEP_1) | instskip(NEXT) | instid1(VALU_DEP_1)
	v_xor_b32_e32 v4, v4, v1
	v_sub_nc_u32_e32 v1, v4, v1
	global_store_b8 v[2:3], v1, off
.LBB159_1626:
	s_mov_b32 s61, -1
.LBB159_1627:
	s_delay_alu instid0(SALU_CYCLE_1)
	s_and_not1_b32 vcc_lo, exec_lo, s61
	s_cbranch_vccnz .LBB159_1629
; %bb.1628:
	v_add_nc_u32_e32 v0, 0x80, v0
	s_mov_b32 s37, -1
	s_branch .LBB159_1631
.LBB159_1629:
	s_mov_b32 s37, 0
.LBB159_1630:
                                        ; implicit-def: $vgpr0
.LBB159_1631:
	s_and_not1_b32 s60, s55, exec_lo
	s_and_b32 s0, s0, exec_lo
	s_and_not1_b32 s61, s56, exec_lo
	s_and_b32 s36, s36, exec_lo
	s_or_b32 s63, s60, s0
	s_or_b32 s61, s61, s36
	s_and_not1_b32 s0, s57, exec_lo
	s_and_b32 s23, s23, exec_lo
	s_and_not1_b32 s36, s54, exec_lo
	s_and_b32 s22, s22, exec_lo
	s_or_b32 s62, s0, s23
	s_or_b32 s60, s36, s22
	s_or_not1_b32 s37, s37, exec_lo
.LBB159_1632:
	s_wait_xcnt 0x0
	s_or_b32 exec_lo, exec_lo, s59
	s_mov_b32 s36, 0
	s_mov_b32 s23, 0
	;; [unrolled: 1-line block ×3, first 2 shown]
                                        ; implicit-def: $sgpr0
                                        ; implicit-def: $vgpr12_vgpr13
                                        ; implicit-def: $vgpr2
                                        ; implicit-def: $vgpr8
                                        ; implicit-def: $vgpr10
                                        ; implicit-def: $vgpr6
                                        ; implicit-def: $vgpr4
	s_and_saveexec_b32 s59, s37
	s_cbranch_execz .LBB159_1724
; %bb.1633:
	v_cmp_gt_i32_e32 vcc_lo, s48, v0
	s_mov_b32 s37, s60
                                        ; implicit-def: $sgpr0
                                        ; implicit-def: $vgpr12_vgpr13
                                        ; implicit-def: $vgpr2
                                        ; implicit-def: $vgpr8
                                        ; implicit-def: $vgpr10
                                        ; implicit-def: $vgpr6
                                        ; implicit-def: $vgpr4
	s_and_saveexec_b32 s48, vcc_lo
	s_cbranch_execz .LBB159_1723
; %bb.1634:
	s_and_not1_b32 vcc_lo, exec_lo, s40
	s_cbranch_vccnz .LBB159_1640
; %bb.1635:
	s_and_not1_b32 vcc_lo, exec_lo, s49
	s_cbranch_vccnz .LBB159_1641
; %bb.1636:
	s_wait_loadcnt 0x0
	v_dual_mov_b32 v10, 0 :: v_dual_mov_b32 v1, v0
	v_dual_mov_b32 v8, 0 :: v_dual_mov_b32 v2, 0
	v_mov_b32_e32 v4, 0
	s_add_co_i32 s0, s47, 1
	s_mov_b64 s[22:23], 0xffffffffffffffe0
	s_and_b32 s0, s0, 30
	s_add_nc_u64 s[22:23], s[2:3], s[22:23]
	s_mov_b64 s[36:37], s[2:3]
.LBB159_1637:                           ; =>This Inner Loop Header: Depth=1
	s_clause 0x1
	s_load_b128 s[72:75], s[36:37], 0x4
	s_load_b64 s[76:77], s[36:37], 0x14
	s_load_b256 s[64:71], s[22:23], 0xe4
	s_add_co_i32 s0, s0, -2
	s_wait_xcnt 0x0
	s_add_nc_u64 s[36:37], s[36:37], 24
	s_cmp_eq_u32 s0, 0
	s_add_nc_u64 s[22:23], s[22:23], 32
	s_wait_kmcnt 0x0
	v_mul_hi_u32 v3, s73, v1
	s_delay_alu instid0(VALU_DEP_1) | instskip(NEXT) | instid1(VALU_DEP_1)
	v_add_nc_u32_e32 v3, v1, v3
	v_lshrrev_b32_e32 v3, s74, v3
	s_delay_alu instid0(VALU_DEP_1) | instskip(SKIP_1) | instid1(VALU_DEP_1)
	v_mul_hi_u32 v5, s76, v3
	v_mul_lo_u32 v6, v3, s72
	v_dual_add_nc_u32 v5, v3, v5 :: v_dual_sub_nc_u32 v6, v1, v6
	s_delay_alu instid0(VALU_DEP_1) | instskip(NEXT) | instid1(VALU_DEP_2)
	v_lshrrev_b32_e32 v1, s77, v5
	v_mad_u32 v4, v6, s65, v4
	v_mad_u32 v2, v6, s64, v2
	;; [unrolled: 1-line block ×4, first 2 shown]
	v_mul_lo_u32 v5, v1, s75
	s_delay_alu instid0(VALU_DEP_1) | instskip(NEXT) | instid1(VALU_DEP_1)
	v_sub_nc_u32_e32 v3, v3, v5
	v_mad_u32 v4, v3, s69, v4
	v_mad_u32 v2, v3, s68, v2
	v_mad_u32 v8, v3, s71, v7
	v_mad_u32 v10, v3, s70, v6
	s_cbranch_scc0 .LBB159_1637
; %bb.1638:
	s_bitcmp1_b32 s47, 0
	s_cselect_b32 s0, -1, 0
	s_delay_alu instid0(SALU_CYCLE_1)
	s_and_b32 vcc_lo, exec_lo, s0
	s_cbranch_vccnz .LBB159_1642
; %bb.1639:
	s_load_b96 s[68:70], s[36:37], 0x4
	s_load_b128 s[64:67], s[22:23], 0xe4
	s_wait_kmcnt 0x0
	v_mul_hi_u32 v3, s69, v1
	s_delay_alu instid0(VALU_DEP_1) | instskip(NEXT) | instid1(VALU_DEP_1)
	v_add_nc_u32_e32 v3, v1, v3
	v_lshrrev_b32_e32 v3, s70, v3
	s_delay_alu instid0(VALU_DEP_1) | instskip(NEXT) | instid1(VALU_DEP_1)
	v_mul_lo_u32 v3, v3, s68
	v_sub_nc_u32_e32 v1, v1, v3
	s_delay_alu instid0(VALU_DEP_1)
	v_mad_u32 v2, v1, s64, v2
	v_mad_u32 v4, v1, s65, v4
	;; [unrolled: 1-line block ×4, first 2 shown]
	s_branch .LBB159_1642
.LBB159_1640:
	s_mov_b32 s0, -1
                                        ; implicit-def: $vgpr4
                                        ; implicit-def: $vgpr2
                                        ; implicit-def: $vgpr8
                                        ; implicit-def: $vgpr10
	s_branch .LBB159_1643
.LBB159_1641:
	s_wait_loadcnt 0x0
	v_dual_mov_b32 v4, 0 :: v_dual_mov_b32 v2, 0
	v_dual_mov_b32 v8, 0 :: v_dual_mov_b32 v10, 0
.LBB159_1642:
	s_mov_b32 s0, 0
.LBB159_1643:
	s_delay_alu instid0(SALU_CYCLE_1)
	s_and_not1_b32 vcc_lo, exec_lo, s0
	s_cbranch_vccnz .LBB159_1646
; %bb.1644:
	v_mov_b32_e32 v1, 0
	s_and_not1_b32 vcc_lo, exec_lo, s45
	s_delay_alu instid0(VALU_DEP_1) | instskip(NEXT) | instid1(VALU_DEP_1)
	v_mul_u64_e32 v[2:3], s[30:31], v[0:1]
	v_add_nc_u32_e32 v2, v0, v3
	s_delay_alu instid0(VALU_DEP_1) | instskip(NEXT) | instid1(VALU_DEP_1)
	v_lshrrev_b32_e32 v6, s26, v2
	v_mul_lo_u32 v2, v6, s24
	s_delay_alu instid0(VALU_DEP_1) | instskip(SKIP_1) | instid1(VALU_DEP_1)
	v_sub_nc_u32_e32 v0, v0, v2
	s_wait_loadcnt 0x0
	v_mul_lo_u32 v4, v0, s13
	v_mul_lo_u32 v2, v0, s12
	;; [unrolled: 1-line block ×4, first 2 shown]
	s_cbranch_vccnz .LBB159_1646
; %bb.1645:
	v_mov_b32_e32 v7, v1
	s_delay_alu instid0(VALU_DEP_1) | instskip(NEXT) | instid1(VALU_DEP_1)
	v_mul_u64_e32 v[0:1], s[34:35], v[6:7]
	v_add_nc_u32_e32 v0, v6, v1
	s_delay_alu instid0(VALU_DEP_1) | instskip(NEXT) | instid1(VALU_DEP_1)
	v_lshrrev_b32_e32 v0, s1, v0
	v_mul_lo_u32 v0, v0, s27
	s_delay_alu instid0(VALU_DEP_1) | instskip(NEXT) | instid1(VALU_DEP_1)
	v_sub_nc_u32_e32 v0, v6, v0
	v_mad_u32 v2, v0, s16, v2
	v_mad_u32 v4, v0, s17, v4
	;; [unrolled: 1-line block ×4, first 2 shown]
.LBB159_1646:
	v_mov_b32_e32 v5, 0
	s_and_b32 s0, s44, 0xff
	s_delay_alu instid0(SALU_CYCLE_1) | instskip(SKIP_1) | instid1(VALU_DEP_1)
	s_cmp_lt_i32 s0, 11
	s_wait_loadcnt 0x0
	v_add_nc_u64_e32 v[12:13], s[6:7], v[4:5]
	s_cbranch_scc1 .LBB159_1653
; %bb.1647:
	s_and_b32 s1, 0xffff, s0
	s_mov_b32 s7, 0
	s_cmp_gt_i32 s1, 25
	s_cbranch_scc0 .LBB159_1654
; %bb.1648:
	s_cmp_gt_i32 s1, 28
	s_cbranch_scc0 .LBB159_1655
; %bb.1649:
	;; [unrolled: 3-line block ×4, first 2 shown]
	s_cmp_eq_u32 s1, 46
	s_mov_b32 s13, 0
	s_cbranch_scc0 .LBB159_1658
; %bb.1652:
	global_load_b32 v0, v[12:13], off
	s_mov_b32 s6, 0
	s_mov_b32 s12, -1
	s_wait_loadcnt 0x0
	v_and_b32_e32 v6, 0xffff0000, v0
	v_lshlrev_b32_e32 v4, 16, v0
	s_branch .LBB159_1660
.LBB159_1653:
	s_mov_b32 s1, -1
	s_mov_b32 s12, 0
	s_mov_b32 s7, 0
	;; [unrolled: 1-line block ×3, first 2 shown]
                                        ; implicit-def: $vgpr6
                                        ; implicit-def: $vgpr4
	s_branch .LBB159_1722
.LBB159_1654:
	s_mov_b32 s13, -1
	s_mov_b32 s12, 0
	s_mov_b32 s6, s60
                                        ; implicit-def: $vgpr6
                                        ; implicit-def: $vgpr4
	s_branch .LBB159_1689
.LBB159_1655:
	s_mov_b32 s13, -1
	s_mov_b32 s12, 0
	s_mov_b32 s6, s60
                                        ; implicit-def: $vgpr6
                                        ; implicit-def: $vgpr4
	s_branch .LBB159_1672
.LBB159_1656:
	s_mov_b32 s13, -1
	s_mov_b32 s12, 0
	s_mov_b32 s6, s60
                                        ; implicit-def: $vgpr6
                                        ; implicit-def: $vgpr4
	s_branch .LBB159_1666
.LBB159_1657:
	s_mov_b32 s13, -1
	s_mov_b32 s12, 0
	s_mov_b32 s6, s60
	s_branch .LBB159_1659
.LBB159_1658:
	s_mov_b32 s6, -1
	s_mov_b32 s12, 0
.LBB159_1659:
                                        ; implicit-def: $vgpr6
                                        ; implicit-def: $vgpr4
.LBB159_1660:
	s_and_b32 vcc_lo, exec_lo, s13
	s_cbranch_vccz .LBB159_1665
; %bb.1661:
	s_cmp_eq_u32 s1, 44
	s_cbranch_scc0 .LBB159_1663
; %bb.1662:
	global_load_u8 v0, v[12:13], off
	s_mov_b32 s6, 0
	s_mov_b32 s12, -1
	s_wait_loadcnt 0x0
	v_lshlrev_b32_e32 v1, 23, v0
	v_cmp_ne_u32_e32 vcc_lo, 0xff, v0
	s_delay_alu instid0(VALU_DEP_2) | instskip(SKIP_1) | instid1(VALU_DEP_2)
	v_cndmask_b32_e32 v1, 0x7f800001, v1, vcc_lo
	v_cmp_ne_u32_e32 vcc_lo, 0, v0
	v_cndmask_b32_e32 v4, 0x400000, v1, vcc_lo
	s_branch .LBB159_1664
.LBB159_1663:
	s_mov_b32 s6, -1
                                        ; implicit-def: $vgpr4
.LBB159_1664:
	v_mov_b32_e32 v6, 0
.LBB159_1665:
	s_mov_b32 s13, 0
.LBB159_1666:
	s_delay_alu instid0(SALU_CYCLE_1)
	s_and_b32 vcc_lo, exec_lo, s13
	s_cbranch_vccz .LBB159_1671
; %bb.1667:
	s_cmp_eq_u32 s1, 29
	s_cbranch_scc0 .LBB159_1669
; %bb.1668:
	global_load_b64 v[0:1], v[12:13], off
	s_mov_b32 s6, 0
	s_mov_b32 s12, -1
	s_wait_loadcnt 0x0
	v_clz_i32_u32_e32 v3, v1
	s_delay_alu instid0(VALU_DEP_1) | instskip(NEXT) | instid1(VALU_DEP_1)
	v_min_u32_e32 v3, 32, v3
	v_lshlrev_b64_e32 v[0:1], v3, v[0:1]
	s_delay_alu instid0(VALU_DEP_1) | instskip(NEXT) | instid1(VALU_DEP_1)
	v_min_u32_e32 v0, 1, v0
	v_dual_sub_nc_u32 v1, 32, v3 :: v_dual_bitop2_b32 v0, v1, v0 bitop3:0x54
	s_delay_alu instid0(VALU_DEP_1) | instskip(NEXT) | instid1(VALU_DEP_1)
	v_cvt_f32_u32_e32 v0, v0
	v_ldexp_f32 v4, v0, v1
	s_branch .LBB159_1670
.LBB159_1669:
	s_mov_b32 s6, -1
                                        ; implicit-def: $vgpr4
.LBB159_1670:
	v_mov_b32_e32 v6, 0
.LBB159_1671:
	s_mov_b32 s13, 0
.LBB159_1672:
	s_delay_alu instid0(SALU_CYCLE_1)
	s_and_b32 vcc_lo, exec_lo, s13
	s_cbranch_vccz .LBB159_1688
; %bb.1673:
	s_cmp_lt_i32 s1, 27
	s_cbranch_scc1 .LBB159_1676
; %bb.1674:
	s_cmp_gt_i32 s1, 27
	s_cbranch_scc0 .LBB159_1677
; %bb.1675:
	global_load_b32 v0, v[12:13], off
	s_mov_b32 s12, 0
	s_wait_loadcnt 0x0
	v_cvt_f32_u32_e32 v4, v0
	s_branch .LBB159_1678
.LBB159_1676:
	s_mov_b32 s12, -1
                                        ; implicit-def: $vgpr4
	s_branch .LBB159_1681
.LBB159_1677:
	s_mov_b32 s12, -1
                                        ; implicit-def: $vgpr4
.LBB159_1678:
	s_delay_alu instid0(SALU_CYCLE_1)
	s_and_not1_b32 vcc_lo, exec_lo, s12
	s_cbranch_vccnz .LBB159_1680
; %bb.1679:
	global_load_u16 v0, v[12:13], off
	s_wait_loadcnt 0x0
	v_cvt_f32_u32_e32 v4, v0
.LBB159_1680:
	s_mov_b32 s12, 0
.LBB159_1681:
	s_delay_alu instid0(SALU_CYCLE_1)
	s_and_not1_b32 vcc_lo, exec_lo, s12
	s_cbranch_vccnz .LBB159_1687
; %bb.1682:
	global_load_u8 v0, v[12:13], off
	s_mov_b32 s12, 0
	s_mov_b32 s13, exec_lo
	s_wait_loadcnt 0x0
	v_cmpx_lt_i16_e32 0x7f, v0
	s_xor_b32 s13, exec_lo, s13
	s_cbranch_execnz .LBB159_1700
; %bb.1683:
	s_or_saveexec_b32 s13, s13
	v_mov_b32_e32 v4, 0x7f800001
	s_xor_b32 exec_lo, exec_lo, s13
	s_cbranch_execnz .LBB159_1703
.LBB159_1684:
	s_or_b32 exec_lo, exec_lo, s13
	s_and_saveexec_b32 s13, s12
	s_cbranch_execz .LBB159_1686
.LBB159_1685:
	v_and_b32_e32 v1, 0xffff, v0
	s_delay_alu instid0(VALU_DEP_1) | instskip(SKIP_1) | instid1(VALU_DEP_2)
	v_and_b32_e32 v3, 7, v1
	v_bfe_u32 v6, v1, 3, 4
	v_clz_i32_u32_e32 v4, v3
	s_delay_alu instid0(VALU_DEP_2) | instskip(NEXT) | instid1(VALU_DEP_2)
	v_cmp_eq_u32_e32 vcc_lo, 0, v6
	v_min_u32_e32 v4, 32, v4
	s_delay_alu instid0(VALU_DEP_1) | instskip(NEXT) | instid1(VALU_DEP_1)
	v_subrev_nc_u32_e32 v5, 28, v4
	v_dual_lshlrev_b32 v1, v5, v1 :: v_dual_sub_nc_u32 v4, 29, v4
	s_delay_alu instid0(VALU_DEP_1) | instskip(NEXT) | instid1(VALU_DEP_1)
	v_dual_lshlrev_b32 v0, 24, v0 :: v_dual_bitop2_b32 v1, 7, v1 bitop3:0x40
	v_dual_cndmask_b32 v1, v3, v1 :: v_dual_cndmask_b32 v4, v6, v4
	s_delay_alu instid0(VALU_DEP_2) | instskip(NEXT) | instid1(VALU_DEP_2)
	v_and_b32_e32 v0, 0x80000000, v0
	v_lshlrev_b32_e32 v1, 20, v1
	s_delay_alu instid0(VALU_DEP_3) | instskip(NEXT) | instid1(VALU_DEP_1)
	v_lshl_add_u32 v3, v4, 23, 0x3b800000
	v_or3_b32 v4, v0, v3, v1
.LBB159_1686:
	s_or_b32 exec_lo, exec_lo, s13
.LBB159_1687:
	v_mov_b32_e32 v6, 0
	s_mov_b32 s12, -1
.LBB159_1688:
	s_mov_b32 s13, 0
.LBB159_1689:
	s_delay_alu instid0(SALU_CYCLE_1)
	s_and_b32 vcc_lo, exec_lo, s13
	s_cbranch_vccz .LBB159_1721
; %bb.1690:
	s_cmp_gt_i32 s1, 22
	s_cbranch_scc0 .LBB159_1698
; %bb.1691:
	s_cmp_lt_i32 s1, 24
	s_cbranch_scc1 .LBB159_1699
; %bb.1692:
	s_cmp_gt_i32 s1, 24
	s_cbranch_scc0 .LBB159_1704
; %bb.1693:
	global_load_u8 v0, v[12:13], off
	s_mov_b32 s12, exec_lo
	s_wait_loadcnt 0x0
	v_cmpx_lt_i16_e32 0x7f, v0
	s_xor_b32 s12, exec_lo, s12
	s_cbranch_execnz .LBB159_2756
; %bb.1694:
	s_or_saveexec_b32 s12, s12
	v_mov_b32_e32 v4, 0x7f800001
	s_xor_b32 exec_lo, exec_lo, s12
	s_cbranch_execnz .LBB159_2759
.LBB159_1695:
	s_or_b32 exec_lo, exec_lo, s12
	s_and_saveexec_b32 s12, s7
	s_cbranch_execz .LBB159_1697
.LBB159_1696:
	v_and_b32_e32 v1, 0xffff, v0
	s_delay_alu instid0(VALU_DEP_1) | instskip(SKIP_1) | instid1(VALU_DEP_2)
	v_and_b32_e32 v3, 3, v1
	v_bfe_u32 v6, v1, 2, 5
	v_clz_i32_u32_e32 v4, v3
	s_delay_alu instid0(VALU_DEP_2) | instskip(NEXT) | instid1(VALU_DEP_2)
	v_cmp_eq_u32_e32 vcc_lo, 0, v6
	v_min_u32_e32 v4, 32, v4
	s_delay_alu instid0(VALU_DEP_1) | instskip(NEXT) | instid1(VALU_DEP_1)
	v_subrev_nc_u32_e32 v5, 29, v4
	v_dual_lshlrev_b32 v1, v5, v1 :: v_dual_sub_nc_u32 v4, 30, v4
	s_delay_alu instid0(VALU_DEP_1) | instskip(NEXT) | instid1(VALU_DEP_1)
	v_dual_lshlrev_b32 v0, 24, v0 :: v_dual_bitop2_b32 v1, 3, v1 bitop3:0x40
	v_dual_cndmask_b32 v1, v3, v1 :: v_dual_cndmask_b32 v4, v6, v4
	s_delay_alu instid0(VALU_DEP_2) | instskip(NEXT) | instid1(VALU_DEP_2)
	v_and_b32_e32 v0, 0x80000000, v0
	v_lshlrev_b32_e32 v1, 21, v1
	s_delay_alu instid0(VALU_DEP_3) | instskip(NEXT) | instid1(VALU_DEP_1)
	v_lshl_add_u32 v3, v4, 23, 0x37800000
	v_or3_b32 v4, v0, v3, v1
.LBB159_1697:
	s_or_b32 exec_lo, exec_lo, s12
	s_mov_b32 s7, 0
	s_branch .LBB159_1705
.LBB159_1698:
	s_mov_b32 s7, -1
                                        ; implicit-def: $vgpr4
	s_branch .LBB159_1711
.LBB159_1699:
	s_mov_b32 s7, -1
                                        ; implicit-def: $vgpr4
	s_branch .LBB159_1708
.LBB159_1700:
	s_mov_b32 s12, -1
	s_mov_b32 s14, exec_lo
	v_cmpx_eq_u16_e32 0x80, v0
; %bb.1701:
	s_xor_b32 s12, exec_lo, -1
; %bb.1702:
	s_or_b32 exec_lo, exec_lo, s14
	s_delay_alu instid0(SALU_CYCLE_1)
	s_and_b32 s12, s12, exec_lo
	s_or_saveexec_b32 s13, s13
	v_mov_b32_e32 v4, 0x7f800001
	s_xor_b32 exec_lo, exec_lo, s13
	s_cbranch_execz .LBB159_1684
.LBB159_1703:
	v_cmp_ne_u16_e32 vcc_lo, 0, v0
	v_mov_b32_e32 v4, 0
	s_and_not1_b32 s12, s12, exec_lo
	s_and_b32 s14, vcc_lo, exec_lo
	s_delay_alu instid0(SALU_CYCLE_1)
	s_or_b32 s12, s12, s14
	s_or_b32 exec_lo, exec_lo, s13
	s_and_saveexec_b32 s13, s12
	s_cbranch_execnz .LBB159_1685
	s_branch .LBB159_1686
.LBB159_1704:
	s_mov_b32 s7, -1
                                        ; implicit-def: $vgpr4
.LBB159_1705:
	s_delay_alu instid0(SALU_CYCLE_1)
	s_and_b32 vcc_lo, exec_lo, s7
	s_cbranch_vccz .LBB159_1707
; %bb.1706:
	global_load_u8 v0, v[12:13], off
	s_wait_loadcnt 0x0
	v_lshlrev_b32_e32 v0, 24, v0
	s_delay_alu instid0(VALU_DEP_1) | instskip(NEXT) | instid1(VALU_DEP_1)
	v_and_b32_e32 v1, 0x7f000000, v0
	v_clz_i32_u32_e32 v3, v1
	v_add_nc_u32_e32 v5, 0x1000000, v1
	v_cmp_ne_u32_e32 vcc_lo, 0, v1
	s_delay_alu instid0(VALU_DEP_3) | instskip(NEXT) | instid1(VALU_DEP_1)
	v_min_u32_e32 v3, 32, v3
	v_sub_nc_u32_e64 v3, v3, 4 clamp
	s_delay_alu instid0(VALU_DEP_1) | instskip(NEXT) | instid1(VALU_DEP_1)
	v_dual_lshlrev_b32 v4, v3, v1 :: v_dual_lshlrev_b32 v3, 23, v3
	v_lshrrev_b32_e32 v4, 4, v4
	s_delay_alu instid0(VALU_DEP_1) | instskip(NEXT) | instid1(VALU_DEP_1)
	v_dual_sub_nc_u32 v3, v4, v3 :: v_dual_ashrrev_i32 v4, 8, v5
	v_add_nc_u32_e32 v3, 0x3c000000, v3
	s_delay_alu instid0(VALU_DEP_1) | instskip(NEXT) | instid1(VALU_DEP_1)
	v_and_or_b32 v3, 0x7f800000, v4, v3
	v_cndmask_b32_e32 v1, 0, v3, vcc_lo
	s_delay_alu instid0(VALU_DEP_1)
	v_and_or_b32 v4, 0x80000000, v0, v1
.LBB159_1707:
	s_mov_b32 s7, 0
.LBB159_1708:
	s_delay_alu instid0(SALU_CYCLE_1)
	s_and_not1_b32 vcc_lo, exec_lo, s7
	s_cbranch_vccnz .LBB159_1710
; %bb.1709:
	global_load_u8 v0, v[12:13], off
	s_wait_loadcnt 0x0
	v_lshlrev_b32_e32 v1, 25, v0
	v_lshlrev_b16 v0, 8, v0
	s_delay_alu instid0(VALU_DEP_2) | instskip(NEXT) | instid1(VALU_DEP_2)
	v_cmp_gt_u32_e32 vcc_lo, 0x8000000, v1
	v_and_or_b32 v4, 0x7f00, v0, 0.5
	v_lshrrev_b32_e32 v3, 4, v1
	v_bfe_i32 v0, v0, 0, 16
	s_delay_alu instid0(VALU_DEP_3) | instskip(NEXT) | instid1(VALU_DEP_3)
	v_add_f32_e32 v4, -0.5, v4
	v_or_b32_e32 v3, 0x70000000, v3
	s_delay_alu instid0(VALU_DEP_1) | instskip(NEXT) | instid1(VALU_DEP_1)
	v_mul_f32_e32 v3, 0x7800000, v3
	v_cndmask_b32_e32 v1, v3, v4, vcc_lo
	s_delay_alu instid0(VALU_DEP_1)
	v_and_or_b32 v4, 0x80000000, v0, v1
.LBB159_1710:
	s_mov_b32 s7, 0
	s_mov_b32 s12, -1
.LBB159_1711:
	s_and_not1_b32 vcc_lo, exec_lo, s7
	s_mov_b32 s7, 0
	s_cbranch_vccnz .LBB159_1720
; %bb.1712:
	s_cmp_gt_i32 s1, 14
	s_cbranch_scc0 .LBB159_1715
; %bb.1713:
	s_cmp_eq_u32 s1, 15
	s_cbranch_scc0 .LBB159_1716
; %bb.1714:
	global_load_u16 v0, v[12:13], off
	s_mov_b32 s6, 0
	s_mov_b32 s12, -1
	s_wait_loadcnt 0x0
	v_lshlrev_b32_e32 v4, 16, v0
	s_branch .LBB159_1718
.LBB159_1715:
	s_mov_b32 s7, -1
	s_branch .LBB159_1717
.LBB159_1716:
	s_mov_b32 s6, -1
.LBB159_1717:
                                        ; implicit-def: $vgpr4
.LBB159_1718:
	s_and_b32 vcc_lo, exec_lo, s7
	s_mov_b32 s7, 0
	s_cbranch_vccz .LBB159_1720
; %bb.1719:
	s_cmp_lg_u32 s1, 11
	s_mov_b32 s7, -1
	s_cselect_b32 s1, -1, 0
	s_and_not1_b32 s6, s6, exec_lo
	s_and_b32 s1, s1, exec_lo
	s_delay_alu instid0(SALU_CYCLE_1)
	s_or_b32 s6, s6, s1
.LBB159_1720:
	v_mov_b32_e32 v6, 0
.LBB159_1721:
	s_mov_b32 s1, 0
.LBB159_1722:
	s_delay_alu instid0(SALU_CYCLE_1)
	s_and_b32 s23, s1, exec_lo
	s_and_not1_b32 s1, s60, exec_lo
	s_and_b32 s6, s6, exec_lo
	s_and_b32 s22, s12, exec_lo
	;; [unrolled: 1-line block ×3, first 2 shown]
	s_or_b32 s37, s1, s6
.LBB159_1723:
	s_wait_xcnt 0x0
	s_or_b32 exec_lo, exec_lo, s48
	s_delay_alu instid0(SALU_CYCLE_1)
	s_and_not1_b32 s1, s60, exec_lo
	s_and_b32 s6, s37, exec_lo
	s_and_b32 s22, s22, exec_lo
	;; [unrolled: 1-line block ×4, first 2 shown]
	s_or_b32 s60, s1, s6
.LBB159_1724:
	s_or_b32 exec_lo, exec_lo, s59
	s_delay_alu instid0(SALU_CYCLE_1)
	s_and_not1_b32 s1, s55, exec_lo
	s_and_b32 s6, s63, exec_lo
	s_and_not1_b32 s7, s57, exec_lo
	s_or_b32 s55, s1, s6
	s_and_not1_b32 s1, s56, exec_lo
	s_and_b32 s6, s61, exec_lo
	s_and_b32 s12, s62, exec_lo
	s_or_b32 s56, s1, s6
	s_and_not1_b32 s1, s54, exec_lo
	s_and_b32 s6, s60, exec_lo
	s_or_b32 s57, s7, s12
	s_and_b32 s22, s22, exec_lo
	s_and_b32 s23, s23, exec_lo
	;; [unrolled: 1-line block ×3, first 2 shown]
	s_or_b32 s54, s1, s6
.LBB159_1725:
	s_or_b32 exec_lo, exec_lo, s58
	s_delay_alu instid0(SALU_CYCLE_1)
	s_and_not1_b32 s1, s46, exec_lo
	s_and_b32 s6, s55, exec_lo
	s_and_not1_b32 s7, s51, exec_lo
	s_or_b32 s46, s1, s6
	s_and_not1_b32 s1, s50, exec_lo
	s_and_b32 s6, s56, exec_lo
	s_and_b32 s12, s57, exec_lo
	s_or_b32 s50, s1, s6
	s_and_not1_b32 s1, s52, exec_lo
	s_and_b32 s6, s54, exec_lo
	s_or_b32 s51, s7, s12
	s_and_b32 s22, s22, exec_lo
	s_and_b32 s23, s23, exec_lo
	;; [unrolled: 1-line block ×3, first 2 shown]
	s_or_b32 s52, s1, s6
	s_or_b32 exec_lo, exec_lo, s53
	s_mov_b32 s1, 0
	s_and_saveexec_b32 s6, s52
	s_cbranch_execz .LBB159_539
.LBB159_1726:
	s_mov_b32 s1, exec_lo
	s_and_not1_b32 s31, s31, exec_lo
	s_trap 2
	s_or_b32 exec_lo, exec_lo, s6
	s_and_saveexec_b32 s6, s31
	s_delay_alu instid0(SALU_CYCLE_1)
	s_xor_b32 s6, exec_lo, s6
	s_cbranch_execz .LBB159_540
.LBB159_1727:
	s_wait_loadcnt 0x0
	global_load_u8 v0, v[12:13], off
	v_mov_b32_e32 v6, 0
	s_or_b32 s22, s22, exec_lo
	s_wait_loadcnt 0x0
	v_cmp_ne_u16_e32 vcc_lo, 0, v0
	v_cndmask_b32_e64 v4, 0, 1.0, vcc_lo
	s_wait_xcnt 0x0
	s_or_b32 exec_lo, exec_lo, s6
	s_and_saveexec_b32 s6, s23
	s_cbranch_execz .LBB159_1775
.LBB159_1728:
	s_sext_i32_i16 s7, s0
	s_delay_alu instid0(SALU_CYCLE_1)
	s_cmp_lt_i32 s7, 5
	s_cbranch_scc1 .LBB159_1733
; %bb.1729:
	s_cmp_lt_i32 s7, 8
	s_cbranch_scc1 .LBB159_1734
; %bb.1730:
	;; [unrolled: 3-line block ×3, first 2 shown]
	s_cmp_gt_i32 s7, 9
	s_cbranch_scc0 .LBB159_1736
; %bb.1732:
	s_wait_loadcnt 0x0
	global_load_b128 v[4:7], v[12:13], off
	s_mov_b32 s7, 0
	s_wait_loadcnt 0x0
	v_cvt_f32_f64_e32 v4, v[4:5]
	v_cvt_f32_f64_e32 v6, v[6:7]
	s_branch .LBB159_1737
.LBB159_1733:
                                        ; implicit-def: $vgpr6
                                        ; implicit-def: $vgpr4
	s_branch .LBB159_1755
.LBB159_1734:
                                        ; implicit-def: $vgpr6
                                        ; implicit-def: $vgpr4
	s_branch .LBB159_1743
.LBB159_1735:
	s_mov_b32 s7, -1
                                        ; implicit-def: $vgpr6
                                        ; implicit-def: $vgpr4
	s_branch .LBB159_1740
.LBB159_1736:
	s_mov_b32 s7, -1
                                        ; implicit-def: $vgpr6
                                        ; implicit-def: $vgpr4
.LBB159_1737:
	s_delay_alu instid0(SALU_CYCLE_1)
	s_and_not1_b32 vcc_lo, exec_lo, s7
	s_cbranch_vccnz .LBB159_1739
; %bb.1738:
	s_wait_loadcnt 0x0
	global_load_b64 v[4:5], v[12:13], off
	s_wait_loadcnt 0x0
	v_mov_b32_e32 v6, v5
.LBB159_1739:
	s_mov_b32 s7, 0
.LBB159_1740:
	s_delay_alu instid0(SALU_CYCLE_1)
	s_and_not1_b32 vcc_lo, exec_lo, s7
	s_cbranch_vccnz .LBB159_1742
; %bb.1741:
	s_wait_loadcnt 0x0
	global_load_b32 v0, v[12:13], off
	s_wait_loadcnt 0x0
	v_lshrrev_b32_e32 v1, 16, v0
	v_cvt_f32_f16_e32 v4, v0
	s_delay_alu instid0(VALU_DEP_2)
	v_cvt_f32_f16_e32 v6, v1
.LBB159_1742:
	s_cbranch_execnz .LBB159_1754
.LBB159_1743:
	s_sext_i32_i16 s7, s0
	s_delay_alu instid0(SALU_CYCLE_1)
	s_cmp_lt_i32 s7, 6
	s_cbranch_scc1 .LBB159_1746
; %bb.1744:
	s_cmp_gt_i32 s7, 6
	s_cbranch_scc0 .LBB159_1747
; %bb.1745:
	s_wait_loadcnt 0x0
	global_load_b64 v[0:1], v[12:13], off
	s_mov_b32 s7, 0
	s_wait_loadcnt 0x0
	v_cvt_f32_f64_e32 v4, v[0:1]
	s_branch .LBB159_1748
.LBB159_1746:
	s_mov_b32 s7, -1
                                        ; implicit-def: $vgpr4
	s_branch .LBB159_1751
.LBB159_1747:
	s_mov_b32 s7, -1
                                        ; implicit-def: $vgpr4
.LBB159_1748:
	s_delay_alu instid0(SALU_CYCLE_1)
	s_and_not1_b32 vcc_lo, exec_lo, s7
	s_cbranch_vccnz .LBB159_1750
; %bb.1749:
	s_wait_loadcnt 0x0
	global_load_b32 v4, v[12:13], off
.LBB159_1750:
	s_mov_b32 s7, 0
.LBB159_1751:
	s_delay_alu instid0(SALU_CYCLE_1)
	s_and_not1_b32 vcc_lo, exec_lo, s7
	s_cbranch_vccnz .LBB159_1753
; %bb.1752:
	s_wait_loadcnt 0x0
	global_load_u16 v0, v[12:13], off
	s_wait_loadcnt 0x0
	v_cvt_f32_f16_e32 v4, v0
.LBB159_1753:
	v_mov_b32_e32 v6, 0
.LBB159_1754:
	s_cbranch_execnz .LBB159_1774
.LBB159_1755:
	s_sext_i32_i16 s7, s0
	s_delay_alu instid0(SALU_CYCLE_1)
	s_cmp_lt_i32 s7, 2
	s_cbranch_scc1 .LBB159_1759
; %bb.1756:
	s_cmp_lt_i32 s7, 3
	s_cbranch_scc1 .LBB159_1760
; %bb.1757:
	s_cmp_gt_i32 s7, 3
	s_cbranch_scc0 .LBB159_1761
; %bb.1758:
	s_wait_loadcnt 0x0
	global_load_b64 v[0:1], v[12:13], off
	s_mov_b32 s7, 0
	s_wait_loadcnt 0x0
	v_xor_b32_e32 v3, v0, v1
	v_cls_i32_e32 v4, v1
	s_delay_alu instid0(VALU_DEP_2) | instskip(NEXT) | instid1(VALU_DEP_1)
	v_ashrrev_i32_e32 v3, 31, v3
	v_add_nc_u32_e32 v3, 32, v3
	s_delay_alu instid0(VALU_DEP_1) | instskip(NEXT) | instid1(VALU_DEP_1)
	v_add_min_u32_e64 v3, v4, -1, v3
	v_lshlrev_b64_e32 v[0:1], v3, v[0:1]
	s_delay_alu instid0(VALU_DEP_1) | instskip(NEXT) | instid1(VALU_DEP_1)
	v_min_u32_e32 v0, 1, v0
	v_dual_sub_nc_u32 v1, 32, v3 :: v_dual_bitop2_b32 v0, v1, v0 bitop3:0x54
	s_delay_alu instid0(VALU_DEP_1) | instskip(NEXT) | instid1(VALU_DEP_1)
	v_cvt_f32_i32_e32 v0, v0
	v_ldexp_f32 v4, v0, v1
	s_branch .LBB159_1762
.LBB159_1759:
                                        ; implicit-def: $vgpr4
	s_branch .LBB159_1768
.LBB159_1760:
	s_mov_b32 s7, -1
                                        ; implicit-def: $vgpr4
	s_branch .LBB159_1765
.LBB159_1761:
	s_mov_b32 s7, -1
                                        ; implicit-def: $vgpr4
.LBB159_1762:
	s_delay_alu instid0(SALU_CYCLE_1)
	s_and_not1_b32 vcc_lo, exec_lo, s7
	s_cbranch_vccnz .LBB159_1764
; %bb.1763:
	s_wait_loadcnt 0x0
	global_load_b32 v0, v[12:13], off
	s_wait_loadcnt 0x0
	v_cvt_f32_i32_e32 v4, v0
.LBB159_1764:
	s_mov_b32 s7, 0
.LBB159_1765:
	s_delay_alu instid0(SALU_CYCLE_1)
	s_and_not1_b32 vcc_lo, exec_lo, s7
	s_cbranch_vccnz .LBB159_1767
; %bb.1766:
	s_wait_loadcnt 0x0
	global_load_i16 v0, v[12:13], off
	s_wait_loadcnt 0x0
	v_cvt_f32_i32_e32 v4, v0
.LBB159_1767:
	s_cbranch_execnz .LBB159_1773
.LBB159_1768:
	s_sext_i32_i16 s0, s0
	s_delay_alu instid0(SALU_CYCLE_1)
	s_cmp_gt_i32 s0, 0
	s_mov_b32 s0, 0
	s_cbranch_scc0 .LBB159_1770
; %bb.1769:
	s_wait_loadcnt 0x0
	global_load_i8 v0, v[12:13], off
	s_wait_loadcnt 0x0
	v_cvt_f32_i32_e32 v4, v0
	s_branch .LBB159_1771
.LBB159_1770:
	s_mov_b32 s0, -1
                                        ; implicit-def: $vgpr4
.LBB159_1771:
	s_delay_alu instid0(SALU_CYCLE_1)
	s_and_not1_b32 vcc_lo, exec_lo, s0
	s_cbranch_vccnz .LBB159_1773
; %bb.1772:
	s_wait_loadcnt 0x0
	global_load_u8 v0, v[12:13], off
	s_wait_loadcnt 0x0
	v_cvt_f32_ubyte0_e32 v4, v0
.LBB159_1773:
	v_mov_b32_e32 v6, 0
.LBB159_1774:
	s_or_b32 s22, s22, exec_lo
.LBB159_1775:
	s_wait_xcnt 0x0
	s_or_b32 exec_lo, exec_lo, s6
	s_mov_b32 s13, 0
	s_mov_b32 s12, 0
	s_mov_b32 s7, 0
                                        ; implicit-def: $sgpr0
                                        ; implicit-def: $vgpr12_vgpr13
                                        ; implicit-def: $vgpr1
	s_and_saveexec_b32 s6, s22
	s_cbranch_execnz .LBB159_1779
; %bb.1776:
	s_or_b32 exec_lo, exec_lo, s6
	s_and_saveexec_b32 s6, s51
	s_cbranch_execnz .LBB159_1855
.LBB159_1777:
	s_or_b32 exec_lo, exec_lo, s6
	s_and_saveexec_b32 s6, s13
	s_delay_alu instid0(SALU_CYCLE_1)
	s_xor_b32 s6, exec_lo, s6
	s_cbranch_execnz .LBB159_1856
.LBB159_1778:
	s_or_b32 exec_lo, exec_lo, s6
	s_and_saveexec_b32 s6, s12
	s_cbranch_execnz .LBB159_1857
	s_branch .LBB159_1904
.LBB159_1779:
	s_wait_loadcnt 0x0
	v_mov_b32_e32 v11, 0
	s_and_b32 s0, s43, 0xff
	s_delay_alu instid0(SALU_CYCLE_1) | instskip(NEXT) | instid1(VALU_DEP_1)
	s_cmp_lt_i32 s0, 11
	v_add_nc_u64_e32 v[12:13], s[8:9], v[10:11]
	s_cbranch_scc1 .LBB159_1786
; %bb.1780:
	s_and_b32 s7, 0xffff, s0
	s_mov_b32 s9, 0
	s_cmp_gt_i32 s7, 25
	s_cbranch_scc0 .LBB159_1787
; %bb.1781:
	s_cmp_gt_i32 s7, 28
	s_cbranch_scc0 .LBB159_1788
; %bb.1782:
	;; [unrolled: 3-line block ×4, first 2 shown]
	s_cmp_eq_u32 s7, 46
	s_cbranch_scc0 .LBB159_1791
; %bb.1785:
	global_load_b32 v0, v[12:13], off
	s_mov_b32 s8, 0
	s_mov_b32 s12, -1
	s_wait_loadcnt 0x0
	v_and_b32_e32 v1, 0xffff0000, v0
	v_lshlrev_b32_e32 v0, 16, v0
	s_branch .LBB159_1793
.LBB159_1786:
	s_mov_b32 s13, -1
	s_mov_b32 s9, 0
	s_mov_b32 s8, s51
                                        ; implicit-def: $vgpr1
	s_branch .LBB159_1854
.LBB159_1787:
	s_mov_b32 s8, s51
                                        ; implicit-def: $vgpr1
	s_cbranch_execnz .LBB159_1822
	s_branch .LBB159_1853
.LBB159_1788:
	s_mov_b32 s13, -1
	s_mov_b32 s8, s51
                                        ; implicit-def: $vgpr1
	s_branch .LBB159_1805
.LBB159_1789:
	s_mov_b32 s13, -1
	s_mov_b32 s8, s51
                                        ; implicit-def: $vgpr1
	s_branch .LBB159_1799
.LBB159_1790:
	s_mov_b32 s13, -1
	s_mov_b32 s8, s51
	s_branch .LBB159_1792
.LBB159_1791:
	s_mov_b32 s8, -1
.LBB159_1792:
                                        ; implicit-def: $vgpr1
.LBB159_1793:
	s_and_b32 vcc_lo, exec_lo, s13
	s_cbranch_vccz .LBB159_1798
; %bb.1794:
	s_cmp_eq_u32 s7, 44
	s_cbranch_scc0 .LBB159_1796
; %bb.1795:
	global_load_u8 v0, v[12:13], off
	s_mov_b32 s8, 0
	s_mov_b32 s12, -1
	s_wait_loadcnt 0x0
	v_lshlrev_b32_e32 v1, 23, v0
	v_cmp_ne_u32_e32 vcc_lo, 0xff, v0
	s_delay_alu instid0(VALU_DEP_2) | instskip(SKIP_1) | instid1(VALU_DEP_2)
	v_cndmask_b32_e32 v1, 0x7f800001, v1, vcc_lo
	v_cmp_ne_u32_e32 vcc_lo, 0, v0
	v_cndmask_b32_e32 v0, 0x400000, v1, vcc_lo
	s_branch .LBB159_1797
.LBB159_1796:
	s_mov_b32 s8, -1
                                        ; implicit-def: $vgpr0
.LBB159_1797:
	v_mov_b32_e32 v1, 0
.LBB159_1798:
	s_mov_b32 s13, 0
.LBB159_1799:
	s_delay_alu instid0(SALU_CYCLE_1)
	s_and_b32 vcc_lo, exec_lo, s13
	s_cbranch_vccz .LBB159_1804
; %bb.1800:
	s_cmp_eq_u32 s7, 29
	s_cbranch_scc0 .LBB159_1802
; %bb.1801:
	global_load_b64 v[0:1], v[12:13], off
	s_mov_b32 s8, 0
	s_mov_b32 s12, -1
	s_wait_loadcnt 0x0
	v_clz_i32_u32_e32 v3, v1
	s_delay_alu instid0(VALU_DEP_1) | instskip(NEXT) | instid1(VALU_DEP_1)
	v_min_u32_e32 v3, 32, v3
	v_lshlrev_b64_e32 v[0:1], v3, v[0:1]
	s_delay_alu instid0(VALU_DEP_1) | instskip(NEXT) | instid1(VALU_DEP_1)
	v_min_u32_e32 v0, 1, v0
	v_dual_sub_nc_u32 v1, 32, v3 :: v_dual_bitop2_b32 v0, v1, v0 bitop3:0x54
	s_delay_alu instid0(VALU_DEP_1) | instskip(NEXT) | instid1(VALU_DEP_1)
	v_cvt_f32_u32_e32 v0, v0
	v_ldexp_f32 v0, v0, v1
	s_branch .LBB159_1803
.LBB159_1802:
	s_mov_b32 s8, -1
                                        ; implicit-def: $vgpr0
.LBB159_1803:
	v_mov_b32_e32 v1, 0
.LBB159_1804:
	s_mov_b32 s13, 0
.LBB159_1805:
	s_delay_alu instid0(SALU_CYCLE_1)
	s_and_b32 vcc_lo, exec_lo, s13
	s_cbranch_vccz .LBB159_1821
; %bb.1806:
	s_cmp_lt_i32 s7, 27
	s_cbranch_scc1 .LBB159_1809
; %bb.1807:
	s_cmp_gt_i32 s7, 27
	s_cbranch_scc0 .LBB159_1810
; %bb.1808:
	global_load_b32 v0, v[12:13], off
	s_mov_b32 s12, 0
	s_wait_loadcnt 0x0
	v_cvt_f32_u32_e32 v0, v0
	s_branch .LBB159_1811
.LBB159_1809:
	s_mov_b32 s12, -1
                                        ; implicit-def: $vgpr0
	s_branch .LBB159_1814
.LBB159_1810:
	s_mov_b32 s12, -1
                                        ; implicit-def: $vgpr0
.LBB159_1811:
	s_delay_alu instid0(SALU_CYCLE_1)
	s_and_not1_b32 vcc_lo, exec_lo, s12
	s_cbranch_vccnz .LBB159_1813
; %bb.1812:
	global_load_u16 v0, v[12:13], off
	s_wait_loadcnt 0x0
	v_cvt_f32_u32_e32 v0, v0
.LBB159_1813:
	s_mov_b32 s12, 0
.LBB159_1814:
	s_delay_alu instid0(SALU_CYCLE_1)
	s_and_not1_b32 vcc_lo, exec_lo, s12
	s_cbranch_vccnz .LBB159_1820
; %bb.1815:
	global_load_u8 v1, v[12:13], off
	s_mov_b32 s12, 0
	s_mov_b32 s13, exec_lo
	s_wait_loadcnt 0x0
	v_cmpx_lt_i16_e32 0x7f, v1
	s_xor_b32 s13, exec_lo, s13
	s_cbranch_execnz .LBB159_1832
; %bb.1816:
	s_or_saveexec_b32 s13, s13
	v_mov_b32_e32 v0, 0x7f800001
	s_xor_b32 exec_lo, exec_lo, s13
	s_cbranch_execnz .LBB159_1835
.LBB159_1817:
	s_or_b32 exec_lo, exec_lo, s13
	s_and_saveexec_b32 s13, s12
	s_cbranch_execz .LBB159_1819
.LBB159_1818:
	v_and_b32_e32 v0, 0xffff, v1
	s_delay_alu instid0(VALU_DEP_1) | instskip(SKIP_1) | instid1(VALU_DEP_2)
	v_and_b32_e32 v3, 7, v0
	v_bfe_u32 v9, v0, 3, 4
	v_clz_i32_u32_e32 v5, v3
	s_delay_alu instid0(VALU_DEP_2) | instskip(NEXT) | instid1(VALU_DEP_2)
	v_cmp_eq_u32_e32 vcc_lo, 0, v9
	v_min_u32_e32 v5, 32, v5
	s_delay_alu instid0(VALU_DEP_1) | instskip(NEXT) | instid1(VALU_DEP_1)
	v_subrev_nc_u32_e32 v7, 28, v5
	v_dual_lshlrev_b32 v0, v7, v0 :: v_dual_sub_nc_u32 v5, 29, v5
	s_delay_alu instid0(VALU_DEP_1) | instskip(NEXT) | instid1(VALU_DEP_1)
	v_dual_lshlrev_b32 v1, 24, v1 :: v_dual_bitop2_b32 v0, 7, v0 bitop3:0x40
	v_dual_cndmask_b32 v0, v3, v0 :: v_dual_cndmask_b32 v5, v9, v5
	s_delay_alu instid0(VALU_DEP_2) | instskip(NEXT) | instid1(VALU_DEP_2)
	v_and_b32_e32 v1, 0x80000000, v1
	v_lshlrev_b32_e32 v0, 20, v0
	s_delay_alu instid0(VALU_DEP_3) | instskip(NEXT) | instid1(VALU_DEP_1)
	v_lshl_add_u32 v3, v5, 23, 0x3b800000
	v_or3_b32 v0, v1, v3, v0
.LBB159_1819:
	s_or_b32 exec_lo, exec_lo, s13
.LBB159_1820:
	v_mov_b32_e32 v1, 0
	s_mov_b32 s12, -1
.LBB159_1821:
	s_branch .LBB159_1853
.LBB159_1822:
	s_cmp_gt_i32 s7, 22
	s_cbranch_scc0 .LBB159_1830
; %bb.1823:
	s_cmp_lt_i32 s7, 24
	s_cbranch_scc1 .LBB159_1831
; %bb.1824:
	s_cmp_gt_i32 s7, 24
	s_cbranch_scc0 .LBB159_1836
; %bb.1825:
	global_load_u8 v1, v[12:13], off
	s_mov_b32 s12, exec_lo
	s_wait_loadcnt 0x0
	v_cmpx_lt_i16_e32 0x7f, v1
	s_xor_b32 s12, exec_lo, s12
	s_cbranch_execnz .LBB159_1920
; %bb.1826:
	s_or_saveexec_b32 s12, s12
	v_mov_b32_e32 v0, 0x7f800001
	s_xor_b32 exec_lo, exec_lo, s12
	s_cbranch_execnz .LBB159_1923
.LBB159_1827:
	s_or_b32 exec_lo, exec_lo, s12
	s_and_saveexec_b32 s12, s9
	s_cbranch_execz .LBB159_1829
.LBB159_1828:
	v_and_b32_e32 v0, 0xffff, v1
	s_delay_alu instid0(VALU_DEP_1) | instskip(SKIP_1) | instid1(VALU_DEP_2)
	v_and_b32_e32 v3, 3, v0
	v_bfe_u32 v9, v0, 2, 5
	v_clz_i32_u32_e32 v5, v3
	s_delay_alu instid0(VALU_DEP_2) | instskip(NEXT) | instid1(VALU_DEP_2)
	v_cmp_eq_u32_e32 vcc_lo, 0, v9
	v_min_u32_e32 v5, 32, v5
	s_delay_alu instid0(VALU_DEP_1) | instskip(NEXT) | instid1(VALU_DEP_1)
	v_subrev_nc_u32_e32 v7, 29, v5
	v_dual_lshlrev_b32 v0, v7, v0 :: v_dual_sub_nc_u32 v5, 30, v5
	s_delay_alu instid0(VALU_DEP_1) | instskip(NEXT) | instid1(VALU_DEP_1)
	v_dual_lshlrev_b32 v1, 24, v1 :: v_dual_bitop2_b32 v0, 3, v0 bitop3:0x40
	v_dual_cndmask_b32 v0, v3, v0 :: v_dual_cndmask_b32 v5, v9, v5
	s_delay_alu instid0(VALU_DEP_2) | instskip(NEXT) | instid1(VALU_DEP_2)
	v_and_b32_e32 v1, 0x80000000, v1
	v_lshlrev_b32_e32 v0, 21, v0
	s_delay_alu instid0(VALU_DEP_3) | instskip(NEXT) | instid1(VALU_DEP_1)
	v_lshl_add_u32 v3, v5, 23, 0x37800000
	v_or3_b32 v0, v1, v3, v0
.LBB159_1829:
	s_or_b32 exec_lo, exec_lo, s12
	s_mov_b32 s9, 0
	s_branch .LBB159_1837
.LBB159_1830:
	s_mov_b32 s9, -1
                                        ; implicit-def: $vgpr0
	s_branch .LBB159_1843
.LBB159_1831:
	s_mov_b32 s9, -1
                                        ; implicit-def: $vgpr0
	s_branch .LBB159_1840
.LBB159_1832:
	s_mov_b32 s12, -1
	s_mov_b32 s14, exec_lo
	v_cmpx_eq_u16_e32 0x80, v1
; %bb.1833:
	s_xor_b32 s12, exec_lo, -1
; %bb.1834:
	s_or_b32 exec_lo, exec_lo, s14
	s_delay_alu instid0(SALU_CYCLE_1)
	s_and_b32 s12, s12, exec_lo
	s_or_saveexec_b32 s13, s13
	v_mov_b32_e32 v0, 0x7f800001
	s_xor_b32 exec_lo, exec_lo, s13
	s_cbranch_execz .LBB159_1817
.LBB159_1835:
	v_cmp_ne_u16_e32 vcc_lo, 0, v1
	v_mov_b32_e32 v0, 0
	s_and_not1_b32 s12, s12, exec_lo
	s_and_b32 s14, vcc_lo, exec_lo
	s_delay_alu instid0(SALU_CYCLE_1)
	s_or_b32 s12, s12, s14
	s_or_b32 exec_lo, exec_lo, s13
	s_and_saveexec_b32 s13, s12
	s_cbranch_execnz .LBB159_1818
	s_branch .LBB159_1819
.LBB159_1836:
	s_mov_b32 s9, -1
                                        ; implicit-def: $vgpr0
.LBB159_1837:
	s_delay_alu instid0(SALU_CYCLE_1)
	s_and_b32 vcc_lo, exec_lo, s9
	s_cbranch_vccz .LBB159_1839
; %bb.1838:
	global_load_u8 v0, v[12:13], off
	s_wait_loadcnt 0x0
	v_lshlrev_b32_e32 v0, 24, v0
	s_delay_alu instid0(VALU_DEP_1) | instskip(NEXT) | instid1(VALU_DEP_1)
	v_and_b32_e32 v1, 0x7f000000, v0
	v_clz_i32_u32_e32 v3, v1
	v_add_nc_u32_e32 v7, 0x1000000, v1
	v_cmp_ne_u32_e32 vcc_lo, 0, v1
	s_delay_alu instid0(VALU_DEP_3) | instskip(NEXT) | instid1(VALU_DEP_1)
	v_min_u32_e32 v3, 32, v3
	v_sub_nc_u32_e64 v3, v3, 4 clamp
	s_delay_alu instid0(VALU_DEP_1) | instskip(NEXT) | instid1(VALU_DEP_1)
	v_dual_lshlrev_b32 v5, v3, v1 :: v_dual_lshlrev_b32 v3, 23, v3
	v_lshrrev_b32_e32 v5, 4, v5
	s_delay_alu instid0(VALU_DEP_1) | instskip(SKIP_1) | instid1(VALU_DEP_2)
	v_sub_nc_u32_e32 v3, v5, v3
	v_ashrrev_i32_e32 v5, 8, v7
	v_add_nc_u32_e32 v3, 0x3c000000, v3
	s_delay_alu instid0(VALU_DEP_1) | instskip(NEXT) | instid1(VALU_DEP_1)
	v_and_or_b32 v3, 0x7f800000, v5, v3
	v_cndmask_b32_e32 v1, 0, v3, vcc_lo
	s_delay_alu instid0(VALU_DEP_1)
	v_and_or_b32 v0, 0x80000000, v0, v1
.LBB159_1839:
	s_mov_b32 s9, 0
.LBB159_1840:
	s_delay_alu instid0(SALU_CYCLE_1)
	s_and_not1_b32 vcc_lo, exec_lo, s9
	s_cbranch_vccnz .LBB159_1842
; %bb.1841:
	global_load_u8 v0, v[12:13], off
	s_wait_loadcnt 0x0
	v_lshlrev_b32_e32 v1, 25, v0
	v_lshlrev_b16 v0, 8, v0
	s_delay_alu instid0(VALU_DEP_1) | instskip(SKIP_1) | instid1(VALU_DEP_2)
	v_and_or_b32 v5, 0x7f00, v0, 0.5
	v_bfe_i32 v0, v0, 0, 16
	v_add_f32_e32 v5, -0.5, v5
	v_lshrrev_b32_e32 v3, 4, v1
	v_cmp_gt_u32_e32 vcc_lo, 0x8000000, v1
	s_delay_alu instid0(VALU_DEP_2) | instskip(NEXT) | instid1(VALU_DEP_1)
	v_or_b32_e32 v3, 0x70000000, v3
	v_mul_f32_e32 v3, 0x7800000, v3
	s_delay_alu instid0(VALU_DEP_1) | instskip(NEXT) | instid1(VALU_DEP_1)
	v_cndmask_b32_e32 v1, v3, v5, vcc_lo
	v_and_or_b32 v0, 0x80000000, v0, v1
.LBB159_1842:
	s_mov_b32 s9, 0
	s_mov_b32 s12, -1
.LBB159_1843:
	s_and_not1_b32 vcc_lo, exec_lo, s9
	s_mov_b32 s9, 0
	s_cbranch_vccnz .LBB159_1852
; %bb.1844:
	s_cmp_gt_i32 s7, 14
	s_cbranch_scc0 .LBB159_1847
; %bb.1845:
	s_cmp_eq_u32 s7, 15
	s_cbranch_scc0 .LBB159_1848
; %bb.1846:
	global_load_u16 v0, v[12:13], off
	s_mov_b32 s8, 0
	s_mov_b32 s12, -1
	s_wait_loadcnt 0x0
	v_lshlrev_b32_e32 v0, 16, v0
	s_branch .LBB159_1850
.LBB159_1847:
	s_mov_b32 s9, -1
	s_branch .LBB159_1849
.LBB159_1848:
	s_mov_b32 s8, -1
.LBB159_1849:
                                        ; implicit-def: $vgpr0
.LBB159_1850:
	s_and_b32 vcc_lo, exec_lo, s9
	s_mov_b32 s9, 0
	s_cbranch_vccz .LBB159_1852
; %bb.1851:
	s_cmp_lg_u32 s7, 11
	s_mov_b32 s9, -1
	s_cselect_b32 s7, -1, 0
	s_and_not1_b32 s8, s8, exec_lo
	s_and_b32 s7, s7, exec_lo
	s_delay_alu instid0(SALU_CYCLE_1)
	s_or_b32 s8, s8, s7
.LBB159_1852:
	v_mov_b32_e32 v1, 0
.LBB159_1853:
	s_mov_b32 s13, 0
.LBB159_1854:
	s_and_not1_b32 s14, s51, exec_lo
	s_and_b32 s8, s8, exec_lo
	s_and_b32 s7, s12, exec_lo
	;; [unrolled: 1-line block ×4, first 2 shown]
	s_or_b32 s51, s14, s8
	s_wait_xcnt 0x0
	s_or_b32 exec_lo, exec_lo, s6
	s_and_saveexec_b32 s6, s51
	s_cbranch_execz .LBB159_1777
.LBB159_1855:
	s_or_b32 s1, s1, exec_lo
	s_and_not1_b32 s13, s13, exec_lo
	s_trap 2
	s_or_b32 exec_lo, exec_lo, s6
	s_and_saveexec_b32 s6, s13
	s_delay_alu instid0(SALU_CYCLE_1)
	s_xor_b32 s6, exec_lo, s6
	s_cbranch_execz .LBB159_1778
.LBB159_1856:
	s_wait_loadcnt 0x0
	global_load_u8 v0, v[12:13], off
	v_mov_b32_e32 v1, 0
	s_or_b32 s7, s7, exec_lo
	s_wait_loadcnt 0x0
	v_cmp_ne_u16_e32 vcc_lo, 0, v0
	v_cndmask_b32_e64 v0, 0, 1.0, vcc_lo
	s_wait_xcnt 0x0
	s_or_b32 exec_lo, exec_lo, s6
	s_and_saveexec_b32 s6, s12
	s_cbranch_execz .LBB159_1904
.LBB159_1857:
	s_sext_i32_i16 s8, s0
	s_delay_alu instid0(SALU_CYCLE_1)
	s_cmp_lt_i32 s8, 5
	s_cbranch_scc1 .LBB159_1862
; %bb.1858:
	s_cmp_lt_i32 s8, 8
	s_cbranch_scc1 .LBB159_1863
; %bb.1859:
	;; [unrolled: 3-line block ×3, first 2 shown]
	s_cmp_gt_i32 s8, 9
	s_cbranch_scc0 .LBB159_1865
; %bb.1861:
	s_wait_loadcnt 0x0
	global_load_b128 v[14:17], v[12:13], off
	s_mov_b32 s8, 0
	s_wait_loadcnt 0x0
	v_cvt_f32_f64_e32 v0, v[14:15]
	v_cvt_f32_f64_e32 v1, v[16:17]
	s_branch .LBB159_1866
.LBB159_1862:
                                        ; implicit-def: $vgpr1
	s_branch .LBB159_1884
.LBB159_1863:
                                        ; implicit-def: $vgpr1
	s_branch .LBB159_1872
.LBB159_1864:
	s_mov_b32 s8, -1
                                        ; implicit-def: $vgpr1
	s_branch .LBB159_1869
.LBB159_1865:
	s_mov_b32 s8, -1
                                        ; implicit-def: $vgpr1
.LBB159_1866:
	s_delay_alu instid0(SALU_CYCLE_1)
	s_and_not1_b32 vcc_lo, exec_lo, s8
	s_cbranch_vccnz .LBB159_1868
; %bb.1867:
	s_wait_loadcnt 0x0
	global_load_b64 v[0:1], v[12:13], off
.LBB159_1868:
	s_mov_b32 s8, 0
.LBB159_1869:
	s_delay_alu instid0(SALU_CYCLE_1)
	s_and_not1_b32 vcc_lo, exec_lo, s8
	s_cbranch_vccnz .LBB159_1871
; %bb.1870:
	s_wait_loadcnt 0x0
	global_load_b32 v0, v[12:13], off
	s_wait_loadcnt 0x0
	v_lshrrev_b32_e32 v1, 16, v0
	v_cvt_f32_f16_e32 v0, v0
	s_delay_alu instid0(VALU_DEP_2)
	v_cvt_f32_f16_e32 v1, v1
.LBB159_1871:
	s_cbranch_execnz .LBB159_1883
.LBB159_1872:
	s_sext_i32_i16 s8, s0
	s_delay_alu instid0(SALU_CYCLE_1)
	s_cmp_lt_i32 s8, 6
	s_cbranch_scc1 .LBB159_1875
; %bb.1873:
	s_cmp_gt_i32 s8, 6
	s_cbranch_scc0 .LBB159_1876
; %bb.1874:
	s_wait_loadcnt 0x0
	global_load_b64 v[0:1], v[12:13], off
	s_mov_b32 s8, 0
	s_wait_loadcnt 0x0
	v_cvt_f32_f64_e32 v0, v[0:1]
	s_branch .LBB159_1877
.LBB159_1875:
	s_mov_b32 s8, -1
                                        ; implicit-def: $vgpr0
	s_branch .LBB159_1880
.LBB159_1876:
	s_mov_b32 s8, -1
                                        ; implicit-def: $vgpr0
.LBB159_1877:
	s_delay_alu instid0(SALU_CYCLE_1)
	s_and_not1_b32 vcc_lo, exec_lo, s8
	s_cbranch_vccnz .LBB159_1879
; %bb.1878:
	s_wait_loadcnt 0x0
	global_load_b32 v0, v[12:13], off
.LBB159_1879:
	s_mov_b32 s8, 0
.LBB159_1880:
	s_delay_alu instid0(SALU_CYCLE_1)
	s_and_not1_b32 vcc_lo, exec_lo, s8
	s_cbranch_vccnz .LBB159_1882
; %bb.1881:
	s_wait_loadcnt 0x0
	global_load_u16 v0, v[12:13], off
	s_wait_loadcnt 0x0
	v_cvt_f32_f16_e32 v0, v0
.LBB159_1882:
	s_wait_loadcnt 0x0
	v_mov_b32_e32 v1, 0
.LBB159_1883:
	s_cbranch_execnz .LBB159_1903
.LBB159_1884:
	s_sext_i32_i16 s8, s0
	s_delay_alu instid0(SALU_CYCLE_1)
	s_cmp_lt_i32 s8, 2
	s_cbranch_scc1 .LBB159_1888
; %bb.1885:
	s_cmp_lt_i32 s8, 3
	s_cbranch_scc1 .LBB159_1889
; %bb.1886:
	s_cmp_gt_i32 s8, 3
	s_cbranch_scc0 .LBB159_1890
; %bb.1887:
	s_wait_loadcnt 0x0
	global_load_b64 v[0:1], v[12:13], off
	s_mov_b32 s8, 0
	s_wait_loadcnt 0x0
	v_xor_b32_e32 v3, v0, v1
	v_cls_i32_e32 v5, v1
	s_delay_alu instid0(VALU_DEP_2) | instskip(NEXT) | instid1(VALU_DEP_1)
	v_ashrrev_i32_e32 v3, 31, v3
	v_add_nc_u32_e32 v3, 32, v3
	s_delay_alu instid0(VALU_DEP_1) | instskip(NEXT) | instid1(VALU_DEP_1)
	v_add_min_u32_e64 v3, v5, -1, v3
	v_lshlrev_b64_e32 v[0:1], v3, v[0:1]
	s_delay_alu instid0(VALU_DEP_1) | instskip(NEXT) | instid1(VALU_DEP_1)
	v_min_u32_e32 v0, 1, v0
	v_dual_sub_nc_u32 v1, 32, v3 :: v_dual_bitop2_b32 v0, v1, v0 bitop3:0x54
	s_delay_alu instid0(VALU_DEP_1) | instskip(NEXT) | instid1(VALU_DEP_1)
	v_cvt_f32_i32_e32 v0, v0
	v_ldexp_f32 v0, v0, v1
	s_branch .LBB159_1891
.LBB159_1888:
                                        ; implicit-def: $vgpr0
	s_branch .LBB159_1897
.LBB159_1889:
	s_mov_b32 s8, -1
                                        ; implicit-def: $vgpr0
	s_branch .LBB159_1894
.LBB159_1890:
	s_mov_b32 s8, -1
                                        ; implicit-def: $vgpr0
.LBB159_1891:
	s_delay_alu instid0(SALU_CYCLE_1)
	s_and_not1_b32 vcc_lo, exec_lo, s8
	s_cbranch_vccnz .LBB159_1893
; %bb.1892:
	s_wait_loadcnt 0x0
	global_load_b32 v0, v[12:13], off
	s_wait_loadcnt 0x0
	v_cvt_f32_i32_e32 v0, v0
.LBB159_1893:
	s_mov_b32 s8, 0
.LBB159_1894:
	s_delay_alu instid0(SALU_CYCLE_1)
	s_and_not1_b32 vcc_lo, exec_lo, s8
	s_cbranch_vccnz .LBB159_1896
; %bb.1895:
	s_wait_loadcnt 0x0
	global_load_i16 v0, v[12:13], off
	s_wait_loadcnt 0x0
	v_cvt_f32_i32_e32 v0, v0
.LBB159_1896:
	s_cbranch_execnz .LBB159_1902
.LBB159_1897:
	s_sext_i32_i16 s0, s0
	s_delay_alu instid0(SALU_CYCLE_1)
	s_cmp_gt_i32 s0, 0
	s_mov_b32 s0, 0
	s_cbranch_scc0 .LBB159_1899
; %bb.1898:
	s_wait_loadcnt 0x0
	global_load_i8 v0, v[12:13], off
	s_wait_loadcnt 0x0
	v_cvt_f32_i32_e32 v0, v0
	s_branch .LBB159_1900
.LBB159_1899:
	s_mov_b32 s0, -1
                                        ; implicit-def: $vgpr0
.LBB159_1900:
	s_delay_alu instid0(SALU_CYCLE_1)
	s_and_not1_b32 vcc_lo, exec_lo, s0
	s_cbranch_vccnz .LBB159_1902
; %bb.1901:
	s_wait_loadcnt 0x0
	global_load_u8 v0, v[12:13], off
	s_wait_loadcnt 0x0
	v_cvt_f32_ubyte0_e32 v0, v0
.LBB159_1902:
	s_wait_loadcnt 0x0
	v_mov_b32_e32 v1, 0
.LBB159_1903:
	s_or_b32 s7, s7, exec_lo
.LBB159_1904:
	s_wait_xcnt 0x0
	s_or_b32 exec_lo, exec_lo, s6
	s_mov_b32 s9, 0
	s_mov_b32 s6, 0
	;; [unrolled: 1-line block ×3, first 2 shown]
                                        ; implicit-def: $vgpr10_vgpr11
                                        ; implicit-def: $vgpr13
	s_and_saveexec_b32 s0, s7
	s_cbranch_execnz .LBB159_1908
; %bb.1905:
	s_or_b32 exec_lo, exec_lo, s0
	s_and_saveexec_b32 s0, s50
	s_cbranch_execnz .LBB159_1988
.LBB159_1906:
	s_or_b32 exec_lo, exec_lo, s0
	s_and_saveexec_b32 s0, s9
	s_delay_alu instid0(SALU_CYCLE_1)
	s_xor_b32 s0, exec_lo, s0
	s_cbranch_execnz .LBB159_1989
.LBB159_1907:
	s_or_b32 exec_lo, exec_lo, s0
	s_and_saveexec_b32 s0, s6
	s_cbranch_execnz .LBB159_1990
	s_branch .LBB159_2037
.LBB159_1908:
	v_mov_b32_e32 v9, 0
	s_and_b32 s6, 0xffff, s25
	s_delay_alu instid0(SALU_CYCLE_1) | instskip(SKIP_1) | instid1(VALU_DEP_1)
	s_cmp_lt_i32 s6, 11
	s_wait_loadcnt 0x0
	v_add_nc_u64_e32 v[10:11], s[10:11], v[8:9]
	s_cbranch_scc1 .LBB159_1915
; %bb.1909:
	s_cmp_gt_i32 s6, 25
	s_cbranch_scc0 .LBB159_1916
; %bb.1910:
	s_cmp_gt_i32 s6, 28
	s_cbranch_scc0 .LBB159_1917
	;; [unrolled: 3-line block ×4, first 2 shown]
; %bb.1913:
	s_cmp_eq_u32 s6, 46
	s_mov_b32 s10, 0
	s_cbranch_scc0 .LBB159_1924
; %bb.1914:
	global_load_b32 v3, v[10:11], off
	s_mov_b32 s7, 0
	s_mov_b32 s8, -1
	s_wait_loadcnt 0x0
	v_and_b32_e32 v13, 0xffff0000, v3
	v_lshlrev_b32_e32 v12, 16, v3
	s_branch .LBB159_1926
.LBB159_1915:
	s_mov_b32 s6, -1
	s_mov_b32 s7, s50
                                        ; implicit-def: $vgpr13
	s_branch .LBB159_1987
.LBB159_1916:
	s_mov_b32 s7, s50
                                        ; implicit-def: $vgpr13
	s_cbranch_execnz .LBB159_1955
	s_branch .LBB159_1986
.LBB159_1917:
	s_mov_b32 s10, -1
	s_mov_b32 s7, s50
                                        ; implicit-def: $vgpr13
	s_branch .LBB159_1938
.LBB159_1918:
	s_mov_b32 s10, -1
	s_mov_b32 s7, s50
                                        ; implicit-def: $vgpr13
	s_branch .LBB159_1932
.LBB159_1919:
	s_mov_b32 s10, -1
	s_mov_b32 s7, s50
	s_branch .LBB159_1925
.LBB159_1920:
	s_mov_b32 s9, -1
	s_mov_b32 s13, exec_lo
	v_cmpx_eq_u16_e32 0x80, v1
; %bb.1921:
	s_xor_b32 s9, exec_lo, -1
; %bb.1922:
	s_or_b32 exec_lo, exec_lo, s13
	s_delay_alu instid0(SALU_CYCLE_1)
	s_and_b32 s9, s9, exec_lo
	s_or_saveexec_b32 s12, s12
	v_mov_b32_e32 v0, 0x7f800001
	s_xor_b32 exec_lo, exec_lo, s12
	s_cbranch_execz .LBB159_1827
.LBB159_1923:
	v_cmp_ne_u16_e32 vcc_lo, 0, v1
	v_mov_b32_e32 v0, 0
	s_and_not1_b32 s9, s9, exec_lo
	s_and_b32 s13, vcc_lo, exec_lo
	s_delay_alu instid0(SALU_CYCLE_1)
	s_or_b32 s9, s9, s13
	s_or_b32 exec_lo, exec_lo, s12
	s_and_saveexec_b32 s12, s9
	s_cbranch_execnz .LBB159_1828
	s_branch .LBB159_1829
.LBB159_1924:
	s_mov_b32 s7, -1
.LBB159_1925:
                                        ; implicit-def: $vgpr13
.LBB159_1926:
	s_and_b32 vcc_lo, exec_lo, s10
	s_cbranch_vccz .LBB159_1931
; %bb.1927:
	s_cmp_eq_u32 s6, 44
	s_cbranch_scc0 .LBB159_1929
; %bb.1928:
	global_load_u8 v3, v[10:11], off
	s_mov_b32 s7, 0
	s_mov_b32 s8, -1
	s_wait_loadcnt 0x0
	v_lshlrev_b32_e32 v5, 23, v3
	v_cmp_ne_u32_e32 vcc_lo, 0xff, v3
	s_delay_alu instid0(VALU_DEP_2) | instskip(SKIP_1) | instid1(VALU_DEP_2)
	v_cndmask_b32_e32 v5, 0x7f800001, v5, vcc_lo
	v_cmp_ne_u32_e32 vcc_lo, 0, v3
	v_cndmask_b32_e32 v12, 0x400000, v5, vcc_lo
	s_branch .LBB159_1930
.LBB159_1929:
	s_mov_b32 s7, -1
                                        ; implicit-def: $vgpr12
.LBB159_1930:
	v_mov_b32_e32 v13, 0
.LBB159_1931:
	s_mov_b32 s10, 0
.LBB159_1932:
	s_delay_alu instid0(SALU_CYCLE_1)
	s_and_b32 vcc_lo, exec_lo, s10
	s_cbranch_vccz .LBB159_1937
; %bb.1933:
	s_cmp_eq_u32 s6, 29
	s_cbranch_scc0 .LBB159_1935
; %bb.1934:
	global_load_b64 v[8:9], v[10:11], off
	s_mov_b32 s7, 0
	s_mov_b32 s8, -1
	s_wait_loadcnt 0x0
	v_clz_i32_u32_e32 v3, v9
	s_delay_alu instid0(VALU_DEP_1) | instskip(NEXT) | instid1(VALU_DEP_1)
	v_min_u32_e32 v3, 32, v3
	v_lshlrev_b64_e32 v[8:9], v3, v[8:9]
	v_sub_nc_u32_e32 v3, 32, v3
	s_delay_alu instid0(VALU_DEP_2) | instskip(NEXT) | instid1(VALU_DEP_1)
	v_min_u32_e32 v5, 1, v8
	v_or_b32_e32 v5, v9, v5
	s_delay_alu instid0(VALU_DEP_1) | instskip(NEXT) | instid1(VALU_DEP_1)
	v_cvt_f32_u32_e32 v5, v5
	v_ldexp_f32 v12, v5, v3
	s_branch .LBB159_1936
.LBB159_1935:
	s_mov_b32 s7, -1
                                        ; implicit-def: $vgpr12
.LBB159_1936:
	v_mov_b32_e32 v13, 0
.LBB159_1937:
	s_mov_b32 s10, 0
.LBB159_1938:
	s_delay_alu instid0(SALU_CYCLE_1)
	s_and_b32 vcc_lo, exec_lo, s10
	s_cbranch_vccz .LBB159_1954
; %bb.1939:
	s_cmp_lt_i32 s6, 27
	s_cbranch_scc1 .LBB159_1942
; %bb.1940:
	s_cmp_gt_i32 s6, 27
	s_cbranch_scc0 .LBB159_1943
; %bb.1941:
	global_load_b32 v3, v[10:11], off
	s_mov_b32 s8, 0
	s_wait_loadcnt 0x0
	v_cvt_f32_u32_e32 v12, v3
	s_branch .LBB159_1944
.LBB159_1942:
	s_mov_b32 s8, -1
                                        ; implicit-def: $vgpr12
	s_branch .LBB159_1947
.LBB159_1943:
	s_mov_b32 s8, -1
                                        ; implicit-def: $vgpr12
.LBB159_1944:
	s_delay_alu instid0(SALU_CYCLE_1)
	s_and_not1_b32 vcc_lo, exec_lo, s8
	s_cbranch_vccnz .LBB159_1946
; %bb.1945:
	global_load_u16 v3, v[10:11], off
	s_wait_loadcnt 0x0
	v_cvt_f32_u32_e32 v12, v3
.LBB159_1946:
	s_mov_b32 s8, 0
.LBB159_1947:
	s_delay_alu instid0(SALU_CYCLE_1)
	s_and_not1_b32 vcc_lo, exec_lo, s8
	s_cbranch_vccnz .LBB159_1953
; %bb.1948:
	global_load_u8 v3, v[10:11], off
	s_mov_b32 s8, 0
	s_mov_b32 s10, exec_lo
	s_wait_loadcnt 0x0
	v_cmpx_lt_i16_e32 0x7f, v3
	s_xor_b32 s10, exec_lo, s10
	s_cbranch_execnz .LBB159_1965
; %bb.1949:
	s_or_saveexec_b32 s10, s10
	v_mov_b32_e32 v12, 0x7f800001
	s_xor_b32 exec_lo, exec_lo, s10
	s_cbranch_execnz .LBB159_1968
.LBB159_1950:
	s_or_b32 exec_lo, exec_lo, s10
	s_and_saveexec_b32 s10, s8
	s_cbranch_execz .LBB159_1952
.LBB159_1951:
	v_and_b32_e32 v5, 0xffff, v3
	s_delay_alu instid0(VALU_DEP_1) | instskip(SKIP_1) | instid1(VALU_DEP_2)
	v_and_b32_e32 v7, 7, v5
	v_bfe_u32 v12, v5, 3, 4
	v_clz_i32_u32_e32 v8, v7
	s_delay_alu instid0(VALU_DEP_2) | instskip(NEXT) | instid1(VALU_DEP_2)
	v_cmp_eq_u32_e32 vcc_lo, 0, v12
	v_min_u32_e32 v8, 32, v8
	s_delay_alu instid0(VALU_DEP_1) | instskip(NEXT) | instid1(VALU_DEP_1)
	v_subrev_nc_u32_e32 v9, 28, v8
	v_dual_lshlrev_b32 v5, v9, v5 :: v_dual_sub_nc_u32 v8, 29, v8
	s_delay_alu instid0(VALU_DEP_1) | instskip(NEXT) | instid1(VALU_DEP_1)
	v_dual_lshlrev_b32 v3, 24, v3 :: v_dual_bitop2_b32 v5, 7, v5 bitop3:0x40
	v_dual_cndmask_b32 v8, v12, v8 :: v_dual_cndmask_b32 v5, v7, v5
	s_delay_alu instid0(VALU_DEP_2) | instskip(NEXT) | instid1(VALU_DEP_2)
	v_and_b32_e32 v3, 0x80000000, v3
	v_lshl_add_u32 v7, v8, 23, 0x3b800000
	s_delay_alu instid0(VALU_DEP_3) | instskip(NEXT) | instid1(VALU_DEP_1)
	v_lshlrev_b32_e32 v5, 20, v5
	v_or3_b32 v12, v3, v7, v5
.LBB159_1952:
	s_or_b32 exec_lo, exec_lo, s10
.LBB159_1953:
	v_mov_b32_e32 v13, 0
	s_mov_b32 s8, -1
.LBB159_1954:
	s_branch .LBB159_1986
.LBB159_1955:
	s_cmp_gt_i32 s6, 22
	s_cbranch_scc0 .LBB159_1963
; %bb.1956:
	s_cmp_lt_i32 s6, 24
	s_cbranch_scc1 .LBB159_1964
; %bb.1957:
	s_cmp_gt_i32 s6, 24
	s_cbranch_scc0 .LBB159_1969
; %bb.1958:
	global_load_u8 v3, v[10:11], off
	s_mov_b32 s8, 0
	s_mov_b32 s9, exec_lo
	s_wait_loadcnt 0x0
	v_cmpx_lt_i16_e32 0x7f, v3
	s_xor_b32 s9, exec_lo, s9
	s_cbranch_execnz .LBB159_2049
; %bb.1959:
	s_or_saveexec_b32 s9, s9
	v_mov_b32_e32 v12, 0x7f800001
	s_xor_b32 exec_lo, exec_lo, s9
	s_cbranch_execnz .LBB159_2052
.LBB159_1960:
	s_or_b32 exec_lo, exec_lo, s9
	s_and_saveexec_b32 s9, s8
	s_cbranch_execz .LBB159_1962
.LBB159_1961:
	v_and_b32_e32 v5, 0xffff, v3
	s_delay_alu instid0(VALU_DEP_1) | instskip(SKIP_1) | instid1(VALU_DEP_2)
	v_and_b32_e32 v7, 3, v5
	v_bfe_u32 v12, v5, 2, 5
	v_clz_i32_u32_e32 v8, v7
	s_delay_alu instid0(VALU_DEP_2) | instskip(NEXT) | instid1(VALU_DEP_2)
	v_cmp_eq_u32_e32 vcc_lo, 0, v12
	v_min_u32_e32 v8, 32, v8
	s_delay_alu instid0(VALU_DEP_1) | instskip(NEXT) | instid1(VALU_DEP_1)
	v_subrev_nc_u32_e32 v9, 29, v8
	v_dual_lshlrev_b32 v5, v9, v5 :: v_dual_sub_nc_u32 v8, 30, v8
	s_delay_alu instid0(VALU_DEP_1) | instskip(NEXT) | instid1(VALU_DEP_1)
	v_dual_lshlrev_b32 v3, 24, v3 :: v_dual_bitop2_b32 v5, 3, v5 bitop3:0x40
	v_dual_cndmask_b32 v8, v12, v8 :: v_dual_cndmask_b32 v5, v7, v5
	s_delay_alu instid0(VALU_DEP_2) | instskip(NEXT) | instid1(VALU_DEP_2)
	v_and_b32_e32 v3, 0x80000000, v3
	v_lshl_add_u32 v7, v8, 23, 0x37800000
	s_delay_alu instid0(VALU_DEP_3) | instskip(NEXT) | instid1(VALU_DEP_1)
	v_lshlrev_b32_e32 v5, 21, v5
	v_or3_b32 v12, v3, v7, v5
.LBB159_1962:
	s_or_b32 exec_lo, exec_lo, s9
	s_mov_b32 s8, 0
	s_branch .LBB159_1970
.LBB159_1963:
	s_mov_b32 s9, -1
                                        ; implicit-def: $vgpr12
	s_branch .LBB159_1976
.LBB159_1964:
	s_mov_b32 s8, -1
                                        ; implicit-def: $vgpr12
	s_branch .LBB159_1973
.LBB159_1965:
	s_mov_b32 s8, -1
	s_mov_b32 s11, exec_lo
	v_cmpx_eq_u16_e32 0x80, v3
; %bb.1966:
	s_xor_b32 s8, exec_lo, -1
; %bb.1967:
	s_or_b32 exec_lo, exec_lo, s11
	s_delay_alu instid0(SALU_CYCLE_1)
	s_and_b32 s8, s8, exec_lo
	s_or_saveexec_b32 s10, s10
	v_mov_b32_e32 v12, 0x7f800001
	s_xor_b32 exec_lo, exec_lo, s10
	s_cbranch_execz .LBB159_1950
.LBB159_1968:
	v_cmp_ne_u16_e32 vcc_lo, 0, v3
	v_mov_b32_e32 v12, 0
	s_and_not1_b32 s8, s8, exec_lo
	s_and_b32 s11, vcc_lo, exec_lo
	s_delay_alu instid0(SALU_CYCLE_1)
	s_or_b32 s8, s8, s11
	s_or_b32 exec_lo, exec_lo, s10
	s_and_saveexec_b32 s10, s8
	s_cbranch_execnz .LBB159_1951
	s_branch .LBB159_1952
.LBB159_1969:
	s_mov_b32 s8, -1
                                        ; implicit-def: $vgpr12
.LBB159_1970:
	s_delay_alu instid0(SALU_CYCLE_1)
	s_and_b32 vcc_lo, exec_lo, s8
	s_cbranch_vccz .LBB159_1972
; %bb.1971:
	global_load_u8 v3, v[10:11], off
	s_wait_loadcnt 0x0
	v_lshlrev_b32_e32 v3, 24, v3
	s_delay_alu instid0(VALU_DEP_1) | instskip(NEXT) | instid1(VALU_DEP_1)
	v_and_b32_e32 v5, 0x7f000000, v3
	v_clz_i32_u32_e32 v7, v5
	v_add_nc_u32_e32 v9, 0x1000000, v5
	v_cmp_ne_u32_e32 vcc_lo, 0, v5
	s_delay_alu instid0(VALU_DEP_3) | instskip(NEXT) | instid1(VALU_DEP_1)
	v_min_u32_e32 v7, 32, v7
	v_sub_nc_u32_e64 v7, v7, 4 clamp
	s_delay_alu instid0(VALU_DEP_1) | instskip(NEXT) | instid1(VALU_DEP_1)
	v_dual_lshlrev_b32 v8, v7, v5 :: v_dual_lshlrev_b32 v7, 23, v7
	v_lshrrev_b32_e32 v8, 4, v8
	s_delay_alu instid0(VALU_DEP_1) | instskip(NEXT) | instid1(VALU_DEP_1)
	v_dual_sub_nc_u32 v7, v8, v7 :: v_dual_ashrrev_i32 v8, 8, v9
	v_add_nc_u32_e32 v7, 0x3c000000, v7
	s_delay_alu instid0(VALU_DEP_1) | instskip(NEXT) | instid1(VALU_DEP_1)
	v_and_or_b32 v7, 0x7f800000, v8, v7
	v_cndmask_b32_e32 v5, 0, v7, vcc_lo
	s_delay_alu instid0(VALU_DEP_1)
	v_and_or_b32 v12, 0x80000000, v3, v5
.LBB159_1972:
	s_mov_b32 s8, 0
.LBB159_1973:
	s_delay_alu instid0(SALU_CYCLE_1)
	s_and_not1_b32 vcc_lo, exec_lo, s8
	s_cbranch_vccnz .LBB159_1975
; %bb.1974:
	global_load_u8 v3, v[10:11], off
	s_wait_loadcnt 0x0
	v_lshlrev_b32_e32 v5, 25, v3
	v_lshlrev_b16 v3, 8, v3
	s_delay_alu instid0(VALU_DEP_1) | instskip(SKIP_1) | instid1(VALU_DEP_2)
	v_and_or_b32 v8, 0x7f00, v3, 0.5
	v_bfe_i32 v3, v3, 0, 16
	v_dual_add_f32 v8, -0.5, v8 :: v_dual_lshrrev_b32 v7, 4, v5
	v_cmp_gt_u32_e32 vcc_lo, 0x8000000, v5
	s_delay_alu instid0(VALU_DEP_2) | instskip(NEXT) | instid1(VALU_DEP_1)
	v_or_b32_e32 v7, 0x70000000, v7
	v_mul_f32_e32 v7, 0x7800000, v7
	s_delay_alu instid0(VALU_DEP_1) | instskip(NEXT) | instid1(VALU_DEP_1)
	v_cndmask_b32_e32 v5, v7, v8, vcc_lo
	v_and_or_b32 v12, 0x80000000, v3, v5
.LBB159_1975:
	s_mov_b32 s9, 0
	s_mov_b32 s8, -1
.LBB159_1976:
	s_and_not1_b32 vcc_lo, exec_lo, s9
	s_mov_b32 s9, 0
	s_cbranch_vccnz .LBB159_1985
; %bb.1977:
	s_cmp_gt_i32 s6, 14
	s_cbranch_scc0 .LBB159_1980
; %bb.1978:
	s_cmp_eq_u32 s6, 15
	s_cbranch_scc0 .LBB159_1981
; %bb.1979:
	global_load_u16 v3, v[10:11], off
	s_mov_b32 s7, 0
	s_mov_b32 s8, -1
	s_wait_loadcnt 0x0
	v_lshlrev_b32_e32 v12, 16, v3
	s_branch .LBB159_1983
.LBB159_1980:
	s_mov_b32 s9, -1
	s_branch .LBB159_1982
.LBB159_1981:
	s_mov_b32 s7, -1
.LBB159_1982:
                                        ; implicit-def: $vgpr12
.LBB159_1983:
	s_and_b32 vcc_lo, exec_lo, s9
	s_mov_b32 s9, 0
	s_cbranch_vccz .LBB159_1985
; %bb.1984:
	s_cmp_lg_u32 s6, 11
	s_mov_b32 s9, -1
	s_cselect_b32 s6, -1, 0
	s_and_not1_b32 s7, s7, exec_lo
	s_and_b32 s6, s6, exec_lo
	s_delay_alu instid0(SALU_CYCLE_1)
	s_or_b32 s7, s7, s6
.LBB159_1985:
	v_mov_b32_e32 v13, 0
.LBB159_1986:
	s_mov_b32 s6, 0
.LBB159_1987:
	s_and_not1_b32 s10, s50, exec_lo
	s_and_b32 s7, s7, exec_lo
	s_and_b32 s8, s8, exec_lo
	;; [unrolled: 1-line block ×4, first 2 shown]
	s_or_b32 s50, s10, s7
	s_wait_xcnt 0x0
	s_or_b32 exec_lo, exec_lo, s0
	s_and_saveexec_b32 s0, s50
	s_cbranch_execz .LBB159_1906
.LBB159_1988:
	s_or_b32 s1, s1, exec_lo
	s_and_not1_b32 s9, s9, exec_lo
	s_trap 2
	s_or_b32 exec_lo, exec_lo, s0
	s_and_saveexec_b32 s0, s9
	s_delay_alu instid0(SALU_CYCLE_1)
	s_xor_b32 s0, exec_lo, s0
	s_cbranch_execz .LBB159_1907
.LBB159_1989:
	s_wait_loadcnt 0x0
	global_load_u8 v3, v[10:11], off
	v_mov_b32_e32 v13, 0
	s_or_b32 s8, s8, exec_lo
	s_wait_loadcnt 0x0
	v_cmp_ne_u16_e32 vcc_lo, 0, v3
	v_cndmask_b32_e64 v12, 0, 1.0, vcc_lo
	s_wait_xcnt 0x0
	s_or_b32 exec_lo, exec_lo, s0
	s_and_saveexec_b32 s0, s6
	s_cbranch_execz .LBB159_2037
.LBB159_1990:
	s_sext_i32_i16 s6, s25
	s_delay_alu instid0(SALU_CYCLE_1)
	s_cmp_lt_i32 s6, 5
	s_cbranch_scc1 .LBB159_1995
; %bb.1991:
	s_cmp_lt_i32 s6, 8
	s_cbranch_scc1 .LBB159_1996
; %bb.1992:
	;; [unrolled: 3-line block ×3, first 2 shown]
	s_cmp_gt_i32 s6, 9
	s_cbranch_scc0 .LBB159_1998
; %bb.1994:
	s_wait_loadcnt 0x0
	global_load_b128 v[12:15], v[10:11], off
	s_mov_b32 s6, 0
	s_wait_loadcnt 0x0
	v_cvt_f32_f64_e32 v12, v[12:13]
	v_cvt_f32_f64_e32 v13, v[14:15]
	s_branch .LBB159_1999
.LBB159_1995:
                                        ; implicit-def: $vgpr13
	s_branch .LBB159_2017
.LBB159_1996:
                                        ; implicit-def: $vgpr13
	s_branch .LBB159_2005
.LBB159_1997:
	s_mov_b32 s6, -1
                                        ; implicit-def: $vgpr13
	s_branch .LBB159_2002
.LBB159_1998:
	s_mov_b32 s6, -1
                                        ; implicit-def: $vgpr13
.LBB159_1999:
	s_delay_alu instid0(SALU_CYCLE_1)
	s_and_not1_b32 vcc_lo, exec_lo, s6
	s_cbranch_vccnz .LBB159_2001
; %bb.2000:
	s_wait_loadcnt 0x0
	global_load_b64 v[12:13], v[10:11], off
.LBB159_2001:
	s_mov_b32 s6, 0
.LBB159_2002:
	s_delay_alu instid0(SALU_CYCLE_1)
	s_and_not1_b32 vcc_lo, exec_lo, s6
	s_cbranch_vccnz .LBB159_2004
; %bb.2003:
	s_wait_loadcnt 0x0
	global_load_b32 v3, v[10:11], off
	s_wait_loadcnt 0x0
	v_lshrrev_b32_e32 v5, 16, v3
	v_cvt_f32_f16_e32 v12, v3
	s_delay_alu instid0(VALU_DEP_2)
	v_cvt_f32_f16_e32 v13, v5
.LBB159_2004:
	s_cbranch_execnz .LBB159_2016
.LBB159_2005:
	s_sext_i32_i16 s6, s25
	s_delay_alu instid0(SALU_CYCLE_1)
	s_cmp_lt_i32 s6, 6
	s_cbranch_scc1 .LBB159_2008
; %bb.2006:
	s_cmp_gt_i32 s6, 6
	s_cbranch_scc0 .LBB159_2009
; %bb.2007:
	s_wait_loadcnt 0x0
	global_load_b64 v[8:9], v[10:11], off
	s_mov_b32 s6, 0
	s_wait_loadcnt 0x0
	v_cvt_f32_f64_e32 v12, v[8:9]
	s_branch .LBB159_2010
.LBB159_2008:
	s_mov_b32 s6, -1
                                        ; implicit-def: $vgpr12
	s_branch .LBB159_2013
.LBB159_2009:
	s_mov_b32 s6, -1
                                        ; implicit-def: $vgpr12
.LBB159_2010:
	s_delay_alu instid0(SALU_CYCLE_1)
	s_and_not1_b32 vcc_lo, exec_lo, s6
	s_cbranch_vccnz .LBB159_2012
; %bb.2011:
	s_wait_loadcnt 0x0
	global_load_b32 v12, v[10:11], off
.LBB159_2012:
	s_mov_b32 s6, 0
.LBB159_2013:
	s_delay_alu instid0(SALU_CYCLE_1)
	s_and_not1_b32 vcc_lo, exec_lo, s6
	s_cbranch_vccnz .LBB159_2015
; %bb.2014:
	s_wait_loadcnt 0x0
	global_load_u16 v3, v[10:11], off
	s_wait_loadcnt 0x0
	v_cvt_f32_f16_e32 v12, v3
.LBB159_2015:
	s_wait_loadcnt 0x0
	v_mov_b32_e32 v13, 0
.LBB159_2016:
	s_cbranch_execnz .LBB159_2036
.LBB159_2017:
	s_sext_i32_i16 s6, s25
	s_delay_alu instid0(SALU_CYCLE_1)
	s_cmp_lt_i32 s6, 2
	s_cbranch_scc1 .LBB159_2021
; %bb.2018:
	s_cmp_lt_i32 s6, 3
	s_cbranch_scc1 .LBB159_2022
; %bb.2019:
	s_cmp_gt_i32 s6, 3
	s_cbranch_scc0 .LBB159_2023
; %bb.2020:
	s_wait_loadcnt 0x0
	global_load_b64 v[8:9], v[10:11], off
	s_mov_b32 s6, 0
	s_wait_loadcnt 0x0
	v_xor_b32_e32 v3, v8, v9
	v_cls_i32_e32 v5, v9
	s_delay_alu instid0(VALU_DEP_2) | instskip(NEXT) | instid1(VALU_DEP_1)
	v_ashrrev_i32_e32 v3, 31, v3
	v_add_nc_u32_e32 v3, 32, v3
	s_delay_alu instid0(VALU_DEP_1) | instskip(NEXT) | instid1(VALU_DEP_1)
	v_add_min_u32_e64 v3, v5, -1, v3
	v_lshlrev_b64_e32 v[8:9], v3, v[8:9]
	v_sub_nc_u32_e32 v3, 32, v3
	s_delay_alu instid0(VALU_DEP_2) | instskip(NEXT) | instid1(VALU_DEP_1)
	v_min_u32_e32 v5, 1, v8
	v_or_b32_e32 v5, v9, v5
	s_delay_alu instid0(VALU_DEP_1) | instskip(NEXT) | instid1(VALU_DEP_1)
	v_cvt_f32_i32_e32 v5, v5
	v_ldexp_f32 v12, v5, v3
	s_branch .LBB159_2024
.LBB159_2021:
                                        ; implicit-def: $vgpr12
	s_branch .LBB159_2030
.LBB159_2022:
	s_mov_b32 s6, -1
                                        ; implicit-def: $vgpr12
	s_branch .LBB159_2027
.LBB159_2023:
	s_mov_b32 s6, -1
                                        ; implicit-def: $vgpr12
.LBB159_2024:
	s_delay_alu instid0(SALU_CYCLE_1)
	s_and_not1_b32 vcc_lo, exec_lo, s6
	s_cbranch_vccnz .LBB159_2026
; %bb.2025:
	s_wait_loadcnt 0x0
	global_load_b32 v3, v[10:11], off
	s_wait_loadcnt 0x0
	v_cvt_f32_i32_e32 v12, v3
.LBB159_2026:
	s_mov_b32 s6, 0
.LBB159_2027:
	s_delay_alu instid0(SALU_CYCLE_1)
	s_and_not1_b32 vcc_lo, exec_lo, s6
	s_cbranch_vccnz .LBB159_2029
; %bb.2028:
	s_wait_loadcnt 0x0
	global_load_i16 v3, v[10:11], off
	s_wait_loadcnt 0x0
	v_cvt_f32_i32_e32 v12, v3
.LBB159_2029:
	s_cbranch_execnz .LBB159_2035
.LBB159_2030:
	s_sext_i32_i16 s6, s25
	s_delay_alu instid0(SALU_CYCLE_1)
	s_cmp_gt_i32 s6, 0
	s_mov_b32 s6, 0
	s_cbranch_scc0 .LBB159_2032
; %bb.2031:
	s_wait_loadcnt 0x0
	global_load_i8 v3, v[10:11], off
	s_wait_loadcnt 0x0
	v_cvt_f32_i32_e32 v12, v3
	s_branch .LBB159_2033
.LBB159_2032:
	s_mov_b32 s6, -1
                                        ; implicit-def: $vgpr12
.LBB159_2033:
	s_delay_alu instid0(SALU_CYCLE_1)
	s_and_not1_b32 vcc_lo, exec_lo, s6
	s_cbranch_vccnz .LBB159_2035
; %bb.2034:
	s_wait_loadcnt 0x0
	global_load_u8 v3, v[10:11], off
	s_wait_loadcnt 0x0
	v_cvt_f32_ubyte0_e32 v12, v3
.LBB159_2035:
	s_wait_loadcnt 0x0
	v_mov_b32_e32 v13, 0
.LBB159_2036:
	s_or_b32 s8, s8, exec_lo
.LBB159_2037:
	s_wait_xcnt 0x0
	s_or_b32 exec_lo, exec_lo, s0
	s_mov_b32 s0, 0
	s_mov_b32 s9, 0
                                        ; implicit-def: $sgpr6
                                        ; implicit-def: $vgpr8_vgpr9
                                        ; implicit-def: $vgpr10
	s_and_saveexec_b32 s7, s8
	s_cbranch_execnz .LBB159_2041
; %bb.2038:
	s_or_b32 exec_lo, exec_lo, s7
	s_and_saveexec_b32 s4, s46
	s_cbranch_execnz .LBB159_2122
.LBB159_2039:
	s_or_b32 exec_lo, exec_lo, s4
	s_and_saveexec_b32 s4, s0
	s_delay_alu instid0(SALU_CYCLE_1)
	s_xor_b32 s4, exec_lo, s4
	s_cbranch_execnz .LBB159_2123
.LBB159_2040:
	s_or_b32 exec_lo, exec_lo, s4
	s_and_saveexec_b32 s0, s9
	s_delay_alu instid0(SALU_CYCLE_1)
	s_xor_b32 s0, exec_lo, s0
	s_cbranch_execnz .LBB159_2124
	s_branch .LBB159_2161
.LBB159_2041:
	v_mov_b64_e32 v[8:9], s[28:29]
	v_mov_b64_e32 v[14:15], s[20:21]
	s_wait_loadcnt 0x0
	s_delay_alu instid0(VALU_DEP_3)
	v_dual_mov_b32 v16, v13 :: v_dual_mov_b32 v17, v12
	s_and_b32 s6, s42, 0xff
	v_mov_b32_e32 v3, 0
	s_cmp_lt_i32 s6, 11
	v_pk_mul_f32 v[10:11], v[0:1], v[8:9]
	v_pk_mul_f32 v[0:1], v[0:1], v[8:9] op_sel:[0,1] op_sel_hi:[1,0]
	v_pk_mul_f32 v[6:7], v[6:7], v[14:15] op_sel:[0,1] op_sel_hi:[0,0]
	s_delay_alu instid0(VALU_DEP_3) | instskip(NEXT) | instid1(VALU_DEP_3)
	v_add_f32_e32 v8, v10, v11
	v_pk_add_f32 v[0:1], v[0:1], v[0:1] op_sel:[0,1] op_sel_hi:[0,1] neg_lo:[0,1] neg_hi:[0,1]
	s_delay_alu instid0(VALU_DEP_3) | instskip(SKIP_1) | instid1(VALU_DEP_4)
	v_pk_fma_f32 v[10:11], v[4:5], v[14:15], v[6:7] op_sel_hi:[0,1,1]
	v_pk_fma_f32 v[4:5], v[4:5], v[14:15], v[6:7] op_sel_hi:[0,1,1] neg_lo:[0,0,1] neg_hi:[0,0,1]
	v_pk_mul_f32 v[8:9], v[8:9], v[16:17] op_sel_hi:[0,1]
	s_delay_alu instid0(VALU_DEP_1) | instskip(SKIP_3) | instid1(VALU_DEP_4)
	v_pk_fma_f32 v[16:17], v[0:1], v[12:13], v[8:9]
	v_pk_fma_f32 v[0:1], v[0:1], v[12:13], v[8:9] neg_lo:[0,0,1] neg_hi:[0,0,1]
	v_mov_b32_e32 v5, v11
	v_add_nc_u64_e32 v[8:9], s[4:5], v[2:3]
	v_mov_b32_e32 v1, v17
	s_delay_alu instid0(VALU_DEP_1)
	v_pk_add_f32 v[10:11], v[4:5], v[0:1]
	s_cbranch_scc1 .LBB159_2048
; %bb.2042:
	s_and_b32 s4, 0xffff, s6
	s_mov_b32 s5, -1
	s_cmp_gt_i32 s4, 25
	s_mov_b32 s0, s46
	s_cbranch_scc0 .LBB159_2080
; %bb.2043:
	s_cmp_gt_i32 s4, 28
	s_mov_b32 s0, s46
	s_cbranch_scc0 .LBB159_2064
; %bb.2044:
	;; [unrolled: 4-line block ×4, first 2 shown]
	s_cmp_eq_u32 s4, 46
	s_mov_b32 s0, -1
	s_cbranch_scc0 .LBB159_2053
; %bb.2047:
	v_dual_lshrrev_b32 v0, 16, v10 :: v_dual_lshrrev_b32 v1, 16, v11
	v_cmp_o_f32_e32 vcc_lo, v10, v10
	s_mov_b32 s0, 0
	s_mov_b32 s5, 0
	s_delay_alu instid0(VALU_DEP_2) | instskip(NEXT) | instid1(VALU_DEP_1)
	v_and_b32_e32 v0, 1, v0
	v_add3_u32 v0, v10, v0, 0x7fff
	s_delay_alu instid0(VALU_DEP_1) | instskip(NEXT) | instid1(VALU_DEP_1)
	v_dual_lshrrev_b32 v0, 16, v0 :: v_dual_bitop2_b32 v1, 1, v1 bitop3:0x40
	v_add3_u32 v1, v11, v1, 0x7fff
	s_delay_alu instid0(VALU_DEP_2) | instskip(NEXT) | instid1(VALU_DEP_2)
	v_cndmask_b32_e32 v0, 0x7fc0, v0, vcc_lo
	v_and_b32_e32 v1, 0xffff0000, v1
	v_cmp_o_f32_e32 vcc_lo, v11, v11
	s_delay_alu instid0(VALU_DEP_2) | instskip(NEXT) | instid1(VALU_DEP_1)
	v_cndmask_b32_e32 v1, 0x7fc00000, v1, vcc_lo
	v_or_b32_e32 v0, v1, v0
	global_store_b32 v[8:9], v0, off
	s_branch .LBB159_2054
.LBB159_2048:
	s_mov_b32 s8, 0
	s_mov_b32 s5, -1
	s_mov_b32 s0, s46
	s_branch .LBB159_2121
.LBB159_2049:
	s_mov_b32 s8, -1
	s_mov_b32 s10, exec_lo
	v_cmpx_eq_u16_e32 0x80, v3
; %bb.2050:
	s_xor_b32 s8, exec_lo, -1
; %bb.2051:
	s_or_b32 exec_lo, exec_lo, s10
	s_delay_alu instid0(SALU_CYCLE_1)
	s_and_b32 s8, s8, exec_lo
	s_or_saveexec_b32 s9, s9
	v_mov_b32_e32 v12, 0x7f800001
	s_xor_b32 exec_lo, exec_lo, s9
	s_cbranch_execz .LBB159_1960
.LBB159_2052:
	v_cmp_ne_u16_e32 vcc_lo, 0, v3
	v_mov_b32_e32 v12, 0
	s_and_not1_b32 s8, s8, exec_lo
	s_and_b32 s10, vcc_lo, exec_lo
	s_delay_alu instid0(SALU_CYCLE_1)
	s_or_b32 s8, s8, s10
	s_or_b32 exec_lo, exec_lo, s9
	s_and_saveexec_b32 s9, s8
	s_cbranch_execnz .LBB159_1961
	s_branch .LBB159_1962
.LBB159_2053:
	s_mov_b32 s5, 0
.LBB159_2054:
	s_delay_alu instid0(SALU_CYCLE_1)
	s_and_b32 vcc_lo, exec_lo, s5
	s_cbranch_vccz .LBB159_2059
; %bb.2055:
	s_cmp_eq_u32 s4, 44
	s_mov_b32 s0, -1
	s_cbranch_scc0 .LBB159_2059
; %bb.2056:
	v_bfe_u32 v1, v10, 23, 8
	s_wait_xcnt 0x0
	v_mov_b32_e32 v0, 0xff
	s_mov_b32 s5, exec_lo
	s_delay_alu instid0(VALU_DEP_2)
	v_cmpx_ne_u32_e32 0xff, v1
	s_cbranch_execz .LBB159_2058
; %bb.2057:
	v_and_b32_e32 v0, 0x400000, v10
	v_and_or_b32 v1, 0x3fffff, v10, v1
	s_delay_alu instid0(VALU_DEP_2) | instskip(NEXT) | instid1(VALU_DEP_2)
	v_cmp_ne_u32_e32 vcc_lo, 0, v0
	v_cmp_ne_u32_e64 s0, 0, v1
	v_lshrrev_b32_e32 v0, 23, v10
	s_and_b32 s0, vcc_lo, s0
	s_delay_alu instid0(SALU_CYCLE_1) | instskip(NEXT) | instid1(VALU_DEP_1)
	v_cndmask_b32_e64 v1, 0, 1, s0
	v_add_nc_u32_e32 v0, v0, v1
.LBB159_2058:
	s_or_b32 exec_lo, exec_lo, s5
	s_mov_b32 s0, 0
	global_store_b8 v[8:9], v0, off
.LBB159_2059:
	s_mov_b32 s5, 0
.LBB159_2060:
	s_delay_alu instid0(SALU_CYCLE_1)
	s_and_b32 vcc_lo, exec_lo, s5
	s_cbranch_vccz .LBB159_2063
; %bb.2061:
	s_cmp_eq_u32 s4, 29
	s_mov_b32 s0, -1
	s_cbranch_scc0 .LBB159_2063
; %bb.2062:
	s_wait_xcnt 0x0
	v_trunc_f32_e32 v0, v10
	s_mov_b32 s0, 0
	s_mov_b32 s5, 0
	s_delay_alu instid0(VALU_DEP_1) | instskip(NEXT) | instid1(VALU_DEP_1)
	v_mul_f32_e32 v1, 0x2f800000, v0
	v_floor_f32_e32 v1, v1
	s_delay_alu instid0(VALU_DEP_1) | instskip(SKIP_1) | instid1(VALU_DEP_2)
	v_fmamk_f32 v0, v1, 0xcf800000, v0
	v_cvt_u32_f32_e32 v1, v1
	v_cvt_u32_f32_e32 v0, v0
	global_store_b64 v[8:9], v[0:1], off
	s_branch .LBB159_2064
.LBB159_2063:
	s_mov_b32 s5, 0
.LBB159_2064:
	s_delay_alu instid0(SALU_CYCLE_1)
	s_and_b32 vcc_lo, exec_lo, s5
	s_cbranch_vccz .LBB159_2079
; %bb.2065:
	s_cmp_lt_i32 s4, 27
	s_mov_b32 s5, -1
	s_cbranch_scc1 .LBB159_2071
; %bb.2066:
	s_cmp_gt_i32 s4, 27
	s_cbranch_scc0 .LBB159_2068
; %bb.2067:
	s_wait_xcnt 0x0
	v_cvt_u32_f32_e32 v0, v10
	s_mov_b32 s5, 0
	global_store_b32 v[8:9], v0, off
.LBB159_2068:
	s_and_not1_b32 vcc_lo, exec_lo, s5
	s_cbranch_vccnz .LBB159_2070
; %bb.2069:
	s_wait_xcnt 0x0
	v_cvt_u32_f32_e32 v0, v10
	global_store_b16 v[8:9], v0, off
.LBB159_2070:
	s_mov_b32 s5, 0
.LBB159_2071:
	s_delay_alu instid0(SALU_CYCLE_1)
	s_and_not1_b32 vcc_lo, exec_lo, s5
	s_cbranch_vccnz .LBB159_2079
; %bb.2072:
	s_wait_xcnt 0x0
	v_and_b32_e32 v0, 0x7fffffff, v10
	v_mov_b32_e32 v1, 0x80
	s_mov_b32 s5, exec_lo
	s_delay_alu instid0(VALU_DEP_2)
	v_cmpx_gt_u32_e32 0x43800000, v0
	s_cbranch_execz .LBB159_2078
; %bb.2073:
	v_cmp_lt_u32_e32 vcc_lo, 0x3bffffff, v0
	s_mov_b32 s8, 0
                                        ; implicit-def: $vgpr0
	s_and_saveexec_b32 s9, vcc_lo
	s_delay_alu instid0(SALU_CYCLE_1)
	s_xor_b32 s9, exec_lo, s9
	s_cbranch_execnz .LBB159_2349
; %bb.2074:
	s_and_not1_saveexec_b32 s9, s9
	s_cbranch_execnz .LBB159_2350
.LBB159_2075:
	s_or_b32 exec_lo, exec_lo, s9
	v_mov_b32_e32 v1, 0
	s_and_saveexec_b32 s9, s8
.LBB159_2076:
	v_lshrrev_b32_e32 v1, 24, v10
	s_delay_alu instid0(VALU_DEP_1)
	v_and_or_b32 v1, 0x80, v1, v0
.LBB159_2077:
	s_or_b32 exec_lo, exec_lo, s9
.LBB159_2078:
	s_delay_alu instid0(SALU_CYCLE_1)
	s_or_b32 exec_lo, exec_lo, s5
	global_store_b8 v[8:9], v1, off
.LBB159_2079:
	s_mov_b32 s5, 0
.LBB159_2080:
	s_delay_alu instid0(SALU_CYCLE_1)
	s_and_b32 vcc_lo, exec_lo, s5
	s_mov_b32 s5, 0
	s_cbranch_vccz .LBB159_2120
; %bb.2081:
	s_cmp_gt_i32 s4, 22
	s_mov_b32 s8, -1
	s_cbranch_scc0 .LBB159_2113
; %bb.2082:
	s_cmp_lt_i32 s4, 24
	s_cbranch_scc1 .LBB159_2102
; %bb.2083:
	s_cmp_gt_i32 s4, 24
	s_cbranch_scc0 .LBB159_2091
; %bb.2084:
	s_wait_xcnt 0x0
	v_and_b32_e32 v0, 0x7fffffff, v10
	v_mov_b32_e32 v1, 0x80
	s_mov_b32 s8, exec_lo
	s_delay_alu instid0(VALU_DEP_2)
	v_cmpx_gt_u32_e32 0x47800000, v0
	s_cbranch_execz .LBB159_2090
; %bb.2085:
	v_cmp_lt_u32_e32 vcc_lo, 0x37ffffff, v0
	s_mov_b32 s9, 0
                                        ; implicit-def: $vgpr0
	s_and_saveexec_b32 s10, vcc_lo
	s_delay_alu instid0(SALU_CYCLE_1)
	s_xor_b32 s10, exec_lo, s10
	s_cbranch_execnz .LBB159_2484
; %bb.2086:
	s_and_not1_saveexec_b32 s10, s10
	s_cbranch_execnz .LBB159_2485
.LBB159_2087:
	s_or_b32 exec_lo, exec_lo, s10
	v_mov_b32_e32 v1, 0
	s_and_saveexec_b32 s10, s9
.LBB159_2088:
	v_lshrrev_b32_e32 v1, 24, v10
	s_delay_alu instid0(VALU_DEP_1)
	v_and_or_b32 v1, 0x80, v1, v0
.LBB159_2089:
	s_or_b32 exec_lo, exec_lo, s10
.LBB159_2090:
	s_delay_alu instid0(SALU_CYCLE_1)
	s_or_b32 exec_lo, exec_lo, s8
	s_mov_b32 s8, 0
	global_store_b8 v[8:9], v1, off
.LBB159_2091:
	s_and_b32 vcc_lo, exec_lo, s8
	s_cbranch_vccz .LBB159_2101
; %bb.2092:
	s_wait_xcnt 0x0
	v_and_b32_e32 v1, 0x7fffffff, v10
	s_mov_b32 s8, exec_lo
                                        ; implicit-def: $vgpr0
	s_delay_alu instid0(VALU_DEP_1)
	v_cmpx_gt_u32_e32 0x43f00000, v1
	s_xor_b32 s8, exec_lo, s8
	s_cbranch_execz .LBB159_2098
; %bb.2093:
	s_mov_b32 s9, exec_lo
                                        ; implicit-def: $vgpr0
	v_cmpx_lt_u32_e32 0x3c7fffff, v1
	s_xor_b32 s9, exec_lo, s9
; %bb.2094:
	v_bfe_u32 v0, v10, 20, 1
	s_delay_alu instid0(VALU_DEP_1) | instskip(NEXT) | instid1(VALU_DEP_1)
	v_add3_u32 v0, v10, v0, 0x407ffff
	v_and_b32_e32 v1, 0xff00000, v0
	v_lshrrev_b32_e32 v0, 20, v0
	s_delay_alu instid0(VALU_DEP_2) | instskip(NEXT) | instid1(VALU_DEP_2)
	v_cmp_ne_u32_e32 vcc_lo, 0x7f00000, v1
	v_cndmask_b32_e32 v0, 0x7e, v0, vcc_lo
; %bb.2095:
	s_and_not1_saveexec_b32 s9, s9
; %bb.2096:
	v_add_f32_e64 v0, 0x46800000, |v10|
; %bb.2097:
	s_or_b32 exec_lo, exec_lo, s9
                                        ; implicit-def: $vgpr1
.LBB159_2098:
	s_and_not1_saveexec_b32 s8, s8
; %bb.2099:
	v_mov_b32_e32 v0, 0x7f
	v_cmp_lt_u32_e32 vcc_lo, 0x7f800000, v1
	s_delay_alu instid0(VALU_DEP_2)
	v_cndmask_b32_e32 v0, 0x7e, v0, vcc_lo
; %bb.2100:
	s_or_b32 exec_lo, exec_lo, s8
	v_lshrrev_b32_e32 v1, 24, v10
	s_delay_alu instid0(VALU_DEP_1)
	v_and_or_b32 v0, 0x80, v1, v0
	global_store_b8 v[8:9], v0, off
.LBB159_2101:
	s_mov_b32 s8, 0
.LBB159_2102:
	s_delay_alu instid0(SALU_CYCLE_1)
	s_and_not1_b32 vcc_lo, exec_lo, s8
	s_cbranch_vccnz .LBB159_2112
; %bb.2103:
	s_wait_xcnt 0x0
	v_and_b32_e32 v1, 0x7fffffff, v10
	s_mov_b32 s8, exec_lo
                                        ; implicit-def: $vgpr0
	s_delay_alu instid0(VALU_DEP_1)
	v_cmpx_gt_u32_e32 0x47800000, v1
	s_xor_b32 s8, exec_lo, s8
	s_cbranch_execz .LBB159_2109
; %bb.2104:
	s_mov_b32 s9, exec_lo
                                        ; implicit-def: $vgpr0
	v_cmpx_lt_u32_e32 0x387fffff, v1
	s_xor_b32 s9, exec_lo, s9
; %bb.2105:
	v_bfe_u32 v0, v10, 21, 1
	s_delay_alu instid0(VALU_DEP_1) | instskip(NEXT) | instid1(VALU_DEP_1)
	v_add3_u32 v0, v10, v0, 0x80fffff
	v_lshrrev_b32_e32 v0, 21, v0
; %bb.2106:
	s_and_not1_saveexec_b32 s9, s9
; %bb.2107:
	v_add_f32_e64 v0, 0x43000000, |v10|
; %bb.2108:
	s_or_b32 exec_lo, exec_lo, s9
                                        ; implicit-def: $vgpr1
.LBB159_2109:
	s_and_not1_saveexec_b32 s8, s8
; %bb.2110:
	v_mov_b32_e32 v0, 0x7f
	v_cmp_lt_u32_e32 vcc_lo, 0x7f800000, v1
	s_delay_alu instid0(VALU_DEP_2)
	v_cndmask_b32_e32 v0, 0x7c, v0, vcc_lo
; %bb.2111:
	s_or_b32 exec_lo, exec_lo, s8
	v_lshrrev_b32_e32 v1, 24, v10
	s_delay_alu instid0(VALU_DEP_1)
	v_and_or_b32 v0, 0x80, v1, v0
	global_store_b8 v[8:9], v0, off
.LBB159_2112:
	s_mov_b32 s8, 0
.LBB159_2113:
	s_delay_alu instid0(SALU_CYCLE_1)
	s_and_not1_b32 vcc_lo, exec_lo, s8
	s_mov_b32 s8, 0
	s_cbranch_vccnz .LBB159_2121
; %bb.2114:
	s_cmp_gt_i32 s4, 14
	s_mov_b32 s8, -1
	s_cbranch_scc0 .LBB159_2118
; %bb.2115:
	s_cmp_eq_u32 s4, 15
	s_mov_b32 s0, -1
	s_cbranch_scc0 .LBB159_2117
; %bb.2116:
	s_wait_xcnt 0x0
	v_bfe_u32 v0, v10, 16, 1
	v_cmp_o_f32_e32 vcc_lo, v10, v10
	s_mov_b32 s0, 0
	s_delay_alu instid0(VALU_DEP_2) | instskip(NEXT) | instid1(VALU_DEP_1)
	v_add3_u32 v0, v10, v0, 0x7fff
	v_lshrrev_b32_e32 v0, 16, v0
	s_delay_alu instid0(VALU_DEP_1)
	v_cndmask_b32_e32 v0, 0x7fc0, v0, vcc_lo
	global_store_b16 v[8:9], v0, off
.LBB159_2117:
	s_mov_b32 s8, 0
.LBB159_2118:
	s_delay_alu instid0(SALU_CYCLE_1)
	s_and_b32 vcc_lo, exec_lo, s8
	s_mov_b32 s8, 0
	s_cbranch_vccz .LBB159_2121
; %bb.2119:
	s_cmp_lg_u32 s4, 11
	s_mov_b32 s8, -1
	s_cselect_b32 s4, -1, 0
	s_and_not1_b32 s0, s0, exec_lo
	s_and_b32 s4, s4, exec_lo
	s_delay_alu instid0(SALU_CYCLE_1)
	s_or_b32 s0, s0, s4
	s_branch .LBB159_2121
.LBB159_2120:
	s_mov_b32 s8, 0
.LBB159_2121:
	s_and_b32 s9, s5, exec_lo
	s_and_not1_b32 s4, s46, exec_lo
	s_and_b32 s5, s0, exec_lo
	s_and_b32 s0, s8, exec_lo
	s_or_b32 s46, s4, s5
	s_wait_xcnt 0x0
	s_or_b32 exec_lo, exec_lo, s7
	s_and_saveexec_b32 s4, s46
	s_cbranch_execz .LBB159_2039
.LBB159_2122:
	s_or_b32 s1, s1, exec_lo
	s_and_not1_b32 s0, s0, exec_lo
	s_trap 2
	s_or_b32 exec_lo, exec_lo, s4
	s_and_saveexec_b32 s4, s0
	s_delay_alu instid0(SALU_CYCLE_1)
	s_xor_b32 s4, exec_lo, s4
	s_cbranch_execz .LBB159_2040
.LBB159_2123:
	s_wait_loadcnt 0x0
	v_cmp_neq_f32_e32 vcc_lo, 0, v10
	v_cmp_neq_f32_e64 s0, 0, v11
	s_or_b32 s0, vcc_lo, s0
	s_delay_alu instid0(SALU_CYCLE_1) | instskip(SKIP_4) | instid1(SALU_CYCLE_1)
	v_cndmask_b32_e64 v0, 0, 1, s0
	global_store_b8 v[8:9], v0, off
	s_wait_xcnt 0x0
	s_or_b32 exec_lo, exec_lo, s4
	s_and_saveexec_b32 s0, s9
	s_xor_b32 s0, exec_lo, s0
	s_cbranch_execz .LBB159_2161
.LBB159_2124:
	s_sext_i32_i16 s5, s6
	s_mov_b32 s4, -1
	s_cmp_lt_i32 s5, 5
	s_cbranch_scc1 .LBB159_2145
; %bb.2125:
	s_cmp_lt_i32 s5, 8
	s_cbranch_scc1 .LBB159_2135
; %bb.2126:
	;; [unrolled: 3-line block ×3, first 2 shown]
	s_cmp_gt_i32 s5, 9
	s_cbranch_scc0 .LBB159_2129
; %bb.2128:
	s_wait_loadcnt 0x0
	v_cvt_f64_f32_e32 v[0:1], v10
	v_cvt_f64_f32_e32 v[2:3], v11
	s_mov_b32 s4, 0
	global_store_b128 v[8:9], v[0:3], off
.LBB159_2129:
	s_and_not1_b32 vcc_lo, exec_lo, s4
	s_cbranch_vccnz .LBB159_2131
; %bb.2130:
	s_wait_loadcnt 0x0
	global_store_b64 v[8:9], v[10:11], off
.LBB159_2131:
	s_mov_b32 s4, 0
.LBB159_2132:
	s_delay_alu instid0(SALU_CYCLE_1)
	s_and_not1_b32 vcc_lo, exec_lo, s4
	s_cbranch_vccnz .LBB159_2134
; %bb.2133:
	s_wait_loadcnt 0x0
	v_cvt_f16_f32_e32 v0, v11
	v_cvt_f16_f32_e32 v1, v10
	s_delay_alu instid0(VALU_DEP_2) | instskip(NEXT) | instid1(VALU_DEP_2)
	v_lshlrev_b32_e32 v0, 16, v0
	v_and_b32_e32 v1, 0xffff, v1
	s_delay_alu instid0(VALU_DEP_1)
	v_or_b32_e32 v0, v0, v1
	global_store_b32 v[8:9], v0, off
.LBB159_2134:
	s_mov_b32 s4, 0
.LBB159_2135:
	s_delay_alu instid0(SALU_CYCLE_1)
	s_and_not1_b32 vcc_lo, exec_lo, s4
	s_cbranch_vccnz .LBB159_2144
; %bb.2136:
	s_sext_i32_i16 s5, s6
	s_mov_b32 s4, -1
	s_cmp_lt_i32 s5, 6
	s_cbranch_scc1 .LBB159_2142
; %bb.2137:
	s_cmp_gt_i32 s5, 6
	s_cbranch_scc0 .LBB159_2139
; %bb.2138:
	s_wait_loadcnt 0x0
	v_cvt_f64_f32_e32 v[0:1], v10
	s_mov_b32 s4, 0
	global_store_b64 v[8:9], v[0:1], off
.LBB159_2139:
	s_and_not1_b32 vcc_lo, exec_lo, s4
	s_cbranch_vccnz .LBB159_2141
; %bb.2140:
	s_wait_loadcnt 0x0
	global_store_b32 v[8:9], v10, off
.LBB159_2141:
	s_mov_b32 s4, 0
.LBB159_2142:
	s_delay_alu instid0(SALU_CYCLE_1)
	s_and_not1_b32 vcc_lo, exec_lo, s4
	s_cbranch_vccnz .LBB159_2144
; %bb.2143:
	s_wait_loadcnt 0x0
	v_cvt_f16_f32_e32 v0, v10
	global_store_b16 v[8:9], v0, off
.LBB159_2144:
	s_mov_b32 s4, 0
.LBB159_2145:
	s_delay_alu instid0(SALU_CYCLE_1)
	s_and_not1_b32 vcc_lo, exec_lo, s4
	s_cbranch_vccnz .LBB159_2161
; %bb.2146:
	s_sext_i32_i16 s5, s6
	s_mov_b32 s4, -1
	s_cmp_lt_i32 s5, 2
	s_cbranch_scc1 .LBB159_2156
; %bb.2147:
	s_cmp_lt_i32 s5, 3
	s_cbranch_scc1 .LBB159_2153
; %bb.2148:
	s_cmp_gt_i32 s5, 3
	s_cbranch_scc0 .LBB159_2150
; %bb.2149:
	s_wait_loadcnt 0x0
	v_trunc_f32_e32 v0, v10
	s_mov_b32 s4, 0
	s_delay_alu instid0(VALU_DEP_1) | instskip(NEXT) | instid1(VALU_DEP_1)
	v_mul_f32_e64 v1, 0x2f800000, |v0|
	v_floor_f32_e32 v1, v1
	s_delay_alu instid0(VALU_DEP_1) | instskip(SKIP_2) | instid1(VALU_DEP_3)
	v_fma_f32 v2, 0xcf800000, v1, |v0|
	v_ashrrev_i32_e32 v0, 31, v0
	v_cvt_u32_f32_e32 v3, v1
	v_cvt_u32_f32_e32 v2, v2
	s_delay_alu instid0(VALU_DEP_2) | instskip(NEXT) | instid1(VALU_DEP_2)
	v_dual_mov_b32 v1, v0 :: v_dual_bitop2_b32 v3, v3, v0 bitop3:0x14
	v_xor_b32_e32 v2, v2, v0
	s_delay_alu instid0(VALU_DEP_1)
	v_sub_nc_u64_e32 v[0:1], v[2:3], v[0:1]
	global_store_b64 v[8:9], v[0:1], off
.LBB159_2150:
	s_and_not1_b32 vcc_lo, exec_lo, s4
	s_cbranch_vccnz .LBB159_2152
; %bb.2151:
	s_wait_loadcnt 0x0
	v_cvt_i32_f32_e32 v0, v10
	global_store_b32 v[8:9], v0, off
.LBB159_2152:
	s_mov_b32 s4, 0
.LBB159_2153:
	s_delay_alu instid0(SALU_CYCLE_1)
	s_and_not1_b32 vcc_lo, exec_lo, s4
	s_cbranch_vccnz .LBB159_2155
; %bb.2154:
	s_wait_loadcnt 0x0
	v_cvt_i32_f32_e32 v0, v10
	global_store_b16 v[8:9], v0, off
.LBB159_2155:
	s_mov_b32 s4, 0
.LBB159_2156:
	s_delay_alu instid0(SALU_CYCLE_1)
	s_and_not1_b32 vcc_lo, exec_lo, s4
	s_cbranch_vccnz .LBB159_2161
; %bb.2157:
	s_sext_i32_i16 s4, s6
	s_delay_alu instid0(SALU_CYCLE_1)
	s_cmp_gt_i32 s4, 0
	s_mov_b32 s4, -1
	s_cbranch_scc0 .LBB159_2159
; %bb.2158:
	s_wait_loadcnt 0x0
	v_cvt_i32_f32_e32 v0, v10
	s_mov_b32 s4, 0
	global_store_b8 v[8:9], v0, off
.LBB159_2159:
	s_and_not1_b32 vcc_lo, exec_lo, s4
	s_cbranch_vccnz .LBB159_2161
; %bb.2160:
	s_wait_loadcnt 0x0
	v_trunc_f32_e32 v0, v10
	s_delay_alu instid0(VALU_DEP_1) | instskip(NEXT) | instid1(VALU_DEP_1)
	v_mul_f32_e64 v1, 0x2f800000, |v0|
	v_floor_f32_e32 v1, v1
	s_delay_alu instid0(VALU_DEP_1) | instskip(SKIP_1) | instid1(VALU_DEP_2)
	v_fma_f32 v1, 0xcf800000, v1, |v0|
	v_ashrrev_i32_e32 v0, 31, v0
	v_cvt_u32_f32_e32 v1, v1
	s_delay_alu instid0(VALU_DEP_1) | instskip(NEXT) | instid1(VALU_DEP_1)
	v_xor_b32_e32 v1, v1, v0
	v_sub_nc_u32_e32 v0, v1, v0
	global_store_b8 v[8:9], v0, off
.LBB159_2161:
	s_wait_xcnt 0x0
	s_or_b32 exec_lo, exec_lo, s0
	s_delay_alu instid0(SALU_CYCLE_1)
	s_and_b32 s12, s1, exec_lo
                                        ; implicit-def: $vgpr1
                                        ; implicit-def: $vgpr0
.LBB159_2162:
	s_or_saveexec_b32 s13, s41
	s_mov_b32 s4, 0
                                        ; implicit-def: $vgpr2_vgpr3
                                        ; implicit-def: $sgpr1
                                        ; implicit-def: $vgpr4_vgpr5
	s_xor_b32 exec_lo, exec_lo, s13
	s_cbranch_execz .LBB159_4273
; %bb.2163:
	v_cndmask_b32_e64 v3, 0, 1, s40
	s_and_not1_b32 vcc_lo, exec_lo, s40
	s_cbranch_vccnz .LBB159_2169
; %bb.2164:
	s_cmp_lg_u32 s33, 0
	s_mov_b32 s6, 0
	s_cbranch_scc0 .LBB159_2173
; %bb.2165:
	s_min_u32 s7, s38, 15
	s_wait_loadcnt 0x0
	v_dual_mov_b32 v14, 0 :: v_dual_mov_b32 v2, v0
	v_dual_mov_b32 v20, 0 :: v_dual_mov_b32 v6, 0
	v_mov_b32_e32 v8, 0
	s_add_co_i32 s4, s7, 1
	s_mov_b64 s[0:1], 0xffffffffffffffe0
	s_and_b32 s8, s4, 30
	s_add_nc_u64 s[0:1], s[2:3], s[0:1]
	s_mov_b64 s[4:5], s[2:3]
.LBB159_2166:                           ; =>This Inner Loop Header: Depth=1
	s_clause 0x1
	s_load_b128 s[24:27], s[4:5], 0x4
	s_load_b64 s[10:11], s[4:5], 0x14
	s_load_b256 s[16:23], s[0:1], 0xe4
	s_add_co_i32 s8, s8, -2
	s_wait_xcnt 0x0
	s_add_nc_u64 s[4:5], s[4:5], 24
	s_cmp_lg_u32 s8, 0
	s_add_nc_u64 s[0:1], s[0:1], 32
	s_wait_kmcnt 0x0
	v_mul_hi_u32 v4, s25, v2
	s_delay_alu instid0(VALU_DEP_1) | instskip(NEXT) | instid1(VALU_DEP_1)
	v_add_nc_u32_e32 v4, v2, v4
	v_lshrrev_b32_e32 v4, s26, v4
	s_delay_alu instid0(VALU_DEP_1) | instskip(SKIP_1) | instid1(VALU_DEP_1)
	v_mul_hi_u32 v5, s10, v4
	v_mul_lo_u32 v7, v4, s24
	v_dual_add_nc_u32 v5, v4, v5 :: v_dual_sub_nc_u32 v7, v2, v7
	s_delay_alu instid0(VALU_DEP_1) | instskip(NEXT) | instid1(VALU_DEP_2)
	v_lshrrev_b32_e32 v2, s11, v5
	v_mad_u32 v8, v7, s17, v8
	v_mad_u32 v6, v7, s16, v6
	v_mad_u32 v9, v7, s19, v20
	v_mad_u32 v7, v7, s18, v14
	v_mul_lo_u32 v5, v2, s27
	s_delay_alu instid0(VALU_DEP_1) | instskip(NEXT) | instid1(VALU_DEP_1)
	v_sub_nc_u32_e32 v4, v4, v5
	v_mad_u32 v8, v4, s21, v8
	v_mad_u32 v6, v4, s20, v6
	;; [unrolled: 1-line block ×4, first 2 shown]
	s_cbranch_scc1 .LBB159_2166
; %bb.2167:
	s_bitcmp1_b32 s7, 0
	s_cselect_b32 s7, -1, 0
	s_delay_alu instid0(SALU_CYCLE_1)
	s_and_b32 vcc_lo, exec_lo, s7
	s_cbranch_vccnz .LBB159_2170
; %bb.2168:
	s_load_b96 s[16:18], s[4:5], 0x4
	s_load_b128 s[8:11], s[0:1], 0xe4
	s_wait_kmcnt 0x0
	v_mul_hi_u32 v4, s17, v2
	s_delay_alu instid0(VALU_DEP_1) | instskip(NEXT) | instid1(VALU_DEP_1)
	v_add_nc_u32_e32 v4, v2, v4
	v_lshrrev_b32_e32 v4, s18, v4
	s_delay_alu instid0(VALU_DEP_1) | instskip(NEXT) | instid1(VALU_DEP_1)
	v_mul_lo_u32 v4, v4, s16
	v_sub_nc_u32_e32 v2, v2, v4
	s_delay_alu instid0(VALU_DEP_1)
	v_mad_u32 v6, v2, s8, v6
	v_mad_u32 v8, v2, s9, v8
	;; [unrolled: 1-line block ×4, first 2 shown]
	s_and_not1_b32 vcc_lo, exec_lo, s6
	s_cbranch_vccz .LBB159_2171
	s_branch .LBB159_2174
.LBB159_2169:
	s_mov_b32 s6, -1
                                        ; implicit-def: $vgpr8
                                        ; implicit-def: $vgpr6
                                        ; implicit-def: $vgpr20
                                        ; implicit-def: $vgpr14
.LBB159_2170:
	s_delay_alu instid0(SALU_CYCLE_1)
	s_and_not1_b32 vcc_lo, exec_lo, s6
	s_cbranch_vccnz .LBB159_2174
.LBB159_2171:
	s_clause 0x1
	s_load_b96 s[8:10], s[2:3], 0x4
	s_load_b128 s[4:7], s[2:3], 0xc4
	s_cmp_lt_u32 s33, 2
	s_wait_loadcnt 0x0
	s_wait_kmcnt 0x0
	v_mul_hi_u32 v2, s9, v0
	s_delay_alu instid0(VALU_DEP_1) | instskip(NEXT) | instid1(VALU_DEP_1)
	v_add_nc_u32_e32 v2, v0, v2
	v_lshrrev_b32_e32 v2, s10, v2
	s_delay_alu instid0(VALU_DEP_1) | instskip(NEXT) | instid1(VALU_DEP_1)
	v_mul_lo_u32 v4, v2, s8
	v_sub_nc_u32_e32 v4, v0, v4
	s_delay_alu instid0(VALU_DEP_1)
	v_mul_lo_u32 v8, v4, s5
	v_mul_lo_u32 v6, v4, s4
	;; [unrolled: 1-line block ×4, first 2 shown]
	s_cbranch_scc1 .LBB159_2174
; %bb.2172:
	s_clause 0x1
	s_load_b96 s[8:10], s[2:3], 0x10
	s_load_b128 s[4:7], s[2:3], 0xd4
	s_wait_kmcnt 0x0
	v_mul_hi_u32 v4, s9, v2
	s_delay_alu instid0(VALU_DEP_1) | instskip(NEXT) | instid1(VALU_DEP_1)
	v_add_nc_u32_e32 v4, v2, v4
	v_lshrrev_b32_e32 v4, s10, v4
	s_delay_alu instid0(VALU_DEP_1) | instskip(NEXT) | instid1(VALU_DEP_1)
	v_mul_lo_u32 v4, v4, s8
	v_sub_nc_u32_e32 v2, v2, v4
	s_delay_alu instid0(VALU_DEP_1)
	v_mad_u32 v6, v2, s4, v6
	v_mad_u32 v8, v2, s5, v8
	;; [unrolled: 1-line block ×4, first 2 shown]
	s_branch .LBB159_2174
.LBB159_2173:
	v_dual_mov_b32 v8, 0 :: v_dual_mov_b32 v6, 0
	v_dual_mov_b32 v20, 0 :: v_dual_mov_b32 v14, 0
	s_and_not1_b32 vcc_lo, exec_lo, s6
	s_cbranch_vccz .LBB159_2171
.LBB159_2174:
	v_cmp_ne_u32_e32 vcc_lo, 1, v3
	s_wait_loadcnt 0x0
	v_add_nc_u32_e32 v2, 0x80, v0
	s_cbranch_vccnz .LBB159_2180
; %bb.2175:
	s_cmp_lg_u32 s33, 0
	s_mov_b32 s6, 0
	s_cbranch_scc0 .LBB159_2184
; %bb.2176:
	s_min_u32 s7, s38, 15
	v_dual_mov_b32 v26, 0 :: v_dual_mov_b32 v5, v2
	v_dual_mov_b32 v30, 0 :: v_dual_mov_b32 v4, 0
	v_mov_b32_e32 v18, 0
	s_add_co_i32 s4, s7, 1
	s_mov_b64 s[0:1], 0xffffffffffffffe0
	s_and_b32 s8, s4, 30
	s_add_nc_u64 s[0:1], s[2:3], s[0:1]
	s_mov_b64 s[4:5], s[2:3]
.LBB159_2177:                           ; =>This Inner Loop Header: Depth=1
	s_clause 0x1
	s_load_b128 s[24:27], s[4:5], 0x4
	s_load_b64 s[10:11], s[4:5], 0x14
	s_load_b256 s[16:23], s[0:1], 0xe4
	s_add_co_i32 s8, s8, -2
	s_wait_xcnt 0x0
	s_add_nc_u64 s[4:5], s[4:5], 24
	s_cmp_lg_u32 s8, 0
	s_add_nc_u64 s[0:1], s[0:1], 32
	s_wait_kmcnt 0x0
	v_mul_hi_u32 v7, s25, v5
	s_delay_alu instid0(VALU_DEP_1) | instskip(NEXT) | instid1(VALU_DEP_1)
	v_add_nc_u32_e32 v7, v5, v7
	v_lshrrev_b32_e32 v7, s26, v7
	s_delay_alu instid0(VALU_DEP_1) | instskip(SKIP_1) | instid1(VALU_DEP_1)
	v_mul_hi_u32 v9, s10, v7
	v_mul_lo_u32 v10, v7, s24
	v_dual_add_nc_u32 v9, v7, v9 :: v_dual_sub_nc_u32 v10, v5, v10
	s_delay_alu instid0(VALU_DEP_1) | instskip(NEXT) | instid1(VALU_DEP_2)
	v_lshrrev_b32_e32 v5, s11, v9
	v_mad_u32 v11, v10, s17, v18
	v_mad_u32 v4, v10, s16, v4
	;; [unrolled: 1-line block ×4, first 2 shown]
	v_mul_lo_u32 v9, v5, s27
	s_delay_alu instid0(VALU_DEP_1) | instskip(NEXT) | instid1(VALU_DEP_1)
	v_sub_nc_u32_e32 v7, v7, v9
	v_mad_u32 v18, v7, s21, v11
	v_mad_u32 v4, v7, s20, v4
	;; [unrolled: 1-line block ×4, first 2 shown]
	s_cbranch_scc1 .LBB159_2177
; %bb.2178:
	s_bitcmp1_b32 s7, 0
	s_cselect_b32 s7, -1, 0
	s_delay_alu instid0(SALU_CYCLE_1)
	s_and_b32 vcc_lo, exec_lo, s7
	s_cbranch_vccnz .LBB159_2181
; %bb.2179:
	s_load_b96 s[16:18], s[4:5], 0x4
	s_load_b128 s[8:11], s[0:1], 0xe4
	s_wait_kmcnt 0x0
	v_mul_hi_u32 v7, s17, v5
	s_delay_alu instid0(VALU_DEP_1) | instskip(NEXT) | instid1(VALU_DEP_1)
	v_add_nc_u32_e32 v7, v5, v7
	v_lshrrev_b32_e32 v7, s18, v7
	s_delay_alu instid0(VALU_DEP_1) | instskip(NEXT) | instid1(VALU_DEP_1)
	v_mul_lo_u32 v7, v7, s16
	v_sub_nc_u32_e32 v5, v5, v7
	s_delay_alu instid0(VALU_DEP_1)
	v_mad_u32 v4, v5, s8, v4
	v_mad_u32 v18, v5, s9, v18
	;; [unrolled: 1-line block ×4, first 2 shown]
	s_and_not1_b32 vcc_lo, exec_lo, s6
	s_cbranch_vccz .LBB159_2182
	s_branch .LBB159_2185
.LBB159_2180:
	s_mov_b32 s6, -1
                                        ; implicit-def: $vgpr18
                                        ; implicit-def: $vgpr4
                                        ; implicit-def: $vgpr30
                                        ; implicit-def: $vgpr26
.LBB159_2181:
	s_delay_alu instid0(SALU_CYCLE_1)
	s_and_not1_b32 vcc_lo, exec_lo, s6
	s_cbranch_vccnz .LBB159_2185
.LBB159_2182:
	s_clause 0x1
	s_load_b96 s[8:10], s[2:3], 0x4
	s_load_b128 s[4:7], s[2:3], 0xc4
	s_cmp_lt_u32 s33, 2
	s_wait_kmcnt 0x0
	v_mul_hi_u32 v4, s9, v2
	s_delay_alu instid0(VALU_DEP_1) | instskip(NEXT) | instid1(VALU_DEP_1)
	v_add_nc_u32_e32 v4, v2, v4
	v_lshrrev_b32_e32 v5, s10, v4
	s_delay_alu instid0(VALU_DEP_1) | instskip(NEXT) | instid1(VALU_DEP_1)
	v_mul_lo_u32 v4, v5, s8
	v_sub_nc_u32_e32 v2, v2, v4
	s_delay_alu instid0(VALU_DEP_1)
	v_mul_lo_u32 v18, v2, s5
	v_mul_lo_u32 v4, v2, s4
	;; [unrolled: 1-line block ×4, first 2 shown]
	s_cbranch_scc1 .LBB159_2185
; %bb.2183:
	s_clause 0x1
	s_load_b96 s[8:10], s[2:3], 0x10
	s_load_b128 s[4:7], s[2:3], 0xd4
	s_wait_kmcnt 0x0
	v_mul_hi_u32 v2, s9, v5
	s_delay_alu instid0(VALU_DEP_1) | instskip(NEXT) | instid1(VALU_DEP_1)
	v_add_nc_u32_e32 v2, v5, v2
	v_lshrrev_b32_e32 v2, s10, v2
	s_delay_alu instid0(VALU_DEP_1) | instskip(NEXT) | instid1(VALU_DEP_1)
	v_mul_lo_u32 v2, v2, s8
	v_sub_nc_u32_e32 v2, v5, v2
	s_delay_alu instid0(VALU_DEP_1)
	v_mad_u32 v4, v2, s4, v4
	v_mad_u32 v18, v2, s5, v18
	;; [unrolled: 1-line block ×4, first 2 shown]
	s_branch .LBB159_2185
.LBB159_2184:
	v_dual_mov_b32 v18, 0 :: v_dual_mov_b32 v4, 0
	v_dual_mov_b32 v30, 0 :: v_dual_mov_b32 v26, 0
	s_and_not1_b32 vcc_lo, exec_lo, s6
	s_cbranch_vccz .LBB159_2182
.LBB159_2185:
	v_cmp_ne_u32_e32 vcc_lo, 1, v3
	v_add_nc_u32_e32 v0, 0x100, v0
	s_cbranch_vccnz .LBB159_2191
; %bb.2186:
	s_cmp_lg_u32 s33, 0
	s_mov_b32 s6, 0
	s_cbranch_scc0 .LBB159_2195
; %bb.2187:
	s_min_u32 s7, s38, 15
	v_dual_mov_b32 v34, 0 :: v_dual_mov_b32 v5, v0
	v_dual_mov_b32 v28, 0 :: v_dual_mov_b32 v2, 0
	v_mov_b32_e32 v32, 0
	s_add_co_i32 s4, s7, 1
	s_mov_b64 s[0:1], 0xffffffffffffffe0
	s_and_b32 s8, s4, 30
	s_add_nc_u64 s[0:1], s[2:3], s[0:1]
	s_mov_b64 s[4:5], s[2:3]
.LBB159_2188:                           ; =>This Inner Loop Header: Depth=1
	s_clause 0x1
	s_load_b128 s[24:27], s[4:5], 0x4
	s_load_b64 s[10:11], s[4:5], 0x14
	s_load_b256 s[16:23], s[0:1], 0xe4
	s_add_co_i32 s8, s8, -2
	s_wait_xcnt 0x0
	s_add_nc_u64 s[4:5], s[4:5], 24
	s_cmp_lg_u32 s8, 0
	s_add_nc_u64 s[0:1], s[0:1], 32
	s_wait_kmcnt 0x0
	v_mul_hi_u32 v7, s25, v5
	s_delay_alu instid0(VALU_DEP_1) | instskip(NEXT) | instid1(VALU_DEP_1)
	v_add_nc_u32_e32 v7, v5, v7
	v_lshrrev_b32_e32 v7, s26, v7
	s_delay_alu instid0(VALU_DEP_1) | instskip(SKIP_1) | instid1(VALU_DEP_1)
	v_mul_hi_u32 v9, s10, v7
	v_mul_lo_u32 v10, v7, s24
	v_dual_add_nc_u32 v9, v7, v9 :: v_dual_sub_nc_u32 v10, v5, v10
	s_delay_alu instid0(VALU_DEP_1) | instskip(NEXT) | instid1(VALU_DEP_2)
	v_lshrrev_b32_e32 v5, s11, v9
	v_mad_u32 v11, v10, s17, v32
	v_mad_u32 v2, v10, s16, v2
	;; [unrolled: 1-line block ×4, first 2 shown]
	v_mul_lo_u32 v9, v5, s27
	s_delay_alu instid0(VALU_DEP_1) | instskip(NEXT) | instid1(VALU_DEP_1)
	v_sub_nc_u32_e32 v7, v7, v9
	v_mad_u32 v32, v7, s21, v11
	v_mad_u32 v2, v7, s20, v2
	;; [unrolled: 1-line block ×4, first 2 shown]
	s_cbranch_scc1 .LBB159_2188
; %bb.2189:
	s_bitcmp1_b32 s7, 0
	s_cselect_b32 s7, -1, 0
	s_delay_alu instid0(SALU_CYCLE_1)
	s_and_b32 vcc_lo, exec_lo, s7
	s_cbranch_vccnz .LBB159_2192
; %bb.2190:
	s_load_b96 s[16:18], s[4:5], 0x4
	s_load_b128 s[8:11], s[0:1], 0xe4
	s_wait_kmcnt 0x0
	v_mul_hi_u32 v7, s17, v5
	s_delay_alu instid0(VALU_DEP_1) | instskip(NEXT) | instid1(VALU_DEP_1)
	v_add_nc_u32_e32 v7, v5, v7
	v_lshrrev_b32_e32 v7, s18, v7
	s_delay_alu instid0(VALU_DEP_1) | instskip(NEXT) | instid1(VALU_DEP_1)
	v_mul_lo_u32 v7, v7, s16
	v_sub_nc_u32_e32 v5, v5, v7
	s_delay_alu instid0(VALU_DEP_1)
	v_mad_u32 v2, v5, s8, v2
	v_mad_u32 v32, v5, s9, v32
	;; [unrolled: 1-line block ×4, first 2 shown]
	s_and_not1_b32 vcc_lo, exec_lo, s6
	s_cbranch_vccz .LBB159_2193
	s_branch .LBB159_2196
.LBB159_2191:
	s_mov_b32 s6, -1
                                        ; implicit-def: $vgpr32
                                        ; implicit-def: $vgpr2
                                        ; implicit-def: $vgpr28
                                        ; implicit-def: $vgpr34
.LBB159_2192:
	s_delay_alu instid0(SALU_CYCLE_1)
	s_and_not1_b32 vcc_lo, exec_lo, s6
	s_cbranch_vccnz .LBB159_2196
.LBB159_2193:
	s_clause 0x1
	s_load_b96 s[8:10], s[2:3], 0x4
	s_load_b128 s[4:7], s[2:3], 0xc4
	s_cmp_lt_u32 s33, 2
	s_wait_kmcnt 0x0
	v_mul_hi_u32 v2, s9, v0
	s_delay_alu instid0(VALU_DEP_1) | instskip(NEXT) | instid1(VALU_DEP_1)
	v_add_nc_u32_e32 v2, v0, v2
	v_lshrrev_b32_e32 v5, s10, v2
	s_delay_alu instid0(VALU_DEP_1) | instskip(NEXT) | instid1(VALU_DEP_1)
	v_mul_lo_u32 v2, v5, s8
	v_sub_nc_u32_e32 v0, v0, v2
	s_delay_alu instid0(VALU_DEP_1)
	v_mul_lo_u32 v32, v0, s5
	v_mul_lo_u32 v2, v0, s4
	;; [unrolled: 1-line block ×4, first 2 shown]
	s_cbranch_scc1 .LBB159_2196
; %bb.2194:
	s_clause 0x1
	s_load_b96 s[8:10], s[2:3], 0x10
	s_load_b128 s[4:7], s[2:3], 0xd4
	s_wait_kmcnt 0x0
	v_mul_hi_u32 v0, s9, v5
	s_delay_alu instid0(VALU_DEP_1) | instskip(NEXT) | instid1(VALU_DEP_1)
	v_add_nc_u32_e32 v0, v5, v0
	v_lshrrev_b32_e32 v0, s10, v0
	s_delay_alu instid0(VALU_DEP_1) | instskip(NEXT) | instid1(VALU_DEP_1)
	v_mul_lo_u32 v0, v0, s8
	v_sub_nc_u32_e32 v0, v5, v0
	s_delay_alu instid0(VALU_DEP_1)
	v_mad_u32 v2, v0, s4, v2
	v_mad_u32 v32, v0, s5, v32
	v_mad_u32 v34, v0, s6, v34
	v_mad_u32 v28, v0, s7, v28
	s_branch .LBB159_2196
.LBB159_2195:
	v_dual_mov_b32 v32, 0 :: v_dual_mov_b32 v2, 0
	v_dual_mov_b32 v28, 0 :: v_dual_mov_b32 v34, 0
	s_and_not1_b32 vcc_lo, exec_lo, s6
	s_cbranch_vccz .LBB159_2193
.LBB159_2196:
	v_cmp_ne_u32_e32 vcc_lo, 1, v3
	s_cbranch_vccnz .LBB159_2202
; %bb.2197:
	s_cmp_lg_u32 s33, 0
	s_mov_b32 s6, 0
	s_cbranch_scc0 .LBB159_2206
; %bb.2198:
	s_min_u32 s7, s38, 15
	v_dual_mov_b32 v16, 0 :: v_dual_mov_b32 v3, v1
	v_dual_mov_b32 v12, 0 :: v_dual_mov_b32 v0, 0
	v_mov_b32_e32 v24, 0
	s_add_co_i32 s4, s7, 1
	s_mov_b64 s[0:1], 0xffffffffffffffe0
	s_and_b32 s8, s4, 30
	s_add_nc_u64 s[0:1], s[2:3], s[0:1]
	s_mov_b64 s[4:5], s[2:3]
.LBB159_2199:                           ; =>This Inner Loop Header: Depth=1
	s_clause 0x1
	s_load_b128 s[24:27], s[4:5], 0x4
	s_load_b64 s[10:11], s[4:5], 0x14
	s_load_b256 s[16:23], s[0:1], 0xe4
	s_add_co_i32 s8, s8, -2
	s_wait_xcnt 0x0
	s_add_nc_u64 s[4:5], s[4:5], 24
	s_cmp_lg_u32 s8, 0
	s_add_nc_u64 s[0:1], s[0:1], 32
	s_wait_kmcnt 0x0
	v_mul_hi_u32 v5, s25, v3
	s_delay_alu instid0(VALU_DEP_1) | instskip(NEXT) | instid1(VALU_DEP_1)
	v_add_nc_u32_e32 v5, v3, v5
	v_lshrrev_b32_e32 v5, s26, v5
	s_delay_alu instid0(VALU_DEP_1) | instskip(SKIP_1) | instid1(VALU_DEP_1)
	v_mul_hi_u32 v7, s10, v5
	v_mul_lo_u32 v9, v5, s24
	v_dual_add_nc_u32 v7, v5, v7 :: v_dual_sub_nc_u32 v9, v3, v9
	s_delay_alu instid0(VALU_DEP_1) | instskip(NEXT) | instid1(VALU_DEP_2)
	v_lshrrev_b32_e32 v3, s11, v7
	v_mad_u32 v10, v9, s17, v24
	v_mad_u32 v0, v9, s16, v0
	;; [unrolled: 1-line block ×4, first 2 shown]
	v_mul_lo_u32 v7, v3, s27
	s_delay_alu instid0(VALU_DEP_1) | instskip(NEXT) | instid1(VALU_DEP_1)
	v_sub_nc_u32_e32 v5, v5, v7
	v_mad_u32 v24, v5, s21, v10
	v_mad_u32 v0, v5, s20, v0
	;; [unrolled: 1-line block ×4, first 2 shown]
	s_cbranch_scc1 .LBB159_2199
; %bb.2200:
	s_bitcmp1_b32 s7, 0
	s_cselect_b32 s7, -1, 0
	s_delay_alu instid0(SALU_CYCLE_1)
	s_and_b32 vcc_lo, exec_lo, s7
	s_cbranch_vccnz .LBB159_2203
; %bb.2201:
	s_load_b96 s[16:18], s[4:5], 0x4
	s_load_b128 s[8:11], s[0:1], 0xe4
	s_wait_kmcnt 0x0
	v_mul_hi_u32 v5, s17, v3
	s_delay_alu instid0(VALU_DEP_1) | instskip(NEXT) | instid1(VALU_DEP_1)
	v_add_nc_u32_e32 v5, v3, v5
	v_lshrrev_b32_e32 v5, s18, v5
	s_delay_alu instid0(VALU_DEP_1) | instskip(NEXT) | instid1(VALU_DEP_1)
	v_mul_lo_u32 v5, v5, s16
	v_sub_nc_u32_e32 v3, v3, v5
	s_delay_alu instid0(VALU_DEP_1)
	v_mad_u32 v0, v3, s8, v0
	v_mad_u32 v24, v3, s9, v24
	;; [unrolled: 1-line block ×4, first 2 shown]
	s_and_not1_b32 vcc_lo, exec_lo, s6
	s_cbranch_vccz .LBB159_2204
	s_branch .LBB159_2207
.LBB159_2202:
	s_mov_b32 s6, -1
                                        ; implicit-def: $vgpr24
                                        ; implicit-def: $vgpr0
                                        ; implicit-def: $vgpr12
                                        ; implicit-def: $vgpr16
.LBB159_2203:
	s_delay_alu instid0(SALU_CYCLE_1)
	s_and_not1_b32 vcc_lo, exec_lo, s6
	s_cbranch_vccnz .LBB159_2207
.LBB159_2204:
	s_clause 0x1
	s_load_b96 s[8:10], s[2:3], 0x4
	s_load_b128 s[4:7], s[2:3], 0xc4
	s_cmp_lt_u32 s33, 2
	s_wait_kmcnt 0x0
	v_mul_hi_u32 v0, s9, v1
	s_delay_alu instid0(VALU_DEP_1) | instskip(NEXT) | instid1(VALU_DEP_1)
	v_add_nc_u32_e32 v0, v1, v0
	v_lshrrev_b32_e32 v3, s10, v0
	s_delay_alu instid0(VALU_DEP_1) | instskip(NEXT) | instid1(VALU_DEP_1)
	v_mul_lo_u32 v0, v3, s8
	v_sub_nc_u32_e32 v1, v1, v0
	s_delay_alu instid0(VALU_DEP_1)
	v_mul_lo_u32 v24, v1, s5
	v_mul_lo_u32 v0, v1, s4
	;; [unrolled: 1-line block ×4, first 2 shown]
	s_cbranch_scc1 .LBB159_2207
; %bb.2205:
	s_clause 0x1
	s_load_b96 s[8:10], s[2:3], 0x10
	s_load_b128 s[4:7], s[2:3], 0xd4
	s_wait_kmcnt 0x0
	v_mul_hi_u32 v1, s9, v3
	s_delay_alu instid0(VALU_DEP_1) | instskip(NEXT) | instid1(VALU_DEP_1)
	v_add_nc_u32_e32 v1, v3, v1
	v_lshrrev_b32_e32 v1, s10, v1
	s_delay_alu instid0(VALU_DEP_1) | instskip(NEXT) | instid1(VALU_DEP_1)
	v_mul_lo_u32 v1, v1, s8
	v_sub_nc_u32_e32 v1, v3, v1
	s_delay_alu instid0(VALU_DEP_1)
	v_mad_u32 v0, v1, s4, v0
	v_mad_u32 v24, v1, s5, v24
	v_mad_u32 v16, v1, s6, v16
	v_mad_u32 v12, v1, s7, v12
	s_branch .LBB159_2207
.LBB159_2206:
	v_dual_mov_b32 v24, 0 :: v_dual_mov_b32 v0, 0
	v_dual_mov_b32 v12, 0 :: v_dual_mov_b32 v16, 0
	s_and_not1_b32 vcc_lo, exec_lo, s6
	s_cbranch_vccz .LBB159_2204
.LBB159_2207:
	v_mov_b32_e32 v9, 0
	s_load_b128 s[4:7], s[2:3], 0x1c8
	global_load_u8 v1, v9, s[2:3] offset:505
	s_wait_kmcnt 0x0
	v_add_nc_u64_e32 v[22:23], s[6:7], v[8:9]
	s_wait_loadcnt 0x0
	v_and_b32_e32 v3, 0xffff, v1
	v_readfirstlane_b32 s10, v1
	s_delay_alu instid0(VALU_DEP_2)
	v_cmp_gt_i32_e32 vcc_lo, 11, v3
	s_cbranch_vccnz .LBB159_2214
; %bb.2208:
	s_and_b32 s0, 0xffff, s10
	s_mov_b32 s8, 0
	s_cmp_gt_i32 s0, 25
	s_cbranch_scc0 .LBB159_2216
; %bb.2209:
	s_cmp_gt_i32 s0, 28
	s_cbranch_scc0 .LBB159_2217
; %bb.2210:
	;; [unrolled: 3-line block ×4, first 2 shown]
	s_cmp_eq_u32 s0, 46
	s_mov_b32 s11, 0
	s_cbranch_scc0 .LBB159_2220
; %bb.2213:
	global_load_b32 v1, v[22:23], off
	s_mov_b32 s1, 0
	s_mov_b32 s9, -1
	s_wait_loadcnt 0x0
	v_and_b32_e32 v10, 0xffff0000, v1
	v_lshlrev_b32_e32 v8, 16, v1
	s_branch .LBB159_2222
.LBB159_2214:
	s_mov_b32 s9, 0
	s_mov_b32 s14, s12
                                        ; implicit-def: $vgpr10
                                        ; implicit-def: $vgpr8
	s_cbranch_execnz .LBB159_2284
.LBB159_2215:
	s_and_not1_b32 vcc_lo, exec_lo, s9
	s_cbranch_vccz .LBB159_2331
	s_branch .LBB159_4271
.LBB159_2216:
	s_mov_b32 s9, 0
	s_mov_b32 s1, 0
                                        ; implicit-def: $vgpr10
                                        ; implicit-def: $vgpr8
	s_cbranch_execnz .LBB159_2250
	s_branch .LBB159_2280
.LBB159_2217:
	s_mov_b32 s9, 0
	s_mov_b32 s1, 0
                                        ; implicit-def: $vgpr10
                                        ; implicit-def: $vgpr8
	s_cbranch_execnz .LBB159_2234
	s_branch .LBB159_2249
.LBB159_2218:
	s_mov_b32 s11, -1
	s_mov_b32 s9, 0
	s_mov_b32 s1, 0
                                        ; implicit-def: $vgpr10
                                        ; implicit-def: $vgpr8
	s_branch .LBB159_2228
.LBB159_2219:
	s_mov_b32 s11, -1
	s_mov_b32 s9, 0
	s_mov_b32 s1, 0
	s_branch .LBB159_2221
.LBB159_2220:
	s_mov_b32 s1, -1
	s_mov_b32 s9, 0
.LBB159_2221:
                                        ; implicit-def: $vgpr10
                                        ; implicit-def: $vgpr8
.LBB159_2222:
	s_and_b32 vcc_lo, exec_lo, s11
	s_cbranch_vccz .LBB159_2227
; %bb.2223:
	s_cmp_eq_u32 s0, 44
	s_cbranch_scc0 .LBB159_2225
; %bb.2224:
	global_load_u8 v1, v[22:23], off
	s_mov_b32 s1, 0
	s_mov_b32 s9, -1
	s_wait_loadcnt 0x0
	v_lshlrev_b32_e32 v3, 23, v1
	v_cmp_ne_u32_e32 vcc_lo, 0xff, v1
	s_delay_alu instid0(VALU_DEP_2) | instskip(SKIP_1) | instid1(VALU_DEP_2)
	v_cndmask_b32_e32 v3, 0x7f800001, v3, vcc_lo
	v_cmp_ne_u32_e32 vcc_lo, 0, v1
	v_cndmask_b32_e32 v8, 0x400000, v3, vcc_lo
	s_branch .LBB159_2226
.LBB159_2225:
	s_mov_b32 s1, -1
                                        ; implicit-def: $vgpr8
.LBB159_2226:
	v_mov_b32_e32 v10, 0
.LBB159_2227:
	s_mov_b32 s11, 0
.LBB159_2228:
	s_delay_alu instid0(SALU_CYCLE_1)
	s_and_b32 vcc_lo, exec_lo, s11
	s_cbranch_vccz .LBB159_2233
; %bb.2229:
	s_cmp_eq_u32 s0, 29
	s_cbranch_scc0 .LBB159_2231
; %bb.2230:
	global_load_b64 v[8:9], v[22:23], off
	s_mov_b32 s1, 0
	s_mov_b32 s9, -1
	s_wait_loadcnt 0x0
	v_clz_i32_u32_e32 v1, v9
	s_delay_alu instid0(VALU_DEP_1) | instskip(NEXT) | instid1(VALU_DEP_1)
	v_min_u32_e32 v1, 32, v1
	v_lshlrev_b64_e32 v[8:9], v1, v[8:9]
	v_sub_nc_u32_e32 v1, 32, v1
	s_delay_alu instid0(VALU_DEP_2) | instskip(NEXT) | instid1(VALU_DEP_1)
	v_min_u32_e32 v3, 1, v8
	v_or_b32_e32 v3, v9, v3
	s_delay_alu instid0(VALU_DEP_1) | instskip(NEXT) | instid1(VALU_DEP_1)
	v_cvt_f32_u32_e32 v3, v3
	v_ldexp_f32 v8, v3, v1
	s_branch .LBB159_2232
.LBB159_2231:
	s_mov_b32 s1, -1
                                        ; implicit-def: $vgpr8
.LBB159_2232:
	v_mov_b32_e32 v10, 0
.LBB159_2233:
	s_branch .LBB159_2249
.LBB159_2234:
	s_cmp_lt_i32 s0, 27
	s_cbranch_scc1 .LBB159_2237
; %bb.2235:
	s_cmp_gt_i32 s0, 27
	s_cbranch_scc0 .LBB159_2238
; %bb.2236:
	global_load_b32 v1, v[22:23], off
	s_mov_b32 s9, 0
	s_wait_loadcnt 0x0
	v_cvt_f32_u32_e32 v8, v1
	s_branch .LBB159_2239
.LBB159_2237:
	s_mov_b32 s9, -1
                                        ; implicit-def: $vgpr8
	s_branch .LBB159_2242
.LBB159_2238:
	s_mov_b32 s9, -1
                                        ; implicit-def: $vgpr8
.LBB159_2239:
	s_delay_alu instid0(SALU_CYCLE_1)
	s_and_not1_b32 vcc_lo, exec_lo, s9
	s_cbranch_vccnz .LBB159_2241
; %bb.2240:
	global_load_u16 v1, v[22:23], off
	s_wait_loadcnt 0x0
	v_cvt_f32_u32_e32 v8, v1
.LBB159_2241:
	s_mov_b32 s9, 0
.LBB159_2242:
	s_delay_alu instid0(SALU_CYCLE_1)
	s_and_not1_b32 vcc_lo, exec_lo, s9
	s_cbranch_vccnz .LBB159_2248
; %bb.2243:
	global_load_u8 v1, v[22:23], off
	s_mov_b32 s9, 0
	s_mov_b32 s11, exec_lo
	s_wait_loadcnt 0x0
	v_cmpx_lt_i16_e32 0x7f, v1
	s_xor_b32 s11, exec_lo, s11
	s_cbranch_execnz .LBB159_2260
; %bb.2244:
	s_or_saveexec_b32 s11, s11
	v_mov_b32_e32 v8, 0x7f800001
	s_xor_b32 exec_lo, exec_lo, s11
	s_cbranch_execnz .LBB159_2263
.LBB159_2245:
	s_or_b32 exec_lo, exec_lo, s11
	s_and_saveexec_b32 s11, s9
	s_cbranch_execz .LBB159_2247
.LBB159_2246:
	v_and_b32_e32 v3, 0xffff, v1
	s_delay_alu instid0(VALU_DEP_1) | instskip(SKIP_1) | instid1(VALU_DEP_2)
	v_dual_lshlrev_b32 v1, 24, v1 :: v_dual_bitop2_b32 v5, 7, v3 bitop3:0x40
	v_bfe_u32 v9, v3, 3, 4
	v_and_b32_e32 v1, 0x80000000, v1
	s_delay_alu instid0(VALU_DEP_3) | instskip(NEXT) | instid1(VALU_DEP_3)
	v_clz_i32_u32_e32 v7, v5
	v_cmp_eq_u32_e32 vcc_lo, 0, v9
	s_delay_alu instid0(VALU_DEP_2) | instskip(NEXT) | instid1(VALU_DEP_1)
	v_min_u32_e32 v7, 32, v7
	v_subrev_nc_u32_e32 v8, 28, v7
	v_sub_nc_u32_e32 v7, 29, v7
	s_delay_alu instid0(VALU_DEP_2) | instskip(NEXT) | instid1(VALU_DEP_2)
	v_lshlrev_b32_e32 v3, v8, v3
	v_cndmask_b32_e32 v7, v9, v7, vcc_lo
	s_delay_alu instid0(VALU_DEP_2) | instskip(NEXT) | instid1(VALU_DEP_1)
	v_and_b32_e32 v3, 7, v3
	v_cndmask_b32_e32 v3, v5, v3, vcc_lo
	s_delay_alu instid0(VALU_DEP_3) | instskip(NEXT) | instid1(VALU_DEP_2)
	v_lshl_add_u32 v5, v7, 23, 0x3b800000
	v_lshlrev_b32_e32 v3, 20, v3
	s_delay_alu instid0(VALU_DEP_1)
	v_or3_b32 v8, v1, v5, v3
.LBB159_2247:
	s_or_b32 exec_lo, exec_lo, s11
.LBB159_2248:
	v_mov_b32_e32 v10, 0
	s_mov_b32 s9, -1
.LBB159_2249:
	s_branch .LBB159_2280
.LBB159_2250:
	s_cmp_gt_i32 s0, 22
	s_cbranch_scc0 .LBB159_2258
; %bb.2251:
	s_cmp_lt_i32 s0, 24
	s_cbranch_scc1 .LBB159_2259
; %bb.2252:
	s_cmp_gt_i32 s0, 24
	s_cbranch_scc0 .LBB159_2264
; %bb.2253:
	global_load_u8 v1, v[22:23], off
	s_mov_b32 s9, exec_lo
	s_wait_loadcnt 0x0
	v_cmpx_lt_i16_e32 0x7f, v1
	s_xor_b32 s9, exec_lo, s9
	s_cbranch_execnz .LBB159_2344
; %bb.2254:
	s_or_saveexec_b32 s9, s9
	v_mov_b32_e32 v8, 0x7f800001
	s_xor_b32 exec_lo, exec_lo, s9
	s_cbranch_execnz .LBB159_2347
.LBB159_2255:
	s_or_b32 exec_lo, exec_lo, s9
	s_and_saveexec_b32 s9, s8
	s_cbranch_execz .LBB159_2257
.LBB159_2256:
	v_and_b32_e32 v3, 0xffff, v1
	s_delay_alu instid0(VALU_DEP_1) | instskip(SKIP_1) | instid1(VALU_DEP_2)
	v_dual_lshlrev_b32 v1, 24, v1 :: v_dual_bitop2_b32 v5, 3, v3 bitop3:0x40
	v_bfe_u32 v9, v3, 2, 5
	v_and_b32_e32 v1, 0x80000000, v1
	s_delay_alu instid0(VALU_DEP_3) | instskip(NEXT) | instid1(VALU_DEP_3)
	v_clz_i32_u32_e32 v7, v5
	v_cmp_eq_u32_e32 vcc_lo, 0, v9
	s_delay_alu instid0(VALU_DEP_2) | instskip(NEXT) | instid1(VALU_DEP_1)
	v_min_u32_e32 v7, 32, v7
	v_subrev_nc_u32_e32 v8, 29, v7
	v_sub_nc_u32_e32 v7, 30, v7
	s_delay_alu instid0(VALU_DEP_2) | instskip(NEXT) | instid1(VALU_DEP_2)
	v_lshlrev_b32_e32 v3, v8, v3
	v_cndmask_b32_e32 v7, v9, v7, vcc_lo
	s_delay_alu instid0(VALU_DEP_2) | instskip(NEXT) | instid1(VALU_DEP_1)
	v_and_b32_e32 v3, 3, v3
	v_cndmask_b32_e32 v3, v5, v3, vcc_lo
	s_delay_alu instid0(VALU_DEP_3) | instskip(NEXT) | instid1(VALU_DEP_2)
	v_lshl_add_u32 v5, v7, 23, 0x37800000
	v_lshlrev_b32_e32 v3, 21, v3
	s_delay_alu instid0(VALU_DEP_1)
	v_or3_b32 v8, v1, v5, v3
.LBB159_2257:
	s_or_b32 exec_lo, exec_lo, s9
	s_mov_b32 s8, 0
	s_branch .LBB159_2265
.LBB159_2258:
                                        ; implicit-def: $vgpr8
	s_mov_b32 s8, 0
	s_branch .LBB159_2271
.LBB159_2259:
	s_mov_b32 s8, -1
                                        ; implicit-def: $vgpr8
	s_branch .LBB159_2268
.LBB159_2260:
	s_mov_b32 s9, -1
	s_mov_b32 s14, exec_lo
	v_cmpx_eq_u16_e32 0x80, v1
; %bb.2261:
	s_xor_b32 s9, exec_lo, -1
; %bb.2262:
	s_or_b32 exec_lo, exec_lo, s14
	s_delay_alu instid0(SALU_CYCLE_1)
	s_and_b32 s9, s9, exec_lo
	s_or_saveexec_b32 s11, s11
	v_mov_b32_e32 v8, 0x7f800001
	s_xor_b32 exec_lo, exec_lo, s11
	s_cbranch_execz .LBB159_2245
.LBB159_2263:
	v_cmp_ne_u16_e32 vcc_lo, 0, v1
	v_mov_b32_e32 v8, 0
	s_and_not1_b32 s9, s9, exec_lo
	s_and_b32 s14, vcc_lo, exec_lo
	s_delay_alu instid0(SALU_CYCLE_1)
	s_or_b32 s9, s9, s14
	s_or_b32 exec_lo, exec_lo, s11
	s_and_saveexec_b32 s11, s9
	s_cbranch_execnz .LBB159_2246
	s_branch .LBB159_2247
.LBB159_2264:
	s_mov_b32 s8, -1
                                        ; implicit-def: $vgpr8
.LBB159_2265:
	s_delay_alu instid0(SALU_CYCLE_1)
	s_and_b32 vcc_lo, exec_lo, s8
	s_cbranch_vccz .LBB159_2267
; %bb.2266:
	global_load_u8 v1, v[22:23], off
	s_wait_loadcnt 0x0
	v_lshlrev_b32_e32 v1, 24, v1
	s_delay_alu instid0(VALU_DEP_1) | instskip(NEXT) | instid1(VALU_DEP_1)
	v_and_b32_e32 v3, 0x7f000000, v1
	v_clz_i32_u32_e32 v5, v3
	v_cmp_ne_u32_e32 vcc_lo, 0, v3
	v_add_nc_u32_e32 v8, 0x1000000, v3
	s_delay_alu instid0(VALU_DEP_3) | instskip(NEXT) | instid1(VALU_DEP_1)
	v_min_u32_e32 v5, 32, v5
	v_sub_nc_u32_e64 v5, v5, 4 clamp
	s_delay_alu instid0(VALU_DEP_1) | instskip(NEXT) | instid1(VALU_DEP_1)
	v_dual_lshlrev_b32 v7, v5, v3 :: v_dual_lshlrev_b32 v5, 23, v5
	v_lshrrev_b32_e32 v7, 4, v7
	s_delay_alu instid0(VALU_DEP_1) | instskip(NEXT) | instid1(VALU_DEP_1)
	v_dual_sub_nc_u32 v5, v7, v5 :: v_dual_ashrrev_i32 v7, 8, v8
	v_add_nc_u32_e32 v5, 0x3c000000, v5
	s_delay_alu instid0(VALU_DEP_1) | instskip(NEXT) | instid1(VALU_DEP_1)
	v_and_or_b32 v5, 0x7f800000, v7, v5
	v_cndmask_b32_e32 v3, 0, v5, vcc_lo
	s_delay_alu instid0(VALU_DEP_1)
	v_and_or_b32 v8, 0x80000000, v1, v3
.LBB159_2267:
	s_mov_b32 s8, 0
.LBB159_2268:
	s_delay_alu instid0(SALU_CYCLE_1)
	s_and_not1_b32 vcc_lo, exec_lo, s8
	s_cbranch_vccnz .LBB159_2270
; %bb.2269:
	global_load_u8 v1, v[22:23], off
	s_wait_loadcnt 0x0
	v_lshlrev_b32_e32 v3, 25, v1
	v_lshlrev_b16 v1, 8, v1
	s_delay_alu instid0(VALU_DEP_1) | instskip(SKIP_1) | instid1(VALU_DEP_2)
	v_and_or_b32 v7, 0x7f00, v1, 0.5
	v_bfe_i32 v1, v1, 0, 16
	v_add_f32_e32 v7, -0.5, v7
	v_lshrrev_b32_e32 v5, 4, v3
	v_cmp_gt_u32_e32 vcc_lo, 0x8000000, v3
	s_delay_alu instid0(VALU_DEP_2) | instskip(NEXT) | instid1(VALU_DEP_1)
	v_or_b32_e32 v5, 0x70000000, v5
	v_mul_f32_e32 v5, 0x7800000, v5
	s_delay_alu instid0(VALU_DEP_1) | instskip(NEXT) | instid1(VALU_DEP_1)
	v_cndmask_b32_e32 v3, v5, v7, vcc_lo
	v_and_or_b32 v8, 0x80000000, v1, v3
.LBB159_2270:
	s_mov_b32 s9, -1
	s_mov_b32 s8, 0
	s_cbranch_execnz .LBB159_2279
.LBB159_2271:
	s_cmp_gt_i32 s0, 14
	s_cbranch_scc0 .LBB159_2274
; %bb.2272:
	s_cmp_eq_u32 s0, 15
	s_cbranch_scc0 .LBB159_2275
; %bb.2273:
	global_load_u16 v1, v[22:23], off
	s_mov_b32 s1, 0
	s_mov_b32 s9, -1
	s_wait_loadcnt 0x0
	v_lshlrev_b32_e32 v8, 16, v1
	s_branch .LBB159_2277
.LBB159_2274:
	s_mov_b32 s8, -1
	s_branch .LBB159_2276
.LBB159_2275:
	s_mov_b32 s1, -1
.LBB159_2276:
                                        ; implicit-def: $vgpr8
.LBB159_2277:
	s_and_b32 vcc_lo, exec_lo, s8
	s_mov_b32 s8, 0
	s_cbranch_vccz .LBB159_2279
; %bb.2278:
	s_cmp_lg_u32 s0, 11
	s_mov_b32 s8, -1
	s_cselect_b32 s1, -1, 0
.LBB159_2279:
	v_mov_b32_e32 v10, 0
.LBB159_2280:
	s_and_b32 vcc_lo, exec_lo, s1
	s_mov_b32 s14, s12
	s_cbranch_vccnz .LBB159_2343
; %bb.2281:
	s_and_not1_b32 vcc_lo, exec_lo, s8
	s_cbranch_vccnz .LBB159_2283
.LBB159_2282:
	global_load_u8 v1, v[22:23], off
	v_mov_b32_e32 v10, 0
	s_mov_b32 s9, -1
	s_wait_loadcnt 0x0
	v_cmp_ne_u16_e32 vcc_lo, 0, v1
	v_cndmask_b32_e64 v8, 0, 1.0, vcc_lo
.LBB159_2283:
	s_branch .LBB159_2215
.LBB159_2284:
	s_and_b32 s0, 0xffff, s10
	s_delay_alu instid0(SALU_CYCLE_1)
	s_cmp_lt_i32 s0, 5
	s_cbranch_scc1 .LBB159_2289
; %bb.2285:
	s_cmp_lt_i32 s0, 8
	s_cbranch_scc1 .LBB159_2291
; %bb.2286:
	;; [unrolled: 3-line block ×3, first 2 shown]
	s_cmp_gt_i32 s0, 9
	s_cbranch_scc0 .LBB159_2293
; %bb.2288:
	global_load_b128 v[8:11], v[22:23], off
	s_mov_b32 s1, 0
	s_wait_loadcnt 0x0
	v_cvt_f32_f64_e32 v8, v[8:9]
	v_cvt_f32_f64_e32 v10, v[10:11]
	s_branch .LBB159_2294
.LBB159_2289:
                                        ; implicit-def: $vgpr10
                                        ; implicit-def: $vgpr8
	s_branch .LBB159_2312
.LBB159_2290:
	s_branch .LBB159_2331
.LBB159_2291:
                                        ; implicit-def: $vgpr10
                                        ; implicit-def: $vgpr8
	s_branch .LBB159_2300
.LBB159_2292:
	s_mov_b32 s1, -1
                                        ; implicit-def: $vgpr10
                                        ; implicit-def: $vgpr8
	s_branch .LBB159_2297
.LBB159_2293:
	s_mov_b32 s1, -1
                                        ; implicit-def: $vgpr10
                                        ; implicit-def: $vgpr8
.LBB159_2294:
	s_delay_alu instid0(SALU_CYCLE_1)
	s_and_not1_b32 vcc_lo, exec_lo, s1
	s_cbranch_vccnz .LBB159_2296
; %bb.2295:
	global_load_b64 v[8:9], v[22:23], off
	s_wait_loadcnt 0x0
	v_mov_b32_e32 v10, v9
.LBB159_2296:
	s_mov_b32 s1, 0
.LBB159_2297:
	s_delay_alu instid0(SALU_CYCLE_1)
	s_and_not1_b32 vcc_lo, exec_lo, s1
	s_cbranch_vccnz .LBB159_2299
; %bb.2298:
	global_load_b32 v1, v[22:23], off
	s_wait_loadcnt 0x0
	v_lshrrev_b32_e32 v3, 16, v1
	v_cvt_f32_f16_e32 v8, v1
	s_delay_alu instid0(VALU_DEP_2)
	v_cvt_f32_f16_e32 v10, v3
.LBB159_2299:
	s_cbranch_execnz .LBB159_2311
.LBB159_2300:
	s_cmp_lt_i32 s0, 6
	s_cbranch_scc1 .LBB159_2303
; %bb.2301:
	s_cmp_gt_i32 s0, 6
	s_cbranch_scc0 .LBB159_2304
; %bb.2302:
	global_load_b64 v[8:9], v[22:23], off
	s_mov_b32 s1, 0
	s_wait_loadcnt 0x0
	v_cvt_f32_f64_e32 v8, v[8:9]
	s_branch .LBB159_2305
.LBB159_2303:
	s_mov_b32 s1, -1
                                        ; implicit-def: $vgpr8
	s_branch .LBB159_2308
.LBB159_2304:
	s_mov_b32 s1, -1
                                        ; implicit-def: $vgpr8
.LBB159_2305:
	s_delay_alu instid0(SALU_CYCLE_1)
	s_and_not1_b32 vcc_lo, exec_lo, s1
	s_cbranch_vccnz .LBB159_2307
; %bb.2306:
	global_load_b32 v8, v[22:23], off
.LBB159_2307:
	s_mov_b32 s1, 0
.LBB159_2308:
	s_delay_alu instid0(SALU_CYCLE_1)
	s_and_not1_b32 vcc_lo, exec_lo, s1
	s_cbranch_vccnz .LBB159_2310
; %bb.2309:
	global_load_u16 v1, v[22:23], off
	s_wait_loadcnt 0x0
	v_cvt_f32_f16_e32 v8, v1
.LBB159_2310:
	v_mov_b32_e32 v10, 0
.LBB159_2311:
	s_cbranch_execnz .LBB159_2290
.LBB159_2312:
	s_cmp_lt_i32 s0, 2
	s_cbranch_scc1 .LBB159_2316
; %bb.2313:
	s_cmp_lt_i32 s0, 3
	s_cbranch_scc1 .LBB159_2317
; %bb.2314:
	s_cmp_gt_i32 s0, 3
	s_cbranch_scc0 .LBB159_2318
; %bb.2315:
	s_wait_loadcnt 0x0
	global_load_b64 v[8:9], v[22:23], off
	s_mov_b32 s1, 0
	s_wait_loadcnt 0x0
	v_xor_b32_e32 v1, v8, v9
	v_cls_i32_e32 v3, v9
	s_delay_alu instid0(VALU_DEP_2) | instskip(NEXT) | instid1(VALU_DEP_1)
	v_ashrrev_i32_e32 v1, 31, v1
	v_add_nc_u32_e32 v1, 32, v1
	s_delay_alu instid0(VALU_DEP_1) | instskip(NEXT) | instid1(VALU_DEP_1)
	v_add_min_u32_e64 v1, v3, -1, v1
	v_lshlrev_b64_e32 v[8:9], v1, v[8:9]
	v_sub_nc_u32_e32 v1, 32, v1
	s_delay_alu instid0(VALU_DEP_2) | instskip(NEXT) | instid1(VALU_DEP_1)
	v_min_u32_e32 v3, 1, v8
	v_or_b32_e32 v3, v9, v3
	s_delay_alu instid0(VALU_DEP_1) | instskip(NEXT) | instid1(VALU_DEP_1)
	v_cvt_f32_i32_e32 v3, v3
	v_ldexp_f32 v8, v3, v1
	s_branch .LBB159_2319
.LBB159_2316:
                                        ; implicit-def: $vgpr8
	s_branch .LBB159_2325
.LBB159_2317:
	s_mov_b32 s1, -1
                                        ; implicit-def: $vgpr8
	s_branch .LBB159_2322
.LBB159_2318:
	s_mov_b32 s1, -1
                                        ; implicit-def: $vgpr8
.LBB159_2319:
	s_delay_alu instid0(SALU_CYCLE_1)
	s_and_not1_b32 vcc_lo, exec_lo, s1
	s_cbranch_vccnz .LBB159_2321
; %bb.2320:
	global_load_b32 v1, v[22:23], off
	s_wait_loadcnt 0x0
	v_cvt_f32_i32_e32 v8, v1
.LBB159_2321:
	s_mov_b32 s1, 0
.LBB159_2322:
	s_delay_alu instid0(SALU_CYCLE_1)
	s_and_not1_b32 vcc_lo, exec_lo, s1
	s_cbranch_vccnz .LBB159_2324
; %bb.2323:
	global_load_i16 v1, v[22:23], off
	s_wait_loadcnt 0x0
	v_cvt_f32_i32_e32 v8, v1
.LBB159_2324:
	s_cbranch_execnz .LBB159_2330
.LBB159_2325:
	s_cmp_gt_i32 s0, 0
	s_mov_b32 s0, 0
	s_cbranch_scc0 .LBB159_2327
; %bb.2326:
	global_load_i8 v1, v[22:23], off
	s_wait_loadcnt 0x0
	v_cvt_f32_i32_e32 v8, v1
	s_branch .LBB159_2328
.LBB159_2327:
	s_mov_b32 s0, -1
                                        ; implicit-def: $vgpr8
.LBB159_2328:
	s_delay_alu instid0(SALU_CYCLE_1)
	s_and_not1_b32 vcc_lo, exec_lo, s0
	s_cbranch_vccnz .LBB159_2330
; %bb.2329:
	global_load_u8 v1, v[22:23], off
	s_wait_loadcnt 0x0
	v_cvt_f32_ubyte0_e32 v8, v1
.LBB159_2330:
	v_mov_b32_e32 v10, 0
.LBB159_2331:
	v_mov_b32_e32 v15, 0
	s_load_b64 s[0:1], s[2:3], 0x1d8
	global_load_u8 v1, v15, s[2:3] offset:506
	s_wait_kmcnt 0x0
	v_add_nc_u64_e32 v[22:23], s[0:1], v[14:15]
	s_wait_loadcnt 0x0
	v_and_b32_e32 v3, 0xffff, v1
	v_readfirstlane_b32 s11, v1
	s_delay_alu instid0(VALU_DEP_2)
	v_cmp_gt_i32_e32 vcc_lo, 11, v3
	s_cbranch_vccnz .LBB159_2338
; %bb.2332:
	s_and_b32 s8, 0xffff, s11
	s_mov_b32 s15, 0
	s_cmp_gt_i32 s8, 25
	s_cbranch_scc0 .LBB159_2340
; %bb.2333:
	s_cmp_gt_i32 s8, 28
	s_cbranch_scc0 .LBB159_2341
; %bb.2334:
	;; [unrolled: 3-line block ×4, first 2 shown]
	s_cmp_eq_u32 s8, 46
	s_mov_b32 s17, 0
	s_cbranch_scc0 .LBB159_2351
; %bb.2337:
	global_load_b32 v1, v[22:23], off
	s_mov_b32 s9, 0
	s_mov_b32 s16, -1
	s_wait_loadcnt 0x0
	s_wait_xcnt 0x1
	v_and_b32_e32 v15, 0xffff0000, v1
	v_lshlrev_b32_e32 v14, 16, v1
	s_branch .LBB159_2353
.LBB159_2338:
	s_mov_b32 s16, 0
                                        ; implicit-def: $vgpr15
	s_cbranch_execnz .LBB159_2417
.LBB159_2339:
	s_and_not1_b32 vcc_lo, exec_lo, s16
	s_cbranch_vccz .LBB159_2466
	s_branch .LBB159_4271
.LBB159_2340:
	s_mov_b32 s16, 0
	s_mov_b32 s9, 0
                                        ; implicit-def: $vgpr15
	s_cbranch_execnz .LBB159_2382
	s_branch .LBB159_2413
.LBB159_2341:
	s_mov_b32 s17, -1
	s_mov_b32 s16, 0
	s_mov_b32 s9, 0
                                        ; implicit-def: $vgpr15
	s_branch .LBB159_2365
.LBB159_2342:
	s_mov_b32 s17, -1
	s_mov_b32 s16, 0
	s_mov_b32 s9, 0
                                        ; implicit-def: $vgpr15
	s_branch .LBB159_2359
.LBB159_2343:
	s_or_b32 s14, s12, exec_lo
	s_trap 2
	s_cbranch_execz .LBB159_2282
	s_branch .LBB159_2283
.LBB159_2344:
	s_mov_b32 s8, -1
	s_mov_b32 s11, exec_lo
	v_cmpx_eq_u16_e32 0x80, v1
; %bb.2345:
	s_xor_b32 s8, exec_lo, -1
; %bb.2346:
	s_or_b32 exec_lo, exec_lo, s11
	s_delay_alu instid0(SALU_CYCLE_1)
	s_and_b32 s8, s8, exec_lo
	s_or_saveexec_b32 s9, s9
	v_mov_b32_e32 v8, 0x7f800001
	s_xor_b32 exec_lo, exec_lo, s9
	s_cbranch_execz .LBB159_2255
.LBB159_2347:
	v_cmp_ne_u16_e32 vcc_lo, 0, v1
	v_mov_b32_e32 v8, 0
	s_and_not1_b32 s8, s8, exec_lo
	s_and_b32 s11, vcc_lo, exec_lo
	s_delay_alu instid0(SALU_CYCLE_1)
	s_or_b32 s8, s8, s11
	s_or_b32 exec_lo, exec_lo, s9
	s_and_saveexec_b32 s9, s8
	s_cbranch_execnz .LBB159_2256
	s_branch .LBB159_2257
.LBB159_2348:
	s_mov_b32 s17, -1
	s_mov_b32 s16, 0
	s_mov_b32 s9, 0
	s_branch .LBB159_2352
.LBB159_2349:
	v_bfe_u32 v0, v10, 20, 1
	s_mov_b32 s8, exec_lo
	s_delay_alu instid0(VALU_DEP_1) | instskip(NEXT) | instid1(VALU_DEP_1)
	v_add3_u32 v0, v10, v0, 0x487ffff
	v_lshrrev_b32_e32 v0, 20, v0
	s_and_not1_saveexec_b32 s9, s9
	s_cbranch_execz .LBB159_2075
.LBB159_2350:
	v_add_f32_e64 v0, 0x46000000, |v10|
	s_and_not1_b32 s8, s8, exec_lo
	s_delay_alu instid0(VALU_DEP_1) | instskip(NEXT) | instid1(VALU_DEP_1)
	v_and_b32_e32 v0, 0xff, v0
	v_cmp_ne_u32_e32 vcc_lo, 0, v0
	s_and_b32 s10, vcc_lo, exec_lo
	s_delay_alu instid0(SALU_CYCLE_1)
	s_or_b32 s8, s8, s10
	s_or_b32 exec_lo, exec_lo, s9
	v_mov_b32_e32 v1, 0
	s_and_saveexec_b32 s9, s8
	s_cbranch_execnz .LBB159_2076
	s_branch .LBB159_2077
.LBB159_2351:
	s_mov_b32 s9, -1
	s_mov_b32 s16, 0
.LBB159_2352:
                                        ; implicit-def: $vgpr15
.LBB159_2353:
	s_and_b32 vcc_lo, exec_lo, s17
	s_cbranch_vccz .LBB159_2358
; %bb.2354:
	s_cmp_eq_u32 s8, 44
	s_cbranch_scc0 .LBB159_2356
; %bb.2355:
	global_load_u8 v1, v[22:23], off
	s_mov_b32 s9, 0
	s_mov_b32 s16, -1
	s_wait_loadcnt 0x0
	v_lshlrev_b32_e32 v3, 23, v1
	v_cmp_ne_u32_e32 vcc_lo, 0xff, v1
	s_delay_alu instid0(VALU_DEP_2) | instskip(SKIP_1) | instid1(VALU_DEP_2)
	v_cndmask_b32_e32 v3, 0x7f800001, v3, vcc_lo
	v_cmp_ne_u32_e32 vcc_lo, 0, v1
	v_cndmask_b32_e32 v14, 0x400000, v3, vcc_lo
	s_branch .LBB159_2357
.LBB159_2356:
	s_mov_b32 s9, -1
                                        ; implicit-def: $vgpr14
.LBB159_2357:
	s_wait_xcnt 0x0
	v_mov_b32_e32 v15, 0
.LBB159_2358:
	s_mov_b32 s17, 0
.LBB159_2359:
	s_delay_alu instid0(SALU_CYCLE_1)
	s_and_b32 vcc_lo, exec_lo, s17
	s_cbranch_vccz .LBB159_2364
; %bb.2360:
	s_cmp_eq_u32 s8, 29
	s_cbranch_scc0 .LBB159_2362
; %bb.2361:
	global_load_b64 v[14:15], v[22:23], off
	s_mov_b32 s9, 0
	s_mov_b32 s16, -1
	s_wait_loadcnt 0x0
	v_clz_i32_u32_e32 v1, v15
	s_delay_alu instid0(VALU_DEP_1) | instskip(NEXT) | instid1(VALU_DEP_1)
	v_min_u32_e32 v1, 32, v1
	v_lshlrev_b64_e32 v[14:15], v1, v[14:15]
	v_sub_nc_u32_e32 v1, 32, v1
	s_delay_alu instid0(VALU_DEP_2) | instskip(NEXT) | instid1(VALU_DEP_1)
	v_min_u32_e32 v3, 1, v14
	v_or_b32_e32 v3, v15, v3
	s_delay_alu instid0(VALU_DEP_1) | instskip(NEXT) | instid1(VALU_DEP_1)
	v_cvt_f32_u32_e32 v3, v3
	v_ldexp_f32 v14, v3, v1
	s_branch .LBB159_2363
.LBB159_2362:
	s_mov_b32 s9, -1
                                        ; implicit-def: $vgpr14
.LBB159_2363:
	s_wait_xcnt 0x0
	v_mov_b32_e32 v15, 0
.LBB159_2364:
	s_mov_b32 s17, 0
.LBB159_2365:
	s_delay_alu instid0(SALU_CYCLE_1)
	s_and_b32 vcc_lo, exec_lo, s17
	s_cbranch_vccz .LBB159_2381
; %bb.2366:
	s_cmp_lt_i32 s8, 27
	s_cbranch_scc1 .LBB159_2369
; %bb.2367:
	s_cmp_gt_i32 s8, 27
	s_cbranch_scc0 .LBB159_2370
; %bb.2368:
	global_load_b32 v1, v[22:23], off
	s_mov_b32 s16, 0
	s_wait_loadcnt 0x0
	v_cvt_f32_u32_e32 v14, v1
	s_branch .LBB159_2371
.LBB159_2369:
	s_mov_b32 s16, -1
                                        ; implicit-def: $vgpr14
	s_branch .LBB159_2374
.LBB159_2370:
	s_mov_b32 s16, -1
                                        ; implicit-def: $vgpr14
.LBB159_2371:
	s_delay_alu instid0(SALU_CYCLE_1)
	s_and_not1_b32 vcc_lo, exec_lo, s16
	s_cbranch_vccnz .LBB159_2373
; %bb.2372:
	global_load_u16 v1, v[22:23], off
	s_wait_loadcnt 0x0
	v_cvt_f32_u32_e32 v14, v1
.LBB159_2373:
	s_mov_b32 s16, 0
.LBB159_2374:
	s_delay_alu instid0(SALU_CYCLE_1)
	s_and_not1_b32 vcc_lo, exec_lo, s16
	s_cbranch_vccnz .LBB159_2380
; %bb.2375:
	global_load_u8 v1, v[22:23], off
	s_mov_b32 s16, 0
	s_mov_b32 s17, exec_lo
	s_wait_loadcnt 0x0
	v_cmpx_lt_i16_e32 0x7f, v1
	s_xor_b32 s17, exec_lo, s17
	s_cbranch_execnz .LBB159_2392
; %bb.2376:
	s_or_saveexec_b32 s17, s17
	v_mov_b32_e32 v14, 0x7f800001
	s_xor_b32 exec_lo, exec_lo, s17
	s_cbranch_execnz .LBB159_2395
.LBB159_2377:
	s_or_b32 exec_lo, exec_lo, s17
	s_and_saveexec_b32 s17, s16
	s_cbranch_execz .LBB159_2379
.LBB159_2378:
	v_and_b32_e32 v3, 0xffff, v1
	s_delay_alu instid0(VALU_DEP_1) | instskip(SKIP_1) | instid1(VALU_DEP_2)
	v_dual_lshlrev_b32 v1, 24, v1 :: v_dual_bitop2_b32 v5, 7, v3 bitop3:0x40
	v_bfe_u32 v11, v3, 3, 4
	v_and_b32_e32 v1, 0x80000000, v1
	s_delay_alu instid0(VALU_DEP_3) | instskip(NEXT) | instid1(VALU_DEP_3)
	v_clz_i32_u32_e32 v7, v5
	v_cmp_eq_u32_e32 vcc_lo, 0, v11
	s_delay_alu instid0(VALU_DEP_2) | instskip(NEXT) | instid1(VALU_DEP_1)
	v_min_u32_e32 v7, 32, v7
	v_subrev_nc_u32_e32 v9, 28, v7
	v_sub_nc_u32_e32 v7, 29, v7
	s_delay_alu instid0(VALU_DEP_2) | instskip(NEXT) | instid1(VALU_DEP_2)
	v_lshlrev_b32_e32 v3, v9, v3
	v_cndmask_b32_e32 v7, v11, v7, vcc_lo
	s_delay_alu instid0(VALU_DEP_2) | instskip(NEXT) | instid1(VALU_DEP_1)
	v_and_b32_e32 v3, 7, v3
	v_cndmask_b32_e32 v3, v5, v3, vcc_lo
	s_delay_alu instid0(VALU_DEP_3) | instskip(NEXT) | instid1(VALU_DEP_2)
	v_lshl_add_u32 v5, v7, 23, 0x3b800000
	v_lshlrev_b32_e32 v3, 20, v3
	s_delay_alu instid0(VALU_DEP_1)
	v_or3_b32 v14, v1, v5, v3
.LBB159_2379:
	s_or_b32 exec_lo, exec_lo, s17
.LBB159_2380:
	s_wait_xcnt 0x0
	v_mov_b32_e32 v15, 0
	s_mov_b32 s16, -1
.LBB159_2381:
	s_branch .LBB159_2413
.LBB159_2382:
	s_cmp_gt_i32 s8, 22
	s_cbranch_scc0 .LBB159_2390
; %bb.2383:
	s_cmp_lt_i32 s8, 24
	s_cbranch_scc1 .LBB159_2391
; %bb.2384:
	s_cmp_gt_i32 s8, 24
	s_cbranch_scc0 .LBB159_2396
; %bb.2385:
	global_load_u8 v1, v[22:23], off
	s_mov_b32 s16, exec_lo
	s_wait_loadcnt 0x0
	v_cmpx_lt_i16_e32 0x7f, v1
	s_xor_b32 s16, exec_lo, s16
	s_cbranch_execnz .LBB159_2479
; %bb.2386:
	s_or_saveexec_b32 s16, s16
	v_mov_b32_e32 v14, 0x7f800001
	s_xor_b32 exec_lo, exec_lo, s16
	s_cbranch_execnz .LBB159_2482
.LBB159_2387:
	s_or_b32 exec_lo, exec_lo, s16
	s_and_saveexec_b32 s16, s15
	s_cbranch_execz .LBB159_2389
.LBB159_2388:
	v_and_b32_e32 v3, 0xffff, v1
	s_delay_alu instid0(VALU_DEP_1) | instskip(SKIP_1) | instid1(VALU_DEP_2)
	v_dual_lshlrev_b32 v1, 24, v1 :: v_dual_bitop2_b32 v5, 3, v3 bitop3:0x40
	v_bfe_u32 v11, v3, 2, 5
	v_and_b32_e32 v1, 0x80000000, v1
	s_delay_alu instid0(VALU_DEP_3) | instskip(NEXT) | instid1(VALU_DEP_3)
	v_clz_i32_u32_e32 v7, v5
	v_cmp_eq_u32_e32 vcc_lo, 0, v11
	s_delay_alu instid0(VALU_DEP_2) | instskip(NEXT) | instid1(VALU_DEP_1)
	v_min_u32_e32 v7, 32, v7
	v_subrev_nc_u32_e32 v9, 29, v7
	v_sub_nc_u32_e32 v7, 30, v7
	s_delay_alu instid0(VALU_DEP_2) | instskip(NEXT) | instid1(VALU_DEP_2)
	v_lshlrev_b32_e32 v3, v9, v3
	v_cndmask_b32_e32 v7, v11, v7, vcc_lo
	s_delay_alu instid0(VALU_DEP_2) | instskip(NEXT) | instid1(VALU_DEP_1)
	v_and_b32_e32 v3, 3, v3
	v_cndmask_b32_e32 v3, v5, v3, vcc_lo
	s_delay_alu instid0(VALU_DEP_3) | instskip(NEXT) | instid1(VALU_DEP_2)
	v_lshl_add_u32 v5, v7, 23, 0x37800000
	v_lshlrev_b32_e32 v3, 21, v3
	s_delay_alu instid0(VALU_DEP_1)
	v_or3_b32 v14, v1, v5, v3
.LBB159_2389:
	s_or_b32 exec_lo, exec_lo, s16
	s_mov_b32 s15, 0
	s_branch .LBB159_2397
.LBB159_2390:
	s_mov_b32 s15, -1
                                        ; implicit-def: $vgpr14
	s_branch .LBB159_2403
.LBB159_2391:
	s_mov_b32 s15, -1
                                        ; implicit-def: $vgpr14
	s_branch .LBB159_2400
.LBB159_2392:
	s_mov_b32 s16, -1
	s_mov_b32 s18, exec_lo
	v_cmpx_eq_u16_e32 0x80, v1
; %bb.2393:
	s_xor_b32 s16, exec_lo, -1
; %bb.2394:
	s_or_b32 exec_lo, exec_lo, s18
	s_delay_alu instid0(SALU_CYCLE_1)
	s_and_b32 s16, s16, exec_lo
	s_or_saveexec_b32 s17, s17
	v_mov_b32_e32 v14, 0x7f800001
	s_xor_b32 exec_lo, exec_lo, s17
	s_cbranch_execz .LBB159_2377
.LBB159_2395:
	v_cmp_ne_u16_e32 vcc_lo, 0, v1
	v_mov_b32_e32 v14, 0
	s_and_not1_b32 s16, s16, exec_lo
	s_and_b32 s18, vcc_lo, exec_lo
	s_delay_alu instid0(SALU_CYCLE_1)
	s_or_b32 s16, s16, s18
	s_or_b32 exec_lo, exec_lo, s17
	s_and_saveexec_b32 s17, s16
	s_cbranch_execnz .LBB159_2378
	s_branch .LBB159_2379
.LBB159_2396:
	s_mov_b32 s15, -1
                                        ; implicit-def: $vgpr14
.LBB159_2397:
	s_delay_alu instid0(SALU_CYCLE_1)
	s_and_b32 vcc_lo, exec_lo, s15
	s_cbranch_vccz .LBB159_2399
; %bb.2398:
	global_load_u8 v1, v[22:23], off
	s_wait_loadcnt 0x0
	v_lshlrev_b32_e32 v1, 24, v1
	s_delay_alu instid0(VALU_DEP_1) | instskip(NEXT) | instid1(VALU_DEP_1)
	v_and_b32_e32 v3, 0x7f000000, v1
	v_clz_i32_u32_e32 v5, v3
	v_add_nc_u32_e32 v9, 0x1000000, v3
	v_cmp_ne_u32_e32 vcc_lo, 0, v3
	s_delay_alu instid0(VALU_DEP_3) | instskip(NEXT) | instid1(VALU_DEP_1)
	v_min_u32_e32 v5, 32, v5
	v_sub_nc_u32_e64 v5, v5, 4 clamp
	s_delay_alu instid0(VALU_DEP_1) | instskip(NEXT) | instid1(VALU_DEP_1)
	v_dual_lshlrev_b32 v7, v5, v3 :: v_dual_lshlrev_b32 v5, 23, v5
	v_lshrrev_b32_e32 v7, 4, v7
	s_delay_alu instid0(VALU_DEP_1) | instskip(SKIP_1) | instid1(VALU_DEP_2)
	v_sub_nc_u32_e32 v5, v7, v5
	v_ashrrev_i32_e32 v7, 8, v9
	v_add_nc_u32_e32 v5, 0x3c000000, v5
	s_delay_alu instid0(VALU_DEP_1) | instskip(NEXT) | instid1(VALU_DEP_1)
	v_and_or_b32 v5, 0x7f800000, v7, v5
	v_cndmask_b32_e32 v3, 0, v5, vcc_lo
	s_delay_alu instid0(VALU_DEP_1)
	v_and_or_b32 v14, 0x80000000, v1, v3
.LBB159_2399:
	s_mov_b32 s15, 0
.LBB159_2400:
	s_delay_alu instid0(SALU_CYCLE_1)
	s_and_not1_b32 vcc_lo, exec_lo, s15
	s_cbranch_vccnz .LBB159_2402
; %bb.2401:
	global_load_u8 v1, v[22:23], off
	s_wait_loadcnt 0x0
	v_lshlrev_b32_e32 v3, 25, v1
	v_lshlrev_b16 v1, 8, v1
	s_delay_alu instid0(VALU_DEP_1) | instskip(SKIP_1) | instid1(VALU_DEP_2)
	v_and_or_b32 v7, 0x7f00, v1, 0.5
	v_bfe_i32 v1, v1, 0, 16
	v_add_f32_e32 v7, -0.5, v7
	v_lshrrev_b32_e32 v5, 4, v3
	v_cmp_gt_u32_e32 vcc_lo, 0x8000000, v3
	s_delay_alu instid0(VALU_DEP_2) | instskip(NEXT) | instid1(VALU_DEP_1)
	v_or_b32_e32 v5, 0x70000000, v5
	v_mul_f32_e32 v5, 0x7800000, v5
	s_delay_alu instid0(VALU_DEP_1) | instskip(NEXT) | instid1(VALU_DEP_1)
	v_cndmask_b32_e32 v3, v5, v7, vcc_lo
	v_and_or_b32 v14, 0x80000000, v1, v3
.LBB159_2402:
	s_mov_b32 s15, 0
	s_mov_b32 s16, -1
.LBB159_2403:
	s_and_not1_b32 vcc_lo, exec_lo, s15
	s_mov_b32 s15, 0
	s_cbranch_vccnz .LBB159_2412
; %bb.2404:
	s_cmp_gt_i32 s8, 14
	s_cbranch_scc0 .LBB159_2407
; %bb.2405:
	s_cmp_eq_u32 s8, 15
	s_cbranch_scc0 .LBB159_2408
; %bb.2406:
	global_load_u16 v1, v[22:23], off
	s_mov_b32 s9, 0
	s_mov_b32 s16, -1
	s_wait_loadcnt 0x0
	v_lshlrev_b32_e32 v14, 16, v1
	s_branch .LBB159_2410
.LBB159_2407:
	s_mov_b32 s15, -1
	s_branch .LBB159_2409
.LBB159_2408:
	s_mov_b32 s9, -1
.LBB159_2409:
                                        ; implicit-def: $vgpr14
.LBB159_2410:
	s_and_b32 vcc_lo, exec_lo, s15
	s_mov_b32 s15, 0
	s_cbranch_vccz .LBB159_2412
; %bb.2411:
	s_cmp_lg_u32 s8, 11
	s_mov_b32 s15, -1
	s_cselect_b32 s9, -1, 0
.LBB159_2412:
	s_wait_xcnt 0x0
	v_mov_b32_e32 v15, 0
.LBB159_2413:
	s_and_b32 vcc_lo, exec_lo, s9
	s_cbranch_vccnz .LBB159_2478
; %bb.2414:
	s_and_not1_b32 vcc_lo, exec_lo, s15
	s_cbranch_vccnz .LBB159_2416
.LBB159_2415:
	global_load_u8 v1, v[22:23], off
	s_wait_xcnt 0x1
	v_mov_b32_e32 v15, 0
	s_mov_b32 s16, -1
	s_wait_loadcnt 0x0
	v_cmp_ne_u16_e32 vcc_lo, 0, v1
	v_cndmask_b32_e64 v14, 0, 1.0, vcc_lo
.LBB159_2416:
	s_branch .LBB159_2339
.LBB159_2417:
	s_and_b32 s8, 0xffff, s11
	s_delay_alu instid0(SALU_CYCLE_1)
	s_cmp_lt_i32 s8, 5
	s_cbranch_scc1 .LBB159_2422
; %bb.2418:
	s_cmp_lt_i32 s8, 8
	s_cbranch_scc1 .LBB159_2424
; %bb.2419:
	;; [unrolled: 3-line block ×3, first 2 shown]
	s_cmp_gt_i32 s8, 9
	s_cbranch_scc0 .LBB159_2426
; %bb.2421:
	global_load_b128 v[36:39], v[22:23], off
	s_mov_b32 s9, 0
	s_wait_loadcnt 0x0
	v_cvt_f32_f64_e32 v14, v[36:37]
	s_wait_xcnt 0x1
	v_cvt_f32_f64_e32 v15, v[38:39]
	s_branch .LBB159_2427
.LBB159_2422:
                                        ; implicit-def: $vgpr15
	s_branch .LBB159_2446
.LBB159_2423:
	s_branch .LBB159_2466
.LBB159_2424:
	s_mov_b32 s9, -1
                                        ; implicit-def: $vgpr15
	s_branch .LBB159_2433
.LBB159_2425:
	s_mov_b32 s9, -1
                                        ; implicit-def: $vgpr15
	s_branch .LBB159_2430
.LBB159_2426:
	s_mov_b32 s9, -1
                                        ; implicit-def: $vgpr15
.LBB159_2427:
	s_delay_alu instid0(SALU_CYCLE_1)
	s_and_not1_b32 vcc_lo, exec_lo, s9
	s_cbranch_vccnz .LBB159_2429
; %bb.2428:
	global_load_b64 v[14:15], v[22:23], off
.LBB159_2429:
	s_mov_b32 s9, 0
.LBB159_2430:
	s_delay_alu instid0(SALU_CYCLE_1)
	s_and_not1_b32 vcc_lo, exec_lo, s9
	s_cbranch_vccnz .LBB159_2432
; %bb.2431:
	global_load_b32 v1, v[22:23], off
	s_wait_loadcnt 0x0
	v_lshrrev_b32_e32 v3, 16, v1
	v_cvt_f32_f16_e32 v14, v1
	s_wait_xcnt 0x1
	s_delay_alu instid0(VALU_DEP_2)
	v_cvt_f32_f16_e32 v15, v3
.LBB159_2432:
	s_mov_b32 s9, 0
.LBB159_2433:
	s_delay_alu instid0(SALU_CYCLE_1)
	s_and_not1_b32 vcc_lo, exec_lo, s9
	s_cbranch_vccnz .LBB159_2445
; %bb.2434:
	s_cmp_lt_i32 s8, 6
	s_cbranch_scc1 .LBB159_2437
; %bb.2435:
	s_cmp_gt_i32 s8, 6
	s_cbranch_scc0 .LBB159_2438
; %bb.2436:
	s_wait_loadcnt 0x0
	global_load_b64 v[14:15], v[22:23], off
	s_mov_b32 s9, 0
	s_wait_loadcnt 0x0
	v_cvt_f32_f64_e32 v14, v[14:15]
	s_branch .LBB159_2439
.LBB159_2437:
	s_mov_b32 s9, -1
                                        ; implicit-def: $vgpr14
	s_branch .LBB159_2442
.LBB159_2438:
	s_mov_b32 s9, -1
                                        ; implicit-def: $vgpr14
.LBB159_2439:
	s_delay_alu instid0(SALU_CYCLE_1)
	s_and_not1_b32 vcc_lo, exec_lo, s9
	s_cbranch_vccnz .LBB159_2441
; %bb.2440:
	s_wait_loadcnt 0x0
	global_load_b32 v14, v[22:23], off
.LBB159_2441:
	s_mov_b32 s9, 0
.LBB159_2442:
	s_delay_alu instid0(SALU_CYCLE_1)
	s_and_not1_b32 vcc_lo, exec_lo, s9
	s_cbranch_vccnz .LBB159_2444
; %bb.2443:
	global_load_u16 v1, v[22:23], off
	s_wait_loadcnt 0x0
	v_cvt_f32_f16_e32 v14, v1
.LBB159_2444:
	s_wait_loadcnt 0x0
	v_mov_b32_e32 v15, 0
.LBB159_2445:
	s_cbranch_execnz .LBB159_2423
.LBB159_2446:
	s_cmp_lt_i32 s8, 2
	s_cbranch_scc1 .LBB159_2450
; %bb.2447:
	s_cmp_lt_i32 s8, 3
	s_cbranch_scc1 .LBB159_2451
; %bb.2448:
	s_cmp_gt_i32 s8, 3
	s_cbranch_scc0 .LBB159_2452
; %bb.2449:
	s_wait_loadcnt 0x0
	global_load_b64 v[14:15], v[22:23], off
	s_mov_b32 s9, 0
	s_wait_loadcnt 0x0
	v_xor_b32_e32 v1, v14, v15
	v_cls_i32_e32 v3, v15
	s_delay_alu instid0(VALU_DEP_2) | instskip(NEXT) | instid1(VALU_DEP_1)
	v_ashrrev_i32_e32 v1, 31, v1
	v_add_nc_u32_e32 v1, 32, v1
	s_delay_alu instid0(VALU_DEP_1) | instskip(NEXT) | instid1(VALU_DEP_1)
	v_add_min_u32_e64 v1, v3, -1, v1
	v_lshlrev_b64_e32 v[14:15], v1, v[14:15]
	v_sub_nc_u32_e32 v1, 32, v1
	s_delay_alu instid0(VALU_DEP_2) | instskip(NEXT) | instid1(VALU_DEP_1)
	v_min_u32_e32 v3, 1, v14
	v_or_b32_e32 v3, v15, v3
	s_delay_alu instid0(VALU_DEP_1) | instskip(NEXT) | instid1(VALU_DEP_1)
	v_cvt_f32_i32_e32 v3, v3
	v_ldexp_f32 v14, v3, v1
	s_branch .LBB159_2453
.LBB159_2450:
	s_mov_b32 s9, -1
                                        ; implicit-def: $vgpr14
	s_branch .LBB159_2459
.LBB159_2451:
	s_mov_b32 s9, -1
                                        ; implicit-def: $vgpr14
	s_branch .LBB159_2456
.LBB159_2452:
	s_mov_b32 s9, -1
                                        ; implicit-def: $vgpr14
.LBB159_2453:
	s_delay_alu instid0(SALU_CYCLE_1)
	s_and_not1_b32 vcc_lo, exec_lo, s9
	s_cbranch_vccnz .LBB159_2455
; %bb.2454:
	global_load_b32 v1, v[22:23], off
	s_wait_loadcnt 0x0
	v_cvt_f32_i32_e32 v14, v1
.LBB159_2455:
	s_mov_b32 s9, 0
.LBB159_2456:
	s_delay_alu instid0(SALU_CYCLE_1)
	s_and_not1_b32 vcc_lo, exec_lo, s9
	s_cbranch_vccnz .LBB159_2458
; %bb.2457:
	global_load_i16 v1, v[22:23], off
	s_wait_loadcnt 0x0
	v_cvt_f32_i32_e32 v14, v1
.LBB159_2458:
	s_mov_b32 s9, 0
.LBB159_2459:
	s_delay_alu instid0(SALU_CYCLE_1)
	s_and_not1_b32 vcc_lo, exec_lo, s9
	s_cbranch_vccnz .LBB159_2465
; %bb.2460:
	s_cmp_gt_i32 s8, 0
	s_mov_b32 s8, 0
	s_cbranch_scc0 .LBB159_2462
; %bb.2461:
	global_load_i8 v1, v[22:23], off
	s_wait_loadcnt 0x0
	v_cvt_f32_i32_e32 v14, v1
	s_branch .LBB159_2463
.LBB159_2462:
	s_mov_b32 s8, -1
                                        ; implicit-def: $vgpr14
.LBB159_2463:
	s_delay_alu instid0(SALU_CYCLE_1)
	s_and_not1_b32 vcc_lo, exec_lo, s8
	s_cbranch_vccnz .LBB159_2465
; %bb.2464:
	global_load_u8 v1, v[22:23], off
	s_wait_loadcnt 0x0
	v_cvt_f32_ubyte0_e32 v14, v1
.LBB159_2465:
	s_wait_loadcnt 0x0
	v_mov_b32_e32 v15, 0
.LBB159_2466:
	v_mov_b32_e32 v21, 0
	s_load_b64 s[8:9], s[2:3], 0x1e0
	global_load_u8 v1, v21, s[2:3] offset:507
	s_wait_kmcnt 0x0
	v_add_nc_u64_e32 v[22:23], s[8:9], v[20:21]
	s_wait_loadcnt 0x0
	v_and_b32_e32 v3, 0xffff, v1
	v_readfirstlane_b32 s15, v1
	s_delay_alu instid0(VALU_DEP_2)
	v_cmp_gt_i32_e32 vcc_lo, 11, v3
	s_cbranch_vccnz .LBB159_2473
; %bb.2467:
	s_and_b32 s16, 0xffff, s15
	s_mov_b32 s18, 0
	s_cmp_gt_i32 s16, 25
	s_cbranch_scc0 .LBB159_2475
; %bb.2468:
	s_cmp_gt_i32 s16, 28
	s_cbranch_scc0 .LBB159_2476
; %bb.2469:
	;; [unrolled: 3-line block ×4, first 2 shown]
	s_cmp_eq_u32 s16, 46
	s_mov_b32 s20, 0
	s_cbranch_scc0 .LBB159_2486
; %bb.2472:
	global_load_b32 v1, v[22:23], off
	s_mov_b32 s17, 0
	s_mov_b32 s19, -1
	s_wait_loadcnt 0x0
	s_wait_xcnt 0x1
	v_and_b32_e32 v21, 0xffff0000, v1
	v_lshlrev_b32_e32 v20, 16, v1
	s_branch .LBB159_2488
.LBB159_2473:
	s_mov_b32 s19, 0
                                        ; implicit-def: $vgpr21
	s_cbranch_execnz .LBB159_2522
.LBB159_2474:
	s_and_not1_b32 vcc_lo, exec_lo, s19
	s_cbranch_vccz .LBB159_2604
	s_branch .LBB159_4271
.LBB159_2475:
	s_mov_b32 s20, -1
	s_mov_b32 s19, 0
	s_mov_b32 s17, 0
                                        ; implicit-def: $vgpr21
	s_branch .LBB159_2517
.LBB159_2476:
	s_mov_b32 s20, -1
	s_mov_b32 s19, 0
	s_mov_b32 s17, 0
                                        ; implicit-def: $vgpr21
	s_branch .LBB159_2500
.LBB159_2477:
	s_mov_b32 s20, -1
	s_mov_b32 s19, 0
	s_mov_b32 s17, 0
                                        ; implicit-def: $vgpr21
	s_branch .LBB159_2494
.LBB159_2478:
	s_or_b32 s14, s14, exec_lo
	s_trap 2
	s_cbranch_execz .LBB159_2415
	s_branch .LBB159_2416
.LBB159_2479:
	s_mov_b32 s15, -1
	s_mov_b32 s17, exec_lo
	v_cmpx_eq_u16_e32 0x80, v1
; %bb.2480:
	s_xor_b32 s15, exec_lo, -1
; %bb.2481:
	s_or_b32 exec_lo, exec_lo, s17
	s_delay_alu instid0(SALU_CYCLE_1)
	s_and_b32 s15, s15, exec_lo
	s_or_saveexec_b32 s16, s16
	v_mov_b32_e32 v14, 0x7f800001
	s_xor_b32 exec_lo, exec_lo, s16
	s_cbranch_execz .LBB159_2387
.LBB159_2482:
	v_cmp_ne_u16_e32 vcc_lo, 0, v1
	v_mov_b32_e32 v14, 0
	s_and_not1_b32 s15, s15, exec_lo
	s_and_b32 s17, vcc_lo, exec_lo
	s_delay_alu instid0(SALU_CYCLE_1)
	s_or_b32 s15, s15, s17
	s_or_b32 exec_lo, exec_lo, s16
	s_and_saveexec_b32 s16, s15
	s_cbranch_execnz .LBB159_2388
	s_branch .LBB159_2389
.LBB159_2483:
	s_mov_b32 s20, -1
	s_mov_b32 s19, 0
	s_mov_b32 s17, 0
	s_branch .LBB159_2487
.LBB159_2484:
	v_bfe_u32 v0, v10, 21, 1
	s_mov_b32 s9, exec_lo
	s_delay_alu instid0(VALU_DEP_1) | instskip(NEXT) | instid1(VALU_DEP_1)
	v_add3_u32 v0, v10, v0, 0x88fffff
	v_lshrrev_b32_e32 v0, 21, v0
	s_and_not1_saveexec_b32 s10, s10
	s_cbranch_execz .LBB159_2087
.LBB159_2485:
	v_add_f32_e64 v0, 0x42800000, |v10|
	s_and_not1_b32 s9, s9, exec_lo
	s_delay_alu instid0(VALU_DEP_1) | instskip(NEXT) | instid1(VALU_DEP_1)
	v_and_b32_e32 v0, 0xff, v0
	v_cmp_ne_u32_e32 vcc_lo, 0, v0
	s_and_b32 s11, vcc_lo, exec_lo
	s_delay_alu instid0(SALU_CYCLE_1)
	s_or_b32 s9, s9, s11
	s_or_b32 exec_lo, exec_lo, s10
	v_mov_b32_e32 v1, 0
	s_and_saveexec_b32 s10, s9
	s_cbranch_execnz .LBB159_2088
	s_branch .LBB159_2089
.LBB159_2486:
	s_mov_b32 s17, -1
	s_mov_b32 s19, 0
.LBB159_2487:
                                        ; implicit-def: $vgpr21
.LBB159_2488:
	s_and_b32 vcc_lo, exec_lo, s20
	s_cbranch_vccz .LBB159_2493
; %bb.2489:
	s_cmp_eq_u32 s16, 44
	s_cbranch_scc0 .LBB159_2491
; %bb.2490:
	global_load_u8 v1, v[22:23], off
	s_mov_b32 s17, 0
	s_mov_b32 s19, -1
	s_wait_loadcnt 0x0
	v_lshlrev_b32_e32 v3, 23, v1
	v_cmp_ne_u32_e32 vcc_lo, 0xff, v1
	s_delay_alu instid0(VALU_DEP_2) | instskip(SKIP_1) | instid1(VALU_DEP_2)
	v_cndmask_b32_e32 v3, 0x7f800001, v3, vcc_lo
	v_cmp_ne_u32_e32 vcc_lo, 0, v1
	v_cndmask_b32_e32 v20, 0x400000, v3, vcc_lo
	s_branch .LBB159_2492
.LBB159_2491:
	s_mov_b32 s17, -1
                                        ; implicit-def: $vgpr20
.LBB159_2492:
	s_wait_xcnt 0x0
	v_mov_b32_e32 v21, 0
.LBB159_2493:
	s_mov_b32 s20, 0
.LBB159_2494:
	s_delay_alu instid0(SALU_CYCLE_1)
	s_and_b32 vcc_lo, exec_lo, s20
	s_cbranch_vccz .LBB159_2499
; %bb.2495:
	s_cmp_eq_u32 s16, 29
	s_cbranch_scc0 .LBB159_2497
; %bb.2496:
	global_load_b64 v[20:21], v[22:23], off
	s_mov_b32 s17, 0
	s_mov_b32 s19, -1
	s_wait_loadcnt 0x0
	v_clz_i32_u32_e32 v1, v21
	s_delay_alu instid0(VALU_DEP_1) | instskip(NEXT) | instid1(VALU_DEP_1)
	v_min_u32_e32 v1, 32, v1
	v_lshlrev_b64_e32 v[20:21], v1, v[20:21]
	v_sub_nc_u32_e32 v1, 32, v1
	s_delay_alu instid0(VALU_DEP_2) | instskip(NEXT) | instid1(VALU_DEP_1)
	v_min_u32_e32 v3, 1, v20
	v_or_b32_e32 v3, v21, v3
	s_delay_alu instid0(VALU_DEP_1) | instskip(NEXT) | instid1(VALU_DEP_1)
	v_cvt_f32_u32_e32 v3, v3
	v_ldexp_f32 v20, v3, v1
	s_branch .LBB159_2498
.LBB159_2497:
	s_mov_b32 s17, -1
                                        ; implicit-def: $vgpr20
.LBB159_2498:
	s_wait_xcnt 0x0
	v_mov_b32_e32 v21, 0
.LBB159_2499:
	s_mov_b32 s20, 0
.LBB159_2500:
	s_delay_alu instid0(SALU_CYCLE_1)
	s_and_b32 vcc_lo, exec_lo, s20
	s_cbranch_vccz .LBB159_2516
; %bb.2501:
	s_cmp_lt_i32 s16, 27
	s_cbranch_scc1 .LBB159_2504
; %bb.2502:
	s_cmp_gt_i32 s16, 27
	s_cbranch_scc0 .LBB159_2505
; %bb.2503:
	global_load_b32 v1, v[22:23], off
	s_mov_b32 s19, 0
	s_wait_loadcnt 0x0
	v_cvt_f32_u32_e32 v20, v1
	s_branch .LBB159_2506
.LBB159_2504:
	s_mov_b32 s19, -1
                                        ; implicit-def: $vgpr20
	s_branch .LBB159_2509
.LBB159_2505:
	s_mov_b32 s19, -1
                                        ; implicit-def: $vgpr20
.LBB159_2506:
	s_delay_alu instid0(SALU_CYCLE_1)
	s_and_not1_b32 vcc_lo, exec_lo, s19
	s_cbranch_vccnz .LBB159_2508
; %bb.2507:
	global_load_u16 v1, v[22:23], off
	s_wait_loadcnt 0x0
	v_cvt_f32_u32_e32 v20, v1
.LBB159_2508:
	s_mov_b32 s19, 0
.LBB159_2509:
	s_delay_alu instid0(SALU_CYCLE_1)
	s_and_not1_b32 vcc_lo, exec_lo, s19
	s_cbranch_vccnz .LBB159_2515
; %bb.2510:
	global_load_u8 v1, v[22:23], off
	s_mov_b32 s19, 0
	s_mov_b32 s20, exec_lo
	s_wait_loadcnt 0x0
	v_cmpx_lt_i16_e32 0x7f, v1
	s_xor_b32 s20, exec_lo, s20
	s_cbranch_execnz .LBB159_2540
; %bb.2511:
	s_or_saveexec_b32 s20, s20
	v_mov_b32_e32 v20, 0x7f800001
	s_xor_b32 exec_lo, exec_lo, s20
	s_cbranch_execnz .LBB159_2543
.LBB159_2512:
	s_or_b32 exec_lo, exec_lo, s20
	s_and_saveexec_b32 s20, s19
	s_cbranch_execz .LBB159_2514
.LBB159_2513:
	v_and_b32_e32 v3, 0xffff, v1
	s_delay_alu instid0(VALU_DEP_1) | instskip(SKIP_1) | instid1(VALU_DEP_2)
	v_dual_lshlrev_b32 v1, 24, v1 :: v_dual_bitop2_b32 v5, 7, v3 bitop3:0x40
	v_bfe_u32 v11, v3, 3, 4
	v_and_b32_e32 v1, 0x80000000, v1
	s_delay_alu instid0(VALU_DEP_3) | instskip(NEXT) | instid1(VALU_DEP_3)
	v_clz_i32_u32_e32 v7, v5
	v_cmp_eq_u32_e32 vcc_lo, 0, v11
	s_delay_alu instid0(VALU_DEP_2) | instskip(NEXT) | instid1(VALU_DEP_1)
	v_min_u32_e32 v7, 32, v7
	v_subrev_nc_u32_e32 v9, 28, v7
	v_sub_nc_u32_e32 v7, 29, v7
	s_delay_alu instid0(VALU_DEP_2) | instskip(NEXT) | instid1(VALU_DEP_2)
	v_lshlrev_b32_e32 v3, v9, v3
	v_cndmask_b32_e32 v7, v11, v7, vcc_lo
	s_delay_alu instid0(VALU_DEP_2) | instskip(NEXT) | instid1(VALU_DEP_1)
	v_and_b32_e32 v3, 7, v3
	v_cndmask_b32_e32 v3, v5, v3, vcc_lo
	s_delay_alu instid0(VALU_DEP_3) | instskip(NEXT) | instid1(VALU_DEP_2)
	v_lshl_add_u32 v5, v7, 23, 0x3b800000
	v_lshlrev_b32_e32 v3, 20, v3
	s_delay_alu instid0(VALU_DEP_1)
	v_or3_b32 v20, v1, v5, v3
.LBB159_2514:
	s_or_b32 exec_lo, exec_lo, s20
.LBB159_2515:
	s_wait_xcnt 0x0
	v_mov_b32_e32 v21, 0
	s_mov_b32 s19, -1
.LBB159_2516:
	s_mov_b32 s20, 0
.LBB159_2517:
	s_delay_alu instid0(SALU_CYCLE_1)
	s_and_b32 vcc_lo, exec_lo, s20
	s_cbranch_vccnz .LBB159_2527
; %bb.2518:
	s_and_b32 vcc_lo, exec_lo, s17
	s_cbranch_vccnz .LBB159_2588
.LBB159_2519:
	s_and_not1_b32 vcc_lo, exec_lo, s18
	s_cbranch_vccnz .LBB159_2521
.LBB159_2520:
	global_load_u8 v1, v[22:23], off
	s_wait_xcnt 0x1
	v_mov_b32_e32 v21, 0
	s_mov_b32 s19, -1
	s_wait_loadcnt 0x0
	v_cmp_ne_u16_e32 vcc_lo, 0, v1
	v_cndmask_b32_e64 v20, 0, 1.0, vcc_lo
.LBB159_2521:
	s_branch .LBB159_2474
.LBB159_2522:
	s_and_b32 s16, 0xffff, s15
	s_delay_alu instid0(SALU_CYCLE_1)
	s_cmp_lt_i32 s16, 5
	s_cbranch_scc1 .LBB159_2535
; %bb.2523:
	s_cmp_lt_i32 s16, 8
	s_cbranch_scc1 .LBB159_2536
; %bb.2524:
	;; [unrolled: 3-line block ×3, first 2 shown]
	s_cmp_gt_i32 s16, 9
	s_cbranch_scc0 .LBB159_2544
; %bb.2526:
	global_load_b128 v[36:39], v[22:23], off
	s_mov_b32 s17, 0
	s_wait_loadcnt 0x0
	v_cvt_f32_f64_e32 v20, v[36:37]
	s_wait_xcnt 0x1
	v_cvt_f32_f64_e32 v21, v[38:39]
	s_branch .LBB159_2545
.LBB159_2527:
	s_cmp_gt_i32 s16, 22
	s_cbranch_scc0 .LBB159_2537
; %bb.2528:
	s_cmp_lt_i32 s16, 24
	s_cbranch_scc1 .LBB159_2539
; %bb.2529:
	s_cmp_gt_i32 s16, 24
	s_cbranch_scc0 .LBB159_2556
; %bb.2530:
	global_load_u8 v1, v[22:23], off
	s_mov_b32 s19, exec_lo
	s_wait_loadcnt 0x0
	v_cmpx_lt_i16_e32 0x7f, v1
	s_xor_b32 s19, exec_lo, s19
	s_cbranch_execnz .LBB159_2615
; %bb.2531:
	s_or_saveexec_b32 s19, s19
	v_mov_b32_e32 v20, 0x7f800001
	s_xor_b32 exec_lo, exec_lo, s19
	s_cbranch_execnz .LBB159_2618
.LBB159_2532:
	s_or_b32 exec_lo, exec_lo, s19
	s_and_saveexec_b32 s19, s18
	s_cbranch_execz .LBB159_2534
.LBB159_2533:
	v_and_b32_e32 v3, 0xffff, v1
	s_delay_alu instid0(VALU_DEP_1) | instskip(SKIP_1) | instid1(VALU_DEP_2)
	v_dual_lshlrev_b32 v1, 24, v1 :: v_dual_bitop2_b32 v5, 3, v3 bitop3:0x40
	v_bfe_u32 v11, v3, 2, 5
	v_and_b32_e32 v1, 0x80000000, v1
	s_delay_alu instid0(VALU_DEP_3) | instskip(NEXT) | instid1(VALU_DEP_3)
	v_clz_i32_u32_e32 v7, v5
	v_cmp_eq_u32_e32 vcc_lo, 0, v11
	s_delay_alu instid0(VALU_DEP_2) | instskip(NEXT) | instid1(VALU_DEP_1)
	v_min_u32_e32 v7, 32, v7
	v_subrev_nc_u32_e32 v9, 29, v7
	v_sub_nc_u32_e32 v7, 30, v7
	s_delay_alu instid0(VALU_DEP_2) | instskip(NEXT) | instid1(VALU_DEP_2)
	v_lshlrev_b32_e32 v3, v9, v3
	v_cndmask_b32_e32 v7, v11, v7, vcc_lo
	s_delay_alu instid0(VALU_DEP_2) | instskip(NEXT) | instid1(VALU_DEP_1)
	v_and_b32_e32 v3, 3, v3
	v_cndmask_b32_e32 v3, v5, v3, vcc_lo
	s_delay_alu instid0(VALU_DEP_3) | instskip(NEXT) | instid1(VALU_DEP_2)
	v_lshl_add_u32 v5, v7, 23, 0x37800000
	v_lshlrev_b32_e32 v3, 21, v3
	s_delay_alu instid0(VALU_DEP_1)
	v_or3_b32 v20, v1, v5, v3
.LBB159_2534:
	s_or_b32 exec_lo, exec_lo, s19
	s_mov_b32 s18, 0
	s_branch .LBB159_2557
.LBB159_2535:
	s_mov_b32 s17, -1
                                        ; implicit-def: $vgpr21
	s_branch .LBB159_2576
.LBB159_2536:
	s_mov_b32 s17, -1
                                        ; implicit-def: $vgpr21
	s_branch .LBB159_2551
.LBB159_2537:
	s_mov_b32 s18, -1
                                        ; implicit-def: $vgpr20
	s_branch .LBB159_2563
.LBB159_2538:
	s_mov_b32 s17, -1
                                        ; implicit-def: $vgpr21
	s_branch .LBB159_2548
.LBB159_2539:
	s_mov_b32 s18, -1
                                        ; implicit-def: $vgpr20
	s_branch .LBB159_2560
.LBB159_2540:
	s_mov_b32 s19, -1
	s_mov_b32 s21, exec_lo
	v_cmpx_eq_u16_e32 0x80, v1
; %bb.2541:
	s_xor_b32 s19, exec_lo, -1
; %bb.2542:
	s_or_b32 exec_lo, exec_lo, s21
	s_delay_alu instid0(SALU_CYCLE_1)
	s_and_b32 s19, s19, exec_lo
	s_or_saveexec_b32 s20, s20
	v_mov_b32_e32 v20, 0x7f800001
	s_xor_b32 exec_lo, exec_lo, s20
	s_cbranch_execz .LBB159_2512
.LBB159_2543:
	v_cmp_ne_u16_e32 vcc_lo, 0, v1
	v_mov_b32_e32 v20, 0
	s_and_not1_b32 s19, s19, exec_lo
	s_and_b32 s21, vcc_lo, exec_lo
	s_delay_alu instid0(SALU_CYCLE_1)
	s_or_b32 s19, s19, s21
	s_or_b32 exec_lo, exec_lo, s20
	s_and_saveexec_b32 s20, s19
	s_cbranch_execnz .LBB159_2513
	s_branch .LBB159_2514
.LBB159_2544:
	s_mov_b32 s17, -1
                                        ; implicit-def: $vgpr21
.LBB159_2545:
	s_delay_alu instid0(SALU_CYCLE_1)
	s_and_not1_b32 vcc_lo, exec_lo, s17
	s_cbranch_vccnz .LBB159_2547
; %bb.2546:
	global_load_b64 v[20:21], v[22:23], off
.LBB159_2547:
	s_mov_b32 s17, 0
.LBB159_2548:
	s_delay_alu instid0(SALU_CYCLE_1)
	s_and_not1_b32 vcc_lo, exec_lo, s17
	s_cbranch_vccnz .LBB159_2550
; %bb.2549:
	global_load_b32 v1, v[22:23], off
	s_wait_loadcnt 0x0
	v_lshrrev_b32_e32 v3, 16, v1
	v_cvt_f32_f16_e32 v20, v1
	s_wait_xcnt 0x1
	s_delay_alu instid0(VALU_DEP_2)
	v_cvt_f32_f16_e32 v21, v3
.LBB159_2550:
	s_mov_b32 s17, 0
.LBB159_2551:
	s_delay_alu instid0(SALU_CYCLE_1)
	s_and_not1_b32 vcc_lo, exec_lo, s17
	s_cbranch_vccnz .LBB159_2575
; %bb.2552:
	s_cmp_lt_i32 s16, 6
	s_cbranch_scc1 .LBB159_2555
; %bb.2553:
	s_cmp_gt_i32 s16, 6
	s_cbranch_scc0 .LBB159_2568
; %bb.2554:
	s_wait_loadcnt 0x0
	global_load_b64 v[20:21], v[22:23], off
	s_mov_b32 s17, 0
	s_wait_loadcnt 0x0
	v_cvt_f32_f64_e32 v20, v[20:21]
	s_branch .LBB159_2569
.LBB159_2555:
	s_mov_b32 s17, -1
                                        ; implicit-def: $vgpr20
	s_branch .LBB159_2572
.LBB159_2556:
	s_mov_b32 s18, -1
                                        ; implicit-def: $vgpr20
.LBB159_2557:
	s_delay_alu instid0(SALU_CYCLE_1)
	s_and_b32 vcc_lo, exec_lo, s18
	s_cbranch_vccz .LBB159_2559
; %bb.2558:
	global_load_u8 v1, v[22:23], off
	s_wait_loadcnt 0x0
	v_lshlrev_b32_e32 v1, 24, v1
	s_delay_alu instid0(VALU_DEP_1) | instskip(NEXT) | instid1(VALU_DEP_1)
	v_and_b32_e32 v3, 0x7f000000, v1
	v_clz_i32_u32_e32 v5, v3
	v_add_nc_u32_e32 v9, 0x1000000, v3
	v_cmp_ne_u32_e32 vcc_lo, 0, v3
	s_delay_alu instid0(VALU_DEP_3) | instskip(NEXT) | instid1(VALU_DEP_1)
	v_min_u32_e32 v5, 32, v5
	v_sub_nc_u32_e64 v5, v5, 4 clamp
	s_delay_alu instid0(VALU_DEP_1) | instskip(NEXT) | instid1(VALU_DEP_1)
	v_dual_lshlrev_b32 v7, v5, v3 :: v_dual_lshlrev_b32 v5, 23, v5
	v_lshrrev_b32_e32 v7, 4, v7
	s_delay_alu instid0(VALU_DEP_1) | instskip(SKIP_1) | instid1(VALU_DEP_2)
	v_sub_nc_u32_e32 v5, v7, v5
	v_ashrrev_i32_e32 v7, 8, v9
	v_add_nc_u32_e32 v5, 0x3c000000, v5
	s_delay_alu instid0(VALU_DEP_1) | instskip(NEXT) | instid1(VALU_DEP_1)
	v_and_or_b32 v5, 0x7f800000, v7, v5
	v_cndmask_b32_e32 v3, 0, v5, vcc_lo
	s_delay_alu instid0(VALU_DEP_1)
	v_and_or_b32 v20, 0x80000000, v1, v3
.LBB159_2559:
	s_mov_b32 s18, 0
.LBB159_2560:
	s_delay_alu instid0(SALU_CYCLE_1)
	s_and_not1_b32 vcc_lo, exec_lo, s18
	s_cbranch_vccnz .LBB159_2562
; %bb.2561:
	global_load_u8 v1, v[22:23], off
	s_wait_loadcnt 0x0
	v_lshlrev_b32_e32 v3, 25, v1
	v_lshlrev_b16 v1, 8, v1
	s_delay_alu instid0(VALU_DEP_1) | instskip(SKIP_1) | instid1(VALU_DEP_2)
	v_and_or_b32 v7, 0x7f00, v1, 0.5
	v_bfe_i32 v1, v1, 0, 16
	v_add_f32_e32 v7, -0.5, v7
	v_lshrrev_b32_e32 v5, 4, v3
	v_cmp_gt_u32_e32 vcc_lo, 0x8000000, v3
	s_delay_alu instid0(VALU_DEP_2) | instskip(NEXT) | instid1(VALU_DEP_1)
	v_or_b32_e32 v5, 0x70000000, v5
	v_mul_f32_e32 v5, 0x7800000, v5
	s_delay_alu instid0(VALU_DEP_1) | instskip(NEXT) | instid1(VALU_DEP_1)
	v_cndmask_b32_e32 v3, v5, v7, vcc_lo
	v_and_or_b32 v20, 0x80000000, v1, v3
.LBB159_2562:
	s_mov_b32 s18, 0
	s_mov_b32 s19, -1
.LBB159_2563:
	s_and_not1_b32 vcc_lo, exec_lo, s18
	s_mov_b32 s18, 0
	s_cbranch_vccnz .LBB159_2587
; %bb.2564:
	s_cmp_gt_i32 s16, 14
	s_cbranch_scc0 .LBB159_2567
; %bb.2565:
	s_cmp_eq_u32 s16, 15
	s_cbranch_scc0 .LBB159_2583
; %bb.2566:
	global_load_u16 v1, v[22:23], off
	s_mov_b32 s17, 0
	s_mov_b32 s19, -1
	s_wait_loadcnt 0x0
	v_lshlrev_b32_e32 v20, 16, v1
	s_branch .LBB159_2585
.LBB159_2567:
	s_mov_b32 s18, -1
	s_branch .LBB159_2584
.LBB159_2568:
	s_mov_b32 s17, -1
                                        ; implicit-def: $vgpr20
.LBB159_2569:
	s_delay_alu instid0(SALU_CYCLE_1)
	s_and_not1_b32 vcc_lo, exec_lo, s17
	s_cbranch_vccnz .LBB159_2571
; %bb.2570:
	s_wait_loadcnt 0x0
	global_load_b32 v20, v[22:23], off
.LBB159_2571:
	s_mov_b32 s17, 0
.LBB159_2572:
	s_delay_alu instid0(SALU_CYCLE_1)
	s_and_not1_b32 vcc_lo, exec_lo, s17
	s_cbranch_vccnz .LBB159_2574
; %bb.2573:
	global_load_u16 v1, v[22:23], off
	s_wait_loadcnt 0x0
	v_cvt_f32_f16_e32 v20, v1
.LBB159_2574:
	s_wait_loadcnt 0x0
	v_mov_b32_e32 v21, 0
.LBB159_2575:
	s_mov_b32 s17, 0
.LBB159_2576:
	s_delay_alu instid0(SALU_CYCLE_1)
	s_and_not1_b32 vcc_lo, exec_lo, s17
	s_cbranch_vccnz .LBB159_2603
; %bb.2577:
	s_cmp_lt_i32 s16, 2
	s_cbranch_scc1 .LBB159_2581
; %bb.2578:
	s_cmp_lt_i32 s16, 3
	s_cbranch_scc1 .LBB159_2582
; %bb.2579:
	s_cmp_gt_i32 s16, 3
	s_cbranch_scc0 .LBB159_2589
; %bb.2580:
	s_wait_loadcnt 0x0
	global_load_b64 v[20:21], v[22:23], off
	s_mov_b32 s17, 0
	s_wait_loadcnt 0x0
	v_xor_b32_e32 v1, v20, v21
	v_cls_i32_e32 v3, v21
	s_delay_alu instid0(VALU_DEP_2) | instskip(NEXT) | instid1(VALU_DEP_1)
	v_ashrrev_i32_e32 v1, 31, v1
	v_add_nc_u32_e32 v1, 32, v1
	s_delay_alu instid0(VALU_DEP_1) | instskip(NEXT) | instid1(VALU_DEP_1)
	v_add_min_u32_e64 v1, v3, -1, v1
	v_lshlrev_b64_e32 v[20:21], v1, v[20:21]
	v_sub_nc_u32_e32 v1, 32, v1
	s_delay_alu instid0(VALU_DEP_2) | instskip(NEXT) | instid1(VALU_DEP_1)
	v_min_u32_e32 v3, 1, v20
	v_or_b32_e32 v3, v21, v3
	s_delay_alu instid0(VALU_DEP_1) | instskip(NEXT) | instid1(VALU_DEP_1)
	v_cvt_f32_i32_e32 v3, v3
	v_ldexp_f32 v20, v3, v1
	s_branch .LBB159_2590
.LBB159_2581:
	s_mov_b32 s17, -1
                                        ; implicit-def: $vgpr20
	s_branch .LBB159_2596
.LBB159_2582:
	s_mov_b32 s17, -1
                                        ; implicit-def: $vgpr20
	s_branch .LBB159_2593
.LBB159_2583:
	s_mov_b32 s17, -1
.LBB159_2584:
                                        ; implicit-def: $vgpr20
.LBB159_2585:
	s_and_b32 vcc_lo, exec_lo, s18
	s_mov_b32 s18, 0
	s_cbranch_vccz .LBB159_2587
; %bb.2586:
	s_cmp_lg_u32 s16, 11
	s_mov_b32 s18, -1
	s_cselect_b32 s17, -1, 0
.LBB159_2587:
	s_wait_xcnt 0x0
	v_mov_b32_e32 v21, 0
	s_and_b32 vcc_lo, exec_lo, s17
	s_cbranch_vccz .LBB159_2519
.LBB159_2588:
	s_or_b32 s14, s14, exec_lo
	s_trap 2
	s_cbranch_execz .LBB159_2520
	s_branch .LBB159_2521
.LBB159_2589:
	s_mov_b32 s17, -1
                                        ; implicit-def: $vgpr20
.LBB159_2590:
	s_delay_alu instid0(SALU_CYCLE_1)
	s_and_not1_b32 vcc_lo, exec_lo, s17
	s_cbranch_vccnz .LBB159_2592
; %bb.2591:
	global_load_b32 v1, v[22:23], off
	s_wait_loadcnt 0x0
	v_cvt_f32_i32_e32 v20, v1
.LBB159_2592:
	s_mov_b32 s17, 0
.LBB159_2593:
	s_delay_alu instid0(SALU_CYCLE_1)
	s_and_not1_b32 vcc_lo, exec_lo, s17
	s_cbranch_vccnz .LBB159_2595
; %bb.2594:
	global_load_i16 v1, v[22:23], off
	s_wait_loadcnt 0x0
	v_cvt_f32_i32_e32 v20, v1
.LBB159_2595:
	s_mov_b32 s17, 0
.LBB159_2596:
	s_delay_alu instid0(SALU_CYCLE_1)
	s_and_not1_b32 vcc_lo, exec_lo, s17
	s_cbranch_vccnz .LBB159_2602
; %bb.2597:
	s_cmp_gt_i32 s16, 0
	s_mov_b32 s16, 0
	s_cbranch_scc0 .LBB159_2599
; %bb.2598:
	global_load_i8 v1, v[22:23], off
	s_wait_loadcnt 0x0
	v_cvt_f32_i32_e32 v20, v1
	s_branch .LBB159_2600
.LBB159_2599:
	s_mov_b32 s16, -1
                                        ; implicit-def: $vgpr20
.LBB159_2600:
	s_delay_alu instid0(SALU_CYCLE_1)
	s_and_not1_b32 vcc_lo, exec_lo, s16
	s_cbranch_vccnz .LBB159_2602
; %bb.2601:
	global_load_u8 v1, v[22:23], off
	s_wait_loadcnt 0x0
	v_cvt_f32_ubyte0_e32 v20, v1
.LBB159_2602:
	s_wait_loadcnt 0x0
	v_mov_b32_e32 v21, 0
.LBB159_2603:
.LBB159_2604:
	v_mov_b32_e32 v19, 0
	s_and_b32 s10, 0xffff, s10
	s_delay_alu instid0(SALU_CYCLE_1) | instskip(NEXT) | instid1(VALU_DEP_1)
	s_cmp_lt_i32 s10, 11
	v_add_nc_u64_e32 v[36:37], s[6:7], v[18:19]
	s_cbranch_scc1 .LBB159_2611
; %bb.2605:
	s_cmp_gt_i32 s10, 25
	s_mov_b32 s17, 0
	s_cbranch_scc0 .LBB159_2612
; %bb.2606:
	s_cmp_gt_i32 s10, 28
	s_cbranch_scc0 .LBB159_2613
; %bb.2607:
	s_cmp_gt_i32 s10, 43
	;; [unrolled: 3-line block ×3, first 2 shown]
	s_cbranch_scc0 .LBB159_2619
; %bb.2609:
	s_cmp_eq_u32 s10, 46
	s_mov_b32 s19, 0
	s_cbranch_scc0 .LBB159_2620
; %bb.2610:
	global_load_b32 v1, v[36:37], off
	s_mov_b32 s16, 0
	s_mov_b32 s18, -1
	s_wait_loadcnt 0x0
	s_wait_xcnt 0x1
	v_and_b32_e32 v22, 0xffff0000, v1
	v_lshlrev_b32_e32 v18, 16, v1
	s_branch .LBB159_2622
.LBB159_2611:
	s_mov_b32 s16, -1
	s_mov_b32 s18, 0
                                        ; implicit-def: $vgpr22
                                        ; implicit-def: $vgpr18
	s_branch .LBB159_2656
.LBB159_2612:
	s_mov_b32 s19, -1
	s_mov_b32 s18, 0
	s_mov_b32 s16, 0
                                        ; implicit-def: $vgpr22
                                        ; implicit-def: $vgpr18
	s_branch .LBB159_2651
.LBB159_2613:
	s_mov_b32 s19, -1
	s_mov_b32 s18, 0
	s_mov_b32 s16, 0
                                        ; implicit-def: $vgpr22
                                        ; implicit-def: $vgpr18
	s_branch .LBB159_2634
.LBB159_2614:
	s_mov_b32 s19, -1
	s_mov_b32 s18, 0
	s_mov_b32 s16, 0
                                        ; implicit-def: $vgpr22
                                        ; implicit-def: $vgpr18
	s_branch .LBB159_2628
.LBB159_2615:
	s_mov_b32 s18, -1
	s_mov_b32 s20, exec_lo
	v_cmpx_eq_u16_e32 0x80, v1
; %bb.2616:
	s_xor_b32 s18, exec_lo, -1
; %bb.2617:
	s_or_b32 exec_lo, exec_lo, s20
	s_delay_alu instid0(SALU_CYCLE_1)
	s_and_b32 s18, s18, exec_lo
	s_or_saveexec_b32 s19, s19
	v_mov_b32_e32 v20, 0x7f800001
	s_xor_b32 exec_lo, exec_lo, s19
	s_cbranch_execz .LBB159_2532
.LBB159_2618:
	v_cmp_ne_u16_e32 vcc_lo, 0, v1
	v_mov_b32_e32 v20, 0
	s_and_not1_b32 s18, s18, exec_lo
	s_and_b32 s20, vcc_lo, exec_lo
	s_delay_alu instid0(SALU_CYCLE_1)
	s_or_b32 s18, s18, s20
	s_or_b32 exec_lo, exec_lo, s19
	s_and_saveexec_b32 s19, s18
	s_cbranch_execnz .LBB159_2533
	s_branch .LBB159_2534
.LBB159_2619:
	s_mov_b32 s19, -1
	s_mov_b32 s18, 0
	s_mov_b32 s16, 0
	s_branch .LBB159_2621
.LBB159_2620:
	s_mov_b32 s16, -1
	s_mov_b32 s18, 0
.LBB159_2621:
                                        ; implicit-def: $vgpr22
                                        ; implicit-def: $vgpr18
.LBB159_2622:
	s_and_b32 vcc_lo, exec_lo, s19
	s_cbranch_vccz .LBB159_2627
; %bb.2623:
	s_cmp_eq_u32 s10, 44
	s_cbranch_scc0 .LBB159_2625
; %bb.2624:
	global_load_u8 v1, v[36:37], off
	s_mov_b32 s16, 0
	s_mov_b32 s18, -1
	s_wait_loadcnt 0x0
	v_lshlrev_b32_e32 v3, 23, v1
	v_cmp_ne_u32_e32 vcc_lo, 0xff, v1
	s_delay_alu instid0(VALU_DEP_2) | instskip(SKIP_1) | instid1(VALU_DEP_2)
	v_cndmask_b32_e32 v3, 0x7f800001, v3, vcc_lo
	v_cmp_ne_u32_e32 vcc_lo, 0, v1
	v_cndmask_b32_e32 v18, 0x400000, v3, vcc_lo
	s_branch .LBB159_2626
.LBB159_2625:
	s_mov_b32 s16, -1
                                        ; implicit-def: $vgpr18
.LBB159_2626:
	s_wait_xcnt 0x0
	v_mov_b32_e32 v22, 0
.LBB159_2627:
	s_mov_b32 s19, 0
.LBB159_2628:
	s_delay_alu instid0(SALU_CYCLE_1)
	s_and_b32 vcc_lo, exec_lo, s19
	s_cbranch_vccz .LBB159_2633
; %bb.2629:
	s_cmp_eq_u32 s10, 29
	s_cbranch_scc0 .LBB159_2631
; %bb.2630:
	global_load_b64 v[18:19], v[36:37], off
	s_mov_b32 s16, 0
	s_mov_b32 s18, -1
	s_wait_loadcnt 0x0
	v_clz_i32_u32_e32 v1, v19
	s_delay_alu instid0(VALU_DEP_1) | instskip(NEXT) | instid1(VALU_DEP_1)
	v_min_u32_e32 v1, 32, v1
	v_lshlrev_b64_e32 v[18:19], v1, v[18:19]
	v_sub_nc_u32_e32 v1, 32, v1
	s_delay_alu instid0(VALU_DEP_2) | instskip(NEXT) | instid1(VALU_DEP_1)
	v_min_u32_e32 v3, 1, v18
	v_or_b32_e32 v3, v19, v3
	s_delay_alu instid0(VALU_DEP_1) | instskip(NEXT) | instid1(VALU_DEP_1)
	v_cvt_f32_u32_e32 v3, v3
	v_ldexp_f32 v18, v3, v1
	s_branch .LBB159_2632
.LBB159_2631:
	s_mov_b32 s16, -1
                                        ; implicit-def: $vgpr18
.LBB159_2632:
	s_wait_xcnt 0x0
	v_mov_b32_e32 v22, 0
.LBB159_2633:
	s_mov_b32 s19, 0
.LBB159_2634:
	s_delay_alu instid0(SALU_CYCLE_1)
	s_and_b32 vcc_lo, exec_lo, s19
	s_cbranch_vccz .LBB159_2650
; %bb.2635:
	s_cmp_lt_i32 s10, 27
	s_cbranch_scc1 .LBB159_2638
; %bb.2636:
	s_cmp_gt_i32 s10, 27
	s_cbranch_scc0 .LBB159_2639
; %bb.2637:
	global_load_b32 v1, v[36:37], off
	s_mov_b32 s18, 0
	s_wait_loadcnt 0x0
	v_cvt_f32_u32_e32 v18, v1
	s_branch .LBB159_2640
.LBB159_2638:
	s_mov_b32 s18, -1
                                        ; implicit-def: $vgpr18
	s_branch .LBB159_2643
.LBB159_2639:
	s_mov_b32 s18, -1
                                        ; implicit-def: $vgpr18
.LBB159_2640:
	s_delay_alu instid0(SALU_CYCLE_1)
	s_and_not1_b32 vcc_lo, exec_lo, s18
	s_cbranch_vccnz .LBB159_2642
; %bb.2641:
	global_load_u16 v1, v[36:37], off
	s_wait_loadcnt 0x0
	v_cvt_f32_u32_e32 v18, v1
.LBB159_2642:
	s_mov_b32 s18, 0
.LBB159_2643:
	s_delay_alu instid0(SALU_CYCLE_1)
	s_and_not1_b32 vcc_lo, exec_lo, s18
	s_cbranch_vccnz .LBB159_2649
; %bb.2644:
	global_load_u8 v1, v[36:37], off
	s_mov_b32 s18, 0
	s_mov_b32 s19, exec_lo
	s_wait_loadcnt 0x0
	v_cmpx_lt_i16_e32 0x7f, v1
	s_xor_b32 s19, exec_lo, s19
	s_cbranch_execnz .LBB159_2675
; %bb.2645:
	s_or_saveexec_b32 s19, s19
	v_mov_b32_e32 v18, 0x7f800001
	s_xor_b32 exec_lo, exec_lo, s19
	s_cbranch_execnz .LBB159_2678
.LBB159_2646:
	s_or_b32 exec_lo, exec_lo, s19
	s_and_saveexec_b32 s19, s18
	s_cbranch_execz .LBB159_2648
.LBB159_2647:
	v_and_b32_e32 v3, 0xffff, v1
	s_delay_alu instid0(VALU_DEP_1) | instskip(SKIP_1) | instid1(VALU_DEP_2)
	v_dual_lshlrev_b32 v1, 24, v1 :: v_dual_bitop2_b32 v5, 7, v3 bitop3:0x40
	v_bfe_u32 v11, v3, 3, 4
	v_and_b32_e32 v1, 0x80000000, v1
	s_delay_alu instid0(VALU_DEP_3) | instskip(NEXT) | instid1(VALU_DEP_3)
	v_clz_i32_u32_e32 v7, v5
	v_cmp_eq_u32_e32 vcc_lo, 0, v11
	s_delay_alu instid0(VALU_DEP_2) | instskip(NEXT) | instid1(VALU_DEP_1)
	v_min_u32_e32 v7, 32, v7
	v_subrev_nc_u32_e32 v9, 28, v7
	v_sub_nc_u32_e32 v7, 29, v7
	s_delay_alu instid0(VALU_DEP_2) | instskip(NEXT) | instid1(VALU_DEP_2)
	v_lshlrev_b32_e32 v3, v9, v3
	v_cndmask_b32_e32 v7, v11, v7, vcc_lo
	s_delay_alu instid0(VALU_DEP_2) | instskip(NEXT) | instid1(VALU_DEP_1)
	v_and_b32_e32 v3, 7, v3
	v_cndmask_b32_e32 v3, v5, v3, vcc_lo
	s_delay_alu instid0(VALU_DEP_3) | instskip(NEXT) | instid1(VALU_DEP_2)
	v_lshl_add_u32 v5, v7, 23, 0x3b800000
	v_lshlrev_b32_e32 v3, 20, v3
	s_delay_alu instid0(VALU_DEP_1)
	v_or3_b32 v18, v1, v5, v3
.LBB159_2648:
	s_or_b32 exec_lo, exec_lo, s19
.LBB159_2649:
	s_wait_xcnt 0x0
	v_mov_b32_e32 v22, 0
	s_mov_b32 s18, -1
.LBB159_2650:
	s_mov_b32 s19, 0
.LBB159_2651:
	s_delay_alu instid0(SALU_CYCLE_1)
	s_and_b32 vcc_lo, exec_lo, s19
	s_cbranch_vccnz .LBB159_2662
; %bb.2652:
	s_and_b32 vcc_lo, exec_lo, s16
	s_cbranch_vccnz .LBB159_2723
.LBB159_2653:
	s_and_not1_b32 vcc_lo, exec_lo, s17
	s_cbranch_vccnz .LBB159_2655
.LBB159_2654:
	global_load_u8 v1, v[36:37], off
	s_wait_xcnt 0x1
	v_mov_b32_e32 v22, 0
	s_mov_b32 s18, -1
	s_wait_loadcnt 0x0
	v_cmp_ne_u16_e32 vcc_lo, 0, v1
	v_cndmask_b32_e64 v18, 0, 1.0, vcc_lo
.LBB159_2655:
	s_mov_b32 s16, 0
.LBB159_2656:
	s_delay_alu instid0(SALU_CYCLE_1)
	s_and_b32 vcc_lo, exec_lo, s16
	s_cbranch_vccz .LBB159_2739
; %bb.2657:
	s_cmp_lt_i32 s10, 5
	s_cbranch_scc1 .LBB159_2670
; %bb.2658:
	s_cmp_lt_i32 s10, 8
	s_cbranch_scc1 .LBB159_2671
	;; [unrolled: 3-line block ×3, first 2 shown]
; %bb.2660:
	s_cmp_gt_i32 s10, 9
	s_cbranch_scc0 .LBB159_2679
; %bb.2661:
	global_load_b128 v[38:41], v[36:37], off
	s_mov_b32 s16, 0
	s_wait_loadcnt 0x0
	v_cvt_f32_f64_e32 v18, v[38:39]
	s_wait_xcnt 0x1
	v_cvt_f32_f64_e32 v22, v[40:41]
	s_branch .LBB159_2680
.LBB159_2662:
	s_cmp_gt_i32 s10, 22
	s_cbranch_scc0 .LBB159_2672
; %bb.2663:
	s_cmp_lt_i32 s10, 24
	s_cbranch_scc1 .LBB159_2674
; %bb.2664:
	s_cmp_gt_i32 s10, 24
	s_cbranch_scc0 .LBB159_2691
; %bb.2665:
	global_load_u8 v1, v[36:37], off
	s_mov_b32 s18, exec_lo
	s_wait_loadcnt 0x0
	v_cmpx_lt_i16_e32 0x7f, v1
	s_xor_b32 s18, exec_lo, s18
	s_cbranch_execnz .LBB159_2751
; %bb.2666:
	s_or_saveexec_b32 s18, s18
	v_mov_b32_e32 v18, 0x7f800001
	s_xor_b32 exec_lo, exec_lo, s18
	s_cbranch_execnz .LBB159_2754
.LBB159_2667:
	s_or_b32 exec_lo, exec_lo, s18
	s_and_saveexec_b32 s18, s17
	s_cbranch_execz .LBB159_2669
.LBB159_2668:
	v_and_b32_e32 v3, 0xffff, v1
	s_delay_alu instid0(VALU_DEP_1) | instskip(SKIP_1) | instid1(VALU_DEP_2)
	v_dual_lshlrev_b32 v1, 24, v1 :: v_dual_bitop2_b32 v5, 3, v3 bitop3:0x40
	v_bfe_u32 v11, v3, 2, 5
	v_and_b32_e32 v1, 0x80000000, v1
	s_delay_alu instid0(VALU_DEP_3) | instskip(NEXT) | instid1(VALU_DEP_3)
	v_clz_i32_u32_e32 v7, v5
	v_cmp_eq_u32_e32 vcc_lo, 0, v11
	s_delay_alu instid0(VALU_DEP_2) | instskip(NEXT) | instid1(VALU_DEP_1)
	v_min_u32_e32 v7, 32, v7
	v_subrev_nc_u32_e32 v9, 29, v7
	v_sub_nc_u32_e32 v7, 30, v7
	s_delay_alu instid0(VALU_DEP_2) | instskip(NEXT) | instid1(VALU_DEP_2)
	v_lshlrev_b32_e32 v3, v9, v3
	v_cndmask_b32_e32 v7, v11, v7, vcc_lo
	s_delay_alu instid0(VALU_DEP_2) | instskip(NEXT) | instid1(VALU_DEP_1)
	v_and_b32_e32 v3, 3, v3
	v_cndmask_b32_e32 v3, v5, v3, vcc_lo
	s_delay_alu instid0(VALU_DEP_3) | instskip(NEXT) | instid1(VALU_DEP_2)
	v_lshl_add_u32 v5, v7, 23, 0x37800000
	v_lshlrev_b32_e32 v3, 21, v3
	s_delay_alu instid0(VALU_DEP_1)
	v_or3_b32 v18, v1, v5, v3
.LBB159_2669:
	s_or_b32 exec_lo, exec_lo, s18
	s_mov_b32 s17, 0
	s_branch .LBB159_2692
.LBB159_2670:
	s_mov_b32 s16, -1
                                        ; implicit-def: $vgpr22
                                        ; implicit-def: $vgpr18
	s_branch .LBB159_2711
.LBB159_2671:
	s_mov_b32 s16, -1
                                        ; implicit-def: $vgpr22
                                        ; implicit-def: $vgpr18
	s_branch .LBB159_2686
.LBB159_2672:
	s_mov_b32 s17, -1
                                        ; implicit-def: $vgpr18
	s_branch .LBB159_2698
.LBB159_2673:
	s_mov_b32 s16, -1
                                        ; implicit-def: $vgpr22
                                        ; implicit-def: $vgpr18
	s_branch .LBB159_2683
.LBB159_2674:
	s_mov_b32 s17, -1
                                        ; implicit-def: $vgpr18
	s_branch .LBB159_2695
.LBB159_2675:
	s_mov_b32 s18, -1
	s_mov_b32 s20, exec_lo
	v_cmpx_eq_u16_e32 0x80, v1
; %bb.2676:
	s_xor_b32 s18, exec_lo, -1
; %bb.2677:
	s_or_b32 exec_lo, exec_lo, s20
	s_delay_alu instid0(SALU_CYCLE_1)
	s_and_b32 s18, s18, exec_lo
	s_or_saveexec_b32 s19, s19
	v_mov_b32_e32 v18, 0x7f800001
	s_xor_b32 exec_lo, exec_lo, s19
	s_cbranch_execz .LBB159_2646
.LBB159_2678:
	v_cmp_ne_u16_e32 vcc_lo, 0, v1
	v_mov_b32_e32 v18, 0
	s_and_not1_b32 s18, s18, exec_lo
	s_and_b32 s20, vcc_lo, exec_lo
	s_delay_alu instid0(SALU_CYCLE_1)
	s_or_b32 s18, s18, s20
	s_or_b32 exec_lo, exec_lo, s19
	s_and_saveexec_b32 s19, s18
	s_cbranch_execnz .LBB159_2647
	s_branch .LBB159_2648
.LBB159_2679:
	s_mov_b32 s16, -1
                                        ; implicit-def: $vgpr22
                                        ; implicit-def: $vgpr18
.LBB159_2680:
	s_delay_alu instid0(SALU_CYCLE_1)
	s_and_not1_b32 vcc_lo, exec_lo, s16
	s_cbranch_vccnz .LBB159_2682
; %bb.2681:
	global_load_b64 v[18:19], v[36:37], off
	s_wait_loadcnt 0x0
	s_wait_xcnt 0x1
	v_mov_b32_e32 v22, v19
.LBB159_2682:
	s_mov_b32 s16, 0
.LBB159_2683:
	s_delay_alu instid0(SALU_CYCLE_1)
	s_and_not1_b32 vcc_lo, exec_lo, s16
	s_cbranch_vccnz .LBB159_2685
; %bb.2684:
	global_load_b32 v1, v[36:37], off
	s_wait_loadcnt 0x0
	v_lshrrev_b32_e32 v3, 16, v1
	v_cvt_f32_f16_e32 v18, v1
	s_wait_xcnt 0x1
	s_delay_alu instid0(VALU_DEP_2)
	v_cvt_f32_f16_e32 v22, v3
.LBB159_2685:
	s_mov_b32 s16, 0
.LBB159_2686:
	s_delay_alu instid0(SALU_CYCLE_1)
	s_and_not1_b32 vcc_lo, exec_lo, s16
	s_cbranch_vccnz .LBB159_2710
; %bb.2687:
	s_cmp_lt_i32 s10, 6
	s_cbranch_scc1 .LBB159_2690
; %bb.2688:
	s_cmp_gt_i32 s10, 6
	s_cbranch_scc0 .LBB159_2703
; %bb.2689:
	global_load_b64 v[18:19], v[36:37], off
	s_mov_b32 s16, 0
	s_wait_loadcnt 0x0
	v_cvt_f32_f64_e32 v18, v[18:19]
	s_branch .LBB159_2704
.LBB159_2690:
	s_mov_b32 s16, -1
                                        ; implicit-def: $vgpr18
	s_branch .LBB159_2707
.LBB159_2691:
	s_mov_b32 s17, -1
                                        ; implicit-def: $vgpr18
.LBB159_2692:
	s_delay_alu instid0(SALU_CYCLE_1)
	s_and_b32 vcc_lo, exec_lo, s17
	s_cbranch_vccz .LBB159_2694
; %bb.2693:
	global_load_u8 v1, v[36:37], off
	s_wait_loadcnt 0x0
	v_lshlrev_b32_e32 v1, 24, v1
	s_delay_alu instid0(VALU_DEP_1) | instskip(NEXT) | instid1(VALU_DEP_1)
	v_and_b32_e32 v3, 0x7f000000, v1
	v_clz_i32_u32_e32 v5, v3
	v_add_nc_u32_e32 v9, 0x1000000, v3
	v_cmp_ne_u32_e32 vcc_lo, 0, v3
	s_delay_alu instid0(VALU_DEP_3) | instskip(NEXT) | instid1(VALU_DEP_1)
	v_min_u32_e32 v5, 32, v5
	v_sub_nc_u32_e64 v5, v5, 4 clamp
	s_delay_alu instid0(VALU_DEP_1) | instskip(NEXT) | instid1(VALU_DEP_1)
	v_dual_lshlrev_b32 v7, v5, v3 :: v_dual_lshlrev_b32 v5, 23, v5
	v_lshrrev_b32_e32 v7, 4, v7
	s_delay_alu instid0(VALU_DEP_1) | instskip(SKIP_1) | instid1(VALU_DEP_2)
	v_sub_nc_u32_e32 v5, v7, v5
	v_ashrrev_i32_e32 v7, 8, v9
	v_add_nc_u32_e32 v5, 0x3c000000, v5
	s_delay_alu instid0(VALU_DEP_1) | instskip(NEXT) | instid1(VALU_DEP_1)
	v_and_or_b32 v5, 0x7f800000, v7, v5
	v_cndmask_b32_e32 v3, 0, v5, vcc_lo
	s_delay_alu instid0(VALU_DEP_1)
	v_and_or_b32 v18, 0x80000000, v1, v3
.LBB159_2694:
	s_mov_b32 s17, 0
.LBB159_2695:
	s_delay_alu instid0(SALU_CYCLE_1)
	s_and_not1_b32 vcc_lo, exec_lo, s17
	s_cbranch_vccnz .LBB159_2697
; %bb.2696:
	global_load_u8 v1, v[36:37], off
	s_wait_loadcnt 0x0
	v_lshlrev_b32_e32 v3, 25, v1
	v_lshlrev_b16 v1, 8, v1
	s_delay_alu instid0(VALU_DEP_1) | instskip(SKIP_1) | instid1(VALU_DEP_2)
	v_and_or_b32 v7, 0x7f00, v1, 0.5
	v_bfe_i32 v1, v1, 0, 16
	v_add_f32_e32 v7, -0.5, v7
	v_lshrrev_b32_e32 v5, 4, v3
	v_cmp_gt_u32_e32 vcc_lo, 0x8000000, v3
	s_delay_alu instid0(VALU_DEP_2) | instskip(NEXT) | instid1(VALU_DEP_1)
	v_or_b32_e32 v5, 0x70000000, v5
	v_mul_f32_e32 v5, 0x7800000, v5
	s_delay_alu instid0(VALU_DEP_1) | instskip(NEXT) | instid1(VALU_DEP_1)
	v_cndmask_b32_e32 v3, v5, v7, vcc_lo
	v_and_or_b32 v18, 0x80000000, v1, v3
.LBB159_2697:
	s_mov_b32 s17, 0
	s_mov_b32 s18, -1
.LBB159_2698:
	s_and_not1_b32 vcc_lo, exec_lo, s17
	s_mov_b32 s17, 0
	s_cbranch_vccnz .LBB159_2722
; %bb.2699:
	s_cmp_gt_i32 s10, 14
	s_cbranch_scc0 .LBB159_2702
; %bb.2700:
	s_cmp_eq_u32 s10, 15
	s_cbranch_scc0 .LBB159_2718
; %bb.2701:
	global_load_u16 v1, v[36:37], off
	s_mov_b32 s16, 0
	s_mov_b32 s18, -1
	s_wait_loadcnt 0x0
	v_lshlrev_b32_e32 v18, 16, v1
	s_branch .LBB159_2720
.LBB159_2702:
	s_mov_b32 s17, -1
	s_branch .LBB159_2719
.LBB159_2703:
	s_mov_b32 s16, -1
                                        ; implicit-def: $vgpr18
.LBB159_2704:
	s_delay_alu instid0(SALU_CYCLE_1)
	s_and_not1_b32 vcc_lo, exec_lo, s16
	s_cbranch_vccnz .LBB159_2706
; %bb.2705:
	global_load_b32 v18, v[36:37], off
.LBB159_2706:
	s_mov_b32 s16, 0
.LBB159_2707:
	s_delay_alu instid0(SALU_CYCLE_1)
	s_and_not1_b32 vcc_lo, exec_lo, s16
	s_cbranch_vccnz .LBB159_2709
; %bb.2708:
	global_load_u16 v1, v[36:37], off
	s_wait_loadcnt 0x0
	v_cvt_f32_f16_e32 v18, v1
.LBB159_2709:
	s_wait_xcnt 0x0
	v_mov_b32_e32 v22, 0
.LBB159_2710:
	s_mov_b32 s16, 0
.LBB159_2711:
	s_delay_alu instid0(SALU_CYCLE_1)
	s_and_not1_b32 vcc_lo, exec_lo, s16
	s_cbranch_vccnz .LBB159_2738
; %bb.2712:
	s_cmp_lt_i32 s10, 2
	s_cbranch_scc1 .LBB159_2716
; %bb.2713:
	s_cmp_lt_i32 s10, 3
	s_cbranch_scc1 .LBB159_2717
; %bb.2714:
	s_cmp_gt_i32 s10, 3
	s_cbranch_scc0 .LBB159_2724
; %bb.2715:
	s_wait_loadcnt 0x0
	global_load_b64 v[18:19], v[36:37], off
	s_mov_b32 s16, 0
	s_wait_loadcnt 0x0
	v_xor_b32_e32 v1, v18, v19
	v_cls_i32_e32 v3, v19
	s_delay_alu instid0(VALU_DEP_2) | instskip(NEXT) | instid1(VALU_DEP_1)
	v_ashrrev_i32_e32 v1, 31, v1
	v_add_nc_u32_e32 v1, 32, v1
	s_delay_alu instid0(VALU_DEP_1) | instskip(NEXT) | instid1(VALU_DEP_1)
	v_add_min_u32_e64 v1, v3, -1, v1
	v_lshlrev_b64_e32 v[18:19], v1, v[18:19]
	v_sub_nc_u32_e32 v1, 32, v1
	s_delay_alu instid0(VALU_DEP_2) | instskip(NEXT) | instid1(VALU_DEP_1)
	v_min_u32_e32 v3, 1, v18
	v_or_b32_e32 v3, v19, v3
	s_delay_alu instid0(VALU_DEP_1) | instskip(NEXT) | instid1(VALU_DEP_1)
	v_cvt_f32_i32_e32 v3, v3
	v_ldexp_f32 v18, v3, v1
	s_branch .LBB159_2725
.LBB159_2716:
	s_mov_b32 s16, -1
                                        ; implicit-def: $vgpr18
	s_branch .LBB159_2731
.LBB159_2717:
	s_mov_b32 s16, -1
                                        ; implicit-def: $vgpr18
	s_branch .LBB159_2728
.LBB159_2718:
	s_mov_b32 s16, -1
.LBB159_2719:
                                        ; implicit-def: $vgpr18
.LBB159_2720:
	s_and_b32 vcc_lo, exec_lo, s17
	s_mov_b32 s17, 0
	s_cbranch_vccz .LBB159_2722
; %bb.2721:
	s_cmp_lg_u32 s10, 11
	s_mov_b32 s17, -1
	s_cselect_b32 s16, -1, 0
.LBB159_2722:
	s_wait_xcnt 0x0
	v_mov_b32_e32 v22, 0
	s_and_b32 vcc_lo, exec_lo, s16
	s_cbranch_vccz .LBB159_2653
.LBB159_2723:
	s_or_b32 s14, s14, exec_lo
	s_trap 2
	s_cbranch_execz .LBB159_2654
	s_branch .LBB159_2655
.LBB159_2724:
	s_mov_b32 s16, -1
                                        ; implicit-def: $vgpr18
.LBB159_2725:
	s_delay_alu instid0(SALU_CYCLE_1)
	s_and_not1_b32 vcc_lo, exec_lo, s16
	s_cbranch_vccnz .LBB159_2727
; %bb.2726:
	global_load_b32 v1, v[36:37], off
	s_wait_loadcnt 0x0
	v_cvt_f32_i32_e32 v18, v1
.LBB159_2727:
	s_mov_b32 s16, 0
.LBB159_2728:
	s_delay_alu instid0(SALU_CYCLE_1)
	s_and_not1_b32 vcc_lo, exec_lo, s16
	s_cbranch_vccnz .LBB159_2730
; %bb.2729:
	global_load_i16 v1, v[36:37], off
	s_wait_loadcnt 0x0
	v_cvt_f32_i32_e32 v18, v1
.LBB159_2730:
	s_mov_b32 s16, 0
.LBB159_2731:
	s_delay_alu instid0(SALU_CYCLE_1)
	s_and_not1_b32 vcc_lo, exec_lo, s16
	s_cbranch_vccnz .LBB159_2737
; %bb.2732:
	s_cmp_gt_i32 s10, 0
	s_mov_b32 s16, 0
	s_cbranch_scc0 .LBB159_2734
; %bb.2733:
	global_load_i8 v1, v[36:37], off
	s_wait_loadcnt 0x0
	v_cvt_f32_i32_e32 v18, v1
	s_branch .LBB159_2735
.LBB159_2734:
	s_mov_b32 s16, -1
                                        ; implicit-def: $vgpr18
.LBB159_2735:
	s_delay_alu instid0(SALU_CYCLE_1)
	s_and_not1_b32 vcc_lo, exec_lo, s16
	s_cbranch_vccnz .LBB159_2737
; %bb.2736:
	global_load_u8 v1, v[36:37], off
	s_wait_loadcnt 0x0
	v_cvt_f32_ubyte0_e32 v18, v1
.LBB159_2737:
	s_wait_xcnt 0x0
	v_mov_b32_e32 v22, 0
.LBB159_2738:
	s_mov_b32 s18, -1
.LBB159_2739:
	s_delay_alu instid0(SALU_CYCLE_1)
	s_and_not1_b32 vcc_lo, exec_lo, s18
	s_cbranch_vccnz .LBB159_4271
; %bb.2740:
	v_mov_b32_e32 v27, 0
	s_and_b32 s11, 0xffff, s11
	s_delay_alu instid0(SALU_CYCLE_1) | instskip(SKIP_1) | instid1(VALU_DEP_1)
	s_cmp_lt_i32 s11, 11
	s_wait_xcnt 0x0
	v_add_nc_u64_e32 v[36:37], s[0:1], v[26:27]
	s_cbranch_scc1 .LBB159_2747
; %bb.2741:
	s_cmp_gt_i32 s11, 25
	s_mov_b32 s17, 0
	s_cbranch_scc0 .LBB159_2748
; %bb.2742:
	s_cmp_gt_i32 s11, 28
	s_cbranch_scc0 .LBB159_2749
; %bb.2743:
	s_cmp_gt_i32 s11, 43
	;; [unrolled: 3-line block ×3, first 2 shown]
	s_cbranch_scc0 .LBB159_2755
; %bb.2745:
	s_cmp_eq_u32 s11, 46
	s_mov_b32 s19, 0
	s_cbranch_scc0 .LBB159_2760
; %bb.2746:
	global_load_b32 v1, v[36:37], off
	s_mov_b32 s16, 0
	s_mov_b32 s18, -1
	s_wait_loadcnt 0x0
	v_and_b32_e32 v27, 0xffff0000, v1
	v_lshlrev_b32_e32 v26, 16, v1
	s_branch .LBB159_2762
.LBB159_2747:
	s_mov_b32 s16, -1
	s_mov_b32 s18, 0
                                        ; implicit-def: $vgpr27
	s_branch .LBB159_2796
.LBB159_2748:
	s_mov_b32 s19, -1
	s_mov_b32 s18, 0
	s_mov_b32 s16, 0
                                        ; implicit-def: $vgpr27
	s_branch .LBB159_2791
.LBB159_2749:
	s_mov_b32 s19, -1
	s_mov_b32 s18, 0
	s_mov_b32 s16, 0
                                        ; implicit-def: $vgpr27
	s_branch .LBB159_2774
.LBB159_2750:
	s_mov_b32 s19, -1
	s_mov_b32 s18, 0
	s_mov_b32 s16, 0
                                        ; implicit-def: $vgpr27
	s_branch .LBB159_2768
.LBB159_2751:
	s_mov_b32 s17, -1
	s_mov_b32 s19, exec_lo
	v_cmpx_eq_u16_e32 0x80, v1
; %bb.2752:
	s_xor_b32 s17, exec_lo, -1
; %bb.2753:
	s_or_b32 exec_lo, exec_lo, s19
	s_delay_alu instid0(SALU_CYCLE_1)
	s_and_b32 s17, s17, exec_lo
	s_or_saveexec_b32 s18, s18
	v_mov_b32_e32 v18, 0x7f800001
	s_xor_b32 exec_lo, exec_lo, s18
	s_cbranch_execz .LBB159_2667
.LBB159_2754:
	v_cmp_ne_u16_e32 vcc_lo, 0, v1
	v_mov_b32_e32 v18, 0
	s_and_not1_b32 s17, s17, exec_lo
	s_and_b32 s19, vcc_lo, exec_lo
	s_delay_alu instid0(SALU_CYCLE_1)
	s_or_b32 s17, s17, s19
	s_or_b32 exec_lo, exec_lo, s18
	s_and_saveexec_b32 s18, s17
	s_cbranch_execnz .LBB159_2668
	s_branch .LBB159_2669
.LBB159_2755:
	s_mov_b32 s19, -1
	s_mov_b32 s18, 0
	s_mov_b32 s16, 0
	s_branch .LBB159_2761
.LBB159_2756:
	s_mov_b32 s7, -1
	s_mov_b32 s13, exec_lo
	v_cmpx_eq_u16_e32 0x80, v0
; %bb.2757:
	s_xor_b32 s7, exec_lo, -1
; %bb.2758:
	s_or_b32 exec_lo, exec_lo, s13
	s_delay_alu instid0(SALU_CYCLE_1)
	s_and_b32 s7, s7, exec_lo
	s_or_saveexec_b32 s12, s12
	v_mov_b32_e32 v4, 0x7f800001
	s_xor_b32 exec_lo, exec_lo, s12
	s_cbranch_execz .LBB159_1695
.LBB159_2759:
	v_cmp_ne_u16_e32 vcc_lo, 0, v0
	v_mov_b32_e32 v4, 0
	s_and_not1_b32 s7, s7, exec_lo
	s_and_b32 s13, vcc_lo, exec_lo
	s_delay_alu instid0(SALU_CYCLE_1)
	s_or_b32 s7, s7, s13
	s_or_b32 exec_lo, exec_lo, s12
	s_and_saveexec_b32 s12, s7
	s_cbranch_execnz .LBB159_1696
	s_branch .LBB159_1697
.LBB159_2760:
	s_mov_b32 s16, -1
	s_mov_b32 s18, 0
.LBB159_2761:
                                        ; implicit-def: $vgpr27
.LBB159_2762:
	s_and_b32 vcc_lo, exec_lo, s19
	s_cbranch_vccz .LBB159_2767
; %bb.2763:
	s_cmp_eq_u32 s11, 44
	s_cbranch_scc0 .LBB159_2765
; %bb.2764:
	global_load_u8 v1, v[36:37], off
	s_mov_b32 s16, 0
	s_mov_b32 s18, -1
	s_wait_loadcnt 0x0
	v_lshlrev_b32_e32 v3, 23, v1
	v_cmp_ne_u32_e32 vcc_lo, 0xff, v1
	s_delay_alu instid0(VALU_DEP_2) | instskip(SKIP_1) | instid1(VALU_DEP_2)
	v_cndmask_b32_e32 v3, 0x7f800001, v3, vcc_lo
	v_cmp_ne_u32_e32 vcc_lo, 0, v1
	v_cndmask_b32_e32 v26, 0x400000, v3, vcc_lo
	s_branch .LBB159_2766
.LBB159_2765:
	s_mov_b32 s16, -1
                                        ; implicit-def: $vgpr26
.LBB159_2766:
	v_mov_b32_e32 v27, 0
.LBB159_2767:
	s_mov_b32 s19, 0
.LBB159_2768:
	s_delay_alu instid0(SALU_CYCLE_1)
	s_and_b32 vcc_lo, exec_lo, s19
	s_cbranch_vccz .LBB159_2773
; %bb.2769:
	s_cmp_eq_u32 s11, 29
	s_cbranch_scc0 .LBB159_2771
; %bb.2770:
	global_load_b64 v[26:27], v[36:37], off
	s_mov_b32 s16, 0
	s_mov_b32 s18, -1
	s_wait_loadcnt 0x0
	v_clz_i32_u32_e32 v1, v27
	s_delay_alu instid0(VALU_DEP_1) | instskip(NEXT) | instid1(VALU_DEP_1)
	v_min_u32_e32 v1, 32, v1
	v_lshlrev_b64_e32 v[26:27], v1, v[26:27]
	v_sub_nc_u32_e32 v1, 32, v1
	s_delay_alu instid0(VALU_DEP_2) | instskip(NEXT) | instid1(VALU_DEP_1)
	v_min_u32_e32 v3, 1, v26
	v_or_b32_e32 v3, v27, v3
	s_delay_alu instid0(VALU_DEP_1) | instskip(NEXT) | instid1(VALU_DEP_1)
	v_cvt_f32_u32_e32 v3, v3
	v_ldexp_f32 v26, v3, v1
	s_branch .LBB159_2772
.LBB159_2771:
	s_mov_b32 s16, -1
                                        ; implicit-def: $vgpr26
.LBB159_2772:
	v_mov_b32_e32 v27, 0
.LBB159_2773:
	s_mov_b32 s19, 0
.LBB159_2774:
	s_delay_alu instid0(SALU_CYCLE_1)
	s_and_b32 vcc_lo, exec_lo, s19
	s_cbranch_vccz .LBB159_2790
; %bb.2775:
	s_cmp_lt_i32 s11, 27
	s_cbranch_scc1 .LBB159_2778
; %bb.2776:
	s_cmp_gt_i32 s11, 27
	s_cbranch_scc0 .LBB159_2779
; %bb.2777:
	global_load_b32 v1, v[36:37], off
	s_mov_b32 s18, 0
	s_wait_loadcnt 0x0
	v_cvt_f32_u32_e32 v26, v1
	s_branch .LBB159_2780
.LBB159_2778:
	s_mov_b32 s18, -1
                                        ; implicit-def: $vgpr26
	s_branch .LBB159_2783
.LBB159_2779:
	s_mov_b32 s18, -1
                                        ; implicit-def: $vgpr26
.LBB159_2780:
	s_delay_alu instid0(SALU_CYCLE_1)
	s_and_not1_b32 vcc_lo, exec_lo, s18
	s_cbranch_vccnz .LBB159_2782
; %bb.2781:
	global_load_u16 v1, v[36:37], off
	s_wait_loadcnt 0x0
	v_cvt_f32_u32_e32 v26, v1
.LBB159_2782:
	s_mov_b32 s18, 0
.LBB159_2783:
	s_delay_alu instid0(SALU_CYCLE_1)
	s_and_not1_b32 vcc_lo, exec_lo, s18
	s_cbranch_vccnz .LBB159_2789
; %bb.2784:
	global_load_u8 v1, v[36:37], off
	s_mov_b32 s18, 0
	s_mov_b32 s19, exec_lo
	s_wait_loadcnt 0x0
	v_cmpx_lt_i16_e32 0x7f, v1
	s_xor_b32 s19, exec_lo, s19
	s_cbranch_execnz .LBB159_2815
; %bb.2785:
	s_or_saveexec_b32 s19, s19
	v_mov_b32_e32 v26, 0x7f800001
	s_xor_b32 exec_lo, exec_lo, s19
	s_cbranch_execnz .LBB159_2818
.LBB159_2786:
	s_or_b32 exec_lo, exec_lo, s19
	s_and_saveexec_b32 s19, s18
	s_cbranch_execz .LBB159_2788
.LBB159_2787:
	v_and_b32_e32 v3, 0xffff, v1
	s_delay_alu instid0(VALU_DEP_1) | instskip(SKIP_1) | instid1(VALU_DEP_2)
	v_dual_lshlrev_b32 v1, 24, v1 :: v_dual_bitop2_b32 v5, 7, v3 bitop3:0x40
	v_bfe_u32 v11, v3, 3, 4
	v_and_b32_e32 v1, 0x80000000, v1
	s_delay_alu instid0(VALU_DEP_3) | instskip(NEXT) | instid1(VALU_DEP_3)
	v_clz_i32_u32_e32 v7, v5
	v_cmp_eq_u32_e32 vcc_lo, 0, v11
	s_delay_alu instid0(VALU_DEP_2) | instskip(NEXT) | instid1(VALU_DEP_1)
	v_min_u32_e32 v7, 32, v7
	v_subrev_nc_u32_e32 v9, 28, v7
	v_sub_nc_u32_e32 v7, 29, v7
	s_delay_alu instid0(VALU_DEP_2) | instskip(NEXT) | instid1(VALU_DEP_2)
	v_lshlrev_b32_e32 v3, v9, v3
	v_cndmask_b32_e32 v7, v11, v7, vcc_lo
	s_delay_alu instid0(VALU_DEP_2) | instskip(NEXT) | instid1(VALU_DEP_1)
	v_and_b32_e32 v3, 7, v3
	v_cndmask_b32_e32 v3, v5, v3, vcc_lo
	s_delay_alu instid0(VALU_DEP_3) | instskip(NEXT) | instid1(VALU_DEP_2)
	v_lshl_add_u32 v5, v7, 23, 0x3b800000
	v_lshlrev_b32_e32 v3, 20, v3
	s_delay_alu instid0(VALU_DEP_1)
	v_or3_b32 v26, v1, v5, v3
.LBB159_2788:
	s_or_b32 exec_lo, exec_lo, s19
.LBB159_2789:
	v_mov_b32_e32 v27, 0
	s_mov_b32 s18, -1
.LBB159_2790:
	s_mov_b32 s19, 0
.LBB159_2791:
	s_delay_alu instid0(SALU_CYCLE_1)
	s_and_b32 vcc_lo, exec_lo, s19
	s_cbranch_vccnz .LBB159_2802
; %bb.2792:
	s_and_b32 vcc_lo, exec_lo, s16
	s_cbranch_vccnz .LBB159_2863
.LBB159_2793:
	s_and_not1_b32 vcc_lo, exec_lo, s17
	s_cbranch_vccnz .LBB159_2795
.LBB159_2794:
	global_load_u8 v1, v[36:37], off
	v_mov_b32_e32 v27, 0
	s_mov_b32 s18, -1
	s_wait_loadcnt 0x0
	v_cmp_ne_u16_e32 vcc_lo, 0, v1
	v_cndmask_b32_e64 v26, 0, 1.0, vcc_lo
.LBB159_2795:
	s_mov_b32 s16, 0
.LBB159_2796:
	s_delay_alu instid0(SALU_CYCLE_1)
	s_and_b32 vcc_lo, exec_lo, s16
	s_cbranch_vccz .LBB159_2879
; %bb.2797:
	s_cmp_lt_i32 s11, 5
	s_cbranch_scc1 .LBB159_2810
; %bb.2798:
	s_cmp_lt_i32 s11, 8
	s_cbranch_scc1 .LBB159_2811
; %bb.2799:
	s_cmp_lt_i32 s11, 9
	s_cbranch_scc1 .LBB159_2813
; %bb.2800:
	s_cmp_gt_i32 s11, 9
	s_cbranch_scc0 .LBB159_2819
; %bb.2801:
	global_load_b128 v[38:41], v[36:37], off
	s_mov_b32 s16, 0
	s_wait_loadcnt 0x0
	v_cvt_f32_f64_e32 v26, v[38:39]
	v_cvt_f32_f64_e32 v27, v[40:41]
	s_branch .LBB159_2820
.LBB159_2802:
	s_cmp_gt_i32 s11, 22
	s_cbranch_scc0 .LBB159_2812
; %bb.2803:
	s_cmp_lt_i32 s11, 24
	s_cbranch_scc1 .LBB159_2814
; %bb.2804:
	s_cmp_gt_i32 s11, 24
	s_cbranch_scc0 .LBB159_2831
; %bb.2805:
	global_load_u8 v1, v[36:37], off
	s_mov_b32 s18, exec_lo
	s_wait_loadcnt 0x0
	v_cmpx_lt_i16_e32 0x7f, v1
	s_xor_b32 s18, exec_lo, s18
	s_cbranch_execnz .LBB159_2891
; %bb.2806:
	s_or_saveexec_b32 s18, s18
	v_mov_b32_e32 v26, 0x7f800001
	s_xor_b32 exec_lo, exec_lo, s18
	s_cbranch_execnz .LBB159_2894
.LBB159_2807:
	s_or_b32 exec_lo, exec_lo, s18
	s_and_saveexec_b32 s18, s17
	s_cbranch_execz .LBB159_2809
.LBB159_2808:
	v_and_b32_e32 v3, 0xffff, v1
	s_delay_alu instid0(VALU_DEP_1) | instskip(SKIP_1) | instid1(VALU_DEP_2)
	v_dual_lshlrev_b32 v1, 24, v1 :: v_dual_bitop2_b32 v5, 3, v3 bitop3:0x40
	v_bfe_u32 v11, v3, 2, 5
	v_and_b32_e32 v1, 0x80000000, v1
	s_delay_alu instid0(VALU_DEP_3) | instskip(NEXT) | instid1(VALU_DEP_3)
	v_clz_i32_u32_e32 v7, v5
	v_cmp_eq_u32_e32 vcc_lo, 0, v11
	s_delay_alu instid0(VALU_DEP_2) | instskip(NEXT) | instid1(VALU_DEP_1)
	v_min_u32_e32 v7, 32, v7
	v_subrev_nc_u32_e32 v9, 29, v7
	v_sub_nc_u32_e32 v7, 30, v7
	s_delay_alu instid0(VALU_DEP_2) | instskip(NEXT) | instid1(VALU_DEP_2)
	v_lshlrev_b32_e32 v3, v9, v3
	v_cndmask_b32_e32 v7, v11, v7, vcc_lo
	s_delay_alu instid0(VALU_DEP_2) | instskip(NEXT) | instid1(VALU_DEP_1)
	v_and_b32_e32 v3, 3, v3
	v_cndmask_b32_e32 v3, v5, v3, vcc_lo
	s_delay_alu instid0(VALU_DEP_3) | instskip(NEXT) | instid1(VALU_DEP_2)
	v_lshl_add_u32 v5, v7, 23, 0x37800000
	v_lshlrev_b32_e32 v3, 21, v3
	s_delay_alu instid0(VALU_DEP_1)
	v_or3_b32 v26, v1, v5, v3
.LBB159_2809:
	s_or_b32 exec_lo, exec_lo, s18
	s_mov_b32 s17, 0
	s_branch .LBB159_2832
.LBB159_2810:
	s_mov_b32 s16, -1
                                        ; implicit-def: $vgpr27
	s_branch .LBB159_2851
.LBB159_2811:
	s_mov_b32 s16, -1
                                        ; implicit-def: $vgpr27
	s_branch .LBB159_2826
.LBB159_2812:
	s_mov_b32 s17, -1
                                        ; implicit-def: $vgpr26
	s_branch .LBB159_2838
.LBB159_2813:
	s_mov_b32 s16, -1
                                        ; implicit-def: $vgpr27
	s_branch .LBB159_2823
.LBB159_2814:
	s_mov_b32 s17, -1
                                        ; implicit-def: $vgpr26
	s_branch .LBB159_2835
.LBB159_2815:
	s_mov_b32 s18, -1
	s_mov_b32 s20, exec_lo
	v_cmpx_eq_u16_e32 0x80, v1
; %bb.2816:
	s_xor_b32 s18, exec_lo, -1
; %bb.2817:
	s_or_b32 exec_lo, exec_lo, s20
	s_delay_alu instid0(SALU_CYCLE_1)
	s_and_b32 s18, s18, exec_lo
	s_or_saveexec_b32 s19, s19
	v_mov_b32_e32 v26, 0x7f800001
	s_xor_b32 exec_lo, exec_lo, s19
	s_cbranch_execz .LBB159_2786
.LBB159_2818:
	v_cmp_ne_u16_e32 vcc_lo, 0, v1
	v_mov_b32_e32 v26, 0
	s_and_not1_b32 s18, s18, exec_lo
	s_and_b32 s20, vcc_lo, exec_lo
	s_delay_alu instid0(SALU_CYCLE_1)
	s_or_b32 s18, s18, s20
	s_or_b32 exec_lo, exec_lo, s19
	s_and_saveexec_b32 s19, s18
	s_cbranch_execnz .LBB159_2787
	s_branch .LBB159_2788
.LBB159_2819:
	s_mov_b32 s16, -1
                                        ; implicit-def: $vgpr27
.LBB159_2820:
	s_delay_alu instid0(SALU_CYCLE_1)
	s_and_not1_b32 vcc_lo, exec_lo, s16
	s_cbranch_vccnz .LBB159_2822
; %bb.2821:
	global_load_b64 v[26:27], v[36:37], off
.LBB159_2822:
	s_mov_b32 s16, 0
.LBB159_2823:
	s_delay_alu instid0(SALU_CYCLE_1)
	s_and_not1_b32 vcc_lo, exec_lo, s16
	s_cbranch_vccnz .LBB159_2825
; %bb.2824:
	global_load_b32 v1, v[36:37], off
	s_wait_loadcnt 0x0
	v_lshrrev_b32_e32 v3, 16, v1
	v_cvt_f32_f16_e32 v26, v1
	s_delay_alu instid0(VALU_DEP_2)
	v_cvt_f32_f16_e32 v27, v3
.LBB159_2825:
	s_mov_b32 s16, 0
.LBB159_2826:
	s_delay_alu instid0(SALU_CYCLE_1)
	s_and_not1_b32 vcc_lo, exec_lo, s16
	s_cbranch_vccnz .LBB159_2850
; %bb.2827:
	s_cmp_lt_i32 s11, 6
	s_cbranch_scc1 .LBB159_2830
; %bb.2828:
	s_cmp_gt_i32 s11, 6
	s_cbranch_scc0 .LBB159_2843
; %bb.2829:
	s_wait_loadcnt 0x0
	global_load_b64 v[26:27], v[36:37], off
	s_mov_b32 s16, 0
	s_wait_loadcnt 0x0
	v_cvt_f32_f64_e32 v26, v[26:27]
	s_branch .LBB159_2844
.LBB159_2830:
	s_mov_b32 s16, -1
                                        ; implicit-def: $vgpr26
	s_branch .LBB159_2847
.LBB159_2831:
	s_mov_b32 s17, -1
                                        ; implicit-def: $vgpr26
.LBB159_2832:
	s_delay_alu instid0(SALU_CYCLE_1)
	s_and_b32 vcc_lo, exec_lo, s17
	s_cbranch_vccz .LBB159_2834
; %bb.2833:
	global_load_u8 v1, v[36:37], off
	s_wait_loadcnt 0x0
	v_lshlrev_b32_e32 v1, 24, v1
	s_delay_alu instid0(VALU_DEP_1) | instskip(NEXT) | instid1(VALU_DEP_1)
	v_and_b32_e32 v3, 0x7f000000, v1
	v_clz_i32_u32_e32 v5, v3
	v_add_nc_u32_e32 v9, 0x1000000, v3
	v_cmp_ne_u32_e32 vcc_lo, 0, v3
	s_delay_alu instid0(VALU_DEP_3) | instskip(NEXT) | instid1(VALU_DEP_1)
	v_min_u32_e32 v5, 32, v5
	v_sub_nc_u32_e64 v5, v5, 4 clamp
	s_delay_alu instid0(VALU_DEP_1) | instskip(NEXT) | instid1(VALU_DEP_1)
	v_dual_lshlrev_b32 v7, v5, v3 :: v_dual_lshlrev_b32 v5, 23, v5
	v_lshrrev_b32_e32 v7, 4, v7
	s_delay_alu instid0(VALU_DEP_1) | instskip(SKIP_1) | instid1(VALU_DEP_2)
	v_sub_nc_u32_e32 v5, v7, v5
	v_ashrrev_i32_e32 v7, 8, v9
	v_add_nc_u32_e32 v5, 0x3c000000, v5
	s_delay_alu instid0(VALU_DEP_1) | instskip(NEXT) | instid1(VALU_DEP_1)
	v_and_or_b32 v5, 0x7f800000, v7, v5
	v_cndmask_b32_e32 v3, 0, v5, vcc_lo
	s_delay_alu instid0(VALU_DEP_1)
	v_and_or_b32 v26, 0x80000000, v1, v3
.LBB159_2834:
	s_mov_b32 s17, 0
.LBB159_2835:
	s_delay_alu instid0(SALU_CYCLE_1)
	s_and_not1_b32 vcc_lo, exec_lo, s17
	s_cbranch_vccnz .LBB159_2837
; %bb.2836:
	global_load_u8 v1, v[36:37], off
	s_wait_loadcnt 0x0
	v_lshlrev_b32_e32 v3, 25, v1
	v_lshlrev_b16 v1, 8, v1
	s_delay_alu instid0(VALU_DEP_1) | instskip(SKIP_1) | instid1(VALU_DEP_2)
	v_and_or_b32 v7, 0x7f00, v1, 0.5
	v_bfe_i32 v1, v1, 0, 16
	v_add_f32_e32 v7, -0.5, v7
	v_lshrrev_b32_e32 v5, 4, v3
	v_cmp_gt_u32_e32 vcc_lo, 0x8000000, v3
	s_delay_alu instid0(VALU_DEP_2) | instskip(NEXT) | instid1(VALU_DEP_1)
	v_or_b32_e32 v5, 0x70000000, v5
	v_mul_f32_e32 v5, 0x7800000, v5
	s_delay_alu instid0(VALU_DEP_1) | instskip(NEXT) | instid1(VALU_DEP_1)
	v_cndmask_b32_e32 v3, v5, v7, vcc_lo
	v_and_or_b32 v26, 0x80000000, v1, v3
.LBB159_2837:
	s_mov_b32 s17, 0
	s_mov_b32 s18, -1
.LBB159_2838:
	s_and_not1_b32 vcc_lo, exec_lo, s17
	s_mov_b32 s17, 0
	s_cbranch_vccnz .LBB159_2862
; %bb.2839:
	s_cmp_gt_i32 s11, 14
	s_cbranch_scc0 .LBB159_2842
; %bb.2840:
	s_cmp_eq_u32 s11, 15
	s_cbranch_scc0 .LBB159_2858
; %bb.2841:
	global_load_u16 v1, v[36:37], off
	s_mov_b32 s16, 0
	s_mov_b32 s18, -1
	s_wait_loadcnt 0x0
	v_lshlrev_b32_e32 v26, 16, v1
	s_branch .LBB159_2860
.LBB159_2842:
	s_mov_b32 s17, -1
	s_branch .LBB159_2859
.LBB159_2843:
	s_mov_b32 s16, -1
                                        ; implicit-def: $vgpr26
.LBB159_2844:
	s_delay_alu instid0(SALU_CYCLE_1)
	s_and_not1_b32 vcc_lo, exec_lo, s16
	s_cbranch_vccnz .LBB159_2846
; %bb.2845:
	s_wait_loadcnt 0x0
	global_load_b32 v26, v[36:37], off
.LBB159_2846:
	s_mov_b32 s16, 0
.LBB159_2847:
	s_delay_alu instid0(SALU_CYCLE_1)
	s_and_not1_b32 vcc_lo, exec_lo, s16
	s_cbranch_vccnz .LBB159_2849
; %bb.2848:
	global_load_u16 v1, v[36:37], off
	s_wait_loadcnt 0x0
	v_cvt_f32_f16_e32 v26, v1
.LBB159_2849:
	s_wait_loadcnt 0x0
	v_mov_b32_e32 v27, 0
.LBB159_2850:
	s_mov_b32 s16, 0
.LBB159_2851:
	s_delay_alu instid0(SALU_CYCLE_1)
	s_and_not1_b32 vcc_lo, exec_lo, s16
	s_cbranch_vccnz .LBB159_2878
; %bb.2852:
	s_cmp_lt_i32 s11, 2
	s_cbranch_scc1 .LBB159_2856
; %bb.2853:
	s_cmp_lt_i32 s11, 3
	s_cbranch_scc1 .LBB159_2857
; %bb.2854:
	s_cmp_gt_i32 s11, 3
	s_cbranch_scc0 .LBB159_2864
; %bb.2855:
	s_wait_loadcnt 0x0
	global_load_b64 v[26:27], v[36:37], off
	s_mov_b32 s16, 0
	s_wait_loadcnt 0x0
	v_xor_b32_e32 v1, v26, v27
	v_cls_i32_e32 v3, v27
	s_delay_alu instid0(VALU_DEP_2) | instskip(NEXT) | instid1(VALU_DEP_1)
	v_ashrrev_i32_e32 v1, 31, v1
	v_add_nc_u32_e32 v1, 32, v1
	s_delay_alu instid0(VALU_DEP_1) | instskip(NEXT) | instid1(VALU_DEP_1)
	v_add_min_u32_e64 v1, v3, -1, v1
	v_lshlrev_b64_e32 v[26:27], v1, v[26:27]
	v_sub_nc_u32_e32 v1, 32, v1
	s_delay_alu instid0(VALU_DEP_2) | instskip(NEXT) | instid1(VALU_DEP_1)
	v_min_u32_e32 v3, 1, v26
	v_or_b32_e32 v3, v27, v3
	s_delay_alu instid0(VALU_DEP_1) | instskip(NEXT) | instid1(VALU_DEP_1)
	v_cvt_f32_i32_e32 v3, v3
	v_ldexp_f32 v26, v3, v1
	s_branch .LBB159_2865
.LBB159_2856:
	s_mov_b32 s16, -1
                                        ; implicit-def: $vgpr26
	s_branch .LBB159_2871
.LBB159_2857:
	s_mov_b32 s16, -1
                                        ; implicit-def: $vgpr26
	s_branch .LBB159_2868
.LBB159_2858:
	s_mov_b32 s16, -1
.LBB159_2859:
                                        ; implicit-def: $vgpr26
.LBB159_2860:
	s_and_b32 vcc_lo, exec_lo, s17
	s_mov_b32 s17, 0
	s_cbranch_vccz .LBB159_2862
; %bb.2861:
	s_cmp_lg_u32 s11, 11
	s_mov_b32 s17, -1
	s_cselect_b32 s16, -1, 0
.LBB159_2862:
	v_mov_b32_e32 v27, 0
	s_and_b32 vcc_lo, exec_lo, s16
	s_cbranch_vccz .LBB159_2793
.LBB159_2863:
	s_or_b32 s14, s14, exec_lo
	s_trap 2
	s_cbranch_execz .LBB159_2794
	s_branch .LBB159_2795
.LBB159_2864:
	s_mov_b32 s16, -1
                                        ; implicit-def: $vgpr26
.LBB159_2865:
	s_delay_alu instid0(SALU_CYCLE_1)
	s_and_not1_b32 vcc_lo, exec_lo, s16
	s_cbranch_vccnz .LBB159_2867
; %bb.2866:
	global_load_b32 v1, v[36:37], off
	s_wait_loadcnt 0x0
	v_cvt_f32_i32_e32 v26, v1
.LBB159_2867:
	s_mov_b32 s16, 0
.LBB159_2868:
	s_delay_alu instid0(SALU_CYCLE_1)
	s_and_not1_b32 vcc_lo, exec_lo, s16
	s_cbranch_vccnz .LBB159_2870
; %bb.2869:
	global_load_i16 v1, v[36:37], off
	s_wait_loadcnt 0x0
	v_cvt_f32_i32_e32 v26, v1
.LBB159_2870:
	s_mov_b32 s16, 0
.LBB159_2871:
	s_delay_alu instid0(SALU_CYCLE_1)
	s_and_not1_b32 vcc_lo, exec_lo, s16
	s_cbranch_vccnz .LBB159_2877
; %bb.2872:
	s_cmp_gt_i32 s11, 0
	s_mov_b32 s16, 0
	s_cbranch_scc0 .LBB159_2874
; %bb.2873:
	global_load_i8 v1, v[36:37], off
	s_wait_loadcnt 0x0
	v_cvt_f32_i32_e32 v26, v1
	s_branch .LBB159_2875
.LBB159_2874:
	s_mov_b32 s16, -1
                                        ; implicit-def: $vgpr26
.LBB159_2875:
	s_delay_alu instid0(SALU_CYCLE_1)
	s_and_not1_b32 vcc_lo, exec_lo, s16
	s_cbranch_vccnz .LBB159_2877
; %bb.2876:
	global_load_u8 v1, v[36:37], off
	s_wait_loadcnt 0x0
	v_cvt_f32_ubyte0_e32 v26, v1
.LBB159_2877:
	s_wait_loadcnt 0x0
	v_mov_b32_e32 v27, 0
.LBB159_2878:
	s_mov_b32 s18, -1
.LBB159_2879:
	s_delay_alu instid0(SALU_CYCLE_1)
	s_and_not1_b32 vcc_lo, exec_lo, s18
	s_cbranch_vccnz .LBB159_4271
; %bb.2880:
	v_mov_b32_e32 v31, 0
	s_and_b32 s15, 0xffff, s15
	s_delay_alu instid0(SALU_CYCLE_1) | instskip(SKIP_1) | instid1(VALU_DEP_1)
	s_cmp_lt_i32 s15, 11
	s_wait_xcnt 0x0
	v_add_nc_u64_e32 v[36:37], s[8:9], v[30:31]
	s_cbranch_scc1 .LBB159_2887
; %bb.2881:
	s_cmp_gt_i32 s15, 25
	s_mov_b32 s17, 0
	s_cbranch_scc0 .LBB159_2888
; %bb.2882:
	s_cmp_gt_i32 s15, 28
	s_cbranch_scc0 .LBB159_2889
; %bb.2883:
	s_cmp_gt_i32 s15, 43
	;; [unrolled: 3-line block ×3, first 2 shown]
	s_cbranch_scc0 .LBB159_2895
; %bb.2885:
	s_cmp_eq_u32 s15, 46
	s_mov_b32 s19, 0
	s_cbranch_scc0 .LBB159_2896
; %bb.2886:
	global_load_b32 v1, v[36:37], off
	s_mov_b32 s16, 0
	s_mov_b32 s18, -1
	s_wait_loadcnt 0x0
	v_and_b32_e32 v31, 0xffff0000, v1
	v_lshlrev_b32_e32 v30, 16, v1
	s_branch .LBB159_2898
.LBB159_2887:
	s_mov_b32 s16, -1
	s_mov_b32 s18, 0
                                        ; implicit-def: $vgpr31
	s_branch .LBB159_2932
.LBB159_2888:
	s_mov_b32 s19, -1
	s_mov_b32 s18, 0
	s_mov_b32 s16, 0
                                        ; implicit-def: $vgpr31
	s_branch .LBB159_2927
.LBB159_2889:
	s_mov_b32 s19, -1
	s_mov_b32 s18, 0
	s_mov_b32 s16, 0
                                        ; implicit-def: $vgpr31
	s_branch .LBB159_2910
.LBB159_2890:
	s_mov_b32 s19, -1
	s_mov_b32 s18, 0
	s_mov_b32 s16, 0
                                        ; implicit-def: $vgpr31
	s_branch .LBB159_2904
.LBB159_2891:
	s_mov_b32 s17, -1
	s_mov_b32 s19, exec_lo
	v_cmpx_eq_u16_e32 0x80, v1
; %bb.2892:
	s_xor_b32 s17, exec_lo, -1
; %bb.2893:
	s_or_b32 exec_lo, exec_lo, s19
	s_delay_alu instid0(SALU_CYCLE_1)
	s_and_b32 s17, s17, exec_lo
	s_or_saveexec_b32 s18, s18
	v_mov_b32_e32 v26, 0x7f800001
	s_xor_b32 exec_lo, exec_lo, s18
	s_cbranch_execz .LBB159_2807
.LBB159_2894:
	v_cmp_ne_u16_e32 vcc_lo, 0, v1
	v_mov_b32_e32 v26, 0
	s_and_not1_b32 s17, s17, exec_lo
	s_and_b32 s19, vcc_lo, exec_lo
	s_delay_alu instid0(SALU_CYCLE_1)
	s_or_b32 s17, s17, s19
	s_or_b32 exec_lo, exec_lo, s18
	s_and_saveexec_b32 s18, s17
	s_cbranch_execnz .LBB159_2808
	s_branch .LBB159_2809
.LBB159_2895:
	s_mov_b32 s19, -1
	s_mov_b32 s18, 0
	s_mov_b32 s16, 0
	s_branch .LBB159_2897
.LBB159_2896:
	s_mov_b32 s16, -1
	s_mov_b32 s18, 0
.LBB159_2897:
                                        ; implicit-def: $vgpr31
.LBB159_2898:
	s_and_b32 vcc_lo, exec_lo, s19
	s_cbranch_vccz .LBB159_2903
; %bb.2899:
	s_cmp_eq_u32 s15, 44
	s_cbranch_scc0 .LBB159_2901
; %bb.2900:
	global_load_u8 v1, v[36:37], off
	s_mov_b32 s16, 0
	s_mov_b32 s18, -1
	s_wait_loadcnt 0x0
	v_lshlrev_b32_e32 v3, 23, v1
	v_cmp_ne_u32_e32 vcc_lo, 0xff, v1
	s_delay_alu instid0(VALU_DEP_2) | instskip(SKIP_1) | instid1(VALU_DEP_2)
	v_cndmask_b32_e32 v3, 0x7f800001, v3, vcc_lo
	v_cmp_ne_u32_e32 vcc_lo, 0, v1
	v_cndmask_b32_e32 v30, 0x400000, v3, vcc_lo
	s_branch .LBB159_2902
.LBB159_2901:
	s_mov_b32 s16, -1
                                        ; implicit-def: $vgpr30
.LBB159_2902:
	v_mov_b32_e32 v31, 0
.LBB159_2903:
	s_mov_b32 s19, 0
.LBB159_2904:
	s_delay_alu instid0(SALU_CYCLE_1)
	s_and_b32 vcc_lo, exec_lo, s19
	s_cbranch_vccz .LBB159_2909
; %bb.2905:
	s_cmp_eq_u32 s15, 29
	s_cbranch_scc0 .LBB159_2907
; %bb.2906:
	global_load_b64 v[30:31], v[36:37], off
	s_mov_b32 s16, 0
	s_mov_b32 s18, -1
	s_wait_loadcnt 0x0
	v_clz_i32_u32_e32 v1, v31
	s_delay_alu instid0(VALU_DEP_1) | instskip(NEXT) | instid1(VALU_DEP_1)
	v_min_u32_e32 v1, 32, v1
	v_lshlrev_b64_e32 v[30:31], v1, v[30:31]
	v_sub_nc_u32_e32 v1, 32, v1
	s_delay_alu instid0(VALU_DEP_2) | instskip(NEXT) | instid1(VALU_DEP_1)
	v_min_u32_e32 v3, 1, v30
	v_or_b32_e32 v3, v31, v3
	s_delay_alu instid0(VALU_DEP_1) | instskip(NEXT) | instid1(VALU_DEP_1)
	v_cvt_f32_u32_e32 v3, v3
	v_ldexp_f32 v30, v3, v1
	s_branch .LBB159_2908
.LBB159_2907:
	s_mov_b32 s16, -1
                                        ; implicit-def: $vgpr30
.LBB159_2908:
	v_mov_b32_e32 v31, 0
.LBB159_2909:
	s_mov_b32 s19, 0
.LBB159_2910:
	s_delay_alu instid0(SALU_CYCLE_1)
	s_and_b32 vcc_lo, exec_lo, s19
	s_cbranch_vccz .LBB159_2926
; %bb.2911:
	s_cmp_lt_i32 s15, 27
	s_cbranch_scc1 .LBB159_2914
; %bb.2912:
	s_cmp_gt_i32 s15, 27
	s_cbranch_scc0 .LBB159_2915
; %bb.2913:
	global_load_b32 v1, v[36:37], off
	s_mov_b32 s18, 0
	s_wait_loadcnt 0x0
	v_cvt_f32_u32_e32 v30, v1
	s_branch .LBB159_2916
.LBB159_2914:
	s_mov_b32 s18, -1
                                        ; implicit-def: $vgpr30
	s_branch .LBB159_2919
.LBB159_2915:
	s_mov_b32 s18, -1
                                        ; implicit-def: $vgpr30
.LBB159_2916:
	s_delay_alu instid0(SALU_CYCLE_1)
	s_and_not1_b32 vcc_lo, exec_lo, s18
	s_cbranch_vccnz .LBB159_2918
; %bb.2917:
	global_load_u16 v1, v[36:37], off
	s_wait_loadcnt 0x0
	v_cvt_f32_u32_e32 v30, v1
.LBB159_2918:
	s_mov_b32 s18, 0
.LBB159_2919:
	s_delay_alu instid0(SALU_CYCLE_1)
	s_and_not1_b32 vcc_lo, exec_lo, s18
	s_cbranch_vccnz .LBB159_2925
; %bb.2920:
	global_load_u8 v1, v[36:37], off
	s_mov_b32 s18, 0
	s_mov_b32 s19, exec_lo
	s_wait_loadcnt 0x0
	v_cmpx_lt_i16_e32 0x7f, v1
	s_xor_b32 s19, exec_lo, s19
	s_cbranch_execnz .LBB159_2951
; %bb.2921:
	s_or_saveexec_b32 s19, s19
	v_mov_b32_e32 v30, 0x7f800001
	s_xor_b32 exec_lo, exec_lo, s19
	s_cbranch_execnz .LBB159_2954
.LBB159_2922:
	s_or_b32 exec_lo, exec_lo, s19
	s_and_saveexec_b32 s19, s18
	s_cbranch_execz .LBB159_2924
.LBB159_2923:
	v_and_b32_e32 v3, 0xffff, v1
	s_delay_alu instid0(VALU_DEP_1) | instskip(SKIP_1) | instid1(VALU_DEP_2)
	v_dual_lshlrev_b32 v1, 24, v1 :: v_dual_bitop2_b32 v5, 7, v3 bitop3:0x40
	v_bfe_u32 v11, v3, 3, 4
	v_and_b32_e32 v1, 0x80000000, v1
	s_delay_alu instid0(VALU_DEP_3) | instskip(NEXT) | instid1(VALU_DEP_3)
	v_clz_i32_u32_e32 v7, v5
	v_cmp_eq_u32_e32 vcc_lo, 0, v11
	s_delay_alu instid0(VALU_DEP_2) | instskip(NEXT) | instid1(VALU_DEP_1)
	v_min_u32_e32 v7, 32, v7
	v_subrev_nc_u32_e32 v9, 28, v7
	v_sub_nc_u32_e32 v7, 29, v7
	s_delay_alu instid0(VALU_DEP_2) | instskip(NEXT) | instid1(VALU_DEP_2)
	v_lshlrev_b32_e32 v3, v9, v3
	v_cndmask_b32_e32 v7, v11, v7, vcc_lo
	s_delay_alu instid0(VALU_DEP_2) | instskip(NEXT) | instid1(VALU_DEP_1)
	v_and_b32_e32 v3, 7, v3
	v_cndmask_b32_e32 v3, v5, v3, vcc_lo
	s_delay_alu instid0(VALU_DEP_3) | instskip(NEXT) | instid1(VALU_DEP_2)
	v_lshl_add_u32 v5, v7, 23, 0x3b800000
	v_lshlrev_b32_e32 v3, 20, v3
	s_delay_alu instid0(VALU_DEP_1)
	v_or3_b32 v30, v1, v5, v3
.LBB159_2924:
	s_or_b32 exec_lo, exec_lo, s19
.LBB159_2925:
	v_mov_b32_e32 v31, 0
	s_mov_b32 s18, -1
.LBB159_2926:
	s_mov_b32 s19, 0
.LBB159_2927:
	s_delay_alu instid0(SALU_CYCLE_1)
	s_and_b32 vcc_lo, exec_lo, s19
	s_cbranch_vccnz .LBB159_2938
; %bb.2928:
	s_and_b32 vcc_lo, exec_lo, s16
	s_cbranch_vccnz .LBB159_2999
.LBB159_2929:
	s_and_not1_b32 vcc_lo, exec_lo, s17
	s_cbranch_vccnz .LBB159_2931
.LBB159_2930:
	global_load_u8 v1, v[36:37], off
	v_mov_b32_e32 v31, 0
	s_mov_b32 s18, -1
	s_wait_loadcnt 0x0
	v_cmp_ne_u16_e32 vcc_lo, 0, v1
	v_cndmask_b32_e64 v30, 0, 1.0, vcc_lo
.LBB159_2931:
	s_mov_b32 s16, 0
.LBB159_2932:
	s_delay_alu instid0(SALU_CYCLE_1)
	s_and_b32 vcc_lo, exec_lo, s16
	s_cbranch_vccz .LBB159_3015
; %bb.2933:
	s_cmp_lt_i32 s15, 5
	s_cbranch_scc1 .LBB159_2946
; %bb.2934:
	s_cmp_lt_i32 s15, 8
	s_cbranch_scc1 .LBB159_2947
	;; [unrolled: 3-line block ×3, first 2 shown]
; %bb.2936:
	s_cmp_gt_i32 s15, 9
	s_cbranch_scc0 .LBB159_2955
; %bb.2937:
	global_load_b128 v[38:41], v[36:37], off
	s_mov_b32 s16, 0
	s_wait_loadcnt 0x0
	v_cvt_f32_f64_e32 v30, v[38:39]
	v_cvt_f32_f64_e32 v31, v[40:41]
	s_branch .LBB159_2956
.LBB159_2938:
	s_cmp_gt_i32 s15, 22
	s_cbranch_scc0 .LBB159_2948
; %bb.2939:
	s_cmp_lt_i32 s15, 24
	s_cbranch_scc1 .LBB159_2950
; %bb.2940:
	s_cmp_gt_i32 s15, 24
	s_cbranch_scc0 .LBB159_2967
; %bb.2941:
	global_load_u8 v1, v[36:37], off
	s_mov_b32 s18, exec_lo
	s_wait_loadcnt 0x0
	v_cmpx_lt_i16_e32 0x7f, v1
	s_xor_b32 s18, exec_lo, s18
	s_cbranch_execnz .LBB159_3027
; %bb.2942:
	s_or_saveexec_b32 s18, s18
	v_mov_b32_e32 v30, 0x7f800001
	s_xor_b32 exec_lo, exec_lo, s18
	s_cbranch_execnz .LBB159_3030
.LBB159_2943:
	s_or_b32 exec_lo, exec_lo, s18
	s_and_saveexec_b32 s18, s17
	s_cbranch_execz .LBB159_2945
.LBB159_2944:
	v_and_b32_e32 v3, 0xffff, v1
	s_delay_alu instid0(VALU_DEP_1) | instskip(SKIP_1) | instid1(VALU_DEP_2)
	v_dual_lshlrev_b32 v1, 24, v1 :: v_dual_bitop2_b32 v5, 3, v3 bitop3:0x40
	v_bfe_u32 v11, v3, 2, 5
	v_and_b32_e32 v1, 0x80000000, v1
	s_delay_alu instid0(VALU_DEP_3) | instskip(NEXT) | instid1(VALU_DEP_3)
	v_clz_i32_u32_e32 v7, v5
	v_cmp_eq_u32_e32 vcc_lo, 0, v11
	s_delay_alu instid0(VALU_DEP_2) | instskip(NEXT) | instid1(VALU_DEP_1)
	v_min_u32_e32 v7, 32, v7
	v_subrev_nc_u32_e32 v9, 29, v7
	v_sub_nc_u32_e32 v7, 30, v7
	s_delay_alu instid0(VALU_DEP_2) | instskip(NEXT) | instid1(VALU_DEP_2)
	v_lshlrev_b32_e32 v3, v9, v3
	v_cndmask_b32_e32 v7, v11, v7, vcc_lo
	s_delay_alu instid0(VALU_DEP_2) | instskip(NEXT) | instid1(VALU_DEP_1)
	v_and_b32_e32 v3, 3, v3
	v_cndmask_b32_e32 v3, v5, v3, vcc_lo
	s_delay_alu instid0(VALU_DEP_3) | instskip(NEXT) | instid1(VALU_DEP_2)
	v_lshl_add_u32 v5, v7, 23, 0x37800000
	v_lshlrev_b32_e32 v3, 21, v3
	s_delay_alu instid0(VALU_DEP_1)
	v_or3_b32 v30, v1, v5, v3
.LBB159_2945:
	s_or_b32 exec_lo, exec_lo, s18
	s_mov_b32 s17, 0
	s_branch .LBB159_2968
.LBB159_2946:
	s_mov_b32 s16, -1
                                        ; implicit-def: $vgpr31
	s_branch .LBB159_2987
.LBB159_2947:
	s_mov_b32 s16, -1
                                        ; implicit-def: $vgpr31
	s_branch .LBB159_2962
.LBB159_2948:
	s_mov_b32 s17, -1
                                        ; implicit-def: $vgpr30
	s_branch .LBB159_2974
.LBB159_2949:
	s_mov_b32 s16, -1
                                        ; implicit-def: $vgpr31
	s_branch .LBB159_2959
.LBB159_2950:
	s_mov_b32 s17, -1
                                        ; implicit-def: $vgpr30
	s_branch .LBB159_2971
.LBB159_2951:
	s_mov_b32 s18, -1
	s_mov_b32 s20, exec_lo
	v_cmpx_eq_u16_e32 0x80, v1
; %bb.2952:
	s_xor_b32 s18, exec_lo, -1
; %bb.2953:
	s_or_b32 exec_lo, exec_lo, s20
	s_delay_alu instid0(SALU_CYCLE_1)
	s_and_b32 s18, s18, exec_lo
	s_or_saveexec_b32 s19, s19
	v_mov_b32_e32 v30, 0x7f800001
	s_xor_b32 exec_lo, exec_lo, s19
	s_cbranch_execz .LBB159_2922
.LBB159_2954:
	v_cmp_ne_u16_e32 vcc_lo, 0, v1
	v_mov_b32_e32 v30, 0
	s_and_not1_b32 s18, s18, exec_lo
	s_and_b32 s20, vcc_lo, exec_lo
	s_delay_alu instid0(SALU_CYCLE_1)
	s_or_b32 s18, s18, s20
	s_or_b32 exec_lo, exec_lo, s19
	s_and_saveexec_b32 s19, s18
	s_cbranch_execnz .LBB159_2923
	s_branch .LBB159_2924
.LBB159_2955:
	s_mov_b32 s16, -1
                                        ; implicit-def: $vgpr31
.LBB159_2956:
	s_delay_alu instid0(SALU_CYCLE_1)
	s_and_not1_b32 vcc_lo, exec_lo, s16
	s_cbranch_vccnz .LBB159_2958
; %bb.2957:
	global_load_b64 v[30:31], v[36:37], off
.LBB159_2958:
	s_mov_b32 s16, 0
.LBB159_2959:
	s_delay_alu instid0(SALU_CYCLE_1)
	s_and_not1_b32 vcc_lo, exec_lo, s16
	s_cbranch_vccnz .LBB159_2961
; %bb.2960:
	global_load_b32 v1, v[36:37], off
	s_wait_loadcnt 0x0
	v_lshrrev_b32_e32 v3, 16, v1
	v_cvt_f32_f16_e32 v30, v1
	s_delay_alu instid0(VALU_DEP_2)
	v_cvt_f32_f16_e32 v31, v3
.LBB159_2961:
	s_mov_b32 s16, 0
.LBB159_2962:
	s_delay_alu instid0(SALU_CYCLE_1)
	s_and_not1_b32 vcc_lo, exec_lo, s16
	s_cbranch_vccnz .LBB159_2986
; %bb.2963:
	s_cmp_lt_i32 s15, 6
	s_cbranch_scc1 .LBB159_2966
; %bb.2964:
	s_cmp_gt_i32 s15, 6
	s_cbranch_scc0 .LBB159_2979
; %bb.2965:
	s_wait_loadcnt 0x0
	global_load_b64 v[30:31], v[36:37], off
	s_mov_b32 s16, 0
	s_wait_loadcnt 0x0
	v_cvt_f32_f64_e32 v30, v[30:31]
	s_branch .LBB159_2980
.LBB159_2966:
	s_mov_b32 s16, -1
                                        ; implicit-def: $vgpr30
	s_branch .LBB159_2983
.LBB159_2967:
	s_mov_b32 s17, -1
                                        ; implicit-def: $vgpr30
.LBB159_2968:
	s_delay_alu instid0(SALU_CYCLE_1)
	s_and_b32 vcc_lo, exec_lo, s17
	s_cbranch_vccz .LBB159_2970
; %bb.2969:
	global_load_u8 v1, v[36:37], off
	s_wait_loadcnt 0x0
	v_lshlrev_b32_e32 v1, 24, v1
	s_delay_alu instid0(VALU_DEP_1) | instskip(NEXT) | instid1(VALU_DEP_1)
	v_and_b32_e32 v3, 0x7f000000, v1
	v_clz_i32_u32_e32 v5, v3
	v_add_nc_u32_e32 v9, 0x1000000, v3
	v_cmp_ne_u32_e32 vcc_lo, 0, v3
	s_delay_alu instid0(VALU_DEP_3) | instskip(NEXT) | instid1(VALU_DEP_1)
	v_min_u32_e32 v5, 32, v5
	v_sub_nc_u32_e64 v5, v5, 4 clamp
	s_delay_alu instid0(VALU_DEP_1) | instskip(NEXT) | instid1(VALU_DEP_1)
	v_dual_lshlrev_b32 v7, v5, v3 :: v_dual_lshlrev_b32 v5, 23, v5
	v_lshrrev_b32_e32 v7, 4, v7
	s_delay_alu instid0(VALU_DEP_1) | instskip(SKIP_1) | instid1(VALU_DEP_2)
	v_sub_nc_u32_e32 v5, v7, v5
	v_ashrrev_i32_e32 v7, 8, v9
	v_add_nc_u32_e32 v5, 0x3c000000, v5
	s_delay_alu instid0(VALU_DEP_1) | instskip(NEXT) | instid1(VALU_DEP_1)
	v_and_or_b32 v5, 0x7f800000, v7, v5
	v_cndmask_b32_e32 v3, 0, v5, vcc_lo
	s_delay_alu instid0(VALU_DEP_1)
	v_and_or_b32 v30, 0x80000000, v1, v3
.LBB159_2970:
	s_mov_b32 s17, 0
.LBB159_2971:
	s_delay_alu instid0(SALU_CYCLE_1)
	s_and_not1_b32 vcc_lo, exec_lo, s17
	s_cbranch_vccnz .LBB159_2973
; %bb.2972:
	global_load_u8 v1, v[36:37], off
	s_wait_loadcnt 0x0
	v_lshlrev_b32_e32 v3, 25, v1
	v_lshlrev_b16 v1, 8, v1
	s_delay_alu instid0(VALU_DEP_1) | instskip(SKIP_1) | instid1(VALU_DEP_2)
	v_and_or_b32 v7, 0x7f00, v1, 0.5
	v_bfe_i32 v1, v1, 0, 16
	v_add_f32_e32 v7, -0.5, v7
	v_lshrrev_b32_e32 v5, 4, v3
	v_cmp_gt_u32_e32 vcc_lo, 0x8000000, v3
	s_delay_alu instid0(VALU_DEP_2) | instskip(NEXT) | instid1(VALU_DEP_1)
	v_or_b32_e32 v5, 0x70000000, v5
	v_mul_f32_e32 v5, 0x7800000, v5
	s_delay_alu instid0(VALU_DEP_1) | instskip(NEXT) | instid1(VALU_DEP_1)
	v_cndmask_b32_e32 v3, v5, v7, vcc_lo
	v_and_or_b32 v30, 0x80000000, v1, v3
.LBB159_2973:
	s_mov_b32 s17, 0
	s_mov_b32 s18, -1
.LBB159_2974:
	s_and_not1_b32 vcc_lo, exec_lo, s17
	s_mov_b32 s17, 0
	s_cbranch_vccnz .LBB159_2998
; %bb.2975:
	s_cmp_gt_i32 s15, 14
	s_cbranch_scc0 .LBB159_2978
; %bb.2976:
	s_cmp_eq_u32 s15, 15
	s_cbranch_scc0 .LBB159_2994
; %bb.2977:
	global_load_u16 v1, v[36:37], off
	s_mov_b32 s16, 0
	s_mov_b32 s18, -1
	s_wait_loadcnt 0x0
	v_lshlrev_b32_e32 v30, 16, v1
	s_branch .LBB159_2996
.LBB159_2978:
	s_mov_b32 s17, -1
	s_branch .LBB159_2995
.LBB159_2979:
	s_mov_b32 s16, -1
                                        ; implicit-def: $vgpr30
.LBB159_2980:
	s_delay_alu instid0(SALU_CYCLE_1)
	s_and_not1_b32 vcc_lo, exec_lo, s16
	s_cbranch_vccnz .LBB159_2982
; %bb.2981:
	s_wait_loadcnt 0x0
	global_load_b32 v30, v[36:37], off
.LBB159_2982:
	s_mov_b32 s16, 0
.LBB159_2983:
	s_delay_alu instid0(SALU_CYCLE_1)
	s_and_not1_b32 vcc_lo, exec_lo, s16
	s_cbranch_vccnz .LBB159_2985
; %bb.2984:
	global_load_u16 v1, v[36:37], off
	s_wait_loadcnt 0x0
	v_cvt_f32_f16_e32 v30, v1
.LBB159_2985:
	s_wait_loadcnt 0x0
	v_mov_b32_e32 v31, 0
.LBB159_2986:
	s_mov_b32 s16, 0
.LBB159_2987:
	s_delay_alu instid0(SALU_CYCLE_1)
	s_and_not1_b32 vcc_lo, exec_lo, s16
	s_cbranch_vccnz .LBB159_3014
; %bb.2988:
	s_cmp_lt_i32 s15, 2
	s_cbranch_scc1 .LBB159_2992
; %bb.2989:
	s_cmp_lt_i32 s15, 3
	s_cbranch_scc1 .LBB159_2993
; %bb.2990:
	s_cmp_gt_i32 s15, 3
	s_cbranch_scc0 .LBB159_3000
; %bb.2991:
	s_wait_loadcnt 0x0
	global_load_b64 v[30:31], v[36:37], off
	s_mov_b32 s16, 0
	s_wait_loadcnt 0x0
	v_xor_b32_e32 v1, v30, v31
	v_cls_i32_e32 v3, v31
	s_delay_alu instid0(VALU_DEP_2) | instskip(NEXT) | instid1(VALU_DEP_1)
	v_ashrrev_i32_e32 v1, 31, v1
	v_add_nc_u32_e32 v1, 32, v1
	s_delay_alu instid0(VALU_DEP_1) | instskip(NEXT) | instid1(VALU_DEP_1)
	v_add_min_u32_e64 v1, v3, -1, v1
	v_lshlrev_b64_e32 v[30:31], v1, v[30:31]
	v_sub_nc_u32_e32 v1, 32, v1
	s_delay_alu instid0(VALU_DEP_2) | instskip(NEXT) | instid1(VALU_DEP_1)
	v_min_u32_e32 v3, 1, v30
	v_or_b32_e32 v3, v31, v3
	s_delay_alu instid0(VALU_DEP_1) | instskip(NEXT) | instid1(VALU_DEP_1)
	v_cvt_f32_i32_e32 v3, v3
	v_ldexp_f32 v30, v3, v1
	s_branch .LBB159_3001
.LBB159_2992:
	s_mov_b32 s16, -1
                                        ; implicit-def: $vgpr30
	s_branch .LBB159_3007
.LBB159_2993:
	s_mov_b32 s16, -1
                                        ; implicit-def: $vgpr30
	s_branch .LBB159_3004
.LBB159_2994:
	s_mov_b32 s16, -1
.LBB159_2995:
                                        ; implicit-def: $vgpr30
.LBB159_2996:
	s_and_b32 vcc_lo, exec_lo, s17
	s_mov_b32 s17, 0
	s_cbranch_vccz .LBB159_2998
; %bb.2997:
	s_cmp_lg_u32 s15, 11
	s_mov_b32 s17, -1
	s_cselect_b32 s16, -1, 0
.LBB159_2998:
	v_mov_b32_e32 v31, 0
	s_and_b32 vcc_lo, exec_lo, s16
	s_cbranch_vccz .LBB159_2929
.LBB159_2999:
	s_or_b32 s14, s14, exec_lo
	s_trap 2
	s_cbranch_execz .LBB159_2930
	s_branch .LBB159_2931
.LBB159_3000:
	s_mov_b32 s16, -1
                                        ; implicit-def: $vgpr30
.LBB159_3001:
	s_delay_alu instid0(SALU_CYCLE_1)
	s_and_not1_b32 vcc_lo, exec_lo, s16
	s_cbranch_vccnz .LBB159_3003
; %bb.3002:
	global_load_b32 v1, v[36:37], off
	s_wait_loadcnt 0x0
	v_cvt_f32_i32_e32 v30, v1
.LBB159_3003:
	s_mov_b32 s16, 0
.LBB159_3004:
	s_delay_alu instid0(SALU_CYCLE_1)
	s_and_not1_b32 vcc_lo, exec_lo, s16
	s_cbranch_vccnz .LBB159_3006
; %bb.3005:
	global_load_i16 v1, v[36:37], off
	s_wait_loadcnt 0x0
	v_cvt_f32_i32_e32 v30, v1
.LBB159_3006:
	s_mov_b32 s16, 0
.LBB159_3007:
	s_delay_alu instid0(SALU_CYCLE_1)
	s_and_not1_b32 vcc_lo, exec_lo, s16
	s_cbranch_vccnz .LBB159_3013
; %bb.3008:
	s_cmp_gt_i32 s15, 0
	s_mov_b32 s16, 0
	s_cbranch_scc0 .LBB159_3010
; %bb.3009:
	global_load_i8 v1, v[36:37], off
	s_wait_loadcnt 0x0
	v_cvt_f32_i32_e32 v30, v1
	s_branch .LBB159_3011
.LBB159_3010:
	s_mov_b32 s16, -1
                                        ; implicit-def: $vgpr30
.LBB159_3011:
	s_delay_alu instid0(SALU_CYCLE_1)
	s_and_not1_b32 vcc_lo, exec_lo, s16
	s_cbranch_vccnz .LBB159_3013
; %bb.3012:
	global_load_u8 v1, v[36:37], off
	s_wait_loadcnt 0x0
	v_cvt_f32_ubyte0_e32 v30, v1
.LBB159_3013:
	s_wait_loadcnt 0x0
	v_mov_b32_e32 v31, 0
.LBB159_3014:
	s_mov_b32 s18, -1
.LBB159_3015:
	s_delay_alu instid0(SALU_CYCLE_1)
	s_and_not1_b32 vcc_lo, exec_lo, s18
	s_cbranch_vccnz .LBB159_4271
; %bb.3016:
	v_mov_b32_e32 v33, 0
	s_cmp_lt_i32 s10, 11
	s_delay_alu instid0(VALU_DEP_1)
	v_add_nc_u64_e32 v[38:39], s[6:7], v[32:33]
	s_cbranch_scc1 .LBB159_3023
; %bb.3017:
	s_cmp_gt_i32 s10, 25
	s_mov_b32 s17, 0
	s_cbranch_scc0 .LBB159_3024
; %bb.3018:
	s_cmp_gt_i32 s10, 28
	s_cbranch_scc0 .LBB159_3025
; %bb.3019:
	s_cmp_gt_i32 s10, 43
	;; [unrolled: 3-line block ×3, first 2 shown]
	s_cbranch_scc0 .LBB159_3031
; %bb.3021:
	s_cmp_eq_u32 s10, 46
	s_mov_b32 s19, 0
	s_cbranch_scc0 .LBB159_3036
; %bb.3022:
	global_load_b32 v1, v[38:39], off
	s_mov_b32 s16, 0
	s_mov_b32 s18, -1
	s_wait_loadcnt 0x0
	s_wait_xcnt 0x1
	v_and_b32_e32 v36, 0xffff0000, v1
	v_lshlrev_b32_e32 v32, 16, v1
	s_branch .LBB159_3038
.LBB159_3023:
	s_mov_b32 s16, -1
	s_mov_b32 s18, 0
                                        ; implicit-def: $vgpr36
                                        ; implicit-def: $vgpr32
	s_branch .LBB159_3072
.LBB159_3024:
	s_mov_b32 s19, -1
	s_mov_b32 s18, 0
	s_mov_b32 s16, 0
                                        ; implicit-def: $vgpr36
                                        ; implicit-def: $vgpr32
	s_branch .LBB159_3067
.LBB159_3025:
	s_mov_b32 s19, -1
	s_mov_b32 s18, 0
	s_mov_b32 s16, 0
                                        ; implicit-def: $vgpr36
                                        ; implicit-def: $vgpr32
	s_branch .LBB159_3050
.LBB159_3026:
	s_mov_b32 s19, -1
	s_mov_b32 s18, 0
	s_mov_b32 s16, 0
                                        ; implicit-def: $vgpr36
                                        ; implicit-def: $vgpr32
	s_branch .LBB159_3044
.LBB159_3027:
	s_mov_b32 s17, -1
	s_mov_b32 s19, exec_lo
	v_cmpx_eq_u16_e32 0x80, v1
; %bb.3028:
	s_xor_b32 s17, exec_lo, -1
; %bb.3029:
	s_or_b32 exec_lo, exec_lo, s19
	s_delay_alu instid0(SALU_CYCLE_1)
	s_and_b32 s17, s17, exec_lo
	s_or_saveexec_b32 s18, s18
	v_mov_b32_e32 v30, 0x7f800001
	s_xor_b32 exec_lo, exec_lo, s18
	s_cbranch_execz .LBB159_2943
.LBB159_3030:
	v_cmp_ne_u16_e32 vcc_lo, 0, v1
	v_mov_b32_e32 v30, 0
	s_and_not1_b32 s17, s17, exec_lo
	s_and_b32 s19, vcc_lo, exec_lo
	s_delay_alu instid0(SALU_CYCLE_1)
	s_or_b32 s17, s17, s19
	s_or_b32 exec_lo, exec_lo, s18
	s_and_saveexec_b32 s18, s17
	s_cbranch_execnz .LBB159_2944
	s_branch .LBB159_2945
.LBB159_3031:
	s_mov_b32 s19, -1
	s_mov_b32 s18, 0
	s_mov_b32 s16, 0
	s_branch .LBB159_3037
.LBB159_3032:
	v_bfe_u32 v1, v4, 21, 1
	s_mov_b32 s56, exec_lo
	s_delay_alu instid0(VALU_DEP_1) | instskip(NEXT) | instid1(VALU_DEP_1)
	v_add3_u32 v1, v4, v1, 0x88fffff
	v_lshrrev_b32_e32 v1, 21, v1
	s_and_not1_saveexec_b32 s57, s57
	s_cbranch_execz .LBB159_1005
.LBB159_3033:
	v_add_f32_e64 v1, 0x42800000, |v4|
	s_and_not1_b32 s56, s56, exec_lo
	s_delay_alu instid0(VALU_DEP_1) | instskip(NEXT) | instid1(VALU_DEP_1)
	v_and_b32_e32 v1, 0xff, v1
	v_cmp_ne_u32_e32 vcc_lo, 0, v1
	s_and_b32 s59, vcc_lo, exec_lo
	s_delay_alu instid0(SALU_CYCLE_1)
	s_or_b32 s56, s56, s59
	s_or_b32 exec_lo, exec_lo, s57
	v_mov_b32_e32 v6, 0
	s_and_saveexec_b32 s57, s56
	s_cbranch_execnz .LBB159_1006
	s_branch .LBB159_1007
.LBB159_3034:
	v_bfe_u32 v1, v4, 20, 1
	s_mov_b32 s62, exec_lo
	s_delay_alu instid0(VALU_DEP_1) | instskip(NEXT) | instid1(VALU_DEP_1)
	v_add3_u32 v1, v4, v1, 0x487ffff
	v_lshrrev_b32_e32 v1, 20, v1
	s_and_not1_saveexec_b32 s63, s63
	s_cbranch_execz .LBB159_1540
.LBB159_3035:
	v_add_f32_e64 v1, 0x46000000, |v4|
	s_and_not1_b32 s62, s62, exec_lo
	s_delay_alu instid0(VALU_DEP_1) | instskip(NEXT) | instid1(VALU_DEP_1)
	v_and_b32_e32 v1, 0xff, v1
	v_cmp_ne_u32_e32 vcc_lo, 0, v1
	s_and_b32 s64, vcc_lo, exec_lo
	s_delay_alu instid0(SALU_CYCLE_1)
	s_or_b32 s62, s62, s64
	s_or_b32 exec_lo, exec_lo, s63
	v_mov_b32_e32 v6, 0
	s_and_saveexec_b32 s63, s62
	s_cbranch_execnz .LBB159_1541
	s_branch .LBB159_1542
.LBB159_3036:
	s_mov_b32 s16, -1
	s_mov_b32 s18, 0
.LBB159_3037:
                                        ; implicit-def: $vgpr36
                                        ; implicit-def: $vgpr32
.LBB159_3038:
	s_and_b32 vcc_lo, exec_lo, s19
	s_cbranch_vccz .LBB159_3043
; %bb.3039:
	s_cmp_eq_u32 s10, 44
	s_cbranch_scc0 .LBB159_3041
; %bb.3040:
	global_load_u8 v1, v[38:39], off
	s_mov_b32 s16, 0
	s_mov_b32 s18, -1
	s_wait_loadcnt 0x0
	v_lshlrev_b32_e32 v3, 23, v1
	v_cmp_ne_u32_e32 vcc_lo, 0xff, v1
	s_delay_alu instid0(VALU_DEP_2) | instskip(SKIP_1) | instid1(VALU_DEP_2)
	v_cndmask_b32_e32 v3, 0x7f800001, v3, vcc_lo
	v_cmp_ne_u32_e32 vcc_lo, 0, v1
	v_cndmask_b32_e32 v32, 0x400000, v3, vcc_lo
	s_branch .LBB159_3042
.LBB159_3041:
	s_mov_b32 s16, -1
                                        ; implicit-def: $vgpr32
.LBB159_3042:
	s_wait_xcnt 0x0
	v_mov_b32_e32 v36, 0
.LBB159_3043:
	s_mov_b32 s19, 0
.LBB159_3044:
	s_delay_alu instid0(SALU_CYCLE_1)
	s_and_b32 vcc_lo, exec_lo, s19
	s_cbranch_vccz .LBB159_3049
; %bb.3045:
	s_cmp_eq_u32 s10, 29
	s_cbranch_scc0 .LBB159_3047
; %bb.3046:
	global_load_b64 v[32:33], v[38:39], off
	s_mov_b32 s16, 0
	s_mov_b32 s18, -1
	s_wait_loadcnt 0x0
	v_clz_i32_u32_e32 v1, v33
	s_delay_alu instid0(VALU_DEP_1) | instskip(NEXT) | instid1(VALU_DEP_1)
	v_min_u32_e32 v1, 32, v1
	v_lshlrev_b64_e32 v[32:33], v1, v[32:33]
	v_sub_nc_u32_e32 v1, 32, v1
	s_delay_alu instid0(VALU_DEP_2) | instskip(NEXT) | instid1(VALU_DEP_1)
	v_min_u32_e32 v3, 1, v32
	v_or_b32_e32 v3, v33, v3
	s_delay_alu instid0(VALU_DEP_1) | instskip(NEXT) | instid1(VALU_DEP_1)
	v_cvt_f32_u32_e32 v3, v3
	v_ldexp_f32 v32, v3, v1
	s_branch .LBB159_3048
.LBB159_3047:
	s_mov_b32 s16, -1
                                        ; implicit-def: $vgpr32
.LBB159_3048:
	s_wait_xcnt 0x0
	v_mov_b32_e32 v36, 0
.LBB159_3049:
	s_mov_b32 s19, 0
.LBB159_3050:
	s_delay_alu instid0(SALU_CYCLE_1)
	s_and_b32 vcc_lo, exec_lo, s19
	s_cbranch_vccz .LBB159_3066
; %bb.3051:
	s_cmp_lt_i32 s10, 27
	s_cbranch_scc1 .LBB159_3054
; %bb.3052:
	s_cmp_gt_i32 s10, 27
	s_cbranch_scc0 .LBB159_3055
; %bb.3053:
	global_load_b32 v1, v[38:39], off
	s_mov_b32 s18, 0
	s_wait_loadcnt 0x0
	v_cvt_f32_u32_e32 v32, v1
	s_branch .LBB159_3056
.LBB159_3054:
	s_mov_b32 s18, -1
                                        ; implicit-def: $vgpr32
	s_branch .LBB159_3059
.LBB159_3055:
	s_mov_b32 s18, -1
                                        ; implicit-def: $vgpr32
.LBB159_3056:
	s_delay_alu instid0(SALU_CYCLE_1)
	s_and_not1_b32 vcc_lo, exec_lo, s18
	s_cbranch_vccnz .LBB159_3058
; %bb.3057:
	global_load_u16 v1, v[38:39], off
	s_wait_loadcnt 0x0
	v_cvt_f32_u32_e32 v32, v1
.LBB159_3058:
	s_mov_b32 s18, 0
.LBB159_3059:
	s_delay_alu instid0(SALU_CYCLE_1)
	s_and_not1_b32 vcc_lo, exec_lo, s18
	s_cbranch_vccnz .LBB159_3065
; %bb.3060:
	global_load_u8 v1, v[38:39], off
	s_mov_b32 s18, 0
	s_mov_b32 s19, exec_lo
	s_wait_loadcnt 0x0
	v_cmpx_lt_i16_e32 0x7f, v1
	s_xor_b32 s19, exec_lo, s19
	s_cbranch_execnz .LBB159_3091
; %bb.3061:
	s_or_saveexec_b32 s19, s19
	v_mov_b32_e32 v32, 0x7f800001
	s_xor_b32 exec_lo, exec_lo, s19
	s_cbranch_execnz .LBB159_3094
.LBB159_3062:
	s_or_b32 exec_lo, exec_lo, s19
	s_and_saveexec_b32 s19, s18
	s_cbranch_execz .LBB159_3064
.LBB159_3063:
	v_and_b32_e32 v3, 0xffff, v1
	s_delay_alu instid0(VALU_DEP_1) | instskip(SKIP_1) | instid1(VALU_DEP_2)
	v_dual_lshlrev_b32 v1, 24, v1 :: v_dual_bitop2_b32 v5, 7, v3 bitop3:0x40
	v_bfe_u32 v11, v3, 3, 4
	v_and_b32_e32 v1, 0x80000000, v1
	s_delay_alu instid0(VALU_DEP_3) | instskip(NEXT) | instid1(VALU_DEP_3)
	v_clz_i32_u32_e32 v7, v5
	v_cmp_eq_u32_e32 vcc_lo, 0, v11
	s_delay_alu instid0(VALU_DEP_2) | instskip(NEXT) | instid1(VALU_DEP_1)
	v_min_u32_e32 v7, 32, v7
	v_subrev_nc_u32_e32 v9, 28, v7
	v_sub_nc_u32_e32 v7, 29, v7
	s_delay_alu instid0(VALU_DEP_2) | instskip(NEXT) | instid1(VALU_DEP_2)
	v_lshlrev_b32_e32 v3, v9, v3
	v_cndmask_b32_e32 v7, v11, v7, vcc_lo
	s_delay_alu instid0(VALU_DEP_2) | instskip(NEXT) | instid1(VALU_DEP_1)
	v_and_b32_e32 v3, 7, v3
	v_cndmask_b32_e32 v3, v5, v3, vcc_lo
	s_delay_alu instid0(VALU_DEP_3) | instskip(NEXT) | instid1(VALU_DEP_2)
	v_lshl_add_u32 v5, v7, 23, 0x3b800000
	v_lshlrev_b32_e32 v3, 20, v3
	s_delay_alu instid0(VALU_DEP_1)
	v_or3_b32 v32, v1, v5, v3
.LBB159_3064:
	s_or_b32 exec_lo, exec_lo, s19
.LBB159_3065:
	s_wait_xcnt 0x0
	v_mov_b32_e32 v36, 0
	s_mov_b32 s18, -1
.LBB159_3066:
	s_mov_b32 s19, 0
.LBB159_3067:
	s_delay_alu instid0(SALU_CYCLE_1)
	s_and_b32 vcc_lo, exec_lo, s19
	s_cbranch_vccnz .LBB159_3078
; %bb.3068:
	s_and_b32 vcc_lo, exec_lo, s16
	s_cbranch_vccnz .LBB159_3139
.LBB159_3069:
	s_and_not1_b32 vcc_lo, exec_lo, s17
	s_cbranch_vccnz .LBB159_3071
.LBB159_3070:
	global_load_u8 v1, v[38:39], off
	s_wait_xcnt 0x1
	v_mov_b32_e32 v36, 0
	s_mov_b32 s18, -1
	s_wait_loadcnt 0x0
	v_cmp_ne_u16_e32 vcc_lo, 0, v1
	v_cndmask_b32_e64 v32, 0, 1.0, vcc_lo
.LBB159_3071:
	s_mov_b32 s16, 0
.LBB159_3072:
	s_delay_alu instid0(SALU_CYCLE_1)
	s_and_b32 vcc_lo, exec_lo, s16
	s_cbranch_vccz .LBB159_3155
; %bb.3073:
	s_cmp_lt_i32 s10, 5
	s_cbranch_scc1 .LBB159_3086
; %bb.3074:
	s_cmp_lt_i32 s10, 8
	s_cbranch_scc1 .LBB159_3087
	;; [unrolled: 3-line block ×3, first 2 shown]
; %bb.3076:
	s_cmp_gt_i32 s10, 9
	s_cbranch_scc0 .LBB159_3095
; %bb.3077:
	global_load_b128 v[40:43], v[38:39], off
	s_mov_b32 s16, 0
	s_wait_loadcnt 0x0
	v_cvt_f32_f64_e32 v32, v[40:41]
	s_wait_xcnt 0x1
	v_cvt_f32_f64_e32 v36, v[42:43]
	s_branch .LBB159_3096
.LBB159_3078:
	s_cmp_gt_i32 s10, 22
	s_cbranch_scc0 .LBB159_3088
; %bb.3079:
	s_cmp_lt_i32 s10, 24
	s_cbranch_scc1 .LBB159_3090
; %bb.3080:
	s_cmp_gt_i32 s10, 24
	s_cbranch_scc0 .LBB159_3107
; %bb.3081:
	global_load_u8 v1, v[38:39], off
	s_mov_b32 s18, exec_lo
	s_wait_loadcnt 0x0
	v_cmpx_lt_i16_e32 0x7f, v1
	s_xor_b32 s18, exec_lo, s18
	s_cbranch_execnz .LBB159_3167
; %bb.3082:
	s_or_saveexec_b32 s18, s18
	v_mov_b32_e32 v32, 0x7f800001
	s_xor_b32 exec_lo, exec_lo, s18
	s_cbranch_execnz .LBB159_3170
.LBB159_3083:
	s_or_b32 exec_lo, exec_lo, s18
	s_and_saveexec_b32 s18, s17
	s_cbranch_execz .LBB159_3085
.LBB159_3084:
	v_and_b32_e32 v3, 0xffff, v1
	s_delay_alu instid0(VALU_DEP_1) | instskip(SKIP_1) | instid1(VALU_DEP_2)
	v_dual_lshlrev_b32 v1, 24, v1 :: v_dual_bitop2_b32 v5, 3, v3 bitop3:0x40
	v_bfe_u32 v11, v3, 2, 5
	v_and_b32_e32 v1, 0x80000000, v1
	s_delay_alu instid0(VALU_DEP_3) | instskip(NEXT) | instid1(VALU_DEP_3)
	v_clz_i32_u32_e32 v7, v5
	v_cmp_eq_u32_e32 vcc_lo, 0, v11
	s_delay_alu instid0(VALU_DEP_2) | instskip(NEXT) | instid1(VALU_DEP_1)
	v_min_u32_e32 v7, 32, v7
	v_subrev_nc_u32_e32 v9, 29, v7
	v_sub_nc_u32_e32 v7, 30, v7
	s_delay_alu instid0(VALU_DEP_2) | instskip(NEXT) | instid1(VALU_DEP_2)
	v_lshlrev_b32_e32 v3, v9, v3
	v_cndmask_b32_e32 v7, v11, v7, vcc_lo
	s_delay_alu instid0(VALU_DEP_2) | instskip(NEXT) | instid1(VALU_DEP_1)
	v_and_b32_e32 v3, 3, v3
	v_cndmask_b32_e32 v3, v5, v3, vcc_lo
	s_delay_alu instid0(VALU_DEP_3) | instskip(NEXT) | instid1(VALU_DEP_2)
	v_lshl_add_u32 v5, v7, 23, 0x37800000
	v_lshlrev_b32_e32 v3, 21, v3
	s_delay_alu instid0(VALU_DEP_1)
	v_or3_b32 v32, v1, v5, v3
.LBB159_3085:
	s_or_b32 exec_lo, exec_lo, s18
	s_mov_b32 s17, 0
	s_branch .LBB159_3108
.LBB159_3086:
	s_mov_b32 s16, -1
                                        ; implicit-def: $vgpr36
                                        ; implicit-def: $vgpr32
	s_branch .LBB159_3127
.LBB159_3087:
	s_mov_b32 s16, -1
                                        ; implicit-def: $vgpr36
                                        ; implicit-def: $vgpr32
	s_branch .LBB159_3102
.LBB159_3088:
	s_mov_b32 s17, -1
                                        ; implicit-def: $vgpr32
	s_branch .LBB159_3114
.LBB159_3089:
	s_mov_b32 s16, -1
                                        ; implicit-def: $vgpr36
                                        ; implicit-def: $vgpr32
	s_branch .LBB159_3099
.LBB159_3090:
	s_mov_b32 s17, -1
                                        ; implicit-def: $vgpr32
	s_branch .LBB159_3111
.LBB159_3091:
	s_mov_b32 s18, -1
	s_mov_b32 s20, exec_lo
	v_cmpx_eq_u16_e32 0x80, v1
; %bb.3092:
	s_xor_b32 s18, exec_lo, -1
; %bb.3093:
	s_or_b32 exec_lo, exec_lo, s20
	s_delay_alu instid0(SALU_CYCLE_1)
	s_and_b32 s18, s18, exec_lo
	s_or_saveexec_b32 s19, s19
	v_mov_b32_e32 v32, 0x7f800001
	s_xor_b32 exec_lo, exec_lo, s19
	s_cbranch_execz .LBB159_3062
.LBB159_3094:
	v_cmp_ne_u16_e32 vcc_lo, 0, v1
	v_mov_b32_e32 v32, 0
	s_and_not1_b32 s18, s18, exec_lo
	s_and_b32 s20, vcc_lo, exec_lo
	s_delay_alu instid0(SALU_CYCLE_1)
	s_or_b32 s18, s18, s20
	s_or_b32 exec_lo, exec_lo, s19
	s_and_saveexec_b32 s19, s18
	s_cbranch_execnz .LBB159_3063
	s_branch .LBB159_3064
.LBB159_3095:
	s_mov_b32 s16, -1
                                        ; implicit-def: $vgpr36
                                        ; implicit-def: $vgpr32
.LBB159_3096:
	s_delay_alu instid0(SALU_CYCLE_1)
	s_and_not1_b32 vcc_lo, exec_lo, s16
	s_cbranch_vccnz .LBB159_3098
; %bb.3097:
	global_load_b64 v[32:33], v[38:39], off
	s_wait_loadcnt 0x0
	s_wait_xcnt 0x1
	v_mov_b32_e32 v36, v33
.LBB159_3098:
	s_mov_b32 s16, 0
.LBB159_3099:
	s_delay_alu instid0(SALU_CYCLE_1)
	s_and_not1_b32 vcc_lo, exec_lo, s16
	s_cbranch_vccnz .LBB159_3101
; %bb.3100:
	global_load_b32 v1, v[38:39], off
	s_wait_loadcnt 0x0
	v_lshrrev_b32_e32 v3, 16, v1
	v_cvt_f32_f16_e32 v32, v1
	s_wait_xcnt 0x1
	s_delay_alu instid0(VALU_DEP_2)
	v_cvt_f32_f16_e32 v36, v3
.LBB159_3101:
	s_mov_b32 s16, 0
.LBB159_3102:
	s_delay_alu instid0(SALU_CYCLE_1)
	s_and_not1_b32 vcc_lo, exec_lo, s16
	s_cbranch_vccnz .LBB159_3126
; %bb.3103:
	s_cmp_lt_i32 s10, 6
	s_cbranch_scc1 .LBB159_3106
; %bb.3104:
	s_cmp_gt_i32 s10, 6
	s_cbranch_scc0 .LBB159_3119
; %bb.3105:
	global_load_b64 v[32:33], v[38:39], off
	s_mov_b32 s16, 0
	s_wait_loadcnt 0x0
	v_cvt_f32_f64_e32 v32, v[32:33]
	s_branch .LBB159_3120
.LBB159_3106:
	s_mov_b32 s16, -1
                                        ; implicit-def: $vgpr32
	s_branch .LBB159_3123
.LBB159_3107:
	s_mov_b32 s17, -1
                                        ; implicit-def: $vgpr32
.LBB159_3108:
	s_delay_alu instid0(SALU_CYCLE_1)
	s_and_b32 vcc_lo, exec_lo, s17
	s_cbranch_vccz .LBB159_3110
; %bb.3109:
	global_load_u8 v1, v[38:39], off
	s_wait_loadcnt 0x0
	v_lshlrev_b32_e32 v1, 24, v1
	s_delay_alu instid0(VALU_DEP_1) | instskip(NEXT) | instid1(VALU_DEP_1)
	v_and_b32_e32 v3, 0x7f000000, v1
	v_clz_i32_u32_e32 v5, v3
	v_add_nc_u32_e32 v9, 0x1000000, v3
	v_cmp_ne_u32_e32 vcc_lo, 0, v3
	s_delay_alu instid0(VALU_DEP_3) | instskip(NEXT) | instid1(VALU_DEP_1)
	v_min_u32_e32 v5, 32, v5
	v_sub_nc_u32_e64 v5, v5, 4 clamp
	s_delay_alu instid0(VALU_DEP_1) | instskip(NEXT) | instid1(VALU_DEP_1)
	v_dual_lshlrev_b32 v7, v5, v3 :: v_dual_lshlrev_b32 v5, 23, v5
	v_lshrrev_b32_e32 v7, 4, v7
	s_delay_alu instid0(VALU_DEP_1) | instskip(SKIP_1) | instid1(VALU_DEP_2)
	v_sub_nc_u32_e32 v5, v7, v5
	v_ashrrev_i32_e32 v7, 8, v9
	v_add_nc_u32_e32 v5, 0x3c000000, v5
	s_delay_alu instid0(VALU_DEP_1) | instskip(NEXT) | instid1(VALU_DEP_1)
	v_and_or_b32 v5, 0x7f800000, v7, v5
	v_cndmask_b32_e32 v3, 0, v5, vcc_lo
	s_delay_alu instid0(VALU_DEP_1)
	v_and_or_b32 v32, 0x80000000, v1, v3
.LBB159_3110:
	s_mov_b32 s17, 0
.LBB159_3111:
	s_delay_alu instid0(SALU_CYCLE_1)
	s_and_not1_b32 vcc_lo, exec_lo, s17
	s_cbranch_vccnz .LBB159_3113
; %bb.3112:
	global_load_u8 v1, v[38:39], off
	s_wait_loadcnt 0x0
	v_lshlrev_b32_e32 v3, 25, v1
	v_lshlrev_b16 v1, 8, v1
	s_delay_alu instid0(VALU_DEP_1) | instskip(SKIP_1) | instid1(VALU_DEP_2)
	v_and_or_b32 v7, 0x7f00, v1, 0.5
	v_bfe_i32 v1, v1, 0, 16
	v_add_f32_e32 v7, -0.5, v7
	v_lshrrev_b32_e32 v5, 4, v3
	v_cmp_gt_u32_e32 vcc_lo, 0x8000000, v3
	s_delay_alu instid0(VALU_DEP_2) | instskip(NEXT) | instid1(VALU_DEP_1)
	v_or_b32_e32 v5, 0x70000000, v5
	v_mul_f32_e32 v5, 0x7800000, v5
	s_delay_alu instid0(VALU_DEP_1) | instskip(NEXT) | instid1(VALU_DEP_1)
	v_cndmask_b32_e32 v3, v5, v7, vcc_lo
	v_and_or_b32 v32, 0x80000000, v1, v3
.LBB159_3113:
	s_mov_b32 s17, 0
	s_mov_b32 s18, -1
.LBB159_3114:
	s_and_not1_b32 vcc_lo, exec_lo, s17
	s_mov_b32 s17, 0
	s_cbranch_vccnz .LBB159_3138
; %bb.3115:
	s_cmp_gt_i32 s10, 14
	s_cbranch_scc0 .LBB159_3118
; %bb.3116:
	s_cmp_eq_u32 s10, 15
	s_cbranch_scc0 .LBB159_3134
; %bb.3117:
	global_load_u16 v1, v[38:39], off
	s_mov_b32 s16, 0
	s_mov_b32 s18, -1
	s_wait_loadcnt 0x0
	v_lshlrev_b32_e32 v32, 16, v1
	s_branch .LBB159_3136
.LBB159_3118:
	s_mov_b32 s17, -1
	s_branch .LBB159_3135
.LBB159_3119:
	s_mov_b32 s16, -1
                                        ; implicit-def: $vgpr32
.LBB159_3120:
	s_delay_alu instid0(SALU_CYCLE_1)
	s_and_not1_b32 vcc_lo, exec_lo, s16
	s_cbranch_vccnz .LBB159_3122
; %bb.3121:
	global_load_b32 v32, v[38:39], off
.LBB159_3122:
	s_mov_b32 s16, 0
.LBB159_3123:
	s_delay_alu instid0(SALU_CYCLE_1)
	s_and_not1_b32 vcc_lo, exec_lo, s16
	s_cbranch_vccnz .LBB159_3125
; %bb.3124:
	global_load_u16 v1, v[38:39], off
	s_wait_loadcnt 0x0
	v_cvt_f32_f16_e32 v32, v1
.LBB159_3125:
	s_wait_xcnt 0x0
	v_mov_b32_e32 v36, 0
.LBB159_3126:
	s_mov_b32 s16, 0
.LBB159_3127:
	s_delay_alu instid0(SALU_CYCLE_1)
	s_and_not1_b32 vcc_lo, exec_lo, s16
	s_cbranch_vccnz .LBB159_3154
; %bb.3128:
	s_cmp_lt_i32 s10, 2
	s_cbranch_scc1 .LBB159_3132
; %bb.3129:
	s_cmp_lt_i32 s10, 3
	s_cbranch_scc1 .LBB159_3133
; %bb.3130:
	s_cmp_gt_i32 s10, 3
	s_cbranch_scc0 .LBB159_3140
; %bb.3131:
	s_wait_loadcnt 0x0
	global_load_b64 v[32:33], v[38:39], off
	s_mov_b32 s16, 0
	s_wait_loadcnt 0x0
	v_xor_b32_e32 v1, v32, v33
	v_cls_i32_e32 v3, v33
	s_delay_alu instid0(VALU_DEP_2) | instskip(NEXT) | instid1(VALU_DEP_1)
	v_ashrrev_i32_e32 v1, 31, v1
	v_add_nc_u32_e32 v1, 32, v1
	s_delay_alu instid0(VALU_DEP_1) | instskip(NEXT) | instid1(VALU_DEP_1)
	v_add_min_u32_e64 v1, v3, -1, v1
	v_lshlrev_b64_e32 v[32:33], v1, v[32:33]
	v_sub_nc_u32_e32 v1, 32, v1
	s_delay_alu instid0(VALU_DEP_2) | instskip(NEXT) | instid1(VALU_DEP_1)
	v_min_u32_e32 v3, 1, v32
	v_or_b32_e32 v3, v33, v3
	s_delay_alu instid0(VALU_DEP_1) | instskip(NEXT) | instid1(VALU_DEP_1)
	v_cvt_f32_i32_e32 v3, v3
	v_ldexp_f32 v32, v3, v1
	s_branch .LBB159_3141
.LBB159_3132:
	s_mov_b32 s16, -1
                                        ; implicit-def: $vgpr32
	s_branch .LBB159_3147
.LBB159_3133:
	s_mov_b32 s16, -1
                                        ; implicit-def: $vgpr32
	s_branch .LBB159_3144
.LBB159_3134:
	s_mov_b32 s16, -1
.LBB159_3135:
                                        ; implicit-def: $vgpr32
.LBB159_3136:
	s_and_b32 vcc_lo, exec_lo, s17
	s_mov_b32 s17, 0
	s_cbranch_vccz .LBB159_3138
; %bb.3137:
	s_cmp_lg_u32 s10, 11
	s_mov_b32 s17, -1
	s_cselect_b32 s16, -1, 0
.LBB159_3138:
	s_wait_xcnt 0x0
	v_mov_b32_e32 v36, 0
	s_and_b32 vcc_lo, exec_lo, s16
	s_cbranch_vccz .LBB159_3069
.LBB159_3139:
	s_or_b32 s14, s14, exec_lo
	s_trap 2
	s_cbranch_execz .LBB159_3070
	s_branch .LBB159_3071
.LBB159_3140:
	s_mov_b32 s16, -1
                                        ; implicit-def: $vgpr32
.LBB159_3141:
	s_delay_alu instid0(SALU_CYCLE_1)
	s_and_not1_b32 vcc_lo, exec_lo, s16
	s_cbranch_vccnz .LBB159_3143
; %bb.3142:
	global_load_b32 v1, v[38:39], off
	s_wait_loadcnt 0x0
	v_cvt_f32_i32_e32 v32, v1
.LBB159_3143:
	s_mov_b32 s16, 0
.LBB159_3144:
	s_delay_alu instid0(SALU_CYCLE_1)
	s_and_not1_b32 vcc_lo, exec_lo, s16
	s_cbranch_vccnz .LBB159_3146
; %bb.3145:
	global_load_i16 v1, v[38:39], off
	s_wait_loadcnt 0x0
	v_cvt_f32_i32_e32 v32, v1
.LBB159_3146:
	s_mov_b32 s16, 0
.LBB159_3147:
	s_delay_alu instid0(SALU_CYCLE_1)
	s_and_not1_b32 vcc_lo, exec_lo, s16
	s_cbranch_vccnz .LBB159_3153
; %bb.3148:
	s_cmp_gt_i32 s10, 0
	s_mov_b32 s16, 0
	s_cbranch_scc0 .LBB159_3150
; %bb.3149:
	global_load_i8 v1, v[38:39], off
	s_wait_loadcnt 0x0
	v_cvt_f32_i32_e32 v32, v1
	s_branch .LBB159_3151
.LBB159_3150:
	s_mov_b32 s16, -1
                                        ; implicit-def: $vgpr32
.LBB159_3151:
	s_delay_alu instid0(SALU_CYCLE_1)
	s_and_not1_b32 vcc_lo, exec_lo, s16
	s_cbranch_vccnz .LBB159_3153
; %bb.3152:
	global_load_u8 v1, v[38:39], off
	s_wait_loadcnt 0x0
	v_cvt_f32_ubyte0_e32 v32, v1
.LBB159_3153:
	s_wait_xcnt 0x0
	v_mov_b32_e32 v36, 0
.LBB159_3154:
	s_mov_b32 s18, -1
.LBB159_3155:
	s_delay_alu instid0(SALU_CYCLE_1)
	s_and_not1_b32 vcc_lo, exec_lo, s18
	s_cbranch_vccnz .LBB159_4271
; %bb.3156:
	v_mov_b32_e32 v35, 0
	s_cmp_lt_i32 s11, 11
	s_wait_xcnt 0x0
	s_delay_alu instid0(VALU_DEP_1)
	v_add_nc_u64_e32 v[38:39], s[0:1], v[34:35]
	s_cbranch_scc1 .LBB159_3163
; %bb.3157:
	s_cmp_gt_i32 s11, 25
	s_mov_b32 s17, 0
	s_cbranch_scc0 .LBB159_3164
; %bb.3158:
	s_cmp_gt_i32 s11, 28
	s_cbranch_scc0 .LBB159_3165
; %bb.3159:
	s_cmp_gt_i32 s11, 43
	;; [unrolled: 3-line block ×3, first 2 shown]
	s_cbranch_scc0 .LBB159_3171
; %bb.3161:
	s_cmp_eq_u32 s11, 46
	s_mov_b32 s19, 0
	s_cbranch_scc0 .LBB159_3174
; %bb.3162:
	global_load_b32 v1, v[38:39], off
	s_mov_b32 s16, 0
	s_mov_b32 s18, -1
	s_wait_loadcnt 0x0
	v_and_b32_e32 v35, 0xffff0000, v1
	v_lshlrev_b32_e32 v34, 16, v1
	s_branch .LBB159_3176
.LBB159_3163:
	s_mov_b32 s16, -1
	s_mov_b32 s18, 0
                                        ; implicit-def: $vgpr35
	s_branch .LBB159_3210
.LBB159_3164:
	s_mov_b32 s19, -1
	s_mov_b32 s18, 0
	s_mov_b32 s16, 0
                                        ; implicit-def: $vgpr35
	s_branch .LBB159_3205
.LBB159_3165:
	s_mov_b32 s19, -1
	s_mov_b32 s18, 0
	s_mov_b32 s16, 0
                                        ; implicit-def: $vgpr35
	s_branch .LBB159_3188
.LBB159_3166:
	s_mov_b32 s19, -1
	s_mov_b32 s18, 0
	s_mov_b32 s16, 0
                                        ; implicit-def: $vgpr35
	s_branch .LBB159_3182
.LBB159_3167:
	s_mov_b32 s17, -1
	s_mov_b32 s19, exec_lo
	v_cmpx_eq_u16_e32 0x80, v1
; %bb.3168:
	s_xor_b32 s17, exec_lo, -1
; %bb.3169:
	s_or_b32 exec_lo, exec_lo, s19
	s_delay_alu instid0(SALU_CYCLE_1)
	s_and_b32 s17, s17, exec_lo
	s_or_saveexec_b32 s18, s18
	v_mov_b32_e32 v32, 0x7f800001
	s_xor_b32 exec_lo, exec_lo, s18
	s_cbranch_execz .LBB159_3083
.LBB159_3170:
	v_cmp_ne_u16_e32 vcc_lo, 0, v1
	v_mov_b32_e32 v32, 0
	s_and_not1_b32 s17, s17, exec_lo
	s_and_b32 s19, vcc_lo, exec_lo
	s_delay_alu instid0(SALU_CYCLE_1)
	s_or_b32 s17, s17, s19
	s_or_b32 exec_lo, exec_lo, s18
	s_and_saveexec_b32 s18, s17
	s_cbranch_execnz .LBB159_3084
	s_branch .LBB159_3085
.LBB159_3171:
	s_mov_b32 s19, -1
	s_mov_b32 s18, 0
	s_mov_b32 s16, 0
	s_branch .LBB159_3175
.LBB159_3172:
	v_bfe_u32 v1, v4, 21, 1
	s_mov_b32 s62, exec_lo
	s_delay_alu instid0(VALU_DEP_1) | instskip(NEXT) | instid1(VALU_DEP_1)
	v_add3_u32 v1, v4, v1, 0x88fffff
	v_lshrrev_b32_e32 v1, 21, v1
	s_and_not1_saveexec_b32 s63, s63
	s_cbranch_execz .LBB159_1553
.LBB159_3173:
	v_add_f32_e64 v1, 0x42800000, |v4|
	s_and_not1_b32 s62, s62, exec_lo
	s_delay_alu instid0(VALU_DEP_1) | instskip(NEXT) | instid1(VALU_DEP_1)
	v_and_b32_e32 v1, 0xff, v1
	v_cmp_ne_u32_e32 vcc_lo, 0, v1
	s_and_b32 s64, vcc_lo, exec_lo
	s_delay_alu instid0(SALU_CYCLE_1)
	s_or_b32 s62, s62, s64
	s_or_b32 exec_lo, exec_lo, s63
	v_mov_b32_e32 v6, 0
	s_and_saveexec_b32 s63, s62
	s_cbranch_execnz .LBB159_1554
	s_branch .LBB159_1555
.LBB159_3174:
	s_mov_b32 s16, -1
	s_mov_b32 s18, 0
.LBB159_3175:
                                        ; implicit-def: $vgpr35
.LBB159_3176:
	s_and_b32 vcc_lo, exec_lo, s19
	s_cbranch_vccz .LBB159_3181
; %bb.3177:
	s_cmp_eq_u32 s11, 44
	s_cbranch_scc0 .LBB159_3179
; %bb.3178:
	global_load_u8 v1, v[38:39], off
	s_mov_b32 s16, 0
	s_mov_b32 s18, -1
	s_wait_loadcnt 0x0
	v_lshlrev_b32_e32 v3, 23, v1
	v_cmp_ne_u32_e32 vcc_lo, 0xff, v1
	s_delay_alu instid0(VALU_DEP_2) | instskip(SKIP_1) | instid1(VALU_DEP_2)
	v_cndmask_b32_e32 v3, 0x7f800001, v3, vcc_lo
	v_cmp_ne_u32_e32 vcc_lo, 0, v1
	v_cndmask_b32_e32 v34, 0x400000, v3, vcc_lo
	s_branch .LBB159_3180
.LBB159_3179:
	s_mov_b32 s16, -1
                                        ; implicit-def: $vgpr34
.LBB159_3180:
	v_mov_b32_e32 v35, 0
.LBB159_3181:
	s_mov_b32 s19, 0
.LBB159_3182:
	s_delay_alu instid0(SALU_CYCLE_1)
	s_and_b32 vcc_lo, exec_lo, s19
	s_cbranch_vccz .LBB159_3187
; %bb.3183:
	s_cmp_eq_u32 s11, 29
	s_cbranch_scc0 .LBB159_3185
; %bb.3184:
	global_load_b64 v[34:35], v[38:39], off
	s_mov_b32 s16, 0
	s_mov_b32 s18, -1
	s_wait_loadcnt 0x0
	v_clz_i32_u32_e32 v1, v35
	s_delay_alu instid0(VALU_DEP_1) | instskip(NEXT) | instid1(VALU_DEP_1)
	v_min_u32_e32 v1, 32, v1
	v_lshlrev_b64_e32 v[34:35], v1, v[34:35]
	v_sub_nc_u32_e32 v1, 32, v1
	s_delay_alu instid0(VALU_DEP_2) | instskip(NEXT) | instid1(VALU_DEP_1)
	v_min_u32_e32 v3, 1, v34
	v_or_b32_e32 v3, v35, v3
	s_delay_alu instid0(VALU_DEP_1) | instskip(NEXT) | instid1(VALU_DEP_1)
	v_cvt_f32_u32_e32 v3, v3
	v_ldexp_f32 v34, v3, v1
	s_branch .LBB159_3186
.LBB159_3185:
	s_mov_b32 s16, -1
                                        ; implicit-def: $vgpr34
.LBB159_3186:
	v_mov_b32_e32 v35, 0
.LBB159_3187:
	s_mov_b32 s19, 0
.LBB159_3188:
	s_delay_alu instid0(SALU_CYCLE_1)
	s_and_b32 vcc_lo, exec_lo, s19
	s_cbranch_vccz .LBB159_3204
; %bb.3189:
	s_cmp_lt_i32 s11, 27
	s_cbranch_scc1 .LBB159_3192
; %bb.3190:
	s_cmp_gt_i32 s11, 27
	s_cbranch_scc0 .LBB159_3193
; %bb.3191:
	global_load_b32 v1, v[38:39], off
	s_mov_b32 s18, 0
	s_wait_loadcnt 0x0
	v_cvt_f32_u32_e32 v34, v1
	s_branch .LBB159_3194
.LBB159_3192:
	s_mov_b32 s18, -1
                                        ; implicit-def: $vgpr34
	s_branch .LBB159_3197
.LBB159_3193:
	s_mov_b32 s18, -1
                                        ; implicit-def: $vgpr34
.LBB159_3194:
	s_delay_alu instid0(SALU_CYCLE_1)
	s_and_not1_b32 vcc_lo, exec_lo, s18
	s_cbranch_vccnz .LBB159_3196
; %bb.3195:
	global_load_u16 v1, v[38:39], off
	s_wait_loadcnt 0x0
	v_cvt_f32_u32_e32 v34, v1
.LBB159_3196:
	s_mov_b32 s18, 0
.LBB159_3197:
	s_delay_alu instid0(SALU_CYCLE_1)
	s_and_not1_b32 vcc_lo, exec_lo, s18
	s_cbranch_vccnz .LBB159_3203
; %bb.3198:
	global_load_u8 v1, v[38:39], off
	s_mov_b32 s18, 0
	s_mov_b32 s19, exec_lo
	s_wait_loadcnt 0x0
	v_cmpx_lt_i16_e32 0x7f, v1
	s_xor_b32 s19, exec_lo, s19
	s_cbranch_execnz .LBB159_3229
; %bb.3199:
	s_or_saveexec_b32 s19, s19
	v_mov_b32_e32 v34, 0x7f800001
	s_xor_b32 exec_lo, exec_lo, s19
	s_cbranch_execnz .LBB159_3232
.LBB159_3200:
	s_or_b32 exec_lo, exec_lo, s19
	s_and_saveexec_b32 s19, s18
	s_cbranch_execz .LBB159_3202
.LBB159_3201:
	v_and_b32_e32 v3, 0xffff, v1
	s_delay_alu instid0(VALU_DEP_1) | instskip(SKIP_1) | instid1(VALU_DEP_2)
	v_dual_lshlrev_b32 v1, 24, v1 :: v_dual_bitop2_b32 v5, 7, v3 bitop3:0x40
	v_bfe_u32 v11, v3, 3, 4
	v_and_b32_e32 v1, 0x80000000, v1
	s_delay_alu instid0(VALU_DEP_3) | instskip(NEXT) | instid1(VALU_DEP_3)
	v_clz_i32_u32_e32 v7, v5
	v_cmp_eq_u32_e32 vcc_lo, 0, v11
	s_delay_alu instid0(VALU_DEP_2) | instskip(NEXT) | instid1(VALU_DEP_1)
	v_min_u32_e32 v7, 32, v7
	v_subrev_nc_u32_e32 v9, 28, v7
	v_sub_nc_u32_e32 v7, 29, v7
	s_delay_alu instid0(VALU_DEP_2) | instskip(NEXT) | instid1(VALU_DEP_2)
	v_lshlrev_b32_e32 v3, v9, v3
	v_cndmask_b32_e32 v7, v11, v7, vcc_lo
	s_delay_alu instid0(VALU_DEP_2) | instskip(NEXT) | instid1(VALU_DEP_1)
	v_and_b32_e32 v3, 7, v3
	v_cndmask_b32_e32 v3, v5, v3, vcc_lo
	s_delay_alu instid0(VALU_DEP_3) | instskip(NEXT) | instid1(VALU_DEP_2)
	v_lshl_add_u32 v5, v7, 23, 0x3b800000
	v_lshlrev_b32_e32 v3, 20, v3
	s_delay_alu instid0(VALU_DEP_1)
	v_or3_b32 v34, v1, v5, v3
.LBB159_3202:
	s_or_b32 exec_lo, exec_lo, s19
.LBB159_3203:
	v_mov_b32_e32 v35, 0
	s_mov_b32 s18, -1
.LBB159_3204:
	s_mov_b32 s19, 0
.LBB159_3205:
	s_delay_alu instid0(SALU_CYCLE_1)
	s_and_b32 vcc_lo, exec_lo, s19
	s_cbranch_vccnz .LBB159_3216
; %bb.3206:
	s_and_b32 vcc_lo, exec_lo, s16
	s_cbranch_vccnz .LBB159_3277
.LBB159_3207:
	s_and_not1_b32 vcc_lo, exec_lo, s17
	s_cbranch_vccnz .LBB159_3209
.LBB159_3208:
	global_load_u8 v1, v[38:39], off
	v_mov_b32_e32 v35, 0
	s_mov_b32 s18, -1
	s_wait_loadcnt 0x0
	v_cmp_ne_u16_e32 vcc_lo, 0, v1
	v_cndmask_b32_e64 v34, 0, 1.0, vcc_lo
.LBB159_3209:
	s_mov_b32 s16, 0
.LBB159_3210:
	s_delay_alu instid0(SALU_CYCLE_1)
	s_and_b32 vcc_lo, exec_lo, s16
	s_cbranch_vccz .LBB159_3293
; %bb.3211:
	s_cmp_lt_i32 s11, 5
	s_cbranch_scc1 .LBB159_3224
; %bb.3212:
	s_cmp_lt_i32 s11, 8
	s_cbranch_scc1 .LBB159_3225
	;; [unrolled: 3-line block ×3, first 2 shown]
; %bb.3214:
	s_cmp_gt_i32 s11, 9
	s_cbranch_scc0 .LBB159_3233
; %bb.3215:
	global_load_b128 v[40:43], v[38:39], off
	s_mov_b32 s16, 0
	s_wait_loadcnt 0x0
	v_cvt_f32_f64_e32 v34, v[40:41]
	v_cvt_f32_f64_e32 v35, v[42:43]
	s_branch .LBB159_3234
.LBB159_3216:
	s_cmp_gt_i32 s11, 22
	s_cbranch_scc0 .LBB159_3226
; %bb.3217:
	s_cmp_lt_i32 s11, 24
	s_cbranch_scc1 .LBB159_3228
; %bb.3218:
	s_cmp_gt_i32 s11, 24
	s_cbranch_scc0 .LBB159_3245
; %bb.3219:
	global_load_u8 v1, v[38:39], off
	s_mov_b32 s18, exec_lo
	s_wait_loadcnt 0x0
	v_cmpx_lt_i16_e32 0x7f, v1
	s_xor_b32 s18, exec_lo, s18
	s_cbranch_execnz .LBB159_3305
; %bb.3220:
	s_or_saveexec_b32 s18, s18
	v_mov_b32_e32 v34, 0x7f800001
	s_xor_b32 exec_lo, exec_lo, s18
	s_cbranch_execnz .LBB159_3308
.LBB159_3221:
	s_or_b32 exec_lo, exec_lo, s18
	s_and_saveexec_b32 s18, s17
	s_cbranch_execz .LBB159_3223
.LBB159_3222:
	v_and_b32_e32 v3, 0xffff, v1
	s_delay_alu instid0(VALU_DEP_1) | instskip(SKIP_1) | instid1(VALU_DEP_2)
	v_dual_lshlrev_b32 v1, 24, v1 :: v_dual_bitop2_b32 v5, 3, v3 bitop3:0x40
	v_bfe_u32 v11, v3, 2, 5
	v_and_b32_e32 v1, 0x80000000, v1
	s_delay_alu instid0(VALU_DEP_3) | instskip(NEXT) | instid1(VALU_DEP_3)
	v_clz_i32_u32_e32 v7, v5
	v_cmp_eq_u32_e32 vcc_lo, 0, v11
	s_delay_alu instid0(VALU_DEP_2) | instskip(NEXT) | instid1(VALU_DEP_1)
	v_min_u32_e32 v7, 32, v7
	v_subrev_nc_u32_e32 v9, 29, v7
	v_sub_nc_u32_e32 v7, 30, v7
	s_delay_alu instid0(VALU_DEP_2) | instskip(NEXT) | instid1(VALU_DEP_2)
	v_lshlrev_b32_e32 v3, v9, v3
	v_cndmask_b32_e32 v7, v11, v7, vcc_lo
	s_delay_alu instid0(VALU_DEP_2) | instskip(NEXT) | instid1(VALU_DEP_1)
	v_and_b32_e32 v3, 3, v3
	v_cndmask_b32_e32 v3, v5, v3, vcc_lo
	s_delay_alu instid0(VALU_DEP_3) | instskip(NEXT) | instid1(VALU_DEP_2)
	v_lshl_add_u32 v5, v7, 23, 0x37800000
	v_lshlrev_b32_e32 v3, 21, v3
	s_delay_alu instid0(VALU_DEP_1)
	v_or3_b32 v34, v1, v5, v3
.LBB159_3223:
	s_or_b32 exec_lo, exec_lo, s18
	s_mov_b32 s17, 0
	s_branch .LBB159_3246
.LBB159_3224:
	s_mov_b32 s16, -1
                                        ; implicit-def: $vgpr35
	s_branch .LBB159_3265
.LBB159_3225:
	s_mov_b32 s16, -1
                                        ; implicit-def: $vgpr35
	s_branch .LBB159_3240
.LBB159_3226:
	s_mov_b32 s17, -1
                                        ; implicit-def: $vgpr34
	s_branch .LBB159_3252
.LBB159_3227:
	s_mov_b32 s16, -1
                                        ; implicit-def: $vgpr35
	s_branch .LBB159_3237
.LBB159_3228:
	s_mov_b32 s17, -1
                                        ; implicit-def: $vgpr34
	s_branch .LBB159_3249
.LBB159_3229:
	s_mov_b32 s18, -1
	s_mov_b32 s20, exec_lo
	v_cmpx_eq_u16_e32 0x80, v1
; %bb.3230:
	s_xor_b32 s18, exec_lo, -1
; %bb.3231:
	s_or_b32 exec_lo, exec_lo, s20
	s_delay_alu instid0(SALU_CYCLE_1)
	s_and_b32 s18, s18, exec_lo
	s_or_saveexec_b32 s19, s19
	v_mov_b32_e32 v34, 0x7f800001
	s_xor_b32 exec_lo, exec_lo, s19
	s_cbranch_execz .LBB159_3200
.LBB159_3232:
	v_cmp_ne_u16_e32 vcc_lo, 0, v1
	v_mov_b32_e32 v34, 0
	s_and_not1_b32 s18, s18, exec_lo
	s_and_b32 s20, vcc_lo, exec_lo
	s_delay_alu instid0(SALU_CYCLE_1)
	s_or_b32 s18, s18, s20
	s_or_b32 exec_lo, exec_lo, s19
	s_and_saveexec_b32 s19, s18
	s_cbranch_execnz .LBB159_3201
	s_branch .LBB159_3202
.LBB159_3233:
	s_mov_b32 s16, -1
                                        ; implicit-def: $vgpr35
.LBB159_3234:
	s_delay_alu instid0(SALU_CYCLE_1)
	s_and_not1_b32 vcc_lo, exec_lo, s16
	s_cbranch_vccnz .LBB159_3236
; %bb.3235:
	global_load_b64 v[34:35], v[38:39], off
.LBB159_3236:
	s_mov_b32 s16, 0
.LBB159_3237:
	s_delay_alu instid0(SALU_CYCLE_1)
	s_and_not1_b32 vcc_lo, exec_lo, s16
	s_cbranch_vccnz .LBB159_3239
; %bb.3238:
	global_load_b32 v1, v[38:39], off
	s_wait_loadcnt 0x0
	v_lshrrev_b32_e32 v3, 16, v1
	v_cvt_f32_f16_e32 v34, v1
	s_delay_alu instid0(VALU_DEP_2)
	v_cvt_f32_f16_e32 v35, v3
.LBB159_3239:
	s_mov_b32 s16, 0
.LBB159_3240:
	s_delay_alu instid0(SALU_CYCLE_1)
	s_and_not1_b32 vcc_lo, exec_lo, s16
	s_cbranch_vccnz .LBB159_3264
; %bb.3241:
	s_cmp_lt_i32 s11, 6
	s_cbranch_scc1 .LBB159_3244
; %bb.3242:
	s_cmp_gt_i32 s11, 6
	s_cbranch_scc0 .LBB159_3257
; %bb.3243:
	s_wait_loadcnt 0x0
	global_load_b64 v[34:35], v[38:39], off
	s_mov_b32 s16, 0
	s_wait_loadcnt 0x0
	v_cvt_f32_f64_e32 v34, v[34:35]
	s_branch .LBB159_3258
.LBB159_3244:
	s_mov_b32 s16, -1
                                        ; implicit-def: $vgpr34
	s_branch .LBB159_3261
.LBB159_3245:
	s_mov_b32 s17, -1
                                        ; implicit-def: $vgpr34
.LBB159_3246:
	s_delay_alu instid0(SALU_CYCLE_1)
	s_and_b32 vcc_lo, exec_lo, s17
	s_cbranch_vccz .LBB159_3248
; %bb.3247:
	global_load_u8 v1, v[38:39], off
	s_wait_loadcnt 0x0
	v_lshlrev_b32_e32 v1, 24, v1
	s_delay_alu instid0(VALU_DEP_1) | instskip(NEXT) | instid1(VALU_DEP_1)
	v_and_b32_e32 v3, 0x7f000000, v1
	v_clz_i32_u32_e32 v5, v3
	v_add_nc_u32_e32 v9, 0x1000000, v3
	v_cmp_ne_u32_e32 vcc_lo, 0, v3
	s_delay_alu instid0(VALU_DEP_3) | instskip(NEXT) | instid1(VALU_DEP_1)
	v_min_u32_e32 v5, 32, v5
	v_sub_nc_u32_e64 v5, v5, 4 clamp
	s_delay_alu instid0(VALU_DEP_1) | instskip(NEXT) | instid1(VALU_DEP_1)
	v_dual_lshlrev_b32 v7, v5, v3 :: v_dual_lshlrev_b32 v5, 23, v5
	v_lshrrev_b32_e32 v7, 4, v7
	s_delay_alu instid0(VALU_DEP_1) | instskip(SKIP_1) | instid1(VALU_DEP_2)
	v_sub_nc_u32_e32 v5, v7, v5
	v_ashrrev_i32_e32 v7, 8, v9
	v_add_nc_u32_e32 v5, 0x3c000000, v5
	s_delay_alu instid0(VALU_DEP_1) | instskip(NEXT) | instid1(VALU_DEP_1)
	v_and_or_b32 v5, 0x7f800000, v7, v5
	v_cndmask_b32_e32 v3, 0, v5, vcc_lo
	s_delay_alu instid0(VALU_DEP_1)
	v_and_or_b32 v34, 0x80000000, v1, v3
.LBB159_3248:
	s_mov_b32 s17, 0
.LBB159_3249:
	s_delay_alu instid0(SALU_CYCLE_1)
	s_and_not1_b32 vcc_lo, exec_lo, s17
	s_cbranch_vccnz .LBB159_3251
; %bb.3250:
	global_load_u8 v1, v[38:39], off
	s_wait_loadcnt 0x0
	v_lshlrev_b32_e32 v3, 25, v1
	v_lshlrev_b16 v1, 8, v1
	s_delay_alu instid0(VALU_DEP_1) | instskip(SKIP_1) | instid1(VALU_DEP_2)
	v_and_or_b32 v7, 0x7f00, v1, 0.5
	v_bfe_i32 v1, v1, 0, 16
	v_add_f32_e32 v7, -0.5, v7
	v_lshrrev_b32_e32 v5, 4, v3
	v_cmp_gt_u32_e32 vcc_lo, 0x8000000, v3
	s_delay_alu instid0(VALU_DEP_2) | instskip(NEXT) | instid1(VALU_DEP_1)
	v_or_b32_e32 v5, 0x70000000, v5
	v_mul_f32_e32 v5, 0x7800000, v5
	s_delay_alu instid0(VALU_DEP_1) | instskip(NEXT) | instid1(VALU_DEP_1)
	v_cndmask_b32_e32 v3, v5, v7, vcc_lo
	v_and_or_b32 v34, 0x80000000, v1, v3
.LBB159_3251:
	s_mov_b32 s17, 0
	s_mov_b32 s18, -1
.LBB159_3252:
	s_and_not1_b32 vcc_lo, exec_lo, s17
	s_mov_b32 s17, 0
	s_cbranch_vccnz .LBB159_3276
; %bb.3253:
	s_cmp_gt_i32 s11, 14
	s_cbranch_scc0 .LBB159_3256
; %bb.3254:
	s_cmp_eq_u32 s11, 15
	s_cbranch_scc0 .LBB159_3272
; %bb.3255:
	global_load_u16 v1, v[38:39], off
	s_mov_b32 s16, 0
	s_mov_b32 s18, -1
	s_wait_loadcnt 0x0
	v_lshlrev_b32_e32 v34, 16, v1
	s_branch .LBB159_3274
.LBB159_3256:
	s_mov_b32 s17, -1
	s_branch .LBB159_3273
.LBB159_3257:
	s_mov_b32 s16, -1
                                        ; implicit-def: $vgpr34
.LBB159_3258:
	s_delay_alu instid0(SALU_CYCLE_1)
	s_and_not1_b32 vcc_lo, exec_lo, s16
	s_cbranch_vccnz .LBB159_3260
; %bb.3259:
	s_wait_loadcnt 0x0
	global_load_b32 v34, v[38:39], off
.LBB159_3260:
	s_mov_b32 s16, 0
.LBB159_3261:
	s_delay_alu instid0(SALU_CYCLE_1)
	s_and_not1_b32 vcc_lo, exec_lo, s16
	s_cbranch_vccnz .LBB159_3263
; %bb.3262:
	global_load_u16 v1, v[38:39], off
	s_wait_loadcnt 0x0
	v_cvt_f32_f16_e32 v34, v1
.LBB159_3263:
	s_wait_loadcnt 0x0
	v_mov_b32_e32 v35, 0
.LBB159_3264:
	s_mov_b32 s16, 0
.LBB159_3265:
	s_delay_alu instid0(SALU_CYCLE_1)
	s_and_not1_b32 vcc_lo, exec_lo, s16
	s_cbranch_vccnz .LBB159_3292
; %bb.3266:
	s_cmp_lt_i32 s11, 2
	s_cbranch_scc1 .LBB159_3270
; %bb.3267:
	s_cmp_lt_i32 s11, 3
	s_cbranch_scc1 .LBB159_3271
; %bb.3268:
	s_cmp_gt_i32 s11, 3
	s_cbranch_scc0 .LBB159_3278
; %bb.3269:
	s_wait_loadcnt 0x0
	global_load_b64 v[34:35], v[38:39], off
	s_mov_b32 s16, 0
	s_wait_loadcnt 0x0
	v_xor_b32_e32 v1, v34, v35
	v_cls_i32_e32 v3, v35
	s_delay_alu instid0(VALU_DEP_2) | instskip(NEXT) | instid1(VALU_DEP_1)
	v_ashrrev_i32_e32 v1, 31, v1
	v_add_nc_u32_e32 v1, 32, v1
	s_delay_alu instid0(VALU_DEP_1) | instskip(NEXT) | instid1(VALU_DEP_1)
	v_add_min_u32_e64 v1, v3, -1, v1
	v_lshlrev_b64_e32 v[34:35], v1, v[34:35]
	v_sub_nc_u32_e32 v1, 32, v1
	s_delay_alu instid0(VALU_DEP_2) | instskip(NEXT) | instid1(VALU_DEP_1)
	v_min_u32_e32 v3, 1, v34
	v_or_b32_e32 v3, v35, v3
	s_delay_alu instid0(VALU_DEP_1) | instskip(NEXT) | instid1(VALU_DEP_1)
	v_cvt_f32_i32_e32 v3, v3
	v_ldexp_f32 v34, v3, v1
	s_branch .LBB159_3279
.LBB159_3270:
	s_mov_b32 s16, -1
                                        ; implicit-def: $vgpr34
	s_branch .LBB159_3285
.LBB159_3271:
	s_mov_b32 s16, -1
                                        ; implicit-def: $vgpr34
	s_branch .LBB159_3282
.LBB159_3272:
	s_mov_b32 s16, -1
.LBB159_3273:
                                        ; implicit-def: $vgpr34
.LBB159_3274:
	s_and_b32 vcc_lo, exec_lo, s17
	s_mov_b32 s17, 0
	s_cbranch_vccz .LBB159_3276
; %bb.3275:
	s_cmp_lg_u32 s11, 11
	s_mov_b32 s17, -1
	s_cselect_b32 s16, -1, 0
.LBB159_3276:
	v_mov_b32_e32 v35, 0
	s_and_b32 vcc_lo, exec_lo, s16
	s_cbranch_vccz .LBB159_3207
.LBB159_3277:
	s_or_b32 s14, s14, exec_lo
	s_trap 2
	s_cbranch_execz .LBB159_3208
	s_branch .LBB159_3209
.LBB159_3278:
	s_mov_b32 s16, -1
                                        ; implicit-def: $vgpr34
.LBB159_3279:
	s_delay_alu instid0(SALU_CYCLE_1)
	s_and_not1_b32 vcc_lo, exec_lo, s16
	s_cbranch_vccnz .LBB159_3281
; %bb.3280:
	global_load_b32 v1, v[38:39], off
	s_wait_loadcnt 0x0
	v_cvt_f32_i32_e32 v34, v1
.LBB159_3281:
	s_mov_b32 s16, 0
.LBB159_3282:
	s_delay_alu instid0(SALU_CYCLE_1)
	s_and_not1_b32 vcc_lo, exec_lo, s16
	s_cbranch_vccnz .LBB159_3284
; %bb.3283:
	global_load_i16 v1, v[38:39], off
	s_wait_loadcnt 0x0
	v_cvt_f32_i32_e32 v34, v1
.LBB159_3284:
	s_mov_b32 s16, 0
.LBB159_3285:
	s_delay_alu instid0(SALU_CYCLE_1)
	s_and_not1_b32 vcc_lo, exec_lo, s16
	s_cbranch_vccnz .LBB159_3291
; %bb.3286:
	s_cmp_gt_i32 s11, 0
	s_mov_b32 s16, 0
	s_cbranch_scc0 .LBB159_3288
; %bb.3287:
	global_load_i8 v1, v[38:39], off
	s_wait_loadcnt 0x0
	v_cvt_f32_i32_e32 v34, v1
	s_branch .LBB159_3289
.LBB159_3288:
	s_mov_b32 s16, -1
                                        ; implicit-def: $vgpr34
.LBB159_3289:
	s_delay_alu instid0(SALU_CYCLE_1)
	s_and_not1_b32 vcc_lo, exec_lo, s16
	s_cbranch_vccnz .LBB159_3291
; %bb.3290:
	global_load_u8 v1, v[38:39], off
	s_wait_loadcnt 0x0
	v_cvt_f32_ubyte0_e32 v34, v1
.LBB159_3291:
	s_wait_loadcnt 0x0
	v_mov_b32_e32 v35, 0
.LBB159_3292:
	s_mov_b32 s18, -1
.LBB159_3293:
	s_delay_alu instid0(SALU_CYCLE_1)
	s_and_not1_b32 vcc_lo, exec_lo, s18
	s_cbranch_vccnz .LBB159_4271
; %bb.3294:
	v_mov_b32_e32 v29, 0
	s_cmp_lt_i32 s15, 11
	s_wait_xcnt 0x0
	s_delay_alu instid0(VALU_DEP_1)
	v_add_nc_u64_e32 v[38:39], s[8:9], v[28:29]
	s_cbranch_scc1 .LBB159_3301
; %bb.3295:
	s_cmp_gt_i32 s15, 25
	s_mov_b32 s17, 0
	s_cbranch_scc0 .LBB159_3302
; %bb.3296:
	s_cmp_gt_i32 s15, 28
	s_cbranch_scc0 .LBB159_3303
; %bb.3297:
	s_cmp_gt_i32 s15, 43
	;; [unrolled: 3-line block ×3, first 2 shown]
	s_cbranch_scc0 .LBB159_3309
; %bb.3299:
	s_cmp_eq_u32 s15, 46
	s_mov_b32 s19, 0
	s_cbranch_scc0 .LBB159_3310
; %bb.3300:
	global_load_b32 v1, v[38:39], off
	s_mov_b32 s16, 0
	s_mov_b32 s18, -1
	s_wait_loadcnt 0x0
	v_and_b32_e32 v29, 0xffff0000, v1
	v_lshlrev_b32_e32 v28, 16, v1
	s_branch .LBB159_3312
.LBB159_3301:
	s_mov_b32 s16, -1
	s_mov_b32 s18, 0
                                        ; implicit-def: $vgpr29
	s_branch .LBB159_3346
.LBB159_3302:
	s_mov_b32 s19, -1
	s_mov_b32 s18, 0
	s_mov_b32 s16, 0
                                        ; implicit-def: $vgpr29
	s_branch .LBB159_3341
.LBB159_3303:
	s_mov_b32 s19, -1
	s_mov_b32 s18, 0
	s_mov_b32 s16, 0
                                        ; implicit-def: $vgpr29
	s_branch .LBB159_3324
.LBB159_3304:
	s_mov_b32 s19, -1
	s_mov_b32 s18, 0
	s_mov_b32 s16, 0
                                        ; implicit-def: $vgpr29
	s_branch .LBB159_3318
.LBB159_3305:
	s_mov_b32 s17, -1
	s_mov_b32 s19, exec_lo
	v_cmpx_eq_u16_e32 0x80, v1
; %bb.3306:
	s_xor_b32 s17, exec_lo, -1
; %bb.3307:
	s_or_b32 exec_lo, exec_lo, s19
	s_delay_alu instid0(SALU_CYCLE_1)
	s_and_b32 s17, s17, exec_lo
	s_or_saveexec_b32 s18, s18
	v_mov_b32_e32 v34, 0x7f800001
	s_xor_b32 exec_lo, exec_lo, s18
	s_cbranch_execz .LBB159_3221
.LBB159_3308:
	v_cmp_ne_u16_e32 vcc_lo, 0, v1
	v_mov_b32_e32 v34, 0
	s_and_not1_b32 s17, s17, exec_lo
	s_and_b32 s19, vcc_lo, exec_lo
	s_delay_alu instid0(SALU_CYCLE_1)
	s_or_b32 s17, s17, s19
	s_or_b32 exec_lo, exec_lo, s18
	s_and_saveexec_b32 s18, s17
	s_cbranch_execnz .LBB159_3222
	s_branch .LBB159_3223
.LBB159_3309:
	s_mov_b32 s19, -1
	s_mov_b32 s18, 0
	s_mov_b32 s16, 0
	s_branch .LBB159_3311
.LBB159_3310:
	s_mov_b32 s16, -1
	s_mov_b32 s18, 0
.LBB159_3311:
                                        ; implicit-def: $vgpr29
.LBB159_3312:
	s_and_b32 vcc_lo, exec_lo, s19
	s_cbranch_vccz .LBB159_3317
; %bb.3313:
	s_cmp_eq_u32 s15, 44
	s_cbranch_scc0 .LBB159_3315
; %bb.3314:
	global_load_u8 v1, v[38:39], off
	s_mov_b32 s16, 0
	s_mov_b32 s18, -1
	s_wait_loadcnt 0x0
	v_lshlrev_b32_e32 v3, 23, v1
	v_cmp_ne_u32_e32 vcc_lo, 0xff, v1
	s_delay_alu instid0(VALU_DEP_2) | instskip(SKIP_1) | instid1(VALU_DEP_2)
	v_cndmask_b32_e32 v3, 0x7f800001, v3, vcc_lo
	v_cmp_ne_u32_e32 vcc_lo, 0, v1
	v_cndmask_b32_e32 v28, 0x400000, v3, vcc_lo
	s_branch .LBB159_3316
.LBB159_3315:
	s_mov_b32 s16, -1
                                        ; implicit-def: $vgpr28
.LBB159_3316:
	v_mov_b32_e32 v29, 0
.LBB159_3317:
	s_mov_b32 s19, 0
.LBB159_3318:
	s_delay_alu instid0(SALU_CYCLE_1)
	s_and_b32 vcc_lo, exec_lo, s19
	s_cbranch_vccz .LBB159_3323
; %bb.3319:
	s_cmp_eq_u32 s15, 29
	s_cbranch_scc0 .LBB159_3321
; %bb.3320:
	global_load_b64 v[28:29], v[38:39], off
	s_mov_b32 s16, 0
	s_mov_b32 s18, -1
	s_wait_loadcnt 0x0
	v_clz_i32_u32_e32 v1, v29
	s_delay_alu instid0(VALU_DEP_1) | instskip(NEXT) | instid1(VALU_DEP_1)
	v_min_u32_e32 v1, 32, v1
	v_lshlrev_b64_e32 v[28:29], v1, v[28:29]
	v_sub_nc_u32_e32 v1, 32, v1
	s_delay_alu instid0(VALU_DEP_2) | instskip(NEXT) | instid1(VALU_DEP_1)
	v_min_u32_e32 v3, 1, v28
	v_or_b32_e32 v3, v29, v3
	s_delay_alu instid0(VALU_DEP_1) | instskip(NEXT) | instid1(VALU_DEP_1)
	v_cvt_f32_u32_e32 v3, v3
	v_ldexp_f32 v28, v3, v1
	s_branch .LBB159_3322
.LBB159_3321:
	s_mov_b32 s16, -1
                                        ; implicit-def: $vgpr28
.LBB159_3322:
	v_mov_b32_e32 v29, 0
.LBB159_3323:
	s_mov_b32 s19, 0
.LBB159_3324:
	s_delay_alu instid0(SALU_CYCLE_1)
	s_and_b32 vcc_lo, exec_lo, s19
	s_cbranch_vccz .LBB159_3340
; %bb.3325:
	s_cmp_lt_i32 s15, 27
	s_cbranch_scc1 .LBB159_3328
; %bb.3326:
	s_cmp_gt_i32 s15, 27
	s_cbranch_scc0 .LBB159_3329
; %bb.3327:
	global_load_b32 v1, v[38:39], off
	s_mov_b32 s18, 0
	s_wait_loadcnt 0x0
	v_cvt_f32_u32_e32 v28, v1
	s_branch .LBB159_3330
.LBB159_3328:
	s_mov_b32 s18, -1
                                        ; implicit-def: $vgpr28
	s_branch .LBB159_3333
.LBB159_3329:
	s_mov_b32 s18, -1
                                        ; implicit-def: $vgpr28
.LBB159_3330:
	s_delay_alu instid0(SALU_CYCLE_1)
	s_and_not1_b32 vcc_lo, exec_lo, s18
	s_cbranch_vccnz .LBB159_3332
; %bb.3331:
	global_load_u16 v1, v[38:39], off
	s_wait_loadcnt 0x0
	v_cvt_f32_u32_e32 v28, v1
.LBB159_3332:
	s_mov_b32 s18, 0
.LBB159_3333:
	s_delay_alu instid0(SALU_CYCLE_1)
	s_and_not1_b32 vcc_lo, exec_lo, s18
	s_cbranch_vccnz .LBB159_3339
; %bb.3334:
	global_load_u8 v1, v[38:39], off
	s_mov_b32 s18, 0
	s_mov_b32 s19, exec_lo
	s_wait_loadcnt 0x0
	v_cmpx_lt_i16_e32 0x7f, v1
	s_xor_b32 s19, exec_lo, s19
	s_cbranch_execnz .LBB159_3365
; %bb.3335:
	s_or_saveexec_b32 s19, s19
	v_mov_b32_e32 v28, 0x7f800001
	s_xor_b32 exec_lo, exec_lo, s19
	s_cbranch_execnz .LBB159_3368
.LBB159_3336:
	s_or_b32 exec_lo, exec_lo, s19
	s_and_saveexec_b32 s19, s18
	s_cbranch_execz .LBB159_3338
.LBB159_3337:
	v_and_b32_e32 v3, 0xffff, v1
	s_delay_alu instid0(VALU_DEP_1) | instskip(SKIP_1) | instid1(VALU_DEP_2)
	v_dual_lshlrev_b32 v1, 24, v1 :: v_dual_bitop2_b32 v5, 7, v3 bitop3:0x40
	v_bfe_u32 v11, v3, 3, 4
	v_and_b32_e32 v1, 0x80000000, v1
	s_delay_alu instid0(VALU_DEP_3) | instskip(NEXT) | instid1(VALU_DEP_3)
	v_clz_i32_u32_e32 v7, v5
	v_cmp_eq_u32_e32 vcc_lo, 0, v11
	s_delay_alu instid0(VALU_DEP_2) | instskip(NEXT) | instid1(VALU_DEP_1)
	v_min_u32_e32 v7, 32, v7
	v_subrev_nc_u32_e32 v9, 28, v7
	v_sub_nc_u32_e32 v7, 29, v7
	s_delay_alu instid0(VALU_DEP_2) | instskip(NEXT) | instid1(VALU_DEP_2)
	v_lshlrev_b32_e32 v3, v9, v3
	v_cndmask_b32_e32 v7, v11, v7, vcc_lo
	s_delay_alu instid0(VALU_DEP_2) | instskip(NEXT) | instid1(VALU_DEP_1)
	v_and_b32_e32 v3, 7, v3
	v_cndmask_b32_e32 v3, v5, v3, vcc_lo
	s_delay_alu instid0(VALU_DEP_3) | instskip(NEXT) | instid1(VALU_DEP_2)
	v_lshl_add_u32 v5, v7, 23, 0x3b800000
	v_lshlrev_b32_e32 v3, 20, v3
	s_delay_alu instid0(VALU_DEP_1)
	v_or3_b32 v28, v1, v5, v3
.LBB159_3338:
	s_or_b32 exec_lo, exec_lo, s19
.LBB159_3339:
	v_mov_b32_e32 v29, 0
	s_mov_b32 s18, -1
.LBB159_3340:
	s_mov_b32 s19, 0
.LBB159_3341:
	s_delay_alu instid0(SALU_CYCLE_1)
	s_and_b32 vcc_lo, exec_lo, s19
	s_cbranch_vccnz .LBB159_3352
; %bb.3342:
	s_and_b32 vcc_lo, exec_lo, s16
	s_cbranch_vccnz .LBB159_3413
.LBB159_3343:
	s_and_not1_b32 vcc_lo, exec_lo, s17
	s_cbranch_vccnz .LBB159_3345
.LBB159_3344:
	global_load_u8 v1, v[38:39], off
	v_mov_b32_e32 v29, 0
	s_mov_b32 s18, -1
	s_wait_loadcnt 0x0
	v_cmp_ne_u16_e32 vcc_lo, 0, v1
	v_cndmask_b32_e64 v28, 0, 1.0, vcc_lo
.LBB159_3345:
	s_mov_b32 s16, 0
.LBB159_3346:
	s_delay_alu instid0(SALU_CYCLE_1)
	s_and_b32 vcc_lo, exec_lo, s16
	s_cbranch_vccz .LBB159_3429
; %bb.3347:
	s_cmp_lt_i32 s15, 5
	s_cbranch_scc1 .LBB159_3360
; %bb.3348:
	s_cmp_lt_i32 s15, 8
	s_cbranch_scc1 .LBB159_3361
	;; [unrolled: 3-line block ×3, first 2 shown]
; %bb.3350:
	s_cmp_gt_i32 s15, 9
	s_cbranch_scc0 .LBB159_3369
; %bb.3351:
	global_load_b128 v[40:43], v[38:39], off
	s_mov_b32 s16, 0
	s_wait_loadcnt 0x0
	v_cvt_f32_f64_e32 v28, v[40:41]
	v_cvt_f32_f64_e32 v29, v[42:43]
	s_branch .LBB159_3370
.LBB159_3352:
	s_cmp_gt_i32 s15, 22
	s_cbranch_scc0 .LBB159_3362
; %bb.3353:
	s_cmp_lt_i32 s15, 24
	s_cbranch_scc1 .LBB159_3364
; %bb.3354:
	s_cmp_gt_i32 s15, 24
	s_cbranch_scc0 .LBB159_3381
; %bb.3355:
	global_load_u8 v1, v[38:39], off
	s_mov_b32 s18, exec_lo
	s_wait_loadcnt 0x0
	v_cmpx_lt_i16_e32 0x7f, v1
	s_xor_b32 s18, exec_lo, s18
	s_cbranch_execnz .LBB159_3441
; %bb.3356:
	s_or_saveexec_b32 s18, s18
	v_mov_b32_e32 v28, 0x7f800001
	s_xor_b32 exec_lo, exec_lo, s18
	s_cbranch_execnz .LBB159_3444
.LBB159_3357:
	s_or_b32 exec_lo, exec_lo, s18
	s_and_saveexec_b32 s18, s17
	s_cbranch_execz .LBB159_3359
.LBB159_3358:
	v_and_b32_e32 v3, 0xffff, v1
	s_delay_alu instid0(VALU_DEP_1) | instskip(SKIP_1) | instid1(VALU_DEP_2)
	v_dual_lshlrev_b32 v1, 24, v1 :: v_dual_bitop2_b32 v5, 3, v3 bitop3:0x40
	v_bfe_u32 v11, v3, 2, 5
	v_and_b32_e32 v1, 0x80000000, v1
	s_delay_alu instid0(VALU_DEP_3) | instskip(NEXT) | instid1(VALU_DEP_3)
	v_clz_i32_u32_e32 v7, v5
	v_cmp_eq_u32_e32 vcc_lo, 0, v11
	s_delay_alu instid0(VALU_DEP_2) | instskip(NEXT) | instid1(VALU_DEP_1)
	v_min_u32_e32 v7, 32, v7
	v_subrev_nc_u32_e32 v9, 29, v7
	v_sub_nc_u32_e32 v7, 30, v7
	s_delay_alu instid0(VALU_DEP_2) | instskip(NEXT) | instid1(VALU_DEP_2)
	v_lshlrev_b32_e32 v3, v9, v3
	v_cndmask_b32_e32 v7, v11, v7, vcc_lo
	s_delay_alu instid0(VALU_DEP_2) | instskip(NEXT) | instid1(VALU_DEP_1)
	v_and_b32_e32 v3, 3, v3
	v_cndmask_b32_e32 v3, v5, v3, vcc_lo
	s_delay_alu instid0(VALU_DEP_3) | instskip(NEXT) | instid1(VALU_DEP_2)
	v_lshl_add_u32 v5, v7, 23, 0x37800000
	v_lshlrev_b32_e32 v3, 21, v3
	s_delay_alu instid0(VALU_DEP_1)
	v_or3_b32 v28, v1, v5, v3
.LBB159_3359:
	s_or_b32 exec_lo, exec_lo, s18
	s_mov_b32 s17, 0
	s_branch .LBB159_3382
.LBB159_3360:
	s_mov_b32 s16, -1
                                        ; implicit-def: $vgpr29
	s_branch .LBB159_3401
.LBB159_3361:
	s_mov_b32 s16, -1
                                        ; implicit-def: $vgpr29
	s_branch .LBB159_3376
.LBB159_3362:
	s_mov_b32 s17, -1
                                        ; implicit-def: $vgpr28
	s_branch .LBB159_3388
.LBB159_3363:
	s_mov_b32 s16, -1
                                        ; implicit-def: $vgpr29
	s_branch .LBB159_3373
.LBB159_3364:
	s_mov_b32 s17, -1
                                        ; implicit-def: $vgpr28
	s_branch .LBB159_3385
.LBB159_3365:
	s_mov_b32 s18, -1
	s_mov_b32 s20, exec_lo
	v_cmpx_eq_u16_e32 0x80, v1
; %bb.3366:
	s_xor_b32 s18, exec_lo, -1
; %bb.3367:
	s_or_b32 exec_lo, exec_lo, s20
	s_delay_alu instid0(SALU_CYCLE_1)
	s_and_b32 s18, s18, exec_lo
	s_or_saveexec_b32 s19, s19
	v_mov_b32_e32 v28, 0x7f800001
	s_xor_b32 exec_lo, exec_lo, s19
	s_cbranch_execz .LBB159_3336
.LBB159_3368:
	v_cmp_ne_u16_e32 vcc_lo, 0, v1
	v_mov_b32_e32 v28, 0
	s_and_not1_b32 s18, s18, exec_lo
	s_and_b32 s20, vcc_lo, exec_lo
	s_delay_alu instid0(SALU_CYCLE_1)
	s_or_b32 s18, s18, s20
	s_or_b32 exec_lo, exec_lo, s19
	s_and_saveexec_b32 s19, s18
	s_cbranch_execnz .LBB159_3337
	s_branch .LBB159_3338
.LBB159_3369:
	s_mov_b32 s16, -1
                                        ; implicit-def: $vgpr29
.LBB159_3370:
	s_delay_alu instid0(SALU_CYCLE_1)
	s_and_not1_b32 vcc_lo, exec_lo, s16
	s_cbranch_vccnz .LBB159_3372
; %bb.3371:
	global_load_b64 v[28:29], v[38:39], off
.LBB159_3372:
	s_mov_b32 s16, 0
.LBB159_3373:
	s_delay_alu instid0(SALU_CYCLE_1)
	s_and_not1_b32 vcc_lo, exec_lo, s16
	s_cbranch_vccnz .LBB159_3375
; %bb.3374:
	global_load_b32 v1, v[38:39], off
	s_wait_loadcnt 0x0
	v_lshrrev_b32_e32 v3, 16, v1
	v_cvt_f32_f16_e32 v28, v1
	s_delay_alu instid0(VALU_DEP_2)
	v_cvt_f32_f16_e32 v29, v3
.LBB159_3375:
	s_mov_b32 s16, 0
.LBB159_3376:
	s_delay_alu instid0(SALU_CYCLE_1)
	s_and_not1_b32 vcc_lo, exec_lo, s16
	s_cbranch_vccnz .LBB159_3400
; %bb.3377:
	s_cmp_lt_i32 s15, 6
	s_cbranch_scc1 .LBB159_3380
; %bb.3378:
	s_cmp_gt_i32 s15, 6
	s_cbranch_scc0 .LBB159_3393
; %bb.3379:
	s_wait_loadcnt 0x0
	global_load_b64 v[28:29], v[38:39], off
	s_mov_b32 s16, 0
	s_wait_loadcnt 0x0
	v_cvt_f32_f64_e32 v28, v[28:29]
	s_branch .LBB159_3394
.LBB159_3380:
	s_mov_b32 s16, -1
                                        ; implicit-def: $vgpr28
	s_branch .LBB159_3397
.LBB159_3381:
	s_mov_b32 s17, -1
                                        ; implicit-def: $vgpr28
.LBB159_3382:
	s_delay_alu instid0(SALU_CYCLE_1)
	s_and_b32 vcc_lo, exec_lo, s17
	s_cbranch_vccz .LBB159_3384
; %bb.3383:
	global_load_u8 v1, v[38:39], off
	s_wait_loadcnt 0x0
	v_lshlrev_b32_e32 v1, 24, v1
	s_delay_alu instid0(VALU_DEP_1) | instskip(NEXT) | instid1(VALU_DEP_1)
	v_and_b32_e32 v3, 0x7f000000, v1
	v_clz_i32_u32_e32 v5, v3
	v_add_nc_u32_e32 v9, 0x1000000, v3
	v_cmp_ne_u32_e32 vcc_lo, 0, v3
	s_delay_alu instid0(VALU_DEP_3) | instskip(NEXT) | instid1(VALU_DEP_1)
	v_min_u32_e32 v5, 32, v5
	v_sub_nc_u32_e64 v5, v5, 4 clamp
	s_delay_alu instid0(VALU_DEP_1) | instskip(NEXT) | instid1(VALU_DEP_1)
	v_dual_lshlrev_b32 v7, v5, v3 :: v_dual_lshlrev_b32 v5, 23, v5
	v_lshrrev_b32_e32 v7, 4, v7
	s_delay_alu instid0(VALU_DEP_1) | instskip(SKIP_1) | instid1(VALU_DEP_2)
	v_sub_nc_u32_e32 v5, v7, v5
	v_ashrrev_i32_e32 v7, 8, v9
	v_add_nc_u32_e32 v5, 0x3c000000, v5
	s_delay_alu instid0(VALU_DEP_1) | instskip(NEXT) | instid1(VALU_DEP_1)
	v_and_or_b32 v5, 0x7f800000, v7, v5
	v_cndmask_b32_e32 v3, 0, v5, vcc_lo
	s_delay_alu instid0(VALU_DEP_1)
	v_and_or_b32 v28, 0x80000000, v1, v3
.LBB159_3384:
	s_mov_b32 s17, 0
.LBB159_3385:
	s_delay_alu instid0(SALU_CYCLE_1)
	s_and_not1_b32 vcc_lo, exec_lo, s17
	s_cbranch_vccnz .LBB159_3387
; %bb.3386:
	global_load_u8 v1, v[38:39], off
	s_wait_loadcnt 0x0
	v_lshlrev_b32_e32 v3, 25, v1
	v_lshlrev_b16 v1, 8, v1
	s_delay_alu instid0(VALU_DEP_1) | instskip(SKIP_1) | instid1(VALU_DEP_2)
	v_and_or_b32 v7, 0x7f00, v1, 0.5
	v_bfe_i32 v1, v1, 0, 16
	v_add_f32_e32 v7, -0.5, v7
	v_lshrrev_b32_e32 v5, 4, v3
	v_cmp_gt_u32_e32 vcc_lo, 0x8000000, v3
	s_delay_alu instid0(VALU_DEP_2) | instskip(NEXT) | instid1(VALU_DEP_1)
	v_or_b32_e32 v5, 0x70000000, v5
	v_mul_f32_e32 v5, 0x7800000, v5
	s_delay_alu instid0(VALU_DEP_1) | instskip(NEXT) | instid1(VALU_DEP_1)
	v_cndmask_b32_e32 v3, v5, v7, vcc_lo
	v_and_or_b32 v28, 0x80000000, v1, v3
.LBB159_3387:
	s_mov_b32 s17, 0
	s_mov_b32 s18, -1
.LBB159_3388:
	s_and_not1_b32 vcc_lo, exec_lo, s17
	s_mov_b32 s17, 0
	s_cbranch_vccnz .LBB159_3412
; %bb.3389:
	s_cmp_gt_i32 s15, 14
	s_cbranch_scc0 .LBB159_3392
; %bb.3390:
	s_cmp_eq_u32 s15, 15
	s_cbranch_scc0 .LBB159_3408
; %bb.3391:
	global_load_u16 v1, v[38:39], off
	s_mov_b32 s16, 0
	s_mov_b32 s18, -1
	s_wait_loadcnt 0x0
	v_lshlrev_b32_e32 v28, 16, v1
	s_branch .LBB159_3410
.LBB159_3392:
	s_mov_b32 s17, -1
	s_branch .LBB159_3409
.LBB159_3393:
	s_mov_b32 s16, -1
                                        ; implicit-def: $vgpr28
.LBB159_3394:
	s_delay_alu instid0(SALU_CYCLE_1)
	s_and_not1_b32 vcc_lo, exec_lo, s16
	s_cbranch_vccnz .LBB159_3396
; %bb.3395:
	s_wait_loadcnt 0x0
	global_load_b32 v28, v[38:39], off
.LBB159_3396:
	s_mov_b32 s16, 0
.LBB159_3397:
	s_delay_alu instid0(SALU_CYCLE_1)
	s_and_not1_b32 vcc_lo, exec_lo, s16
	s_cbranch_vccnz .LBB159_3399
; %bb.3398:
	global_load_u16 v1, v[38:39], off
	s_wait_loadcnt 0x0
	v_cvt_f32_f16_e32 v28, v1
.LBB159_3399:
	s_wait_loadcnt 0x0
	v_mov_b32_e32 v29, 0
.LBB159_3400:
	s_mov_b32 s16, 0
.LBB159_3401:
	s_delay_alu instid0(SALU_CYCLE_1)
	s_and_not1_b32 vcc_lo, exec_lo, s16
	s_cbranch_vccnz .LBB159_3428
; %bb.3402:
	s_cmp_lt_i32 s15, 2
	s_cbranch_scc1 .LBB159_3406
; %bb.3403:
	s_cmp_lt_i32 s15, 3
	s_cbranch_scc1 .LBB159_3407
; %bb.3404:
	s_cmp_gt_i32 s15, 3
	s_cbranch_scc0 .LBB159_3414
; %bb.3405:
	s_wait_loadcnt 0x0
	global_load_b64 v[28:29], v[38:39], off
	s_mov_b32 s16, 0
	s_wait_loadcnt 0x0
	v_xor_b32_e32 v1, v28, v29
	v_cls_i32_e32 v3, v29
	s_delay_alu instid0(VALU_DEP_2) | instskip(NEXT) | instid1(VALU_DEP_1)
	v_ashrrev_i32_e32 v1, 31, v1
	v_add_nc_u32_e32 v1, 32, v1
	s_delay_alu instid0(VALU_DEP_1) | instskip(NEXT) | instid1(VALU_DEP_1)
	v_add_min_u32_e64 v1, v3, -1, v1
	v_lshlrev_b64_e32 v[28:29], v1, v[28:29]
	v_sub_nc_u32_e32 v1, 32, v1
	s_delay_alu instid0(VALU_DEP_2) | instskip(NEXT) | instid1(VALU_DEP_1)
	v_min_u32_e32 v3, 1, v28
	v_or_b32_e32 v3, v29, v3
	s_delay_alu instid0(VALU_DEP_1) | instskip(NEXT) | instid1(VALU_DEP_1)
	v_cvt_f32_i32_e32 v3, v3
	v_ldexp_f32 v28, v3, v1
	s_branch .LBB159_3415
.LBB159_3406:
	s_mov_b32 s16, -1
                                        ; implicit-def: $vgpr28
	s_branch .LBB159_3421
.LBB159_3407:
	s_mov_b32 s16, -1
                                        ; implicit-def: $vgpr28
	s_branch .LBB159_3418
.LBB159_3408:
	s_mov_b32 s16, -1
.LBB159_3409:
                                        ; implicit-def: $vgpr28
.LBB159_3410:
	s_and_b32 vcc_lo, exec_lo, s17
	s_mov_b32 s17, 0
	s_cbranch_vccz .LBB159_3412
; %bb.3411:
	s_cmp_lg_u32 s15, 11
	s_mov_b32 s17, -1
	s_cselect_b32 s16, -1, 0
.LBB159_3412:
	v_mov_b32_e32 v29, 0
	s_and_b32 vcc_lo, exec_lo, s16
	s_cbranch_vccz .LBB159_3343
.LBB159_3413:
	s_or_b32 s14, s14, exec_lo
	s_trap 2
	s_cbranch_execz .LBB159_3344
	s_branch .LBB159_3345
.LBB159_3414:
	s_mov_b32 s16, -1
                                        ; implicit-def: $vgpr28
.LBB159_3415:
	s_delay_alu instid0(SALU_CYCLE_1)
	s_and_not1_b32 vcc_lo, exec_lo, s16
	s_cbranch_vccnz .LBB159_3417
; %bb.3416:
	global_load_b32 v1, v[38:39], off
	s_wait_loadcnt 0x0
	v_cvt_f32_i32_e32 v28, v1
.LBB159_3417:
	s_mov_b32 s16, 0
.LBB159_3418:
	s_delay_alu instid0(SALU_CYCLE_1)
	s_and_not1_b32 vcc_lo, exec_lo, s16
	s_cbranch_vccnz .LBB159_3420
; %bb.3419:
	global_load_i16 v1, v[38:39], off
	s_wait_loadcnt 0x0
	v_cvt_f32_i32_e32 v28, v1
.LBB159_3420:
	s_mov_b32 s16, 0
.LBB159_3421:
	s_delay_alu instid0(SALU_CYCLE_1)
	s_and_not1_b32 vcc_lo, exec_lo, s16
	s_cbranch_vccnz .LBB159_3427
; %bb.3422:
	s_cmp_gt_i32 s15, 0
	s_mov_b32 s16, 0
	s_cbranch_scc0 .LBB159_3424
; %bb.3423:
	global_load_i8 v1, v[38:39], off
	s_wait_loadcnt 0x0
	v_cvt_f32_i32_e32 v28, v1
	s_branch .LBB159_3425
.LBB159_3424:
	s_mov_b32 s16, -1
                                        ; implicit-def: $vgpr28
.LBB159_3425:
	s_delay_alu instid0(SALU_CYCLE_1)
	s_and_not1_b32 vcc_lo, exec_lo, s16
	s_cbranch_vccnz .LBB159_3427
; %bb.3426:
	global_load_u8 v1, v[38:39], off
	s_wait_loadcnt 0x0
	v_cvt_f32_ubyte0_e32 v28, v1
.LBB159_3427:
	s_wait_loadcnt 0x0
	v_mov_b32_e32 v29, 0
.LBB159_3428:
	s_mov_b32 s18, -1
.LBB159_3429:
	s_delay_alu instid0(SALU_CYCLE_1)
	s_and_not1_b32 vcc_lo, exec_lo, s18
	s_cbranch_vccnz .LBB159_4271
; %bb.3430:
	v_mov_b32_e32 v25, 0
	s_cmp_lt_i32 s10, 11
	s_delay_alu instid0(VALU_DEP_1)
	v_add_nc_u64_e32 v[40:41], s[6:7], v[24:25]
	s_cbranch_scc1 .LBB159_3437
; %bb.3431:
	s_cmp_gt_i32 s10, 25
	s_mov_b32 s7, 0
	s_cbranch_scc0 .LBB159_3438
; %bb.3432:
	s_cmp_gt_i32 s10, 28
	s_cbranch_scc0 .LBB159_3439
; %bb.3433:
	s_cmp_gt_i32 s10, 43
	;; [unrolled: 3-line block ×3, first 2 shown]
	s_cbranch_scc0 .LBB159_3445
; %bb.3435:
	s_cmp_eq_u32 s10, 46
	s_mov_b32 s17, 0
	s_cbranch_scc0 .LBB159_3446
; %bb.3436:
	global_load_b32 v1, v[40:41], off
	s_mov_b32 s6, 0
	s_mov_b32 s16, -1
	s_wait_loadcnt 0x0
	s_wait_xcnt 0x1
	v_and_b32_e32 v38, 0xffff0000, v1
	v_lshlrev_b32_e32 v24, 16, v1
	s_branch .LBB159_3448
.LBB159_3437:
	s_mov_b32 s6, -1
	s_mov_b32 s16, 0
                                        ; implicit-def: $vgpr38
                                        ; implicit-def: $vgpr24
	s_branch .LBB159_3482
.LBB159_3438:
	s_mov_b32 s17, -1
	s_mov_b32 s16, 0
	s_mov_b32 s6, 0
                                        ; implicit-def: $vgpr38
                                        ; implicit-def: $vgpr24
	s_branch .LBB159_3477
.LBB159_3439:
	s_mov_b32 s17, -1
	s_mov_b32 s16, 0
	s_mov_b32 s6, 0
                                        ; implicit-def: $vgpr38
                                        ; implicit-def: $vgpr24
	s_branch .LBB159_3460
.LBB159_3440:
	s_mov_b32 s17, -1
	s_mov_b32 s16, 0
	s_mov_b32 s6, 0
                                        ; implicit-def: $vgpr38
                                        ; implicit-def: $vgpr24
	s_branch .LBB159_3454
.LBB159_3441:
	s_mov_b32 s17, -1
	s_mov_b32 s19, exec_lo
	v_cmpx_eq_u16_e32 0x80, v1
; %bb.3442:
	s_xor_b32 s17, exec_lo, -1
; %bb.3443:
	s_or_b32 exec_lo, exec_lo, s19
	s_delay_alu instid0(SALU_CYCLE_1)
	s_and_b32 s17, s17, exec_lo
	s_or_saveexec_b32 s18, s18
	v_mov_b32_e32 v28, 0x7f800001
	s_xor_b32 exec_lo, exec_lo, s18
	s_cbranch_execz .LBB159_3357
.LBB159_3444:
	v_cmp_ne_u16_e32 vcc_lo, 0, v1
	v_mov_b32_e32 v28, 0
	s_and_not1_b32 s17, s17, exec_lo
	s_and_b32 s19, vcc_lo, exec_lo
	s_delay_alu instid0(SALU_CYCLE_1)
	s_or_b32 s17, s17, s19
	s_or_b32 exec_lo, exec_lo, s18
	s_and_saveexec_b32 s18, s17
	s_cbranch_execnz .LBB159_3358
	s_branch .LBB159_3359
.LBB159_3445:
	s_mov_b32 s17, -1
	s_mov_b32 s16, 0
	s_mov_b32 s6, 0
	s_branch .LBB159_3447
.LBB159_3446:
	s_mov_b32 s6, -1
	s_mov_b32 s16, 0
.LBB159_3447:
                                        ; implicit-def: $vgpr38
                                        ; implicit-def: $vgpr24
.LBB159_3448:
	s_and_b32 vcc_lo, exec_lo, s17
	s_cbranch_vccz .LBB159_3453
; %bb.3449:
	s_cmp_eq_u32 s10, 44
	s_cbranch_scc0 .LBB159_3451
; %bb.3450:
	global_load_u8 v1, v[40:41], off
	s_mov_b32 s6, 0
	s_mov_b32 s16, -1
	s_wait_loadcnt 0x0
	v_lshlrev_b32_e32 v3, 23, v1
	v_cmp_ne_u32_e32 vcc_lo, 0xff, v1
	s_delay_alu instid0(VALU_DEP_2) | instskip(SKIP_1) | instid1(VALU_DEP_2)
	v_cndmask_b32_e32 v3, 0x7f800001, v3, vcc_lo
	v_cmp_ne_u32_e32 vcc_lo, 0, v1
	v_cndmask_b32_e32 v24, 0x400000, v3, vcc_lo
	s_branch .LBB159_3452
.LBB159_3451:
	s_mov_b32 s6, -1
                                        ; implicit-def: $vgpr24
.LBB159_3452:
	s_wait_xcnt 0x0
	v_mov_b32_e32 v38, 0
.LBB159_3453:
	s_mov_b32 s17, 0
.LBB159_3454:
	s_delay_alu instid0(SALU_CYCLE_1)
	s_and_b32 vcc_lo, exec_lo, s17
	s_cbranch_vccz .LBB159_3459
; %bb.3455:
	s_cmp_eq_u32 s10, 29
	s_cbranch_scc0 .LBB159_3457
; %bb.3456:
	global_load_b64 v[24:25], v[40:41], off
	s_mov_b32 s6, 0
	s_mov_b32 s16, -1
	s_wait_loadcnt 0x0
	v_clz_i32_u32_e32 v1, v25
	s_delay_alu instid0(VALU_DEP_1) | instskip(NEXT) | instid1(VALU_DEP_1)
	v_min_u32_e32 v1, 32, v1
	v_lshlrev_b64_e32 v[24:25], v1, v[24:25]
	v_sub_nc_u32_e32 v1, 32, v1
	s_delay_alu instid0(VALU_DEP_2) | instskip(NEXT) | instid1(VALU_DEP_1)
	v_min_u32_e32 v3, 1, v24
	v_or_b32_e32 v3, v25, v3
	s_delay_alu instid0(VALU_DEP_1) | instskip(NEXT) | instid1(VALU_DEP_1)
	v_cvt_f32_u32_e32 v3, v3
	v_ldexp_f32 v24, v3, v1
	s_branch .LBB159_3458
.LBB159_3457:
	s_mov_b32 s6, -1
                                        ; implicit-def: $vgpr24
.LBB159_3458:
	s_wait_xcnt 0x0
	v_mov_b32_e32 v38, 0
.LBB159_3459:
	s_mov_b32 s17, 0
.LBB159_3460:
	s_delay_alu instid0(SALU_CYCLE_1)
	s_and_b32 vcc_lo, exec_lo, s17
	s_cbranch_vccz .LBB159_3476
; %bb.3461:
	s_cmp_lt_i32 s10, 27
	s_cbranch_scc1 .LBB159_3464
; %bb.3462:
	s_cmp_gt_i32 s10, 27
	s_cbranch_scc0 .LBB159_3465
; %bb.3463:
	global_load_b32 v1, v[40:41], off
	s_mov_b32 s16, 0
	s_wait_loadcnt 0x0
	v_cvt_f32_u32_e32 v24, v1
	s_branch .LBB159_3466
.LBB159_3464:
	s_mov_b32 s16, -1
                                        ; implicit-def: $vgpr24
	s_branch .LBB159_3469
.LBB159_3465:
	s_mov_b32 s16, -1
                                        ; implicit-def: $vgpr24
.LBB159_3466:
	s_delay_alu instid0(SALU_CYCLE_1)
	s_and_not1_b32 vcc_lo, exec_lo, s16
	s_cbranch_vccnz .LBB159_3468
; %bb.3467:
	global_load_u16 v1, v[40:41], off
	s_wait_loadcnt 0x0
	v_cvt_f32_u32_e32 v24, v1
.LBB159_3468:
	s_mov_b32 s16, 0
.LBB159_3469:
	s_delay_alu instid0(SALU_CYCLE_1)
	s_and_not1_b32 vcc_lo, exec_lo, s16
	s_cbranch_vccnz .LBB159_3475
; %bb.3470:
	global_load_u8 v1, v[40:41], off
	s_mov_b32 s16, 0
	s_mov_b32 s17, exec_lo
	s_wait_loadcnt 0x0
	v_cmpx_lt_i16_e32 0x7f, v1
	s_xor_b32 s17, exec_lo, s17
	s_cbranch_execnz .LBB159_3501
; %bb.3471:
	s_or_saveexec_b32 s17, s17
	v_mov_b32_e32 v24, 0x7f800001
	s_xor_b32 exec_lo, exec_lo, s17
	s_cbranch_execnz .LBB159_3504
.LBB159_3472:
	s_or_b32 exec_lo, exec_lo, s17
	s_and_saveexec_b32 s17, s16
	s_cbranch_execz .LBB159_3474
.LBB159_3473:
	v_and_b32_e32 v3, 0xffff, v1
	s_delay_alu instid0(VALU_DEP_1) | instskip(SKIP_1) | instid1(VALU_DEP_2)
	v_dual_lshlrev_b32 v1, 24, v1 :: v_dual_bitop2_b32 v5, 7, v3 bitop3:0x40
	v_bfe_u32 v11, v3, 3, 4
	v_and_b32_e32 v1, 0x80000000, v1
	s_delay_alu instid0(VALU_DEP_3) | instskip(NEXT) | instid1(VALU_DEP_3)
	v_clz_i32_u32_e32 v7, v5
	v_cmp_eq_u32_e32 vcc_lo, 0, v11
	s_delay_alu instid0(VALU_DEP_2) | instskip(NEXT) | instid1(VALU_DEP_1)
	v_min_u32_e32 v7, 32, v7
	v_subrev_nc_u32_e32 v9, 28, v7
	v_sub_nc_u32_e32 v7, 29, v7
	s_delay_alu instid0(VALU_DEP_2) | instskip(NEXT) | instid1(VALU_DEP_2)
	v_lshlrev_b32_e32 v3, v9, v3
	v_cndmask_b32_e32 v7, v11, v7, vcc_lo
	s_delay_alu instid0(VALU_DEP_2) | instskip(NEXT) | instid1(VALU_DEP_1)
	v_and_b32_e32 v3, 7, v3
	v_cndmask_b32_e32 v3, v5, v3, vcc_lo
	s_delay_alu instid0(VALU_DEP_3) | instskip(NEXT) | instid1(VALU_DEP_2)
	v_lshl_add_u32 v5, v7, 23, 0x3b800000
	v_lshlrev_b32_e32 v3, 20, v3
	s_delay_alu instid0(VALU_DEP_1)
	v_or3_b32 v24, v1, v5, v3
.LBB159_3474:
	s_or_b32 exec_lo, exec_lo, s17
.LBB159_3475:
	s_wait_xcnt 0x0
	v_mov_b32_e32 v38, 0
	s_mov_b32 s16, -1
.LBB159_3476:
	s_mov_b32 s17, 0
.LBB159_3477:
	s_delay_alu instid0(SALU_CYCLE_1)
	s_and_b32 vcc_lo, exec_lo, s17
	s_cbranch_vccnz .LBB159_3488
; %bb.3478:
	s_and_b32 vcc_lo, exec_lo, s6
	s_cbranch_vccnz .LBB159_3549
.LBB159_3479:
	s_and_not1_b32 vcc_lo, exec_lo, s7
	s_cbranch_vccnz .LBB159_3481
.LBB159_3480:
	global_load_u8 v1, v[40:41], off
	s_wait_xcnt 0x1
	v_mov_b32_e32 v38, 0
	s_mov_b32 s16, -1
	s_wait_loadcnt 0x0
	v_cmp_ne_u16_e32 vcc_lo, 0, v1
	v_cndmask_b32_e64 v24, 0, 1.0, vcc_lo
.LBB159_3481:
	s_mov_b32 s6, 0
.LBB159_3482:
	s_delay_alu instid0(SALU_CYCLE_1)
	s_and_b32 vcc_lo, exec_lo, s6
	s_cbranch_vccz .LBB159_3565
; %bb.3483:
	s_cmp_lt_i32 s10, 5
	s_cbranch_scc1 .LBB159_3496
; %bb.3484:
	s_cmp_lt_i32 s10, 8
	s_cbranch_scc1 .LBB159_3497
	;; [unrolled: 3-line block ×3, first 2 shown]
; %bb.3486:
	s_cmp_gt_i32 s10, 9
	s_cbranch_scc0 .LBB159_3505
; %bb.3487:
	global_load_b128 v[42:45], v[40:41], off
	s_mov_b32 s6, 0
	s_wait_loadcnt 0x0
	v_cvt_f32_f64_e32 v24, v[42:43]
	s_wait_xcnt 0x1
	v_cvt_f32_f64_e32 v38, v[44:45]
	s_branch .LBB159_3506
.LBB159_3488:
	s_cmp_gt_i32 s10, 22
	s_cbranch_scc0 .LBB159_3498
; %bb.3489:
	s_cmp_lt_i32 s10, 24
	s_cbranch_scc1 .LBB159_3500
; %bb.3490:
	s_cmp_gt_i32 s10, 24
	s_cbranch_scc0 .LBB159_3517
; %bb.3491:
	global_load_u8 v1, v[40:41], off
	s_mov_b32 s16, exec_lo
	s_wait_loadcnt 0x0
	v_cmpx_lt_i16_e32 0x7f, v1
	s_xor_b32 s16, exec_lo, s16
	s_cbranch_execnz .LBB159_3577
; %bb.3492:
	s_or_saveexec_b32 s16, s16
	v_mov_b32_e32 v24, 0x7f800001
	s_xor_b32 exec_lo, exec_lo, s16
	s_cbranch_execnz .LBB159_3580
.LBB159_3493:
	s_or_b32 exec_lo, exec_lo, s16
	s_and_saveexec_b32 s16, s7
	s_cbranch_execz .LBB159_3495
.LBB159_3494:
	v_and_b32_e32 v3, 0xffff, v1
	s_delay_alu instid0(VALU_DEP_1) | instskip(SKIP_1) | instid1(VALU_DEP_2)
	v_dual_lshlrev_b32 v1, 24, v1 :: v_dual_bitop2_b32 v5, 3, v3 bitop3:0x40
	v_bfe_u32 v11, v3, 2, 5
	v_and_b32_e32 v1, 0x80000000, v1
	s_delay_alu instid0(VALU_DEP_3) | instskip(NEXT) | instid1(VALU_DEP_3)
	v_clz_i32_u32_e32 v7, v5
	v_cmp_eq_u32_e32 vcc_lo, 0, v11
	s_delay_alu instid0(VALU_DEP_2) | instskip(NEXT) | instid1(VALU_DEP_1)
	v_min_u32_e32 v7, 32, v7
	v_subrev_nc_u32_e32 v9, 29, v7
	v_sub_nc_u32_e32 v7, 30, v7
	s_delay_alu instid0(VALU_DEP_2) | instskip(NEXT) | instid1(VALU_DEP_2)
	v_lshlrev_b32_e32 v3, v9, v3
	v_cndmask_b32_e32 v7, v11, v7, vcc_lo
	s_delay_alu instid0(VALU_DEP_2) | instskip(NEXT) | instid1(VALU_DEP_1)
	v_and_b32_e32 v3, 3, v3
	v_cndmask_b32_e32 v3, v5, v3, vcc_lo
	s_delay_alu instid0(VALU_DEP_3) | instskip(NEXT) | instid1(VALU_DEP_2)
	v_lshl_add_u32 v5, v7, 23, 0x37800000
	v_lshlrev_b32_e32 v3, 21, v3
	s_delay_alu instid0(VALU_DEP_1)
	v_or3_b32 v24, v1, v5, v3
.LBB159_3495:
	s_or_b32 exec_lo, exec_lo, s16
	s_mov_b32 s7, 0
	s_branch .LBB159_3518
.LBB159_3496:
	s_mov_b32 s6, -1
                                        ; implicit-def: $vgpr38
                                        ; implicit-def: $vgpr24
	s_branch .LBB159_3537
.LBB159_3497:
	s_mov_b32 s6, -1
                                        ; implicit-def: $vgpr38
                                        ; implicit-def: $vgpr24
	s_branch .LBB159_3512
.LBB159_3498:
	s_mov_b32 s7, -1
                                        ; implicit-def: $vgpr24
	s_branch .LBB159_3524
.LBB159_3499:
	s_mov_b32 s6, -1
                                        ; implicit-def: $vgpr38
                                        ; implicit-def: $vgpr24
	s_branch .LBB159_3509
.LBB159_3500:
	s_mov_b32 s7, -1
                                        ; implicit-def: $vgpr24
	s_branch .LBB159_3521
.LBB159_3501:
	s_mov_b32 s16, -1
	s_mov_b32 s18, exec_lo
	v_cmpx_eq_u16_e32 0x80, v1
; %bb.3502:
	s_xor_b32 s16, exec_lo, -1
; %bb.3503:
	s_or_b32 exec_lo, exec_lo, s18
	s_delay_alu instid0(SALU_CYCLE_1)
	s_and_b32 s16, s16, exec_lo
	s_or_saveexec_b32 s17, s17
	v_mov_b32_e32 v24, 0x7f800001
	s_xor_b32 exec_lo, exec_lo, s17
	s_cbranch_execz .LBB159_3472
.LBB159_3504:
	v_cmp_ne_u16_e32 vcc_lo, 0, v1
	v_mov_b32_e32 v24, 0
	s_and_not1_b32 s16, s16, exec_lo
	s_and_b32 s18, vcc_lo, exec_lo
	s_delay_alu instid0(SALU_CYCLE_1)
	s_or_b32 s16, s16, s18
	s_or_b32 exec_lo, exec_lo, s17
	s_and_saveexec_b32 s17, s16
	s_cbranch_execnz .LBB159_3473
	s_branch .LBB159_3474
.LBB159_3505:
	s_mov_b32 s6, -1
                                        ; implicit-def: $vgpr38
                                        ; implicit-def: $vgpr24
.LBB159_3506:
	s_delay_alu instid0(SALU_CYCLE_1)
	s_and_not1_b32 vcc_lo, exec_lo, s6
	s_cbranch_vccnz .LBB159_3508
; %bb.3507:
	global_load_b64 v[24:25], v[40:41], off
	s_wait_loadcnt 0x0
	s_wait_xcnt 0x1
	v_mov_b32_e32 v38, v25
.LBB159_3508:
	s_mov_b32 s6, 0
.LBB159_3509:
	s_delay_alu instid0(SALU_CYCLE_1)
	s_and_not1_b32 vcc_lo, exec_lo, s6
	s_cbranch_vccnz .LBB159_3511
; %bb.3510:
	global_load_b32 v1, v[40:41], off
	s_wait_loadcnt 0x0
	v_lshrrev_b32_e32 v3, 16, v1
	v_cvt_f32_f16_e32 v24, v1
	s_wait_xcnt 0x1
	s_delay_alu instid0(VALU_DEP_2)
	v_cvt_f32_f16_e32 v38, v3
.LBB159_3511:
	s_mov_b32 s6, 0
.LBB159_3512:
	s_delay_alu instid0(SALU_CYCLE_1)
	s_and_not1_b32 vcc_lo, exec_lo, s6
	s_cbranch_vccnz .LBB159_3536
; %bb.3513:
	s_cmp_lt_i32 s10, 6
	s_cbranch_scc1 .LBB159_3516
; %bb.3514:
	s_cmp_gt_i32 s10, 6
	s_cbranch_scc0 .LBB159_3529
; %bb.3515:
	global_load_b64 v[24:25], v[40:41], off
	s_mov_b32 s6, 0
	s_wait_loadcnt 0x0
	v_cvt_f32_f64_e32 v24, v[24:25]
	s_branch .LBB159_3530
.LBB159_3516:
	s_mov_b32 s6, -1
                                        ; implicit-def: $vgpr24
	s_branch .LBB159_3533
.LBB159_3517:
	s_mov_b32 s7, -1
                                        ; implicit-def: $vgpr24
.LBB159_3518:
	s_delay_alu instid0(SALU_CYCLE_1)
	s_and_b32 vcc_lo, exec_lo, s7
	s_cbranch_vccz .LBB159_3520
; %bb.3519:
	global_load_u8 v1, v[40:41], off
	s_wait_loadcnt 0x0
	v_lshlrev_b32_e32 v1, 24, v1
	s_delay_alu instid0(VALU_DEP_1) | instskip(NEXT) | instid1(VALU_DEP_1)
	v_and_b32_e32 v3, 0x7f000000, v1
	v_clz_i32_u32_e32 v5, v3
	v_add_nc_u32_e32 v9, 0x1000000, v3
	v_cmp_ne_u32_e32 vcc_lo, 0, v3
	s_delay_alu instid0(VALU_DEP_3) | instskip(NEXT) | instid1(VALU_DEP_1)
	v_min_u32_e32 v5, 32, v5
	v_sub_nc_u32_e64 v5, v5, 4 clamp
	s_delay_alu instid0(VALU_DEP_1) | instskip(NEXT) | instid1(VALU_DEP_1)
	v_dual_lshlrev_b32 v7, v5, v3 :: v_dual_lshlrev_b32 v5, 23, v5
	v_lshrrev_b32_e32 v7, 4, v7
	s_delay_alu instid0(VALU_DEP_1) | instskip(SKIP_1) | instid1(VALU_DEP_2)
	v_sub_nc_u32_e32 v5, v7, v5
	v_ashrrev_i32_e32 v7, 8, v9
	v_add_nc_u32_e32 v5, 0x3c000000, v5
	s_delay_alu instid0(VALU_DEP_1) | instskip(NEXT) | instid1(VALU_DEP_1)
	v_and_or_b32 v5, 0x7f800000, v7, v5
	v_cndmask_b32_e32 v3, 0, v5, vcc_lo
	s_delay_alu instid0(VALU_DEP_1)
	v_and_or_b32 v24, 0x80000000, v1, v3
.LBB159_3520:
	s_mov_b32 s7, 0
.LBB159_3521:
	s_delay_alu instid0(SALU_CYCLE_1)
	s_and_not1_b32 vcc_lo, exec_lo, s7
	s_cbranch_vccnz .LBB159_3523
; %bb.3522:
	global_load_u8 v1, v[40:41], off
	s_wait_loadcnt 0x0
	v_lshlrev_b32_e32 v3, 25, v1
	v_lshlrev_b16 v1, 8, v1
	s_delay_alu instid0(VALU_DEP_1) | instskip(SKIP_1) | instid1(VALU_DEP_2)
	v_and_or_b32 v7, 0x7f00, v1, 0.5
	v_bfe_i32 v1, v1, 0, 16
	v_add_f32_e32 v7, -0.5, v7
	v_lshrrev_b32_e32 v5, 4, v3
	v_cmp_gt_u32_e32 vcc_lo, 0x8000000, v3
	s_delay_alu instid0(VALU_DEP_2) | instskip(NEXT) | instid1(VALU_DEP_1)
	v_or_b32_e32 v5, 0x70000000, v5
	v_mul_f32_e32 v5, 0x7800000, v5
	s_delay_alu instid0(VALU_DEP_1) | instskip(NEXT) | instid1(VALU_DEP_1)
	v_cndmask_b32_e32 v3, v5, v7, vcc_lo
	v_and_or_b32 v24, 0x80000000, v1, v3
.LBB159_3523:
	s_mov_b32 s7, 0
	s_mov_b32 s16, -1
.LBB159_3524:
	s_and_not1_b32 vcc_lo, exec_lo, s7
	s_mov_b32 s7, 0
	s_cbranch_vccnz .LBB159_3548
; %bb.3525:
	s_cmp_gt_i32 s10, 14
	s_cbranch_scc0 .LBB159_3528
; %bb.3526:
	s_cmp_eq_u32 s10, 15
	s_cbranch_scc0 .LBB159_3544
; %bb.3527:
	global_load_u16 v1, v[40:41], off
	s_mov_b32 s6, 0
	s_mov_b32 s16, -1
	s_wait_loadcnt 0x0
	v_lshlrev_b32_e32 v24, 16, v1
	s_branch .LBB159_3546
.LBB159_3528:
	s_mov_b32 s7, -1
	s_branch .LBB159_3545
.LBB159_3529:
	s_mov_b32 s6, -1
                                        ; implicit-def: $vgpr24
.LBB159_3530:
	s_delay_alu instid0(SALU_CYCLE_1)
	s_and_not1_b32 vcc_lo, exec_lo, s6
	s_cbranch_vccnz .LBB159_3532
; %bb.3531:
	global_load_b32 v24, v[40:41], off
.LBB159_3532:
	s_mov_b32 s6, 0
.LBB159_3533:
	s_delay_alu instid0(SALU_CYCLE_1)
	s_and_not1_b32 vcc_lo, exec_lo, s6
	s_cbranch_vccnz .LBB159_3535
; %bb.3534:
	global_load_u16 v1, v[40:41], off
	s_wait_loadcnt 0x0
	v_cvt_f32_f16_e32 v24, v1
.LBB159_3535:
	s_wait_xcnt 0x0
	v_mov_b32_e32 v38, 0
.LBB159_3536:
	s_mov_b32 s6, 0
.LBB159_3537:
	s_delay_alu instid0(SALU_CYCLE_1)
	s_and_not1_b32 vcc_lo, exec_lo, s6
	s_cbranch_vccnz .LBB159_3564
; %bb.3538:
	s_cmp_lt_i32 s10, 2
	s_cbranch_scc1 .LBB159_3542
; %bb.3539:
	s_cmp_lt_i32 s10, 3
	s_cbranch_scc1 .LBB159_3543
; %bb.3540:
	s_cmp_gt_i32 s10, 3
	s_cbranch_scc0 .LBB159_3550
; %bb.3541:
	s_wait_loadcnt 0x0
	global_load_b64 v[24:25], v[40:41], off
	s_mov_b32 s6, 0
	s_wait_loadcnt 0x0
	v_xor_b32_e32 v1, v24, v25
	v_cls_i32_e32 v3, v25
	s_delay_alu instid0(VALU_DEP_2) | instskip(NEXT) | instid1(VALU_DEP_1)
	v_ashrrev_i32_e32 v1, 31, v1
	v_add_nc_u32_e32 v1, 32, v1
	s_delay_alu instid0(VALU_DEP_1) | instskip(NEXT) | instid1(VALU_DEP_1)
	v_add_min_u32_e64 v1, v3, -1, v1
	v_lshlrev_b64_e32 v[24:25], v1, v[24:25]
	v_sub_nc_u32_e32 v1, 32, v1
	s_delay_alu instid0(VALU_DEP_2) | instskip(NEXT) | instid1(VALU_DEP_1)
	v_min_u32_e32 v3, 1, v24
	v_or_b32_e32 v3, v25, v3
	s_delay_alu instid0(VALU_DEP_1) | instskip(NEXT) | instid1(VALU_DEP_1)
	v_cvt_f32_i32_e32 v3, v3
	v_ldexp_f32 v24, v3, v1
	s_branch .LBB159_3551
.LBB159_3542:
	s_mov_b32 s6, -1
                                        ; implicit-def: $vgpr24
	s_branch .LBB159_3557
.LBB159_3543:
	s_mov_b32 s6, -1
                                        ; implicit-def: $vgpr24
	s_branch .LBB159_3554
.LBB159_3544:
	s_mov_b32 s6, -1
.LBB159_3545:
                                        ; implicit-def: $vgpr24
.LBB159_3546:
	s_and_b32 vcc_lo, exec_lo, s7
	s_mov_b32 s7, 0
	s_cbranch_vccz .LBB159_3548
; %bb.3547:
	s_cmp_lg_u32 s10, 11
	s_mov_b32 s7, -1
	s_cselect_b32 s6, -1, 0
.LBB159_3548:
	s_wait_xcnt 0x0
	v_mov_b32_e32 v38, 0
	s_and_b32 vcc_lo, exec_lo, s6
	s_cbranch_vccz .LBB159_3479
.LBB159_3549:
	s_or_b32 s14, s14, exec_lo
	s_trap 2
	s_cbranch_execz .LBB159_3480
	s_branch .LBB159_3481
.LBB159_3550:
	s_mov_b32 s6, -1
                                        ; implicit-def: $vgpr24
.LBB159_3551:
	s_delay_alu instid0(SALU_CYCLE_1)
	s_and_not1_b32 vcc_lo, exec_lo, s6
	s_cbranch_vccnz .LBB159_3553
; %bb.3552:
	global_load_b32 v1, v[40:41], off
	s_wait_loadcnt 0x0
	v_cvt_f32_i32_e32 v24, v1
.LBB159_3553:
	s_mov_b32 s6, 0
.LBB159_3554:
	s_delay_alu instid0(SALU_CYCLE_1)
	s_and_not1_b32 vcc_lo, exec_lo, s6
	s_cbranch_vccnz .LBB159_3556
; %bb.3555:
	global_load_i16 v1, v[40:41], off
	s_wait_loadcnt 0x0
	v_cvt_f32_i32_e32 v24, v1
.LBB159_3556:
	s_mov_b32 s6, 0
.LBB159_3557:
	s_delay_alu instid0(SALU_CYCLE_1)
	s_and_not1_b32 vcc_lo, exec_lo, s6
	s_cbranch_vccnz .LBB159_3563
; %bb.3558:
	s_cmp_gt_i32 s10, 0
	s_mov_b32 s6, 0
	s_cbranch_scc0 .LBB159_3560
; %bb.3559:
	global_load_i8 v1, v[40:41], off
	s_wait_loadcnt 0x0
	v_cvt_f32_i32_e32 v24, v1
	s_branch .LBB159_3561
.LBB159_3560:
	s_mov_b32 s6, -1
                                        ; implicit-def: $vgpr24
.LBB159_3561:
	s_delay_alu instid0(SALU_CYCLE_1)
	s_and_not1_b32 vcc_lo, exec_lo, s6
	s_cbranch_vccnz .LBB159_3563
; %bb.3562:
	global_load_u8 v1, v[40:41], off
	s_wait_loadcnt 0x0
	v_cvt_f32_ubyte0_e32 v24, v1
.LBB159_3563:
	s_wait_xcnt 0x0
	v_mov_b32_e32 v38, 0
.LBB159_3564:
	s_mov_b32 s16, -1
.LBB159_3565:
	s_delay_alu instid0(SALU_CYCLE_1)
	s_and_not1_b32 vcc_lo, exec_lo, s16
	s_cbranch_vccnz .LBB159_4271
; %bb.3566:
	v_mov_b32_e32 v17, 0
	s_cmp_lt_i32 s11, 11
	s_wait_xcnt 0x0
	s_delay_alu instid0(VALU_DEP_1)
	v_add_nc_u64_e32 v[40:41], s[0:1], v[16:17]
	s_cbranch_scc1 .LBB159_3573
; %bb.3567:
	s_cmp_gt_i32 s11, 25
	s_mov_b32 s1, 0
	s_cbranch_scc0 .LBB159_3574
; %bb.3568:
	s_cmp_gt_i32 s11, 28
	s_cbranch_scc0 .LBB159_3575
; %bb.3569:
	s_cmp_gt_i32 s11, 43
	s_cbranch_scc0 .LBB159_3576
; %bb.3570:
	s_cmp_gt_i32 s11, 45
	s_cbranch_scc0 .LBB159_3581
; %bb.3571:
	s_cmp_eq_u32 s11, 46
	s_mov_b32 s7, 0
	s_cbranch_scc0 .LBB159_3582
; %bb.3572:
	global_load_b32 v1, v[40:41], off
	s_mov_b32 s0, 0
	s_mov_b32 s6, -1
	s_wait_loadcnt 0x0
	v_and_b32_e32 v17, 0xffff0000, v1
	v_lshlrev_b32_e32 v16, 16, v1
	s_branch .LBB159_3584
.LBB159_3573:
	s_mov_b32 s0, -1
	s_mov_b32 s6, 0
                                        ; implicit-def: $vgpr17
	s_branch .LBB159_3618
.LBB159_3574:
	s_mov_b32 s7, -1
	s_mov_b32 s6, 0
	s_mov_b32 s0, 0
                                        ; implicit-def: $vgpr17
	s_branch .LBB159_3613
.LBB159_3575:
	s_mov_b32 s7, -1
	s_mov_b32 s6, 0
	s_mov_b32 s0, 0
                                        ; implicit-def: $vgpr17
	s_branch .LBB159_3596
.LBB159_3576:
	s_mov_b32 s7, -1
	s_mov_b32 s6, 0
	s_mov_b32 s0, 0
                                        ; implicit-def: $vgpr17
	s_branch .LBB159_3590
.LBB159_3577:
	s_mov_b32 s7, -1
	s_mov_b32 s17, exec_lo
	v_cmpx_eq_u16_e32 0x80, v1
; %bb.3578:
	s_xor_b32 s7, exec_lo, -1
; %bb.3579:
	s_or_b32 exec_lo, exec_lo, s17
	s_delay_alu instid0(SALU_CYCLE_1)
	s_and_b32 s7, s7, exec_lo
	s_or_saveexec_b32 s16, s16
	v_mov_b32_e32 v24, 0x7f800001
	s_xor_b32 exec_lo, exec_lo, s16
	s_cbranch_execz .LBB159_3493
.LBB159_3580:
	v_cmp_ne_u16_e32 vcc_lo, 0, v1
	v_mov_b32_e32 v24, 0
	s_and_not1_b32 s7, s7, exec_lo
	s_and_b32 s17, vcc_lo, exec_lo
	s_delay_alu instid0(SALU_CYCLE_1)
	s_or_b32 s7, s7, s17
	s_or_b32 exec_lo, exec_lo, s16
	s_and_saveexec_b32 s16, s7
	s_cbranch_execnz .LBB159_3494
	s_branch .LBB159_3495
.LBB159_3581:
	s_mov_b32 s7, -1
	s_mov_b32 s6, 0
	s_mov_b32 s0, 0
	s_branch .LBB159_3583
.LBB159_3582:
	s_mov_b32 s0, -1
	s_mov_b32 s6, 0
.LBB159_3583:
                                        ; implicit-def: $vgpr17
.LBB159_3584:
	s_and_b32 vcc_lo, exec_lo, s7
	s_cbranch_vccz .LBB159_3589
; %bb.3585:
	s_cmp_eq_u32 s11, 44
	s_cbranch_scc0 .LBB159_3587
; %bb.3586:
	global_load_u8 v1, v[40:41], off
	s_mov_b32 s0, 0
	s_mov_b32 s6, -1
	s_wait_loadcnt 0x0
	v_lshlrev_b32_e32 v3, 23, v1
	v_cmp_ne_u32_e32 vcc_lo, 0xff, v1
	s_delay_alu instid0(VALU_DEP_2) | instskip(SKIP_1) | instid1(VALU_DEP_2)
	v_cndmask_b32_e32 v3, 0x7f800001, v3, vcc_lo
	v_cmp_ne_u32_e32 vcc_lo, 0, v1
	v_cndmask_b32_e32 v16, 0x400000, v3, vcc_lo
	s_branch .LBB159_3588
.LBB159_3587:
	s_mov_b32 s0, -1
                                        ; implicit-def: $vgpr16
.LBB159_3588:
	v_mov_b32_e32 v17, 0
.LBB159_3589:
	s_mov_b32 s7, 0
.LBB159_3590:
	s_delay_alu instid0(SALU_CYCLE_1)
	s_and_b32 vcc_lo, exec_lo, s7
	s_cbranch_vccz .LBB159_3595
; %bb.3591:
	s_cmp_eq_u32 s11, 29
	s_cbranch_scc0 .LBB159_3593
; %bb.3592:
	global_load_b64 v[16:17], v[40:41], off
	s_mov_b32 s0, 0
	s_mov_b32 s6, -1
	s_wait_loadcnt 0x0
	v_clz_i32_u32_e32 v1, v17
	s_delay_alu instid0(VALU_DEP_1) | instskip(NEXT) | instid1(VALU_DEP_1)
	v_min_u32_e32 v1, 32, v1
	v_lshlrev_b64_e32 v[16:17], v1, v[16:17]
	v_sub_nc_u32_e32 v1, 32, v1
	s_delay_alu instid0(VALU_DEP_2) | instskip(NEXT) | instid1(VALU_DEP_1)
	v_min_u32_e32 v3, 1, v16
	v_or_b32_e32 v3, v17, v3
	s_delay_alu instid0(VALU_DEP_1) | instskip(NEXT) | instid1(VALU_DEP_1)
	v_cvt_f32_u32_e32 v3, v3
	v_ldexp_f32 v16, v3, v1
	s_branch .LBB159_3594
.LBB159_3593:
	s_mov_b32 s0, -1
                                        ; implicit-def: $vgpr16
.LBB159_3594:
	v_mov_b32_e32 v17, 0
.LBB159_3595:
	s_mov_b32 s7, 0
.LBB159_3596:
	s_delay_alu instid0(SALU_CYCLE_1)
	s_and_b32 vcc_lo, exec_lo, s7
	s_cbranch_vccz .LBB159_3612
; %bb.3597:
	s_cmp_lt_i32 s11, 27
	s_cbranch_scc1 .LBB159_3600
; %bb.3598:
	s_cmp_gt_i32 s11, 27
	s_cbranch_scc0 .LBB159_3601
; %bb.3599:
	global_load_b32 v1, v[40:41], off
	s_mov_b32 s6, 0
	s_wait_loadcnt 0x0
	v_cvt_f32_u32_e32 v16, v1
	s_branch .LBB159_3602
.LBB159_3600:
	s_mov_b32 s6, -1
                                        ; implicit-def: $vgpr16
	s_branch .LBB159_3605
.LBB159_3601:
	s_mov_b32 s6, -1
                                        ; implicit-def: $vgpr16
.LBB159_3602:
	s_delay_alu instid0(SALU_CYCLE_1)
	s_and_not1_b32 vcc_lo, exec_lo, s6
	s_cbranch_vccnz .LBB159_3604
; %bb.3603:
	global_load_u16 v1, v[40:41], off
	s_wait_loadcnt 0x0
	v_cvt_f32_u32_e32 v16, v1
.LBB159_3604:
	s_mov_b32 s6, 0
.LBB159_3605:
	s_delay_alu instid0(SALU_CYCLE_1)
	s_and_not1_b32 vcc_lo, exec_lo, s6
	s_cbranch_vccnz .LBB159_3611
; %bb.3606:
	global_load_u8 v1, v[40:41], off
	s_mov_b32 s6, 0
	s_mov_b32 s7, exec_lo
	s_wait_loadcnt 0x0
	v_cmpx_lt_i16_e32 0x7f, v1
	s_xor_b32 s7, exec_lo, s7
	s_cbranch_execnz .LBB159_3637
; %bb.3607:
	s_or_saveexec_b32 s7, s7
	v_mov_b32_e32 v16, 0x7f800001
	s_xor_b32 exec_lo, exec_lo, s7
	s_cbranch_execnz .LBB159_3640
.LBB159_3608:
	s_or_b32 exec_lo, exec_lo, s7
	s_and_saveexec_b32 s7, s6
	s_cbranch_execz .LBB159_3610
.LBB159_3609:
	v_and_b32_e32 v3, 0xffff, v1
	s_delay_alu instid0(VALU_DEP_1) | instskip(SKIP_1) | instid1(VALU_DEP_2)
	v_dual_lshlrev_b32 v1, 24, v1 :: v_dual_bitop2_b32 v5, 7, v3 bitop3:0x40
	v_bfe_u32 v11, v3, 3, 4
	v_and_b32_e32 v1, 0x80000000, v1
	s_delay_alu instid0(VALU_DEP_3) | instskip(NEXT) | instid1(VALU_DEP_3)
	v_clz_i32_u32_e32 v7, v5
	v_cmp_eq_u32_e32 vcc_lo, 0, v11
	s_delay_alu instid0(VALU_DEP_2) | instskip(NEXT) | instid1(VALU_DEP_1)
	v_min_u32_e32 v7, 32, v7
	v_subrev_nc_u32_e32 v9, 28, v7
	v_sub_nc_u32_e32 v7, 29, v7
	s_delay_alu instid0(VALU_DEP_2) | instskip(NEXT) | instid1(VALU_DEP_2)
	v_lshlrev_b32_e32 v3, v9, v3
	v_cndmask_b32_e32 v7, v11, v7, vcc_lo
	s_delay_alu instid0(VALU_DEP_2) | instskip(NEXT) | instid1(VALU_DEP_1)
	v_and_b32_e32 v3, 7, v3
	v_cndmask_b32_e32 v3, v5, v3, vcc_lo
	s_delay_alu instid0(VALU_DEP_3) | instskip(NEXT) | instid1(VALU_DEP_2)
	v_lshl_add_u32 v5, v7, 23, 0x3b800000
	v_lshlrev_b32_e32 v3, 20, v3
	s_delay_alu instid0(VALU_DEP_1)
	v_or3_b32 v16, v1, v5, v3
.LBB159_3610:
	s_or_b32 exec_lo, exec_lo, s7
.LBB159_3611:
	v_mov_b32_e32 v17, 0
	s_mov_b32 s6, -1
.LBB159_3612:
	s_mov_b32 s7, 0
.LBB159_3613:
	s_delay_alu instid0(SALU_CYCLE_1)
	s_and_b32 vcc_lo, exec_lo, s7
	s_cbranch_vccnz .LBB159_3624
; %bb.3614:
	s_and_b32 vcc_lo, exec_lo, s0
	s_cbranch_vccnz .LBB159_3685
.LBB159_3615:
	s_and_not1_b32 vcc_lo, exec_lo, s1
	s_cbranch_vccnz .LBB159_3617
.LBB159_3616:
	global_load_u8 v1, v[40:41], off
	v_mov_b32_e32 v17, 0
	s_mov_b32 s6, -1
	s_wait_loadcnt 0x0
	v_cmp_ne_u16_e32 vcc_lo, 0, v1
	v_cndmask_b32_e64 v16, 0, 1.0, vcc_lo
.LBB159_3617:
	s_mov_b32 s0, 0
.LBB159_3618:
	s_delay_alu instid0(SALU_CYCLE_1)
	s_and_b32 vcc_lo, exec_lo, s0
	s_cbranch_vccz .LBB159_3701
; %bb.3619:
	s_cmp_lt_i32 s11, 5
	s_cbranch_scc1 .LBB159_3632
; %bb.3620:
	s_cmp_lt_i32 s11, 8
	s_cbranch_scc1 .LBB159_3633
	;; [unrolled: 3-line block ×3, first 2 shown]
; %bb.3622:
	s_cmp_gt_i32 s11, 9
	s_cbranch_scc0 .LBB159_3641
; %bb.3623:
	global_load_b128 v[42:45], v[40:41], off
	s_mov_b32 s0, 0
	s_wait_loadcnt 0x0
	v_cvt_f32_f64_e32 v16, v[42:43]
	v_cvt_f32_f64_e32 v17, v[44:45]
	s_branch .LBB159_3642
.LBB159_3624:
	s_cmp_gt_i32 s11, 22
	s_cbranch_scc0 .LBB159_3634
; %bb.3625:
	s_cmp_lt_i32 s11, 24
	s_cbranch_scc1 .LBB159_3636
; %bb.3626:
	s_cmp_gt_i32 s11, 24
	s_cbranch_scc0 .LBB159_3653
; %bb.3627:
	global_load_u8 v1, v[40:41], off
	s_mov_b32 s6, exec_lo
	s_wait_loadcnt 0x0
	v_cmpx_lt_i16_e32 0x7f, v1
	s_xor_b32 s6, exec_lo, s6
	s_cbranch_execnz .LBB159_3713
; %bb.3628:
	s_or_saveexec_b32 s6, s6
	v_mov_b32_e32 v16, 0x7f800001
	s_xor_b32 exec_lo, exec_lo, s6
	s_cbranch_execnz .LBB159_3716
.LBB159_3629:
	s_or_b32 exec_lo, exec_lo, s6
	s_and_saveexec_b32 s6, s1
	s_cbranch_execz .LBB159_3631
.LBB159_3630:
	v_and_b32_e32 v3, 0xffff, v1
	s_delay_alu instid0(VALU_DEP_1) | instskip(SKIP_1) | instid1(VALU_DEP_2)
	v_dual_lshlrev_b32 v1, 24, v1 :: v_dual_bitop2_b32 v5, 3, v3 bitop3:0x40
	v_bfe_u32 v11, v3, 2, 5
	v_and_b32_e32 v1, 0x80000000, v1
	s_delay_alu instid0(VALU_DEP_3) | instskip(NEXT) | instid1(VALU_DEP_3)
	v_clz_i32_u32_e32 v7, v5
	v_cmp_eq_u32_e32 vcc_lo, 0, v11
	s_delay_alu instid0(VALU_DEP_2) | instskip(NEXT) | instid1(VALU_DEP_1)
	v_min_u32_e32 v7, 32, v7
	v_subrev_nc_u32_e32 v9, 29, v7
	v_sub_nc_u32_e32 v7, 30, v7
	s_delay_alu instid0(VALU_DEP_2) | instskip(NEXT) | instid1(VALU_DEP_2)
	v_lshlrev_b32_e32 v3, v9, v3
	v_cndmask_b32_e32 v7, v11, v7, vcc_lo
	s_delay_alu instid0(VALU_DEP_2) | instskip(NEXT) | instid1(VALU_DEP_1)
	v_and_b32_e32 v3, 3, v3
	v_cndmask_b32_e32 v3, v5, v3, vcc_lo
	s_delay_alu instid0(VALU_DEP_3) | instskip(NEXT) | instid1(VALU_DEP_2)
	v_lshl_add_u32 v5, v7, 23, 0x37800000
	v_lshlrev_b32_e32 v3, 21, v3
	s_delay_alu instid0(VALU_DEP_1)
	v_or3_b32 v16, v1, v5, v3
.LBB159_3631:
	s_or_b32 exec_lo, exec_lo, s6
	s_mov_b32 s1, 0
	s_branch .LBB159_3654
.LBB159_3632:
	s_mov_b32 s0, -1
                                        ; implicit-def: $vgpr17
	s_branch .LBB159_3673
.LBB159_3633:
	s_mov_b32 s0, -1
                                        ; implicit-def: $vgpr17
	s_branch .LBB159_3648
.LBB159_3634:
	s_mov_b32 s1, -1
                                        ; implicit-def: $vgpr16
	s_branch .LBB159_3660
.LBB159_3635:
	s_mov_b32 s0, -1
                                        ; implicit-def: $vgpr17
	s_branch .LBB159_3645
.LBB159_3636:
	s_mov_b32 s1, -1
                                        ; implicit-def: $vgpr16
	s_branch .LBB159_3657
.LBB159_3637:
	s_mov_b32 s6, -1
	s_mov_b32 s10, exec_lo
	v_cmpx_eq_u16_e32 0x80, v1
; %bb.3638:
	s_xor_b32 s6, exec_lo, -1
; %bb.3639:
	s_or_b32 exec_lo, exec_lo, s10
	s_delay_alu instid0(SALU_CYCLE_1)
	s_and_b32 s6, s6, exec_lo
	s_or_saveexec_b32 s7, s7
	v_mov_b32_e32 v16, 0x7f800001
	s_xor_b32 exec_lo, exec_lo, s7
	s_cbranch_execz .LBB159_3608
.LBB159_3640:
	v_cmp_ne_u16_e32 vcc_lo, 0, v1
	v_mov_b32_e32 v16, 0
	s_and_not1_b32 s6, s6, exec_lo
	s_and_b32 s10, vcc_lo, exec_lo
	s_delay_alu instid0(SALU_CYCLE_1)
	s_or_b32 s6, s6, s10
	s_or_b32 exec_lo, exec_lo, s7
	s_and_saveexec_b32 s7, s6
	s_cbranch_execnz .LBB159_3609
	s_branch .LBB159_3610
.LBB159_3641:
	s_mov_b32 s0, -1
                                        ; implicit-def: $vgpr17
.LBB159_3642:
	s_delay_alu instid0(SALU_CYCLE_1)
	s_and_not1_b32 vcc_lo, exec_lo, s0
	s_cbranch_vccnz .LBB159_3644
; %bb.3643:
	global_load_b64 v[16:17], v[40:41], off
.LBB159_3644:
	s_mov_b32 s0, 0
.LBB159_3645:
	s_delay_alu instid0(SALU_CYCLE_1)
	s_and_not1_b32 vcc_lo, exec_lo, s0
	s_cbranch_vccnz .LBB159_3647
; %bb.3646:
	global_load_b32 v1, v[40:41], off
	s_wait_loadcnt 0x0
	v_lshrrev_b32_e32 v3, 16, v1
	v_cvt_f32_f16_e32 v16, v1
	s_delay_alu instid0(VALU_DEP_2)
	v_cvt_f32_f16_e32 v17, v3
.LBB159_3647:
	s_mov_b32 s0, 0
.LBB159_3648:
	s_delay_alu instid0(SALU_CYCLE_1)
	s_and_not1_b32 vcc_lo, exec_lo, s0
	s_cbranch_vccnz .LBB159_3672
; %bb.3649:
	s_cmp_lt_i32 s11, 6
	s_cbranch_scc1 .LBB159_3652
; %bb.3650:
	s_cmp_gt_i32 s11, 6
	s_cbranch_scc0 .LBB159_3665
; %bb.3651:
	s_wait_loadcnt 0x0
	global_load_b64 v[16:17], v[40:41], off
	s_mov_b32 s0, 0
	s_wait_loadcnt 0x0
	v_cvt_f32_f64_e32 v16, v[16:17]
	s_branch .LBB159_3666
.LBB159_3652:
	s_mov_b32 s0, -1
                                        ; implicit-def: $vgpr16
	s_branch .LBB159_3669
.LBB159_3653:
	s_mov_b32 s1, -1
                                        ; implicit-def: $vgpr16
.LBB159_3654:
	s_delay_alu instid0(SALU_CYCLE_1)
	s_and_b32 vcc_lo, exec_lo, s1
	s_cbranch_vccz .LBB159_3656
; %bb.3655:
	global_load_u8 v1, v[40:41], off
	s_wait_loadcnt 0x0
	v_lshlrev_b32_e32 v1, 24, v1
	s_delay_alu instid0(VALU_DEP_1) | instskip(NEXT) | instid1(VALU_DEP_1)
	v_and_b32_e32 v3, 0x7f000000, v1
	v_clz_i32_u32_e32 v5, v3
	v_add_nc_u32_e32 v9, 0x1000000, v3
	v_cmp_ne_u32_e32 vcc_lo, 0, v3
	s_delay_alu instid0(VALU_DEP_3) | instskip(NEXT) | instid1(VALU_DEP_1)
	v_min_u32_e32 v5, 32, v5
	v_sub_nc_u32_e64 v5, v5, 4 clamp
	s_delay_alu instid0(VALU_DEP_1) | instskip(NEXT) | instid1(VALU_DEP_1)
	v_dual_lshlrev_b32 v7, v5, v3 :: v_dual_lshlrev_b32 v5, 23, v5
	v_lshrrev_b32_e32 v7, 4, v7
	s_delay_alu instid0(VALU_DEP_1) | instskip(SKIP_1) | instid1(VALU_DEP_2)
	v_sub_nc_u32_e32 v5, v7, v5
	v_ashrrev_i32_e32 v7, 8, v9
	v_add_nc_u32_e32 v5, 0x3c000000, v5
	s_delay_alu instid0(VALU_DEP_1) | instskip(NEXT) | instid1(VALU_DEP_1)
	v_and_or_b32 v5, 0x7f800000, v7, v5
	v_cndmask_b32_e32 v3, 0, v5, vcc_lo
	s_delay_alu instid0(VALU_DEP_1)
	v_and_or_b32 v16, 0x80000000, v1, v3
.LBB159_3656:
	s_mov_b32 s1, 0
.LBB159_3657:
	s_delay_alu instid0(SALU_CYCLE_1)
	s_and_not1_b32 vcc_lo, exec_lo, s1
	s_cbranch_vccnz .LBB159_3659
; %bb.3658:
	global_load_u8 v1, v[40:41], off
	s_wait_loadcnt 0x0
	v_lshlrev_b32_e32 v3, 25, v1
	v_lshlrev_b16 v1, 8, v1
	s_delay_alu instid0(VALU_DEP_1) | instskip(SKIP_1) | instid1(VALU_DEP_2)
	v_and_or_b32 v7, 0x7f00, v1, 0.5
	v_bfe_i32 v1, v1, 0, 16
	v_add_f32_e32 v7, -0.5, v7
	v_lshrrev_b32_e32 v5, 4, v3
	v_cmp_gt_u32_e32 vcc_lo, 0x8000000, v3
	s_delay_alu instid0(VALU_DEP_2) | instskip(NEXT) | instid1(VALU_DEP_1)
	v_or_b32_e32 v5, 0x70000000, v5
	v_mul_f32_e32 v5, 0x7800000, v5
	s_delay_alu instid0(VALU_DEP_1) | instskip(NEXT) | instid1(VALU_DEP_1)
	v_cndmask_b32_e32 v3, v5, v7, vcc_lo
	v_and_or_b32 v16, 0x80000000, v1, v3
.LBB159_3659:
	s_mov_b32 s1, 0
	s_mov_b32 s6, -1
.LBB159_3660:
	s_and_not1_b32 vcc_lo, exec_lo, s1
	s_mov_b32 s1, 0
	s_cbranch_vccnz .LBB159_3684
; %bb.3661:
	s_cmp_gt_i32 s11, 14
	s_cbranch_scc0 .LBB159_3664
; %bb.3662:
	s_cmp_eq_u32 s11, 15
	s_cbranch_scc0 .LBB159_3680
; %bb.3663:
	global_load_u16 v1, v[40:41], off
	s_mov_b32 s0, 0
	s_mov_b32 s6, -1
	s_wait_loadcnt 0x0
	v_lshlrev_b32_e32 v16, 16, v1
	s_branch .LBB159_3682
.LBB159_3664:
	s_mov_b32 s1, -1
	s_branch .LBB159_3681
.LBB159_3665:
	s_mov_b32 s0, -1
                                        ; implicit-def: $vgpr16
.LBB159_3666:
	s_delay_alu instid0(SALU_CYCLE_1)
	s_and_not1_b32 vcc_lo, exec_lo, s0
	s_cbranch_vccnz .LBB159_3668
; %bb.3667:
	s_wait_loadcnt 0x0
	global_load_b32 v16, v[40:41], off
.LBB159_3668:
	s_mov_b32 s0, 0
.LBB159_3669:
	s_delay_alu instid0(SALU_CYCLE_1)
	s_and_not1_b32 vcc_lo, exec_lo, s0
	s_cbranch_vccnz .LBB159_3671
; %bb.3670:
	global_load_u16 v1, v[40:41], off
	s_wait_loadcnt 0x0
	v_cvt_f32_f16_e32 v16, v1
.LBB159_3671:
	s_wait_loadcnt 0x0
	v_mov_b32_e32 v17, 0
.LBB159_3672:
	s_mov_b32 s0, 0
.LBB159_3673:
	s_delay_alu instid0(SALU_CYCLE_1)
	s_and_not1_b32 vcc_lo, exec_lo, s0
	s_cbranch_vccnz .LBB159_3700
; %bb.3674:
	s_cmp_lt_i32 s11, 2
	s_cbranch_scc1 .LBB159_3678
; %bb.3675:
	s_cmp_lt_i32 s11, 3
	s_cbranch_scc1 .LBB159_3679
; %bb.3676:
	s_cmp_gt_i32 s11, 3
	s_cbranch_scc0 .LBB159_3686
; %bb.3677:
	s_wait_loadcnt 0x0
	global_load_b64 v[16:17], v[40:41], off
	s_mov_b32 s0, 0
	s_wait_loadcnt 0x0
	v_xor_b32_e32 v1, v16, v17
	v_cls_i32_e32 v3, v17
	s_delay_alu instid0(VALU_DEP_2) | instskip(NEXT) | instid1(VALU_DEP_1)
	v_ashrrev_i32_e32 v1, 31, v1
	v_add_nc_u32_e32 v1, 32, v1
	s_delay_alu instid0(VALU_DEP_1) | instskip(NEXT) | instid1(VALU_DEP_1)
	v_add_min_u32_e64 v1, v3, -1, v1
	v_lshlrev_b64_e32 v[16:17], v1, v[16:17]
	v_sub_nc_u32_e32 v1, 32, v1
	s_delay_alu instid0(VALU_DEP_2) | instskip(NEXT) | instid1(VALU_DEP_1)
	v_min_u32_e32 v3, 1, v16
	v_or_b32_e32 v3, v17, v3
	s_delay_alu instid0(VALU_DEP_1) | instskip(NEXT) | instid1(VALU_DEP_1)
	v_cvt_f32_i32_e32 v3, v3
	v_ldexp_f32 v16, v3, v1
	s_branch .LBB159_3687
.LBB159_3678:
	s_mov_b32 s0, -1
                                        ; implicit-def: $vgpr16
	s_branch .LBB159_3693
.LBB159_3679:
	s_mov_b32 s0, -1
                                        ; implicit-def: $vgpr16
	s_branch .LBB159_3690
.LBB159_3680:
	s_mov_b32 s0, -1
.LBB159_3681:
                                        ; implicit-def: $vgpr16
.LBB159_3682:
	s_and_b32 vcc_lo, exec_lo, s1
	s_mov_b32 s1, 0
	s_cbranch_vccz .LBB159_3684
; %bb.3683:
	s_cmp_lg_u32 s11, 11
	s_mov_b32 s1, -1
	s_cselect_b32 s0, -1, 0
.LBB159_3684:
	v_mov_b32_e32 v17, 0
	s_and_b32 vcc_lo, exec_lo, s0
	s_cbranch_vccz .LBB159_3615
.LBB159_3685:
	s_or_b32 s14, s14, exec_lo
	s_trap 2
	s_cbranch_execz .LBB159_3616
	s_branch .LBB159_3617
.LBB159_3686:
	s_mov_b32 s0, -1
                                        ; implicit-def: $vgpr16
.LBB159_3687:
	s_delay_alu instid0(SALU_CYCLE_1)
	s_and_not1_b32 vcc_lo, exec_lo, s0
	s_cbranch_vccnz .LBB159_3689
; %bb.3688:
	global_load_b32 v1, v[40:41], off
	s_wait_loadcnt 0x0
	v_cvt_f32_i32_e32 v16, v1
.LBB159_3689:
	s_mov_b32 s0, 0
.LBB159_3690:
	s_delay_alu instid0(SALU_CYCLE_1)
	s_and_not1_b32 vcc_lo, exec_lo, s0
	s_cbranch_vccnz .LBB159_3692
; %bb.3691:
	global_load_i16 v1, v[40:41], off
	s_wait_loadcnt 0x0
	v_cvt_f32_i32_e32 v16, v1
.LBB159_3692:
	s_mov_b32 s0, 0
.LBB159_3693:
	s_delay_alu instid0(SALU_CYCLE_1)
	s_and_not1_b32 vcc_lo, exec_lo, s0
	s_cbranch_vccnz .LBB159_3699
; %bb.3694:
	s_cmp_gt_i32 s11, 0
	s_mov_b32 s0, 0
	s_cbranch_scc0 .LBB159_3696
; %bb.3695:
	global_load_i8 v1, v[40:41], off
	s_wait_loadcnt 0x0
	v_cvt_f32_i32_e32 v16, v1
	s_branch .LBB159_3697
.LBB159_3696:
	s_mov_b32 s0, -1
                                        ; implicit-def: $vgpr16
.LBB159_3697:
	s_delay_alu instid0(SALU_CYCLE_1)
	s_and_not1_b32 vcc_lo, exec_lo, s0
	s_cbranch_vccnz .LBB159_3699
; %bb.3698:
	global_load_u8 v1, v[40:41], off
	s_wait_loadcnt 0x0
	v_cvt_f32_ubyte0_e32 v16, v1
.LBB159_3699:
	s_wait_loadcnt 0x0
	v_mov_b32_e32 v17, 0
.LBB159_3700:
	s_mov_b32 s6, -1
.LBB159_3701:
	s_delay_alu instid0(SALU_CYCLE_1)
	s_and_not1_b32 vcc_lo, exec_lo, s6
	s_cbranch_vccnz .LBB159_4271
; %bb.3702:
	v_mov_b32_e32 v13, 0
	s_cmp_lt_i32 s15, 11
	s_wait_xcnt 0x0
	s_delay_alu instid0(VALU_DEP_1)
	v_add_nc_u64_e32 v[40:41], s[8:9], v[12:13]
	s_cbranch_scc1 .LBB159_3709
; %bb.3703:
	s_cmp_gt_i32 s15, 25
	s_mov_b32 s1, 0
	s_cbranch_scc0 .LBB159_3710
; %bb.3704:
	s_cmp_gt_i32 s15, 28
	s_cbranch_scc0 .LBB159_3711
; %bb.3705:
	s_cmp_gt_i32 s15, 43
	;; [unrolled: 3-line block ×3, first 2 shown]
	s_cbranch_scc0 .LBB159_3717
; %bb.3707:
	s_cmp_eq_u32 s15, 46
	s_mov_b32 s7, 0
	s_cbranch_scc0 .LBB159_3718
; %bb.3708:
	global_load_b32 v1, v[40:41], off
	s_mov_b32 s0, 0
	s_mov_b32 s6, -1
	s_wait_loadcnt 0x0
	v_and_b32_e32 v13, 0xffff0000, v1
	v_lshlrev_b32_e32 v12, 16, v1
	s_branch .LBB159_3720
.LBB159_3709:
	s_mov_b32 s0, -1
	s_mov_b32 s6, 0
                                        ; implicit-def: $vgpr13
	s_branch .LBB159_3754
.LBB159_3710:
	s_mov_b32 s7, -1
	s_mov_b32 s6, 0
	s_mov_b32 s0, 0
                                        ; implicit-def: $vgpr13
	s_branch .LBB159_3749
.LBB159_3711:
	s_mov_b32 s7, -1
	s_mov_b32 s6, 0
	s_mov_b32 s0, 0
                                        ; implicit-def: $vgpr13
	s_branch .LBB159_3732
.LBB159_3712:
	s_mov_b32 s7, -1
	s_mov_b32 s6, 0
	s_mov_b32 s0, 0
                                        ; implicit-def: $vgpr13
	s_branch .LBB159_3726
.LBB159_3713:
	s_mov_b32 s1, -1
	s_mov_b32 s7, exec_lo
	v_cmpx_eq_u16_e32 0x80, v1
; %bb.3714:
	s_xor_b32 s1, exec_lo, -1
; %bb.3715:
	s_or_b32 exec_lo, exec_lo, s7
	s_delay_alu instid0(SALU_CYCLE_1)
	s_and_b32 s1, s1, exec_lo
	s_or_saveexec_b32 s6, s6
	v_mov_b32_e32 v16, 0x7f800001
	s_xor_b32 exec_lo, exec_lo, s6
	s_cbranch_execz .LBB159_3629
.LBB159_3716:
	v_cmp_ne_u16_e32 vcc_lo, 0, v1
	v_mov_b32_e32 v16, 0
	s_and_not1_b32 s1, s1, exec_lo
	s_and_b32 s7, vcc_lo, exec_lo
	s_delay_alu instid0(SALU_CYCLE_1)
	s_or_b32 s1, s1, s7
	s_or_b32 exec_lo, exec_lo, s6
	s_and_saveexec_b32 s6, s1
	s_cbranch_execnz .LBB159_3630
	s_branch .LBB159_3631
.LBB159_3717:
	s_mov_b32 s7, -1
	s_mov_b32 s6, 0
	s_mov_b32 s0, 0
	s_branch .LBB159_3719
.LBB159_3718:
	s_mov_b32 s0, -1
	s_mov_b32 s6, 0
.LBB159_3719:
                                        ; implicit-def: $vgpr13
.LBB159_3720:
	s_and_b32 vcc_lo, exec_lo, s7
	s_cbranch_vccz .LBB159_3725
; %bb.3721:
	s_cmp_eq_u32 s15, 44
	s_cbranch_scc0 .LBB159_3723
; %bb.3722:
	global_load_u8 v1, v[40:41], off
	s_mov_b32 s0, 0
	s_mov_b32 s6, -1
	s_wait_loadcnt 0x0
	v_lshlrev_b32_e32 v3, 23, v1
	v_cmp_ne_u32_e32 vcc_lo, 0xff, v1
	s_delay_alu instid0(VALU_DEP_2) | instskip(SKIP_1) | instid1(VALU_DEP_2)
	v_cndmask_b32_e32 v3, 0x7f800001, v3, vcc_lo
	v_cmp_ne_u32_e32 vcc_lo, 0, v1
	v_cndmask_b32_e32 v12, 0x400000, v3, vcc_lo
	s_branch .LBB159_3724
.LBB159_3723:
	s_mov_b32 s0, -1
                                        ; implicit-def: $vgpr12
.LBB159_3724:
	v_mov_b32_e32 v13, 0
.LBB159_3725:
	s_mov_b32 s7, 0
.LBB159_3726:
	s_delay_alu instid0(SALU_CYCLE_1)
	s_and_b32 vcc_lo, exec_lo, s7
	s_cbranch_vccz .LBB159_3731
; %bb.3727:
	s_cmp_eq_u32 s15, 29
	s_cbranch_scc0 .LBB159_3729
; %bb.3728:
	global_load_b64 v[12:13], v[40:41], off
	s_mov_b32 s0, 0
	s_mov_b32 s6, -1
	s_wait_loadcnt 0x0
	v_clz_i32_u32_e32 v1, v13
	s_delay_alu instid0(VALU_DEP_1) | instskip(NEXT) | instid1(VALU_DEP_1)
	v_min_u32_e32 v1, 32, v1
	v_lshlrev_b64_e32 v[12:13], v1, v[12:13]
	v_sub_nc_u32_e32 v1, 32, v1
	s_delay_alu instid0(VALU_DEP_2) | instskip(NEXT) | instid1(VALU_DEP_1)
	v_min_u32_e32 v3, 1, v12
	v_or_b32_e32 v3, v13, v3
	s_delay_alu instid0(VALU_DEP_1) | instskip(NEXT) | instid1(VALU_DEP_1)
	v_cvt_f32_u32_e32 v3, v3
	v_ldexp_f32 v12, v3, v1
	s_branch .LBB159_3730
.LBB159_3729:
	s_mov_b32 s0, -1
                                        ; implicit-def: $vgpr12
.LBB159_3730:
	v_mov_b32_e32 v13, 0
.LBB159_3731:
	s_mov_b32 s7, 0
.LBB159_3732:
	s_delay_alu instid0(SALU_CYCLE_1)
	s_and_b32 vcc_lo, exec_lo, s7
	s_cbranch_vccz .LBB159_3748
; %bb.3733:
	s_cmp_lt_i32 s15, 27
	s_cbranch_scc1 .LBB159_3736
; %bb.3734:
	s_cmp_gt_i32 s15, 27
	s_cbranch_scc0 .LBB159_3737
; %bb.3735:
	global_load_b32 v1, v[40:41], off
	s_mov_b32 s6, 0
	s_wait_loadcnt 0x0
	v_cvt_f32_u32_e32 v12, v1
	s_branch .LBB159_3738
.LBB159_3736:
	s_mov_b32 s6, -1
                                        ; implicit-def: $vgpr12
	s_branch .LBB159_3741
.LBB159_3737:
	s_mov_b32 s6, -1
                                        ; implicit-def: $vgpr12
.LBB159_3738:
	s_delay_alu instid0(SALU_CYCLE_1)
	s_and_not1_b32 vcc_lo, exec_lo, s6
	s_cbranch_vccnz .LBB159_3740
; %bb.3739:
	global_load_u16 v1, v[40:41], off
	s_wait_loadcnt 0x0
	v_cvt_f32_u32_e32 v12, v1
.LBB159_3740:
	s_mov_b32 s6, 0
.LBB159_3741:
	s_delay_alu instid0(SALU_CYCLE_1)
	s_and_not1_b32 vcc_lo, exec_lo, s6
	s_cbranch_vccnz .LBB159_3747
; %bb.3742:
	global_load_u8 v1, v[40:41], off
	s_mov_b32 s6, 0
	s_mov_b32 s7, exec_lo
	s_wait_loadcnt 0x0
	v_cmpx_lt_i16_e32 0x7f, v1
	s_xor_b32 s7, exec_lo, s7
	s_cbranch_execnz .LBB159_3773
; %bb.3743:
	s_or_saveexec_b32 s7, s7
	v_mov_b32_e32 v12, 0x7f800001
	s_xor_b32 exec_lo, exec_lo, s7
	s_cbranch_execnz .LBB159_3776
.LBB159_3744:
	s_or_b32 exec_lo, exec_lo, s7
	s_and_saveexec_b32 s7, s6
	s_cbranch_execz .LBB159_3746
.LBB159_3745:
	v_and_b32_e32 v3, 0xffff, v1
	s_delay_alu instid0(VALU_DEP_1) | instskip(SKIP_1) | instid1(VALU_DEP_2)
	v_dual_lshlrev_b32 v1, 24, v1 :: v_dual_bitop2_b32 v5, 7, v3 bitop3:0x40
	v_bfe_u32 v11, v3, 3, 4
	v_and_b32_e32 v1, 0x80000000, v1
	s_delay_alu instid0(VALU_DEP_3) | instskip(NEXT) | instid1(VALU_DEP_3)
	v_clz_i32_u32_e32 v7, v5
	v_cmp_eq_u32_e32 vcc_lo, 0, v11
	s_delay_alu instid0(VALU_DEP_2) | instskip(NEXT) | instid1(VALU_DEP_1)
	v_min_u32_e32 v7, 32, v7
	v_subrev_nc_u32_e32 v9, 28, v7
	v_sub_nc_u32_e32 v7, 29, v7
	s_delay_alu instid0(VALU_DEP_2) | instskip(NEXT) | instid1(VALU_DEP_2)
	v_lshlrev_b32_e32 v3, v9, v3
	v_cndmask_b32_e32 v7, v11, v7, vcc_lo
	s_delay_alu instid0(VALU_DEP_2) | instskip(NEXT) | instid1(VALU_DEP_1)
	v_and_b32_e32 v3, 7, v3
	v_cndmask_b32_e32 v3, v5, v3, vcc_lo
	s_delay_alu instid0(VALU_DEP_3) | instskip(NEXT) | instid1(VALU_DEP_2)
	v_lshl_add_u32 v5, v7, 23, 0x3b800000
	v_lshlrev_b32_e32 v3, 20, v3
	s_delay_alu instid0(VALU_DEP_1)
	v_or3_b32 v12, v1, v5, v3
.LBB159_3746:
	s_or_b32 exec_lo, exec_lo, s7
.LBB159_3747:
	v_mov_b32_e32 v13, 0
	s_mov_b32 s6, -1
.LBB159_3748:
	s_mov_b32 s7, 0
.LBB159_3749:
	s_delay_alu instid0(SALU_CYCLE_1)
	s_and_b32 vcc_lo, exec_lo, s7
	s_cbranch_vccnz .LBB159_3760
; %bb.3750:
	s_and_b32 vcc_lo, exec_lo, s0
	s_cbranch_vccnz .LBB159_3821
.LBB159_3751:
	s_and_not1_b32 vcc_lo, exec_lo, s1
	s_cbranch_vccnz .LBB159_3753
.LBB159_3752:
	global_load_u8 v1, v[40:41], off
	v_mov_b32_e32 v13, 0
	s_mov_b32 s6, -1
	s_wait_loadcnt 0x0
	v_cmp_ne_u16_e32 vcc_lo, 0, v1
	v_cndmask_b32_e64 v12, 0, 1.0, vcc_lo
.LBB159_3753:
	s_mov_b32 s0, 0
.LBB159_3754:
	s_delay_alu instid0(SALU_CYCLE_1)
	s_and_b32 vcc_lo, exec_lo, s0
	s_cbranch_vccz .LBB159_3837
; %bb.3755:
	s_cmp_lt_i32 s15, 5
	s_cbranch_scc1 .LBB159_3768
; %bb.3756:
	s_cmp_lt_i32 s15, 8
	s_cbranch_scc1 .LBB159_3769
; %bb.3757:
	s_cmp_lt_i32 s15, 9
	s_cbranch_scc1 .LBB159_3771
; %bb.3758:
	s_cmp_gt_i32 s15, 9
	s_cbranch_scc0 .LBB159_3777
; %bb.3759:
	global_load_b128 v[42:45], v[40:41], off
	s_mov_b32 s0, 0
	s_wait_loadcnt 0x0
	v_cvt_f32_f64_e32 v12, v[42:43]
	v_cvt_f32_f64_e32 v13, v[44:45]
	s_branch .LBB159_3778
.LBB159_3760:
	s_cmp_gt_i32 s15, 22
	s_cbranch_scc0 .LBB159_3770
; %bb.3761:
	s_cmp_lt_i32 s15, 24
	s_cbranch_scc1 .LBB159_3772
; %bb.3762:
	s_cmp_gt_i32 s15, 24
	s_cbranch_scc0 .LBB159_3789
; %bb.3763:
	global_load_u8 v1, v[40:41], off
	s_mov_b32 s6, exec_lo
	s_wait_loadcnt 0x0
	v_cmpx_lt_i16_e32 0x7f, v1
	s_xor_b32 s6, exec_lo, s6
	s_cbranch_execnz .LBB159_4317
; %bb.3764:
	s_or_saveexec_b32 s6, s6
	v_mov_b32_e32 v12, 0x7f800001
	s_xor_b32 exec_lo, exec_lo, s6
	s_cbranch_execnz .LBB159_4320
.LBB159_3765:
	s_or_b32 exec_lo, exec_lo, s6
	s_and_saveexec_b32 s6, s1
	s_cbranch_execz .LBB159_3767
.LBB159_3766:
	v_and_b32_e32 v3, 0xffff, v1
	s_delay_alu instid0(VALU_DEP_1) | instskip(SKIP_1) | instid1(VALU_DEP_2)
	v_dual_lshlrev_b32 v1, 24, v1 :: v_dual_bitop2_b32 v5, 3, v3 bitop3:0x40
	v_bfe_u32 v11, v3, 2, 5
	v_and_b32_e32 v1, 0x80000000, v1
	s_delay_alu instid0(VALU_DEP_3) | instskip(NEXT) | instid1(VALU_DEP_3)
	v_clz_i32_u32_e32 v7, v5
	v_cmp_eq_u32_e32 vcc_lo, 0, v11
	s_delay_alu instid0(VALU_DEP_2) | instskip(NEXT) | instid1(VALU_DEP_1)
	v_min_u32_e32 v7, 32, v7
	v_subrev_nc_u32_e32 v9, 29, v7
	v_sub_nc_u32_e32 v7, 30, v7
	s_delay_alu instid0(VALU_DEP_2) | instskip(NEXT) | instid1(VALU_DEP_2)
	v_lshlrev_b32_e32 v3, v9, v3
	v_cndmask_b32_e32 v7, v11, v7, vcc_lo
	s_delay_alu instid0(VALU_DEP_2) | instskip(NEXT) | instid1(VALU_DEP_1)
	v_and_b32_e32 v3, 3, v3
	v_cndmask_b32_e32 v3, v5, v3, vcc_lo
	s_delay_alu instid0(VALU_DEP_3) | instskip(NEXT) | instid1(VALU_DEP_2)
	v_lshl_add_u32 v5, v7, 23, 0x37800000
	v_lshlrev_b32_e32 v3, 21, v3
	s_delay_alu instid0(VALU_DEP_1)
	v_or3_b32 v12, v1, v5, v3
.LBB159_3767:
	s_or_b32 exec_lo, exec_lo, s6
	s_mov_b32 s1, 0
	s_branch .LBB159_3790
.LBB159_3768:
	s_mov_b32 s0, -1
                                        ; implicit-def: $vgpr13
	s_branch .LBB159_3809
.LBB159_3769:
	s_mov_b32 s0, -1
                                        ; implicit-def: $vgpr13
	s_branch .LBB159_3784
.LBB159_3770:
	s_mov_b32 s1, -1
                                        ; implicit-def: $vgpr12
	s_branch .LBB159_3796
.LBB159_3771:
	s_mov_b32 s0, -1
                                        ; implicit-def: $vgpr13
	s_branch .LBB159_3781
.LBB159_3772:
	s_mov_b32 s1, -1
                                        ; implicit-def: $vgpr12
	s_branch .LBB159_3793
.LBB159_3773:
	s_mov_b32 s6, -1
	s_mov_b32 s8, exec_lo
	v_cmpx_eq_u16_e32 0x80, v1
; %bb.3774:
	s_xor_b32 s6, exec_lo, -1
; %bb.3775:
	s_or_b32 exec_lo, exec_lo, s8
	s_delay_alu instid0(SALU_CYCLE_1)
	s_and_b32 s6, s6, exec_lo
	s_or_saveexec_b32 s7, s7
	v_mov_b32_e32 v12, 0x7f800001
	s_xor_b32 exec_lo, exec_lo, s7
	s_cbranch_execz .LBB159_3744
.LBB159_3776:
	v_cmp_ne_u16_e32 vcc_lo, 0, v1
	v_mov_b32_e32 v12, 0
	s_and_not1_b32 s6, s6, exec_lo
	s_and_b32 s8, vcc_lo, exec_lo
	s_delay_alu instid0(SALU_CYCLE_1)
	s_or_b32 s6, s6, s8
	s_or_b32 exec_lo, exec_lo, s7
	s_and_saveexec_b32 s7, s6
	s_cbranch_execnz .LBB159_3745
	s_branch .LBB159_3746
.LBB159_3777:
	s_mov_b32 s0, -1
                                        ; implicit-def: $vgpr13
.LBB159_3778:
	s_delay_alu instid0(SALU_CYCLE_1)
	s_and_not1_b32 vcc_lo, exec_lo, s0
	s_cbranch_vccnz .LBB159_3780
; %bb.3779:
	global_load_b64 v[12:13], v[40:41], off
.LBB159_3780:
	s_mov_b32 s0, 0
.LBB159_3781:
	s_delay_alu instid0(SALU_CYCLE_1)
	s_and_not1_b32 vcc_lo, exec_lo, s0
	s_cbranch_vccnz .LBB159_3783
; %bb.3782:
	global_load_b32 v1, v[40:41], off
	s_wait_loadcnt 0x0
	v_lshrrev_b32_e32 v3, 16, v1
	v_cvt_f32_f16_e32 v12, v1
	s_delay_alu instid0(VALU_DEP_2)
	v_cvt_f32_f16_e32 v13, v3
.LBB159_3783:
	s_mov_b32 s0, 0
.LBB159_3784:
	s_delay_alu instid0(SALU_CYCLE_1)
	s_and_not1_b32 vcc_lo, exec_lo, s0
	s_cbranch_vccnz .LBB159_3808
; %bb.3785:
	s_cmp_lt_i32 s15, 6
	s_cbranch_scc1 .LBB159_3788
; %bb.3786:
	s_cmp_gt_i32 s15, 6
	s_cbranch_scc0 .LBB159_3801
; %bb.3787:
	s_wait_loadcnt 0x0
	global_load_b64 v[12:13], v[40:41], off
	s_mov_b32 s0, 0
	s_wait_loadcnt 0x0
	v_cvt_f32_f64_e32 v12, v[12:13]
	s_branch .LBB159_3802
.LBB159_3788:
	s_mov_b32 s0, -1
                                        ; implicit-def: $vgpr12
	s_branch .LBB159_3805
.LBB159_3789:
	s_mov_b32 s1, -1
                                        ; implicit-def: $vgpr12
.LBB159_3790:
	s_delay_alu instid0(SALU_CYCLE_1)
	s_and_b32 vcc_lo, exec_lo, s1
	s_cbranch_vccz .LBB159_3792
; %bb.3791:
	global_load_u8 v1, v[40:41], off
	s_wait_loadcnt 0x0
	v_lshlrev_b32_e32 v1, 24, v1
	s_delay_alu instid0(VALU_DEP_1) | instskip(NEXT) | instid1(VALU_DEP_1)
	v_and_b32_e32 v3, 0x7f000000, v1
	v_clz_i32_u32_e32 v5, v3
	v_add_nc_u32_e32 v9, 0x1000000, v3
	v_cmp_ne_u32_e32 vcc_lo, 0, v3
	s_delay_alu instid0(VALU_DEP_3) | instskip(NEXT) | instid1(VALU_DEP_1)
	v_min_u32_e32 v5, 32, v5
	v_sub_nc_u32_e64 v5, v5, 4 clamp
	s_delay_alu instid0(VALU_DEP_1) | instskip(NEXT) | instid1(VALU_DEP_1)
	v_dual_lshlrev_b32 v7, v5, v3 :: v_dual_lshlrev_b32 v5, 23, v5
	v_lshrrev_b32_e32 v7, 4, v7
	s_delay_alu instid0(VALU_DEP_1) | instskip(SKIP_1) | instid1(VALU_DEP_2)
	v_sub_nc_u32_e32 v5, v7, v5
	v_ashrrev_i32_e32 v7, 8, v9
	v_add_nc_u32_e32 v5, 0x3c000000, v5
	s_delay_alu instid0(VALU_DEP_1) | instskip(NEXT) | instid1(VALU_DEP_1)
	v_and_or_b32 v5, 0x7f800000, v7, v5
	v_cndmask_b32_e32 v3, 0, v5, vcc_lo
	s_delay_alu instid0(VALU_DEP_1)
	v_and_or_b32 v12, 0x80000000, v1, v3
.LBB159_3792:
	s_mov_b32 s1, 0
.LBB159_3793:
	s_delay_alu instid0(SALU_CYCLE_1)
	s_and_not1_b32 vcc_lo, exec_lo, s1
	s_cbranch_vccnz .LBB159_3795
; %bb.3794:
	global_load_u8 v1, v[40:41], off
	s_wait_loadcnt 0x0
	v_lshlrev_b32_e32 v3, 25, v1
	v_lshlrev_b16 v1, 8, v1
	s_delay_alu instid0(VALU_DEP_1) | instskip(SKIP_1) | instid1(VALU_DEP_2)
	v_and_or_b32 v7, 0x7f00, v1, 0.5
	v_bfe_i32 v1, v1, 0, 16
	v_add_f32_e32 v7, -0.5, v7
	v_lshrrev_b32_e32 v5, 4, v3
	v_cmp_gt_u32_e32 vcc_lo, 0x8000000, v3
	s_delay_alu instid0(VALU_DEP_2) | instskip(NEXT) | instid1(VALU_DEP_1)
	v_or_b32_e32 v5, 0x70000000, v5
	v_mul_f32_e32 v5, 0x7800000, v5
	s_delay_alu instid0(VALU_DEP_1) | instskip(NEXT) | instid1(VALU_DEP_1)
	v_cndmask_b32_e32 v3, v5, v7, vcc_lo
	v_and_or_b32 v12, 0x80000000, v1, v3
.LBB159_3795:
	s_mov_b32 s1, 0
	s_mov_b32 s6, -1
.LBB159_3796:
	s_and_not1_b32 vcc_lo, exec_lo, s1
	s_mov_b32 s1, 0
	s_cbranch_vccnz .LBB159_3820
; %bb.3797:
	s_cmp_gt_i32 s15, 14
	s_cbranch_scc0 .LBB159_3800
; %bb.3798:
	s_cmp_eq_u32 s15, 15
	s_cbranch_scc0 .LBB159_3816
; %bb.3799:
	global_load_u16 v1, v[40:41], off
	s_mov_b32 s0, 0
	s_mov_b32 s6, -1
	s_wait_loadcnt 0x0
	v_lshlrev_b32_e32 v12, 16, v1
	s_branch .LBB159_3818
.LBB159_3800:
	s_mov_b32 s1, -1
	s_branch .LBB159_3817
.LBB159_3801:
	s_mov_b32 s0, -1
                                        ; implicit-def: $vgpr12
.LBB159_3802:
	s_delay_alu instid0(SALU_CYCLE_1)
	s_and_not1_b32 vcc_lo, exec_lo, s0
	s_cbranch_vccnz .LBB159_3804
; %bb.3803:
	s_wait_loadcnt 0x0
	global_load_b32 v12, v[40:41], off
.LBB159_3804:
	s_mov_b32 s0, 0
.LBB159_3805:
	s_delay_alu instid0(SALU_CYCLE_1)
	s_and_not1_b32 vcc_lo, exec_lo, s0
	s_cbranch_vccnz .LBB159_3807
; %bb.3806:
	global_load_u16 v1, v[40:41], off
	s_wait_loadcnt 0x0
	v_cvt_f32_f16_e32 v12, v1
.LBB159_3807:
	s_wait_loadcnt 0x0
	v_mov_b32_e32 v13, 0
.LBB159_3808:
	s_mov_b32 s0, 0
.LBB159_3809:
	s_delay_alu instid0(SALU_CYCLE_1)
	s_and_not1_b32 vcc_lo, exec_lo, s0
	s_cbranch_vccnz .LBB159_3836
; %bb.3810:
	s_cmp_lt_i32 s15, 2
	s_cbranch_scc1 .LBB159_3814
; %bb.3811:
	s_cmp_lt_i32 s15, 3
	s_cbranch_scc1 .LBB159_3815
; %bb.3812:
	s_cmp_gt_i32 s15, 3
	s_cbranch_scc0 .LBB159_3822
; %bb.3813:
	s_wait_loadcnt 0x0
	global_load_b64 v[12:13], v[40:41], off
	s_mov_b32 s0, 0
	s_wait_loadcnt 0x0
	v_xor_b32_e32 v1, v12, v13
	v_cls_i32_e32 v3, v13
	s_delay_alu instid0(VALU_DEP_2) | instskip(NEXT) | instid1(VALU_DEP_1)
	v_ashrrev_i32_e32 v1, 31, v1
	v_add_nc_u32_e32 v1, 32, v1
	s_delay_alu instid0(VALU_DEP_1) | instskip(NEXT) | instid1(VALU_DEP_1)
	v_add_min_u32_e64 v1, v3, -1, v1
	v_lshlrev_b64_e32 v[12:13], v1, v[12:13]
	v_sub_nc_u32_e32 v1, 32, v1
	s_delay_alu instid0(VALU_DEP_2) | instskip(NEXT) | instid1(VALU_DEP_1)
	v_min_u32_e32 v3, 1, v12
	v_or_b32_e32 v3, v13, v3
	s_delay_alu instid0(VALU_DEP_1) | instskip(NEXT) | instid1(VALU_DEP_1)
	v_cvt_f32_i32_e32 v3, v3
	v_ldexp_f32 v12, v3, v1
	s_branch .LBB159_3823
.LBB159_3814:
	s_mov_b32 s0, -1
                                        ; implicit-def: $vgpr12
	s_branch .LBB159_3829
.LBB159_3815:
	s_mov_b32 s0, -1
                                        ; implicit-def: $vgpr12
	s_branch .LBB159_3826
.LBB159_3816:
	s_mov_b32 s0, -1
.LBB159_3817:
                                        ; implicit-def: $vgpr12
.LBB159_3818:
	s_and_b32 vcc_lo, exec_lo, s1
	s_mov_b32 s1, 0
	s_cbranch_vccz .LBB159_3820
; %bb.3819:
	s_cmp_lg_u32 s15, 11
	s_mov_b32 s1, -1
	s_cselect_b32 s0, -1, 0
.LBB159_3820:
	v_mov_b32_e32 v13, 0
	s_and_b32 vcc_lo, exec_lo, s0
	s_cbranch_vccz .LBB159_3751
.LBB159_3821:
	s_or_b32 s14, s14, exec_lo
	s_trap 2
	s_cbranch_execz .LBB159_3752
	s_branch .LBB159_3753
.LBB159_3822:
	s_mov_b32 s0, -1
                                        ; implicit-def: $vgpr12
.LBB159_3823:
	s_delay_alu instid0(SALU_CYCLE_1)
	s_and_not1_b32 vcc_lo, exec_lo, s0
	s_cbranch_vccnz .LBB159_3825
; %bb.3824:
	global_load_b32 v1, v[40:41], off
	s_wait_loadcnt 0x0
	v_cvt_f32_i32_e32 v12, v1
.LBB159_3825:
	s_mov_b32 s0, 0
.LBB159_3826:
	s_delay_alu instid0(SALU_CYCLE_1)
	s_and_not1_b32 vcc_lo, exec_lo, s0
	s_cbranch_vccnz .LBB159_3828
; %bb.3827:
	global_load_i16 v1, v[40:41], off
	s_wait_loadcnt 0x0
	v_cvt_f32_i32_e32 v12, v1
.LBB159_3828:
	s_mov_b32 s0, 0
.LBB159_3829:
	s_delay_alu instid0(SALU_CYCLE_1)
	s_and_not1_b32 vcc_lo, exec_lo, s0
	s_cbranch_vccnz .LBB159_3835
; %bb.3830:
	s_cmp_gt_i32 s15, 0
	s_mov_b32 s0, 0
	s_cbranch_scc0 .LBB159_3832
; %bb.3831:
	global_load_i8 v1, v[40:41], off
	s_wait_loadcnt 0x0
	v_cvt_f32_i32_e32 v12, v1
	s_branch .LBB159_3833
.LBB159_3832:
	s_mov_b32 s0, -1
                                        ; implicit-def: $vgpr12
.LBB159_3833:
	s_delay_alu instid0(SALU_CYCLE_1)
	s_and_not1_b32 vcc_lo, exec_lo, s0
	s_cbranch_vccnz .LBB159_3835
; %bb.3834:
	global_load_u8 v1, v[40:41], off
	s_wait_loadcnt 0x0
	v_cvt_f32_ubyte0_e32 v12, v1
.LBB159_3835:
	s_wait_loadcnt 0x0
	v_mov_b32_e32 v13, 0
.LBB159_3836:
	s_mov_b32 s6, -1
.LBB159_3837:
	s_delay_alu instid0(SALU_CYCLE_1)
	s_and_not1_b32 vcc_lo, exec_lo, s6
	s_cbranch_vccnz .LBB159_4271
; %bb.3838:
	s_clause 0x1
	s_load_b128 s[8:11], s[2:3], 0x1e8
	s_load_b32 s0, s[2:3], 0x1f8
	s_wait_kmcnt 0x0
	s_mov_b32 s2, s11
	s_mov_b32 s3, s10
	v_mov_b64_e32 v[46:47], s[8:9]
	v_mov_b64_e32 v[40:41], s[2:3]
	;; [unrolled: 1-line block ×3, first 2 shown]
	s_and_b32 s1, s0, 0xff
	s_delay_alu instid0(SALU_CYCLE_1) | instskip(NEXT) | instid1(VALU_DEP_3)
	s_cmp_lt_i32 s1, 11
	v_pk_mul_f32 v[10:11], v[10:11], v[46:47] op_sel:[0,1] op_sel_hi:[0,0]
	s_delay_alu instid0(VALU_DEP_3)
	v_pk_mul_f32 v[40:41], v[14:15], v[40:41]
	s_wait_loadcnt 0x0
	v_mov_b32_e32 v44, v21
	v_pk_mul_f32 v[14:15], v[14:15], v[42:43]
	v_pk_fma_f32 v[42:43], v[8:9], v[46:47], v[10:11] op_sel_hi:[0,1,1]
	v_add_f32_e32 v40, v40, v41
	v_mov_b32_e32 v45, v20
	v_pk_fma_f32 v[8:9], v[8:9], v[46:47], v[10:11] op_sel_hi:[0,1,1] neg_lo:[0,0,1] neg_hi:[0,0,1]
	v_pk_add_f32 v[14:15], v[14:15], v[14:15] op_sel:[0,1] op_sel_hi:[0,1] neg_lo:[0,1] neg_hi:[0,1]
	v_mov_b32_e32 v9, v43
	s_delay_alu instid0(VALU_DEP_4) | instskip(NEXT) | instid1(VALU_DEP_1)
	v_pk_mul_f32 v[40:41], v[40:41], v[44:45] op_sel_hi:[0,1]
	v_pk_fma_f32 v[44:45], v[14:15], v[20:21], v[40:41]
	v_mov_b32_e32 v7, 0
	v_pk_fma_f32 v[10:11], v[14:15], v[20:21], v[40:41] neg_lo:[0,0,1] neg_hi:[0,0,1]
	s_delay_alu instid0(VALU_DEP_3) | instskip(NEXT) | instid1(VALU_DEP_3)
	v_mov_b32_e32 v11, v45
	v_add_nc_u64_e32 v[6:7], s[4:5], v[6:7]
	s_delay_alu instid0(VALU_DEP_2)
	v_pk_add_f32 v[8:9], v[8:9], v[10:11]
	s_cbranch_scc1 .LBB159_3916
; %bb.3839:
	s_and_b32 s6, 0xffff, s1
	s_mov_b32 s16, -1
	s_mov_b32 s7, 0
	s_cmp_gt_i32 s6, 25
	s_mov_b32 s15, 0
	s_mov_b32 s0, 0
	s_cbranch_scc0 .LBB159_3872
; %bb.3840:
	s_cmp_gt_i32 s6, 28
	s_cbranch_scc0 .LBB159_3855
; %bb.3841:
	s_cmp_gt_i32 s6, 43
	;; [unrolled: 3-line block ×3, first 2 shown]
	s_cbranch_scc0 .LBB159_3845
; %bb.3843:
	s_mov_b32 s0, -1
	s_mov_b32 s16, 0
	s_cmp_eq_u32 s6, 46
	s_cbranch_scc0 .LBB159_3845
; %bb.3844:
	v_dual_lshrrev_b32 v1, 16, v8 :: v_dual_lshrrev_b32 v3, 16, v9
	v_cmp_o_f32_e32 vcc_lo, v8, v8
	s_mov_b32 s0, 0
	s_mov_b32 s15, -1
	s_delay_alu instid0(VALU_DEP_2) | instskip(NEXT) | instid1(VALU_DEP_1)
	v_and_b32_e32 v1, 1, v1
	v_add3_u32 v1, v8, v1, 0x7fff
	s_delay_alu instid0(VALU_DEP_1) | instskip(NEXT) | instid1(VALU_DEP_1)
	v_dual_lshrrev_b32 v1, 16, v1 :: v_dual_bitop2_b32 v3, 1, v3 bitop3:0x40
	v_add3_u32 v3, v9, v3, 0x7fff
	s_delay_alu instid0(VALU_DEP_2) | instskip(NEXT) | instid1(VALU_DEP_2)
	v_cndmask_b32_e32 v1, 0x7fc0, v1, vcc_lo
	v_and_b32_e32 v3, 0xffff0000, v3
	v_cmp_o_f32_e32 vcc_lo, v9, v9
	s_delay_alu instid0(VALU_DEP_2) | instskip(NEXT) | instid1(VALU_DEP_1)
	v_cndmask_b32_e32 v3, 0x7fc00000, v3, vcc_lo
	v_or_b32_e32 v1, v3, v1
	global_store_b32 v[6:7], v1, off
.LBB159_3845:
	s_and_b32 vcc_lo, exec_lo, s16
	s_cbranch_vccz .LBB159_3850
; %bb.3846:
	s_cmp_eq_u32 s6, 44
	s_mov_b32 s0, -1
	s_cbranch_scc0 .LBB159_3850
; %bb.3847:
	v_bfe_u32 v3, v8, 23, 8
	s_wait_xcnt 0x0
	v_mov_b32_e32 v1, 0xff
	s_mov_b32 s15, exec_lo
	s_delay_alu instid0(VALU_DEP_2)
	v_cmpx_ne_u32_e32 0xff, v3
	s_cbranch_execz .LBB159_3849
; %bb.3848:
	v_and_b32_e32 v1, 0x400000, v8
	v_and_or_b32 v3, 0x3fffff, v8, v3
	s_delay_alu instid0(VALU_DEP_2) | instskip(NEXT) | instid1(VALU_DEP_2)
	v_cmp_ne_u32_e32 vcc_lo, 0, v1
	v_cmp_ne_u32_e64 s0, 0, v3
	v_lshrrev_b32_e32 v1, 23, v8
	s_and_b32 s0, vcc_lo, s0
	s_delay_alu instid0(SALU_CYCLE_1) | instskip(NEXT) | instid1(VALU_DEP_1)
	v_cndmask_b32_e64 v3, 0, 1, s0
	v_add_nc_u32_e32 v1, v1, v3
.LBB159_3849:
	s_or_b32 exec_lo, exec_lo, s15
	s_mov_b32 s0, 0
	s_mov_b32 s15, -1
	global_store_b8 v[6:7], v1, off
.LBB159_3850:
	s_mov_b32 s16, 0
.LBB159_3851:
	s_delay_alu instid0(SALU_CYCLE_1)
	s_and_b32 vcc_lo, exec_lo, s16
	s_cbranch_vccz .LBB159_3854
; %bb.3852:
	s_cmp_eq_u32 s6, 29
	s_mov_b32 s0, -1
	s_cbranch_scc0 .LBB159_3854
; %bb.3853:
	s_wait_xcnt 0x0
	v_trunc_f32_e32 v1, v8
	s_mov_b32 s0, 0
	s_mov_b32 s15, -1
	s_delay_alu instid0(VALU_DEP_1) | instskip(NEXT) | instid1(VALU_DEP_1)
	v_mul_f32_e32 v3, 0x2f800000, v1
	v_floor_f32_e32 v3, v3
	s_delay_alu instid0(VALU_DEP_1) | instskip(SKIP_1) | instid1(VALU_DEP_2)
	v_fmamk_f32 v1, v3, 0xcf800000, v1
	v_cvt_u32_f32_e32 v11, v3
	v_cvt_u32_f32_e32 v10, v1
	global_store_b64 v[6:7], v[10:11], off
.LBB159_3854:
	s_mov_b32 s16, 0
.LBB159_3855:
	s_delay_alu instid0(SALU_CYCLE_1)
	s_and_b32 vcc_lo, exec_lo, s16
	s_cbranch_vccz .LBB159_3871
; %bb.3856:
	s_cmp_lt_i32 s6, 27
	s_mov_b32 s15, -1
	s_cbranch_scc1 .LBB159_3862
; %bb.3857:
	s_wait_xcnt 0x0
	v_cvt_u32_f32_e32 v1, v8
	s_cmp_gt_i32 s6, 27
	s_cbranch_scc0 .LBB159_3859
; %bb.3858:
	s_mov_b32 s15, 0
	global_store_b32 v[6:7], v1, off
.LBB159_3859:
	s_and_not1_b32 vcc_lo, exec_lo, s15
	s_cbranch_vccnz .LBB159_3861
; %bb.3860:
	global_store_b16 v[6:7], v1, off
.LBB159_3861:
	s_mov_b32 s15, 0
.LBB159_3862:
	s_delay_alu instid0(SALU_CYCLE_1)
	s_and_not1_b32 vcc_lo, exec_lo, s15
	s_cbranch_vccnz .LBB159_3870
; %bb.3863:
	s_wait_xcnt 0x0
	v_and_b32_e32 v1, 0x7fffffff, v8
	v_mov_b32_e32 v3, 0x80
	s_mov_b32 s15, exec_lo
	s_delay_alu instid0(VALU_DEP_2)
	v_cmpx_gt_u32_e32 0x43800000, v1
	s_cbranch_execz .LBB159_3869
; %bb.3864:
	v_cmp_lt_u32_e32 vcc_lo, 0x3bffffff, v1
	s_mov_b32 s16, 0
                                        ; implicit-def: $vgpr1
	s_and_saveexec_b32 s17, vcc_lo
	s_delay_alu instid0(SALU_CYCLE_1)
	s_xor_b32 s17, exec_lo, s17
	s_cbranch_execnz .LBB159_4322
; %bb.3865:
	s_and_not1_saveexec_b32 s17, s17
	s_cbranch_execnz .LBB159_4323
.LBB159_3866:
	s_or_b32 exec_lo, exec_lo, s17
	v_mov_b32_e32 v3, 0
	s_and_saveexec_b32 s17, s16
.LBB159_3867:
	v_lshrrev_b32_e32 v3, 24, v8
	s_delay_alu instid0(VALU_DEP_1)
	v_and_or_b32 v3, 0x80, v3, v1
.LBB159_3868:
	s_or_b32 exec_lo, exec_lo, s17
.LBB159_3869:
	s_delay_alu instid0(SALU_CYCLE_1)
	s_or_b32 exec_lo, exec_lo, s15
	global_store_b8 v[6:7], v3, off
.LBB159_3870:
	s_mov_b32 s15, -1
.LBB159_3871:
	s_mov_b32 s16, 0
.LBB159_3872:
	s_delay_alu instid0(SALU_CYCLE_1)
	s_and_b32 vcc_lo, exec_lo, s16
	s_cbranch_vccz .LBB159_3912
; %bb.3873:
	s_cmp_gt_i32 s6, 22
	s_mov_b32 s7, -1
	s_cbranch_scc0 .LBB159_3905
; %bb.3874:
	s_cmp_lt_i32 s6, 24
	s_cbranch_scc1 .LBB159_3894
; %bb.3875:
	s_cmp_gt_i32 s6, 24
	s_cbranch_scc0 .LBB159_3883
; %bb.3876:
	s_wait_xcnt 0x0
	v_and_b32_e32 v1, 0x7fffffff, v8
	v_mov_b32_e32 v3, 0x80
	s_mov_b32 s7, exec_lo
	s_delay_alu instid0(VALU_DEP_2)
	v_cmpx_gt_u32_e32 0x47800000, v1
	s_cbranch_execz .LBB159_3882
; %bb.3877:
	v_cmp_lt_u32_e32 vcc_lo, 0x37ffffff, v1
	s_mov_b32 s15, 0
                                        ; implicit-def: $vgpr1
	s_and_saveexec_b32 s16, vcc_lo
	s_delay_alu instid0(SALU_CYCLE_1)
	s_xor_b32 s16, exec_lo, s16
	s_cbranch_execnz .LBB159_4327
; %bb.3878:
	s_and_not1_saveexec_b32 s16, s16
	s_cbranch_execnz .LBB159_4328
.LBB159_3879:
	s_or_b32 exec_lo, exec_lo, s16
	v_mov_b32_e32 v3, 0
	s_and_saveexec_b32 s16, s15
.LBB159_3880:
	v_lshrrev_b32_e32 v3, 24, v8
	s_delay_alu instid0(VALU_DEP_1)
	v_and_or_b32 v3, 0x80, v3, v1
.LBB159_3881:
	s_or_b32 exec_lo, exec_lo, s16
.LBB159_3882:
	s_delay_alu instid0(SALU_CYCLE_1)
	s_or_b32 exec_lo, exec_lo, s7
	s_mov_b32 s7, 0
	global_store_b8 v[6:7], v3, off
.LBB159_3883:
	s_and_b32 vcc_lo, exec_lo, s7
	s_cbranch_vccz .LBB159_3893
; %bb.3884:
	s_wait_xcnt 0x0
	v_and_b32_e32 v3, 0x7fffffff, v8
	s_mov_b32 s7, exec_lo
                                        ; implicit-def: $vgpr1
	s_delay_alu instid0(VALU_DEP_1)
	v_cmpx_gt_u32_e32 0x43f00000, v3
	s_xor_b32 s7, exec_lo, s7
	s_cbranch_execz .LBB159_3890
; %bb.3885:
	s_mov_b32 s15, exec_lo
                                        ; implicit-def: $vgpr1
	v_cmpx_lt_u32_e32 0x3c7fffff, v3
	s_xor_b32 s15, exec_lo, s15
; %bb.3886:
	v_bfe_u32 v1, v8, 20, 1
	s_delay_alu instid0(VALU_DEP_1) | instskip(NEXT) | instid1(VALU_DEP_1)
	v_add3_u32 v1, v8, v1, 0x407ffff
	v_and_b32_e32 v3, 0xff00000, v1
	v_lshrrev_b32_e32 v1, 20, v1
	s_delay_alu instid0(VALU_DEP_2) | instskip(NEXT) | instid1(VALU_DEP_2)
	v_cmp_ne_u32_e32 vcc_lo, 0x7f00000, v3
	v_cndmask_b32_e32 v1, 0x7e, v1, vcc_lo
; %bb.3887:
	s_and_not1_saveexec_b32 s15, s15
; %bb.3888:
	v_add_f32_e64 v1, 0x46800000, |v8|
; %bb.3889:
	s_or_b32 exec_lo, exec_lo, s15
                                        ; implicit-def: $vgpr3
.LBB159_3890:
	s_and_not1_saveexec_b32 s7, s7
; %bb.3891:
	v_mov_b32_e32 v1, 0x7f
	v_cmp_lt_u32_e32 vcc_lo, 0x7f800000, v3
	s_delay_alu instid0(VALU_DEP_2)
	v_cndmask_b32_e32 v1, 0x7e, v1, vcc_lo
; %bb.3892:
	s_or_b32 exec_lo, exec_lo, s7
	v_lshrrev_b32_e32 v3, 24, v8
	s_delay_alu instid0(VALU_DEP_1)
	v_and_or_b32 v1, 0x80, v3, v1
	global_store_b8 v[6:7], v1, off
.LBB159_3893:
	s_mov_b32 s7, 0
.LBB159_3894:
	s_delay_alu instid0(SALU_CYCLE_1)
	s_and_not1_b32 vcc_lo, exec_lo, s7
	s_cbranch_vccnz .LBB159_3904
; %bb.3895:
	s_wait_xcnt 0x0
	v_and_b32_e32 v3, 0x7fffffff, v8
	s_mov_b32 s7, exec_lo
                                        ; implicit-def: $vgpr1
	s_delay_alu instid0(VALU_DEP_1)
	v_cmpx_gt_u32_e32 0x47800000, v3
	s_xor_b32 s7, exec_lo, s7
	s_cbranch_execz .LBB159_3901
; %bb.3896:
	s_mov_b32 s15, exec_lo
                                        ; implicit-def: $vgpr1
	v_cmpx_lt_u32_e32 0x387fffff, v3
	s_xor_b32 s15, exec_lo, s15
; %bb.3897:
	v_bfe_u32 v1, v8, 21, 1
	s_delay_alu instid0(VALU_DEP_1) | instskip(NEXT) | instid1(VALU_DEP_1)
	v_add3_u32 v1, v8, v1, 0x80fffff
	v_lshrrev_b32_e32 v1, 21, v1
; %bb.3898:
	s_and_not1_saveexec_b32 s15, s15
; %bb.3899:
	v_add_f32_e64 v1, 0x43000000, |v8|
; %bb.3900:
	s_or_b32 exec_lo, exec_lo, s15
                                        ; implicit-def: $vgpr3
.LBB159_3901:
	s_and_not1_saveexec_b32 s7, s7
; %bb.3902:
	v_mov_b32_e32 v1, 0x7f
	v_cmp_lt_u32_e32 vcc_lo, 0x7f800000, v3
	s_delay_alu instid0(VALU_DEP_2)
	v_cndmask_b32_e32 v1, 0x7c, v1, vcc_lo
; %bb.3903:
	s_or_b32 exec_lo, exec_lo, s7
	v_lshrrev_b32_e32 v3, 24, v8
	s_delay_alu instid0(VALU_DEP_1)
	v_and_or_b32 v1, 0x80, v3, v1
	global_store_b8 v[6:7], v1, off
.LBB159_3904:
	s_mov_b32 s7, 0
	s_mov_b32 s15, -1
.LBB159_3905:
	s_and_not1_b32 vcc_lo, exec_lo, s7
	s_mov_b32 s7, 0
	s_cbranch_vccnz .LBB159_3912
; %bb.3906:
	s_cmp_gt_i32 s6, 14
	s_mov_b32 s7, -1
	s_cbranch_scc0 .LBB159_3910
; %bb.3907:
	s_cmp_eq_u32 s6, 15
	s_mov_b32 s0, -1
	s_cbranch_scc0 .LBB159_3909
; %bb.3908:
	s_wait_xcnt 0x0
	v_bfe_u32 v1, v8, 16, 1
	v_cmp_o_f32_e32 vcc_lo, v8, v8
	s_mov_b32 s0, 0
	s_mov_b32 s15, -1
	s_delay_alu instid0(VALU_DEP_2) | instskip(NEXT) | instid1(VALU_DEP_1)
	v_add3_u32 v1, v8, v1, 0x7fff
	v_lshrrev_b32_e32 v1, 16, v1
	s_delay_alu instid0(VALU_DEP_1)
	v_cndmask_b32_e32 v1, 0x7fc0, v1, vcc_lo
	global_store_b16 v[6:7], v1, off
.LBB159_3909:
	s_mov_b32 s7, 0
.LBB159_3910:
	s_delay_alu instid0(SALU_CYCLE_1)
	s_and_b32 vcc_lo, exec_lo, s7
	s_mov_b32 s7, 0
	s_cbranch_vccz .LBB159_3912
; %bb.3911:
	s_cmp_lg_u32 s6, 11
	s_mov_b32 s7, -1
	s_cselect_b32 s0, -1, 0
.LBB159_3912:
	s_delay_alu instid0(SALU_CYCLE_1)
	s_and_b32 vcc_lo, exec_lo, s0
	s_cbranch_vccnz .LBB159_4321
; %bb.3913:
	s_and_not1_b32 vcc_lo, exec_lo, s7
	s_cbranch_vccnz .LBB159_3915
.LBB159_3914:
	v_cmp_neq_f32_e32 vcc_lo, 0, v8
	v_cmp_neq_f32_e64 s0, 0, v9
	s_mov_b32 s15, -1
	s_or_b32 s0, vcc_lo, s0
	s_wait_xcnt 0x0
	v_cndmask_b32_e64 v1, 0, 1, s0
	global_store_b8 v[6:7], v1, off
.LBB159_3915:
	s_mov_b32 s0, 0
	s_branch .LBB159_3917
.LBB159_3916:
	s_mov_b32 s0, -1
	s_mov_b32 s15, 0
.LBB159_3917:
	s_and_b32 vcc_lo, exec_lo, s0
	s_cbranch_vccz .LBB159_3956
; %bb.3918:
	s_and_b32 s0, 0xffff, s1
	s_mov_b32 s6, -1
	s_cmp_lt_i32 s0, 5
	s_cbranch_scc1 .LBB159_3939
; %bb.3919:
	s_cmp_lt_i32 s0, 8
	s_cbranch_scc1 .LBB159_3929
; %bb.3920:
	;; [unrolled: 3-line block ×3, first 2 shown]
	s_cmp_gt_i32 s0, 9
	s_cbranch_scc0 .LBB159_3923
; %bb.3922:
	v_cvt_f64_f32_e32 v[40:41], v8
	v_cvt_f64_f32_e32 v[42:43], v9
	s_mov_b32 s6, 0
	global_store_b128 v[6:7], v[40:43], off
.LBB159_3923:
	s_and_not1_b32 vcc_lo, exec_lo, s6
	s_cbranch_vccnz .LBB159_3925
; %bb.3924:
	global_store_b64 v[6:7], v[8:9], off
.LBB159_3925:
	s_mov_b32 s6, 0
.LBB159_3926:
	s_delay_alu instid0(SALU_CYCLE_1)
	s_and_not1_b32 vcc_lo, exec_lo, s6
	s_cbranch_vccnz .LBB159_3928
; %bb.3927:
	s_wait_xcnt 0x0
	v_cvt_f16_f32_e32 v1, v9
	v_cvt_f16_f32_e32 v3, v8
	s_delay_alu instid0(VALU_DEP_2) | instskip(NEXT) | instid1(VALU_DEP_2)
	v_lshlrev_b32_e32 v1, 16, v1
	v_and_b32_e32 v3, 0xffff, v3
	s_delay_alu instid0(VALU_DEP_1)
	v_or_b32_e32 v1, v1, v3
	global_store_b32 v[6:7], v1, off
.LBB159_3928:
	s_mov_b32 s6, 0
.LBB159_3929:
	s_delay_alu instid0(SALU_CYCLE_1)
	s_and_not1_b32 vcc_lo, exec_lo, s6
	s_cbranch_vccnz .LBB159_3938
; %bb.3930:
	s_cmp_lt_i32 s0, 6
	s_mov_b32 s6, -1
	s_cbranch_scc1 .LBB159_3936
; %bb.3931:
	s_cmp_gt_i32 s0, 6
	s_cbranch_scc0 .LBB159_3933
; %bb.3932:
	s_wait_xcnt 0x0
	v_cvt_f64_f32_e32 v[10:11], v8
	s_mov_b32 s6, 0
	global_store_b64 v[6:7], v[10:11], off
.LBB159_3933:
	s_and_not1_b32 vcc_lo, exec_lo, s6
	s_cbranch_vccnz .LBB159_3935
; %bb.3934:
	global_store_b32 v[6:7], v8, off
.LBB159_3935:
	s_mov_b32 s6, 0
.LBB159_3936:
	s_delay_alu instid0(SALU_CYCLE_1)
	s_and_not1_b32 vcc_lo, exec_lo, s6
	s_cbranch_vccnz .LBB159_3938
; %bb.3937:
	s_wait_xcnt 0x0
	v_cvt_f16_f32_e32 v1, v8
	global_store_b16 v[6:7], v1, off
.LBB159_3938:
	s_mov_b32 s6, 0
.LBB159_3939:
	s_delay_alu instid0(SALU_CYCLE_1)
	s_and_not1_b32 vcc_lo, exec_lo, s6
	s_cbranch_vccnz .LBB159_3955
; %bb.3940:
	s_cmp_lt_i32 s0, 2
	s_mov_b32 s6, -1
	s_cbranch_scc1 .LBB159_3950
; %bb.3941:
	s_cmp_lt_i32 s0, 3
	s_cbranch_scc1 .LBB159_3947
; %bb.3942:
	s_cmp_gt_i32 s0, 3
	s_cbranch_scc0 .LBB159_3944
; %bb.3943:
	s_wait_xcnt 0x0
	v_trunc_f32_e32 v1, v8
	s_mov_b32 s6, 0
	s_delay_alu instid0(VALU_DEP_1) | instskip(SKIP_1) | instid1(VALU_DEP_2)
	v_mul_f32_e64 v3, 0x2f800000, |v1|
	v_ashrrev_i32_e32 v10, 31, v1
	v_floor_f32_e32 v3, v3
	s_delay_alu instid0(VALU_DEP_1) | instskip(SKIP_1) | instid1(VALU_DEP_4)
	v_fma_f32 v5, 0xcf800000, v3, |v1|
	v_cvt_u32_f32_e32 v1, v3
	v_mov_b32_e32 v11, v10
	s_delay_alu instid0(VALU_DEP_3) | instskip(NEXT) | instid1(VALU_DEP_3)
	v_cvt_u32_f32_e32 v3, v5
	v_xor_b32_e32 v15, v1, v10
	s_delay_alu instid0(VALU_DEP_2) | instskip(NEXT) | instid1(VALU_DEP_1)
	v_xor_b32_e32 v14, v3, v10
	v_sub_nc_u64_e32 v[10:11], v[14:15], v[10:11]
	global_store_b64 v[6:7], v[10:11], off
.LBB159_3944:
	s_and_not1_b32 vcc_lo, exec_lo, s6
	s_cbranch_vccnz .LBB159_3946
; %bb.3945:
	s_wait_xcnt 0x0
	v_cvt_i32_f32_e32 v1, v8
	global_store_b32 v[6:7], v1, off
.LBB159_3946:
	s_mov_b32 s6, 0
.LBB159_3947:
	s_delay_alu instid0(SALU_CYCLE_1)
	s_and_not1_b32 vcc_lo, exec_lo, s6
	s_cbranch_vccnz .LBB159_3949
; %bb.3948:
	s_wait_xcnt 0x0
	v_cvt_i32_f32_e32 v1, v8
	global_store_b16 v[6:7], v1, off
.LBB159_3949:
	s_mov_b32 s6, 0
.LBB159_3950:
	s_delay_alu instid0(SALU_CYCLE_1)
	s_and_not1_b32 vcc_lo, exec_lo, s6
	s_cbranch_vccnz .LBB159_3955
; %bb.3951:
	s_cmp_gt_i32 s0, 0
	s_mov_b32 s0, -1
	s_cbranch_scc0 .LBB159_3953
; %bb.3952:
	s_wait_xcnt 0x0
	v_cvt_i32_f32_e32 v1, v8
	s_mov_b32 s0, 0
	global_store_b8 v[6:7], v1, off
.LBB159_3953:
	s_and_not1_b32 vcc_lo, exec_lo, s0
	s_cbranch_vccnz .LBB159_3955
; %bb.3954:
	s_wait_xcnt 0x0
	v_trunc_f32_e32 v1, v8
	s_delay_alu instid0(VALU_DEP_1) | instskip(NEXT) | instid1(VALU_DEP_1)
	v_mul_f32_e64 v3, 0x2f800000, |v1|
	v_floor_f32_e32 v3, v3
	s_delay_alu instid0(VALU_DEP_1) | instskip(SKIP_1) | instid1(VALU_DEP_2)
	v_fma_f32 v3, 0xcf800000, v3, |v1|
	v_ashrrev_i32_e32 v1, 31, v1
	v_cvt_u32_f32_e32 v3, v3
	s_delay_alu instid0(VALU_DEP_1) | instskip(NEXT) | instid1(VALU_DEP_1)
	v_xor_b32_e32 v3, v3, v1
	v_sub_nc_u32_e32 v1, v3, v1
	global_store_b8 v[6:7], v1, off
.LBB159_3955:
	s_mov_b32 s15, -1
.LBB159_3956:
	s_delay_alu instid0(SALU_CYCLE_1)
	s_and_not1_b32 vcc_lo, exec_lo, s15
	s_cbranch_vccnz .LBB159_4271
; %bb.3957:
	s_wait_xcnt 0x0
	v_mov_b64_e32 v[6:7], s[2:3]
	v_mov_b64_e32 v[8:9], s[10:11]
	s_mov_b32 s6, s9
	s_mov_b32 s7, s8
	v_dual_mov_b32 v10, v31 :: v_dual_mov_b32 v11, v30
	v_mov_b64_e32 v[14:15], s[6:7]
	s_delay_alu instid0(VALU_DEP_4) | instskip(NEXT) | instid1(VALU_DEP_4)
	v_pk_mul_f32 v[6:7], v[26:27], v[6:7]
	v_pk_mul_f32 v[8:9], v[26:27], v[8:9]
	v_mov_b64_e32 v[20:21], s[8:9]
	s_and_b32 s15, 0xffff, s1
	s_delay_alu instid0(VALU_DEP_3) | instskip(SKIP_3) | instid1(VALU_DEP_3)
	v_dual_mov_b32 v5, 0 :: v_dual_add_f32 v6, v6, v7
	v_pk_mul_f32 v[14:15], v[22:23], v[14:15] op_sel_hi:[0,1]
	v_pk_add_f32 v[8:9], v[8:9], v[8:9] op_sel:[0,1] op_sel_hi:[0,1] neg_lo:[0,1] neg_hi:[0,1]
	s_cmp_lt_i32 s15, 11
	v_add_nc_u64_e32 v[4:5], s[4:5], v[4:5]
	v_pk_mul_f32 v[6:7], v[6:7], v[10:11] op_sel_hi:[0,1]
	v_pk_fma_f32 v[10:11], v[18:19], v[20:21], v[14:15] op_sel_hi:[0,1,1]
	v_pk_fma_f32 v[14:15], v[18:19], v[20:21], v[14:15] op_sel_hi:[0,1,1] neg_lo:[0,0,1] neg_hi:[0,0,1]
	s_delay_alu instid0(VALU_DEP_3) | instskip(SKIP_1) | instid1(VALU_DEP_2)
	v_pk_fma_f32 v[22:23], v[8:9], v[30:31], v[6:7]
	v_pk_fma_f32 v[6:7], v[8:9], v[30:31], v[6:7] neg_lo:[0,0,1] neg_hi:[0,0,1]
	v_dual_mov_b32 v15, v11 :: v_dual_mov_b32 v7, v23
	s_delay_alu instid0(VALU_DEP_1)
	v_pk_add_f32 v[6:7], v[14:15], v[6:7]
	s_cbranch_scc1 .LBB159_4035
; %bb.3958:
	s_mov_b32 s18, -1
	s_mov_b32 s16, 0
	s_cmp_gt_i32 s15, 25
	s_mov_b32 s17, 0
	s_mov_b32 s0, 0
	s_cbranch_scc0 .LBB159_3991
; %bb.3959:
	s_cmp_gt_i32 s15, 28
	s_cbranch_scc0 .LBB159_3974
; %bb.3960:
	s_cmp_gt_i32 s15, 43
	;; [unrolled: 3-line block ×3, first 2 shown]
	s_cbranch_scc0 .LBB159_3964
; %bb.3962:
	s_mov_b32 s0, -1
	s_mov_b32 s18, 0
	s_cmp_eq_u32 s15, 46
	s_cbranch_scc0 .LBB159_3964
; %bb.3963:
	v_dual_lshrrev_b32 v1, 16, v6 :: v_dual_lshrrev_b32 v3, 16, v7
	v_cmp_o_f32_e32 vcc_lo, v6, v6
	s_mov_b32 s0, 0
	s_mov_b32 s17, -1
	s_delay_alu instid0(VALU_DEP_2) | instskip(NEXT) | instid1(VALU_DEP_1)
	v_and_b32_e32 v1, 1, v1
	v_add3_u32 v1, v6, v1, 0x7fff
	s_delay_alu instid0(VALU_DEP_1) | instskip(NEXT) | instid1(VALU_DEP_1)
	v_dual_lshrrev_b32 v1, 16, v1 :: v_dual_bitop2_b32 v3, 1, v3 bitop3:0x40
	v_add3_u32 v3, v7, v3, 0x7fff
	s_delay_alu instid0(VALU_DEP_2) | instskip(NEXT) | instid1(VALU_DEP_2)
	v_cndmask_b32_e32 v1, 0x7fc0, v1, vcc_lo
	v_and_b32_e32 v3, 0xffff0000, v3
	v_cmp_o_f32_e32 vcc_lo, v7, v7
	s_delay_alu instid0(VALU_DEP_2) | instskip(NEXT) | instid1(VALU_DEP_1)
	v_cndmask_b32_e32 v3, 0x7fc00000, v3, vcc_lo
	v_or_b32_e32 v1, v3, v1
	global_store_b32 v[4:5], v1, off
.LBB159_3964:
	s_and_b32 vcc_lo, exec_lo, s18
	s_cbranch_vccz .LBB159_3969
; %bb.3965:
	s_cmp_eq_u32 s15, 44
	s_mov_b32 s0, -1
	s_cbranch_scc0 .LBB159_3969
; %bb.3966:
	v_bfe_u32 v3, v6, 23, 8
	s_wait_xcnt 0x0
	v_mov_b32_e32 v1, 0xff
	s_mov_b32 s17, exec_lo
	s_delay_alu instid0(VALU_DEP_2)
	v_cmpx_ne_u32_e32 0xff, v3
	s_cbranch_execz .LBB159_3968
; %bb.3967:
	v_and_b32_e32 v1, 0x400000, v6
	v_and_or_b32 v3, 0x3fffff, v6, v3
	s_delay_alu instid0(VALU_DEP_2) | instskip(NEXT) | instid1(VALU_DEP_2)
	v_cmp_ne_u32_e32 vcc_lo, 0, v1
	v_cmp_ne_u32_e64 s0, 0, v3
	v_lshrrev_b32_e32 v1, 23, v6
	s_and_b32 s0, vcc_lo, s0
	s_delay_alu instid0(SALU_CYCLE_1) | instskip(NEXT) | instid1(VALU_DEP_1)
	v_cndmask_b32_e64 v3, 0, 1, s0
	v_add_nc_u32_e32 v1, v1, v3
.LBB159_3968:
	s_or_b32 exec_lo, exec_lo, s17
	s_mov_b32 s0, 0
	s_mov_b32 s17, -1
	global_store_b8 v[4:5], v1, off
.LBB159_3969:
	s_mov_b32 s18, 0
.LBB159_3970:
	s_delay_alu instid0(SALU_CYCLE_1)
	s_and_b32 vcc_lo, exec_lo, s18
	s_cbranch_vccz .LBB159_3973
; %bb.3971:
	s_cmp_eq_u32 s15, 29
	s_mov_b32 s0, -1
	s_cbranch_scc0 .LBB159_3973
; %bb.3972:
	s_wait_xcnt 0x0
	v_trunc_f32_e32 v1, v6
	s_mov_b32 s0, 0
	s_mov_b32 s17, -1
	s_delay_alu instid0(VALU_DEP_1) | instskip(NEXT) | instid1(VALU_DEP_1)
	v_mul_f32_e32 v3, 0x2f800000, v1
	v_floor_f32_e32 v3, v3
	s_delay_alu instid0(VALU_DEP_1) | instskip(SKIP_1) | instid1(VALU_DEP_2)
	v_fmamk_f32 v1, v3, 0xcf800000, v1
	v_cvt_u32_f32_e32 v9, v3
	v_cvt_u32_f32_e32 v8, v1
	global_store_b64 v[4:5], v[8:9], off
.LBB159_3973:
	s_mov_b32 s18, 0
.LBB159_3974:
	s_delay_alu instid0(SALU_CYCLE_1)
	s_and_b32 vcc_lo, exec_lo, s18
	s_cbranch_vccz .LBB159_3990
; %bb.3975:
	s_cmp_lt_i32 s15, 27
	s_mov_b32 s17, -1
	s_cbranch_scc1 .LBB159_3981
; %bb.3976:
	s_cmp_gt_i32 s15, 27
	s_cbranch_scc0 .LBB159_3978
; %bb.3977:
	s_wait_xcnt 0x0
	v_cvt_u32_f32_e32 v1, v6
	s_mov_b32 s17, 0
	global_store_b32 v[4:5], v1, off
.LBB159_3978:
	s_and_not1_b32 vcc_lo, exec_lo, s17
	s_cbranch_vccnz .LBB159_3980
; %bb.3979:
	s_wait_xcnt 0x0
	v_cvt_u32_f32_e32 v1, v6
	global_store_b16 v[4:5], v1, off
.LBB159_3980:
	s_mov_b32 s17, 0
.LBB159_3981:
	s_delay_alu instid0(SALU_CYCLE_1)
	s_and_not1_b32 vcc_lo, exec_lo, s17
	s_cbranch_vccnz .LBB159_3989
; %bb.3982:
	s_wait_xcnt 0x0
	v_and_b32_e32 v1, 0x7fffffff, v6
	v_mov_b32_e32 v3, 0x80
	s_mov_b32 s17, exec_lo
	s_delay_alu instid0(VALU_DEP_2)
	v_cmpx_gt_u32_e32 0x43800000, v1
	s_cbranch_execz .LBB159_3988
; %bb.3983:
	v_cmp_lt_u32_e32 vcc_lo, 0x3bffffff, v1
	s_mov_b32 s18, 0
                                        ; implicit-def: $vgpr1
	s_and_saveexec_b32 s19, vcc_lo
	s_delay_alu instid0(SALU_CYCLE_1)
	s_xor_b32 s19, exec_lo, s19
	s_cbranch_execnz .LBB159_4331
; %bb.3984:
	s_and_not1_saveexec_b32 s19, s19
	s_cbranch_execnz .LBB159_4332
.LBB159_3985:
	s_or_b32 exec_lo, exec_lo, s19
	v_mov_b32_e32 v3, 0
	s_and_saveexec_b32 s19, s18
.LBB159_3986:
	v_lshrrev_b32_e32 v3, 24, v6
	s_delay_alu instid0(VALU_DEP_1)
	v_and_or_b32 v3, 0x80, v3, v1
.LBB159_3987:
	s_or_b32 exec_lo, exec_lo, s19
.LBB159_3988:
	s_delay_alu instid0(SALU_CYCLE_1)
	s_or_b32 exec_lo, exec_lo, s17
	global_store_b8 v[4:5], v3, off
.LBB159_3989:
	s_mov_b32 s17, -1
.LBB159_3990:
	s_mov_b32 s18, 0
.LBB159_3991:
	s_delay_alu instid0(SALU_CYCLE_1)
	s_and_b32 vcc_lo, exec_lo, s18
	s_cbranch_vccz .LBB159_4031
; %bb.3992:
	s_cmp_gt_i32 s15, 22
	s_mov_b32 s16, -1
	s_cbranch_scc0 .LBB159_4024
; %bb.3993:
	s_cmp_lt_i32 s15, 24
	s_cbranch_scc1 .LBB159_4013
; %bb.3994:
	s_cmp_gt_i32 s15, 24
	s_cbranch_scc0 .LBB159_4002
; %bb.3995:
	s_wait_xcnt 0x0
	v_and_b32_e32 v1, 0x7fffffff, v6
	v_mov_b32_e32 v3, 0x80
	s_mov_b32 s16, exec_lo
	s_delay_alu instid0(VALU_DEP_2)
	v_cmpx_gt_u32_e32 0x47800000, v1
	s_cbranch_execz .LBB159_4001
; %bb.3996:
	v_cmp_lt_u32_e32 vcc_lo, 0x37ffffff, v1
	s_mov_b32 s17, 0
                                        ; implicit-def: $vgpr1
	s_and_saveexec_b32 s18, vcc_lo
	s_delay_alu instid0(SALU_CYCLE_1)
	s_xor_b32 s18, exec_lo, s18
	s_cbranch_execnz .LBB159_4336
; %bb.3997:
	s_and_not1_saveexec_b32 s18, s18
	s_cbranch_execnz .LBB159_4337
.LBB159_3998:
	s_or_b32 exec_lo, exec_lo, s18
	v_mov_b32_e32 v3, 0
	s_and_saveexec_b32 s18, s17
.LBB159_3999:
	v_lshrrev_b32_e32 v3, 24, v6
	s_delay_alu instid0(VALU_DEP_1)
	v_and_or_b32 v3, 0x80, v3, v1
.LBB159_4000:
	s_or_b32 exec_lo, exec_lo, s18
.LBB159_4001:
	s_delay_alu instid0(SALU_CYCLE_1)
	s_or_b32 exec_lo, exec_lo, s16
	s_mov_b32 s16, 0
	global_store_b8 v[4:5], v3, off
.LBB159_4002:
	s_and_b32 vcc_lo, exec_lo, s16
	s_cbranch_vccz .LBB159_4012
; %bb.4003:
	s_wait_xcnt 0x0
	v_and_b32_e32 v3, 0x7fffffff, v6
	s_mov_b32 s16, exec_lo
                                        ; implicit-def: $vgpr1
	s_delay_alu instid0(VALU_DEP_1)
	v_cmpx_gt_u32_e32 0x43f00000, v3
	s_xor_b32 s16, exec_lo, s16
	s_cbranch_execz .LBB159_4009
; %bb.4004:
	s_mov_b32 s17, exec_lo
                                        ; implicit-def: $vgpr1
	v_cmpx_lt_u32_e32 0x3c7fffff, v3
	s_xor_b32 s17, exec_lo, s17
; %bb.4005:
	v_bfe_u32 v1, v6, 20, 1
	s_delay_alu instid0(VALU_DEP_1) | instskip(NEXT) | instid1(VALU_DEP_1)
	v_add3_u32 v1, v6, v1, 0x407ffff
	v_and_b32_e32 v3, 0xff00000, v1
	v_lshrrev_b32_e32 v1, 20, v1
	s_delay_alu instid0(VALU_DEP_2) | instskip(NEXT) | instid1(VALU_DEP_2)
	v_cmp_ne_u32_e32 vcc_lo, 0x7f00000, v3
	v_cndmask_b32_e32 v1, 0x7e, v1, vcc_lo
; %bb.4006:
	s_and_not1_saveexec_b32 s17, s17
; %bb.4007:
	v_add_f32_e64 v1, 0x46800000, |v6|
; %bb.4008:
	s_or_b32 exec_lo, exec_lo, s17
                                        ; implicit-def: $vgpr3
.LBB159_4009:
	s_and_not1_saveexec_b32 s16, s16
; %bb.4010:
	v_mov_b32_e32 v1, 0x7f
	v_cmp_lt_u32_e32 vcc_lo, 0x7f800000, v3
	s_delay_alu instid0(VALU_DEP_2)
	v_cndmask_b32_e32 v1, 0x7e, v1, vcc_lo
; %bb.4011:
	s_or_b32 exec_lo, exec_lo, s16
	v_lshrrev_b32_e32 v3, 24, v6
	s_delay_alu instid0(VALU_DEP_1)
	v_and_or_b32 v1, 0x80, v3, v1
	global_store_b8 v[4:5], v1, off
.LBB159_4012:
	s_mov_b32 s16, 0
.LBB159_4013:
	s_delay_alu instid0(SALU_CYCLE_1)
	s_and_not1_b32 vcc_lo, exec_lo, s16
	s_cbranch_vccnz .LBB159_4023
; %bb.4014:
	s_wait_xcnt 0x0
	v_and_b32_e32 v3, 0x7fffffff, v6
	s_mov_b32 s16, exec_lo
                                        ; implicit-def: $vgpr1
	s_delay_alu instid0(VALU_DEP_1)
	v_cmpx_gt_u32_e32 0x47800000, v3
	s_xor_b32 s16, exec_lo, s16
	s_cbranch_execz .LBB159_4020
; %bb.4015:
	s_mov_b32 s17, exec_lo
                                        ; implicit-def: $vgpr1
	v_cmpx_lt_u32_e32 0x387fffff, v3
	s_xor_b32 s17, exec_lo, s17
; %bb.4016:
	v_bfe_u32 v1, v6, 21, 1
	s_delay_alu instid0(VALU_DEP_1) | instskip(NEXT) | instid1(VALU_DEP_1)
	v_add3_u32 v1, v6, v1, 0x80fffff
	v_lshrrev_b32_e32 v1, 21, v1
; %bb.4017:
	s_and_not1_saveexec_b32 s17, s17
; %bb.4018:
	v_add_f32_e64 v1, 0x43000000, |v6|
; %bb.4019:
	s_or_b32 exec_lo, exec_lo, s17
                                        ; implicit-def: $vgpr3
.LBB159_4020:
	s_and_not1_saveexec_b32 s16, s16
; %bb.4021:
	v_mov_b32_e32 v1, 0x7f
	v_cmp_lt_u32_e32 vcc_lo, 0x7f800000, v3
	s_delay_alu instid0(VALU_DEP_2)
	v_cndmask_b32_e32 v1, 0x7c, v1, vcc_lo
; %bb.4022:
	s_or_b32 exec_lo, exec_lo, s16
	v_lshrrev_b32_e32 v3, 24, v6
	s_delay_alu instid0(VALU_DEP_1)
	v_and_or_b32 v1, 0x80, v3, v1
	global_store_b8 v[4:5], v1, off
.LBB159_4023:
	s_mov_b32 s16, 0
	s_mov_b32 s17, -1
.LBB159_4024:
	s_and_not1_b32 vcc_lo, exec_lo, s16
	s_mov_b32 s16, 0
	s_cbranch_vccnz .LBB159_4031
; %bb.4025:
	s_cmp_gt_i32 s15, 14
	s_mov_b32 s16, -1
	s_cbranch_scc0 .LBB159_4029
; %bb.4026:
	s_cmp_eq_u32 s15, 15
	s_mov_b32 s0, -1
	s_cbranch_scc0 .LBB159_4028
; %bb.4027:
	s_wait_xcnt 0x0
	v_bfe_u32 v1, v6, 16, 1
	v_cmp_o_f32_e32 vcc_lo, v6, v6
	s_mov_b32 s0, 0
	s_mov_b32 s17, -1
	s_delay_alu instid0(VALU_DEP_2) | instskip(NEXT) | instid1(VALU_DEP_1)
	v_add3_u32 v1, v6, v1, 0x7fff
	v_lshrrev_b32_e32 v1, 16, v1
	s_delay_alu instid0(VALU_DEP_1)
	v_cndmask_b32_e32 v1, 0x7fc0, v1, vcc_lo
	global_store_b16 v[4:5], v1, off
.LBB159_4028:
	s_mov_b32 s16, 0
.LBB159_4029:
	s_delay_alu instid0(SALU_CYCLE_1)
	s_and_b32 vcc_lo, exec_lo, s16
	s_mov_b32 s16, 0
	s_cbranch_vccz .LBB159_4031
; %bb.4030:
	s_cmp_lg_u32 s15, 11
	s_mov_b32 s16, -1
	s_cselect_b32 s0, -1, 0
.LBB159_4031:
	s_delay_alu instid0(SALU_CYCLE_1)
	s_and_b32 vcc_lo, exec_lo, s0
	s_cbranch_vccnz .LBB159_4326
; %bb.4032:
	s_and_not1_b32 vcc_lo, exec_lo, s16
	s_cbranch_vccnz .LBB159_4034
.LBB159_4033:
	v_cmp_neq_f32_e32 vcc_lo, 0, v6
	v_cmp_neq_f32_e64 s0, 0, v7
	s_mov_b32 s17, -1
	s_or_b32 s0, vcc_lo, s0
	s_wait_xcnt 0x0
	v_cndmask_b32_e64 v1, 0, 1, s0
	global_store_b8 v[4:5], v1, off
.LBB159_4034:
	s_mov_b32 s0, 0
	s_branch .LBB159_4036
.LBB159_4035:
	s_mov_b32 s0, -1
	s_mov_b32 s17, 0
.LBB159_4036:
	s_and_b32 vcc_lo, exec_lo, s0
	s_cbranch_vccz .LBB159_4075
; %bb.4037:
	s_cmp_lt_i32 s15, 5
	s_mov_b32 s0, -1
	s_cbranch_scc1 .LBB159_4058
; %bb.4038:
	s_cmp_lt_i32 s15, 8
	s_cbranch_scc1 .LBB159_4048
; %bb.4039:
	s_cmp_lt_i32 s15, 9
	s_cbranch_scc1 .LBB159_4045
; %bb.4040:
	s_cmp_gt_i32 s15, 9
	s_cbranch_scc0 .LBB159_4042
; %bb.4041:
	s_wait_xcnt 0x0
	v_cvt_f64_f32_e32 v[8:9], v6
	v_cvt_f64_f32_e32 v[10:11], v7
	s_mov_b32 s0, 0
	global_store_b128 v[4:5], v[8:11], off
.LBB159_4042:
	s_and_not1_b32 vcc_lo, exec_lo, s0
	s_cbranch_vccnz .LBB159_4044
; %bb.4043:
	global_store_b64 v[4:5], v[6:7], off
.LBB159_4044:
	s_mov_b32 s0, 0
.LBB159_4045:
	s_delay_alu instid0(SALU_CYCLE_1)
	s_and_not1_b32 vcc_lo, exec_lo, s0
	s_cbranch_vccnz .LBB159_4047
; %bb.4046:
	s_wait_xcnt 0x0
	v_cvt_f16_f32_e32 v1, v7
	v_cvt_f16_f32_e32 v3, v6
	s_delay_alu instid0(VALU_DEP_2) | instskip(NEXT) | instid1(VALU_DEP_2)
	v_lshlrev_b32_e32 v1, 16, v1
	v_and_b32_e32 v3, 0xffff, v3
	s_delay_alu instid0(VALU_DEP_1)
	v_or_b32_e32 v1, v1, v3
	global_store_b32 v[4:5], v1, off
.LBB159_4047:
	s_mov_b32 s0, 0
.LBB159_4048:
	s_delay_alu instid0(SALU_CYCLE_1)
	s_and_not1_b32 vcc_lo, exec_lo, s0
	s_cbranch_vccnz .LBB159_4057
; %bb.4049:
	s_cmp_lt_i32 s15, 6
	s_mov_b32 s0, -1
	s_cbranch_scc1 .LBB159_4055
; %bb.4050:
	s_cmp_gt_i32 s15, 6
	s_cbranch_scc0 .LBB159_4052
; %bb.4051:
	s_wait_xcnt 0x0
	v_cvt_f64_f32_e32 v[8:9], v6
	s_mov_b32 s0, 0
	global_store_b64 v[4:5], v[8:9], off
.LBB159_4052:
	s_and_not1_b32 vcc_lo, exec_lo, s0
	s_cbranch_vccnz .LBB159_4054
; %bb.4053:
	global_store_b32 v[4:5], v6, off
.LBB159_4054:
	s_mov_b32 s0, 0
.LBB159_4055:
	s_delay_alu instid0(SALU_CYCLE_1)
	s_and_not1_b32 vcc_lo, exec_lo, s0
	s_cbranch_vccnz .LBB159_4057
; %bb.4056:
	s_wait_xcnt 0x0
	v_cvt_f16_f32_e32 v1, v6
	global_store_b16 v[4:5], v1, off
.LBB159_4057:
	s_mov_b32 s0, 0
.LBB159_4058:
	s_delay_alu instid0(SALU_CYCLE_1)
	s_and_not1_b32 vcc_lo, exec_lo, s0
	s_cbranch_vccnz .LBB159_4074
; %bb.4059:
	s_cmp_lt_i32 s15, 2
	s_mov_b32 s0, -1
	s_cbranch_scc1 .LBB159_4069
; %bb.4060:
	s_cmp_lt_i32 s15, 3
	s_cbranch_scc1 .LBB159_4066
; %bb.4061:
	s_cmp_gt_i32 s15, 3
	s_cbranch_scc0 .LBB159_4063
; %bb.4062:
	s_wait_xcnt 0x0
	v_trunc_f32_e32 v1, v6
	s_mov_b32 s0, 0
	s_delay_alu instid0(VALU_DEP_1) | instskip(SKIP_1) | instid1(VALU_DEP_2)
	v_mul_f32_e64 v3, 0x2f800000, |v1|
	v_ashrrev_i32_e32 v8, 31, v1
	v_floor_f32_e32 v3, v3
	s_delay_alu instid0(VALU_DEP_1) | instskip(SKIP_1) | instid1(VALU_DEP_4)
	v_fma_f32 v7, 0xcf800000, v3, |v1|
	v_cvt_u32_f32_e32 v1, v3
	v_mov_b32_e32 v9, v8
	s_delay_alu instid0(VALU_DEP_3) | instskip(NEXT) | instid1(VALU_DEP_3)
	v_cvt_u32_f32_e32 v3, v7
	v_xor_b32_e32 v11, v1, v8
	s_delay_alu instid0(VALU_DEP_2) | instskip(NEXT) | instid1(VALU_DEP_1)
	v_xor_b32_e32 v10, v3, v8
	v_sub_nc_u64_e32 v[8:9], v[10:11], v[8:9]
	global_store_b64 v[4:5], v[8:9], off
.LBB159_4063:
	s_and_not1_b32 vcc_lo, exec_lo, s0
	s_cbranch_vccnz .LBB159_4065
; %bb.4064:
	s_wait_xcnt 0x0
	v_cvt_i32_f32_e32 v1, v6
	global_store_b32 v[4:5], v1, off
.LBB159_4065:
	s_mov_b32 s0, 0
.LBB159_4066:
	s_delay_alu instid0(SALU_CYCLE_1)
	s_and_not1_b32 vcc_lo, exec_lo, s0
	s_cbranch_vccnz .LBB159_4068
; %bb.4067:
	s_wait_xcnt 0x0
	v_cvt_i32_f32_e32 v1, v6
	global_store_b16 v[4:5], v1, off
.LBB159_4068:
	s_mov_b32 s0, 0
.LBB159_4069:
	s_delay_alu instid0(SALU_CYCLE_1)
	s_and_not1_b32 vcc_lo, exec_lo, s0
	s_cbranch_vccnz .LBB159_4074
; %bb.4070:
	s_cmp_gt_i32 s15, 0
	s_mov_b32 s0, -1
	s_cbranch_scc0 .LBB159_4072
; %bb.4071:
	s_wait_xcnt 0x0
	v_cvt_i32_f32_e32 v1, v6
	s_mov_b32 s0, 0
	global_store_b8 v[4:5], v1, off
.LBB159_4072:
	s_and_not1_b32 vcc_lo, exec_lo, s0
	s_cbranch_vccnz .LBB159_4074
; %bb.4073:
	s_wait_xcnt 0x0
	v_trunc_f32_e32 v1, v6
	s_delay_alu instid0(VALU_DEP_1) | instskip(NEXT) | instid1(VALU_DEP_1)
	v_mul_f32_e64 v3, 0x2f800000, |v1|
	v_floor_f32_e32 v3, v3
	s_delay_alu instid0(VALU_DEP_1) | instskip(SKIP_1) | instid1(VALU_DEP_2)
	v_fma_f32 v3, 0xcf800000, v3, |v1|
	v_ashrrev_i32_e32 v1, 31, v1
	v_cvt_u32_f32_e32 v3, v3
	s_delay_alu instid0(VALU_DEP_1) | instskip(NEXT) | instid1(VALU_DEP_1)
	v_xor_b32_e32 v3, v3, v1
	v_sub_nc_u32_e32 v1, v3, v1
	global_store_b8 v[4:5], v1, off
.LBB159_4074:
	s_mov_b32 s17, -1
.LBB159_4075:
	s_delay_alu instid0(SALU_CYCLE_1)
	s_and_not1_b32 vcc_lo, exec_lo, s17
	s_cbranch_vccnz .LBB159_4271
; %bb.4076:
	s_wait_xcnt 0x0
	v_mov_b64_e32 v[4:5], s[2:3]
	v_mov_b64_e32 v[6:7], s[10:11]
	;; [unrolled: 1-line block ×3, first 2 shown]
	v_dual_mov_b32 v11, v28 :: v_dual_mov_b32 v3, 0
	v_mov_b64_e32 v[14:15], s[8:9]
	s_cmp_lt_i32 s15, 11
	v_pk_mul_f32 v[4:5], v[34:35], v[4:5]
	v_mov_b32_e32 v10, v29
	v_pk_mul_f32 v[6:7], v[34:35], v[6:7]
	v_pk_mul_f32 v[8:9], v[36:37], v[8:9] op_sel_hi:[0,1]
	v_add_nc_u64_e32 v[2:3], s[4:5], v[2:3]
	v_add_f32_e32 v4, v4, v5
	s_delay_alu instid0(VALU_DEP_4) | instskip(NEXT) | instid1(VALU_DEP_2)
	v_pk_add_f32 v[6:7], v[6:7], v[6:7] op_sel:[0,1] op_sel_hi:[0,1] neg_lo:[0,1] neg_hi:[0,1]
	v_pk_mul_f32 v[4:5], v[4:5], v[10:11] op_sel_hi:[0,1]
	v_pk_fma_f32 v[10:11], v[32:33], v[14:15], v[8:9] op_sel_hi:[0,1,1]
	v_pk_fma_f32 v[8:9], v[32:33], v[14:15], v[8:9] op_sel_hi:[0,1,1] neg_lo:[0,0,1] neg_hi:[0,0,1]
	s_delay_alu instid0(VALU_DEP_3) | instskip(SKIP_1) | instid1(VALU_DEP_2)
	v_pk_fma_f32 v[18:19], v[6:7], v[28:29], v[4:5]
	v_pk_fma_f32 v[4:5], v[6:7], v[28:29], v[4:5] neg_lo:[0,0,1] neg_hi:[0,0,1]
	v_dual_mov_b32 v9, v11 :: v_dual_mov_b32 v5, v19
	s_delay_alu instid0(VALU_DEP_1)
	v_pk_add_f32 v[4:5], v[8:9], v[4:5]
	s_cbranch_scc1 .LBB159_4154
; %bb.4077:
	s_mov_b32 s18, -1
	s_mov_b32 s16, 0
	s_cmp_gt_i32 s15, 25
	s_mov_b32 s17, 0
	s_mov_b32 s0, 0
	s_cbranch_scc0 .LBB159_4110
; %bb.4078:
	s_cmp_gt_i32 s15, 28
	s_cbranch_scc0 .LBB159_4093
; %bb.4079:
	s_cmp_gt_i32 s15, 43
	;; [unrolled: 3-line block ×3, first 2 shown]
	s_cbranch_scc0 .LBB159_4083
; %bb.4081:
	s_mov_b32 s0, -1
	s_mov_b32 s18, 0
	s_cmp_eq_u32 s15, 46
	s_cbranch_scc0 .LBB159_4083
; %bb.4082:
	v_dual_lshrrev_b32 v1, 16, v4 :: v_dual_lshrrev_b32 v6, 16, v5
	v_cmp_o_f32_e32 vcc_lo, v4, v4
	s_mov_b32 s0, 0
	s_mov_b32 s17, -1
	s_delay_alu instid0(VALU_DEP_2) | instskip(NEXT) | instid1(VALU_DEP_1)
	v_and_b32_e32 v1, 1, v1
	v_add3_u32 v1, v4, v1, 0x7fff
	s_delay_alu instid0(VALU_DEP_1) | instskip(NEXT) | instid1(VALU_DEP_1)
	v_dual_lshrrev_b32 v1, 16, v1 :: v_dual_bitop2_b32 v6, 1, v6 bitop3:0x40
	v_add3_u32 v6, v5, v6, 0x7fff
	s_delay_alu instid0(VALU_DEP_2) | instskip(NEXT) | instid1(VALU_DEP_2)
	v_cndmask_b32_e32 v1, 0x7fc0, v1, vcc_lo
	v_and_b32_e32 v6, 0xffff0000, v6
	v_cmp_o_f32_e32 vcc_lo, v5, v5
	s_delay_alu instid0(VALU_DEP_2) | instskip(NEXT) | instid1(VALU_DEP_1)
	v_cndmask_b32_e32 v6, 0x7fc00000, v6, vcc_lo
	v_or_b32_e32 v1, v6, v1
	global_store_b32 v[2:3], v1, off
.LBB159_4083:
	s_and_b32 vcc_lo, exec_lo, s18
	s_cbranch_vccz .LBB159_4088
; %bb.4084:
	s_cmp_eq_u32 s15, 44
	s_mov_b32 s0, -1
	s_cbranch_scc0 .LBB159_4088
; %bb.4085:
	v_bfe_u32 v6, v4, 23, 8
	s_wait_xcnt 0x0
	v_mov_b32_e32 v1, 0xff
	s_mov_b32 s17, exec_lo
	s_delay_alu instid0(VALU_DEP_2)
	v_cmpx_ne_u32_e32 0xff, v6
	s_cbranch_execz .LBB159_4087
; %bb.4086:
	v_and_b32_e32 v1, 0x400000, v4
	v_and_or_b32 v6, 0x3fffff, v4, v6
	s_delay_alu instid0(VALU_DEP_2) | instskip(NEXT) | instid1(VALU_DEP_2)
	v_cmp_ne_u32_e32 vcc_lo, 0, v1
	v_cmp_ne_u32_e64 s0, 0, v6
	v_lshrrev_b32_e32 v1, 23, v4
	s_and_b32 s0, vcc_lo, s0
	s_delay_alu instid0(SALU_CYCLE_1) | instskip(NEXT) | instid1(VALU_DEP_1)
	v_cndmask_b32_e64 v6, 0, 1, s0
	v_add_nc_u32_e32 v1, v1, v6
.LBB159_4087:
	s_or_b32 exec_lo, exec_lo, s17
	s_mov_b32 s0, 0
	s_mov_b32 s17, -1
	global_store_b8 v[2:3], v1, off
.LBB159_4088:
	s_mov_b32 s18, 0
.LBB159_4089:
	s_delay_alu instid0(SALU_CYCLE_1)
	s_and_b32 vcc_lo, exec_lo, s18
	s_cbranch_vccz .LBB159_4092
; %bb.4090:
	s_cmp_eq_u32 s15, 29
	s_mov_b32 s0, -1
	s_cbranch_scc0 .LBB159_4092
; %bb.4091:
	s_wait_xcnt 0x0
	v_trunc_f32_e32 v1, v4
	s_mov_b32 s0, 0
	s_mov_b32 s17, -1
	s_delay_alu instid0(VALU_DEP_1) | instskip(NEXT) | instid1(VALU_DEP_1)
	v_mul_f32_e32 v6, 0x2f800000, v1
	v_floor_f32_e32 v6, v6
	s_delay_alu instid0(VALU_DEP_1) | instskip(SKIP_1) | instid1(VALU_DEP_2)
	v_fmamk_f32 v1, v6, 0xcf800000, v1
	v_cvt_u32_f32_e32 v7, v6
	v_cvt_u32_f32_e32 v6, v1
	global_store_b64 v[2:3], v[6:7], off
.LBB159_4092:
	s_mov_b32 s18, 0
.LBB159_4093:
	s_delay_alu instid0(SALU_CYCLE_1)
	s_and_b32 vcc_lo, exec_lo, s18
	s_cbranch_vccz .LBB159_4109
; %bb.4094:
	s_cmp_lt_i32 s15, 27
	s_mov_b32 s17, -1
	s_cbranch_scc1 .LBB159_4100
; %bb.4095:
	s_cmp_gt_i32 s15, 27
	s_cbranch_scc0 .LBB159_4097
; %bb.4096:
	s_wait_xcnt 0x0
	v_cvt_u32_f32_e32 v1, v4
	s_mov_b32 s17, 0
	global_store_b32 v[2:3], v1, off
.LBB159_4097:
	s_and_not1_b32 vcc_lo, exec_lo, s17
	s_cbranch_vccnz .LBB159_4099
; %bb.4098:
	s_wait_xcnt 0x0
	v_cvt_u32_f32_e32 v1, v4
	global_store_b16 v[2:3], v1, off
.LBB159_4099:
	s_mov_b32 s17, 0
.LBB159_4100:
	s_delay_alu instid0(SALU_CYCLE_1)
	s_and_not1_b32 vcc_lo, exec_lo, s17
	s_cbranch_vccnz .LBB159_4108
; %bb.4101:
	s_wait_xcnt 0x0
	v_and_b32_e32 v1, 0x7fffffff, v4
	v_mov_b32_e32 v6, 0x80
	s_mov_b32 s17, exec_lo
	s_delay_alu instid0(VALU_DEP_2)
	v_cmpx_gt_u32_e32 0x43800000, v1
	s_cbranch_execz .LBB159_4107
; %bb.4102:
	v_cmp_lt_u32_e32 vcc_lo, 0x3bffffff, v1
	s_mov_b32 s18, 0
                                        ; implicit-def: $vgpr1
	s_and_saveexec_b32 s19, vcc_lo
	s_delay_alu instid0(SALU_CYCLE_1)
	s_xor_b32 s19, exec_lo, s19
	s_cbranch_execnz .LBB159_4340
; %bb.4103:
	s_and_not1_saveexec_b32 s19, s19
	s_cbranch_execnz .LBB159_4341
.LBB159_4104:
	s_or_b32 exec_lo, exec_lo, s19
	v_mov_b32_e32 v6, 0
	s_and_saveexec_b32 s19, s18
.LBB159_4105:
	v_lshrrev_b32_e32 v6, 24, v4
	s_delay_alu instid0(VALU_DEP_1)
	v_and_or_b32 v6, 0x80, v6, v1
.LBB159_4106:
	s_or_b32 exec_lo, exec_lo, s19
.LBB159_4107:
	s_delay_alu instid0(SALU_CYCLE_1)
	s_or_b32 exec_lo, exec_lo, s17
	global_store_b8 v[2:3], v6, off
.LBB159_4108:
	s_mov_b32 s17, -1
.LBB159_4109:
	s_mov_b32 s18, 0
.LBB159_4110:
	s_delay_alu instid0(SALU_CYCLE_1)
	s_and_b32 vcc_lo, exec_lo, s18
	s_cbranch_vccz .LBB159_4150
; %bb.4111:
	s_cmp_gt_i32 s15, 22
	s_mov_b32 s16, -1
	s_cbranch_scc0 .LBB159_4143
; %bb.4112:
	s_cmp_lt_i32 s15, 24
	s_cbranch_scc1 .LBB159_4132
; %bb.4113:
	s_cmp_gt_i32 s15, 24
	s_cbranch_scc0 .LBB159_4121
; %bb.4114:
	s_wait_xcnt 0x0
	v_and_b32_e32 v1, 0x7fffffff, v4
	v_mov_b32_e32 v6, 0x80
	s_mov_b32 s16, exec_lo
	s_delay_alu instid0(VALU_DEP_2)
	v_cmpx_gt_u32_e32 0x47800000, v1
	s_cbranch_execz .LBB159_4120
; %bb.4115:
	v_cmp_lt_u32_e32 vcc_lo, 0x37ffffff, v1
	s_mov_b32 s17, 0
                                        ; implicit-def: $vgpr1
	s_and_saveexec_b32 s18, vcc_lo
	s_delay_alu instid0(SALU_CYCLE_1)
	s_xor_b32 s18, exec_lo, s18
	s_cbranch_execnz .LBB159_4345
; %bb.4116:
	s_and_not1_saveexec_b32 s18, s18
	s_cbranch_execnz .LBB159_4346
.LBB159_4117:
	s_or_b32 exec_lo, exec_lo, s18
	v_mov_b32_e32 v6, 0
	s_and_saveexec_b32 s18, s17
.LBB159_4118:
	v_lshrrev_b32_e32 v6, 24, v4
	s_delay_alu instid0(VALU_DEP_1)
	v_and_or_b32 v6, 0x80, v6, v1
.LBB159_4119:
	s_or_b32 exec_lo, exec_lo, s18
.LBB159_4120:
	s_delay_alu instid0(SALU_CYCLE_1)
	s_or_b32 exec_lo, exec_lo, s16
	s_mov_b32 s16, 0
	global_store_b8 v[2:3], v6, off
.LBB159_4121:
	s_and_b32 vcc_lo, exec_lo, s16
	s_cbranch_vccz .LBB159_4131
; %bb.4122:
	s_wait_xcnt 0x0
	v_and_b32_e32 v6, 0x7fffffff, v4
	s_mov_b32 s16, exec_lo
                                        ; implicit-def: $vgpr1
	s_delay_alu instid0(VALU_DEP_1)
	v_cmpx_gt_u32_e32 0x43f00000, v6
	s_xor_b32 s16, exec_lo, s16
	s_cbranch_execz .LBB159_4128
; %bb.4123:
	s_mov_b32 s17, exec_lo
                                        ; implicit-def: $vgpr1
	v_cmpx_lt_u32_e32 0x3c7fffff, v6
	s_xor_b32 s17, exec_lo, s17
; %bb.4124:
	v_bfe_u32 v1, v4, 20, 1
	s_delay_alu instid0(VALU_DEP_1) | instskip(NEXT) | instid1(VALU_DEP_1)
	v_add3_u32 v1, v4, v1, 0x407ffff
	v_and_b32_e32 v6, 0xff00000, v1
	v_lshrrev_b32_e32 v1, 20, v1
	s_delay_alu instid0(VALU_DEP_2) | instskip(NEXT) | instid1(VALU_DEP_2)
	v_cmp_ne_u32_e32 vcc_lo, 0x7f00000, v6
	v_cndmask_b32_e32 v1, 0x7e, v1, vcc_lo
; %bb.4125:
	s_and_not1_saveexec_b32 s17, s17
; %bb.4126:
	v_add_f32_e64 v1, 0x46800000, |v4|
; %bb.4127:
	s_or_b32 exec_lo, exec_lo, s17
                                        ; implicit-def: $vgpr6
.LBB159_4128:
	s_and_not1_saveexec_b32 s16, s16
; %bb.4129:
	v_mov_b32_e32 v1, 0x7f
	v_cmp_lt_u32_e32 vcc_lo, 0x7f800000, v6
	s_delay_alu instid0(VALU_DEP_2)
	v_cndmask_b32_e32 v1, 0x7e, v1, vcc_lo
; %bb.4130:
	s_or_b32 exec_lo, exec_lo, s16
	v_lshrrev_b32_e32 v6, 24, v4
	s_delay_alu instid0(VALU_DEP_1)
	v_and_or_b32 v1, 0x80, v6, v1
	global_store_b8 v[2:3], v1, off
.LBB159_4131:
	s_mov_b32 s16, 0
.LBB159_4132:
	s_delay_alu instid0(SALU_CYCLE_1)
	s_and_not1_b32 vcc_lo, exec_lo, s16
	s_cbranch_vccnz .LBB159_4142
; %bb.4133:
	s_wait_xcnt 0x0
	v_and_b32_e32 v6, 0x7fffffff, v4
	s_mov_b32 s16, exec_lo
                                        ; implicit-def: $vgpr1
	s_delay_alu instid0(VALU_DEP_1)
	v_cmpx_gt_u32_e32 0x47800000, v6
	s_xor_b32 s16, exec_lo, s16
	s_cbranch_execz .LBB159_4139
; %bb.4134:
	s_mov_b32 s17, exec_lo
                                        ; implicit-def: $vgpr1
	v_cmpx_lt_u32_e32 0x387fffff, v6
	s_xor_b32 s17, exec_lo, s17
; %bb.4135:
	v_bfe_u32 v1, v4, 21, 1
	s_delay_alu instid0(VALU_DEP_1) | instskip(NEXT) | instid1(VALU_DEP_1)
	v_add3_u32 v1, v4, v1, 0x80fffff
	v_lshrrev_b32_e32 v1, 21, v1
; %bb.4136:
	s_and_not1_saveexec_b32 s17, s17
; %bb.4137:
	v_add_f32_e64 v1, 0x43000000, |v4|
; %bb.4138:
	s_or_b32 exec_lo, exec_lo, s17
                                        ; implicit-def: $vgpr6
.LBB159_4139:
	s_and_not1_saveexec_b32 s16, s16
; %bb.4140:
	v_mov_b32_e32 v1, 0x7f
	v_cmp_lt_u32_e32 vcc_lo, 0x7f800000, v6
	s_delay_alu instid0(VALU_DEP_2)
	v_cndmask_b32_e32 v1, 0x7c, v1, vcc_lo
; %bb.4141:
	s_or_b32 exec_lo, exec_lo, s16
	v_lshrrev_b32_e32 v6, 24, v4
	s_delay_alu instid0(VALU_DEP_1)
	v_and_or_b32 v1, 0x80, v6, v1
	global_store_b8 v[2:3], v1, off
.LBB159_4142:
	s_mov_b32 s16, 0
	s_mov_b32 s17, -1
.LBB159_4143:
	s_and_not1_b32 vcc_lo, exec_lo, s16
	s_mov_b32 s16, 0
	s_cbranch_vccnz .LBB159_4150
; %bb.4144:
	s_cmp_gt_i32 s15, 14
	s_mov_b32 s16, -1
	s_cbranch_scc0 .LBB159_4148
; %bb.4145:
	s_cmp_eq_u32 s15, 15
	s_mov_b32 s0, -1
	s_cbranch_scc0 .LBB159_4147
; %bb.4146:
	s_wait_xcnt 0x0
	v_bfe_u32 v1, v4, 16, 1
	v_cmp_o_f32_e32 vcc_lo, v4, v4
	s_mov_b32 s0, 0
	s_mov_b32 s17, -1
	s_delay_alu instid0(VALU_DEP_2) | instskip(NEXT) | instid1(VALU_DEP_1)
	v_add3_u32 v1, v4, v1, 0x7fff
	v_lshrrev_b32_e32 v1, 16, v1
	s_delay_alu instid0(VALU_DEP_1)
	v_cndmask_b32_e32 v1, 0x7fc0, v1, vcc_lo
	global_store_b16 v[2:3], v1, off
.LBB159_4147:
	s_mov_b32 s16, 0
.LBB159_4148:
	s_delay_alu instid0(SALU_CYCLE_1)
	s_and_b32 vcc_lo, exec_lo, s16
	s_mov_b32 s16, 0
	s_cbranch_vccz .LBB159_4150
; %bb.4149:
	s_cmp_lg_u32 s15, 11
	s_mov_b32 s16, -1
	s_cselect_b32 s0, -1, 0
.LBB159_4150:
	s_delay_alu instid0(SALU_CYCLE_1)
	s_and_b32 vcc_lo, exec_lo, s0
	s_cbranch_vccnz .LBB159_4335
; %bb.4151:
	s_and_not1_b32 vcc_lo, exec_lo, s16
	s_cbranch_vccnz .LBB159_4153
.LBB159_4152:
	v_cmp_neq_f32_e32 vcc_lo, 0, v4
	v_cmp_neq_f32_e64 s0, 0, v5
	s_mov_b32 s17, -1
	s_or_b32 s0, vcc_lo, s0
	s_wait_xcnt 0x0
	v_cndmask_b32_e64 v1, 0, 1, s0
	global_store_b8 v[2:3], v1, off
.LBB159_4153:
	s_mov_b32 s0, 0
	s_branch .LBB159_4155
.LBB159_4154:
	s_mov_b32 s0, -1
	s_mov_b32 s17, 0
.LBB159_4155:
	s_and_b32 vcc_lo, exec_lo, s0
	s_cbranch_vccz .LBB159_4194
; %bb.4156:
	s_cmp_lt_i32 s15, 5
	s_mov_b32 s0, -1
	s_cbranch_scc1 .LBB159_4177
; %bb.4157:
	s_cmp_lt_i32 s15, 8
	s_cbranch_scc1 .LBB159_4167
; %bb.4158:
	s_cmp_lt_i32 s15, 9
	s_cbranch_scc1 .LBB159_4164
; %bb.4159:
	s_cmp_gt_i32 s15, 9
	s_cbranch_scc0 .LBB159_4161
; %bb.4160:
	s_wait_xcnt 0x0
	v_cvt_f64_f32_e32 v[6:7], v4
	v_cvt_f64_f32_e32 v[8:9], v5
	s_mov_b32 s0, 0
	global_store_b128 v[2:3], v[6:9], off
.LBB159_4161:
	s_and_not1_b32 vcc_lo, exec_lo, s0
	s_cbranch_vccnz .LBB159_4163
; %bb.4162:
	global_store_b64 v[2:3], v[4:5], off
.LBB159_4163:
	s_mov_b32 s0, 0
.LBB159_4164:
	s_delay_alu instid0(SALU_CYCLE_1)
	s_and_not1_b32 vcc_lo, exec_lo, s0
	s_cbranch_vccnz .LBB159_4166
; %bb.4165:
	s_wait_xcnt 0x0
	v_cvt_f16_f32_e32 v1, v5
	v_cvt_f16_f32_e32 v5, v4
	s_delay_alu instid0(VALU_DEP_2) | instskip(NEXT) | instid1(VALU_DEP_2)
	v_lshlrev_b32_e32 v1, 16, v1
	v_and_b32_e32 v5, 0xffff, v5
	s_delay_alu instid0(VALU_DEP_1)
	v_or_b32_e32 v1, v1, v5
	global_store_b32 v[2:3], v1, off
.LBB159_4166:
	s_mov_b32 s0, 0
.LBB159_4167:
	s_delay_alu instid0(SALU_CYCLE_1)
	s_and_not1_b32 vcc_lo, exec_lo, s0
	s_cbranch_vccnz .LBB159_4176
; %bb.4168:
	s_cmp_lt_i32 s15, 6
	s_mov_b32 s0, -1
	s_cbranch_scc1 .LBB159_4174
; %bb.4169:
	s_cmp_gt_i32 s15, 6
	s_cbranch_scc0 .LBB159_4171
; %bb.4170:
	s_wait_xcnt 0x0
	v_cvt_f64_f32_e32 v[6:7], v4
	s_mov_b32 s0, 0
	global_store_b64 v[2:3], v[6:7], off
.LBB159_4171:
	s_and_not1_b32 vcc_lo, exec_lo, s0
	s_cbranch_vccnz .LBB159_4173
; %bb.4172:
	global_store_b32 v[2:3], v4, off
.LBB159_4173:
	s_mov_b32 s0, 0
.LBB159_4174:
	s_delay_alu instid0(SALU_CYCLE_1)
	s_and_not1_b32 vcc_lo, exec_lo, s0
	s_cbranch_vccnz .LBB159_4176
; %bb.4175:
	s_wait_xcnt 0x0
	v_cvt_f16_f32_e32 v1, v4
	global_store_b16 v[2:3], v1, off
.LBB159_4176:
	s_mov_b32 s0, 0
.LBB159_4177:
	s_delay_alu instid0(SALU_CYCLE_1)
	s_and_not1_b32 vcc_lo, exec_lo, s0
	s_cbranch_vccnz .LBB159_4193
; %bb.4178:
	s_cmp_lt_i32 s15, 2
	s_mov_b32 s0, -1
	s_cbranch_scc1 .LBB159_4188
; %bb.4179:
	s_cmp_lt_i32 s15, 3
	s_cbranch_scc1 .LBB159_4185
; %bb.4180:
	s_cmp_gt_i32 s15, 3
	s_cbranch_scc0 .LBB159_4182
; %bb.4181:
	s_wait_xcnt 0x0
	v_trunc_f32_e32 v1, v4
	s_mov_b32 s0, 0
	s_delay_alu instid0(VALU_DEP_1) | instskip(SKIP_1) | instid1(VALU_DEP_2)
	v_mul_f32_e64 v5, 0x2f800000, |v1|
	v_ashrrev_i32_e32 v6, 31, v1
	v_floor_f32_e32 v5, v5
	s_delay_alu instid0(VALU_DEP_1) | instskip(SKIP_1) | instid1(VALU_DEP_2)
	v_fma_f32 v7, 0xcf800000, v5, |v1|
	v_cvt_u32_f32_e32 v1, v5
	v_cvt_u32_f32_e32 v5, v7
	s_delay_alu instid0(VALU_DEP_2) | instskip(NEXT) | instid1(VALU_DEP_2)
	v_dual_mov_b32 v7, v6 :: v_dual_bitop2_b32 v9, v1, v6 bitop3:0x14
	v_xor_b32_e32 v8, v5, v6
	s_delay_alu instid0(VALU_DEP_1)
	v_sub_nc_u64_e32 v[6:7], v[8:9], v[6:7]
	global_store_b64 v[2:3], v[6:7], off
.LBB159_4182:
	s_and_not1_b32 vcc_lo, exec_lo, s0
	s_cbranch_vccnz .LBB159_4184
; %bb.4183:
	s_wait_xcnt 0x0
	v_cvt_i32_f32_e32 v1, v4
	global_store_b32 v[2:3], v1, off
.LBB159_4184:
	s_mov_b32 s0, 0
.LBB159_4185:
	s_delay_alu instid0(SALU_CYCLE_1)
	s_and_not1_b32 vcc_lo, exec_lo, s0
	s_cbranch_vccnz .LBB159_4187
; %bb.4186:
	s_wait_xcnt 0x0
	v_cvt_i32_f32_e32 v1, v4
	global_store_b16 v[2:3], v1, off
.LBB159_4187:
	s_mov_b32 s0, 0
.LBB159_4188:
	s_delay_alu instid0(SALU_CYCLE_1)
	s_and_not1_b32 vcc_lo, exec_lo, s0
	s_cbranch_vccnz .LBB159_4193
; %bb.4189:
	s_cmp_gt_i32 s15, 0
	s_mov_b32 s0, -1
	s_cbranch_scc0 .LBB159_4191
; %bb.4190:
	s_wait_xcnt 0x0
	v_cvt_i32_f32_e32 v1, v4
	s_mov_b32 s0, 0
	global_store_b8 v[2:3], v1, off
.LBB159_4191:
	s_and_not1_b32 vcc_lo, exec_lo, s0
	s_cbranch_vccnz .LBB159_4193
; %bb.4192:
	s_wait_xcnt 0x0
	v_trunc_f32_e32 v1, v4
	s_delay_alu instid0(VALU_DEP_1) | instskip(NEXT) | instid1(VALU_DEP_1)
	v_mul_f32_e64 v4, 0x2f800000, |v1|
	v_floor_f32_e32 v4, v4
	s_delay_alu instid0(VALU_DEP_1) | instskip(SKIP_1) | instid1(VALU_DEP_2)
	v_fma_f32 v4, 0xcf800000, v4, |v1|
	v_ashrrev_i32_e32 v1, 31, v1
	v_cvt_u32_f32_e32 v4, v4
	s_delay_alu instid0(VALU_DEP_1) | instskip(NEXT) | instid1(VALU_DEP_1)
	v_xor_b32_e32 v4, v4, v1
	v_sub_nc_u32_e32 v1, v4, v1
	global_store_b8 v[2:3], v1, off
.LBB159_4193:
	s_mov_b32 s17, -1
.LBB159_4194:
	s_delay_alu instid0(SALU_CYCLE_1)
	s_and_not1_b32 vcc_lo, exec_lo, s17
	s_cbranch_vccnz .LBB159_4271
; %bb.4195:
	s_wait_xcnt 0x0
	v_mov_b64_e32 v[2:3], s[2:3]
	v_mov_b64_e32 v[4:5], s[10:11]
	;; [unrolled: 1-line block ×3, first 2 shown]
	v_dual_mov_b32 v9, v12 :: v_dual_mov_b32 v1, 0
	v_mov_b64_e32 v[10:11], s[8:9]
	s_cmp_lt_i32 s15, 11
	v_pk_mul_f32 v[2:3], v[16:17], v[2:3]
	v_mov_b32_e32 v8, v13
	v_pk_mul_f32 v[4:5], v[16:17], v[4:5]
	v_pk_mul_f32 v[6:7], v[38:39], v[6:7] op_sel_hi:[0,1]
	s_delay_alu instid0(VALU_DEP_4) | instskip(NEXT) | instid1(VALU_DEP_3)
	v_add_f32_e32 v2, v2, v3
	v_pk_add_f32 v[4:5], v[4:5], v[4:5] op_sel:[0,1] op_sel_hi:[0,1] neg_lo:[0,1] neg_hi:[0,1]
	s_delay_alu instid0(VALU_DEP_2) | instskip(NEXT) | instid1(VALU_DEP_4)
	v_pk_mul_f32 v[2:3], v[2:3], v[8:9] op_sel_hi:[0,1]
	v_pk_fma_f32 v[8:9], v[24:25], v[10:11], v[6:7] op_sel_hi:[0,1,1]
	v_pk_fma_f32 v[6:7], v[24:25], v[10:11], v[6:7] op_sel_hi:[0,1,1] neg_lo:[0,0,1] neg_hi:[0,0,1]
	s_delay_alu instid0(VALU_DEP_3) | instskip(SKIP_1) | instid1(VALU_DEP_4)
	v_pk_fma_f32 v[14:15], v[4:5], v[12:13], v[2:3]
	v_pk_fma_f32 v[4:5], v[4:5], v[12:13], v[2:3] neg_lo:[0,0,1] neg_hi:[0,0,1]
	v_mov_b32_e32 v7, v9
	v_add_nc_u64_e32 v[2:3], s[4:5], v[0:1]
	s_delay_alu instid0(VALU_DEP_4) | instskip(NEXT) | instid1(VALU_DEP_1)
	v_mov_b32_e32 v5, v15
	v_pk_add_f32 v[4:5], v[6:7], v[4:5]
	s_cbranch_scc1 .LBB159_4316
; %bb.4196:
	s_mov_b32 s3, -1
	s_mov_b32 s2, 0
	s_cmp_gt_i32 s15, 25
	s_mov_b32 s0, 0
	s_cbranch_scc0 .LBB159_4229
; %bb.4197:
	s_cmp_gt_i32 s15, 28
	s_cbranch_scc0 .LBB159_4213
; %bb.4198:
	s_cmp_gt_i32 s15, 43
	;; [unrolled: 3-line block ×3, first 2 shown]
	s_cbranch_scc0 .LBB159_4203
; %bb.4200:
	s_cmp_eq_u32 s15, 46
	s_mov_b32 s0, -1
	s_cbranch_scc0 .LBB159_4202
; %bb.4201:
	v_dual_lshrrev_b32 v0, 16, v4 :: v_dual_lshrrev_b32 v1, 16, v5
	v_cmp_o_f32_e32 vcc_lo, v4, v4
	s_mov_b32 s0, 0
	s_delay_alu instid0(VALU_DEP_2) | instskip(NEXT) | instid1(VALU_DEP_1)
	v_and_b32_e32 v0, 1, v0
	v_add3_u32 v0, v4, v0, 0x7fff
	s_delay_alu instid0(VALU_DEP_1) | instskip(NEXT) | instid1(VALU_DEP_1)
	v_dual_lshrrev_b32 v0, 16, v0 :: v_dual_bitop2_b32 v1, 1, v1 bitop3:0x40
	v_add3_u32 v1, v5, v1, 0x7fff
	s_delay_alu instid0(VALU_DEP_2) | instskip(NEXT) | instid1(VALU_DEP_2)
	v_cndmask_b32_e32 v0, 0x7fc0, v0, vcc_lo
	v_and_b32_e32 v1, 0xffff0000, v1
	v_cmp_o_f32_e32 vcc_lo, v5, v5
	s_delay_alu instid0(VALU_DEP_2) | instskip(NEXT) | instid1(VALU_DEP_1)
	v_cndmask_b32_e32 v1, 0x7fc00000, v1, vcc_lo
	v_or_b32_e32 v0, v1, v0
	global_store_b32 v[2:3], v0, off
.LBB159_4202:
	s_mov_b32 s3, 0
.LBB159_4203:
	s_delay_alu instid0(SALU_CYCLE_1)
	s_and_b32 vcc_lo, exec_lo, s3
	s_cbranch_vccz .LBB159_4208
; %bb.4204:
	s_cmp_eq_u32 s15, 44
	s_mov_b32 s0, -1
	s_cbranch_scc0 .LBB159_4208
; %bb.4205:
	v_bfe_u32 v1, v4, 23, 8
	s_wait_xcnt 0x0
	v_mov_b32_e32 v0, 0xff
	s_mov_b32 s3, exec_lo
	s_delay_alu instid0(VALU_DEP_2)
	v_cmpx_ne_u32_e32 0xff, v1
	s_cbranch_execz .LBB159_4207
; %bb.4206:
	v_and_b32_e32 v0, 0x400000, v4
	v_and_or_b32 v1, 0x3fffff, v4, v1
	s_delay_alu instid0(VALU_DEP_2) | instskip(NEXT) | instid1(VALU_DEP_2)
	v_cmp_ne_u32_e32 vcc_lo, 0, v0
	v_cmp_ne_u32_e64 s0, 0, v1
	v_lshrrev_b32_e32 v0, 23, v4
	s_and_b32 s0, vcc_lo, s0
	s_delay_alu instid0(SALU_CYCLE_1) | instskip(NEXT) | instid1(VALU_DEP_1)
	v_cndmask_b32_e64 v1, 0, 1, s0
	v_add_nc_u32_e32 v0, v0, v1
.LBB159_4207:
	s_or_b32 exec_lo, exec_lo, s3
	s_mov_b32 s0, 0
	global_store_b8 v[2:3], v0, off
.LBB159_4208:
	s_mov_b32 s3, 0
.LBB159_4209:
	s_delay_alu instid0(SALU_CYCLE_1)
	s_and_b32 vcc_lo, exec_lo, s3
	s_cbranch_vccz .LBB159_4212
; %bb.4210:
	s_cmp_eq_u32 s15, 29
	s_mov_b32 s0, -1
	s_cbranch_scc0 .LBB159_4212
; %bb.4211:
	s_wait_xcnt 0x0
	v_trunc_f32_e32 v0, v4
	s_mov_b32 s0, 0
	s_delay_alu instid0(VALU_DEP_1) | instskip(NEXT) | instid1(VALU_DEP_1)
	v_mul_f32_e32 v1, 0x2f800000, v0
	v_floor_f32_e32 v1, v1
	s_delay_alu instid0(VALU_DEP_1) | instskip(SKIP_1) | instid1(VALU_DEP_2)
	v_fmamk_f32 v0, v1, 0xcf800000, v0
	v_cvt_u32_f32_e32 v1, v1
	v_cvt_u32_f32_e32 v0, v0
	global_store_b64 v[2:3], v[0:1], off
.LBB159_4212:
	s_mov_b32 s3, 0
.LBB159_4213:
	s_delay_alu instid0(SALU_CYCLE_1)
	s_and_b32 vcc_lo, exec_lo, s3
	s_cbranch_vccz .LBB159_4228
; %bb.4214:
	s_cmp_lt_i32 s15, 27
	s_mov_b32 s3, -1
	s_cbranch_scc1 .LBB159_4220
; %bb.4215:
	s_wait_xcnt 0x0
	v_cvt_u32_f32_e32 v0, v4
	s_cmp_gt_i32 s15, 27
	s_cbranch_scc0 .LBB159_4217
; %bb.4216:
	s_mov_b32 s3, 0
	global_store_b32 v[2:3], v0, off
.LBB159_4217:
	s_and_not1_b32 vcc_lo, exec_lo, s3
	s_cbranch_vccnz .LBB159_4219
; %bb.4218:
	global_store_b16 v[2:3], v0, off
.LBB159_4219:
	s_mov_b32 s3, 0
.LBB159_4220:
	s_delay_alu instid0(SALU_CYCLE_1)
	s_and_not1_b32 vcc_lo, exec_lo, s3
	s_cbranch_vccnz .LBB159_4228
; %bb.4221:
	s_wait_xcnt 0x0
	v_and_b32_e32 v0, 0x7fffffff, v4
	v_mov_b32_e32 v1, 0x80
	s_mov_b32 s3, exec_lo
	s_delay_alu instid0(VALU_DEP_2)
	v_cmpx_gt_u32_e32 0x43800000, v0
	s_cbranch_execz .LBB159_4227
; %bb.4222:
	v_cmp_lt_u32_e32 vcc_lo, 0x3bffffff, v0
	s_mov_b32 s4, 0
                                        ; implicit-def: $vgpr0
	s_and_saveexec_b32 s5, vcc_lo
	s_delay_alu instid0(SALU_CYCLE_1)
	s_xor_b32 s5, exec_lo, s5
	s_cbranch_execnz .LBB159_4349
; %bb.4223:
	s_and_not1_saveexec_b32 s5, s5
	s_cbranch_execnz .LBB159_4350
.LBB159_4224:
	s_or_b32 exec_lo, exec_lo, s5
	v_mov_b32_e32 v1, 0
	s_and_saveexec_b32 s5, s4
.LBB159_4225:
	v_lshrrev_b32_e32 v1, 24, v4
	s_delay_alu instid0(VALU_DEP_1)
	v_and_or_b32 v1, 0x80, v1, v0
.LBB159_4226:
	s_or_b32 exec_lo, exec_lo, s5
.LBB159_4227:
	s_delay_alu instid0(SALU_CYCLE_1)
	s_or_b32 exec_lo, exec_lo, s3
	global_store_b8 v[2:3], v1, off
.LBB159_4228:
	s_mov_b32 s3, 0
.LBB159_4229:
	s_delay_alu instid0(SALU_CYCLE_1)
	s_and_b32 vcc_lo, exec_lo, s3
	s_cbranch_vccz .LBB159_4269
; %bb.4230:
	s_cmp_gt_i32 s15, 22
	s_mov_b32 s2, -1
	s_cbranch_scc0 .LBB159_4262
; %bb.4231:
	s_cmp_lt_i32 s15, 24
	s_cbranch_scc1 .LBB159_4251
; %bb.4232:
	s_cmp_gt_i32 s15, 24
	s_cbranch_scc0 .LBB159_4240
; %bb.4233:
	s_wait_xcnt 0x0
	v_and_b32_e32 v0, 0x7fffffff, v4
	v_mov_b32_e32 v1, 0x80
	s_mov_b32 s2, exec_lo
	s_delay_alu instid0(VALU_DEP_2)
	v_cmpx_gt_u32_e32 0x47800000, v0
	s_cbranch_execz .LBB159_4239
; %bb.4234:
	v_cmp_lt_u32_e32 vcc_lo, 0x37ffffff, v0
	s_mov_b32 s3, 0
                                        ; implicit-def: $vgpr0
	s_and_saveexec_b32 s4, vcc_lo
	s_delay_alu instid0(SALU_CYCLE_1)
	s_xor_b32 s4, exec_lo, s4
	s_cbranch_execnz .LBB159_4353
; %bb.4235:
	s_and_not1_saveexec_b32 s4, s4
	s_cbranch_execnz .LBB159_4354
.LBB159_4236:
	s_or_b32 exec_lo, exec_lo, s4
	v_mov_b32_e32 v1, 0
	s_and_saveexec_b32 s4, s3
.LBB159_4237:
	v_lshrrev_b32_e32 v1, 24, v4
	s_delay_alu instid0(VALU_DEP_1)
	v_and_or_b32 v1, 0x80, v1, v0
.LBB159_4238:
	s_or_b32 exec_lo, exec_lo, s4
.LBB159_4239:
	s_delay_alu instid0(SALU_CYCLE_1)
	s_or_b32 exec_lo, exec_lo, s2
	s_mov_b32 s2, 0
	global_store_b8 v[2:3], v1, off
.LBB159_4240:
	s_and_b32 vcc_lo, exec_lo, s2
	s_cbranch_vccz .LBB159_4250
; %bb.4241:
	s_wait_xcnt 0x0
	v_and_b32_e32 v1, 0x7fffffff, v4
	s_mov_b32 s2, exec_lo
                                        ; implicit-def: $vgpr0
	s_delay_alu instid0(VALU_DEP_1)
	v_cmpx_gt_u32_e32 0x43f00000, v1
	s_xor_b32 s2, exec_lo, s2
	s_cbranch_execz .LBB159_4247
; %bb.4242:
	s_mov_b32 s3, exec_lo
                                        ; implicit-def: $vgpr0
	v_cmpx_lt_u32_e32 0x3c7fffff, v1
	s_xor_b32 s3, exec_lo, s3
; %bb.4243:
	v_bfe_u32 v0, v4, 20, 1
	s_delay_alu instid0(VALU_DEP_1) | instskip(NEXT) | instid1(VALU_DEP_1)
	v_add3_u32 v0, v4, v0, 0x407ffff
	v_and_b32_e32 v1, 0xff00000, v0
	v_lshrrev_b32_e32 v0, 20, v0
	s_delay_alu instid0(VALU_DEP_2) | instskip(NEXT) | instid1(VALU_DEP_2)
	v_cmp_ne_u32_e32 vcc_lo, 0x7f00000, v1
	v_cndmask_b32_e32 v0, 0x7e, v0, vcc_lo
; %bb.4244:
	s_and_not1_saveexec_b32 s3, s3
; %bb.4245:
	v_add_f32_e64 v0, 0x46800000, |v4|
; %bb.4246:
	s_or_b32 exec_lo, exec_lo, s3
                                        ; implicit-def: $vgpr1
.LBB159_4247:
	s_and_not1_saveexec_b32 s2, s2
; %bb.4248:
	v_mov_b32_e32 v0, 0x7f
	v_cmp_lt_u32_e32 vcc_lo, 0x7f800000, v1
	s_delay_alu instid0(VALU_DEP_2)
	v_cndmask_b32_e32 v0, 0x7e, v0, vcc_lo
; %bb.4249:
	s_or_b32 exec_lo, exec_lo, s2
	v_lshrrev_b32_e32 v1, 24, v4
	s_delay_alu instid0(VALU_DEP_1)
	v_and_or_b32 v0, 0x80, v1, v0
	global_store_b8 v[2:3], v0, off
.LBB159_4250:
	s_mov_b32 s2, 0
.LBB159_4251:
	s_delay_alu instid0(SALU_CYCLE_1)
	s_and_not1_b32 vcc_lo, exec_lo, s2
	s_cbranch_vccnz .LBB159_4261
; %bb.4252:
	s_wait_xcnt 0x0
	v_and_b32_e32 v1, 0x7fffffff, v4
	s_mov_b32 s2, exec_lo
                                        ; implicit-def: $vgpr0
	s_delay_alu instid0(VALU_DEP_1)
	v_cmpx_gt_u32_e32 0x47800000, v1
	s_xor_b32 s2, exec_lo, s2
	s_cbranch_execz .LBB159_4258
; %bb.4253:
	s_mov_b32 s3, exec_lo
                                        ; implicit-def: $vgpr0
	v_cmpx_lt_u32_e32 0x387fffff, v1
	s_xor_b32 s3, exec_lo, s3
; %bb.4254:
	v_bfe_u32 v0, v4, 21, 1
	s_delay_alu instid0(VALU_DEP_1) | instskip(NEXT) | instid1(VALU_DEP_1)
	v_add3_u32 v0, v4, v0, 0x80fffff
	v_lshrrev_b32_e32 v0, 21, v0
; %bb.4255:
	s_and_not1_saveexec_b32 s3, s3
; %bb.4256:
	v_add_f32_e64 v0, 0x43000000, |v4|
; %bb.4257:
	s_or_b32 exec_lo, exec_lo, s3
                                        ; implicit-def: $vgpr1
.LBB159_4258:
	s_and_not1_saveexec_b32 s2, s2
; %bb.4259:
	v_mov_b32_e32 v0, 0x7f
	v_cmp_lt_u32_e32 vcc_lo, 0x7f800000, v1
	s_delay_alu instid0(VALU_DEP_2)
	v_cndmask_b32_e32 v0, 0x7c, v0, vcc_lo
; %bb.4260:
	s_or_b32 exec_lo, exec_lo, s2
	v_lshrrev_b32_e32 v1, 24, v4
	s_delay_alu instid0(VALU_DEP_1)
	v_and_or_b32 v0, 0x80, v1, v0
	global_store_b8 v[2:3], v0, off
.LBB159_4261:
	s_mov_b32 s2, 0
.LBB159_4262:
	s_delay_alu instid0(SALU_CYCLE_1)
	s_and_not1_b32 vcc_lo, exec_lo, s2
	s_mov_b32 s2, 0
	s_cbranch_vccnz .LBB159_4269
; %bb.4263:
	s_cmp_gt_i32 s15, 14
	s_mov_b32 s2, -1
	s_cbranch_scc0 .LBB159_4267
; %bb.4264:
	s_cmp_eq_u32 s15, 15
	s_mov_b32 s0, -1
	s_cbranch_scc0 .LBB159_4266
; %bb.4265:
	s_wait_xcnt 0x0
	v_bfe_u32 v0, v4, 16, 1
	v_cmp_o_f32_e32 vcc_lo, v4, v4
	s_mov_b32 s0, 0
	s_delay_alu instid0(VALU_DEP_2) | instskip(NEXT) | instid1(VALU_DEP_1)
	v_add3_u32 v0, v4, v0, 0x7fff
	v_lshrrev_b32_e32 v0, 16, v0
	s_delay_alu instid0(VALU_DEP_1)
	v_cndmask_b32_e32 v0, 0x7fc0, v0, vcc_lo
	global_store_b16 v[2:3], v0, off
.LBB159_4266:
	s_mov_b32 s2, 0
.LBB159_4267:
	s_delay_alu instid0(SALU_CYCLE_1)
	s_and_b32 vcc_lo, exec_lo, s2
	s_mov_b32 s2, 0
	s_cbranch_vccz .LBB159_4269
; %bb.4268:
	s_cmp_lg_u32 s15, 11
	s_mov_b32 s2, -1
	s_cselect_b32 s0, -1, 0
.LBB159_4269:
	s_delay_alu instid0(SALU_CYCLE_1)
	s_and_b32 vcc_lo, exec_lo, s0
	s_cbranch_vccnz .LBB159_4344
.LBB159_4270:
	s_mov_b32 s0, 0
	s_branch .LBB159_4272
.LBB159_4271:
	s_mov_b32 s0, 0
	s_wait_xcnt 0x0
	s_mov_b32 s2, 0
                                        ; implicit-def: $vgpr2_vgpr3
                                        ; implicit-def: $sgpr1
                                        ; implicit-def: $vgpr4_vgpr5
.LBB159_4272:
	s_and_b32 s4, s0, exec_lo
	s_and_not1_b32 s0, s12, exec_lo
	s_and_b32 s3, s14, exec_lo
	s_and_b32 s39, s2, exec_lo
	s_or_b32 s12, s0, s3
.LBB159_4273:
	s_wait_xcnt 0x0
	s_or_b32 exec_lo, exec_lo, s13
	s_and_saveexec_b32 s0, s12
	s_cbranch_execnz .LBB159_4277
; %bb.4274:
	s_or_b32 exec_lo, exec_lo, s0
	s_and_saveexec_b32 s0, s39
	s_delay_alu instid0(SALU_CYCLE_1)
	s_xor_b32 s2, exec_lo, s0
	s_cbranch_execnz .LBB159_4278
.LBB159_4275:
	s_or_b32 exec_lo, exec_lo, s2
	s_and_saveexec_b32 s0, s4
	s_cbranch_execnz .LBB159_4279
.LBB159_4276:
	s_endpgm
.LBB159_4277:
	; divergent unreachable
	s_or_b32 exec_lo, exec_lo, s0
	s_and_saveexec_b32 s0, s39
	s_delay_alu instid0(SALU_CYCLE_1)
	s_xor_b32 s2, exec_lo, s0
	s_cbranch_execz .LBB159_4275
.LBB159_4278:
	s_wait_loadcnt 0x0
	v_cmp_neq_f32_e32 vcc_lo, 0, v4
	v_cmp_neq_f32_e64 s0, 0, v5
	s_or_b32 s0, vcc_lo, s0
	s_delay_alu instid0(SALU_CYCLE_1)
	v_cndmask_b32_e64 v0, 0, 1, s0
	global_store_b8 v[2:3], v0, off
	s_wait_xcnt 0x0
	s_or_b32 exec_lo, exec_lo, s2
	s_and_saveexec_b32 s0, s4
	s_cbranch_execz .LBB159_4276
.LBB159_4279:
	s_sext_i32_i16 s2, s1
	s_mov_b32 s0, -1
	s_cmp_lt_i32 s2, 5
	s_cbranch_scc1 .LBB159_4300
; %bb.4280:
	s_cmp_lt_i32 s2, 8
	s_cbranch_scc1 .LBB159_4290
; %bb.4281:
	;; [unrolled: 3-line block ×3, first 2 shown]
	s_cmp_gt_i32 s2, 9
	s_cbranch_scc0 .LBB159_4284
; %bb.4283:
	s_wait_loadcnt 0x0
	v_cvt_f64_f32_e32 v[6:7], v4
	v_cvt_f64_f32_e32 v[8:9], v5
	s_mov_b32 s0, 0
	global_store_b128 v[2:3], v[6:9], off
.LBB159_4284:
	s_and_not1_b32 vcc_lo, exec_lo, s0
	s_cbranch_vccnz .LBB159_4286
; %bb.4285:
	s_wait_loadcnt 0x0
	global_store_b64 v[2:3], v[4:5], off
.LBB159_4286:
	s_mov_b32 s0, 0
.LBB159_4287:
	s_delay_alu instid0(SALU_CYCLE_1)
	s_and_not1_b32 vcc_lo, exec_lo, s0
	s_cbranch_vccnz .LBB159_4289
; %bb.4288:
	s_wait_loadcnt 0x0
	v_cvt_f16_f32_e32 v0, v5
	v_cvt_f16_f32_e32 v1, v4
	s_delay_alu instid0(VALU_DEP_2) | instskip(NEXT) | instid1(VALU_DEP_2)
	v_lshlrev_b32_e32 v0, 16, v0
	v_and_b32_e32 v1, 0xffff, v1
	s_delay_alu instid0(VALU_DEP_1)
	v_or_b32_e32 v0, v0, v1
	global_store_b32 v[2:3], v0, off
.LBB159_4289:
	s_mov_b32 s0, 0
.LBB159_4290:
	s_delay_alu instid0(SALU_CYCLE_1)
	s_and_not1_b32 vcc_lo, exec_lo, s0
	s_cbranch_vccnz .LBB159_4299
; %bb.4291:
	s_sext_i32_i16 s2, s1
	s_mov_b32 s0, -1
	s_cmp_lt_i32 s2, 6
	s_cbranch_scc1 .LBB159_4297
; %bb.4292:
	s_cmp_gt_i32 s2, 6
	s_cbranch_scc0 .LBB159_4294
; %bb.4293:
	s_wait_loadcnt 0x0
	v_cvt_f64_f32_e32 v[0:1], v4
	s_mov_b32 s0, 0
	global_store_b64 v[2:3], v[0:1], off
.LBB159_4294:
	s_and_not1_b32 vcc_lo, exec_lo, s0
	s_cbranch_vccnz .LBB159_4296
; %bb.4295:
	s_wait_loadcnt 0x0
	global_store_b32 v[2:3], v4, off
.LBB159_4296:
	s_mov_b32 s0, 0
.LBB159_4297:
	s_delay_alu instid0(SALU_CYCLE_1)
	s_and_not1_b32 vcc_lo, exec_lo, s0
	s_cbranch_vccnz .LBB159_4299
; %bb.4298:
	s_wait_loadcnt 0x0
	v_cvt_f16_f32_e32 v0, v4
	global_store_b16 v[2:3], v0, off
.LBB159_4299:
	s_mov_b32 s0, 0
.LBB159_4300:
	s_delay_alu instid0(SALU_CYCLE_1)
	s_and_not1_b32 vcc_lo, exec_lo, s0
	s_cbranch_vccnz .LBB159_4276
; %bb.4301:
	s_sext_i32_i16 s2, s1
	s_mov_b32 s0, -1
	s_cmp_lt_i32 s2, 2
	s_cbranch_scc1 .LBB159_4311
; %bb.4302:
	s_cmp_lt_i32 s2, 3
	s_cbranch_scc1 .LBB159_4308
; %bb.4303:
	s_cmp_gt_i32 s2, 3
	s_cbranch_scc0 .LBB159_4305
; %bb.4304:
	s_wait_loadcnt 0x0
	v_trunc_f32_e32 v0, v4
	s_mov_b32 s0, 0
	s_delay_alu instid0(VALU_DEP_1) | instskip(NEXT) | instid1(VALU_DEP_1)
	v_mul_f32_e64 v1, 0x2f800000, |v0|
	v_floor_f32_e32 v1, v1
	s_delay_alu instid0(VALU_DEP_1) | instskip(SKIP_2) | instid1(VALU_DEP_3)
	v_fma_f32 v5, 0xcf800000, v1, |v0|
	v_ashrrev_i32_e32 v0, 31, v0
	v_cvt_u32_f32_e32 v6, v1
	v_cvt_u32_f32_e32 v5, v5
	s_delay_alu instid0(VALU_DEP_2) | instskip(NEXT) | instid1(VALU_DEP_2)
	v_dual_mov_b32 v1, v0 :: v_dual_bitop2_b32 v7, v6, v0 bitop3:0x14
	v_xor_b32_e32 v6, v5, v0
	s_delay_alu instid0(VALU_DEP_1)
	v_sub_nc_u64_e32 v[0:1], v[6:7], v[0:1]
	global_store_b64 v[2:3], v[0:1], off
.LBB159_4305:
	s_and_not1_b32 vcc_lo, exec_lo, s0
	s_cbranch_vccnz .LBB159_4307
; %bb.4306:
	s_wait_loadcnt 0x0
	v_cvt_i32_f32_e32 v0, v4
	global_store_b32 v[2:3], v0, off
.LBB159_4307:
	s_mov_b32 s0, 0
.LBB159_4308:
	s_delay_alu instid0(SALU_CYCLE_1)
	s_and_not1_b32 vcc_lo, exec_lo, s0
	s_cbranch_vccnz .LBB159_4310
; %bb.4309:
	s_wait_loadcnt 0x0
	v_cvt_i32_f32_e32 v0, v4
	global_store_b16 v[2:3], v0, off
.LBB159_4310:
	s_mov_b32 s0, 0
.LBB159_4311:
	s_delay_alu instid0(SALU_CYCLE_1)
	s_and_not1_b32 vcc_lo, exec_lo, s0
	s_cbranch_vccnz .LBB159_4276
; %bb.4312:
	s_sext_i32_i16 s0, s1
	s_delay_alu instid0(SALU_CYCLE_1)
	s_cmp_gt_i32 s0, 0
	s_mov_b32 s0, -1
	s_cbranch_scc0 .LBB159_4314
; %bb.4313:
	s_wait_loadcnt 0x0
	v_cvt_i32_f32_e32 v0, v4
	s_mov_b32 s0, 0
	global_store_b8 v[2:3], v0, off
.LBB159_4314:
	s_and_not1_b32 vcc_lo, exec_lo, s0
	s_cbranch_vccnz .LBB159_4276
; %bb.4315:
	s_wait_loadcnt 0x0
	v_trunc_f32_e32 v0, v4
	s_delay_alu instid0(VALU_DEP_1) | instskip(NEXT) | instid1(VALU_DEP_1)
	v_mul_f32_e64 v1, 0x2f800000, |v0|
	v_floor_f32_e32 v1, v1
	s_delay_alu instid0(VALU_DEP_1) | instskip(SKIP_1) | instid1(VALU_DEP_2)
	v_fma_f32 v1, 0xcf800000, v1, |v0|
	v_ashrrev_i32_e32 v0, 31, v0
	v_cvt_u32_f32_e32 v1, v1
	s_delay_alu instid0(VALU_DEP_1) | instskip(NEXT) | instid1(VALU_DEP_1)
	v_xor_b32_e32 v1, v1, v0
	v_sub_nc_u32_e32 v0, v1, v0
	global_store_b8 v[2:3], v0, off
	s_endpgm
.LBB159_4316:
	s_mov_b32 s2, 0
	s_mov_b32 s0, -1
	s_branch .LBB159_4272
.LBB159_4317:
	s_mov_b32 s1, -1
	s_mov_b32 s7, exec_lo
	v_cmpx_eq_u16_e32 0x80, v1
; %bb.4318:
	s_xor_b32 s1, exec_lo, -1
; %bb.4319:
	s_or_b32 exec_lo, exec_lo, s7
	s_delay_alu instid0(SALU_CYCLE_1)
	s_and_b32 s1, s1, exec_lo
	s_or_saveexec_b32 s6, s6
	v_mov_b32_e32 v12, 0x7f800001
	s_xor_b32 exec_lo, exec_lo, s6
	s_cbranch_execz .LBB159_3765
.LBB159_4320:
	v_cmp_ne_u16_e32 vcc_lo, 0, v1
	v_mov_b32_e32 v12, 0
	s_and_not1_b32 s1, s1, exec_lo
	s_and_b32 s7, vcc_lo, exec_lo
	s_delay_alu instid0(SALU_CYCLE_1)
	s_or_b32 s1, s1, s7
	s_or_b32 exec_lo, exec_lo, s6
	s_and_saveexec_b32 s6, s1
	s_cbranch_execnz .LBB159_3766
	s_branch .LBB159_3767
.LBB159_4321:
	s_or_b32 s14, s14, exec_lo
	s_trap 2
	s_cbranch_execz .LBB159_3914
	s_branch .LBB159_3915
.LBB159_4322:
	v_bfe_u32 v1, v8, 20, 1
	s_mov_b32 s16, exec_lo
	s_delay_alu instid0(VALU_DEP_1) | instskip(NEXT) | instid1(VALU_DEP_1)
	v_add3_u32 v1, v8, v1, 0x487ffff
	v_lshrrev_b32_e32 v1, 20, v1
	s_and_not1_saveexec_b32 s17, s17
	s_cbranch_execz .LBB159_3866
.LBB159_4323:
	v_add_f32_e64 v1, 0x46000000, |v8|
	s_mov_b32 s18, s16
	s_mov_b32 s19, exec_lo
	s_delay_alu instid0(VALU_DEP_1) | instskip(NEXT) | instid1(VALU_DEP_1)
	v_and_b32_e32 v1, 0xff, v1
	v_cmpx_ne_u32_e32 0, v1
; %bb.4324:
	s_or_b32 s18, s16, exec_lo
; %bb.4325:
	s_or_b32 exec_lo, exec_lo, s19
	s_delay_alu instid0(SALU_CYCLE_1) | instskip(SKIP_1) | instid1(SALU_CYCLE_1)
	s_and_not1_b32 s16, s16, exec_lo
	s_and_b32 s18, s18, exec_lo
	s_or_b32 s16, s16, s18
	s_or_b32 exec_lo, exec_lo, s17
	v_mov_b32_e32 v3, 0
	s_and_saveexec_b32 s17, s16
	s_cbranch_execnz .LBB159_3867
	s_branch .LBB159_3868
.LBB159_4326:
	s_or_b32 s14, s14, exec_lo
	s_trap 2
	s_cbranch_execz .LBB159_4033
	s_branch .LBB159_4034
.LBB159_4327:
	v_bfe_u32 v1, v8, 21, 1
	s_mov_b32 s15, exec_lo
	s_delay_alu instid0(VALU_DEP_1) | instskip(NEXT) | instid1(VALU_DEP_1)
	v_add3_u32 v1, v8, v1, 0x88fffff
	v_lshrrev_b32_e32 v1, 21, v1
	s_and_not1_saveexec_b32 s16, s16
	s_cbranch_execz .LBB159_3879
.LBB159_4328:
	v_add_f32_e64 v1, 0x42800000, |v8|
	s_mov_b32 s17, s15
	s_mov_b32 s18, exec_lo
	s_delay_alu instid0(VALU_DEP_1) | instskip(NEXT) | instid1(VALU_DEP_1)
	v_and_b32_e32 v1, 0xff, v1
	v_cmpx_ne_u32_e32 0, v1
; %bb.4329:
	s_or_b32 s17, s15, exec_lo
; %bb.4330:
	s_or_b32 exec_lo, exec_lo, s18
	s_delay_alu instid0(SALU_CYCLE_1) | instskip(SKIP_1) | instid1(SALU_CYCLE_1)
	s_and_not1_b32 s15, s15, exec_lo
	s_and_b32 s17, s17, exec_lo
	s_or_b32 s15, s15, s17
	s_or_b32 exec_lo, exec_lo, s16
	v_mov_b32_e32 v3, 0
	s_and_saveexec_b32 s16, s15
	s_cbranch_execnz .LBB159_3880
	s_branch .LBB159_3881
.LBB159_4331:
	v_bfe_u32 v1, v6, 20, 1
	s_mov_b32 s18, exec_lo
	s_delay_alu instid0(VALU_DEP_1) | instskip(NEXT) | instid1(VALU_DEP_1)
	v_add3_u32 v1, v6, v1, 0x487ffff
	v_lshrrev_b32_e32 v1, 20, v1
	s_and_not1_saveexec_b32 s19, s19
	s_cbranch_execz .LBB159_3985
.LBB159_4332:
	v_add_f32_e64 v1, 0x46000000, |v6|
	s_mov_b32 s20, s18
	s_mov_b32 s21, exec_lo
	s_delay_alu instid0(VALU_DEP_1) | instskip(NEXT) | instid1(VALU_DEP_1)
	v_and_b32_e32 v1, 0xff, v1
	v_cmpx_ne_u32_e32 0, v1
; %bb.4333:
	s_or_b32 s20, s18, exec_lo
; %bb.4334:
	s_or_b32 exec_lo, exec_lo, s21
	s_delay_alu instid0(SALU_CYCLE_1) | instskip(SKIP_1) | instid1(SALU_CYCLE_1)
	s_and_not1_b32 s18, s18, exec_lo
	s_and_b32 s20, s20, exec_lo
	s_or_b32 s18, s18, s20
	s_or_b32 exec_lo, exec_lo, s19
	v_mov_b32_e32 v3, 0
	s_and_saveexec_b32 s19, s18
	s_cbranch_execnz .LBB159_3986
	s_branch .LBB159_3987
.LBB159_4335:
	s_or_b32 s14, s14, exec_lo
	s_trap 2
	s_cbranch_execz .LBB159_4152
	s_branch .LBB159_4153
.LBB159_4336:
	v_bfe_u32 v1, v6, 21, 1
	s_mov_b32 s17, exec_lo
	s_delay_alu instid0(VALU_DEP_1) | instskip(NEXT) | instid1(VALU_DEP_1)
	v_add3_u32 v1, v6, v1, 0x88fffff
	v_lshrrev_b32_e32 v1, 21, v1
	s_and_not1_saveexec_b32 s18, s18
	s_cbranch_execz .LBB159_3998
.LBB159_4337:
	v_add_f32_e64 v1, 0x42800000, |v6|
	s_mov_b32 s19, s17
	s_mov_b32 s20, exec_lo
	s_delay_alu instid0(VALU_DEP_1) | instskip(NEXT) | instid1(VALU_DEP_1)
	v_and_b32_e32 v1, 0xff, v1
	v_cmpx_ne_u32_e32 0, v1
; %bb.4338:
	s_or_b32 s19, s17, exec_lo
; %bb.4339:
	s_or_b32 exec_lo, exec_lo, s20
	s_delay_alu instid0(SALU_CYCLE_1) | instskip(SKIP_1) | instid1(SALU_CYCLE_1)
	s_and_not1_b32 s17, s17, exec_lo
	s_and_b32 s19, s19, exec_lo
	s_or_b32 s17, s17, s19
	s_or_b32 exec_lo, exec_lo, s18
	v_mov_b32_e32 v3, 0
	s_and_saveexec_b32 s18, s17
	s_cbranch_execnz .LBB159_3999
	s_branch .LBB159_4000
.LBB159_4340:
	v_bfe_u32 v1, v4, 20, 1
	s_mov_b32 s18, exec_lo
	s_delay_alu instid0(VALU_DEP_1) | instskip(NEXT) | instid1(VALU_DEP_1)
	v_add3_u32 v1, v4, v1, 0x487ffff
	v_lshrrev_b32_e32 v1, 20, v1
	s_and_not1_saveexec_b32 s19, s19
	s_cbranch_execz .LBB159_4104
.LBB159_4341:
	v_add_f32_e64 v1, 0x46000000, |v4|
	s_mov_b32 s20, s18
	s_mov_b32 s21, exec_lo
	s_delay_alu instid0(VALU_DEP_1) | instskip(NEXT) | instid1(VALU_DEP_1)
	v_and_b32_e32 v1, 0xff, v1
	v_cmpx_ne_u32_e32 0, v1
; %bb.4342:
	s_or_b32 s20, s18, exec_lo
; %bb.4343:
	s_or_b32 exec_lo, exec_lo, s21
	s_delay_alu instid0(SALU_CYCLE_1) | instskip(SKIP_1) | instid1(SALU_CYCLE_1)
	s_and_not1_b32 s18, s18, exec_lo
	s_and_b32 s20, s20, exec_lo
	s_or_b32 s18, s18, s20
	s_or_b32 exec_lo, exec_lo, s19
	v_mov_b32_e32 v6, 0
	s_and_saveexec_b32 s19, s18
	s_cbranch_execnz .LBB159_4105
	s_branch .LBB159_4106
.LBB159_4344:
	s_mov_b32 s2, 0
	s_or_b32 s14, s14, exec_lo
	s_trap 2
	s_branch .LBB159_4270
.LBB159_4345:
	v_bfe_u32 v1, v4, 21, 1
	s_mov_b32 s17, exec_lo
	s_delay_alu instid0(VALU_DEP_1) | instskip(NEXT) | instid1(VALU_DEP_1)
	v_add3_u32 v1, v4, v1, 0x88fffff
	v_lshrrev_b32_e32 v1, 21, v1
	s_and_not1_saveexec_b32 s18, s18
	s_cbranch_execz .LBB159_4117
.LBB159_4346:
	v_add_f32_e64 v1, 0x42800000, |v4|
	s_mov_b32 s19, s17
	s_mov_b32 s20, exec_lo
	s_delay_alu instid0(VALU_DEP_1) | instskip(NEXT) | instid1(VALU_DEP_1)
	v_and_b32_e32 v1, 0xff, v1
	v_cmpx_ne_u32_e32 0, v1
; %bb.4347:
	s_or_b32 s19, s17, exec_lo
; %bb.4348:
	s_or_b32 exec_lo, exec_lo, s20
	s_delay_alu instid0(SALU_CYCLE_1) | instskip(SKIP_1) | instid1(SALU_CYCLE_1)
	s_and_not1_b32 s17, s17, exec_lo
	s_and_b32 s19, s19, exec_lo
	s_or_b32 s17, s17, s19
	s_or_b32 exec_lo, exec_lo, s18
	v_mov_b32_e32 v6, 0
	s_and_saveexec_b32 s18, s17
	s_cbranch_execnz .LBB159_4118
	s_branch .LBB159_4119
.LBB159_4349:
	v_bfe_u32 v0, v4, 20, 1
	s_mov_b32 s4, exec_lo
	s_delay_alu instid0(VALU_DEP_1) | instskip(NEXT) | instid1(VALU_DEP_1)
	v_add3_u32 v0, v4, v0, 0x487ffff
	v_lshrrev_b32_e32 v0, 20, v0
	s_and_not1_saveexec_b32 s5, s5
	s_cbranch_execz .LBB159_4224
.LBB159_4350:
	v_add_f32_e64 v0, 0x46000000, |v4|
	s_mov_b32 s6, s4
	s_mov_b32 s7, exec_lo
	s_delay_alu instid0(VALU_DEP_1) | instskip(NEXT) | instid1(VALU_DEP_1)
	v_and_b32_e32 v0, 0xff, v0
	v_cmpx_ne_u32_e32 0, v0
; %bb.4351:
	s_or_b32 s6, s4, exec_lo
; %bb.4352:
	s_or_b32 exec_lo, exec_lo, s7
	s_delay_alu instid0(SALU_CYCLE_1) | instskip(SKIP_1) | instid1(SALU_CYCLE_1)
	s_and_not1_b32 s4, s4, exec_lo
	s_and_b32 s6, s6, exec_lo
	s_or_b32 s4, s4, s6
	s_or_b32 exec_lo, exec_lo, s5
	v_mov_b32_e32 v1, 0
	s_and_saveexec_b32 s5, s4
	s_cbranch_execnz .LBB159_4225
	s_branch .LBB159_4226
.LBB159_4353:
	v_bfe_u32 v0, v4, 21, 1
	s_mov_b32 s3, exec_lo
	s_delay_alu instid0(VALU_DEP_1) | instskip(NEXT) | instid1(VALU_DEP_1)
	v_add3_u32 v0, v4, v0, 0x88fffff
	v_lshrrev_b32_e32 v0, 21, v0
	s_and_not1_saveexec_b32 s4, s4
	s_cbranch_execz .LBB159_4236
.LBB159_4354:
	v_add_f32_e64 v0, 0x42800000, |v4|
	s_mov_b32 s5, s3
	s_mov_b32 s6, exec_lo
	s_delay_alu instid0(VALU_DEP_1) | instskip(NEXT) | instid1(VALU_DEP_1)
	v_and_b32_e32 v0, 0xff, v0
	v_cmpx_ne_u32_e32 0, v0
; %bb.4355:
	s_or_b32 s5, s3, exec_lo
; %bb.4356:
	s_or_b32 exec_lo, exec_lo, s6
	s_delay_alu instid0(SALU_CYCLE_1) | instskip(SKIP_1) | instid1(SALU_CYCLE_1)
	s_and_not1_b32 s3, s3, exec_lo
	s_and_b32 s5, s5, exec_lo
	s_or_b32 s3, s3, s5
	s_or_b32 exec_lo, exec_lo, s4
	v_mov_b32_e32 v1, 0
	s_and_saveexec_b32 s4, s3
	s_cbranch_execnz .LBB159_4237
	s_branch .LBB159_4238
	.section	.rodata,"a",@progbits
	.p2align	6, 0x0
	.amdhsa_kernel _ZN2at6native32elementwise_kernel_manual_unrollILi128ELi4EZNS0_15gpu_kernel_implIZZZNS0_12_GLOBAL__N_116addr_kernel_cudaERNS_14TensorIteratorERKN3c106ScalarES9_ENKUlvE_clEvENKUlvE7_clEvEUlNS6_7complexIfEESD_SD_E0_EEvRNS_18TensorIteratorBaseERKT_EUlibE0_EEviT1_
		.amdhsa_group_segment_fixed_size 0
		.amdhsa_private_segment_fixed_size 0
		.amdhsa_kernarg_size 520
		.amdhsa_user_sgpr_count 2
		.amdhsa_user_sgpr_dispatch_ptr 0
		.amdhsa_user_sgpr_queue_ptr 0
		.amdhsa_user_sgpr_kernarg_segment_ptr 1
		.amdhsa_user_sgpr_dispatch_id 0
		.amdhsa_user_sgpr_kernarg_preload_length 0
		.amdhsa_user_sgpr_kernarg_preload_offset 0
		.amdhsa_user_sgpr_private_segment_size 0
		.amdhsa_wavefront_size32 1
		.amdhsa_uses_dynamic_stack 0
		.amdhsa_enable_private_segment 0
		.amdhsa_system_sgpr_workgroup_id_x 1
		.amdhsa_system_sgpr_workgroup_id_y 0
		.amdhsa_system_sgpr_workgroup_id_z 0
		.amdhsa_system_sgpr_workgroup_info 0
		.amdhsa_system_vgpr_workitem_id 0
		.amdhsa_next_free_vgpr 48
		.amdhsa_next_free_sgpr 78
		.amdhsa_named_barrier_count 0
		.amdhsa_reserve_vcc 1
		.amdhsa_float_round_mode_32 0
		.amdhsa_float_round_mode_16_64 0
		.amdhsa_float_denorm_mode_32 3
		.amdhsa_float_denorm_mode_16_64 3
		.amdhsa_fp16_overflow 0
		.amdhsa_memory_ordered 1
		.amdhsa_forward_progress 1
		.amdhsa_inst_pref_size 255
		.amdhsa_round_robin_scheduling 0
		.amdhsa_exception_fp_ieee_invalid_op 0
		.amdhsa_exception_fp_denorm_src 0
		.amdhsa_exception_fp_ieee_div_zero 0
		.amdhsa_exception_fp_ieee_overflow 0
		.amdhsa_exception_fp_ieee_underflow 0
		.amdhsa_exception_fp_ieee_inexact 0
		.amdhsa_exception_int_div_zero 0
	.end_amdhsa_kernel
	.section	.text._ZN2at6native32elementwise_kernel_manual_unrollILi128ELi4EZNS0_15gpu_kernel_implIZZZNS0_12_GLOBAL__N_116addr_kernel_cudaERNS_14TensorIteratorERKN3c106ScalarES9_ENKUlvE_clEvENKUlvE7_clEvEUlNS6_7complexIfEESD_SD_E0_EEvRNS_18TensorIteratorBaseERKT_EUlibE0_EEviT1_,"axG",@progbits,_ZN2at6native32elementwise_kernel_manual_unrollILi128ELi4EZNS0_15gpu_kernel_implIZZZNS0_12_GLOBAL__N_116addr_kernel_cudaERNS_14TensorIteratorERKN3c106ScalarES9_ENKUlvE_clEvENKUlvE7_clEvEUlNS6_7complexIfEESD_SD_E0_EEvRNS_18TensorIteratorBaseERKT_EUlibE0_EEviT1_,comdat
.Lfunc_end159:
	.size	_ZN2at6native32elementwise_kernel_manual_unrollILi128ELi4EZNS0_15gpu_kernel_implIZZZNS0_12_GLOBAL__N_116addr_kernel_cudaERNS_14TensorIteratorERKN3c106ScalarES9_ENKUlvE_clEvENKUlvE7_clEvEUlNS6_7complexIfEESD_SD_E0_EEvRNS_18TensorIteratorBaseERKT_EUlibE0_EEviT1_, .Lfunc_end159-_ZN2at6native32elementwise_kernel_manual_unrollILi128ELi4EZNS0_15gpu_kernel_implIZZZNS0_12_GLOBAL__N_116addr_kernel_cudaERNS_14TensorIteratorERKN3c106ScalarES9_ENKUlvE_clEvENKUlvE7_clEvEUlNS6_7complexIfEESD_SD_E0_EEvRNS_18TensorIteratorBaseERKT_EUlibE0_EEviT1_
                                        ; -- End function
	.set _ZN2at6native32elementwise_kernel_manual_unrollILi128ELi4EZNS0_15gpu_kernel_implIZZZNS0_12_GLOBAL__N_116addr_kernel_cudaERNS_14TensorIteratorERKN3c106ScalarES9_ENKUlvE_clEvENKUlvE7_clEvEUlNS6_7complexIfEESD_SD_E0_EEvRNS_18TensorIteratorBaseERKT_EUlibE0_EEviT1_.num_vgpr, 48
	.set _ZN2at6native32elementwise_kernel_manual_unrollILi128ELi4EZNS0_15gpu_kernel_implIZZZNS0_12_GLOBAL__N_116addr_kernel_cudaERNS_14TensorIteratorERKN3c106ScalarES9_ENKUlvE_clEvENKUlvE7_clEvEUlNS6_7complexIfEESD_SD_E0_EEvRNS_18TensorIteratorBaseERKT_EUlibE0_EEviT1_.num_agpr, 0
	.set _ZN2at6native32elementwise_kernel_manual_unrollILi128ELi4EZNS0_15gpu_kernel_implIZZZNS0_12_GLOBAL__N_116addr_kernel_cudaERNS_14TensorIteratorERKN3c106ScalarES9_ENKUlvE_clEvENKUlvE7_clEvEUlNS6_7complexIfEESD_SD_E0_EEvRNS_18TensorIteratorBaseERKT_EUlibE0_EEviT1_.numbered_sgpr, 78
	.set _ZN2at6native32elementwise_kernel_manual_unrollILi128ELi4EZNS0_15gpu_kernel_implIZZZNS0_12_GLOBAL__N_116addr_kernel_cudaERNS_14TensorIteratorERKN3c106ScalarES9_ENKUlvE_clEvENKUlvE7_clEvEUlNS6_7complexIfEESD_SD_E0_EEvRNS_18TensorIteratorBaseERKT_EUlibE0_EEviT1_.num_named_barrier, 0
	.set _ZN2at6native32elementwise_kernel_manual_unrollILi128ELi4EZNS0_15gpu_kernel_implIZZZNS0_12_GLOBAL__N_116addr_kernel_cudaERNS_14TensorIteratorERKN3c106ScalarES9_ENKUlvE_clEvENKUlvE7_clEvEUlNS6_7complexIfEESD_SD_E0_EEvRNS_18TensorIteratorBaseERKT_EUlibE0_EEviT1_.private_seg_size, 0
	.set _ZN2at6native32elementwise_kernel_manual_unrollILi128ELi4EZNS0_15gpu_kernel_implIZZZNS0_12_GLOBAL__N_116addr_kernel_cudaERNS_14TensorIteratorERKN3c106ScalarES9_ENKUlvE_clEvENKUlvE7_clEvEUlNS6_7complexIfEESD_SD_E0_EEvRNS_18TensorIteratorBaseERKT_EUlibE0_EEviT1_.uses_vcc, 1
	.set _ZN2at6native32elementwise_kernel_manual_unrollILi128ELi4EZNS0_15gpu_kernel_implIZZZNS0_12_GLOBAL__N_116addr_kernel_cudaERNS_14TensorIteratorERKN3c106ScalarES9_ENKUlvE_clEvENKUlvE7_clEvEUlNS6_7complexIfEESD_SD_E0_EEvRNS_18TensorIteratorBaseERKT_EUlibE0_EEviT1_.uses_flat_scratch, 0
	.set _ZN2at6native32elementwise_kernel_manual_unrollILi128ELi4EZNS0_15gpu_kernel_implIZZZNS0_12_GLOBAL__N_116addr_kernel_cudaERNS_14TensorIteratorERKN3c106ScalarES9_ENKUlvE_clEvENKUlvE7_clEvEUlNS6_7complexIfEESD_SD_E0_EEvRNS_18TensorIteratorBaseERKT_EUlibE0_EEviT1_.has_dyn_sized_stack, 0
	.set _ZN2at6native32elementwise_kernel_manual_unrollILi128ELi4EZNS0_15gpu_kernel_implIZZZNS0_12_GLOBAL__N_116addr_kernel_cudaERNS_14TensorIteratorERKN3c106ScalarES9_ENKUlvE_clEvENKUlvE7_clEvEUlNS6_7complexIfEESD_SD_E0_EEvRNS_18TensorIteratorBaseERKT_EUlibE0_EEviT1_.has_recursion, 0
	.set _ZN2at6native32elementwise_kernel_manual_unrollILi128ELi4EZNS0_15gpu_kernel_implIZZZNS0_12_GLOBAL__N_116addr_kernel_cudaERNS_14TensorIteratorERKN3c106ScalarES9_ENKUlvE_clEvENKUlvE7_clEvEUlNS6_7complexIfEESD_SD_E0_EEvRNS_18TensorIteratorBaseERKT_EUlibE0_EEviT1_.has_indirect_call, 0
	.section	.AMDGPU.csdata,"",@progbits
; Kernel info:
; codeLenInByte = 81880
; TotalNumSgprs: 80
; NumVgprs: 48
; ScratchSize: 0
; MemoryBound: 1
; FloatMode: 240
; IeeeMode: 1
; LDSByteSize: 0 bytes/workgroup (compile time only)
; SGPRBlocks: 0
; VGPRBlocks: 2
; NumSGPRsForWavesPerEU: 80
; NumVGPRsForWavesPerEU: 48
; NamedBarCnt: 0
; Occupancy: 16
; WaveLimiterHint : 1
; COMPUTE_PGM_RSRC2:SCRATCH_EN: 0
; COMPUTE_PGM_RSRC2:USER_SGPR: 2
; COMPUTE_PGM_RSRC2:TRAP_HANDLER: 0
; COMPUTE_PGM_RSRC2:TGID_X_EN: 1
; COMPUTE_PGM_RSRC2:TGID_Y_EN: 0
; COMPUTE_PGM_RSRC2:TGID_Z_EN: 0
; COMPUTE_PGM_RSRC2:TIDIG_COMP_CNT: 0
	.section	.text._ZN2at6native29vectorized_elementwise_kernelILi16EZZZNS0_12_GLOBAL__N_116addr_kernel_cudaERNS_14TensorIteratorERKN3c106ScalarES8_ENKUlvE_clEvENKUlvE8_clEvEUlNS5_8BFloat16ESB_SB_E_St5arrayIPcLm4EEEEviT0_T1_,"axG",@progbits,_ZN2at6native29vectorized_elementwise_kernelILi16EZZZNS0_12_GLOBAL__N_116addr_kernel_cudaERNS_14TensorIteratorERKN3c106ScalarES8_ENKUlvE_clEvENKUlvE8_clEvEUlNS5_8BFloat16ESB_SB_E_St5arrayIPcLm4EEEEviT0_T1_,comdat
	.globl	_ZN2at6native29vectorized_elementwise_kernelILi16EZZZNS0_12_GLOBAL__N_116addr_kernel_cudaERNS_14TensorIteratorERKN3c106ScalarES8_ENKUlvE_clEvENKUlvE8_clEvEUlNS5_8BFloat16ESB_SB_E_St5arrayIPcLm4EEEEviT0_T1_ ; -- Begin function _ZN2at6native29vectorized_elementwise_kernelILi16EZZZNS0_12_GLOBAL__N_116addr_kernel_cudaERNS_14TensorIteratorERKN3c106ScalarES8_ENKUlvE_clEvENKUlvE8_clEvEUlNS5_8BFloat16ESB_SB_E_St5arrayIPcLm4EEEEviT0_T1_
	.p2align	8
	.type	_ZN2at6native29vectorized_elementwise_kernelILi16EZZZNS0_12_GLOBAL__N_116addr_kernel_cudaERNS_14TensorIteratorERKN3c106ScalarES8_ENKUlvE_clEvENKUlvE8_clEvEUlNS5_8BFloat16ESB_SB_E_St5arrayIPcLm4EEEEviT0_T1_,@function
_ZN2at6native29vectorized_elementwise_kernelILi16EZZZNS0_12_GLOBAL__N_116addr_kernel_cudaERNS_14TensorIteratorERKN3c106ScalarES8_ENKUlvE_clEvENKUlvE8_clEvEUlNS5_8BFloat16ESB_SB_E_St5arrayIPcLm4EEEEviT0_T1_: ; @_ZN2at6native29vectorized_elementwise_kernelILi16EZZZNS0_12_GLOBAL__N_116addr_kernel_cudaERNS_14TensorIteratorERKN3c106ScalarES8_ENKUlvE_clEvENKUlvE8_clEvEUlNS5_8BFloat16ESB_SB_E_St5arrayIPcLm4EEEEviT0_T1_
; %bb.0:
	s_clause 0x1
	s_load_b128 s[4:7], s[0:1], 0x0
	s_load_b128 s[8:11], s[0:1], 0x18
	s_wait_xcnt 0x0
	s_bfe_u32 s0, ttmp6, 0x4000c
	s_and_b32 s1, ttmp6, 15
	s_add_co_i32 s0, s0, 1
	s_getreg_b32 s2, hwreg(HW_REG_IB_STS2, 6, 4)
	s_mul_i32 s0, ttmp9, s0
	s_delay_alu instid0(SALU_CYCLE_1) | instskip(SKIP_2) | instid1(SALU_CYCLE_1)
	s_add_co_i32 s1, s1, s0
	s_cmp_eq_u32 s2, 0
	s_cselect_b32 s0, ttmp9, s1
	s_lshl_b32 s2, s0, 11
	s_mov_b32 s0, -1
	s_wait_kmcnt 0x0
	s_sub_co_i32 s4, s4, s2
	s_delay_alu instid0(SALU_CYCLE_1)
	s_cmp_gt_i32 s4, 0x7ff
	s_cbranch_scc0 .LBB160_2
; %bb.1:
	s_ashr_i32 s3, s2, 31
	s_delay_alu instid0(SALU_CYCLE_1) | instskip(NEXT) | instid1(SALU_CYCLE_1)
	s_lshl_b64 s[0:1], s[2:3], 1
	s_add_nc_u64 s[12:13], s[8:9], s[0:1]
	global_load_b128 v[2:5], v0, s[12:13] scale_offset
	s_wait_xcnt 0x0
	s_add_nc_u64 s[12:13], s[10:11], s[0:1]
	global_load_b128 v[6:9], v0, s[12:13] scale_offset
	s_wait_xcnt 0x0
	s_lshl_b32 s12, s5, 16
	s_wait_loadcnt 0x1
	v_and_b32_e32 v11, 0xffff0000, v3
	v_lshlrev_b32_e32 v10, 16, v3
	v_and_b32_e32 v3, 0xffff0000, v2
	v_lshlrev_b32_e32 v2, 16, v2
	;; [unrolled: 2-line block ×3, first 2 shown]
	v_pk_mul_f32 v[10:11], s[12:13], v[10:11] op_sel_hi:[0,1]
	v_and_b32_e32 v5, 0xffff0000, v4
	v_pk_mul_f32 v[2:3], s[12:13], v[2:3] op_sel_hi:[0,1]
	v_lshlrev_b32_e32 v4, 16, v4
	v_pk_mul_f32 v[14:15], s[12:13], v[14:15] op_sel_hi:[0,1]
	v_bfe_u32 v20, v11, 16, 1
	v_bfe_u32 v19, v10, 16, 1
	;; [unrolled: 1-line block ×3, first 2 shown]
	v_cmp_o_f32_e32 vcc_lo, v11, v11
	v_bfe_u32 v1, v2, 16, 1
	v_add3_u32 v20, v11, v20, 0x7fff
	v_add3_u32 v19, v10, v19, 0x7fff
	;; [unrolled: 1-line block ×3, first 2 shown]
	v_pk_mul_f32 v[4:5], s[12:13], v[4:5] op_sel_hi:[0,1]
	v_bfe_u32 v24, v15, 16, 1
	v_and_b32_e32 v20, 0xffff0000, v20
	v_and_b32_e32 v19, 0xffff0000, v19
	v_add3_u32 v1, v2, v1, 0x7fff
	v_and_b32_e32 v18, 0xffff0000, v18
	v_bfe_u32 v22, v5, 16, 1
	v_cndmask_b32_e32 v11, 0x7fc00000, v20, vcc_lo
	v_cmp_o_f32_e32 vcc_lo, v10, v10
	v_add3_u32 v24, v15, v24, 0x7fff
	v_and_b32_e32 v1, 0xffff0000, v1
	s_wait_loadcnt 0x0
	v_and_b32_e32 v13, 0xffff0000, v7
	v_lshlrev_b32_e32 v12, 16, v7
	v_cndmask_b32_e32 v10, 0x7fc00000, v19, vcc_lo
	v_cmp_o_f32_e32 vcc_lo, v3, v3
	v_and_b32_e32 v7, 0xffff0000, v6
	v_lshlrev_b32_e32 v6, 16, v6
	v_bfe_u32 v21, v4, 16, 1
	v_add3_u32 v22, v5, v22, 0x7fff
	v_cndmask_b32_e32 v3, 0x7fc00000, v18, vcc_lo
	v_cmp_o_f32_e32 vcc_lo, v2, v2
	v_and_b32_e32 v24, 0xffff0000, v24
	v_add3_u32 v21, v4, v21, 0x7fff
	v_and_b32_e32 v22, 0xffff0000, v22
	v_and_b32_e32 v17, 0xffff0000, v9
	v_cndmask_b32_e32 v2, 0x7fc00000, v1, vcc_lo
	v_cmp_o_f32_e32 vcc_lo, v15, v15
	v_and_b32_e32 v21, 0xffff0000, v21
	v_lshlrev_b32_e32 v16, 16, v9
	v_and_b32_e32 v9, 0xffff0000, v8
	v_pk_mul_f32 v[2:3], v[2:3], v[6:7]
	v_cndmask_b32_e32 v15, 0x7fc00000, v24, vcc_lo
	v_cmp_o_f32_e32 vcc_lo, v5, v5
	v_lshlrev_b32_e32 v8, 16, v8
	v_bfe_u32 v23, v14, 16, 1
	v_bfe_u32 v1, v2, 16, 1
	s_add_nc_u64 s[12:13], s[6:7], s[0:1]
	v_cndmask_b32_e32 v5, 0x7fc00000, v22, vcc_lo
	v_cmp_o_f32_e32 vcc_lo, v4, v4
	v_add3_u32 v23, v14, v23, 0x7fff
	v_add3_u32 v1, v2, v1, 0x7fff
	s_mov_b32 s0, 0
	v_cndmask_b32_e32 v4, 0x7fc00000, v21, vcc_lo
	s_delay_alu instid0(VALU_DEP_3) | instskip(NEXT) | instid1(VALU_DEP_3)
	v_and_b32_e32 v23, 0xffff0000, v23
	v_lshrrev_b32_e32 v1, 16, v1
	v_pk_mul_f32 v[6:7], v[10:11], v[12:13]
	v_cmp_o_f32_e32 vcc_lo, v14, v14
	v_pk_mul_f32 v[4:5], v[4:5], v[8:9]
	v_bfe_u32 v10, v3, 16, 1
	s_delay_alu instid0(VALU_DEP_4) | instskip(SKIP_1) | instid1(VALU_DEP_4)
	v_bfe_u32 v11, v6, 16, 1
	v_bfe_u32 v12, v7, 16, 1
	;; [unrolled: 1-line block ×3, first 2 shown]
	s_delay_alu instid0(VALU_DEP_4) | instskip(NEXT) | instid1(VALU_DEP_4)
	v_add3_u32 v10, v3, v10, 0x7fff
	v_add3_u32 v11, v6, v11, 0x7fff
	s_delay_alu instid0(VALU_DEP_4) | instskip(NEXT) | instid1(VALU_DEP_4)
	v_add3_u32 v12, v7, v12, 0x7fff
	v_add3_u32 v13, v4, v13, 0x7fff
	v_cndmask_b32_e32 v14, 0x7fc00000, v23, vcc_lo
	v_cmp_o_f32_e32 vcc_lo, v2, v2
	s_delay_alu instid0(VALU_DEP_4) | instskip(NEXT) | instid1(VALU_DEP_4)
	v_dual_lshrrev_b32 v11, 16, v11 :: v_dual_lshrrev_b32 v12, 16, v12
	v_lshrrev_b32_e32 v13, 16, v13
	s_delay_alu instid0(VALU_DEP_4)
	v_pk_mul_f32 v[8:9], v[14:15], v[16:17]
	v_cndmask_b32_e32 v1, 0x7fc0, v1, vcc_lo
	v_cmp_o_f32_e32 vcc_lo, v6, v6
	v_bfe_u32 v14, v5, 16, 1
	v_lshrrev_b32_e32 v10, 16, v10
	v_bfe_u32 v15, v8, 16, 1
	v_bfe_u32 v16, v9, 16, 1
	v_cndmask_b32_e32 v2, 0x7fc0, v11, vcc_lo
	v_cmp_o_f32_e32 vcc_lo, v7, v7
	v_add3_u32 v14, v5, v14, 0x7fff
	v_add3_u32 v15, v8, v15, 0x7fff
	;; [unrolled: 1-line block ×3, first 2 shown]
	v_cndmask_b32_e32 v6, 0x7fc0, v12, vcc_lo
	v_cmp_o_f32_e32 vcc_lo, v4, v4
	s_delay_alu instid0(VALU_DEP_3) | instskip(SKIP_3) | instid1(VALU_DEP_4)
	v_dual_lshrrev_b32 v15, 16, v15 :: v_dual_lshrrev_b32 v16, 16, v16
	v_lshrrev_b32_e32 v14, 16, v14
	v_cndmask_b32_e32 v4, 0x7fc0, v13, vcc_lo
	v_cmp_o_f32_e32 vcc_lo, v8, v8
	v_cndmask_b32_e32 v7, 0x7fc0, v15, vcc_lo
	v_cmp_o_f32_e32 vcc_lo, v9, v9
	;; [unrolled: 2-line block ×3, first 2 shown]
	s_delay_alu instid0(VALU_DEP_2) | instskip(SKIP_3) | instid1(VALU_DEP_3)
	v_perm_b32 v5, v8, v7, 0x5040100
	v_cndmask_b32_e32 v9, 0x7fc0, v14, vcc_lo
	v_cmp_o_f32_e32 vcc_lo, v3, v3
	v_perm_b32 v3, v6, v2, 0x5040100
	v_perm_b32 v4, v9, v4, 0x5040100
	v_cndmask_b32_e32 v10, 0x7fc0, v10, vcc_lo
	s_delay_alu instid0(VALU_DEP_1)
	v_perm_b32 v2, v10, v1, 0x5040100
	global_store_b128 v0, v[2:5], s[12:13] scale_offset
.LBB160_2:
	s_and_not1_b32 vcc_lo, exec_lo, s0
	s_cbranch_vccnz .LBB160_43
; %bb.3:
	v_cmp_gt_i32_e32 vcc_lo, s4, v0
	s_wait_xcnt 0x0
	v_dual_mov_b32 v3, 0 :: v_dual_bitop2_b32 v1, s2, v0 bitop3:0x54
	v_or_b32_e32 v2, 0x100, v0
	v_dual_mov_b32 v19, v0 :: v_dual_mov_b32 v8, 0
	v_mov_b32_e32 v7, 0
	s_and_saveexec_b32 s0, vcc_lo
	s_cbranch_execz .LBB160_5
; %bb.4:
	s_clause 0x1
	global_load_u16 v4, v1, s[8:9] scale_offset
	global_load_u16 v5, v1, s[10:11] scale_offset
	v_or_b32_e32 v19, 0x100, v0
	s_wait_loadcnt 0x0
	v_dual_lshlrev_b32 v8, 16, v4 :: v_dual_lshlrev_b32 v7, 16, v5
.LBB160_5:
	s_wait_xcnt 0x0
	s_or_b32 exec_lo, exec_lo, s0
	v_mov_b32_e32 v9, 0
	s_mov_b32 s1, exec_lo
	v_cmpx_gt_i32_e64 s4, v19
	s_cbranch_execz .LBB160_7
; %bb.6:
	v_add_nc_u32_e32 v3, s2, v19
	v_add_nc_u32_e32 v19, 0x100, v19
	s_clause 0x1
	global_load_u16 v4, v3, s[8:9] scale_offset
	global_load_u16 v5, v3, s[10:11] scale_offset
	s_wait_loadcnt 0x0
	v_dual_lshlrev_b32 v3, 16, v4 :: v_dual_lshlrev_b32 v9, 16, v5
.LBB160_7:
	s_or_b32 exec_lo, exec_lo, s1
	v_dual_mov_b32 v4, 0 :: v_dual_mov_b32 v12, 0
	v_mov_b32_e32 v10, 0
	s_mov_b32 s1, exec_lo
	v_cmpx_gt_i32_e64 s4, v19
	s_cbranch_execz .LBB160_9
; %bb.8:
	v_add_nc_u32_e32 v5, s2, v19
	v_add_nc_u32_e32 v19, 0x100, v19
	s_clause 0x1
	global_load_u16 v6, v5, s[8:9] scale_offset
	global_load_u16 v10, v5, s[10:11] scale_offset
	s_wait_loadcnt 0x1
	v_lshlrev_b32_e32 v12, 16, v6
	s_wait_loadcnt 0x0
	v_lshlrev_b32_e32 v10, 16, v10
.LBB160_9:
	s_wait_xcnt 0x0
	s_or_b32 exec_lo, exec_lo, s1
	v_mov_b32_e32 v11, 0
	s_mov_b32 s1, exec_lo
	v_cmpx_gt_i32_e64 s4, v19
	s_cbranch_execz .LBB160_11
; %bb.10:
	v_add_nc_u32_e32 v4, s2, v19
	v_add_nc_u32_e32 v19, 0x100, v19
	s_clause 0x1
	global_load_u16 v5, v4, s[8:9] scale_offset
	global_load_u16 v6, v4, s[10:11] scale_offset
	s_wait_loadcnt 0x0
	v_dual_lshlrev_b32 v4, 16, v5 :: v_dual_lshlrev_b32 v11, 16, v6
.LBB160_11:
	s_or_b32 exec_lo, exec_lo, s1
	v_dual_mov_b32 v5, 0 :: v_dual_mov_b32 v15, 0
	v_mov_b32_e32 v13, 0
	s_mov_b32 s1, exec_lo
	v_cmpx_gt_i32_e64 s4, v19
	s_cbranch_execz .LBB160_13
; %bb.12:
	v_add_nc_u32_e32 v6, s2, v19
	v_add_nc_u32_e32 v19, 0x100, v19
	s_clause 0x1
	global_load_u16 v13, v6, s[8:9] scale_offset
	global_load_u16 v14, v6, s[10:11] scale_offset
	s_wait_loadcnt 0x0
	v_dual_lshlrev_b32 v15, 16, v13 :: v_dual_lshlrev_b32 v13, 16, v14
.LBB160_13:
	s_wait_xcnt 0x0
	s_or_b32 exec_lo, exec_lo, s1
	v_mov_b32_e32 v14, 0
	s_mov_b32 s1, exec_lo
	v_cmpx_gt_i32_e64 s4, v19
	s_cbranch_execz .LBB160_15
; %bb.14:
	v_add_nc_u32_e32 v5, s2, v19
	v_add_nc_u32_e32 v19, 0x100, v19
	s_clause 0x1
	global_load_u16 v6, v5, s[8:9] scale_offset
	global_load_u16 v14, v5, s[10:11] scale_offset
	s_wait_loadcnt 0x1
	s_wait_xcnt 0x0
	v_lshlrev_b32_e32 v5, 16, v6
	s_wait_loadcnt 0x0
	v_lshlrev_b32_e32 v14, 16, v14
.LBB160_15:
	s_or_b32 exec_lo, exec_lo, s1
	v_dual_mov_b32 v6, 0 :: v_dual_mov_b32 v18, 0
	v_mov_b32_e32 v16, 0
	s_mov_b32 s1, exec_lo
	v_cmpx_gt_i32_e64 s4, v19
	s_cbranch_execz .LBB160_17
; %bb.16:
	v_add_nc_u32_e32 v16, s2, v19
	v_add_nc_u32_e32 v19, 0x100, v19
	s_clause 0x1
	global_load_u16 v17, v16, s[8:9] scale_offset
	global_load_u16 v20, v16, s[10:11] scale_offset
	s_wait_loadcnt 0x0
	v_dual_lshlrev_b32 v18, 16, v17 :: v_dual_lshlrev_b32 v16, 16, v20
.LBB160_17:
	s_or_b32 exec_lo, exec_lo, s1
	v_mov_b32_e32 v17, 0
	s_mov_b32 s1, exec_lo
	v_cmpx_gt_i32_e64 s4, v19
	s_cbranch_execz .LBB160_19
; %bb.18:
	v_add_nc_u32_e32 v6, s2, v19
	s_clause 0x1
	global_load_u16 v17, v6, s[8:9] scale_offset
	global_load_u16 v19, v6, s[10:11] scale_offset
	s_wait_loadcnt 0x0
	v_dual_lshlrev_b32 v6, 16, v17 :: v_dual_lshlrev_b32 v17, 16, v19
.LBB160_19:
	s_or_b32 exec_lo, exec_lo, s1
	s_lshl_b32 s1, s5, 16
                                        ; implicit-def: $vgpr19
	s_and_saveexec_b32 s3, vcc_lo
	s_cbranch_execz .LBB160_21
; %bb.20:
	v_mul_f32_e32 v8, s1, v8
	s_delay_alu instid0(VALU_DEP_1) | instskip(SKIP_1) | instid1(VALU_DEP_2)
	v_bfe_u32 v19, v8, 16, 1
	v_cmp_o_f32_e64 s0, v8, v8
	v_add3_u32 v19, v8, v19, 0x7fff
	s_delay_alu instid0(VALU_DEP_1) | instskip(NEXT) | instid1(VALU_DEP_1)
	v_and_b32_e32 v19, 0xffff0000, v19
	v_cndmask_b32_e64 v8, 0x7fc00000, v19, s0
	s_delay_alu instid0(VALU_DEP_1) | instskip(NEXT) | instid1(VALU_DEP_1)
	v_mul_f32_e32 v7, v7, v8
	v_bfe_u32 v8, v7, 16, 1
	s_delay_alu instid0(VALU_DEP_1) | instskip(NEXT) | instid1(VALU_DEP_1)
	v_add3_u32 v8, v7, v8, 0x7fff
	v_lshrrev_b32_e32 v8, 16, v8
	v_cmp_o_f32_e64 s0, v7, v7
	s_delay_alu instid0(VALU_DEP_1)
	v_cndmask_b32_e64 v19, 0x7fc0, v8, s0
.LBB160_21:
	s_or_b32 exec_lo, exec_lo, s3
	s_delay_alu instid0(SALU_CYCLE_1)
	s_mov_b32 s3, exec_lo
                                        ; implicit-def: $vgpr7
	v_cmpx_gt_i32_e64 s4, v2
	s_cbranch_execz .LBB160_23
; %bb.22:
	v_mul_f32_e32 v3, s1, v3
	s_delay_alu instid0(VALU_DEP_1) | instskip(SKIP_1) | instid1(VALU_DEP_2)
	v_bfe_u32 v7, v3, 16, 1
	v_cmp_o_f32_e64 s0, v3, v3
	v_add3_u32 v7, v3, v7, 0x7fff
	s_delay_alu instid0(VALU_DEP_1) | instskip(NEXT) | instid1(VALU_DEP_1)
	v_and_b32_e32 v7, 0xffff0000, v7
	v_cndmask_b32_e64 v3, 0x7fc00000, v7, s0
	s_delay_alu instid0(VALU_DEP_1) | instskip(NEXT) | instid1(VALU_DEP_1)
	v_mul_f32_e32 v3, v9, v3
	v_bfe_u32 v7, v3, 16, 1
	v_cmp_o_f32_e64 s0, v3, v3
	s_delay_alu instid0(VALU_DEP_2) | instskip(NEXT) | instid1(VALU_DEP_1)
	v_add3_u32 v7, v3, v7, 0x7fff
	v_lshrrev_b32_e32 v7, 16, v7
	s_delay_alu instid0(VALU_DEP_1)
	v_cndmask_b32_e64 v7, 0x7fc0, v7, s0
.LBB160_23:
	s_or_b32 exec_lo, exec_lo, s3
	v_or_b32_e32 v3, 0x200, v0
	s_delay_alu instid0(VALU_DEP_1)
	v_cmp_gt_i32_e64 s0, s4, v3
                                        ; implicit-def: $vgpr3
	s_and_saveexec_b32 s3, s0
	s_cbranch_execz .LBB160_25
; %bb.24:
	v_mul_f32_e32 v3, s1, v12
	s_delay_alu instid0(VALU_DEP_1) | instskip(SKIP_1) | instid1(VALU_DEP_2)
	v_bfe_u32 v8, v3, 16, 1
	v_cmp_o_f32_e64 s0, v3, v3
	v_add3_u32 v8, v3, v8, 0x7fff
	s_delay_alu instid0(VALU_DEP_1) | instskip(NEXT) | instid1(VALU_DEP_1)
	v_and_b32_e32 v8, 0xffff0000, v8
	v_cndmask_b32_e64 v3, 0x7fc00000, v8, s0
	s_delay_alu instid0(VALU_DEP_1) | instskip(NEXT) | instid1(VALU_DEP_1)
	v_mul_f32_e32 v3, v10, v3
	v_bfe_u32 v8, v3, 16, 1
	s_delay_alu instid0(VALU_DEP_1) | instskip(NEXT) | instid1(VALU_DEP_1)
	v_add3_u32 v8, v3, v8, 0x7fff
	v_lshrrev_b32_e32 v8, 16, v8
	v_cmp_o_f32_e64 s0, v3, v3
	s_delay_alu instid0(VALU_DEP_1)
	v_cndmask_b32_e64 v3, 0x7fc0, v8, s0
.LBB160_25:
	s_or_b32 exec_lo, exec_lo, s3
	v_or_b32_e32 v8, 0x300, v0
	s_delay_alu instid0(VALU_DEP_1)
	v_cmp_gt_i32_e64 s0, s4, v8
                                        ; implicit-def: $vgpr8
	s_and_saveexec_b32 s3, s0
	s_cbranch_execz .LBB160_27
; %bb.26:
	v_mul_f32_e32 v4, s1, v4
	s_delay_alu instid0(VALU_DEP_1) | instskip(SKIP_1) | instid1(VALU_DEP_2)
	v_bfe_u32 v8, v4, 16, 1
	v_cmp_o_f32_e64 s0, v4, v4
	v_add3_u32 v8, v4, v8, 0x7fff
	s_delay_alu instid0(VALU_DEP_1) | instskip(NEXT) | instid1(VALU_DEP_1)
	v_and_b32_e32 v8, 0xffff0000, v8
	v_cndmask_b32_e64 v4, 0x7fc00000, v8, s0
	s_delay_alu instid0(VALU_DEP_1) | instskip(NEXT) | instid1(VALU_DEP_1)
	v_mul_f32_e32 v4, v11, v4
	v_bfe_u32 v8, v4, 16, 1
	v_cmp_o_f32_e64 s0, v4, v4
	s_delay_alu instid0(VALU_DEP_2) | instskip(NEXT) | instid1(VALU_DEP_1)
	v_add3_u32 v8, v4, v8, 0x7fff
	v_lshrrev_b32_e32 v8, 16, v8
	s_delay_alu instid0(VALU_DEP_1)
	v_cndmask_b32_e64 v8, 0x7fc0, v8, s0
.LBB160_27:
	s_or_b32 exec_lo, exec_lo, s3
	v_or_b32_e32 v4, 0x400, v0
	s_delay_alu instid0(VALU_DEP_1)
	v_cmp_gt_i32_e64 s0, s4, v4
                                        ; implicit-def: $vgpr4
	s_and_saveexec_b32 s3, s0
	s_cbranch_execz .LBB160_29
; %bb.28:
	v_mul_f32_e32 v4, s1, v15
	s_delay_alu instid0(VALU_DEP_1) | instskip(SKIP_1) | instid1(VALU_DEP_2)
	v_bfe_u32 v9, v4, 16, 1
	v_cmp_o_f32_e64 s0, v4, v4
	v_add3_u32 v9, v4, v9, 0x7fff
	s_delay_alu instid0(VALU_DEP_1) | instskip(NEXT) | instid1(VALU_DEP_1)
	v_and_b32_e32 v9, 0xffff0000, v9
	v_cndmask_b32_e64 v4, 0x7fc00000, v9, s0
	s_delay_alu instid0(VALU_DEP_1) | instskip(NEXT) | instid1(VALU_DEP_1)
	v_mul_f32_e32 v4, v13, v4
	v_bfe_u32 v9, v4, 16, 1
	v_cmp_o_f32_e64 s0, v4, v4
	s_delay_alu instid0(VALU_DEP_2) | instskip(NEXT) | instid1(VALU_DEP_1)
	v_add3_u32 v9, v4, v9, 0x7fff
	v_lshrrev_b32_e32 v9, 16, v9
	s_delay_alu instid0(VALU_DEP_1)
	v_cndmask_b32_e64 v4, 0x7fc0, v9, s0
.LBB160_29:
	s_or_b32 exec_lo, exec_lo, s3
	v_or_b32_e32 v9, 0x500, v0
	s_delay_alu instid0(VALU_DEP_1)
	v_cmp_gt_i32_e64 s0, s4, v9
                                        ; implicit-def: $vgpr9
	s_and_saveexec_b32 s3, s0
	s_cbranch_execz .LBB160_31
; %bb.30:
	v_mul_f32_e32 v5, s1, v5
	s_delay_alu instid0(VALU_DEP_1) | instskip(SKIP_1) | instid1(VALU_DEP_2)
	v_bfe_u32 v9, v5, 16, 1
	v_cmp_o_f32_e64 s0, v5, v5
	v_add3_u32 v9, v5, v9, 0x7fff
	s_delay_alu instid0(VALU_DEP_1) | instskip(NEXT) | instid1(VALU_DEP_1)
	v_and_b32_e32 v9, 0xffff0000, v9
	v_cndmask_b32_e64 v5, 0x7fc00000, v9, s0
	s_delay_alu instid0(VALU_DEP_1) | instskip(NEXT) | instid1(VALU_DEP_1)
	v_mul_f32_e32 v5, v14, v5
	v_bfe_u32 v9, v5, 16, 1
	v_cmp_o_f32_e64 s0, v5, v5
	s_delay_alu instid0(VALU_DEP_2) | instskip(NEXT) | instid1(VALU_DEP_1)
	v_add3_u32 v9, v5, v9, 0x7fff
	v_lshrrev_b32_e32 v9, 16, v9
	s_delay_alu instid0(VALU_DEP_1)
	v_cndmask_b32_e64 v9, 0x7fc0, v9, s0
.LBB160_31:
	s_or_b32 exec_lo, exec_lo, s3
	v_or_b32_e32 v5, 0x600, v0
	s_delay_alu instid0(VALU_DEP_1)
	v_cmp_gt_i32_e64 s0, s4, v5
                                        ; implicit-def: $vgpr5
	s_and_saveexec_b32 s3, s0
	s_cbranch_execz .LBB160_33
; %bb.32:
	v_mul_f32_e32 v5, s1, v18
	s_delay_alu instid0(VALU_DEP_1) | instskip(SKIP_1) | instid1(VALU_DEP_2)
	v_bfe_u32 v10, v5, 16, 1
	v_cmp_o_f32_e64 s0, v5, v5
	v_add3_u32 v10, v5, v10, 0x7fff
	s_delay_alu instid0(VALU_DEP_1) | instskip(NEXT) | instid1(VALU_DEP_1)
	v_and_b32_e32 v10, 0xffff0000, v10
	v_cndmask_b32_e64 v5, 0x7fc00000, v10, s0
	s_delay_alu instid0(VALU_DEP_1) | instskip(NEXT) | instid1(VALU_DEP_1)
	v_mul_f32_e32 v5, v16, v5
	v_bfe_u32 v10, v5, 16, 1
	s_delay_alu instid0(VALU_DEP_1) | instskip(NEXT) | instid1(VALU_DEP_1)
	v_add3_u32 v10, v5, v10, 0x7fff
	v_lshrrev_b32_e32 v10, 16, v10
	v_cmp_o_f32_e64 s0, v5, v5
	s_delay_alu instid0(VALU_DEP_1)
	v_cndmask_b32_e64 v5, 0x7fc0, v10, s0
.LBB160_33:
	s_or_b32 exec_lo, exec_lo, s3
	v_or_b32_e32 v10, 0x700, v0
	s_delay_alu instid0(VALU_DEP_1)
	v_cmp_gt_i32_e64 s0, s4, v10
                                        ; implicit-def: $vgpr10
	s_and_saveexec_b32 s3, s0
	s_cbranch_execz .LBB160_44
; %bb.34:
	v_mul_f32_e32 v6, s1, v6
	s_delay_alu instid0(VALU_DEP_1) | instskip(SKIP_1) | instid1(VALU_DEP_2)
	v_bfe_u32 v10, v6, 16, 1
	v_cmp_o_f32_e64 s0, v6, v6
	v_add3_u32 v10, v6, v10, 0x7fff
	s_delay_alu instid0(VALU_DEP_1) | instskip(NEXT) | instid1(VALU_DEP_1)
	v_and_b32_e32 v10, 0xffff0000, v10
	v_cndmask_b32_e64 v6, 0x7fc00000, v10, s0
	s_delay_alu instid0(VALU_DEP_1) | instskip(NEXT) | instid1(VALU_DEP_1)
	v_mul_f32_e32 v6, v17, v6
	v_bfe_u32 v10, v6, 16, 1
	v_cmp_o_f32_e64 s0, v6, v6
	s_delay_alu instid0(VALU_DEP_2) | instskip(NEXT) | instid1(VALU_DEP_1)
	v_add3_u32 v10, v6, v10, 0x7fff
	v_lshrrev_b32_e32 v10, 16, v10
	s_delay_alu instid0(VALU_DEP_1) | instskip(SKIP_2) | instid1(SALU_CYCLE_1)
	v_cndmask_b32_e64 v10, 0x7fc0, v10, s0
	s_or_b32 exec_lo, exec_lo, s3
	s_and_saveexec_b32 s0, vcc_lo
	s_xor_b32 s0, exec_lo, s0
	s_cbranch_execnz .LBB160_45
.LBB160_35:
	s_or_b32 exec_lo, exec_lo, s0
	s_delay_alu instid0(SALU_CYCLE_1)
	s_mov_b32 s0, exec_lo
	v_cmpx_gt_i32_e64 s4, v0
	s_cbranch_execz .LBB160_46
.LBB160_36:
	v_add_nc_u32_e32 v1, s2, v0
	v_add_nc_u32_e32 v0, 0x100, v0
	global_store_b16 v1, v7, s[6:7] scale_offset
	s_wait_xcnt 0x0
	s_or_b32 exec_lo, exec_lo, s0
	s_delay_alu instid0(SALU_CYCLE_1)
	s_mov_b32 s0, exec_lo
	v_cmpx_gt_i32_e64 s4, v0
	s_cbranch_execnz .LBB160_47
.LBB160_37:
	s_or_b32 exec_lo, exec_lo, s0
	s_delay_alu instid0(SALU_CYCLE_1)
	s_mov_b32 s0, exec_lo
	v_cmpx_gt_i32_e64 s4, v0
	s_cbranch_execz .LBB160_48
.LBB160_38:
	v_add_nc_u32_e32 v1, s2, v0
	v_add_nc_u32_e32 v0, 0x100, v0
	global_store_b16 v1, v8, s[6:7] scale_offset
	s_wait_xcnt 0x0
	s_or_b32 exec_lo, exec_lo, s0
	s_delay_alu instid0(SALU_CYCLE_1)
	s_mov_b32 s0, exec_lo
	v_cmpx_gt_i32_e64 s4, v0
	s_cbranch_execnz .LBB160_49
.LBB160_39:
	s_or_b32 exec_lo, exec_lo, s0
	s_delay_alu instid0(SALU_CYCLE_1)
	s_mov_b32 s0, exec_lo
	v_cmpx_gt_i32_e64 s4, v0
	s_cbranch_execz .LBB160_50
.LBB160_40:
	v_add_nc_u32_e32 v1, s2, v0
	v_add_nc_u32_e32 v0, 0x100, v0
	global_store_b16 v1, v9, s[6:7] scale_offset
	s_wait_xcnt 0x0
	s_or_b32 exec_lo, exec_lo, s0
	s_delay_alu instid0(SALU_CYCLE_1)
	s_mov_b32 s0, exec_lo
	v_cmpx_gt_i32_e64 s4, v0
	s_cbranch_execnz .LBB160_51
.LBB160_41:
	s_or_b32 exec_lo, exec_lo, s0
	s_delay_alu instid0(SALU_CYCLE_1)
	s_mov_b32 s0, exec_lo
	v_cmpx_gt_i32_e64 s4, v0
	s_cbranch_execz .LBB160_43
.LBB160_42:
	v_add_nc_u32_e32 v0, s2, v0
	global_store_b16 v0, v10, s[6:7] scale_offset
.LBB160_43:
	s_endpgm
.LBB160_44:
	s_or_b32 exec_lo, exec_lo, s3
	s_and_saveexec_b32 s0, vcc_lo
	s_delay_alu instid0(SALU_CYCLE_1)
	s_xor_b32 s0, exec_lo, s0
	s_cbranch_execz .LBB160_35
.LBB160_45:
	v_mov_b32_e32 v0, v2
	global_store_b16 v1, v19, s[6:7] scale_offset
	s_wait_xcnt 0x0
	s_or_b32 exec_lo, exec_lo, s0
	s_delay_alu instid0(SALU_CYCLE_1)
	s_mov_b32 s0, exec_lo
	v_cmpx_gt_i32_e64 s4, v0
	s_cbranch_execnz .LBB160_36
.LBB160_46:
	s_or_b32 exec_lo, exec_lo, s0
	s_delay_alu instid0(SALU_CYCLE_1)
	s_mov_b32 s0, exec_lo
	v_cmpx_gt_i32_e64 s4, v0
	s_cbranch_execz .LBB160_37
.LBB160_47:
	v_add_nc_u32_e32 v1, s2, v0
	v_add_nc_u32_e32 v0, 0x100, v0
	global_store_b16 v1, v3, s[6:7] scale_offset
	s_wait_xcnt 0x0
	s_or_b32 exec_lo, exec_lo, s0
	s_delay_alu instid0(SALU_CYCLE_1)
	s_mov_b32 s0, exec_lo
	v_cmpx_gt_i32_e64 s4, v0
	s_cbranch_execnz .LBB160_38
.LBB160_48:
	s_or_b32 exec_lo, exec_lo, s0
	s_delay_alu instid0(SALU_CYCLE_1)
	s_mov_b32 s0, exec_lo
	v_cmpx_gt_i32_e64 s4, v0
	s_cbranch_execz .LBB160_39
.LBB160_49:
	v_add_nc_u32_e32 v1, s2, v0
	v_add_nc_u32_e32 v0, 0x100, v0
	global_store_b16 v1, v4, s[6:7] scale_offset
	s_wait_xcnt 0x0
	s_or_b32 exec_lo, exec_lo, s0
	s_delay_alu instid0(SALU_CYCLE_1)
	s_mov_b32 s0, exec_lo
	v_cmpx_gt_i32_e64 s4, v0
	s_cbranch_execnz .LBB160_40
.LBB160_50:
	s_or_b32 exec_lo, exec_lo, s0
	s_delay_alu instid0(SALU_CYCLE_1)
	s_mov_b32 s0, exec_lo
	v_cmpx_gt_i32_e64 s4, v0
	s_cbranch_execz .LBB160_41
.LBB160_51:
	v_add_nc_u32_e32 v1, s2, v0
	v_add_nc_u32_e32 v0, 0x100, v0
	global_store_b16 v1, v5, s[6:7] scale_offset
	s_wait_xcnt 0x0
	s_or_b32 exec_lo, exec_lo, s0
	s_delay_alu instid0(SALU_CYCLE_1)
	s_mov_b32 s0, exec_lo
	v_cmpx_gt_i32_e64 s4, v0
	s_cbranch_execnz .LBB160_42
	s_branch .LBB160_43
	.section	.rodata,"a",@progbits
	.p2align	6, 0x0
	.amdhsa_kernel _ZN2at6native29vectorized_elementwise_kernelILi16EZZZNS0_12_GLOBAL__N_116addr_kernel_cudaERNS_14TensorIteratorERKN3c106ScalarES8_ENKUlvE_clEvENKUlvE8_clEvEUlNS5_8BFloat16ESB_SB_E_St5arrayIPcLm4EEEEviT0_T1_
		.amdhsa_group_segment_fixed_size 0
		.amdhsa_private_segment_fixed_size 0
		.amdhsa_kernarg_size 40
		.amdhsa_user_sgpr_count 2
		.amdhsa_user_sgpr_dispatch_ptr 0
		.amdhsa_user_sgpr_queue_ptr 0
		.amdhsa_user_sgpr_kernarg_segment_ptr 1
		.amdhsa_user_sgpr_dispatch_id 0
		.amdhsa_user_sgpr_kernarg_preload_length 0
		.amdhsa_user_sgpr_kernarg_preload_offset 0
		.amdhsa_user_sgpr_private_segment_size 0
		.amdhsa_wavefront_size32 1
		.amdhsa_uses_dynamic_stack 0
		.amdhsa_enable_private_segment 0
		.amdhsa_system_sgpr_workgroup_id_x 1
		.amdhsa_system_sgpr_workgroup_id_y 0
		.amdhsa_system_sgpr_workgroup_id_z 0
		.amdhsa_system_sgpr_workgroup_info 0
		.amdhsa_system_vgpr_workitem_id 0
		.amdhsa_next_free_vgpr 25
		.amdhsa_next_free_sgpr 14
		.amdhsa_named_barrier_count 0
		.amdhsa_reserve_vcc 1
		.amdhsa_float_round_mode_32 0
		.amdhsa_float_round_mode_16_64 0
		.amdhsa_float_denorm_mode_32 3
		.amdhsa_float_denorm_mode_16_64 3
		.amdhsa_fp16_overflow 0
		.amdhsa_memory_ordered 1
		.amdhsa_forward_progress 1
		.amdhsa_inst_pref_size 28
		.amdhsa_round_robin_scheduling 0
		.amdhsa_exception_fp_ieee_invalid_op 0
		.amdhsa_exception_fp_denorm_src 0
		.amdhsa_exception_fp_ieee_div_zero 0
		.amdhsa_exception_fp_ieee_overflow 0
		.amdhsa_exception_fp_ieee_underflow 0
		.amdhsa_exception_fp_ieee_inexact 0
		.amdhsa_exception_int_div_zero 0
	.end_amdhsa_kernel
	.section	.text._ZN2at6native29vectorized_elementwise_kernelILi16EZZZNS0_12_GLOBAL__N_116addr_kernel_cudaERNS_14TensorIteratorERKN3c106ScalarES8_ENKUlvE_clEvENKUlvE8_clEvEUlNS5_8BFloat16ESB_SB_E_St5arrayIPcLm4EEEEviT0_T1_,"axG",@progbits,_ZN2at6native29vectorized_elementwise_kernelILi16EZZZNS0_12_GLOBAL__N_116addr_kernel_cudaERNS_14TensorIteratorERKN3c106ScalarES8_ENKUlvE_clEvENKUlvE8_clEvEUlNS5_8BFloat16ESB_SB_E_St5arrayIPcLm4EEEEviT0_T1_,comdat
.Lfunc_end160:
	.size	_ZN2at6native29vectorized_elementwise_kernelILi16EZZZNS0_12_GLOBAL__N_116addr_kernel_cudaERNS_14TensorIteratorERKN3c106ScalarES8_ENKUlvE_clEvENKUlvE8_clEvEUlNS5_8BFloat16ESB_SB_E_St5arrayIPcLm4EEEEviT0_T1_, .Lfunc_end160-_ZN2at6native29vectorized_elementwise_kernelILi16EZZZNS0_12_GLOBAL__N_116addr_kernel_cudaERNS_14TensorIteratorERKN3c106ScalarES8_ENKUlvE_clEvENKUlvE8_clEvEUlNS5_8BFloat16ESB_SB_E_St5arrayIPcLm4EEEEviT0_T1_
                                        ; -- End function
	.set _ZN2at6native29vectorized_elementwise_kernelILi16EZZZNS0_12_GLOBAL__N_116addr_kernel_cudaERNS_14TensorIteratorERKN3c106ScalarES8_ENKUlvE_clEvENKUlvE8_clEvEUlNS5_8BFloat16ESB_SB_E_St5arrayIPcLm4EEEEviT0_T1_.num_vgpr, 25
	.set _ZN2at6native29vectorized_elementwise_kernelILi16EZZZNS0_12_GLOBAL__N_116addr_kernel_cudaERNS_14TensorIteratorERKN3c106ScalarES8_ENKUlvE_clEvENKUlvE8_clEvEUlNS5_8BFloat16ESB_SB_E_St5arrayIPcLm4EEEEviT0_T1_.num_agpr, 0
	.set _ZN2at6native29vectorized_elementwise_kernelILi16EZZZNS0_12_GLOBAL__N_116addr_kernel_cudaERNS_14TensorIteratorERKN3c106ScalarES8_ENKUlvE_clEvENKUlvE8_clEvEUlNS5_8BFloat16ESB_SB_E_St5arrayIPcLm4EEEEviT0_T1_.numbered_sgpr, 14
	.set _ZN2at6native29vectorized_elementwise_kernelILi16EZZZNS0_12_GLOBAL__N_116addr_kernel_cudaERNS_14TensorIteratorERKN3c106ScalarES8_ENKUlvE_clEvENKUlvE8_clEvEUlNS5_8BFloat16ESB_SB_E_St5arrayIPcLm4EEEEviT0_T1_.num_named_barrier, 0
	.set _ZN2at6native29vectorized_elementwise_kernelILi16EZZZNS0_12_GLOBAL__N_116addr_kernel_cudaERNS_14TensorIteratorERKN3c106ScalarES8_ENKUlvE_clEvENKUlvE8_clEvEUlNS5_8BFloat16ESB_SB_E_St5arrayIPcLm4EEEEviT0_T1_.private_seg_size, 0
	.set _ZN2at6native29vectorized_elementwise_kernelILi16EZZZNS0_12_GLOBAL__N_116addr_kernel_cudaERNS_14TensorIteratorERKN3c106ScalarES8_ENKUlvE_clEvENKUlvE8_clEvEUlNS5_8BFloat16ESB_SB_E_St5arrayIPcLm4EEEEviT0_T1_.uses_vcc, 1
	.set _ZN2at6native29vectorized_elementwise_kernelILi16EZZZNS0_12_GLOBAL__N_116addr_kernel_cudaERNS_14TensorIteratorERKN3c106ScalarES8_ENKUlvE_clEvENKUlvE8_clEvEUlNS5_8BFloat16ESB_SB_E_St5arrayIPcLm4EEEEviT0_T1_.uses_flat_scratch, 0
	.set _ZN2at6native29vectorized_elementwise_kernelILi16EZZZNS0_12_GLOBAL__N_116addr_kernel_cudaERNS_14TensorIteratorERKN3c106ScalarES8_ENKUlvE_clEvENKUlvE8_clEvEUlNS5_8BFloat16ESB_SB_E_St5arrayIPcLm4EEEEviT0_T1_.has_dyn_sized_stack, 0
	.set _ZN2at6native29vectorized_elementwise_kernelILi16EZZZNS0_12_GLOBAL__N_116addr_kernel_cudaERNS_14TensorIteratorERKN3c106ScalarES8_ENKUlvE_clEvENKUlvE8_clEvEUlNS5_8BFloat16ESB_SB_E_St5arrayIPcLm4EEEEviT0_T1_.has_recursion, 0
	.set _ZN2at6native29vectorized_elementwise_kernelILi16EZZZNS0_12_GLOBAL__N_116addr_kernel_cudaERNS_14TensorIteratorERKN3c106ScalarES8_ENKUlvE_clEvENKUlvE8_clEvEUlNS5_8BFloat16ESB_SB_E_St5arrayIPcLm4EEEEviT0_T1_.has_indirect_call, 0
	.section	.AMDGPU.csdata,"",@progbits
; Kernel info:
; codeLenInByte = 3528
; TotalNumSgprs: 16
; NumVgprs: 25
; ScratchSize: 0
; MemoryBound: 0
; FloatMode: 240
; IeeeMode: 1
; LDSByteSize: 0 bytes/workgroup (compile time only)
; SGPRBlocks: 0
; VGPRBlocks: 1
; NumSGPRsForWavesPerEU: 16
; NumVGPRsForWavesPerEU: 25
; NamedBarCnt: 0
; Occupancy: 16
; WaveLimiterHint : 0
; COMPUTE_PGM_RSRC2:SCRATCH_EN: 0
; COMPUTE_PGM_RSRC2:USER_SGPR: 2
; COMPUTE_PGM_RSRC2:TRAP_HANDLER: 0
; COMPUTE_PGM_RSRC2:TGID_X_EN: 1
; COMPUTE_PGM_RSRC2:TGID_Y_EN: 0
; COMPUTE_PGM_RSRC2:TGID_Z_EN: 0
; COMPUTE_PGM_RSRC2:TIDIG_COMP_CNT: 0
	.section	.text._ZN2at6native29vectorized_elementwise_kernelILi8EZZZNS0_12_GLOBAL__N_116addr_kernel_cudaERNS_14TensorIteratorERKN3c106ScalarES8_ENKUlvE_clEvENKUlvE8_clEvEUlNS5_8BFloat16ESB_SB_E_St5arrayIPcLm4EEEEviT0_T1_,"axG",@progbits,_ZN2at6native29vectorized_elementwise_kernelILi8EZZZNS0_12_GLOBAL__N_116addr_kernel_cudaERNS_14TensorIteratorERKN3c106ScalarES8_ENKUlvE_clEvENKUlvE8_clEvEUlNS5_8BFloat16ESB_SB_E_St5arrayIPcLm4EEEEviT0_T1_,comdat
	.globl	_ZN2at6native29vectorized_elementwise_kernelILi8EZZZNS0_12_GLOBAL__N_116addr_kernel_cudaERNS_14TensorIteratorERKN3c106ScalarES8_ENKUlvE_clEvENKUlvE8_clEvEUlNS5_8BFloat16ESB_SB_E_St5arrayIPcLm4EEEEviT0_T1_ ; -- Begin function _ZN2at6native29vectorized_elementwise_kernelILi8EZZZNS0_12_GLOBAL__N_116addr_kernel_cudaERNS_14TensorIteratorERKN3c106ScalarES8_ENKUlvE_clEvENKUlvE8_clEvEUlNS5_8BFloat16ESB_SB_E_St5arrayIPcLm4EEEEviT0_T1_
	.p2align	8
	.type	_ZN2at6native29vectorized_elementwise_kernelILi8EZZZNS0_12_GLOBAL__N_116addr_kernel_cudaERNS_14TensorIteratorERKN3c106ScalarES8_ENKUlvE_clEvENKUlvE8_clEvEUlNS5_8BFloat16ESB_SB_E_St5arrayIPcLm4EEEEviT0_T1_,@function
_ZN2at6native29vectorized_elementwise_kernelILi8EZZZNS0_12_GLOBAL__N_116addr_kernel_cudaERNS_14TensorIteratorERKN3c106ScalarES8_ENKUlvE_clEvENKUlvE8_clEvEUlNS5_8BFloat16ESB_SB_E_St5arrayIPcLm4EEEEviT0_T1_: ; @_ZN2at6native29vectorized_elementwise_kernelILi8EZZZNS0_12_GLOBAL__N_116addr_kernel_cudaERNS_14TensorIteratorERKN3c106ScalarES8_ENKUlvE_clEvENKUlvE8_clEvEUlNS5_8BFloat16ESB_SB_E_St5arrayIPcLm4EEEEviT0_T1_
; %bb.0:
	s_clause 0x1
	s_load_b128 s[4:7], s[0:1], 0x0
	s_load_b128 s[8:11], s[0:1], 0x18
	s_wait_xcnt 0x0
	s_bfe_u32 s0, ttmp6, 0x4000c
	s_and_b32 s1, ttmp6, 15
	s_add_co_i32 s0, s0, 1
	s_getreg_b32 s2, hwreg(HW_REG_IB_STS2, 6, 4)
	s_mul_i32 s0, ttmp9, s0
	s_delay_alu instid0(SALU_CYCLE_1) | instskip(SKIP_2) | instid1(SALU_CYCLE_1)
	s_add_co_i32 s1, s1, s0
	s_cmp_eq_u32 s2, 0
	s_cselect_b32 s0, ttmp9, s1
	s_lshl_b32 s2, s0, 11
	s_mov_b32 s0, -1
	s_wait_kmcnt 0x0
	s_sub_co_i32 s4, s4, s2
	s_delay_alu instid0(SALU_CYCLE_1)
	s_cmp_gt_i32 s4, 0x7ff
	s_cbranch_scc0 .LBB161_2
; %bb.1:
	s_ashr_i32 s3, s2, 31
	s_delay_alu instid0(SALU_CYCLE_1) | instskip(NEXT) | instid1(SALU_CYCLE_1)
	s_lshl_b64 s[0:1], s[2:3], 1
	s_add_nc_u64 s[12:13], s[8:9], s[0:1]
	global_load_b128 v[2:5], v0, s[12:13] scale_offset
	s_wait_xcnt 0x0
	s_add_nc_u64 s[12:13], s[10:11], s[0:1]
	global_load_b128 v[6:9], v0, s[12:13] scale_offset
	s_wait_xcnt 0x0
	s_lshl_b32 s12, s5, 16
	s_wait_loadcnt 0x1
	v_and_b32_e32 v11, 0xffff0000, v3
	v_lshlrev_b32_e32 v10, 16, v3
	v_and_b32_e32 v3, 0xffff0000, v2
	v_lshlrev_b32_e32 v2, 16, v2
	;; [unrolled: 2-line block ×3, first 2 shown]
	v_pk_mul_f32 v[10:11], s[12:13], v[10:11] op_sel_hi:[0,1]
	v_and_b32_e32 v5, 0xffff0000, v4
	v_pk_mul_f32 v[2:3], s[12:13], v[2:3] op_sel_hi:[0,1]
	v_lshlrev_b32_e32 v4, 16, v4
	v_pk_mul_f32 v[14:15], s[12:13], v[14:15] op_sel_hi:[0,1]
	v_bfe_u32 v20, v11, 16, 1
	v_bfe_u32 v19, v10, 16, 1
	;; [unrolled: 1-line block ×3, first 2 shown]
	v_cmp_o_f32_e32 vcc_lo, v11, v11
	v_bfe_u32 v1, v2, 16, 1
	v_add3_u32 v20, v11, v20, 0x7fff
	v_add3_u32 v19, v10, v19, 0x7fff
	;; [unrolled: 1-line block ×3, first 2 shown]
	v_pk_mul_f32 v[4:5], s[12:13], v[4:5] op_sel_hi:[0,1]
	v_bfe_u32 v24, v15, 16, 1
	v_and_b32_e32 v20, 0xffff0000, v20
	v_and_b32_e32 v19, 0xffff0000, v19
	v_add3_u32 v1, v2, v1, 0x7fff
	v_and_b32_e32 v18, 0xffff0000, v18
	v_bfe_u32 v22, v5, 16, 1
	v_cndmask_b32_e32 v11, 0x7fc00000, v20, vcc_lo
	v_cmp_o_f32_e32 vcc_lo, v10, v10
	v_add3_u32 v24, v15, v24, 0x7fff
	v_and_b32_e32 v1, 0xffff0000, v1
	s_wait_loadcnt 0x0
	v_and_b32_e32 v13, 0xffff0000, v7
	v_lshlrev_b32_e32 v12, 16, v7
	v_cndmask_b32_e32 v10, 0x7fc00000, v19, vcc_lo
	v_cmp_o_f32_e32 vcc_lo, v3, v3
	v_and_b32_e32 v7, 0xffff0000, v6
	v_lshlrev_b32_e32 v6, 16, v6
	v_bfe_u32 v21, v4, 16, 1
	v_add3_u32 v22, v5, v22, 0x7fff
	v_cndmask_b32_e32 v3, 0x7fc00000, v18, vcc_lo
	v_cmp_o_f32_e32 vcc_lo, v2, v2
	v_and_b32_e32 v24, 0xffff0000, v24
	v_add3_u32 v21, v4, v21, 0x7fff
	v_and_b32_e32 v22, 0xffff0000, v22
	v_and_b32_e32 v17, 0xffff0000, v9
	v_cndmask_b32_e32 v2, 0x7fc00000, v1, vcc_lo
	v_cmp_o_f32_e32 vcc_lo, v15, v15
	v_and_b32_e32 v21, 0xffff0000, v21
	v_lshlrev_b32_e32 v16, 16, v9
	v_and_b32_e32 v9, 0xffff0000, v8
	v_pk_mul_f32 v[2:3], v[2:3], v[6:7]
	v_cndmask_b32_e32 v15, 0x7fc00000, v24, vcc_lo
	v_cmp_o_f32_e32 vcc_lo, v5, v5
	v_lshlrev_b32_e32 v8, 16, v8
	v_bfe_u32 v23, v14, 16, 1
	v_bfe_u32 v1, v2, 16, 1
	s_add_nc_u64 s[12:13], s[6:7], s[0:1]
	v_cndmask_b32_e32 v5, 0x7fc00000, v22, vcc_lo
	v_cmp_o_f32_e32 vcc_lo, v4, v4
	v_add3_u32 v23, v14, v23, 0x7fff
	v_add3_u32 v1, v2, v1, 0x7fff
	s_mov_b32 s0, 0
	v_cndmask_b32_e32 v4, 0x7fc00000, v21, vcc_lo
	s_delay_alu instid0(VALU_DEP_3) | instskip(NEXT) | instid1(VALU_DEP_3)
	v_and_b32_e32 v23, 0xffff0000, v23
	v_lshrrev_b32_e32 v1, 16, v1
	v_pk_mul_f32 v[6:7], v[10:11], v[12:13]
	v_cmp_o_f32_e32 vcc_lo, v14, v14
	v_pk_mul_f32 v[4:5], v[4:5], v[8:9]
	v_bfe_u32 v10, v3, 16, 1
	s_delay_alu instid0(VALU_DEP_4) | instskip(SKIP_1) | instid1(VALU_DEP_4)
	v_bfe_u32 v11, v6, 16, 1
	v_bfe_u32 v12, v7, 16, 1
	;; [unrolled: 1-line block ×3, first 2 shown]
	s_delay_alu instid0(VALU_DEP_4) | instskip(NEXT) | instid1(VALU_DEP_4)
	v_add3_u32 v10, v3, v10, 0x7fff
	v_add3_u32 v11, v6, v11, 0x7fff
	s_delay_alu instid0(VALU_DEP_4) | instskip(NEXT) | instid1(VALU_DEP_4)
	v_add3_u32 v12, v7, v12, 0x7fff
	v_add3_u32 v13, v4, v13, 0x7fff
	v_cndmask_b32_e32 v14, 0x7fc00000, v23, vcc_lo
	v_cmp_o_f32_e32 vcc_lo, v2, v2
	s_delay_alu instid0(VALU_DEP_4) | instskip(NEXT) | instid1(VALU_DEP_4)
	v_dual_lshrrev_b32 v11, 16, v11 :: v_dual_lshrrev_b32 v12, 16, v12
	v_lshrrev_b32_e32 v13, 16, v13
	s_delay_alu instid0(VALU_DEP_4)
	v_pk_mul_f32 v[8:9], v[14:15], v[16:17]
	v_cndmask_b32_e32 v1, 0x7fc0, v1, vcc_lo
	v_cmp_o_f32_e32 vcc_lo, v6, v6
	v_bfe_u32 v14, v5, 16, 1
	v_lshrrev_b32_e32 v10, 16, v10
	v_bfe_u32 v15, v8, 16, 1
	v_bfe_u32 v16, v9, 16, 1
	v_cndmask_b32_e32 v2, 0x7fc0, v11, vcc_lo
	v_cmp_o_f32_e32 vcc_lo, v7, v7
	v_add3_u32 v14, v5, v14, 0x7fff
	v_add3_u32 v15, v8, v15, 0x7fff
	;; [unrolled: 1-line block ×3, first 2 shown]
	v_cndmask_b32_e32 v6, 0x7fc0, v12, vcc_lo
	v_cmp_o_f32_e32 vcc_lo, v4, v4
	s_delay_alu instid0(VALU_DEP_3) | instskip(SKIP_3) | instid1(VALU_DEP_4)
	v_dual_lshrrev_b32 v15, 16, v15 :: v_dual_lshrrev_b32 v16, 16, v16
	v_lshrrev_b32_e32 v14, 16, v14
	v_cndmask_b32_e32 v4, 0x7fc0, v13, vcc_lo
	v_cmp_o_f32_e32 vcc_lo, v8, v8
	v_cndmask_b32_e32 v7, 0x7fc0, v15, vcc_lo
	v_cmp_o_f32_e32 vcc_lo, v9, v9
	;; [unrolled: 2-line block ×3, first 2 shown]
	s_delay_alu instid0(VALU_DEP_2) | instskip(SKIP_3) | instid1(VALU_DEP_3)
	v_perm_b32 v5, v8, v7, 0x5040100
	v_cndmask_b32_e32 v9, 0x7fc0, v14, vcc_lo
	v_cmp_o_f32_e32 vcc_lo, v3, v3
	v_perm_b32 v3, v6, v2, 0x5040100
	v_perm_b32 v4, v9, v4, 0x5040100
	v_cndmask_b32_e32 v10, 0x7fc0, v10, vcc_lo
	s_delay_alu instid0(VALU_DEP_1)
	v_perm_b32 v2, v10, v1, 0x5040100
	global_store_b128 v0, v[2:5], s[12:13] scale_offset
.LBB161_2:
	s_and_not1_b32 vcc_lo, exec_lo, s0
	s_cbranch_vccnz .LBB161_43
; %bb.3:
	v_cmp_gt_i32_e32 vcc_lo, s4, v0
	s_wait_xcnt 0x0
	v_dual_mov_b32 v3, 0 :: v_dual_bitop2_b32 v1, s2, v0 bitop3:0x54
	v_or_b32_e32 v2, 0x100, v0
	v_dual_mov_b32 v19, v0 :: v_dual_mov_b32 v8, 0
	v_mov_b32_e32 v7, 0
	s_and_saveexec_b32 s0, vcc_lo
	s_cbranch_execz .LBB161_5
; %bb.4:
	s_clause 0x1
	global_load_u16 v4, v1, s[8:9] scale_offset
	global_load_u16 v5, v1, s[10:11] scale_offset
	v_or_b32_e32 v19, 0x100, v0
	s_wait_loadcnt 0x0
	v_dual_lshlrev_b32 v8, 16, v4 :: v_dual_lshlrev_b32 v7, 16, v5
.LBB161_5:
	s_wait_xcnt 0x0
	s_or_b32 exec_lo, exec_lo, s0
	v_mov_b32_e32 v9, 0
	s_mov_b32 s1, exec_lo
	v_cmpx_gt_i32_e64 s4, v19
	s_cbranch_execz .LBB161_7
; %bb.6:
	v_add_nc_u32_e32 v3, s2, v19
	v_add_nc_u32_e32 v19, 0x100, v19
	s_clause 0x1
	global_load_u16 v4, v3, s[8:9] scale_offset
	global_load_u16 v5, v3, s[10:11] scale_offset
	s_wait_loadcnt 0x0
	v_dual_lshlrev_b32 v3, 16, v4 :: v_dual_lshlrev_b32 v9, 16, v5
.LBB161_7:
	s_or_b32 exec_lo, exec_lo, s1
	v_dual_mov_b32 v4, 0 :: v_dual_mov_b32 v12, 0
	v_mov_b32_e32 v10, 0
	s_mov_b32 s1, exec_lo
	v_cmpx_gt_i32_e64 s4, v19
	s_cbranch_execz .LBB161_9
; %bb.8:
	v_add_nc_u32_e32 v5, s2, v19
	v_add_nc_u32_e32 v19, 0x100, v19
	s_clause 0x1
	global_load_u16 v6, v5, s[8:9] scale_offset
	global_load_u16 v10, v5, s[10:11] scale_offset
	s_wait_loadcnt 0x1
	v_lshlrev_b32_e32 v12, 16, v6
	s_wait_loadcnt 0x0
	v_lshlrev_b32_e32 v10, 16, v10
.LBB161_9:
	s_wait_xcnt 0x0
	s_or_b32 exec_lo, exec_lo, s1
	v_mov_b32_e32 v11, 0
	s_mov_b32 s1, exec_lo
	v_cmpx_gt_i32_e64 s4, v19
	s_cbranch_execz .LBB161_11
; %bb.10:
	v_add_nc_u32_e32 v4, s2, v19
	v_add_nc_u32_e32 v19, 0x100, v19
	s_clause 0x1
	global_load_u16 v5, v4, s[8:9] scale_offset
	global_load_u16 v6, v4, s[10:11] scale_offset
	s_wait_loadcnt 0x0
	v_dual_lshlrev_b32 v4, 16, v5 :: v_dual_lshlrev_b32 v11, 16, v6
.LBB161_11:
	s_or_b32 exec_lo, exec_lo, s1
	v_dual_mov_b32 v5, 0 :: v_dual_mov_b32 v15, 0
	v_mov_b32_e32 v13, 0
	s_mov_b32 s1, exec_lo
	v_cmpx_gt_i32_e64 s4, v19
	s_cbranch_execz .LBB161_13
; %bb.12:
	v_add_nc_u32_e32 v6, s2, v19
	v_add_nc_u32_e32 v19, 0x100, v19
	s_clause 0x1
	global_load_u16 v13, v6, s[8:9] scale_offset
	global_load_u16 v14, v6, s[10:11] scale_offset
	s_wait_loadcnt 0x0
	v_dual_lshlrev_b32 v15, 16, v13 :: v_dual_lshlrev_b32 v13, 16, v14
.LBB161_13:
	s_wait_xcnt 0x0
	s_or_b32 exec_lo, exec_lo, s1
	v_mov_b32_e32 v14, 0
	s_mov_b32 s1, exec_lo
	v_cmpx_gt_i32_e64 s4, v19
	s_cbranch_execz .LBB161_15
; %bb.14:
	v_add_nc_u32_e32 v5, s2, v19
	v_add_nc_u32_e32 v19, 0x100, v19
	s_clause 0x1
	global_load_u16 v6, v5, s[8:9] scale_offset
	global_load_u16 v14, v5, s[10:11] scale_offset
	s_wait_loadcnt 0x1
	s_wait_xcnt 0x0
	v_lshlrev_b32_e32 v5, 16, v6
	s_wait_loadcnt 0x0
	v_lshlrev_b32_e32 v14, 16, v14
.LBB161_15:
	s_or_b32 exec_lo, exec_lo, s1
	v_dual_mov_b32 v6, 0 :: v_dual_mov_b32 v18, 0
	v_mov_b32_e32 v16, 0
	s_mov_b32 s1, exec_lo
	v_cmpx_gt_i32_e64 s4, v19
	s_cbranch_execz .LBB161_17
; %bb.16:
	v_add_nc_u32_e32 v16, s2, v19
	v_add_nc_u32_e32 v19, 0x100, v19
	s_clause 0x1
	global_load_u16 v17, v16, s[8:9] scale_offset
	global_load_u16 v20, v16, s[10:11] scale_offset
	s_wait_loadcnt 0x0
	v_dual_lshlrev_b32 v18, 16, v17 :: v_dual_lshlrev_b32 v16, 16, v20
.LBB161_17:
	s_or_b32 exec_lo, exec_lo, s1
	v_mov_b32_e32 v17, 0
	s_mov_b32 s1, exec_lo
	v_cmpx_gt_i32_e64 s4, v19
	s_cbranch_execz .LBB161_19
; %bb.18:
	v_add_nc_u32_e32 v6, s2, v19
	s_clause 0x1
	global_load_u16 v17, v6, s[8:9] scale_offset
	global_load_u16 v19, v6, s[10:11] scale_offset
	s_wait_loadcnt 0x0
	v_dual_lshlrev_b32 v6, 16, v17 :: v_dual_lshlrev_b32 v17, 16, v19
.LBB161_19:
	s_or_b32 exec_lo, exec_lo, s1
	s_lshl_b32 s1, s5, 16
                                        ; implicit-def: $vgpr19
	s_and_saveexec_b32 s3, vcc_lo
	s_cbranch_execz .LBB161_21
; %bb.20:
	v_mul_f32_e32 v8, s1, v8
	s_delay_alu instid0(VALU_DEP_1) | instskip(SKIP_1) | instid1(VALU_DEP_2)
	v_bfe_u32 v19, v8, 16, 1
	v_cmp_o_f32_e64 s0, v8, v8
	v_add3_u32 v19, v8, v19, 0x7fff
	s_delay_alu instid0(VALU_DEP_1) | instskip(NEXT) | instid1(VALU_DEP_1)
	v_and_b32_e32 v19, 0xffff0000, v19
	v_cndmask_b32_e64 v8, 0x7fc00000, v19, s0
	s_delay_alu instid0(VALU_DEP_1) | instskip(NEXT) | instid1(VALU_DEP_1)
	v_mul_f32_e32 v7, v7, v8
	v_bfe_u32 v8, v7, 16, 1
	s_delay_alu instid0(VALU_DEP_1) | instskip(NEXT) | instid1(VALU_DEP_1)
	v_add3_u32 v8, v7, v8, 0x7fff
	v_lshrrev_b32_e32 v8, 16, v8
	v_cmp_o_f32_e64 s0, v7, v7
	s_delay_alu instid0(VALU_DEP_1)
	v_cndmask_b32_e64 v19, 0x7fc0, v8, s0
.LBB161_21:
	s_or_b32 exec_lo, exec_lo, s3
	s_delay_alu instid0(SALU_CYCLE_1)
	s_mov_b32 s3, exec_lo
                                        ; implicit-def: $vgpr7
	v_cmpx_gt_i32_e64 s4, v2
	s_cbranch_execz .LBB161_23
; %bb.22:
	v_mul_f32_e32 v3, s1, v3
	s_delay_alu instid0(VALU_DEP_1) | instskip(SKIP_1) | instid1(VALU_DEP_2)
	v_bfe_u32 v7, v3, 16, 1
	v_cmp_o_f32_e64 s0, v3, v3
	v_add3_u32 v7, v3, v7, 0x7fff
	s_delay_alu instid0(VALU_DEP_1) | instskip(NEXT) | instid1(VALU_DEP_1)
	v_and_b32_e32 v7, 0xffff0000, v7
	v_cndmask_b32_e64 v3, 0x7fc00000, v7, s0
	s_delay_alu instid0(VALU_DEP_1) | instskip(NEXT) | instid1(VALU_DEP_1)
	v_mul_f32_e32 v3, v9, v3
	v_bfe_u32 v7, v3, 16, 1
	v_cmp_o_f32_e64 s0, v3, v3
	s_delay_alu instid0(VALU_DEP_2) | instskip(NEXT) | instid1(VALU_DEP_1)
	v_add3_u32 v7, v3, v7, 0x7fff
	v_lshrrev_b32_e32 v7, 16, v7
	s_delay_alu instid0(VALU_DEP_1)
	v_cndmask_b32_e64 v7, 0x7fc0, v7, s0
.LBB161_23:
	s_or_b32 exec_lo, exec_lo, s3
	v_or_b32_e32 v3, 0x200, v0
	s_delay_alu instid0(VALU_DEP_1)
	v_cmp_gt_i32_e64 s0, s4, v3
                                        ; implicit-def: $vgpr3
	s_and_saveexec_b32 s3, s0
	s_cbranch_execz .LBB161_25
; %bb.24:
	v_mul_f32_e32 v3, s1, v12
	s_delay_alu instid0(VALU_DEP_1) | instskip(SKIP_1) | instid1(VALU_DEP_2)
	v_bfe_u32 v8, v3, 16, 1
	v_cmp_o_f32_e64 s0, v3, v3
	v_add3_u32 v8, v3, v8, 0x7fff
	s_delay_alu instid0(VALU_DEP_1) | instskip(NEXT) | instid1(VALU_DEP_1)
	v_and_b32_e32 v8, 0xffff0000, v8
	v_cndmask_b32_e64 v3, 0x7fc00000, v8, s0
	s_delay_alu instid0(VALU_DEP_1) | instskip(NEXT) | instid1(VALU_DEP_1)
	v_mul_f32_e32 v3, v10, v3
	v_bfe_u32 v8, v3, 16, 1
	s_delay_alu instid0(VALU_DEP_1) | instskip(NEXT) | instid1(VALU_DEP_1)
	v_add3_u32 v8, v3, v8, 0x7fff
	v_lshrrev_b32_e32 v8, 16, v8
	v_cmp_o_f32_e64 s0, v3, v3
	s_delay_alu instid0(VALU_DEP_1)
	v_cndmask_b32_e64 v3, 0x7fc0, v8, s0
.LBB161_25:
	s_or_b32 exec_lo, exec_lo, s3
	v_or_b32_e32 v8, 0x300, v0
	s_delay_alu instid0(VALU_DEP_1)
	v_cmp_gt_i32_e64 s0, s4, v8
                                        ; implicit-def: $vgpr8
	s_and_saveexec_b32 s3, s0
	s_cbranch_execz .LBB161_27
; %bb.26:
	v_mul_f32_e32 v4, s1, v4
	s_delay_alu instid0(VALU_DEP_1) | instskip(SKIP_1) | instid1(VALU_DEP_2)
	v_bfe_u32 v8, v4, 16, 1
	v_cmp_o_f32_e64 s0, v4, v4
	v_add3_u32 v8, v4, v8, 0x7fff
	s_delay_alu instid0(VALU_DEP_1) | instskip(NEXT) | instid1(VALU_DEP_1)
	v_and_b32_e32 v8, 0xffff0000, v8
	v_cndmask_b32_e64 v4, 0x7fc00000, v8, s0
	s_delay_alu instid0(VALU_DEP_1) | instskip(NEXT) | instid1(VALU_DEP_1)
	v_mul_f32_e32 v4, v11, v4
	v_bfe_u32 v8, v4, 16, 1
	v_cmp_o_f32_e64 s0, v4, v4
	s_delay_alu instid0(VALU_DEP_2) | instskip(NEXT) | instid1(VALU_DEP_1)
	v_add3_u32 v8, v4, v8, 0x7fff
	v_lshrrev_b32_e32 v8, 16, v8
	s_delay_alu instid0(VALU_DEP_1)
	v_cndmask_b32_e64 v8, 0x7fc0, v8, s0
.LBB161_27:
	s_or_b32 exec_lo, exec_lo, s3
	v_or_b32_e32 v4, 0x400, v0
	s_delay_alu instid0(VALU_DEP_1)
	v_cmp_gt_i32_e64 s0, s4, v4
                                        ; implicit-def: $vgpr4
	s_and_saveexec_b32 s3, s0
	s_cbranch_execz .LBB161_29
; %bb.28:
	v_mul_f32_e32 v4, s1, v15
	s_delay_alu instid0(VALU_DEP_1) | instskip(SKIP_1) | instid1(VALU_DEP_2)
	v_bfe_u32 v9, v4, 16, 1
	v_cmp_o_f32_e64 s0, v4, v4
	v_add3_u32 v9, v4, v9, 0x7fff
	s_delay_alu instid0(VALU_DEP_1) | instskip(NEXT) | instid1(VALU_DEP_1)
	v_and_b32_e32 v9, 0xffff0000, v9
	v_cndmask_b32_e64 v4, 0x7fc00000, v9, s0
	s_delay_alu instid0(VALU_DEP_1) | instskip(NEXT) | instid1(VALU_DEP_1)
	v_mul_f32_e32 v4, v13, v4
	v_bfe_u32 v9, v4, 16, 1
	v_cmp_o_f32_e64 s0, v4, v4
	s_delay_alu instid0(VALU_DEP_2) | instskip(NEXT) | instid1(VALU_DEP_1)
	v_add3_u32 v9, v4, v9, 0x7fff
	v_lshrrev_b32_e32 v9, 16, v9
	s_delay_alu instid0(VALU_DEP_1)
	v_cndmask_b32_e64 v4, 0x7fc0, v9, s0
.LBB161_29:
	s_or_b32 exec_lo, exec_lo, s3
	v_or_b32_e32 v9, 0x500, v0
	s_delay_alu instid0(VALU_DEP_1)
	v_cmp_gt_i32_e64 s0, s4, v9
                                        ; implicit-def: $vgpr9
	s_and_saveexec_b32 s3, s0
	s_cbranch_execz .LBB161_31
; %bb.30:
	v_mul_f32_e32 v5, s1, v5
	s_delay_alu instid0(VALU_DEP_1) | instskip(SKIP_1) | instid1(VALU_DEP_2)
	v_bfe_u32 v9, v5, 16, 1
	v_cmp_o_f32_e64 s0, v5, v5
	v_add3_u32 v9, v5, v9, 0x7fff
	s_delay_alu instid0(VALU_DEP_1) | instskip(NEXT) | instid1(VALU_DEP_1)
	v_and_b32_e32 v9, 0xffff0000, v9
	v_cndmask_b32_e64 v5, 0x7fc00000, v9, s0
	s_delay_alu instid0(VALU_DEP_1) | instskip(NEXT) | instid1(VALU_DEP_1)
	v_mul_f32_e32 v5, v14, v5
	v_bfe_u32 v9, v5, 16, 1
	v_cmp_o_f32_e64 s0, v5, v5
	s_delay_alu instid0(VALU_DEP_2) | instskip(NEXT) | instid1(VALU_DEP_1)
	v_add3_u32 v9, v5, v9, 0x7fff
	v_lshrrev_b32_e32 v9, 16, v9
	s_delay_alu instid0(VALU_DEP_1)
	v_cndmask_b32_e64 v9, 0x7fc0, v9, s0
.LBB161_31:
	s_or_b32 exec_lo, exec_lo, s3
	v_or_b32_e32 v5, 0x600, v0
	s_delay_alu instid0(VALU_DEP_1)
	v_cmp_gt_i32_e64 s0, s4, v5
                                        ; implicit-def: $vgpr5
	s_and_saveexec_b32 s3, s0
	s_cbranch_execz .LBB161_33
; %bb.32:
	v_mul_f32_e32 v5, s1, v18
	s_delay_alu instid0(VALU_DEP_1) | instskip(SKIP_1) | instid1(VALU_DEP_2)
	v_bfe_u32 v10, v5, 16, 1
	v_cmp_o_f32_e64 s0, v5, v5
	v_add3_u32 v10, v5, v10, 0x7fff
	s_delay_alu instid0(VALU_DEP_1) | instskip(NEXT) | instid1(VALU_DEP_1)
	v_and_b32_e32 v10, 0xffff0000, v10
	v_cndmask_b32_e64 v5, 0x7fc00000, v10, s0
	s_delay_alu instid0(VALU_DEP_1) | instskip(NEXT) | instid1(VALU_DEP_1)
	v_mul_f32_e32 v5, v16, v5
	v_bfe_u32 v10, v5, 16, 1
	s_delay_alu instid0(VALU_DEP_1) | instskip(NEXT) | instid1(VALU_DEP_1)
	v_add3_u32 v10, v5, v10, 0x7fff
	v_lshrrev_b32_e32 v10, 16, v10
	v_cmp_o_f32_e64 s0, v5, v5
	s_delay_alu instid0(VALU_DEP_1)
	v_cndmask_b32_e64 v5, 0x7fc0, v10, s0
.LBB161_33:
	s_or_b32 exec_lo, exec_lo, s3
	v_or_b32_e32 v10, 0x700, v0
	s_delay_alu instid0(VALU_DEP_1)
	v_cmp_gt_i32_e64 s0, s4, v10
                                        ; implicit-def: $vgpr10
	s_and_saveexec_b32 s3, s0
	s_cbranch_execz .LBB161_44
; %bb.34:
	v_mul_f32_e32 v6, s1, v6
	s_delay_alu instid0(VALU_DEP_1) | instskip(SKIP_1) | instid1(VALU_DEP_2)
	v_bfe_u32 v10, v6, 16, 1
	v_cmp_o_f32_e64 s0, v6, v6
	v_add3_u32 v10, v6, v10, 0x7fff
	s_delay_alu instid0(VALU_DEP_1) | instskip(NEXT) | instid1(VALU_DEP_1)
	v_and_b32_e32 v10, 0xffff0000, v10
	v_cndmask_b32_e64 v6, 0x7fc00000, v10, s0
	s_delay_alu instid0(VALU_DEP_1) | instskip(NEXT) | instid1(VALU_DEP_1)
	v_mul_f32_e32 v6, v17, v6
	v_bfe_u32 v10, v6, 16, 1
	v_cmp_o_f32_e64 s0, v6, v6
	s_delay_alu instid0(VALU_DEP_2) | instskip(NEXT) | instid1(VALU_DEP_1)
	v_add3_u32 v10, v6, v10, 0x7fff
	v_lshrrev_b32_e32 v10, 16, v10
	s_delay_alu instid0(VALU_DEP_1) | instskip(SKIP_2) | instid1(SALU_CYCLE_1)
	v_cndmask_b32_e64 v10, 0x7fc0, v10, s0
	s_or_b32 exec_lo, exec_lo, s3
	s_and_saveexec_b32 s0, vcc_lo
	s_xor_b32 s0, exec_lo, s0
	s_cbranch_execnz .LBB161_45
.LBB161_35:
	s_or_b32 exec_lo, exec_lo, s0
	s_delay_alu instid0(SALU_CYCLE_1)
	s_mov_b32 s0, exec_lo
	v_cmpx_gt_i32_e64 s4, v0
	s_cbranch_execz .LBB161_46
.LBB161_36:
	v_add_nc_u32_e32 v1, s2, v0
	v_add_nc_u32_e32 v0, 0x100, v0
	global_store_b16 v1, v7, s[6:7] scale_offset
	s_wait_xcnt 0x0
	s_or_b32 exec_lo, exec_lo, s0
	s_delay_alu instid0(SALU_CYCLE_1)
	s_mov_b32 s0, exec_lo
	v_cmpx_gt_i32_e64 s4, v0
	s_cbranch_execnz .LBB161_47
.LBB161_37:
	s_or_b32 exec_lo, exec_lo, s0
	s_delay_alu instid0(SALU_CYCLE_1)
	s_mov_b32 s0, exec_lo
	v_cmpx_gt_i32_e64 s4, v0
	s_cbranch_execz .LBB161_48
.LBB161_38:
	v_add_nc_u32_e32 v1, s2, v0
	v_add_nc_u32_e32 v0, 0x100, v0
	global_store_b16 v1, v8, s[6:7] scale_offset
	s_wait_xcnt 0x0
	s_or_b32 exec_lo, exec_lo, s0
	s_delay_alu instid0(SALU_CYCLE_1)
	s_mov_b32 s0, exec_lo
	v_cmpx_gt_i32_e64 s4, v0
	s_cbranch_execnz .LBB161_49
.LBB161_39:
	s_or_b32 exec_lo, exec_lo, s0
	s_delay_alu instid0(SALU_CYCLE_1)
	s_mov_b32 s0, exec_lo
	v_cmpx_gt_i32_e64 s4, v0
	s_cbranch_execz .LBB161_50
.LBB161_40:
	v_add_nc_u32_e32 v1, s2, v0
	v_add_nc_u32_e32 v0, 0x100, v0
	global_store_b16 v1, v9, s[6:7] scale_offset
	s_wait_xcnt 0x0
	s_or_b32 exec_lo, exec_lo, s0
	s_delay_alu instid0(SALU_CYCLE_1)
	s_mov_b32 s0, exec_lo
	v_cmpx_gt_i32_e64 s4, v0
	s_cbranch_execnz .LBB161_51
.LBB161_41:
	s_or_b32 exec_lo, exec_lo, s0
	s_delay_alu instid0(SALU_CYCLE_1)
	s_mov_b32 s0, exec_lo
	v_cmpx_gt_i32_e64 s4, v0
	s_cbranch_execz .LBB161_43
.LBB161_42:
	v_add_nc_u32_e32 v0, s2, v0
	global_store_b16 v0, v10, s[6:7] scale_offset
.LBB161_43:
	s_endpgm
.LBB161_44:
	s_or_b32 exec_lo, exec_lo, s3
	s_and_saveexec_b32 s0, vcc_lo
	s_delay_alu instid0(SALU_CYCLE_1)
	s_xor_b32 s0, exec_lo, s0
	s_cbranch_execz .LBB161_35
.LBB161_45:
	v_mov_b32_e32 v0, v2
	global_store_b16 v1, v19, s[6:7] scale_offset
	s_wait_xcnt 0x0
	s_or_b32 exec_lo, exec_lo, s0
	s_delay_alu instid0(SALU_CYCLE_1)
	s_mov_b32 s0, exec_lo
	v_cmpx_gt_i32_e64 s4, v0
	s_cbranch_execnz .LBB161_36
.LBB161_46:
	s_or_b32 exec_lo, exec_lo, s0
	s_delay_alu instid0(SALU_CYCLE_1)
	s_mov_b32 s0, exec_lo
	v_cmpx_gt_i32_e64 s4, v0
	s_cbranch_execz .LBB161_37
.LBB161_47:
	v_add_nc_u32_e32 v1, s2, v0
	v_add_nc_u32_e32 v0, 0x100, v0
	global_store_b16 v1, v3, s[6:7] scale_offset
	s_wait_xcnt 0x0
	s_or_b32 exec_lo, exec_lo, s0
	s_delay_alu instid0(SALU_CYCLE_1)
	s_mov_b32 s0, exec_lo
	v_cmpx_gt_i32_e64 s4, v0
	s_cbranch_execnz .LBB161_38
.LBB161_48:
	s_or_b32 exec_lo, exec_lo, s0
	s_delay_alu instid0(SALU_CYCLE_1)
	s_mov_b32 s0, exec_lo
	v_cmpx_gt_i32_e64 s4, v0
	s_cbranch_execz .LBB161_39
.LBB161_49:
	v_add_nc_u32_e32 v1, s2, v0
	v_add_nc_u32_e32 v0, 0x100, v0
	global_store_b16 v1, v4, s[6:7] scale_offset
	s_wait_xcnt 0x0
	s_or_b32 exec_lo, exec_lo, s0
	s_delay_alu instid0(SALU_CYCLE_1)
	s_mov_b32 s0, exec_lo
	v_cmpx_gt_i32_e64 s4, v0
	s_cbranch_execnz .LBB161_40
.LBB161_50:
	s_or_b32 exec_lo, exec_lo, s0
	s_delay_alu instid0(SALU_CYCLE_1)
	s_mov_b32 s0, exec_lo
	v_cmpx_gt_i32_e64 s4, v0
	s_cbranch_execz .LBB161_41
.LBB161_51:
	v_add_nc_u32_e32 v1, s2, v0
	v_add_nc_u32_e32 v0, 0x100, v0
	global_store_b16 v1, v5, s[6:7] scale_offset
	s_wait_xcnt 0x0
	s_or_b32 exec_lo, exec_lo, s0
	s_delay_alu instid0(SALU_CYCLE_1)
	s_mov_b32 s0, exec_lo
	v_cmpx_gt_i32_e64 s4, v0
	s_cbranch_execnz .LBB161_42
	s_branch .LBB161_43
	.section	.rodata,"a",@progbits
	.p2align	6, 0x0
	.amdhsa_kernel _ZN2at6native29vectorized_elementwise_kernelILi8EZZZNS0_12_GLOBAL__N_116addr_kernel_cudaERNS_14TensorIteratorERKN3c106ScalarES8_ENKUlvE_clEvENKUlvE8_clEvEUlNS5_8BFloat16ESB_SB_E_St5arrayIPcLm4EEEEviT0_T1_
		.amdhsa_group_segment_fixed_size 0
		.amdhsa_private_segment_fixed_size 0
		.amdhsa_kernarg_size 40
		.amdhsa_user_sgpr_count 2
		.amdhsa_user_sgpr_dispatch_ptr 0
		.amdhsa_user_sgpr_queue_ptr 0
		.amdhsa_user_sgpr_kernarg_segment_ptr 1
		.amdhsa_user_sgpr_dispatch_id 0
		.amdhsa_user_sgpr_kernarg_preload_length 0
		.amdhsa_user_sgpr_kernarg_preload_offset 0
		.amdhsa_user_sgpr_private_segment_size 0
		.amdhsa_wavefront_size32 1
		.amdhsa_uses_dynamic_stack 0
		.amdhsa_enable_private_segment 0
		.amdhsa_system_sgpr_workgroup_id_x 1
		.amdhsa_system_sgpr_workgroup_id_y 0
		.amdhsa_system_sgpr_workgroup_id_z 0
		.amdhsa_system_sgpr_workgroup_info 0
		.amdhsa_system_vgpr_workitem_id 0
		.amdhsa_next_free_vgpr 25
		.amdhsa_next_free_sgpr 14
		.amdhsa_named_barrier_count 0
		.amdhsa_reserve_vcc 1
		.amdhsa_float_round_mode_32 0
		.amdhsa_float_round_mode_16_64 0
		.amdhsa_float_denorm_mode_32 3
		.amdhsa_float_denorm_mode_16_64 3
		.amdhsa_fp16_overflow 0
		.amdhsa_memory_ordered 1
		.amdhsa_forward_progress 1
		.amdhsa_inst_pref_size 28
		.amdhsa_round_robin_scheduling 0
		.amdhsa_exception_fp_ieee_invalid_op 0
		.amdhsa_exception_fp_denorm_src 0
		.amdhsa_exception_fp_ieee_div_zero 0
		.amdhsa_exception_fp_ieee_overflow 0
		.amdhsa_exception_fp_ieee_underflow 0
		.amdhsa_exception_fp_ieee_inexact 0
		.amdhsa_exception_int_div_zero 0
	.end_amdhsa_kernel
	.section	.text._ZN2at6native29vectorized_elementwise_kernelILi8EZZZNS0_12_GLOBAL__N_116addr_kernel_cudaERNS_14TensorIteratorERKN3c106ScalarES8_ENKUlvE_clEvENKUlvE8_clEvEUlNS5_8BFloat16ESB_SB_E_St5arrayIPcLm4EEEEviT0_T1_,"axG",@progbits,_ZN2at6native29vectorized_elementwise_kernelILi8EZZZNS0_12_GLOBAL__N_116addr_kernel_cudaERNS_14TensorIteratorERKN3c106ScalarES8_ENKUlvE_clEvENKUlvE8_clEvEUlNS5_8BFloat16ESB_SB_E_St5arrayIPcLm4EEEEviT0_T1_,comdat
.Lfunc_end161:
	.size	_ZN2at6native29vectorized_elementwise_kernelILi8EZZZNS0_12_GLOBAL__N_116addr_kernel_cudaERNS_14TensorIteratorERKN3c106ScalarES8_ENKUlvE_clEvENKUlvE8_clEvEUlNS5_8BFloat16ESB_SB_E_St5arrayIPcLm4EEEEviT0_T1_, .Lfunc_end161-_ZN2at6native29vectorized_elementwise_kernelILi8EZZZNS0_12_GLOBAL__N_116addr_kernel_cudaERNS_14TensorIteratorERKN3c106ScalarES8_ENKUlvE_clEvENKUlvE8_clEvEUlNS5_8BFloat16ESB_SB_E_St5arrayIPcLm4EEEEviT0_T1_
                                        ; -- End function
	.set _ZN2at6native29vectorized_elementwise_kernelILi8EZZZNS0_12_GLOBAL__N_116addr_kernel_cudaERNS_14TensorIteratorERKN3c106ScalarES8_ENKUlvE_clEvENKUlvE8_clEvEUlNS5_8BFloat16ESB_SB_E_St5arrayIPcLm4EEEEviT0_T1_.num_vgpr, 25
	.set _ZN2at6native29vectorized_elementwise_kernelILi8EZZZNS0_12_GLOBAL__N_116addr_kernel_cudaERNS_14TensorIteratorERKN3c106ScalarES8_ENKUlvE_clEvENKUlvE8_clEvEUlNS5_8BFloat16ESB_SB_E_St5arrayIPcLm4EEEEviT0_T1_.num_agpr, 0
	.set _ZN2at6native29vectorized_elementwise_kernelILi8EZZZNS0_12_GLOBAL__N_116addr_kernel_cudaERNS_14TensorIteratorERKN3c106ScalarES8_ENKUlvE_clEvENKUlvE8_clEvEUlNS5_8BFloat16ESB_SB_E_St5arrayIPcLm4EEEEviT0_T1_.numbered_sgpr, 14
	.set _ZN2at6native29vectorized_elementwise_kernelILi8EZZZNS0_12_GLOBAL__N_116addr_kernel_cudaERNS_14TensorIteratorERKN3c106ScalarES8_ENKUlvE_clEvENKUlvE8_clEvEUlNS5_8BFloat16ESB_SB_E_St5arrayIPcLm4EEEEviT0_T1_.num_named_barrier, 0
	.set _ZN2at6native29vectorized_elementwise_kernelILi8EZZZNS0_12_GLOBAL__N_116addr_kernel_cudaERNS_14TensorIteratorERKN3c106ScalarES8_ENKUlvE_clEvENKUlvE8_clEvEUlNS5_8BFloat16ESB_SB_E_St5arrayIPcLm4EEEEviT0_T1_.private_seg_size, 0
	.set _ZN2at6native29vectorized_elementwise_kernelILi8EZZZNS0_12_GLOBAL__N_116addr_kernel_cudaERNS_14TensorIteratorERKN3c106ScalarES8_ENKUlvE_clEvENKUlvE8_clEvEUlNS5_8BFloat16ESB_SB_E_St5arrayIPcLm4EEEEviT0_T1_.uses_vcc, 1
	.set _ZN2at6native29vectorized_elementwise_kernelILi8EZZZNS0_12_GLOBAL__N_116addr_kernel_cudaERNS_14TensorIteratorERKN3c106ScalarES8_ENKUlvE_clEvENKUlvE8_clEvEUlNS5_8BFloat16ESB_SB_E_St5arrayIPcLm4EEEEviT0_T1_.uses_flat_scratch, 0
	.set _ZN2at6native29vectorized_elementwise_kernelILi8EZZZNS0_12_GLOBAL__N_116addr_kernel_cudaERNS_14TensorIteratorERKN3c106ScalarES8_ENKUlvE_clEvENKUlvE8_clEvEUlNS5_8BFloat16ESB_SB_E_St5arrayIPcLm4EEEEviT0_T1_.has_dyn_sized_stack, 0
	.set _ZN2at6native29vectorized_elementwise_kernelILi8EZZZNS0_12_GLOBAL__N_116addr_kernel_cudaERNS_14TensorIteratorERKN3c106ScalarES8_ENKUlvE_clEvENKUlvE8_clEvEUlNS5_8BFloat16ESB_SB_E_St5arrayIPcLm4EEEEviT0_T1_.has_recursion, 0
	.set _ZN2at6native29vectorized_elementwise_kernelILi8EZZZNS0_12_GLOBAL__N_116addr_kernel_cudaERNS_14TensorIteratorERKN3c106ScalarES8_ENKUlvE_clEvENKUlvE8_clEvEUlNS5_8BFloat16ESB_SB_E_St5arrayIPcLm4EEEEviT0_T1_.has_indirect_call, 0
	.section	.AMDGPU.csdata,"",@progbits
; Kernel info:
; codeLenInByte = 3528
; TotalNumSgprs: 16
; NumVgprs: 25
; ScratchSize: 0
; MemoryBound: 0
; FloatMode: 240
; IeeeMode: 1
; LDSByteSize: 0 bytes/workgroup (compile time only)
; SGPRBlocks: 0
; VGPRBlocks: 1
; NumSGPRsForWavesPerEU: 16
; NumVGPRsForWavesPerEU: 25
; NamedBarCnt: 0
; Occupancy: 16
; WaveLimiterHint : 0
; COMPUTE_PGM_RSRC2:SCRATCH_EN: 0
; COMPUTE_PGM_RSRC2:USER_SGPR: 2
; COMPUTE_PGM_RSRC2:TRAP_HANDLER: 0
; COMPUTE_PGM_RSRC2:TGID_X_EN: 1
; COMPUTE_PGM_RSRC2:TGID_Y_EN: 0
; COMPUTE_PGM_RSRC2:TGID_Z_EN: 0
; COMPUTE_PGM_RSRC2:TIDIG_COMP_CNT: 0
	.section	.text._ZN2at6native29vectorized_elementwise_kernelILi4EZZZNS0_12_GLOBAL__N_116addr_kernel_cudaERNS_14TensorIteratorERKN3c106ScalarES8_ENKUlvE_clEvENKUlvE8_clEvEUlNS5_8BFloat16ESB_SB_E_St5arrayIPcLm4EEEEviT0_T1_,"axG",@progbits,_ZN2at6native29vectorized_elementwise_kernelILi4EZZZNS0_12_GLOBAL__N_116addr_kernel_cudaERNS_14TensorIteratorERKN3c106ScalarES8_ENKUlvE_clEvENKUlvE8_clEvEUlNS5_8BFloat16ESB_SB_E_St5arrayIPcLm4EEEEviT0_T1_,comdat
	.globl	_ZN2at6native29vectorized_elementwise_kernelILi4EZZZNS0_12_GLOBAL__N_116addr_kernel_cudaERNS_14TensorIteratorERKN3c106ScalarES8_ENKUlvE_clEvENKUlvE8_clEvEUlNS5_8BFloat16ESB_SB_E_St5arrayIPcLm4EEEEviT0_T1_ ; -- Begin function _ZN2at6native29vectorized_elementwise_kernelILi4EZZZNS0_12_GLOBAL__N_116addr_kernel_cudaERNS_14TensorIteratorERKN3c106ScalarES8_ENKUlvE_clEvENKUlvE8_clEvEUlNS5_8BFloat16ESB_SB_E_St5arrayIPcLm4EEEEviT0_T1_
	.p2align	8
	.type	_ZN2at6native29vectorized_elementwise_kernelILi4EZZZNS0_12_GLOBAL__N_116addr_kernel_cudaERNS_14TensorIteratorERKN3c106ScalarES8_ENKUlvE_clEvENKUlvE8_clEvEUlNS5_8BFloat16ESB_SB_E_St5arrayIPcLm4EEEEviT0_T1_,@function
_ZN2at6native29vectorized_elementwise_kernelILi4EZZZNS0_12_GLOBAL__N_116addr_kernel_cudaERNS_14TensorIteratorERKN3c106ScalarES8_ENKUlvE_clEvENKUlvE8_clEvEUlNS5_8BFloat16ESB_SB_E_St5arrayIPcLm4EEEEviT0_T1_: ; @_ZN2at6native29vectorized_elementwise_kernelILi4EZZZNS0_12_GLOBAL__N_116addr_kernel_cudaERNS_14TensorIteratorERKN3c106ScalarES8_ENKUlvE_clEvENKUlvE8_clEvEUlNS5_8BFloat16ESB_SB_E_St5arrayIPcLm4EEEEviT0_T1_
; %bb.0:
	s_clause 0x1
	s_load_b128 s[4:7], s[0:1], 0x0
	s_load_b128 s[8:11], s[0:1], 0x18
	s_wait_xcnt 0x0
	s_bfe_u32 s0, ttmp6, 0x4000c
	s_and_b32 s1, ttmp6, 15
	s_add_co_i32 s0, s0, 1
	s_getreg_b32 s2, hwreg(HW_REG_IB_STS2, 6, 4)
	s_mul_i32 s0, ttmp9, s0
	s_delay_alu instid0(SALU_CYCLE_1) | instskip(SKIP_2) | instid1(SALU_CYCLE_1)
	s_add_co_i32 s1, s1, s0
	s_cmp_eq_u32 s2, 0
	s_cselect_b32 s0, ttmp9, s1
	s_lshl_b32 s2, s0, 11
	s_mov_b32 s0, -1
	s_wait_kmcnt 0x0
	s_sub_co_i32 s4, s4, s2
	s_delay_alu instid0(SALU_CYCLE_1)
	s_cmp_gt_i32 s4, 0x7ff
	s_cbranch_scc0 .LBB162_2
; %bb.1:
	s_ashr_i32 s3, s2, 31
	s_delay_alu instid0(SALU_CYCLE_1)
	s_lshl_b64 s[0:1], s[2:3], 1
	s_lshl_b32 s3, s5, 16
	s_add_nc_u64 s[12:13], s[8:9], s[0:1]
	s_add_nc_u64 s[14:15], s[10:11], s[0:1]
	s_clause 0x3
	global_load_b64 v[2:3], v0, s[12:13] scale_offset
	global_load_b64 v[4:5], v0, s[12:13] offset:2048 scale_offset
	global_load_b64 v[6:7], v0, s[14:15] scale_offset
	global_load_b64 v[8:9], v0, s[14:15] offset:2048 scale_offset
	s_wait_xcnt 0x2
	s_add_nc_u64 s[12:13], s[6:7], s[0:1]
	s_mov_b32 s0, 0
	s_wait_loadcnt 0x2
	v_and_b32_e32 v11, 0xffff0000, v4
	v_and_b32_e32 v1, 0xffff0000, v2
	v_lshlrev_b32_e32 v2, 16, v2
	v_and_b32_e32 v10, 0xffff0000, v3
	v_dual_lshlrev_b32 v3, 16, v3 :: v_dual_lshlrev_b32 v4, 16, v4
	s_delay_alu instid0(VALU_DEP_3) | instskip(NEXT) | instid1(VALU_DEP_2)
	v_dual_mul_f32 v1, s3, v1 :: v_dual_mul_f32 v2, s3, v2
	v_dual_mul_f32 v10, s3, v10 :: v_dual_mul_f32 v3, s3, v3
	v_and_b32_e32 v12, 0xffff0000, v5
	s_delay_alu instid0(VALU_DEP_3) | instskip(NEXT) | instid1(VALU_DEP_4)
	v_bfe_u32 v18, v1, 16, 1
	v_bfe_u32 v17, v2, 16, 1
	v_cmp_o_f32_e32 vcc_lo, v2, v2
	v_bfe_u32 v19, v3, 16, 1
	s_wait_loadcnt 0x1
	v_and_b32_e32 v13, 0xffff0000, v6
	v_add3_u32 v18, v1, v18, 0x7fff
	v_add3_u32 v17, v2, v17, 0x7fff
	v_and_b32_e32 v14, 0xffff0000, v7
	v_dual_lshlrev_b32 v6, 16, v6 :: v_dual_lshlrev_b32 v7, 16, v7
	v_lshlrev_b32_e32 v5, 16, v5
	s_delay_alu instid0(VALU_DEP_4)
	v_and_b32_e32 v17, 0xffff0000, v17
	v_dual_mul_f32 v4, s3, v4 :: v_dual_mul_f32 v11, s3, v11
	v_bfe_u32 v20, v10, 16, 1
	v_add3_u32 v19, v3, v19, 0x7fff
	v_and_b32_e32 v18, 0xffff0000, v18
	v_cndmask_b32_e32 v2, 0x7fc00000, v17, vcc_lo
	v_cmp_o_f32_e32 vcc_lo, v1, v1
	s_wait_loadcnt 0x0
	v_and_b32_e32 v15, 0xffff0000, v8
	v_and_b32_e32 v16, 0xffff0000, v9
	v_dual_lshlrev_b32 v8, 16, v8 :: v_dual_lshlrev_b32 v9, 16, v9
	v_bfe_u32 v21, v4, 16, 1
	v_add3_u32 v20, v10, v20, 0x7fff
	v_and_b32_e32 v19, 0xffff0000, v19
	v_cndmask_b32_e32 v1, 0x7fc00000, v18, vcc_lo
	v_cmp_o_f32_e32 vcc_lo, v3, v3
	v_dual_mul_f32 v5, s3, v5 :: v_dual_mul_f32 v12, s3, v12
	v_bfe_u32 v22, v11, 16, 1
	v_add3_u32 v21, v4, v21, 0x7fff
	v_and_b32_e32 v20, 0xffff0000, v20
	v_cndmask_b32_e32 v3, 0x7fc00000, v19, vcc_lo
	v_cmp_o_f32_e32 vcc_lo, v10, v10
	v_bfe_u32 v23, v5, 16, 1
	v_add3_u32 v22, v11, v22, 0x7fff
	v_and_b32_e32 v21, 0xffff0000, v21
	v_bfe_u32 v24, v12, 16, 1
	v_cndmask_b32_e32 v10, 0x7fc00000, v20, vcc_lo
	v_cmp_o_f32_e32 vcc_lo, v4, v4
	v_add3_u32 v23, v5, v23, 0x7fff
	v_and_b32_e32 v22, 0xffff0000, v22
	v_add3_u32 v24, v12, v24, 0x7fff
	v_dual_mul_f32 v3, v3, v7 :: v_dual_cndmask_b32 v4, 0x7fc00000, v21
	v_cmp_o_f32_e32 vcc_lo, v11, v11
	v_and_b32_e32 v23, 0xffff0000, v23
	s_delay_alu instid0(VALU_DEP_4) | instskip(SKIP_3) | instid1(VALU_DEP_2)
	v_and_b32_e32 v24, 0xffff0000, v24
	v_mul_f32_e32 v2, v2, v6
	v_cndmask_b32_e32 v11, 0x7fc00000, v22, vcc_lo
	v_cmp_o_f32_e32 vcc_lo, v5, v5
	v_dual_mul_f32 v7, v11, v15 :: v_dual_mul_f32 v4, v4, v8
	v_mul_f32_e32 v1, v1, v13
	v_dual_cndmask_b32 v5, 0x7fc00000, v23 :: v_dual_mul_f32 v6, v10, v14
	v_cmp_o_f32_e32 vcc_lo, v12, v12
	v_bfe_u32 v11, v3, 16, 1
	s_delay_alu instid0(VALU_DEP_4) | instskip(NEXT) | instid1(VALU_DEP_4)
	v_bfe_u32 v10, v1, 16, 1
	v_mul_f32_e32 v5, v5, v9
	v_bfe_u32 v9, v2, 16, 1
	v_cndmask_b32_e32 v12, 0x7fc00000, v24, vcc_lo
	v_add3_u32 v11, v3, v11, 0x7fff
	v_add3_u32 v10, v1, v10, 0x7fff
	v_cmp_o_f32_e32 vcc_lo, v2, v2
	v_add3_u32 v9, v2, v9, 0x7fff
	v_mul_f32_e32 v8, v12, v16
	v_bfe_u32 v12, v6, 16, 1
	v_and_b32_e32 v10, 0xffff0000, v10
	s_delay_alu instid0(VALU_DEP_4) | instskip(SKIP_1) | instid1(VALU_DEP_4)
	v_dual_lshrrev_b32 v11, 16, v11 :: v_dual_lshrrev_b32 v9, 16, v9
	v_bfe_u32 v13, v4, 16, 1
	v_add3_u32 v12, v6, v12, 0x7fff
	v_bfe_u32 v14, v7, 16, 1
	v_bfe_u32 v15, v5, 16, 1
	v_cndmask_b32_e32 v2, 0x7fc0, v9, vcc_lo
	v_cmp_o_f32_e32 vcc_lo, v1, v1
	v_add3_u32 v13, v4, v13, 0x7fff
	v_and_b32_e32 v12, 0xffff0000, v12
	v_add3_u32 v14, v7, v14, 0x7fff
	v_add3_u32 v15, v5, v15, 0x7fff
	v_cndmask_b32_e32 v1, 0x7fc00000, v10, vcc_lo
	v_cmp_o_f32_e32 vcc_lo, v3, v3
	v_lshrrev_b32_e32 v13, 16, v13
	v_bfe_u32 v16, v8, 16, 1
	v_and_b32_e32 v14, 0xffff0000, v14
	v_lshrrev_b32_e32 v15, 16, v15
	v_cndmask_b32_e32 v3, 0x7fc0, v11, vcc_lo
	v_cmp_o_f32_e32 vcc_lo, v6, v6
	v_add3_u32 v16, v8, v16, 0x7fff
	v_or_b32_e32 v1, v2, v1
	v_cndmask_b32_e32 v6, 0x7fc00000, v12, vcc_lo
	v_cmp_o_f32_e32 vcc_lo, v4, v4
	s_delay_alu instid0(VALU_DEP_4) | instskip(NEXT) | instid1(VALU_DEP_4)
	v_and_b32_e32 v16, 0xffff0000, v16
	v_or3_b32 v2, v1, 0, 0
	s_delay_alu instid0(VALU_DEP_4) | instskip(SKIP_4) | instid1(VALU_DEP_2)
	v_or3_b32 v3, 0, v3, v6
	v_cndmask_b32_e32 v4, 0x7fc0, v13, vcc_lo
	v_cmp_o_f32_e32 vcc_lo, v7, v7
	v_cndmask_b32_e32 v7, 0x7fc00000, v14, vcc_lo
	v_cmp_o_f32_e32 vcc_lo, v5, v5
	v_or_b32_e32 v4, v4, v7
	v_cndmask_b32_e32 v5, 0x7fc0, v15, vcc_lo
	v_cmp_o_f32_e32 vcc_lo, v8, v8
	s_delay_alu instid0(VALU_DEP_3) | instskip(SKIP_1) | instid1(VALU_DEP_1)
	v_or3_b32 v4, v4, 0, 0
	v_cndmask_b32_e32 v8, 0x7fc00000, v16, vcc_lo
	v_or3_b32 v5, 0, v5, v8
	s_clause 0x1
	global_store_b64 v0, v[2:3], s[12:13] scale_offset
	global_store_b64 v0, v[4:5], s[12:13] offset:2048 scale_offset
.LBB162_2:
	s_and_not1_b32 vcc_lo, exec_lo, s0
	s_cbranch_vccnz .LBB162_43
; %bb.3:
	v_cmp_gt_i32_e32 vcc_lo, s4, v0
	s_wait_xcnt 0x1
	v_dual_mov_b32 v3, 0 :: v_dual_bitop2_b32 v1, s2, v0 bitop3:0x54
	v_or_b32_e32 v2, 0x100, v0
	v_dual_mov_b32 v19, v0 :: v_dual_mov_b32 v8, 0
	v_mov_b32_e32 v7, 0
	s_wait_xcnt 0x0
	s_and_saveexec_b32 s0, vcc_lo
	s_cbranch_execz .LBB162_5
; %bb.4:
	s_clause 0x1
	global_load_u16 v4, v1, s[8:9] scale_offset
	global_load_u16 v5, v1, s[10:11] scale_offset
	v_or_b32_e32 v19, 0x100, v0
	s_wait_loadcnt 0x0
	v_dual_lshlrev_b32 v8, 16, v4 :: v_dual_lshlrev_b32 v7, 16, v5
.LBB162_5:
	s_wait_xcnt 0x0
	s_or_b32 exec_lo, exec_lo, s0
	v_mov_b32_e32 v9, 0
	s_mov_b32 s1, exec_lo
	v_cmpx_gt_i32_e64 s4, v19
	s_cbranch_execz .LBB162_7
; %bb.6:
	v_add_nc_u32_e32 v3, s2, v19
	v_add_nc_u32_e32 v19, 0x100, v19
	s_clause 0x1
	global_load_u16 v4, v3, s[8:9] scale_offset
	global_load_u16 v5, v3, s[10:11] scale_offset
	s_wait_loadcnt 0x0
	v_dual_lshlrev_b32 v3, 16, v4 :: v_dual_lshlrev_b32 v9, 16, v5
.LBB162_7:
	s_or_b32 exec_lo, exec_lo, s1
	v_dual_mov_b32 v4, 0 :: v_dual_mov_b32 v12, 0
	v_mov_b32_e32 v10, 0
	s_mov_b32 s1, exec_lo
	v_cmpx_gt_i32_e64 s4, v19
	s_cbranch_execz .LBB162_9
; %bb.8:
	v_add_nc_u32_e32 v5, s2, v19
	v_add_nc_u32_e32 v19, 0x100, v19
	s_clause 0x1
	global_load_u16 v6, v5, s[8:9] scale_offset
	global_load_u16 v10, v5, s[10:11] scale_offset
	s_wait_loadcnt 0x1
	v_lshlrev_b32_e32 v12, 16, v6
	s_wait_loadcnt 0x0
	v_lshlrev_b32_e32 v10, 16, v10
.LBB162_9:
	s_wait_xcnt 0x0
	s_or_b32 exec_lo, exec_lo, s1
	v_mov_b32_e32 v11, 0
	s_mov_b32 s1, exec_lo
	v_cmpx_gt_i32_e64 s4, v19
	s_cbranch_execz .LBB162_11
; %bb.10:
	v_add_nc_u32_e32 v4, s2, v19
	v_add_nc_u32_e32 v19, 0x100, v19
	s_clause 0x1
	global_load_u16 v5, v4, s[8:9] scale_offset
	global_load_u16 v6, v4, s[10:11] scale_offset
	s_wait_loadcnt 0x0
	v_dual_lshlrev_b32 v4, 16, v5 :: v_dual_lshlrev_b32 v11, 16, v6
.LBB162_11:
	s_or_b32 exec_lo, exec_lo, s1
	v_dual_mov_b32 v5, 0 :: v_dual_mov_b32 v15, 0
	v_mov_b32_e32 v13, 0
	s_mov_b32 s1, exec_lo
	v_cmpx_gt_i32_e64 s4, v19
	s_cbranch_execz .LBB162_13
; %bb.12:
	v_add_nc_u32_e32 v6, s2, v19
	v_add_nc_u32_e32 v19, 0x100, v19
	s_clause 0x1
	global_load_u16 v13, v6, s[8:9] scale_offset
	global_load_u16 v14, v6, s[10:11] scale_offset
	s_wait_loadcnt 0x0
	v_dual_lshlrev_b32 v15, 16, v13 :: v_dual_lshlrev_b32 v13, 16, v14
.LBB162_13:
	s_wait_xcnt 0x0
	s_or_b32 exec_lo, exec_lo, s1
	v_mov_b32_e32 v14, 0
	s_mov_b32 s1, exec_lo
	v_cmpx_gt_i32_e64 s4, v19
	s_cbranch_execz .LBB162_15
; %bb.14:
	v_add_nc_u32_e32 v5, s2, v19
	v_add_nc_u32_e32 v19, 0x100, v19
	s_clause 0x1
	global_load_u16 v6, v5, s[8:9] scale_offset
	global_load_u16 v14, v5, s[10:11] scale_offset
	s_wait_loadcnt 0x1
	s_wait_xcnt 0x0
	v_lshlrev_b32_e32 v5, 16, v6
	s_wait_loadcnt 0x0
	v_lshlrev_b32_e32 v14, 16, v14
.LBB162_15:
	s_or_b32 exec_lo, exec_lo, s1
	v_dual_mov_b32 v6, 0 :: v_dual_mov_b32 v18, 0
	v_mov_b32_e32 v16, 0
	s_mov_b32 s1, exec_lo
	v_cmpx_gt_i32_e64 s4, v19
	s_cbranch_execz .LBB162_17
; %bb.16:
	v_add_nc_u32_e32 v16, s2, v19
	v_add_nc_u32_e32 v19, 0x100, v19
	s_clause 0x1
	global_load_u16 v17, v16, s[8:9] scale_offset
	global_load_u16 v20, v16, s[10:11] scale_offset
	s_wait_loadcnt 0x0
	v_dual_lshlrev_b32 v18, 16, v17 :: v_dual_lshlrev_b32 v16, 16, v20
.LBB162_17:
	s_or_b32 exec_lo, exec_lo, s1
	v_mov_b32_e32 v17, 0
	s_mov_b32 s1, exec_lo
	v_cmpx_gt_i32_e64 s4, v19
	s_cbranch_execz .LBB162_19
; %bb.18:
	v_add_nc_u32_e32 v6, s2, v19
	s_clause 0x1
	global_load_u16 v17, v6, s[8:9] scale_offset
	global_load_u16 v19, v6, s[10:11] scale_offset
	s_wait_loadcnt 0x0
	v_dual_lshlrev_b32 v6, 16, v17 :: v_dual_lshlrev_b32 v17, 16, v19
.LBB162_19:
	s_or_b32 exec_lo, exec_lo, s1
	s_lshl_b32 s1, s5, 16
                                        ; implicit-def: $vgpr19
	s_and_saveexec_b32 s3, vcc_lo
	s_cbranch_execz .LBB162_21
; %bb.20:
	v_mul_f32_e32 v8, s1, v8
	s_delay_alu instid0(VALU_DEP_1) | instskip(SKIP_1) | instid1(VALU_DEP_2)
	v_bfe_u32 v19, v8, 16, 1
	v_cmp_o_f32_e64 s0, v8, v8
	v_add3_u32 v19, v8, v19, 0x7fff
	s_delay_alu instid0(VALU_DEP_1) | instskip(NEXT) | instid1(VALU_DEP_1)
	v_and_b32_e32 v19, 0xffff0000, v19
	v_cndmask_b32_e64 v8, 0x7fc00000, v19, s0
	s_delay_alu instid0(VALU_DEP_1) | instskip(NEXT) | instid1(VALU_DEP_1)
	v_mul_f32_e32 v7, v7, v8
	v_bfe_u32 v8, v7, 16, 1
	s_delay_alu instid0(VALU_DEP_1) | instskip(NEXT) | instid1(VALU_DEP_1)
	v_add3_u32 v8, v7, v8, 0x7fff
	v_lshrrev_b32_e32 v8, 16, v8
	v_cmp_o_f32_e64 s0, v7, v7
	s_delay_alu instid0(VALU_DEP_1)
	v_cndmask_b32_e64 v19, 0x7fc0, v8, s0
.LBB162_21:
	s_or_b32 exec_lo, exec_lo, s3
	s_delay_alu instid0(SALU_CYCLE_1)
	s_mov_b32 s3, exec_lo
                                        ; implicit-def: $vgpr7
	v_cmpx_gt_i32_e64 s4, v2
	s_cbranch_execz .LBB162_23
; %bb.22:
	v_mul_f32_e32 v3, s1, v3
	s_delay_alu instid0(VALU_DEP_1) | instskip(SKIP_1) | instid1(VALU_DEP_2)
	v_bfe_u32 v7, v3, 16, 1
	v_cmp_o_f32_e64 s0, v3, v3
	v_add3_u32 v7, v3, v7, 0x7fff
	s_delay_alu instid0(VALU_DEP_1) | instskip(NEXT) | instid1(VALU_DEP_1)
	v_and_b32_e32 v7, 0xffff0000, v7
	v_cndmask_b32_e64 v3, 0x7fc00000, v7, s0
	s_delay_alu instid0(VALU_DEP_1) | instskip(NEXT) | instid1(VALU_DEP_1)
	v_mul_f32_e32 v3, v9, v3
	v_bfe_u32 v7, v3, 16, 1
	v_cmp_o_f32_e64 s0, v3, v3
	s_delay_alu instid0(VALU_DEP_2) | instskip(NEXT) | instid1(VALU_DEP_1)
	v_add3_u32 v7, v3, v7, 0x7fff
	v_lshrrev_b32_e32 v7, 16, v7
	s_delay_alu instid0(VALU_DEP_1)
	v_cndmask_b32_e64 v7, 0x7fc0, v7, s0
.LBB162_23:
	s_or_b32 exec_lo, exec_lo, s3
	v_or_b32_e32 v3, 0x200, v0
	s_delay_alu instid0(VALU_DEP_1)
	v_cmp_gt_i32_e64 s0, s4, v3
                                        ; implicit-def: $vgpr3
	s_and_saveexec_b32 s3, s0
	s_cbranch_execz .LBB162_25
; %bb.24:
	v_mul_f32_e32 v3, s1, v12
	s_delay_alu instid0(VALU_DEP_1) | instskip(SKIP_1) | instid1(VALU_DEP_2)
	v_bfe_u32 v8, v3, 16, 1
	v_cmp_o_f32_e64 s0, v3, v3
	v_add3_u32 v8, v3, v8, 0x7fff
	s_delay_alu instid0(VALU_DEP_1) | instskip(NEXT) | instid1(VALU_DEP_1)
	v_and_b32_e32 v8, 0xffff0000, v8
	v_cndmask_b32_e64 v3, 0x7fc00000, v8, s0
	s_delay_alu instid0(VALU_DEP_1) | instskip(NEXT) | instid1(VALU_DEP_1)
	v_mul_f32_e32 v3, v10, v3
	v_bfe_u32 v8, v3, 16, 1
	s_delay_alu instid0(VALU_DEP_1) | instskip(NEXT) | instid1(VALU_DEP_1)
	v_add3_u32 v8, v3, v8, 0x7fff
	v_lshrrev_b32_e32 v8, 16, v8
	v_cmp_o_f32_e64 s0, v3, v3
	s_delay_alu instid0(VALU_DEP_1)
	v_cndmask_b32_e64 v3, 0x7fc0, v8, s0
.LBB162_25:
	s_or_b32 exec_lo, exec_lo, s3
	v_or_b32_e32 v8, 0x300, v0
	s_delay_alu instid0(VALU_DEP_1)
	v_cmp_gt_i32_e64 s0, s4, v8
                                        ; implicit-def: $vgpr8
	s_and_saveexec_b32 s3, s0
	s_cbranch_execz .LBB162_27
; %bb.26:
	v_mul_f32_e32 v4, s1, v4
	s_delay_alu instid0(VALU_DEP_1) | instskip(SKIP_1) | instid1(VALU_DEP_2)
	v_bfe_u32 v8, v4, 16, 1
	v_cmp_o_f32_e64 s0, v4, v4
	v_add3_u32 v8, v4, v8, 0x7fff
	s_delay_alu instid0(VALU_DEP_1) | instskip(NEXT) | instid1(VALU_DEP_1)
	v_and_b32_e32 v8, 0xffff0000, v8
	v_cndmask_b32_e64 v4, 0x7fc00000, v8, s0
	s_delay_alu instid0(VALU_DEP_1) | instskip(NEXT) | instid1(VALU_DEP_1)
	v_mul_f32_e32 v4, v11, v4
	v_bfe_u32 v8, v4, 16, 1
	v_cmp_o_f32_e64 s0, v4, v4
	s_delay_alu instid0(VALU_DEP_2) | instskip(NEXT) | instid1(VALU_DEP_1)
	v_add3_u32 v8, v4, v8, 0x7fff
	v_lshrrev_b32_e32 v8, 16, v8
	s_delay_alu instid0(VALU_DEP_1)
	v_cndmask_b32_e64 v8, 0x7fc0, v8, s0
.LBB162_27:
	s_or_b32 exec_lo, exec_lo, s3
	v_or_b32_e32 v4, 0x400, v0
	s_delay_alu instid0(VALU_DEP_1)
	v_cmp_gt_i32_e64 s0, s4, v4
                                        ; implicit-def: $vgpr4
	s_and_saveexec_b32 s3, s0
	s_cbranch_execz .LBB162_29
; %bb.28:
	v_mul_f32_e32 v4, s1, v15
	s_delay_alu instid0(VALU_DEP_1) | instskip(SKIP_1) | instid1(VALU_DEP_2)
	v_bfe_u32 v9, v4, 16, 1
	v_cmp_o_f32_e64 s0, v4, v4
	v_add3_u32 v9, v4, v9, 0x7fff
	s_delay_alu instid0(VALU_DEP_1) | instskip(NEXT) | instid1(VALU_DEP_1)
	v_and_b32_e32 v9, 0xffff0000, v9
	v_cndmask_b32_e64 v4, 0x7fc00000, v9, s0
	s_delay_alu instid0(VALU_DEP_1) | instskip(NEXT) | instid1(VALU_DEP_1)
	v_mul_f32_e32 v4, v13, v4
	v_bfe_u32 v9, v4, 16, 1
	v_cmp_o_f32_e64 s0, v4, v4
	s_delay_alu instid0(VALU_DEP_2) | instskip(NEXT) | instid1(VALU_DEP_1)
	v_add3_u32 v9, v4, v9, 0x7fff
	v_lshrrev_b32_e32 v9, 16, v9
	s_delay_alu instid0(VALU_DEP_1)
	v_cndmask_b32_e64 v4, 0x7fc0, v9, s0
.LBB162_29:
	s_or_b32 exec_lo, exec_lo, s3
	v_or_b32_e32 v9, 0x500, v0
	s_delay_alu instid0(VALU_DEP_1)
	v_cmp_gt_i32_e64 s0, s4, v9
                                        ; implicit-def: $vgpr9
	s_and_saveexec_b32 s3, s0
	s_cbranch_execz .LBB162_31
; %bb.30:
	v_mul_f32_e32 v5, s1, v5
	s_delay_alu instid0(VALU_DEP_1) | instskip(SKIP_1) | instid1(VALU_DEP_2)
	v_bfe_u32 v9, v5, 16, 1
	v_cmp_o_f32_e64 s0, v5, v5
	v_add3_u32 v9, v5, v9, 0x7fff
	s_delay_alu instid0(VALU_DEP_1) | instskip(NEXT) | instid1(VALU_DEP_1)
	v_and_b32_e32 v9, 0xffff0000, v9
	v_cndmask_b32_e64 v5, 0x7fc00000, v9, s0
	s_delay_alu instid0(VALU_DEP_1) | instskip(NEXT) | instid1(VALU_DEP_1)
	v_mul_f32_e32 v5, v14, v5
	v_bfe_u32 v9, v5, 16, 1
	v_cmp_o_f32_e64 s0, v5, v5
	s_delay_alu instid0(VALU_DEP_2) | instskip(NEXT) | instid1(VALU_DEP_1)
	v_add3_u32 v9, v5, v9, 0x7fff
	v_lshrrev_b32_e32 v9, 16, v9
	s_delay_alu instid0(VALU_DEP_1)
	v_cndmask_b32_e64 v9, 0x7fc0, v9, s0
.LBB162_31:
	s_or_b32 exec_lo, exec_lo, s3
	v_or_b32_e32 v5, 0x600, v0
	s_delay_alu instid0(VALU_DEP_1)
	v_cmp_gt_i32_e64 s0, s4, v5
                                        ; implicit-def: $vgpr5
	s_and_saveexec_b32 s3, s0
	s_cbranch_execz .LBB162_33
; %bb.32:
	v_mul_f32_e32 v5, s1, v18
	s_delay_alu instid0(VALU_DEP_1) | instskip(SKIP_1) | instid1(VALU_DEP_2)
	v_bfe_u32 v10, v5, 16, 1
	v_cmp_o_f32_e64 s0, v5, v5
	v_add3_u32 v10, v5, v10, 0x7fff
	s_delay_alu instid0(VALU_DEP_1) | instskip(NEXT) | instid1(VALU_DEP_1)
	v_and_b32_e32 v10, 0xffff0000, v10
	v_cndmask_b32_e64 v5, 0x7fc00000, v10, s0
	s_delay_alu instid0(VALU_DEP_1) | instskip(NEXT) | instid1(VALU_DEP_1)
	v_mul_f32_e32 v5, v16, v5
	v_bfe_u32 v10, v5, 16, 1
	s_delay_alu instid0(VALU_DEP_1) | instskip(NEXT) | instid1(VALU_DEP_1)
	v_add3_u32 v10, v5, v10, 0x7fff
	v_lshrrev_b32_e32 v10, 16, v10
	v_cmp_o_f32_e64 s0, v5, v5
	s_delay_alu instid0(VALU_DEP_1)
	v_cndmask_b32_e64 v5, 0x7fc0, v10, s0
.LBB162_33:
	s_or_b32 exec_lo, exec_lo, s3
	v_or_b32_e32 v10, 0x700, v0
	s_delay_alu instid0(VALU_DEP_1)
	v_cmp_gt_i32_e64 s0, s4, v10
                                        ; implicit-def: $vgpr10
	s_and_saveexec_b32 s3, s0
	s_cbranch_execz .LBB162_44
; %bb.34:
	v_mul_f32_e32 v6, s1, v6
	s_delay_alu instid0(VALU_DEP_1) | instskip(SKIP_1) | instid1(VALU_DEP_2)
	v_bfe_u32 v10, v6, 16, 1
	v_cmp_o_f32_e64 s0, v6, v6
	v_add3_u32 v10, v6, v10, 0x7fff
	s_delay_alu instid0(VALU_DEP_1) | instskip(NEXT) | instid1(VALU_DEP_1)
	v_and_b32_e32 v10, 0xffff0000, v10
	v_cndmask_b32_e64 v6, 0x7fc00000, v10, s0
	s_delay_alu instid0(VALU_DEP_1) | instskip(NEXT) | instid1(VALU_DEP_1)
	v_mul_f32_e32 v6, v17, v6
	v_bfe_u32 v10, v6, 16, 1
	v_cmp_o_f32_e64 s0, v6, v6
	s_delay_alu instid0(VALU_DEP_2) | instskip(NEXT) | instid1(VALU_DEP_1)
	v_add3_u32 v10, v6, v10, 0x7fff
	v_lshrrev_b32_e32 v10, 16, v10
	s_delay_alu instid0(VALU_DEP_1) | instskip(SKIP_2) | instid1(SALU_CYCLE_1)
	v_cndmask_b32_e64 v10, 0x7fc0, v10, s0
	s_or_b32 exec_lo, exec_lo, s3
	s_and_saveexec_b32 s0, vcc_lo
	s_xor_b32 s0, exec_lo, s0
	s_cbranch_execnz .LBB162_45
.LBB162_35:
	s_or_b32 exec_lo, exec_lo, s0
	s_delay_alu instid0(SALU_CYCLE_1)
	s_mov_b32 s0, exec_lo
	v_cmpx_gt_i32_e64 s4, v0
	s_cbranch_execz .LBB162_46
.LBB162_36:
	v_add_nc_u32_e32 v1, s2, v0
	v_add_nc_u32_e32 v0, 0x100, v0
	global_store_b16 v1, v7, s[6:7] scale_offset
	s_wait_xcnt 0x0
	s_or_b32 exec_lo, exec_lo, s0
	s_delay_alu instid0(SALU_CYCLE_1)
	s_mov_b32 s0, exec_lo
	v_cmpx_gt_i32_e64 s4, v0
	s_cbranch_execnz .LBB162_47
.LBB162_37:
	s_or_b32 exec_lo, exec_lo, s0
	s_delay_alu instid0(SALU_CYCLE_1)
	s_mov_b32 s0, exec_lo
	v_cmpx_gt_i32_e64 s4, v0
	s_cbranch_execz .LBB162_48
.LBB162_38:
	v_add_nc_u32_e32 v1, s2, v0
	v_add_nc_u32_e32 v0, 0x100, v0
	global_store_b16 v1, v8, s[6:7] scale_offset
	s_wait_xcnt 0x0
	s_or_b32 exec_lo, exec_lo, s0
	s_delay_alu instid0(SALU_CYCLE_1)
	s_mov_b32 s0, exec_lo
	v_cmpx_gt_i32_e64 s4, v0
	s_cbranch_execnz .LBB162_49
.LBB162_39:
	s_or_b32 exec_lo, exec_lo, s0
	s_delay_alu instid0(SALU_CYCLE_1)
	s_mov_b32 s0, exec_lo
	v_cmpx_gt_i32_e64 s4, v0
	s_cbranch_execz .LBB162_50
.LBB162_40:
	v_add_nc_u32_e32 v1, s2, v0
	v_add_nc_u32_e32 v0, 0x100, v0
	global_store_b16 v1, v9, s[6:7] scale_offset
	s_wait_xcnt 0x0
	s_or_b32 exec_lo, exec_lo, s0
	s_delay_alu instid0(SALU_CYCLE_1)
	s_mov_b32 s0, exec_lo
	v_cmpx_gt_i32_e64 s4, v0
	s_cbranch_execnz .LBB162_51
.LBB162_41:
	s_or_b32 exec_lo, exec_lo, s0
	s_delay_alu instid0(SALU_CYCLE_1)
	s_mov_b32 s0, exec_lo
	v_cmpx_gt_i32_e64 s4, v0
	s_cbranch_execz .LBB162_43
.LBB162_42:
	v_add_nc_u32_e32 v0, s2, v0
	global_store_b16 v0, v10, s[6:7] scale_offset
.LBB162_43:
	s_endpgm
.LBB162_44:
	s_or_b32 exec_lo, exec_lo, s3
	s_and_saveexec_b32 s0, vcc_lo
	s_delay_alu instid0(SALU_CYCLE_1)
	s_xor_b32 s0, exec_lo, s0
	s_cbranch_execz .LBB162_35
.LBB162_45:
	v_mov_b32_e32 v0, v2
	global_store_b16 v1, v19, s[6:7] scale_offset
	s_wait_xcnt 0x0
	s_or_b32 exec_lo, exec_lo, s0
	s_delay_alu instid0(SALU_CYCLE_1)
	s_mov_b32 s0, exec_lo
	v_cmpx_gt_i32_e64 s4, v0
	s_cbranch_execnz .LBB162_36
.LBB162_46:
	s_or_b32 exec_lo, exec_lo, s0
	s_delay_alu instid0(SALU_CYCLE_1)
	s_mov_b32 s0, exec_lo
	v_cmpx_gt_i32_e64 s4, v0
	s_cbranch_execz .LBB162_37
.LBB162_47:
	v_add_nc_u32_e32 v1, s2, v0
	v_add_nc_u32_e32 v0, 0x100, v0
	global_store_b16 v1, v3, s[6:7] scale_offset
	s_wait_xcnt 0x0
	s_or_b32 exec_lo, exec_lo, s0
	s_delay_alu instid0(SALU_CYCLE_1)
	s_mov_b32 s0, exec_lo
	v_cmpx_gt_i32_e64 s4, v0
	s_cbranch_execnz .LBB162_38
.LBB162_48:
	s_or_b32 exec_lo, exec_lo, s0
	s_delay_alu instid0(SALU_CYCLE_1)
	s_mov_b32 s0, exec_lo
	v_cmpx_gt_i32_e64 s4, v0
	s_cbranch_execz .LBB162_39
.LBB162_49:
	v_add_nc_u32_e32 v1, s2, v0
	v_add_nc_u32_e32 v0, 0x100, v0
	global_store_b16 v1, v4, s[6:7] scale_offset
	s_wait_xcnt 0x0
	s_or_b32 exec_lo, exec_lo, s0
	s_delay_alu instid0(SALU_CYCLE_1)
	s_mov_b32 s0, exec_lo
	v_cmpx_gt_i32_e64 s4, v0
	s_cbranch_execnz .LBB162_40
.LBB162_50:
	s_or_b32 exec_lo, exec_lo, s0
	s_delay_alu instid0(SALU_CYCLE_1)
	s_mov_b32 s0, exec_lo
	v_cmpx_gt_i32_e64 s4, v0
	s_cbranch_execz .LBB162_41
.LBB162_51:
	v_add_nc_u32_e32 v1, s2, v0
	v_add_nc_u32_e32 v0, 0x100, v0
	global_store_b16 v1, v5, s[6:7] scale_offset
	s_wait_xcnt 0x0
	s_or_b32 exec_lo, exec_lo, s0
	s_delay_alu instid0(SALU_CYCLE_1)
	s_mov_b32 s0, exec_lo
	v_cmpx_gt_i32_e64 s4, v0
	s_cbranch_execnz .LBB162_42
	s_branch .LBB162_43
	.section	.rodata,"a",@progbits
	.p2align	6, 0x0
	.amdhsa_kernel _ZN2at6native29vectorized_elementwise_kernelILi4EZZZNS0_12_GLOBAL__N_116addr_kernel_cudaERNS_14TensorIteratorERKN3c106ScalarES8_ENKUlvE_clEvENKUlvE8_clEvEUlNS5_8BFloat16ESB_SB_E_St5arrayIPcLm4EEEEviT0_T1_
		.amdhsa_group_segment_fixed_size 0
		.amdhsa_private_segment_fixed_size 0
		.amdhsa_kernarg_size 40
		.amdhsa_user_sgpr_count 2
		.amdhsa_user_sgpr_dispatch_ptr 0
		.amdhsa_user_sgpr_queue_ptr 0
		.amdhsa_user_sgpr_kernarg_segment_ptr 1
		.amdhsa_user_sgpr_dispatch_id 0
		.amdhsa_user_sgpr_kernarg_preload_length 0
		.amdhsa_user_sgpr_kernarg_preload_offset 0
		.amdhsa_user_sgpr_private_segment_size 0
		.amdhsa_wavefront_size32 1
		.amdhsa_uses_dynamic_stack 0
		.amdhsa_enable_private_segment 0
		.amdhsa_system_sgpr_workgroup_id_x 1
		.amdhsa_system_sgpr_workgroup_id_y 0
		.amdhsa_system_sgpr_workgroup_id_z 0
		.amdhsa_system_sgpr_workgroup_info 0
		.amdhsa_system_vgpr_workitem_id 0
		.amdhsa_next_free_vgpr 25
		.amdhsa_next_free_sgpr 16
		.amdhsa_named_barrier_count 0
		.amdhsa_reserve_vcc 1
		.amdhsa_float_round_mode_32 0
		.amdhsa_float_round_mode_16_64 0
		.amdhsa_float_denorm_mode_32 3
		.amdhsa_float_denorm_mode_16_64 3
		.amdhsa_fp16_overflow 0
		.amdhsa_memory_ordered 1
		.amdhsa_forward_progress 1
		.amdhsa_inst_pref_size 29
		.amdhsa_round_robin_scheduling 0
		.amdhsa_exception_fp_ieee_invalid_op 0
		.amdhsa_exception_fp_denorm_src 0
		.amdhsa_exception_fp_ieee_div_zero 0
		.amdhsa_exception_fp_ieee_overflow 0
		.amdhsa_exception_fp_ieee_underflow 0
		.amdhsa_exception_fp_ieee_inexact 0
		.amdhsa_exception_int_div_zero 0
	.end_amdhsa_kernel
	.section	.text._ZN2at6native29vectorized_elementwise_kernelILi4EZZZNS0_12_GLOBAL__N_116addr_kernel_cudaERNS_14TensorIteratorERKN3c106ScalarES8_ENKUlvE_clEvENKUlvE8_clEvEUlNS5_8BFloat16ESB_SB_E_St5arrayIPcLm4EEEEviT0_T1_,"axG",@progbits,_ZN2at6native29vectorized_elementwise_kernelILi4EZZZNS0_12_GLOBAL__N_116addr_kernel_cudaERNS_14TensorIteratorERKN3c106ScalarES8_ENKUlvE_clEvENKUlvE8_clEvEUlNS5_8BFloat16ESB_SB_E_St5arrayIPcLm4EEEEviT0_T1_,comdat
.Lfunc_end162:
	.size	_ZN2at6native29vectorized_elementwise_kernelILi4EZZZNS0_12_GLOBAL__N_116addr_kernel_cudaERNS_14TensorIteratorERKN3c106ScalarES8_ENKUlvE_clEvENKUlvE8_clEvEUlNS5_8BFloat16ESB_SB_E_St5arrayIPcLm4EEEEviT0_T1_, .Lfunc_end162-_ZN2at6native29vectorized_elementwise_kernelILi4EZZZNS0_12_GLOBAL__N_116addr_kernel_cudaERNS_14TensorIteratorERKN3c106ScalarES8_ENKUlvE_clEvENKUlvE8_clEvEUlNS5_8BFloat16ESB_SB_E_St5arrayIPcLm4EEEEviT0_T1_
                                        ; -- End function
	.set _ZN2at6native29vectorized_elementwise_kernelILi4EZZZNS0_12_GLOBAL__N_116addr_kernel_cudaERNS_14TensorIteratorERKN3c106ScalarES8_ENKUlvE_clEvENKUlvE8_clEvEUlNS5_8BFloat16ESB_SB_E_St5arrayIPcLm4EEEEviT0_T1_.num_vgpr, 25
	.set _ZN2at6native29vectorized_elementwise_kernelILi4EZZZNS0_12_GLOBAL__N_116addr_kernel_cudaERNS_14TensorIteratorERKN3c106ScalarES8_ENKUlvE_clEvENKUlvE8_clEvEUlNS5_8BFloat16ESB_SB_E_St5arrayIPcLm4EEEEviT0_T1_.num_agpr, 0
	.set _ZN2at6native29vectorized_elementwise_kernelILi4EZZZNS0_12_GLOBAL__N_116addr_kernel_cudaERNS_14TensorIteratorERKN3c106ScalarES8_ENKUlvE_clEvENKUlvE8_clEvEUlNS5_8BFloat16ESB_SB_E_St5arrayIPcLm4EEEEviT0_T1_.numbered_sgpr, 16
	.set _ZN2at6native29vectorized_elementwise_kernelILi4EZZZNS0_12_GLOBAL__N_116addr_kernel_cudaERNS_14TensorIteratorERKN3c106ScalarES8_ENKUlvE_clEvENKUlvE8_clEvEUlNS5_8BFloat16ESB_SB_E_St5arrayIPcLm4EEEEviT0_T1_.num_named_barrier, 0
	.set _ZN2at6native29vectorized_elementwise_kernelILi4EZZZNS0_12_GLOBAL__N_116addr_kernel_cudaERNS_14TensorIteratorERKN3c106ScalarES8_ENKUlvE_clEvENKUlvE8_clEvEUlNS5_8BFloat16ESB_SB_E_St5arrayIPcLm4EEEEviT0_T1_.private_seg_size, 0
	.set _ZN2at6native29vectorized_elementwise_kernelILi4EZZZNS0_12_GLOBAL__N_116addr_kernel_cudaERNS_14TensorIteratorERKN3c106ScalarES8_ENKUlvE_clEvENKUlvE8_clEvEUlNS5_8BFloat16ESB_SB_E_St5arrayIPcLm4EEEEviT0_T1_.uses_vcc, 1
	.set _ZN2at6native29vectorized_elementwise_kernelILi4EZZZNS0_12_GLOBAL__N_116addr_kernel_cudaERNS_14TensorIteratorERKN3c106ScalarES8_ENKUlvE_clEvENKUlvE8_clEvEUlNS5_8BFloat16ESB_SB_E_St5arrayIPcLm4EEEEviT0_T1_.uses_flat_scratch, 0
	.set _ZN2at6native29vectorized_elementwise_kernelILi4EZZZNS0_12_GLOBAL__N_116addr_kernel_cudaERNS_14TensorIteratorERKN3c106ScalarES8_ENKUlvE_clEvENKUlvE8_clEvEUlNS5_8BFloat16ESB_SB_E_St5arrayIPcLm4EEEEviT0_T1_.has_dyn_sized_stack, 0
	.set _ZN2at6native29vectorized_elementwise_kernelILi4EZZZNS0_12_GLOBAL__N_116addr_kernel_cudaERNS_14TensorIteratorERKN3c106ScalarES8_ENKUlvE_clEvENKUlvE8_clEvEUlNS5_8BFloat16ESB_SB_E_St5arrayIPcLm4EEEEviT0_T1_.has_recursion, 0
	.set _ZN2at6native29vectorized_elementwise_kernelILi4EZZZNS0_12_GLOBAL__N_116addr_kernel_cudaERNS_14TensorIteratorERKN3c106ScalarES8_ENKUlvE_clEvENKUlvE8_clEvEUlNS5_8BFloat16ESB_SB_E_St5arrayIPcLm4EEEEviT0_T1_.has_indirect_call, 0
	.section	.AMDGPU.csdata,"",@progbits
; Kernel info:
; codeLenInByte = 3592
; TotalNumSgprs: 18
; NumVgprs: 25
; ScratchSize: 0
; MemoryBound: 0
; FloatMode: 240
; IeeeMode: 1
; LDSByteSize: 0 bytes/workgroup (compile time only)
; SGPRBlocks: 0
; VGPRBlocks: 1
; NumSGPRsForWavesPerEU: 18
; NumVGPRsForWavesPerEU: 25
; NamedBarCnt: 0
; Occupancy: 16
; WaveLimiterHint : 1
; COMPUTE_PGM_RSRC2:SCRATCH_EN: 0
; COMPUTE_PGM_RSRC2:USER_SGPR: 2
; COMPUTE_PGM_RSRC2:TRAP_HANDLER: 0
; COMPUTE_PGM_RSRC2:TGID_X_EN: 1
; COMPUTE_PGM_RSRC2:TGID_Y_EN: 0
; COMPUTE_PGM_RSRC2:TGID_Z_EN: 0
; COMPUTE_PGM_RSRC2:TIDIG_COMP_CNT: 0
	.section	.text._ZN2at6native29vectorized_elementwise_kernelILi2EZZZNS0_12_GLOBAL__N_116addr_kernel_cudaERNS_14TensorIteratorERKN3c106ScalarES8_ENKUlvE_clEvENKUlvE8_clEvEUlNS5_8BFloat16ESB_SB_E_St5arrayIPcLm4EEEEviT0_T1_,"axG",@progbits,_ZN2at6native29vectorized_elementwise_kernelILi2EZZZNS0_12_GLOBAL__N_116addr_kernel_cudaERNS_14TensorIteratorERKN3c106ScalarES8_ENKUlvE_clEvENKUlvE8_clEvEUlNS5_8BFloat16ESB_SB_E_St5arrayIPcLm4EEEEviT0_T1_,comdat
	.globl	_ZN2at6native29vectorized_elementwise_kernelILi2EZZZNS0_12_GLOBAL__N_116addr_kernel_cudaERNS_14TensorIteratorERKN3c106ScalarES8_ENKUlvE_clEvENKUlvE8_clEvEUlNS5_8BFloat16ESB_SB_E_St5arrayIPcLm4EEEEviT0_T1_ ; -- Begin function _ZN2at6native29vectorized_elementwise_kernelILi2EZZZNS0_12_GLOBAL__N_116addr_kernel_cudaERNS_14TensorIteratorERKN3c106ScalarES8_ENKUlvE_clEvENKUlvE8_clEvEUlNS5_8BFloat16ESB_SB_E_St5arrayIPcLm4EEEEviT0_T1_
	.p2align	8
	.type	_ZN2at6native29vectorized_elementwise_kernelILi2EZZZNS0_12_GLOBAL__N_116addr_kernel_cudaERNS_14TensorIteratorERKN3c106ScalarES8_ENKUlvE_clEvENKUlvE8_clEvEUlNS5_8BFloat16ESB_SB_E_St5arrayIPcLm4EEEEviT0_T1_,@function
_ZN2at6native29vectorized_elementwise_kernelILi2EZZZNS0_12_GLOBAL__N_116addr_kernel_cudaERNS_14TensorIteratorERKN3c106ScalarES8_ENKUlvE_clEvENKUlvE8_clEvEUlNS5_8BFloat16ESB_SB_E_St5arrayIPcLm4EEEEviT0_T1_: ; @_ZN2at6native29vectorized_elementwise_kernelILi2EZZZNS0_12_GLOBAL__N_116addr_kernel_cudaERNS_14TensorIteratorERKN3c106ScalarES8_ENKUlvE_clEvENKUlvE8_clEvEUlNS5_8BFloat16ESB_SB_E_St5arrayIPcLm4EEEEviT0_T1_
; %bb.0:
	s_clause 0x1
	s_load_b128 s[4:7], s[0:1], 0x0
	s_load_b128 s[8:11], s[0:1], 0x18
	s_wait_xcnt 0x0
	s_bfe_u32 s0, ttmp6, 0x4000c
	s_and_b32 s1, ttmp6, 15
	s_add_co_i32 s0, s0, 1
	s_getreg_b32 s2, hwreg(HW_REG_IB_STS2, 6, 4)
	s_mul_i32 s0, ttmp9, s0
	s_delay_alu instid0(SALU_CYCLE_1) | instskip(SKIP_2) | instid1(SALU_CYCLE_1)
	s_add_co_i32 s1, s1, s0
	s_cmp_eq_u32 s2, 0
	s_cselect_b32 s0, ttmp9, s1
	s_lshl_b32 s2, s0, 11
	s_mov_b32 s0, -1
	s_wait_kmcnt 0x0
	s_sub_co_i32 s4, s4, s2
	s_delay_alu instid0(SALU_CYCLE_1)
	s_cmp_gt_i32 s4, 0x7ff
	s_cbranch_scc0 .LBB163_2
; %bb.1:
	s_ashr_i32 s3, s2, 31
	s_delay_alu instid0(SALU_CYCLE_1)
	s_lshl_b64 s[0:1], s[2:3], 1
	s_lshl_b32 s3, s5, 16
	s_add_nc_u64 s[12:13], s[8:9], s[0:1]
	s_add_nc_u64 s[14:15], s[10:11], s[0:1]
	s_clause 0x7
	global_load_b32 v1, v0, s[12:13] scale_offset
	global_load_b32 v2, v0, s[12:13] offset:1024 scale_offset
	global_load_b32 v3, v0, s[12:13] offset:2048 scale_offset
	;; [unrolled: 1-line block ×3, first 2 shown]
	global_load_b32 v5, v0, s[14:15] scale_offset
	global_load_b32 v6, v0, s[14:15] offset:1024 scale_offset
	global_load_b32 v7, v0, s[14:15] offset:2048 scale_offset
	;; [unrolled: 1-line block ×3, first 2 shown]
	s_wait_xcnt 0x4
	s_add_nc_u64 s[12:13], s[6:7], s[0:1]
	s_mov_b32 s0, 0
	s_wait_loadcnt 0x7
	v_and_b32_e32 v9, 0xffff0000, v1
	v_lshlrev_b32_e32 v1, 16, v1
	s_wait_loadcnt 0x6
	v_and_b32_e32 v10, 0xffff0000, v2
	v_lshlrev_b32_e32 v2, 16, v2
	s_wait_loadcnt 0x5
	v_and_b32_e32 v11, 0xffff0000, v3
	v_mul_f32_e32 v9, s3, v9
	v_dual_mul_f32 v1, s3, v1 :: v_dual_mul_f32 v10, s3, v10
	v_dual_mul_f32 v2, s3, v2 :: v_dual_lshlrev_b32 v3, 16, v3
	s_delay_alu instid0(VALU_DEP_3) | instskip(NEXT) | instid1(VALU_DEP_3)
	v_bfe_u32 v18, v9, 16, 1
	v_bfe_u32 v17, v1, 16, 1
	v_cmp_o_f32_e32 vcc_lo, v1, v1
	s_delay_alu instid0(VALU_DEP_4)
	v_bfe_u32 v19, v2, 16, 1
	s_wait_loadcnt 0x4
	v_and_b32_e32 v12, 0xffff0000, v4
	v_add3_u32 v18, v9, v18, 0x7fff
	v_add3_u32 v17, v1, v17, 0x7fff
	s_wait_loadcnt 0x3
	v_and_b32_e32 v13, 0xffff0000, v5
	s_wait_loadcnt 0x2
	v_and_b32_e32 v14, 0xffff0000, v6
	v_dual_lshlrev_b32 v5, 16, v5 :: v_dual_lshlrev_b32 v6, 16, v6
	v_and_b32_e32 v17, 0xffff0000, v17
	v_dual_mul_f32 v3, s3, v3 :: v_dual_lshlrev_b32 v4, 16, v4
	v_bfe_u32 v20, v10, 16, 1
	v_add3_u32 v19, v2, v19, 0x7fff
	v_and_b32_e32 v18, 0xffff0000, v18
	v_cndmask_b32_e32 v1, 0x7fc00000, v17, vcc_lo
	v_cmp_o_f32_e32 vcc_lo, v9, v9
	s_wait_loadcnt 0x1
	v_and_b32_e32 v15, 0xffff0000, v7
	s_wait_loadcnt 0x0
	v_and_b32_e32 v16, 0xffff0000, v8
	v_dual_lshlrev_b32 v7, 16, v7 :: v_dual_lshlrev_b32 v8, 16, v8
	v_dual_mul_f32 v11, s3, v11 :: v_dual_mul_f32 v12, s3, v12
	v_mul_f32_e32 v4, s3, v4
	v_bfe_u32 v21, v3, 16, 1
	v_add3_u32 v20, v10, v20, 0x7fff
	v_and_b32_e32 v19, 0xffff0000, v19
	v_cndmask_b32_e32 v9, 0x7fc00000, v18, vcc_lo
	v_cmp_o_f32_e32 vcc_lo, v2, v2
	v_bfe_u32 v22, v11, 16, 1
	v_add3_u32 v21, v3, v21, 0x7fff
	v_and_b32_e32 v20, 0xffff0000, v20
	v_bfe_u32 v23, v4, 16, 1
	v_cndmask_b32_e32 v2, 0x7fc00000, v19, vcc_lo
	v_cmp_o_f32_e32 vcc_lo, v10, v10
	v_add3_u32 v22, v11, v22, 0x7fff
	v_and_b32_e32 v21, 0xffff0000, v21
	v_bfe_u32 v24, v12, 16, 1
	v_add3_u32 v23, v4, v23, 0x7fff
	v_cndmask_b32_e32 v10, 0x7fc00000, v20, vcc_lo
	v_cmp_o_f32_e32 vcc_lo, v3, v3
	v_and_b32_e32 v22, 0xffff0000, v22
	v_add3_u32 v24, v12, v24, 0x7fff
	v_and_b32_e32 v23, 0xffff0000, v23
	v_dual_mul_f32 v2, v2, v6 :: v_dual_cndmask_b32 v3, 0x7fc00000, v21
	v_cmp_o_f32_e32 vcc_lo, v11, v11
	s_delay_alu instid0(VALU_DEP_4)
	v_and_b32_e32 v24, 0xffff0000, v24
	v_mul_f32_e32 v1, v1, v5
	v_cndmask_b32_e32 v11, 0x7fc00000, v22, vcc_lo
	v_cmp_o_f32_e32 vcc_lo, v4, v4
	v_cndmask_b32_e32 v4, 0x7fc00000, v23, vcc_lo
	v_cmp_o_f32_e32 vcc_lo, v12, v12
	s_delay_alu instid0(VALU_DEP_2) | instskip(SKIP_3) | instid1(VALU_DEP_4)
	v_dual_mul_f32 v4, v4, v8 :: v_dual_mul_f32 v5, v9, v13
	v_mul_f32_e32 v6, v10, v14
	v_dual_cndmask_b32 v12, 0x7fc00000, v24 :: v_dual_mul_f32 v3, v3, v7
	v_bfe_u32 v9, v1, 16, 1
	v_bfe_u32 v10, v5, 16, 1
	v_cmp_o_f32_e32 vcc_lo, v1, v1
	s_delay_alu instid0(VALU_DEP_4)
	v_mul_f32_e32 v8, v12, v16
	v_bfe_u32 v13, v3, 16, 1
	v_add3_u32 v9, v1, v9, 0x7fff
	v_bfe_u32 v12, v6, 16, 1
	v_add3_u32 v10, v5, v10, 0x7fff
	;; [unrolled: 2-line block ×3, first 2 shown]
	v_mul_f32_e32 v7, v11, v15
	v_bfe_u32 v11, v2, 16, 1
	v_lshrrev_b32_e32 v9, 16, v9
	v_add3_u32 v12, v6, v12, 0x7fff
	v_and_b32_e32 v10, 0xffff0000, v10
	v_lshrrev_b32_e32 v13, 16, v13
	v_add3_u32 v11, v2, v11, 0x7fff
	v_cndmask_b32_e32 v1, 0x7fc0, v9, vcc_lo
	v_cmp_o_f32_e32 vcc_lo, v5, v5
	v_and_b32_e32 v12, 0xffff0000, v12
	v_bfe_u32 v14, v7, 16, 1
	v_lshrrev_b32_e32 v11, 16, v11
	v_bfe_u32 v15, v4, 16, 1
	v_cndmask_b32_e32 v5, 0x7fc00000, v10, vcc_lo
	v_cmp_o_f32_e32 vcc_lo, v2, v2
	v_add3_u32 v14, v7, v14, 0x7fff
	v_add3_u32 v16, v8, v16, 0x7fff
	;; [unrolled: 1-line block ×3, first 2 shown]
	v_or_b32_e32 v1, v1, v5
	v_cndmask_b32_e32 v2, 0x7fc0, v11, vcc_lo
	v_cmp_o_f32_e32 vcc_lo, v6, v6
	v_and_b32_e32 v14, 0xffff0000, v14
	v_and_b32_e32 v16, 0xffff0000, v16
	v_dual_cndmask_b32 v6, 0x7fc00000, v12 :: v_dual_lshrrev_b32 v15, 16, v15
	v_cmp_o_f32_e32 vcc_lo, v3, v3
	s_delay_alu instid0(VALU_DEP_2) | instskip(SKIP_4) | instid1(VALU_DEP_2)
	v_or_b32_e32 v2, v2, v6
	v_cndmask_b32_e32 v3, 0x7fc0, v13, vcc_lo
	v_cmp_o_f32_e32 vcc_lo, v7, v7
	v_cndmask_b32_e32 v7, 0x7fc00000, v14, vcc_lo
	v_cmp_o_f32_e32 vcc_lo, v4, v4
	v_or_b32_e32 v3, v3, v7
	v_cndmask_b32_e32 v4, 0x7fc0, v15, vcc_lo
	v_cmp_o_f32_e32 vcc_lo, v8, v8
	v_cndmask_b32_e32 v8, 0x7fc00000, v16, vcc_lo
	s_delay_alu instid0(VALU_DEP_1)
	v_or_b32_e32 v4, v4, v8
	s_clause 0x3
	global_store_b32 v0, v1, s[12:13] scale_offset
	global_store_b32 v0, v2, s[12:13] offset:1024 scale_offset
	global_store_b32 v0, v3, s[12:13] offset:2048 scale_offset
	;; [unrolled: 1-line block ×3, first 2 shown]
.LBB163_2:
	s_and_not1_b32 vcc_lo, exec_lo, s0
	s_cbranch_vccnz .LBB163_43
; %bb.3:
	v_cmp_gt_i32_e32 vcc_lo, s4, v0
	s_wait_xcnt 0x1
	v_dual_mov_b32 v3, 0 :: v_dual_bitop2_b32 v1, s2, v0 bitop3:0x54
	v_or_b32_e32 v2, 0x100, v0
	v_dual_mov_b32 v19, v0 :: v_dual_mov_b32 v8, 0
	v_mov_b32_e32 v7, 0
	s_wait_xcnt 0x0
	s_and_saveexec_b32 s0, vcc_lo
	s_cbranch_execz .LBB163_5
; %bb.4:
	s_clause 0x1
	global_load_u16 v4, v1, s[8:9] scale_offset
	global_load_u16 v5, v1, s[10:11] scale_offset
	v_or_b32_e32 v19, 0x100, v0
	s_wait_loadcnt 0x0
	v_dual_lshlrev_b32 v8, 16, v4 :: v_dual_lshlrev_b32 v7, 16, v5
.LBB163_5:
	s_wait_xcnt 0x0
	s_or_b32 exec_lo, exec_lo, s0
	v_mov_b32_e32 v9, 0
	s_mov_b32 s1, exec_lo
	v_cmpx_gt_i32_e64 s4, v19
	s_cbranch_execz .LBB163_7
; %bb.6:
	v_add_nc_u32_e32 v3, s2, v19
	v_add_nc_u32_e32 v19, 0x100, v19
	s_clause 0x1
	global_load_u16 v4, v3, s[8:9] scale_offset
	global_load_u16 v5, v3, s[10:11] scale_offset
	s_wait_loadcnt 0x0
	v_dual_lshlrev_b32 v3, 16, v4 :: v_dual_lshlrev_b32 v9, 16, v5
.LBB163_7:
	s_or_b32 exec_lo, exec_lo, s1
	v_dual_mov_b32 v4, 0 :: v_dual_mov_b32 v12, 0
	v_mov_b32_e32 v10, 0
	s_mov_b32 s1, exec_lo
	v_cmpx_gt_i32_e64 s4, v19
	s_cbranch_execz .LBB163_9
; %bb.8:
	v_add_nc_u32_e32 v5, s2, v19
	v_add_nc_u32_e32 v19, 0x100, v19
	s_clause 0x1
	global_load_u16 v6, v5, s[8:9] scale_offset
	global_load_u16 v10, v5, s[10:11] scale_offset
	s_wait_loadcnt 0x1
	v_lshlrev_b32_e32 v12, 16, v6
	s_wait_loadcnt 0x0
	v_lshlrev_b32_e32 v10, 16, v10
.LBB163_9:
	s_wait_xcnt 0x0
	s_or_b32 exec_lo, exec_lo, s1
	v_mov_b32_e32 v11, 0
	s_mov_b32 s1, exec_lo
	v_cmpx_gt_i32_e64 s4, v19
	s_cbranch_execz .LBB163_11
; %bb.10:
	v_add_nc_u32_e32 v4, s2, v19
	v_add_nc_u32_e32 v19, 0x100, v19
	s_clause 0x1
	global_load_u16 v5, v4, s[8:9] scale_offset
	global_load_u16 v6, v4, s[10:11] scale_offset
	s_wait_loadcnt 0x0
	v_dual_lshlrev_b32 v4, 16, v5 :: v_dual_lshlrev_b32 v11, 16, v6
.LBB163_11:
	s_or_b32 exec_lo, exec_lo, s1
	v_dual_mov_b32 v5, 0 :: v_dual_mov_b32 v15, 0
	v_mov_b32_e32 v13, 0
	s_mov_b32 s1, exec_lo
	v_cmpx_gt_i32_e64 s4, v19
	s_cbranch_execz .LBB163_13
; %bb.12:
	v_add_nc_u32_e32 v6, s2, v19
	v_add_nc_u32_e32 v19, 0x100, v19
	s_clause 0x1
	global_load_u16 v13, v6, s[8:9] scale_offset
	global_load_u16 v14, v6, s[10:11] scale_offset
	s_wait_loadcnt 0x0
	v_dual_lshlrev_b32 v15, 16, v13 :: v_dual_lshlrev_b32 v13, 16, v14
.LBB163_13:
	s_wait_xcnt 0x0
	s_or_b32 exec_lo, exec_lo, s1
	v_mov_b32_e32 v14, 0
	s_mov_b32 s1, exec_lo
	v_cmpx_gt_i32_e64 s4, v19
	s_cbranch_execz .LBB163_15
; %bb.14:
	v_add_nc_u32_e32 v5, s2, v19
	v_add_nc_u32_e32 v19, 0x100, v19
	s_clause 0x1
	global_load_u16 v6, v5, s[8:9] scale_offset
	global_load_u16 v14, v5, s[10:11] scale_offset
	s_wait_loadcnt 0x1
	s_wait_xcnt 0x0
	v_lshlrev_b32_e32 v5, 16, v6
	s_wait_loadcnt 0x0
	v_lshlrev_b32_e32 v14, 16, v14
.LBB163_15:
	s_or_b32 exec_lo, exec_lo, s1
	v_dual_mov_b32 v6, 0 :: v_dual_mov_b32 v18, 0
	v_mov_b32_e32 v16, 0
	s_mov_b32 s1, exec_lo
	v_cmpx_gt_i32_e64 s4, v19
	s_cbranch_execz .LBB163_17
; %bb.16:
	v_add_nc_u32_e32 v16, s2, v19
	v_add_nc_u32_e32 v19, 0x100, v19
	s_clause 0x1
	global_load_u16 v17, v16, s[8:9] scale_offset
	global_load_u16 v20, v16, s[10:11] scale_offset
	s_wait_loadcnt 0x0
	v_dual_lshlrev_b32 v18, 16, v17 :: v_dual_lshlrev_b32 v16, 16, v20
.LBB163_17:
	s_or_b32 exec_lo, exec_lo, s1
	v_mov_b32_e32 v17, 0
	s_mov_b32 s1, exec_lo
	v_cmpx_gt_i32_e64 s4, v19
	s_cbranch_execz .LBB163_19
; %bb.18:
	v_add_nc_u32_e32 v6, s2, v19
	s_clause 0x1
	global_load_u16 v17, v6, s[8:9] scale_offset
	global_load_u16 v19, v6, s[10:11] scale_offset
	s_wait_loadcnt 0x0
	v_dual_lshlrev_b32 v6, 16, v17 :: v_dual_lshlrev_b32 v17, 16, v19
.LBB163_19:
	s_or_b32 exec_lo, exec_lo, s1
	s_lshl_b32 s1, s5, 16
                                        ; implicit-def: $vgpr19
	s_and_saveexec_b32 s3, vcc_lo
	s_cbranch_execz .LBB163_21
; %bb.20:
	v_mul_f32_e32 v8, s1, v8
	s_delay_alu instid0(VALU_DEP_1) | instskip(SKIP_1) | instid1(VALU_DEP_2)
	v_bfe_u32 v19, v8, 16, 1
	v_cmp_o_f32_e64 s0, v8, v8
	v_add3_u32 v19, v8, v19, 0x7fff
	s_delay_alu instid0(VALU_DEP_1) | instskip(NEXT) | instid1(VALU_DEP_1)
	v_and_b32_e32 v19, 0xffff0000, v19
	v_cndmask_b32_e64 v8, 0x7fc00000, v19, s0
	s_delay_alu instid0(VALU_DEP_1) | instskip(NEXT) | instid1(VALU_DEP_1)
	v_mul_f32_e32 v7, v7, v8
	v_bfe_u32 v8, v7, 16, 1
	s_delay_alu instid0(VALU_DEP_1) | instskip(NEXT) | instid1(VALU_DEP_1)
	v_add3_u32 v8, v7, v8, 0x7fff
	v_lshrrev_b32_e32 v8, 16, v8
	v_cmp_o_f32_e64 s0, v7, v7
	s_delay_alu instid0(VALU_DEP_1)
	v_cndmask_b32_e64 v19, 0x7fc0, v8, s0
.LBB163_21:
	s_or_b32 exec_lo, exec_lo, s3
	s_delay_alu instid0(SALU_CYCLE_1)
	s_mov_b32 s3, exec_lo
                                        ; implicit-def: $vgpr7
	v_cmpx_gt_i32_e64 s4, v2
	s_cbranch_execz .LBB163_23
; %bb.22:
	v_mul_f32_e32 v3, s1, v3
	s_delay_alu instid0(VALU_DEP_1) | instskip(SKIP_1) | instid1(VALU_DEP_2)
	v_bfe_u32 v7, v3, 16, 1
	v_cmp_o_f32_e64 s0, v3, v3
	v_add3_u32 v7, v3, v7, 0x7fff
	s_delay_alu instid0(VALU_DEP_1) | instskip(NEXT) | instid1(VALU_DEP_1)
	v_and_b32_e32 v7, 0xffff0000, v7
	v_cndmask_b32_e64 v3, 0x7fc00000, v7, s0
	s_delay_alu instid0(VALU_DEP_1) | instskip(NEXT) | instid1(VALU_DEP_1)
	v_mul_f32_e32 v3, v9, v3
	v_bfe_u32 v7, v3, 16, 1
	v_cmp_o_f32_e64 s0, v3, v3
	s_delay_alu instid0(VALU_DEP_2) | instskip(NEXT) | instid1(VALU_DEP_1)
	v_add3_u32 v7, v3, v7, 0x7fff
	v_lshrrev_b32_e32 v7, 16, v7
	s_delay_alu instid0(VALU_DEP_1)
	v_cndmask_b32_e64 v7, 0x7fc0, v7, s0
.LBB163_23:
	s_or_b32 exec_lo, exec_lo, s3
	v_or_b32_e32 v3, 0x200, v0
	s_delay_alu instid0(VALU_DEP_1)
	v_cmp_gt_i32_e64 s0, s4, v3
                                        ; implicit-def: $vgpr3
	s_and_saveexec_b32 s3, s0
	s_cbranch_execz .LBB163_25
; %bb.24:
	v_mul_f32_e32 v3, s1, v12
	s_delay_alu instid0(VALU_DEP_1) | instskip(SKIP_1) | instid1(VALU_DEP_2)
	v_bfe_u32 v8, v3, 16, 1
	v_cmp_o_f32_e64 s0, v3, v3
	v_add3_u32 v8, v3, v8, 0x7fff
	s_delay_alu instid0(VALU_DEP_1) | instskip(NEXT) | instid1(VALU_DEP_1)
	v_and_b32_e32 v8, 0xffff0000, v8
	v_cndmask_b32_e64 v3, 0x7fc00000, v8, s0
	s_delay_alu instid0(VALU_DEP_1) | instskip(NEXT) | instid1(VALU_DEP_1)
	v_mul_f32_e32 v3, v10, v3
	v_bfe_u32 v8, v3, 16, 1
	s_delay_alu instid0(VALU_DEP_1) | instskip(NEXT) | instid1(VALU_DEP_1)
	v_add3_u32 v8, v3, v8, 0x7fff
	v_lshrrev_b32_e32 v8, 16, v8
	v_cmp_o_f32_e64 s0, v3, v3
	s_delay_alu instid0(VALU_DEP_1)
	v_cndmask_b32_e64 v3, 0x7fc0, v8, s0
.LBB163_25:
	s_or_b32 exec_lo, exec_lo, s3
	v_or_b32_e32 v8, 0x300, v0
	s_delay_alu instid0(VALU_DEP_1)
	v_cmp_gt_i32_e64 s0, s4, v8
                                        ; implicit-def: $vgpr8
	s_and_saveexec_b32 s3, s0
	s_cbranch_execz .LBB163_27
; %bb.26:
	v_mul_f32_e32 v4, s1, v4
	s_delay_alu instid0(VALU_DEP_1) | instskip(SKIP_1) | instid1(VALU_DEP_2)
	v_bfe_u32 v8, v4, 16, 1
	v_cmp_o_f32_e64 s0, v4, v4
	v_add3_u32 v8, v4, v8, 0x7fff
	s_delay_alu instid0(VALU_DEP_1) | instskip(NEXT) | instid1(VALU_DEP_1)
	v_and_b32_e32 v8, 0xffff0000, v8
	v_cndmask_b32_e64 v4, 0x7fc00000, v8, s0
	s_delay_alu instid0(VALU_DEP_1) | instskip(NEXT) | instid1(VALU_DEP_1)
	v_mul_f32_e32 v4, v11, v4
	v_bfe_u32 v8, v4, 16, 1
	v_cmp_o_f32_e64 s0, v4, v4
	s_delay_alu instid0(VALU_DEP_2) | instskip(NEXT) | instid1(VALU_DEP_1)
	v_add3_u32 v8, v4, v8, 0x7fff
	v_lshrrev_b32_e32 v8, 16, v8
	s_delay_alu instid0(VALU_DEP_1)
	v_cndmask_b32_e64 v8, 0x7fc0, v8, s0
.LBB163_27:
	s_or_b32 exec_lo, exec_lo, s3
	v_or_b32_e32 v4, 0x400, v0
	s_delay_alu instid0(VALU_DEP_1)
	v_cmp_gt_i32_e64 s0, s4, v4
                                        ; implicit-def: $vgpr4
	s_and_saveexec_b32 s3, s0
	s_cbranch_execz .LBB163_29
; %bb.28:
	v_mul_f32_e32 v4, s1, v15
	s_delay_alu instid0(VALU_DEP_1) | instskip(SKIP_1) | instid1(VALU_DEP_2)
	v_bfe_u32 v9, v4, 16, 1
	v_cmp_o_f32_e64 s0, v4, v4
	v_add3_u32 v9, v4, v9, 0x7fff
	s_delay_alu instid0(VALU_DEP_1) | instskip(NEXT) | instid1(VALU_DEP_1)
	v_and_b32_e32 v9, 0xffff0000, v9
	v_cndmask_b32_e64 v4, 0x7fc00000, v9, s0
	s_delay_alu instid0(VALU_DEP_1) | instskip(NEXT) | instid1(VALU_DEP_1)
	v_mul_f32_e32 v4, v13, v4
	v_bfe_u32 v9, v4, 16, 1
	v_cmp_o_f32_e64 s0, v4, v4
	s_delay_alu instid0(VALU_DEP_2) | instskip(NEXT) | instid1(VALU_DEP_1)
	v_add3_u32 v9, v4, v9, 0x7fff
	v_lshrrev_b32_e32 v9, 16, v9
	s_delay_alu instid0(VALU_DEP_1)
	v_cndmask_b32_e64 v4, 0x7fc0, v9, s0
.LBB163_29:
	s_or_b32 exec_lo, exec_lo, s3
	v_or_b32_e32 v9, 0x500, v0
	s_delay_alu instid0(VALU_DEP_1)
	v_cmp_gt_i32_e64 s0, s4, v9
                                        ; implicit-def: $vgpr9
	s_and_saveexec_b32 s3, s0
	s_cbranch_execz .LBB163_31
; %bb.30:
	v_mul_f32_e32 v5, s1, v5
	s_delay_alu instid0(VALU_DEP_1) | instskip(SKIP_1) | instid1(VALU_DEP_2)
	v_bfe_u32 v9, v5, 16, 1
	v_cmp_o_f32_e64 s0, v5, v5
	v_add3_u32 v9, v5, v9, 0x7fff
	s_delay_alu instid0(VALU_DEP_1) | instskip(NEXT) | instid1(VALU_DEP_1)
	v_and_b32_e32 v9, 0xffff0000, v9
	v_cndmask_b32_e64 v5, 0x7fc00000, v9, s0
	s_delay_alu instid0(VALU_DEP_1) | instskip(NEXT) | instid1(VALU_DEP_1)
	v_mul_f32_e32 v5, v14, v5
	v_bfe_u32 v9, v5, 16, 1
	v_cmp_o_f32_e64 s0, v5, v5
	s_delay_alu instid0(VALU_DEP_2) | instskip(NEXT) | instid1(VALU_DEP_1)
	v_add3_u32 v9, v5, v9, 0x7fff
	v_lshrrev_b32_e32 v9, 16, v9
	s_delay_alu instid0(VALU_DEP_1)
	v_cndmask_b32_e64 v9, 0x7fc0, v9, s0
.LBB163_31:
	s_or_b32 exec_lo, exec_lo, s3
	v_or_b32_e32 v5, 0x600, v0
	s_delay_alu instid0(VALU_DEP_1)
	v_cmp_gt_i32_e64 s0, s4, v5
                                        ; implicit-def: $vgpr5
	s_and_saveexec_b32 s3, s0
	s_cbranch_execz .LBB163_33
; %bb.32:
	v_mul_f32_e32 v5, s1, v18
	s_delay_alu instid0(VALU_DEP_1) | instskip(SKIP_1) | instid1(VALU_DEP_2)
	v_bfe_u32 v10, v5, 16, 1
	v_cmp_o_f32_e64 s0, v5, v5
	v_add3_u32 v10, v5, v10, 0x7fff
	s_delay_alu instid0(VALU_DEP_1) | instskip(NEXT) | instid1(VALU_DEP_1)
	v_and_b32_e32 v10, 0xffff0000, v10
	v_cndmask_b32_e64 v5, 0x7fc00000, v10, s0
	s_delay_alu instid0(VALU_DEP_1) | instskip(NEXT) | instid1(VALU_DEP_1)
	v_mul_f32_e32 v5, v16, v5
	v_bfe_u32 v10, v5, 16, 1
	s_delay_alu instid0(VALU_DEP_1) | instskip(NEXT) | instid1(VALU_DEP_1)
	v_add3_u32 v10, v5, v10, 0x7fff
	v_lshrrev_b32_e32 v10, 16, v10
	v_cmp_o_f32_e64 s0, v5, v5
	s_delay_alu instid0(VALU_DEP_1)
	v_cndmask_b32_e64 v5, 0x7fc0, v10, s0
.LBB163_33:
	s_or_b32 exec_lo, exec_lo, s3
	v_or_b32_e32 v10, 0x700, v0
	s_delay_alu instid0(VALU_DEP_1)
	v_cmp_gt_i32_e64 s0, s4, v10
                                        ; implicit-def: $vgpr10
	s_and_saveexec_b32 s3, s0
	s_cbranch_execz .LBB163_44
; %bb.34:
	v_mul_f32_e32 v6, s1, v6
	s_delay_alu instid0(VALU_DEP_1) | instskip(SKIP_1) | instid1(VALU_DEP_2)
	v_bfe_u32 v10, v6, 16, 1
	v_cmp_o_f32_e64 s0, v6, v6
	v_add3_u32 v10, v6, v10, 0x7fff
	s_delay_alu instid0(VALU_DEP_1) | instskip(NEXT) | instid1(VALU_DEP_1)
	v_and_b32_e32 v10, 0xffff0000, v10
	v_cndmask_b32_e64 v6, 0x7fc00000, v10, s0
	s_delay_alu instid0(VALU_DEP_1) | instskip(NEXT) | instid1(VALU_DEP_1)
	v_mul_f32_e32 v6, v17, v6
	v_bfe_u32 v10, v6, 16, 1
	v_cmp_o_f32_e64 s0, v6, v6
	s_delay_alu instid0(VALU_DEP_2) | instskip(NEXT) | instid1(VALU_DEP_1)
	v_add3_u32 v10, v6, v10, 0x7fff
	v_lshrrev_b32_e32 v10, 16, v10
	s_delay_alu instid0(VALU_DEP_1) | instskip(SKIP_2) | instid1(SALU_CYCLE_1)
	v_cndmask_b32_e64 v10, 0x7fc0, v10, s0
	s_or_b32 exec_lo, exec_lo, s3
	s_and_saveexec_b32 s0, vcc_lo
	s_xor_b32 s0, exec_lo, s0
	s_cbranch_execnz .LBB163_45
.LBB163_35:
	s_or_b32 exec_lo, exec_lo, s0
	s_delay_alu instid0(SALU_CYCLE_1)
	s_mov_b32 s0, exec_lo
	v_cmpx_gt_i32_e64 s4, v0
	s_cbranch_execz .LBB163_46
.LBB163_36:
	v_add_nc_u32_e32 v1, s2, v0
	v_add_nc_u32_e32 v0, 0x100, v0
	global_store_b16 v1, v7, s[6:7] scale_offset
	s_wait_xcnt 0x0
	s_or_b32 exec_lo, exec_lo, s0
	s_delay_alu instid0(SALU_CYCLE_1)
	s_mov_b32 s0, exec_lo
	v_cmpx_gt_i32_e64 s4, v0
	s_cbranch_execnz .LBB163_47
.LBB163_37:
	s_or_b32 exec_lo, exec_lo, s0
	s_delay_alu instid0(SALU_CYCLE_1)
	s_mov_b32 s0, exec_lo
	v_cmpx_gt_i32_e64 s4, v0
	s_cbranch_execz .LBB163_48
.LBB163_38:
	v_add_nc_u32_e32 v1, s2, v0
	v_add_nc_u32_e32 v0, 0x100, v0
	global_store_b16 v1, v8, s[6:7] scale_offset
	s_wait_xcnt 0x0
	s_or_b32 exec_lo, exec_lo, s0
	s_delay_alu instid0(SALU_CYCLE_1)
	s_mov_b32 s0, exec_lo
	v_cmpx_gt_i32_e64 s4, v0
	s_cbranch_execnz .LBB163_49
.LBB163_39:
	s_or_b32 exec_lo, exec_lo, s0
	s_delay_alu instid0(SALU_CYCLE_1)
	s_mov_b32 s0, exec_lo
	v_cmpx_gt_i32_e64 s4, v0
	s_cbranch_execz .LBB163_50
.LBB163_40:
	v_add_nc_u32_e32 v1, s2, v0
	v_add_nc_u32_e32 v0, 0x100, v0
	global_store_b16 v1, v9, s[6:7] scale_offset
	s_wait_xcnt 0x0
	s_or_b32 exec_lo, exec_lo, s0
	s_delay_alu instid0(SALU_CYCLE_1)
	s_mov_b32 s0, exec_lo
	v_cmpx_gt_i32_e64 s4, v0
	s_cbranch_execnz .LBB163_51
.LBB163_41:
	s_or_b32 exec_lo, exec_lo, s0
	s_delay_alu instid0(SALU_CYCLE_1)
	s_mov_b32 s0, exec_lo
	v_cmpx_gt_i32_e64 s4, v0
	s_cbranch_execz .LBB163_43
.LBB163_42:
	v_add_nc_u32_e32 v0, s2, v0
	global_store_b16 v0, v10, s[6:7] scale_offset
.LBB163_43:
	s_endpgm
.LBB163_44:
	s_or_b32 exec_lo, exec_lo, s3
	s_and_saveexec_b32 s0, vcc_lo
	s_delay_alu instid0(SALU_CYCLE_1)
	s_xor_b32 s0, exec_lo, s0
	s_cbranch_execz .LBB163_35
.LBB163_45:
	v_mov_b32_e32 v0, v2
	global_store_b16 v1, v19, s[6:7] scale_offset
	s_wait_xcnt 0x0
	s_or_b32 exec_lo, exec_lo, s0
	s_delay_alu instid0(SALU_CYCLE_1)
	s_mov_b32 s0, exec_lo
	v_cmpx_gt_i32_e64 s4, v0
	s_cbranch_execnz .LBB163_36
.LBB163_46:
	s_or_b32 exec_lo, exec_lo, s0
	s_delay_alu instid0(SALU_CYCLE_1)
	s_mov_b32 s0, exec_lo
	v_cmpx_gt_i32_e64 s4, v0
	s_cbranch_execz .LBB163_37
.LBB163_47:
	v_add_nc_u32_e32 v1, s2, v0
	v_add_nc_u32_e32 v0, 0x100, v0
	global_store_b16 v1, v3, s[6:7] scale_offset
	s_wait_xcnt 0x0
	s_or_b32 exec_lo, exec_lo, s0
	s_delay_alu instid0(SALU_CYCLE_1)
	s_mov_b32 s0, exec_lo
	v_cmpx_gt_i32_e64 s4, v0
	s_cbranch_execnz .LBB163_38
.LBB163_48:
	s_or_b32 exec_lo, exec_lo, s0
	s_delay_alu instid0(SALU_CYCLE_1)
	s_mov_b32 s0, exec_lo
	v_cmpx_gt_i32_e64 s4, v0
	s_cbranch_execz .LBB163_39
.LBB163_49:
	v_add_nc_u32_e32 v1, s2, v0
	v_add_nc_u32_e32 v0, 0x100, v0
	global_store_b16 v1, v4, s[6:7] scale_offset
	s_wait_xcnt 0x0
	s_or_b32 exec_lo, exec_lo, s0
	s_delay_alu instid0(SALU_CYCLE_1)
	s_mov_b32 s0, exec_lo
	v_cmpx_gt_i32_e64 s4, v0
	s_cbranch_execnz .LBB163_40
.LBB163_50:
	s_or_b32 exec_lo, exec_lo, s0
	s_delay_alu instid0(SALU_CYCLE_1)
	s_mov_b32 s0, exec_lo
	v_cmpx_gt_i32_e64 s4, v0
	s_cbranch_execz .LBB163_41
.LBB163_51:
	v_add_nc_u32_e32 v1, s2, v0
	v_add_nc_u32_e32 v0, 0x100, v0
	global_store_b16 v1, v5, s[6:7] scale_offset
	s_wait_xcnt 0x0
	s_or_b32 exec_lo, exec_lo, s0
	s_delay_alu instid0(SALU_CYCLE_1)
	s_mov_b32 s0, exec_lo
	v_cmpx_gt_i32_e64 s4, v0
	s_cbranch_execnz .LBB163_42
	s_branch .LBB163_43
	.section	.rodata,"a",@progbits
	.p2align	6, 0x0
	.amdhsa_kernel _ZN2at6native29vectorized_elementwise_kernelILi2EZZZNS0_12_GLOBAL__N_116addr_kernel_cudaERNS_14TensorIteratorERKN3c106ScalarES8_ENKUlvE_clEvENKUlvE8_clEvEUlNS5_8BFloat16ESB_SB_E_St5arrayIPcLm4EEEEviT0_T1_
		.amdhsa_group_segment_fixed_size 0
		.amdhsa_private_segment_fixed_size 0
		.amdhsa_kernarg_size 40
		.amdhsa_user_sgpr_count 2
		.amdhsa_user_sgpr_dispatch_ptr 0
		.amdhsa_user_sgpr_queue_ptr 0
		.amdhsa_user_sgpr_kernarg_segment_ptr 1
		.amdhsa_user_sgpr_dispatch_id 0
		.amdhsa_user_sgpr_kernarg_preload_length 0
		.amdhsa_user_sgpr_kernarg_preload_offset 0
		.amdhsa_user_sgpr_private_segment_size 0
		.amdhsa_wavefront_size32 1
		.amdhsa_uses_dynamic_stack 0
		.amdhsa_enable_private_segment 0
		.amdhsa_system_sgpr_workgroup_id_x 1
		.amdhsa_system_sgpr_workgroup_id_y 0
		.amdhsa_system_sgpr_workgroup_id_z 0
		.amdhsa_system_sgpr_workgroup_info 0
		.amdhsa_system_vgpr_workitem_id 0
		.amdhsa_next_free_vgpr 25
		.amdhsa_next_free_sgpr 16
		.amdhsa_named_barrier_count 0
		.amdhsa_reserve_vcc 1
		.amdhsa_float_round_mode_32 0
		.amdhsa_float_round_mode_16_64 0
		.amdhsa_float_denorm_mode_32 3
		.amdhsa_float_denorm_mode_16_64 3
		.amdhsa_fp16_overflow 0
		.amdhsa_memory_ordered 1
		.amdhsa_forward_progress 1
		.amdhsa_inst_pref_size 29
		.amdhsa_round_robin_scheduling 0
		.amdhsa_exception_fp_ieee_invalid_op 0
		.amdhsa_exception_fp_denorm_src 0
		.amdhsa_exception_fp_ieee_div_zero 0
		.amdhsa_exception_fp_ieee_overflow 0
		.amdhsa_exception_fp_ieee_underflow 0
		.amdhsa_exception_fp_ieee_inexact 0
		.amdhsa_exception_int_div_zero 0
	.end_amdhsa_kernel
	.section	.text._ZN2at6native29vectorized_elementwise_kernelILi2EZZZNS0_12_GLOBAL__N_116addr_kernel_cudaERNS_14TensorIteratorERKN3c106ScalarES8_ENKUlvE_clEvENKUlvE8_clEvEUlNS5_8BFloat16ESB_SB_E_St5arrayIPcLm4EEEEviT0_T1_,"axG",@progbits,_ZN2at6native29vectorized_elementwise_kernelILi2EZZZNS0_12_GLOBAL__N_116addr_kernel_cudaERNS_14TensorIteratorERKN3c106ScalarES8_ENKUlvE_clEvENKUlvE8_clEvEUlNS5_8BFloat16ESB_SB_E_St5arrayIPcLm4EEEEviT0_T1_,comdat
.Lfunc_end163:
	.size	_ZN2at6native29vectorized_elementwise_kernelILi2EZZZNS0_12_GLOBAL__N_116addr_kernel_cudaERNS_14TensorIteratorERKN3c106ScalarES8_ENKUlvE_clEvENKUlvE8_clEvEUlNS5_8BFloat16ESB_SB_E_St5arrayIPcLm4EEEEviT0_T1_, .Lfunc_end163-_ZN2at6native29vectorized_elementwise_kernelILi2EZZZNS0_12_GLOBAL__N_116addr_kernel_cudaERNS_14TensorIteratorERKN3c106ScalarES8_ENKUlvE_clEvENKUlvE8_clEvEUlNS5_8BFloat16ESB_SB_E_St5arrayIPcLm4EEEEviT0_T1_
                                        ; -- End function
	.set _ZN2at6native29vectorized_elementwise_kernelILi2EZZZNS0_12_GLOBAL__N_116addr_kernel_cudaERNS_14TensorIteratorERKN3c106ScalarES8_ENKUlvE_clEvENKUlvE8_clEvEUlNS5_8BFloat16ESB_SB_E_St5arrayIPcLm4EEEEviT0_T1_.num_vgpr, 25
	.set _ZN2at6native29vectorized_elementwise_kernelILi2EZZZNS0_12_GLOBAL__N_116addr_kernel_cudaERNS_14TensorIteratorERKN3c106ScalarES8_ENKUlvE_clEvENKUlvE8_clEvEUlNS5_8BFloat16ESB_SB_E_St5arrayIPcLm4EEEEviT0_T1_.num_agpr, 0
	.set _ZN2at6native29vectorized_elementwise_kernelILi2EZZZNS0_12_GLOBAL__N_116addr_kernel_cudaERNS_14TensorIteratorERKN3c106ScalarES8_ENKUlvE_clEvENKUlvE8_clEvEUlNS5_8BFloat16ESB_SB_E_St5arrayIPcLm4EEEEviT0_T1_.numbered_sgpr, 16
	.set _ZN2at6native29vectorized_elementwise_kernelILi2EZZZNS0_12_GLOBAL__N_116addr_kernel_cudaERNS_14TensorIteratorERKN3c106ScalarES8_ENKUlvE_clEvENKUlvE8_clEvEUlNS5_8BFloat16ESB_SB_E_St5arrayIPcLm4EEEEviT0_T1_.num_named_barrier, 0
	.set _ZN2at6native29vectorized_elementwise_kernelILi2EZZZNS0_12_GLOBAL__N_116addr_kernel_cudaERNS_14TensorIteratorERKN3c106ScalarES8_ENKUlvE_clEvENKUlvE8_clEvEUlNS5_8BFloat16ESB_SB_E_St5arrayIPcLm4EEEEviT0_T1_.private_seg_size, 0
	.set _ZN2at6native29vectorized_elementwise_kernelILi2EZZZNS0_12_GLOBAL__N_116addr_kernel_cudaERNS_14TensorIteratorERKN3c106ScalarES8_ENKUlvE_clEvENKUlvE8_clEvEUlNS5_8BFloat16ESB_SB_E_St5arrayIPcLm4EEEEviT0_T1_.uses_vcc, 1
	.set _ZN2at6native29vectorized_elementwise_kernelILi2EZZZNS0_12_GLOBAL__N_116addr_kernel_cudaERNS_14TensorIteratorERKN3c106ScalarES8_ENKUlvE_clEvENKUlvE8_clEvEUlNS5_8BFloat16ESB_SB_E_St5arrayIPcLm4EEEEviT0_T1_.uses_flat_scratch, 0
	.set _ZN2at6native29vectorized_elementwise_kernelILi2EZZZNS0_12_GLOBAL__N_116addr_kernel_cudaERNS_14TensorIteratorERKN3c106ScalarES8_ENKUlvE_clEvENKUlvE8_clEvEUlNS5_8BFloat16ESB_SB_E_St5arrayIPcLm4EEEEviT0_T1_.has_dyn_sized_stack, 0
	.set _ZN2at6native29vectorized_elementwise_kernelILi2EZZZNS0_12_GLOBAL__N_116addr_kernel_cudaERNS_14TensorIteratorERKN3c106ScalarES8_ENKUlvE_clEvENKUlvE8_clEvEUlNS5_8BFloat16ESB_SB_E_St5arrayIPcLm4EEEEviT0_T1_.has_recursion, 0
	.set _ZN2at6native29vectorized_elementwise_kernelILi2EZZZNS0_12_GLOBAL__N_116addr_kernel_cudaERNS_14TensorIteratorERKN3c106ScalarES8_ENKUlvE_clEvENKUlvE8_clEvEUlNS5_8BFloat16ESB_SB_E_St5arrayIPcLm4EEEEviT0_T1_.has_indirect_call, 0
	.section	.AMDGPU.csdata,"",@progbits
; Kernel info:
; codeLenInByte = 3644
; TotalNumSgprs: 18
; NumVgprs: 25
; ScratchSize: 0
; MemoryBound: 0
; FloatMode: 240
; IeeeMode: 1
; LDSByteSize: 0 bytes/workgroup (compile time only)
; SGPRBlocks: 0
; VGPRBlocks: 1
; NumSGPRsForWavesPerEU: 18
; NumVGPRsForWavesPerEU: 25
; NamedBarCnt: 0
; Occupancy: 16
; WaveLimiterHint : 1
; COMPUTE_PGM_RSRC2:SCRATCH_EN: 0
; COMPUTE_PGM_RSRC2:USER_SGPR: 2
; COMPUTE_PGM_RSRC2:TRAP_HANDLER: 0
; COMPUTE_PGM_RSRC2:TGID_X_EN: 1
; COMPUTE_PGM_RSRC2:TGID_Y_EN: 0
; COMPUTE_PGM_RSRC2:TGID_Z_EN: 0
; COMPUTE_PGM_RSRC2:TIDIG_COMP_CNT: 0
	.section	.text._ZN2at6native27unrolled_elementwise_kernelIZZZNS0_12_GLOBAL__N_116addr_kernel_cudaERNS_14TensorIteratorERKN3c106ScalarES8_ENKUlvE_clEvENKUlvE8_clEvEUlNS5_8BFloat16ESB_SB_E_St5arrayIPcLm4EELi4E23TrivialOffsetCalculatorILi3EjESG_ILi1EjENS0_6memory15LoadWithoutCastENSJ_16StoreWithoutCastEEEviT_T0_T2_T3_T4_T5_,"axG",@progbits,_ZN2at6native27unrolled_elementwise_kernelIZZZNS0_12_GLOBAL__N_116addr_kernel_cudaERNS_14TensorIteratorERKN3c106ScalarES8_ENKUlvE_clEvENKUlvE8_clEvEUlNS5_8BFloat16ESB_SB_E_St5arrayIPcLm4EELi4E23TrivialOffsetCalculatorILi3EjESG_ILi1EjENS0_6memory15LoadWithoutCastENSJ_16StoreWithoutCastEEEviT_T0_T2_T3_T4_T5_,comdat
	.globl	_ZN2at6native27unrolled_elementwise_kernelIZZZNS0_12_GLOBAL__N_116addr_kernel_cudaERNS_14TensorIteratorERKN3c106ScalarES8_ENKUlvE_clEvENKUlvE8_clEvEUlNS5_8BFloat16ESB_SB_E_St5arrayIPcLm4EELi4E23TrivialOffsetCalculatorILi3EjESG_ILi1EjENS0_6memory15LoadWithoutCastENSJ_16StoreWithoutCastEEEviT_T0_T2_T3_T4_T5_ ; -- Begin function _ZN2at6native27unrolled_elementwise_kernelIZZZNS0_12_GLOBAL__N_116addr_kernel_cudaERNS_14TensorIteratorERKN3c106ScalarES8_ENKUlvE_clEvENKUlvE8_clEvEUlNS5_8BFloat16ESB_SB_E_St5arrayIPcLm4EELi4E23TrivialOffsetCalculatorILi3EjESG_ILi1EjENS0_6memory15LoadWithoutCastENSJ_16StoreWithoutCastEEEviT_T0_T2_T3_T4_T5_
	.p2align	8
	.type	_ZN2at6native27unrolled_elementwise_kernelIZZZNS0_12_GLOBAL__N_116addr_kernel_cudaERNS_14TensorIteratorERKN3c106ScalarES8_ENKUlvE_clEvENKUlvE8_clEvEUlNS5_8BFloat16ESB_SB_E_St5arrayIPcLm4EELi4E23TrivialOffsetCalculatorILi3EjESG_ILi1EjENS0_6memory15LoadWithoutCastENSJ_16StoreWithoutCastEEEviT_T0_T2_T3_T4_T5_,@function
_ZN2at6native27unrolled_elementwise_kernelIZZZNS0_12_GLOBAL__N_116addr_kernel_cudaERNS_14TensorIteratorERKN3c106ScalarES8_ENKUlvE_clEvENKUlvE8_clEvEUlNS5_8BFloat16ESB_SB_E_St5arrayIPcLm4EELi4E23TrivialOffsetCalculatorILi3EjESG_ILi1EjENS0_6memory15LoadWithoutCastENSJ_16StoreWithoutCastEEEviT_T0_T2_T3_T4_T5_: ; @_ZN2at6native27unrolled_elementwise_kernelIZZZNS0_12_GLOBAL__N_116addr_kernel_cudaERNS_14TensorIteratorERKN3c106ScalarES8_ENKUlvE_clEvENKUlvE8_clEvEUlNS5_8BFloat16ESB_SB_E_St5arrayIPcLm4EELi4E23TrivialOffsetCalculatorILi3EjESG_ILi1EjENS0_6memory15LoadWithoutCastENSJ_16StoreWithoutCastEEEviT_T0_T2_T3_T4_T5_
; %bb.0:
	s_clause 0x1
	s_load_b64 s[2:3], s[0:1], 0x0
	s_load_b128 s[4:7], s[0:1], 0x18
	s_bfe_u32 s9, ttmp6, 0x4000c
	s_and_b32 s8, ttmp6, 15
	s_add_co_i32 s9, s9, 1
	s_getreg_b32 s10, hwreg(HW_REG_IB_STS2, 6, 4)
	s_mul_i32 s9, ttmp9, s9
	v_dual_mov_b32 v3, 0 :: v_dual_mov_b32 v5, 0
	s_add_co_i32 s8, s8, s9
	s_cmp_eq_u32 s10, 0
	v_or_b32_e32 v1, 0x100, v0
	s_cselect_b32 s8, ttmp9, s8
	v_mov_b32_e32 v6, 0
	s_lshl_b32 s8, s8, 10
	s_delay_alu instid0(SALU_CYCLE_1) | instskip(SKIP_2) | instid1(SALU_CYCLE_1)
	v_dual_mov_b32 v11, v0 :: v_dual_bitop2_b32 v2, s8, v0 bitop3:0x54
	s_wait_kmcnt 0x0
	s_sub_co_i32 s9, s2, s8
	v_cmp_gt_i32_e32 vcc_lo, s9, v0
	s_and_saveexec_b32 s2, vcc_lo
	s_cbranch_execz .LBB164_2
; %bb.1:
	s_clause 0x1
	global_load_u16 v4, v2, s[4:5] scale_offset
	global_load_u16 v6, v2, s[6:7] scale_offset
	v_or_b32_e32 v11, 0x100, v0
	s_wait_loadcnt 0x0
	v_dual_lshlrev_b32 v5, 16, v4 :: v_dual_lshlrev_b32 v6, 16, v6
.LBB164_2:
	s_or_b32 exec_lo, exec_lo, s2
	v_mov_b32_e32 v7, 0
	s_mov_b32 s10, exec_lo
	v_cmpx_gt_i32_e64 s9, v11
	s_cbranch_execz .LBB164_4
; %bb.3:
	v_add_nc_u32_e32 v3, s8, v11
	v_add_nc_u32_e32 v11, 0x100, v11
	s_clause 0x1
	global_load_u16 v4, v3, s[4:5] scale_offset
	global_load_u16 v7, v3, s[6:7] scale_offset
	s_wait_loadcnt 0x0
	v_dual_lshlrev_b32 v3, 16, v4 :: v_dual_lshlrev_b32 v7, 16, v7
.LBB164_4:
	s_or_b32 exec_lo, exec_lo, s10
	v_dual_mov_b32 v4, 0 :: v_dual_mov_b32 v10, 0
	v_mov_b32_e32 v9, 0
	s_mov_b32 s10, exec_lo
	v_cmpx_gt_i32_e64 s9, v11
	s_cbranch_execz .LBB164_6
; %bb.5:
	v_add_nc_u32_e32 v8, s8, v11
	v_add_nc_u32_e32 v11, 0x100, v11
	s_clause 0x1
	global_load_u16 v9, v8, s[4:5] scale_offset
	global_load_u16 v12, v8, s[6:7] scale_offset
	s_wait_loadcnt 0x0
	v_dual_lshlrev_b32 v10, 16, v9 :: v_dual_lshlrev_b32 v9, 16, v12
.LBB164_6:
	s_or_b32 exec_lo, exec_lo, s10
	v_mov_b32_e32 v8, 0
	s_mov_b32 s10, exec_lo
	v_cmpx_gt_i32_e64 s9, v11
	s_cbranch_execz .LBB164_8
; %bb.7:
	v_add_nc_u32_e32 v4, s8, v11
	s_clause 0x1
	global_load_u16 v8, v4, s[4:5] scale_offset
	global_load_u16 v11, v4, s[6:7] scale_offset
	s_wait_loadcnt 0x0
	v_dual_lshlrev_b32 v4, 16, v8 :: v_dual_lshlrev_b32 v8, 16, v11
.LBB164_8:
	s_or_b32 exec_lo, exec_lo, s10
	s_lshl_b32 s4, s3, 16
                                        ; implicit-def: $vgpr11
	s_and_saveexec_b32 s3, vcc_lo
	s_cbranch_execz .LBB164_10
; %bb.9:
	v_mul_f32_e32 v5, s4, v5
	s_delay_alu instid0(VALU_DEP_1) | instskip(SKIP_1) | instid1(VALU_DEP_2)
	v_bfe_u32 v11, v5, 16, 1
	v_cmp_o_f32_e64 s2, v5, v5
	v_add3_u32 v11, v5, v11, 0x7fff
	s_delay_alu instid0(VALU_DEP_1) | instskip(NEXT) | instid1(VALU_DEP_1)
	v_and_b32_e32 v11, 0xffff0000, v11
	v_cndmask_b32_e64 v5, 0x7fc00000, v11, s2
	s_delay_alu instid0(VALU_DEP_1) | instskip(NEXT) | instid1(VALU_DEP_1)
	v_mul_f32_e32 v5, v6, v5
	v_bfe_u32 v6, v5, 16, 1
	v_cmp_o_f32_e64 s2, v5, v5
	s_delay_alu instid0(VALU_DEP_2) | instskip(NEXT) | instid1(VALU_DEP_1)
	v_add3_u32 v6, v5, v6, 0x7fff
	v_lshrrev_b32_e32 v6, 16, v6
	s_delay_alu instid0(VALU_DEP_1)
	v_cndmask_b32_e64 v11, 0x7fc0, v6, s2
.LBB164_10:
	s_or_b32 exec_lo, exec_lo, s3
	s_delay_alu instid0(SALU_CYCLE_1)
	s_mov_b32 s3, exec_lo
                                        ; implicit-def: $vgpr5
	v_cmpx_gt_i32_e64 s9, v1
	s_cbranch_execz .LBB164_12
; %bb.11:
	v_mul_f32_e32 v3, s4, v3
	s_delay_alu instid0(VALU_DEP_1) | instskip(SKIP_1) | instid1(VALU_DEP_2)
	v_bfe_u32 v5, v3, 16, 1
	v_cmp_o_f32_e64 s2, v3, v3
	v_add3_u32 v5, v3, v5, 0x7fff
	s_delay_alu instid0(VALU_DEP_1) | instskip(NEXT) | instid1(VALU_DEP_1)
	v_and_b32_e32 v5, 0xffff0000, v5
	v_cndmask_b32_e64 v3, 0x7fc00000, v5, s2
	s_delay_alu instid0(VALU_DEP_1) | instskip(NEXT) | instid1(VALU_DEP_1)
	v_mul_f32_e32 v3, v7, v3
	v_bfe_u32 v5, v3, 16, 1
	v_cmp_o_f32_e64 s2, v3, v3
	s_delay_alu instid0(VALU_DEP_2) | instskip(NEXT) | instid1(VALU_DEP_1)
	v_add3_u32 v5, v3, v5, 0x7fff
	v_lshrrev_b32_e32 v5, 16, v5
	s_delay_alu instid0(VALU_DEP_1)
	v_cndmask_b32_e64 v5, 0x7fc0, v5, s2
.LBB164_12:
	s_or_b32 exec_lo, exec_lo, s3
	v_or_b32_e32 v3, 0x200, v0
	s_delay_alu instid0(VALU_DEP_1)
	v_cmp_gt_i32_e64 s2, s9, v3
                                        ; implicit-def: $vgpr3
	s_and_saveexec_b32 s3, s2
	s_cbranch_execz .LBB164_14
; %bb.13:
	v_mul_f32_e32 v3, s4, v10
	s_delay_alu instid0(VALU_DEP_1) | instskip(SKIP_1) | instid1(VALU_DEP_2)
	v_bfe_u32 v6, v3, 16, 1
	v_cmp_o_f32_e64 s2, v3, v3
	v_add3_u32 v6, v3, v6, 0x7fff
	s_delay_alu instid0(VALU_DEP_1) | instskip(NEXT) | instid1(VALU_DEP_1)
	v_and_b32_e32 v6, 0xffff0000, v6
	v_cndmask_b32_e64 v3, 0x7fc00000, v6, s2
	s_delay_alu instid0(VALU_DEP_1) | instskip(NEXT) | instid1(VALU_DEP_1)
	v_mul_f32_e32 v3, v9, v3
	v_bfe_u32 v6, v3, 16, 1
	s_delay_alu instid0(VALU_DEP_1) | instskip(NEXT) | instid1(VALU_DEP_1)
	v_add3_u32 v6, v3, v6, 0x7fff
	v_lshrrev_b32_e32 v6, 16, v6
	v_cmp_o_f32_e64 s2, v3, v3
	s_delay_alu instid0(VALU_DEP_1)
	v_cndmask_b32_e64 v3, 0x7fc0, v6, s2
.LBB164_14:
	s_or_b32 exec_lo, exec_lo, s3
	s_load_b64 s[2:3], s[0:1], 0x8
	v_or_b32_e32 v6, 0x300, v0
	s_wait_xcnt 0x0
	s_delay_alu instid0(VALU_DEP_1)
	v_cmp_gt_i32_e64 s0, s9, v6
                                        ; implicit-def: $vgpr6
	s_and_saveexec_b32 s1, s0
	s_cbranch_execz .LBB164_20
; %bb.15:
	v_mul_f32_e32 v4, s4, v4
	s_delay_alu instid0(VALU_DEP_1) | instskip(SKIP_1) | instid1(VALU_DEP_2)
	v_bfe_u32 v6, v4, 16, 1
	v_cmp_o_f32_e64 s0, v4, v4
	v_add3_u32 v6, v4, v6, 0x7fff
	s_delay_alu instid0(VALU_DEP_1) | instskip(NEXT) | instid1(VALU_DEP_1)
	v_and_b32_e32 v6, 0xffff0000, v6
	v_cndmask_b32_e64 v4, 0x7fc00000, v6, s0
	s_delay_alu instid0(VALU_DEP_1) | instskip(NEXT) | instid1(VALU_DEP_1)
	v_mul_f32_e32 v4, v8, v4
	v_bfe_u32 v6, v4, 16, 1
	v_cmp_o_f32_e64 s0, v4, v4
	s_delay_alu instid0(VALU_DEP_2) | instskip(NEXT) | instid1(VALU_DEP_1)
	v_add3_u32 v6, v4, v6, 0x7fff
	v_lshrrev_b32_e32 v6, 16, v6
	s_delay_alu instid0(VALU_DEP_1) | instskip(SKIP_2) | instid1(SALU_CYCLE_1)
	v_cndmask_b32_e64 v6, 0x7fc0, v6, s0
	s_or_b32 exec_lo, exec_lo, s1
	s_and_saveexec_b32 s0, vcc_lo
	s_xor_b32 s0, exec_lo, s0
	s_cbranch_execnz .LBB164_21
.LBB164_16:
	s_or_b32 exec_lo, exec_lo, s0
	s_delay_alu instid0(SALU_CYCLE_1)
	s_mov_b32 s0, exec_lo
	v_cmpx_gt_i32_e64 s9, v0
	s_cbranch_execz .LBB164_22
.LBB164_17:
	v_add_nc_u32_e32 v1, 0x100, v0
	s_delay_alu instid0(VALU_DEP_1) | instskip(SKIP_4) | instid1(SALU_CYCLE_1)
	v_dual_add_nc_u32 v2, s8, v0 :: v_dual_mov_b32 v0, v1
	s_wait_kmcnt 0x0
	global_store_b16 v2, v5, s[2:3] scale_offset
	s_wait_xcnt 0x0
	s_or_b32 exec_lo, exec_lo, s0
	s_mov_b32 s0, exec_lo
	v_cmpx_gt_i32_e64 s9, v0
	s_cbranch_execnz .LBB164_23
.LBB164_18:
	s_or_b32 exec_lo, exec_lo, s0
	s_delay_alu instid0(SALU_CYCLE_1)
	s_mov_b32 s0, exec_lo
	v_cmpx_gt_i32_e64 s9, v0
	s_cbranch_execz .LBB164_24
.LBB164_19:
	v_add_nc_u32_e32 v0, s8, v0
	s_wait_kmcnt 0x0
	global_store_b16 v0, v6, s[2:3] scale_offset
	s_endpgm
.LBB164_20:
	s_or_b32 exec_lo, exec_lo, s1
	s_and_saveexec_b32 s0, vcc_lo
	s_delay_alu instid0(SALU_CYCLE_1)
	s_xor_b32 s0, exec_lo, s0
	s_cbranch_execz .LBB164_16
.LBB164_21:
	v_mov_b32_e32 v0, v1
	s_wait_kmcnt 0x0
	global_store_b16 v2, v11, s[2:3] scale_offset
	s_wait_xcnt 0x0
	s_or_b32 exec_lo, exec_lo, s0
	s_delay_alu instid0(SALU_CYCLE_1)
	s_mov_b32 s0, exec_lo
	v_cmpx_gt_i32_e64 s9, v0
	s_cbranch_execnz .LBB164_17
.LBB164_22:
	s_or_b32 exec_lo, exec_lo, s0
	s_delay_alu instid0(SALU_CYCLE_1)
	s_mov_b32 s0, exec_lo
	v_cmpx_gt_i32_e64 s9, v0
	s_cbranch_execz .LBB164_18
.LBB164_23:
	v_add_nc_u32_e32 v1, 0x100, v0
	s_delay_alu instid0(VALU_DEP_1) | instskip(SKIP_4) | instid1(SALU_CYCLE_1)
	v_dual_add_nc_u32 v2, s8, v0 :: v_dual_mov_b32 v0, v1
	s_wait_kmcnt 0x0
	global_store_b16 v2, v3, s[2:3] scale_offset
	s_wait_xcnt 0x0
	s_or_b32 exec_lo, exec_lo, s0
	s_mov_b32 s0, exec_lo
	v_cmpx_gt_i32_e64 s9, v0
	s_cbranch_execnz .LBB164_19
.LBB164_24:
	s_endpgm
	.section	.rodata,"a",@progbits
	.p2align	6, 0x0
	.amdhsa_kernel _ZN2at6native27unrolled_elementwise_kernelIZZZNS0_12_GLOBAL__N_116addr_kernel_cudaERNS_14TensorIteratorERKN3c106ScalarES8_ENKUlvE_clEvENKUlvE8_clEvEUlNS5_8BFloat16ESB_SB_E_St5arrayIPcLm4EELi4E23TrivialOffsetCalculatorILi3EjESG_ILi1EjENS0_6memory15LoadWithoutCastENSJ_16StoreWithoutCastEEEviT_T0_T2_T3_T4_T5_
		.amdhsa_group_segment_fixed_size 0
		.amdhsa_private_segment_fixed_size 0
		.amdhsa_kernarg_size 44
		.amdhsa_user_sgpr_count 2
		.amdhsa_user_sgpr_dispatch_ptr 0
		.amdhsa_user_sgpr_queue_ptr 0
		.amdhsa_user_sgpr_kernarg_segment_ptr 1
		.amdhsa_user_sgpr_dispatch_id 0
		.amdhsa_user_sgpr_kernarg_preload_length 0
		.amdhsa_user_sgpr_kernarg_preload_offset 0
		.amdhsa_user_sgpr_private_segment_size 0
		.amdhsa_wavefront_size32 1
		.amdhsa_uses_dynamic_stack 0
		.amdhsa_enable_private_segment 0
		.amdhsa_system_sgpr_workgroup_id_x 1
		.amdhsa_system_sgpr_workgroup_id_y 0
		.amdhsa_system_sgpr_workgroup_id_z 0
		.amdhsa_system_sgpr_workgroup_info 0
		.amdhsa_system_vgpr_workitem_id 0
		.amdhsa_next_free_vgpr 13
		.amdhsa_next_free_sgpr 11
		.amdhsa_named_barrier_count 0
		.amdhsa_reserve_vcc 1
		.amdhsa_float_round_mode_32 0
		.amdhsa_float_round_mode_16_64 0
		.amdhsa_float_denorm_mode_32 3
		.amdhsa_float_denorm_mode_16_64 3
		.amdhsa_fp16_overflow 0
		.amdhsa_memory_ordered 1
		.amdhsa_forward_progress 1
		.amdhsa_inst_pref_size 11
		.amdhsa_round_robin_scheduling 0
		.amdhsa_exception_fp_ieee_invalid_op 0
		.amdhsa_exception_fp_denorm_src 0
		.amdhsa_exception_fp_ieee_div_zero 0
		.amdhsa_exception_fp_ieee_overflow 0
		.amdhsa_exception_fp_ieee_underflow 0
		.amdhsa_exception_fp_ieee_inexact 0
		.amdhsa_exception_int_div_zero 0
	.end_amdhsa_kernel
	.section	.text._ZN2at6native27unrolled_elementwise_kernelIZZZNS0_12_GLOBAL__N_116addr_kernel_cudaERNS_14TensorIteratorERKN3c106ScalarES8_ENKUlvE_clEvENKUlvE8_clEvEUlNS5_8BFloat16ESB_SB_E_St5arrayIPcLm4EELi4E23TrivialOffsetCalculatorILi3EjESG_ILi1EjENS0_6memory15LoadWithoutCastENSJ_16StoreWithoutCastEEEviT_T0_T2_T3_T4_T5_,"axG",@progbits,_ZN2at6native27unrolled_elementwise_kernelIZZZNS0_12_GLOBAL__N_116addr_kernel_cudaERNS_14TensorIteratorERKN3c106ScalarES8_ENKUlvE_clEvENKUlvE8_clEvEUlNS5_8BFloat16ESB_SB_E_St5arrayIPcLm4EELi4E23TrivialOffsetCalculatorILi3EjESG_ILi1EjENS0_6memory15LoadWithoutCastENSJ_16StoreWithoutCastEEEviT_T0_T2_T3_T4_T5_,comdat
.Lfunc_end164:
	.size	_ZN2at6native27unrolled_elementwise_kernelIZZZNS0_12_GLOBAL__N_116addr_kernel_cudaERNS_14TensorIteratorERKN3c106ScalarES8_ENKUlvE_clEvENKUlvE8_clEvEUlNS5_8BFloat16ESB_SB_E_St5arrayIPcLm4EELi4E23TrivialOffsetCalculatorILi3EjESG_ILi1EjENS0_6memory15LoadWithoutCastENSJ_16StoreWithoutCastEEEviT_T0_T2_T3_T4_T5_, .Lfunc_end164-_ZN2at6native27unrolled_elementwise_kernelIZZZNS0_12_GLOBAL__N_116addr_kernel_cudaERNS_14TensorIteratorERKN3c106ScalarES8_ENKUlvE_clEvENKUlvE8_clEvEUlNS5_8BFloat16ESB_SB_E_St5arrayIPcLm4EELi4E23TrivialOffsetCalculatorILi3EjESG_ILi1EjENS0_6memory15LoadWithoutCastENSJ_16StoreWithoutCastEEEviT_T0_T2_T3_T4_T5_
                                        ; -- End function
	.set _ZN2at6native27unrolled_elementwise_kernelIZZZNS0_12_GLOBAL__N_116addr_kernel_cudaERNS_14TensorIteratorERKN3c106ScalarES8_ENKUlvE_clEvENKUlvE8_clEvEUlNS5_8BFloat16ESB_SB_E_St5arrayIPcLm4EELi4E23TrivialOffsetCalculatorILi3EjESG_ILi1EjENS0_6memory15LoadWithoutCastENSJ_16StoreWithoutCastEEEviT_T0_T2_T3_T4_T5_.num_vgpr, 13
	.set _ZN2at6native27unrolled_elementwise_kernelIZZZNS0_12_GLOBAL__N_116addr_kernel_cudaERNS_14TensorIteratorERKN3c106ScalarES8_ENKUlvE_clEvENKUlvE8_clEvEUlNS5_8BFloat16ESB_SB_E_St5arrayIPcLm4EELi4E23TrivialOffsetCalculatorILi3EjESG_ILi1EjENS0_6memory15LoadWithoutCastENSJ_16StoreWithoutCastEEEviT_T0_T2_T3_T4_T5_.num_agpr, 0
	.set _ZN2at6native27unrolled_elementwise_kernelIZZZNS0_12_GLOBAL__N_116addr_kernel_cudaERNS_14TensorIteratorERKN3c106ScalarES8_ENKUlvE_clEvENKUlvE8_clEvEUlNS5_8BFloat16ESB_SB_E_St5arrayIPcLm4EELi4E23TrivialOffsetCalculatorILi3EjESG_ILi1EjENS0_6memory15LoadWithoutCastENSJ_16StoreWithoutCastEEEviT_T0_T2_T3_T4_T5_.numbered_sgpr, 11
	.set _ZN2at6native27unrolled_elementwise_kernelIZZZNS0_12_GLOBAL__N_116addr_kernel_cudaERNS_14TensorIteratorERKN3c106ScalarES8_ENKUlvE_clEvENKUlvE8_clEvEUlNS5_8BFloat16ESB_SB_E_St5arrayIPcLm4EELi4E23TrivialOffsetCalculatorILi3EjESG_ILi1EjENS0_6memory15LoadWithoutCastENSJ_16StoreWithoutCastEEEviT_T0_T2_T3_T4_T5_.num_named_barrier, 0
	.set _ZN2at6native27unrolled_elementwise_kernelIZZZNS0_12_GLOBAL__N_116addr_kernel_cudaERNS_14TensorIteratorERKN3c106ScalarES8_ENKUlvE_clEvENKUlvE8_clEvEUlNS5_8BFloat16ESB_SB_E_St5arrayIPcLm4EELi4E23TrivialOffsetCalculatorILi3EjESG_ILi1EjENS0_6memory15LoadWithoutCastENSJ_16StoreWithoutCastEEEviT_T0_T2_T3_T4_T5_.private_seg_size, 0
	.set _ZN2at6native27unrolled_elementwise_kernelIZZZNS0_12_GLOBAL__N_116addr_kernel_cudaERNS_14TensorIteratorERKN3c106ScalarES8_ENKUlvE_clEvENKUlvE8_clEvEUlNS5_8BFloat16ESB_SB_E_St5arrayIPcLm4EELi4E23TrivialOffsetCalculatorILi3EjESG_ILi1EjENS0_6memory15LoadWithoutCastENSJ_16StoreWithoutCastEEEviT_T0_T2_T3_T4_T5_.uses_vcc, 1
	.set _ZN2at6native27unrolled_elementwise_kernelIZZZNS0_12_GLOBAL__N_116addr_kernel_cudaERNS_14TensorIteratorERKN3c106ScalarES8_ENKUlvE_clEvENKUlvE8_clEvEUlNS5_8BFloat16ESB_SB_E_St5arrayIPcLm4EELi4E23TrivialOffsetCalculatorILi3EjESG_ILi1EjENS0_6memory15LoadWithoutCastENSJ_16StoreWithoutCastEEEviT_T0_T2_T3_T4_T5_.uses_flat_scratch, 0
	.set _ZN2at6native27unrolled_elementwise_kernelIZZZNS0_12_GLOBAL__N_116addr_kernel_cudaERNS_14TensorIteratorERKN3c106ScalarES8_ENKUlvE_clEvENKUlvE8_clEvEUlNS5_8BFloat16ESB_SB_E_St5arrayIPcLm4EELi4E23TrivialOffsetCalculatorILi3EjESG_ILi1EjENS0_6memory15LoadWithoutCastENSJ_16StoreWithoutCastEEEviT_T0_T2_T3_T4_T5_.has_dyn_sized_stack, 0
	.set _ZN2at6native27unrolled_elementwise_kernelIZZZNS0_12_GLOBAL__N_116addr_kernel_cudaERNS_14TensorIteratorERKN3c106ScalarES8_ENKUlvE_clEvENKUlvE8_clEvEUlNS5_8BFloat16ESB_SB_E_St5arrayIPcLm4EELi4E23TrivialOffsetCalculatorILi3EjESG_ILi1EjENS0_6memory15LoadWithoutCastENSJ_16StoreWithoutCastEEEviT_T0_T2_T3_T4_T5_.has_recursion, 0
	.set _ZN2at6native27unrolled_elementwise_kernelIZZZNS0_12_GLOBAL__N_116addr_kernel_cudaERNS_14TensorIteratorERKN3c106ScalarES8_ENKUlvE_clEvENKUlvE8_clEvEUlNS5_8BFloat16ESB_SB_E_St5arrayIPcLm4EELi4E23TrivialOffsetCalculatorILi3EjESG_ILi1EjENS0_6memory15LoadWithoutCastENSJ_16StoreWithoutCastEEEviT_T0_T2_T3_T4_T5_.has_indirect_call, 0
	.section	.AMDGPU.csdata,"",@progbits
; Kernel info:
; codeLenInByte = 1324
; TotalNumSgprs: 13
; NumVgprs: 13
; ScratchSize: 0
; MemoryBound: 0
; FloatMode: 240
; IeeeMode: 1
; LDSByteSize: 0 bytes/workgroup (compile time only)
; SGPRBlocks: 0
; VGPRBlocks: 0
; NumSGPRsForWavesPerEU: 13
; NumVGPRsForWavesPerEU: 13
; NamedBarCnt: 0
; Occupancy: 16
; WaveLimiterHint : 0
; COMPUTE_PGM_RSRC2:SCRATCH_EN: 0
; COMPUTE_PGM_RSRC2:USER_SGPR: 2
; COMPUTE_PGM_RSRC2:TRAP_HANDLER: 0
; COMPUTE_PGM_RSRC2:TGID_X_EN: 1
; COMPUTE_PGM_RSRC2:TGID_Y_EN: 0
; COMPUTE_PGM_RSRC2:TGID_Z_EN: 0
; COMPUTE_PGM_RSRC2:TIDIG_COMP_CNT: 0
	.section	.text._ZN2at6native32elementwise_kernel_manual_unrollILi128ELi8EZNS0_22gpu_kernel_impl_nocastIZZZNS0_12_GLOBAL__N_116addr_kernel_cudaERNS_14TensorIteratorERKN3c106ScalarES9_ENKUlvE_clEvENKUlvE8_clEvEUlNS6_8BFloat16ESC_SC_E_EEvRNS_18TensorIteratorBaseERKT_EUlibE_EEviT1_,"axG",@progbits,_ZN2at6native32elementwise_kernel_manual_unrollILi128ELi8EZNS0_22gpu_kernel_impl_nocastIZZZNS0_12_GLOBAL__N_116addr_kernel_cudaERNS_14TensorIteratorERKN3c106ScalarES9_ENKUlvE_clEvENKUlvE8_clEvEUlNS6_8BFloat16ESC_SC_E_EEvRNS_18TensorIteratorBaseERKT_EUlibE_EEviT1_,comdat
	.globl	_ZN2at6native32elementwise_kernel_manual_unrollILi128ELi8EZNS0_22gpu_kernel_impl_nocastIZZZNS0_12_GLOBAL__N_116addr_kernel_cudaERNS_14TensorIteratorERKN3c106ScalarES9_ENKUlvE_clEvENKUlvE8_clEvEUlNS6_8BFloat16ESC_SC_E_EEvRNS_18TensorIteratorBaseERKT_EUlibE_EEviT1_ ; -- Begin function _ZN2at6native32elementwise_kernel_manual_unrollILi128ELi8EZNS0_22gpu_kernel_impl_nocastIZZZNS0_12_GLOBAL__N_116addr_kernel_cudaERNS_14TensorIteratorERKN3c106ScalarES9_ENKUlvE_clEvENKUlvE8_clEvEUlNS6_8BFloat16ESC_SC_E_EEvRNS_18TensorIteratorBaseERKT_EUlibE_EEviT1_
	.p2align	8
	.type	_ZN2at6native32elementwise_kernel_manual_unrollILi128ELi8EZNS0_22gpu_kernel_impl_nocastIZZZNS0_12_GLOBAL__N_116addr_kernel_cudaERNS_14TensorIteratorERKN3c106ScalarES9_ENKUlvE_clEvENKUlvE8_clEvEUlNS6_8BFloat16ESC_SC_E_EEvRNS_18TensorIteratorBaseERKT_EUlibE_EEviT1_,@function
_ZN2at6native32elementwise_kernel_manual_unrollILi128ELi8EZNS0_22gpu_kernel_impl_nocastIZZZNS0_12_GLOBAL__N_116addr_kernel_cudaERNS_14TensorIteratorERKN3c106ScalarES9_ENKUlvE_clEvENKUlvE8_clEvEUlNS6_8BFloat16ESC_SC_E_EEvRNS_18TensorIteratorBaseERKT_EUlibE_EEviT1_: ; @_ZN2at6native32elementwise_kernel_manual_unrollILi128ELi8EZNS0_22gpu_kernel_impl_nocastIZZZNS0_12_GLOBAL__N_116addr_kernel_cudaERNS_14TensorIteratorERKN3c106ScalarES9_ENKUlvE_clEvENKUlvE8_clEvEUlNS6_8BFloat16ESC_SC_E_EEvRNS_18TensorIteratorBaseERKT_EUlibE_EEviT1_
; %bb.0:
	s_clause 0x1
	s_load_b32 s11, s[0:1], 0x8
	s_load_b32 s35, s[0:1], 0x0
	s_bfe_u32 s2, ttmp6, 0x4000c
	s_and_b32 s3, ttmp6, 15
	s_add_co_i32 s2, s2, 1
	s_getreg_b32 s4, hwreg(HW_REG_IB_STS2, 6, 4)
	s_mul_i32 s2, ttmp9, s2
	s_add_nc_u64 s[12:13], s[0:1], 8
	s_add_co_i32 s3, s3, s2
	s_cmp_eq_u32 s4, 0
	s_mov_b32 s19, 0
	s_cselect_b32 s2, ttmp9, s3
	s_wait_xcnt 0x0
	s_mov_b32 s0, exec_lo
	v_lshl_or_b32 v0, s2, 10, v0
	s_delay_alu instid0(VALU_DEP_1) | instskip(SKIP_2) | instid1(SALU_CYCLE_1)
	v_or_b32_e32 v5, 0x380, v0
	s_wait_kmcnt 0x0
	s_add_co_i32 s28, s11, -1
	s_cmp_gt_u32 s28, 1
	s_cselect_b32 s29, -1, 0
	v_cmpx_le_i32_e64 s35, v5
	s_xor_b32 s30, exec_lo, s0
	s_cbranch_execz .LBB165_106
; %bb.1:
	s_clause 0x7
	s_load_b128 s[4:7], s[12:13], 0x4
	s_load_b64 s[16:17], s[12:13], 0x14
	s_load_b128 s[0:3], s[12:13], 0x1d8
	s_load_b32 s24, s[12:13], 0x1e8
	s_load_b32 s31, s[12:13], 0xc4
	s_load_b96 s[8:10], s[12:13], 0xcc
	s_load_b64 s[20:21], s[12:13], 0xdc
	s_load_b64 s[14:15], s[12:13], 0x1c8
	s_cmp_lg_u32 s11, 0
	s_mov_b32 s23, s19
	s_cselect_b32 s36, -1, 0
	s_min_u32 s34, s28, 15
	s_cmp_gt_u32 s11, 1
	s_cselect_b32 s33, -1, 0
	s_wait_kmcnt 0x0
	s_mov_b32 s18, s5
	s_mov_b32 s22, s16
	s_mov_b32 s16, exec_lo
	s_lshl_b32 s5, s24, 16
	v_cmpx_gt_i32_e64 s35, v0
	s_cbranch_execnz .LBB165_9
; %bb.2:
	s_or_b32 exec_lo, exec_lo, s16
	s_delay_alu instid0(SALU_CYCLE_1)
	s_mov_b32 s16, exec_lo
	v_cmpx_gt_i32_e64 s35, v0
	s_cbranch_execnz .LBB165_21
.LBB165_3:
	s_or_b32 exec_lo, exec_lo, s16
	s_delay_alu instid0(SALU_CYCLE_1)
	s_mov_b32 s16, exec_lo
	v_cmpx_gt_i32_e64 s35, v0
	s_cbranch_execnz .LBB165_33
.LBB165_4:
	s_or_b32 exec_lo, exec_lo, s16
	s_delay_alu instid0(SALU_CYCLE_1)
	s_mov_b32 s16, exec_lo
	v_cmpx_gt_i32_e64 s35, v0
	s_cbranch_execnz .LBB165_45
.LBB165_5:
	s_or_b32 exec_lo, exec_lo, s16
	s_delay_alu instid0(SALU_CYCLE_1)
	s_mov_b32 s16, exec_lo
	v_cmpx_gt_i32_e64 s35, v0
	s_cbranch_execnz .LBB165_57
.LBB165_6:
	s_or_b32 exec_lo, exec_lo, s16
	s_delay_alu instid0(SALU_CYCLE_1)
	s_mov_b32 s16, exec_lo
	v_cmpx_gt_i32_e64 s35, v0
	s_cbranch_execnz .LBB165_69
.LBB165_7:
	s_or_b32 exec_lo, exec_lo, s16
	s_delay_alu instid0(SALU_CYCLE_1)
	s_mov_b32 s16, exec_lo
	v_cmpx_gt_i32_e64 s35, v0
	s_cbranch_execnz .LBB165_81
.LBB165_8:
	s_or_b32 exec_lo, exec_lo, s16
	s_delay_alu instid0(SALU_CYCLE_1)
	s_mov_b32 s16, exec_lo
	v_cmpx_gt_i32_e64 s35, v0
	s_cbranch_execnz .LBB165_93
	s_branch .LBB165_105
.LBB165_9:
	s_and_not1_b32 vcc_lo, exec_lo, s29
	s_cbranch_vccnz .LBB165_15
; %bb.10:
	s_and_not1_b32 vcc_lo, exec_lo, s36
	s_cbranch_vccnz .LBB165_16
; %bb.11:
	v_dual_mov_b32 v4, 0 :: v_dual_mov_b32 v1, v0
	v_dual_mov_b32 v6, 0 :: v_dual_mov_b32 v5, 0
	s_add_co_i32 s26, s34, 1
	s_mov_b64 s[24:25], 0xffffffffffffffe0
	s_and_b32 s37, s26, 30
	s_add_nc_u64 s[24:25], s[12:13], s[24:25]
	s_mov_b64 s[26:27], s[12:13]
.LBB165_12:                             ; =>This Inner Loop Header: Depth=1
	s_clause 0x1
	s_load_b128 s[40:43], s[26:27], 0x4
	s_load_b64 s[38:39], s[26:27], 0x14
	s_load_b32 s44, s[24:25], 0xe4
	s_add_co_i32 s37, s37, -2
	s_wait_xcnt 0x0
	s_add_nc_u64 s[26:27], s[26:27], 24
	s_cmp_lg_u32 s37, 0
	s_wait_kmcnt 0x0
	v_mul_hi_u32 v2, s41, v1
	s_delay_alu instid0(VALU_DEP_1) | instskip(NEXT) | instid1(VALU_DEP_1)
	v_add_nc_u32_e32 v2, v1, v2
	v_lshrrev_b32_e32 v2, s42, v2
	s_delay_alu instid0(VALU_DEP_1) | instskip(SKIP_2) | instid1(VALU_DEP_2)
	v_mul_hi_u32 v3, s38, v2
	v_mul_lo_u32 v7, v2, s40
	s_load_b96 s[40:42], s[24:25], 0xec
	v_add_nc_u32_e32 v3, v2, v3
	s_delay_alu instid0(VALU_DEP_2) | instskip(NEXT) | instid1(VALU_DEP_2)
	v_sub_nc_u32_e32 v7, v1, v7
	v_lshrrev_b32_e32 v1, s39, v3
	s_load_b64 s[38:39], s[24:25], 0xfc
	s_delay_alu instid0(VALU_DEP_2)
	v_mad_u32 v4, v7, s44, v4
	s_wait_xcnt 0x0
	s_add_nc_u64 s[24:25], s[24:25], 32
	v_mul_lo_u32 v3, v1, s43
	s_wait_kmcnt 0x0
	v_mad_u32 v5, v7, s41, v5
	v_mad_u32 v6, v7, s40, v6
	s_delay_alu instid0(VALU_DEP_3) | instskip(NEXT) | instid1(VALU_DEP_1)
	v_sub_nc_u32_e32 v2, v2, v3
	v_mad_u32 v4, v2, s42, v4
	s_delay_alu instid0(VALU_DEP_4) | instskip(NEXT) | instid1(VALU_DEP_4)
	v_mad_u32 v5, v2, s39, v5
	v_mad_u32 v6, v2, s38, v6
	s_cbranch_scc1 .LBB165_12
; %bb.13:
	s_bitcmp1_b32 s34, 0
	s_cselect_b32 s37, -1, 0
	s_delay_alu instid0(SALU_CYCLE_1)
	s_and_b32 vcc_lo, exec_lo, s37
	s_cbranch_vccnz .LBB165_17
; %bb.14:
	s_load_b96 s[40:42], s[26:27], 0x4
	s_load_b32 s37, s[24:25], 0xe4
	s_wait_xcnt 0x0
	s_load_b64 s[26:27], s[24:25], 0xec
	s_wait_xcnt 0x0
	s_wait_kmcnt 0x0
	v_mul_hi_u32 v2, s41, v1
	s_delay_alu instid0(VALU_DEP_1) | instskip(NEXT) | instid1(VALU_DEP_1)
	v_add_nc_u32_e32 v2, v1, v2
	v_lshrrev_b32_e32 v2, s42, v2
	s_delay_alu instid0(VALU_DEP_1) | instskip(NEXT) | instid1(VALU_DEP_1)
	v_mul_lo_u32 v2, v2, s40
	v_sub_nc_u32_e32 v1, v1, v2
	s_delay_alu instid0(VALU_DEP_1)
	v_mad_u32 v4, v1, s37, v4
	v_mad_u32 v6, v1, s26, v6
	;; [unrolled: 1-line block ×3, first 2 shown]
	s_cbranch_execz .LBB165_18
	s_branch .LBB165_20
.LBB165_15:
                                        ; implicit-def: $vgpr5
                                        ; implicit-def: $vgpr6
                                        ; implicit-def: $vgpr4
	s_branch .LBB165_18
.LBB165_16:
	v_dual_mov_b32 v5, 0 :: v_dual_mov_b32 v6, 0
	v_mov_b32_e32 v4, 0
.LBB165_17:
	s_cbranch_execnz .LBB165_20
.LBB165_18:
	v_mov_b32_e32 v1, 0
	s_and_not1_b32 vcc_lo, exec_lo, s33
	s_delay_alu instid0(VALU_DEP_1) | instskip(NEXT) | instid1(VALU_DEP_1)
	v_mul_u64_e32 v[2:3], s[18:19], v[0:1]
	v_add_nc_u32_e32 v2, v0, v3
	s_delay_alu instid0(VALU_DEP_1) | instskip(NEXT) | instid1(VALU_DEP_1)
	v_lshrrev_b32_e32 v2, s6, v2
	v_mul_lo_u32 v3, v2, s4
	s_delay_alu instid0(VALU_DEP_1) | instskip(NEXT) | instid1(VALU_DEP_1)
	v_sub_nc_u32_e32 v3, v0, v3
	v_mul_lo_u32 v4, v3, s31
	v_mul_lo_u32 v5, v3, s9
	;; [unrolled: 1-line block ×3, first 2 shown]
	s_cbranch_vccnz .LBB165_20
; %bb.19:
	v_mov_b32_e32 v3, v1
	s_delay_alu instid0(VALU_DEP_1) | instskip(NEXT) | instid1(VALU_DEP_1)
	v_mul_u64_e32 v[8:9], s[22:23], v[2:3]
	v_add_nc_u32_e32 v1, v2, v9
	s_delay_alu instid0(VALU_DEP_1) | instskip(NEXT) | instid1(VALU_DEP_1)
	v_lshrrev_b32_e32 v1, s17, v1
	v_mul_lo_u32 v1, v1, s7
	s_delay_alu instid0(VALU_DEP_1) | instskip(NEXT) | instid1(VALU_DEP_1)
	v_sub_nc_u32_e32 v1, v2, v1
	v_mad_u32 v4, v1, s10, v4
	v_mad_u32 v6, v1, s20, v6
	;; [unrolled: 1-line block ×3, first 2 shown]
.LBB165_20:
	global_load_u16 v1, v6, s[0:1]
	global_load_u16 v2, v5, s[2:3]
	v_add_nc_u32_e32 v0, 0x80, v0
	s_wait_loadcnt 0x0
	v_dual_lshlrev_b32 v1, 16, v1 :: v_dual_lshlrev_b32 v2, 16, v2
	s_delay_alu instid0(VALU_DEP_1) | instskip(NEXT) | instid1(VALU_DEP_1)
	v_mul_f32_e32 v1, s5, v1
	v_bfe_u32 v3, v1, 16, 1
	v_cmp_o_f32_e32 vcc_lo, v1, v1
	s_delay_alu instid0(VALU_DEP_2) | instskip(NEXT) | instid1(VALU_DEP_1)
	v_add3_u32 v3, v1, v3, 0x7fff
	v_and_b32_e32 v3, 0xffff0000, v3
	s_delay_alu instid0(VALU_DEP_1) | instskip(NEXT) | instid1(VALU_DEP_1)
	v_cndmask_b32_e32 v1, 0x7fc00000, v3, vcc_lo
	v_mul_f32_e32 v1, v1, v2
	s_delay_alu instid0(VALU_DEP_1) | instskip(SKIP_1) | instid1(VALU_DEP_2)
	v_bfe_u32 v2, v1, 16, 1
	v_cmp_o_f32_e32 vcc_lo, v1, v1
	v_add3_u32 v2, v1, v2, 0x7fff
	s_delay_alu instid0(VALU_DEP_1) | instskip(NEXT) | instid1(VALU_DEP_1)
	v_lshrrev_b32_e32 v2, 16, v2
	v_cndmask_b32_e32 v1, 0x7fc0, v2, vcc_lo
	global_store_b16 v4, v1, s[14:15]
	s_wait_xcnt 0x0
	s_or_b32 exec_lo, exec_lo, s16
	s_delay_alu instid0(SALU_CYCLE_1)
	s_mov_b32 s16, exec_lo
	v_cmpx_gt_i32_e64 s35, v0
	s_cbranch_execz .LBB165_3
.LBB165_21:
	s_and_not1_b32 vcc_lo, exec_lo, s29
	s_cbranch_vccnz .LBB165_27
; %bb.22:
	s_and_not1_b32 vcc_lo, exec_lo, s36
	s_cbranch_vccnz .LBB165_28
; %bb.23:
	v_dual_mov_b32 v4, 0 :: v_dual_mov_b32 v1, v0
	v_dual_mov_b32 v6, 0 :: v_dual_mov_b32 v5, 0
	s_add_co_i32 s26, s34, 1
	s_mov_b64 s[24:25], 0xffffffffffffffe0
	s_and_b32 s37, s26, 30
	s_add_nc_u64 s[24:25], s[12:13], s[24:25]
	s_mov_b64 s[26:27], s[12:13]
.LBB165_24:                             ; =>This Inner Loop Header: Depth=1
	s_clause 0x1
	s_load_b128 s[40:43], s[26:27], 0x4
	s_load_b64 s[38:39], s[26:27], 0x14
	s_load_b32 s44, s[24:25], 0xe4
	s_add_co_i32 s37, s37, -2
	s_wait_xcnt 0x0
	s_add_nc_u64 s[26:27], s[26:27], 24
	s_cmp_eq_u32 s37, 0
	s_wait_kmcnt 0x0
	v_mul_hi_u32 v2, s41, v1
	s_delay_alu instid0(VALU_DEP_1) | instskip(NEXT) | instid1(VALU_DEP_1)
	v_add_nc_u32_e32 v2, v1, v2
	v_lshrrev_b32_e32 v2, s42, v2
	s_delay_alu instid0(VALU_DEP_1) | instskip(SKIP_2) | instid1(VALU_DEP_2)
	v_mul_hi_u32 v3, s38, v2
	v_mul_lo_u32 v7, v2, s40
	s_load_b96 s[40:42], s[24:25], 0xec
	v_add_nc_u32_e32 v3, v2, v3
	s_delay_alu instid0(VALU_DEP_2) | instskip(NEXT) | instid1(VALU_DEP_2)
	v_sub_nc_u32_e32 v7, v1, v7
	v_lshrrev_b32_e32 v1, s39, v3
	s_load_b64 s[38:39], s[24:25], 0xfc
	s_delay_alu instid0(VALU_DEP_2)
	v_mad_u32 v4, v7, s44, v4
	s_wait_xcnt 0x0
	s_add_nc_u64 s[24:25], s[24:25], 32
	v_mul_lo_u32 v3, v1, s43
	s_wait_kmcnt 0x0
	v_mad_u32 v5, v7, s41, v5
	v_mad_u32 v6, v7, s40, v6
	s_delay_alu instid0(VALU_DEP_3) | instskip(NEXT) | instid1(VALU_DEP_1)
	v_sub_nc_u32_e32 v2, v2, v3
	v_mad_u32 v4, v2, s42, v4
	s_delay_alu instid0(VALU_DEP_4) | instskip(NEXT) | instid1(VALU_DEP_4)
	v_mad_u32 v5, v2, s39, v5
	v_mad_u32 v6, v2, s38, v6
	s_cbranch_scc0 .LBB165_24
; %bb.25:
	s_bitcmp1_b32 s34, 0
	s_cselect_b32 s37, -1, 0
	s_delay_alu instid0(SALU_CYCLE_1)
	s_and_b32 vcc_lo, exec_lo, s37
	s_cbranch_vccnz .LBB165_29
; %bb.26:
	s_load_b96 s[40:42], s[26:27], 0x4
	s_load_b32 s37, s[24:25], 0xe4
	s_wait_xcnt 0x0
	s_load_b64 s[26:27], s[24:25], 0xec
	s_wait_kmcnt 0x0
	v_mul_hi_u32 v2, s41, v1
	s_delay_alu instid0(VALU_DEP_1) | instskip(NEXT) | instid1(VALU_DEP_1)
	v_add_nc_u32_e32 v2, v1, v2
	v_lshrrev_b32_e32 v2, s42, v2
	s_delay_alu instid0(VALU_DEP_1) | instskip(NEXT) | instid1(VALU_DEP_1)
	v_mul_lo_u32 v2, v2, s40
	v_sub_nc_u32_e32 v1, v1, v2
	s_delay_alu instid0(VALU_DEP_1)
	v_mad_u32 v4, v1, s37, v4
	v_mad_u32 v6, v1, s26, v6
	;; [unrolled: 1-line block ×3, first 2 shown]
	s_branch .LBB165_29
.LBB165_27:
                                        ; implicit-def: $vgpr5
                                        ; implicit-def: $vgpr6
                                        ; implicit-def: $vgpr4
	s_branch .LBB165_30
.LBB165_28:
	v_dual_mov_b32 v5, 0 :: v_dual_mov_b32 v6, 0
	v_mov_b32_e32 v4, 0
.LBB165_29:
	s_cbranch_execnz .LBB165_32
.LBB165_30:
	v_mov_b32_e32 v1, 0
	s_and_not1_b32 vcc_lo, exec_lo, s33
	s_delay_alu instid0(VALU_DEP_1) | instskip(NEXT) | instid1(VALU_DEP_1)
	v_mul_u64_e32 v[2:3], s[18:19], v[0:1]
	v_add_nc_u32_e32 v2, v0, v3
	s_delay_alu instid0(VALU_DEP_1) | instskip(NEXT) | instid1(VALU_DEP_1)
	v_lshrrev_b32_e32 v2, s6, v2
	v_mul_lo_u32 v3, v2, s4
	s_delay_alu instid0(VALU_DEP_1) | instskip(NEXT) | instid1(VALU_DEP_1)
	v_sub_nc_u32_e32 v3, v0, v3
	v_mul_lo_u32 v4, v3, s31
	v_mul_lo_u32 v5, v3, s9
	;; [unrolled: 1-line block ×3, first 2 shown]
	s_cbranch_vccnz .LBB165_32
; %bb.31:
	v_mov_b32_e32 v3, v1
	s_delay_alu instid0(VALU_DEP_1) | instskip(NEXT) | instid1(VALU_DEP_1)
	v_mul_u64_e32 v[8:9], s[22:23], v[2:3]
	v_add_nc_u32_e32 v1, v2, v9
	s_delay_alu instid0(VALU_DEP_1) | instskip(NEXT) | instid1(VALU_DEP_1)
	v_lshrrev_b32_e32 v1, s17, v1
	v_mul_lo_u32 v1, v1, s7
	s_delay_alu instid0(VALU_DEP_1) | instskip(NEXT) | instid1(VALU_DEP_1)
	v_sub_nc_u32_e32 v1, v2, v1
	v_mad_u32 v4, v1, s10, v4
	v_mad_u32 v6, v1, s20, v6
	;; [unrolled: 1-line block ×3, first 2 shown]
.LBB165_32:
	global_load_u16 v1, v6, s[0:1]
	global_load_u16 v2, v5, s[2:3]
	v_add_nc_u32_e32 v0, 0x80, v0
	s_wait_loadcnt 0x0
	v_dual_lshlrev_b32 v1, 16, v1 :: v_dual_lshlrev_b32 v2, 16, v2
	s_delay_alu instid0(VALU_DEP_1) | instskip(NEXT) | instid1(VALU_DEP_1)
	v_mul_f32_e32 v1, s5, v1
	v_bfe_u32 v3, v1, 16, 1
	v_cmp_o_f32_e32 vcc_lo, v1, v1
	s_delay_alu instid0(VALU_DEP_2) | instskip(NEXT) | instid1(VALU_DEP_1)
	v_add3_u32 v3, v1, v3, 0x7fff
	v_and_b32_e32 v3, 0xffff0000, v3
	s_delay_alu instid0(VALU_DEP_1) | instskip(NEXT) | instid1(VALU_DEP_1)
	v_cndmask_b32_e32 v1, 0x7fc00000, v3, vcc_lo
	v_mul_f32_e32 v1, v1, v2
	s_delay_alu instid0(VALU_DEP_1) | instskip(SKIP_1) | instid1(VALU_DEP_2)
	v_bfe_u32 v2, v1, 16, 1
	v_cmp_o_f32_e32 vcc_lo, v1, v1
	v_add3_u32 v2, v1, v2, 0x7fff
	s_delay_alu instid0(VALU_DEP_1) | instskip(NEXT) | instid1(VALU_DEP_1)
	v_lshrrev_b32_e32 v2, 16, v2
	v_cndmask_b32_e32 v1, 0x7fc0, v2, vcc_lo
	global_store_b16 v4, v1, s[14:15]
	s_wait_xcnt 0x0
	s_or_b32 exec_lo, exec_lo, s16
	s_delay_alu instid0(SALU_CYCLE_1)
	s_mov_b32 s16, exec_lo
	v_cmpx_gt_i32_e64 s35, v0
	s_cbranch_execz .LBB165_4
.LBB165_33:
	s_and_not1_b32 vcc_lo, exec_lo, s29
	s_cbranch_vccnz .LBB165_39
; %bb.34:
	s_and_not1_b32 vcc_lo, exec_lo, s36
	s_cbranch_vccnz .LBB165_40
; %bb.35:
	v_dual_mov_b32 v4, 0 :: v_dual_mov_b32 v1, v0
	v_dual_mov_b32 v6, 0 :: v_dual_mov_b32 v5, 0
	s_add_co_i32 s26, s34, 1
	s_mov_b64 s[24:25], 0xffffffffffffffe0
	s_and_b32 s37, s26, 30
	s_add_nc_u64 s[24:25], s[12:13], s[24:25]
	s_mov_b64 s[26:27], s[12:13]
.LBB165_36:                             ; =>This Inner Loop Header: Depth=1
	s_clause 0x1
	s_load_b128 s[40:43], s[26:27], 0x4
	s_load_b64 s[38:39], s[26:27], 0x14
	s_load_b32 s44, s[24:25], 0xe4
	s_add_co_i32 s37, s37, -2
	s_wait_xcnt 0x0
	s_add_nc_u64 s[26:27], s[26:27], 24
	s_cmp_eq_u32 s37, 0
	s_wait_kmcnt 0x0
	v_mul_hi_u32 v2, s41, v1
	s_delay_alu instid0(VALU_DEP_1) | instskip(NEXT) | instid1(VALU_DEP_1)
	v_add_nc_u32_e32 v2, v1, v2
	v_lshrrev_b32_e32 v2, s42, v2
	s_delay_alu instid0(VALU_DEP_1) | instskip(SKIP_2) | instid1(VALU_DEP_2)
	v_mul_hi_u32 v3, s38, v2
	v_mul_lo_u32 v7, v2, s40
	s_load_b96 s[40:42], s[24:25], 0xec
	v_add_nc_u32_e32 v3, v2, v3
	s_delay_alu instid0(VALU_DEP_2) | instskip(NEXT) | instid1(VALU_DEP_2)
	v_sub_nc_u32_e32 v7, v1, v7
	v_lshrrev_b32_e32 v1, s39, v3
	s_load_b64 s[38:39], s[24:25], 0xfc
	s_delay_alu instid0(VALU_DEP_2)
	v_mad_u32 v4, v7, s44, v4
	s_wait_xcnt 0x0
	s_add_nc_u64 s[24:25], s[24:25], 32
	v_mul_lo_u32 v3, v1, s43
	s_wait_kmcnt 0x0
	v_mad_u32 v5, v7, s41, v5
	v_mad_u32 v6, v7, s40, v6
	s_delay_alu instid0(VALU_DEP_3) | instskip(NEXT) | instid1(VALU_DEP_1)
	v_sub_nc_u32_e32 v2, v2, v3
	v_mad_u32 v4, v2, s42, v4
	s_delay_alu instid0(VALU_DEP_4) | instskip(NEXT) | instid1(VALU_DEP_4)
	v_mad_u32 v5, v2, s39, v5
	v_mad_u32 v6, v2, s38, v6
	s_cbranch_scc0 .LBB165_36
; %bb.37:
	s_bitcmp1_b32 s34, 0
	s_cselect_b32 s37, -1, 0
	s_delay_alu instid0(SALU_CYCLE_1)
	s_and_b32 vcc_lo, exec_lo, s37
	s_cbranch_vccnz .LBB165_41
; %bb.38:
	s_load_b96 s[40:42], s[26:27], 0x4
	s_load_b32 s37, s[24:25], 0xe4
	s_wait_xcnt 0x0
	s_load_b64 s[26:27], s[24:25], 0xec
	s_wait_kmcnt 0x0
	v_mul_hi_u32 v2, s41, v1
	s_delay_alu instid0(VALU_DEP_1) | instskip(NEXT) | instid1(VALU_DEP_1)
	v_add_nc_u32_e32 v2, v1, v2
	v_lshrrev_b32_e32 v2, s42, v2
	s_delay_alu instid0(VALU_DEP_1) | instskip(NEXT) | instid1(VALU_DEP_1)
	v_mul_lo_u32 v2, v2, s40
	v_sub_nc_u32_e32 v1, v1, v2
	s_delay_alu instid0(VALU_DEP_1)
	v_mad_u32 v4, v1, s37, v4
	v_mad_u32 v6, v1, s26, v6
	;; [unrolled: 1-line block ×3, first 2 shown]
	s_branch .LBB165_41
.LBB165_39:
                                        ; implicit-def: $vgpr5
                                        ; implicit-def: $vgpr6
                                        ; implicit-def: $vgpr4
	s_branch .LBB165_42
.LBB165_40:
	v_dual_mov_b32 v5, 0 :: v_dual_mov_b32 v6, 0
	v_mov_b32_e32 v4, 0
.LBB165_41:
	s_cbranch_execnz .LBB165_44
.LBB165_42:
	v_mov_b32_e32 v1, 0
	s_and_not1_b32 vcc_lo, exec_lo, s33
	s_delay_alu instid0(VALU_DEP_1) | instskip(NEXT) | instid1(VALU_DEP_1)
	v_mul_u64_e32 v[2:3], s[18:19], v[0:1]
	v_add_nc_u32_e32 v2, v0, v3
	s_delay_alu instid0(VALU_DEP_1) | instskip(NEXT) | instid1(VALU_DEP_1)
	v_lshrrev_b32_e32 v2, s6, v2
	v_mul_lo_u32 v3, v2, s4
	s_delay_alu instid0(VALU_DEP_1) | instskip(NEXT) | instid1(VALU_DEP_1)
	v_sub_nc_u32_e32 v3, v0, v3
	v_mul_lo_u32 v4, v3, s31
	v_mul_lo_u32 v5, v3, s9
	;; [unrolled: 1-line block ×3, first 2 shown]
	s_cbranch_vccnz .LBB165_44
; %bb.43:
	v_mov_b32_e32 v3, v1
	s_delay_alu instid0(VALU_DEP_1) | instskip(NEXT) | instid1(VALU_DEP_1)
	v_mul_u64_e32 v[8:9], s[22:23], v[2:3]
	v_add_nc_u32_e32 v1, v2, v9
	s_delay_alu instid0(VALU_DEP_1) | instskip(NEXT) | instid1(VALU_DEP_1)
	v_lshrrev_b32_e32 v1, s17, v1
	v_mul_lo_u32 v1, v1, s7
	s_delay_alu instid0(VALU_DEP_1) | instskip(NEXT) | instid1(VALU_DEP_1)
	v_sub_nc_u32_e32 v1, v2, v1
	v_mad_u32 v4, v1, s10, v4
	v_mad_u32 v6, v1, s20, v6
	;; [unrolled: 1-line block ×3, first 2 shown]
.LBB165_44:
	global_load_u16 v1, v6, s[0:1]
	global_load_u16 v2, v5, s[2:3]
	v_add_nc_u32_e32 v0, 0x80, v0
	s_wait_loadcnt 0x0
	v_dual_lshlrev_b32 v1, 16, v1 :: v_dual_lshlrev_b32 v2, 16, v2
	s_delay_alu instid0(VALU_DEP_1) | instskip(NEXT) | instid1(VALU_DEP_1)
	v_mul_f32_e32 v1, s5, v1
	v_bfe_u32 v3, v1, 16, 1
	v_cmp_o_f32_e32 vcc_lo, v1, v1
	s_delay_alu instid0(VALU_DEP_2) | instskip(NEXT) | instid1(VALU_DEP_1)
	v_add3_u32 v3, v1, v3, 0x7fff
	v_and_b32_e32 v3, 0xffff0000, v3
	s_delay_alu instid0(VALU_DEP_1) | instskip(NEXT) | instid1(VALU_DEP_1)
	v_cndmask_b32_e32 v1, 0x7fc00000, v3, vcc_lo
	v_mul_f32_e32 v1, v1, v2
	s_delay_alu instid0(VALU_DEP_1) | instskip(SKIP_1) | instid1(VALU_DEP_2)
	v_bfe_u32 v2, v1, 16, 1
	v_cmp_o_f32_e32 vcc_lo, v1, v1
	v_add3_u32 v2, v1, v2, 0x7fff
	s_delay_alu instid0(VALU_DEP_1) | instskip(NEXT) | instid1(VALU_DEP_1)
	v_lshrrev_b32_e32 v2, 16, v2
	v_cndmask_b32_e32 v1, 0x7fc0, v2, vcc_lo
	global_store_b16 v4, v1, s[14:15]
	s_wait_xcnt 0x0
	s_or_b32 exec_lo, exec_lo, s16
	s_delay_alu instid0(SALU_CYCLE_1)
	s_mov_b32 s16, exec_lo
	v_cmpx_gt_i32_e64 s35, v0
	s_cbranch_execz .LBB165_5
.LBB165_45:
	s_and_not1_b32 vcc_lo, exec_lo, s29
	s_cbranch_vccnz .LBB165_51
; %bb.46:
	s_and_not1_b32 vcc_lo, exec_lo, s36
	s_cbranch_vccnz .LBB165_52
; %bb.47:
	v_dual_mov_b32 v4, 0 :: v_dual_mov_b32 v1, v0
	v_dual_mov_b32 v6, 0 :: v_dual_mov_b32 v5, 0
	s_add_co_i32 s26, s34, 1
	s_mov_b64 s[24:25], 0xffffffffffffffe0
	s_and_b32 s37, s26, 30
	s_add_nc_u64 s[24:25], s[12:13], s[24:25]
	s_mov_b64 s[26:27], s[12:13]
.LBB165_48:                             ; =>This Inner Loop Header: Depth=1
	s_clause 0x1
	s_load_b128 s[40:43], s[26:27], 0x4
	s_load_b64 s[38:39], s[26:27], 0x14
	s_load_b32 s44, s[24:25], 0xe4
	s_add_co_i32 s37, s37, -2
	s_wait_xcnt 0x0
	s_add_nc_u64 s[26:27], s[26:27], 24
	s_cmp_eq_u32 s37, 0
	s_wait_kmcnt 0x0
	v_mul_hi_u32 v2, s41, v1
	s_delay_alu instid0(VALU_DEP_1) | instskip(NEXT) | instid1(VALU_DEP_1)
	v_add_nc_u32_e32 v2, v1, v2
	v_lshrrev_b32_e32 v2, s42, v2
	s_delay_alu instid0(VALU_DEP_1) | instskip(SKIP_2) | instid1(VALU_DEP_2)
	v_mul_hi_u32 v3, s38, v2
	v_mul_lo_u32 v7, v2, s40
	s_load_b96 s[40:42], s[24:25], 0xec
	v_add_nc_u32_e32 v3, v2, v3
	s_delay_alu instid0(VALU_DEP_2) | instskip(NEXT) | instid1(VALU_DEP_2)
	v_sub_nc_u32_e32 v7, v1, v7
	v_lshrrev_b32_e32 v1, s39, v3
	s_load_b64 s[38:39], s[24:25], 0xfc
	s_delay_alu instid0(VALU_DEP_2)
	v_mad_u32 v4, v7, s44, v4
	s_wait_xcnt 0x0
	s_add_nc_u64 s[24:25], s[24:25], 32
	v_mul_lo_u32 v3, v1, s43
	s_wait_kmcnt 0x0
	v_mad_u32 v5, v7, s41, v5
	v_mad_u32 v6, v7, s40, v6
	s_delay_alu instid0(VALU_DEP_3) | instskip(NEXT) | instid1(VALU_DEP_1)
	v_sub_nc_u32_e32 v2, v2, v3
	v_mad_u32 v4, v2, s42, v4
	s_delay_alu instid0(VALU_DEP_4) | instskip(NEXT) | instid1(VALU_DEP_4)
	v_mad_u32 v5, v2, s39, v5
	v_mad_u32 v6, v2, s38, v6
	s_cbranch_scc0 .LBB165_48
; %bb.49:
	s_bitcmp1_b32 s34, 0
	s_cselect_b32 s37, -1, 0
	s_delay_alu instid0(SALU_CYCLE_1)
	s_and_b32 vcc_lo, exec_lo, s37
	s_cbranch_vccnz .LBB165_53
; %bb.50:
	s_load_b96 s[40:42], s[26:27], 0x4
	s_load_b32 s37, s[24:25], 0xe4
	s_wait_xcnt 0x0
	s_load_b64 s[26:27], s[24:25], 0xec
	s_wait_kmcnt 0x0
	v_mul_hi_u32 v2, s41, v1
	s_delay_alu instid0(VALU_DEP_1) | instskip(NEXT) | instid1(VALU_DEP_1)
	v_add_nc_u32_e32 v2, v1, v2
	v_lshrrev_b32_e32 v2, s42, v2
	s_delay_alu instid0(VALU_DEP_1) | instskip(NEXT) | instid1(VALU_DEP_1)
	v_mul_lo_u32 v2, v2, s40
	v_sub_nc_u32_e32 v1, v1, v2
	s_delay_alu instid0(VALU_DEP_1)
	v_mad_u32 v4, v1, s37, v4
	v_mad_u32 v6, v1, s26, v6
	;; [unrolled: 1-line block ×3, first 2 shown]
	s_branch .LBB165_53
.LBB165_51:
                                        ; implicit-def: $vgpr5
                                        ; implicit-def: $vgpr6
                                        ; implicit-def: $vgpr4
	s_branch .LBB165_54
.LBB165_52:
	v_dual_mov_b32 v5, 0 :: v_dual_mov_b32 v6, 0
	v_mov_b32_e32 v4, 0
.LBB165_53:
	s_cbranch_execnz .LBB165_56
.LBB165_54:
	v_mov_b32_e32 v1, 0
	s_and_not1_b32 vcc_lo, exec_lo, s33
	s_delay_alu instid0(VALU_DEP_1) | instskip(NEXT) | instid1(VALU_DEP_1)
	v_mul_u64_e32 v[2:3], s[18:19], v[0:1]
	v_add_nc_u32_e32 v2, v0, v3
	s_delay_alu instid0(VALU_DEP_1) | instskip(NEXT) | instid1(VALU_DEP_1)
	v_lshrrev_b32_e32 v2, s6, v2
	v_mul_lo_u32 v3, v2, s4
	s_delay_alu instid0(VALU_DEP_1) | instskip(NEXT) | instid1(VALU_DEP_1)
	v_sub_nc_u32_e32 v3, v0, v3
	v_mul_lo_u32 v4, v3, s31
	v_mul_lo_u32 v5, v3, s9
	;; [unrolled: 1-line block ×3, first 2 shown]
	s_cbranch_vccnz .LBB165_56
; %bb.55:
	v_mov_b32_e32 v3, v1
	s_delay_alu instid0(VALU_DEP_1) | instskip(NEXT) | instid1(VALU_DEP_1)
	v_mul_u64_e32 v[8:9], s[22:23], v[2:3]
	v_add_nc_u32_e32 v1, v2, v9
	s_delay_alu instid0(VALU_DEP_1) | instskip(NEXT) | instid1(VALU_DEP_1)
	v_lshrrev_b32_e32 v1, s17, v1
	v_mul_lo_u32 v1, v1, s7
	s_delay_alu instid0(VALU_DEP_1) | instskip(NEXT) | instid1(VALU_DEP_1)
	v_sub_nc_u32_e32 v1, v2, v1
	v_mad_u32 v4, v1, s10, v4
	v_mad_u32 v6, v1, s20, v6
	v_mad_u32 v5, v1, s21, v5
.LBB165_56:
	global_load_u16 v1, v6, s[0:1]
	global_load_u16 v2, v5, s[2:3]
	v_add_nc_u32_e32 v0, 0x80, v0
	s_wait_loadcnt 0x0
	v_dual_lshlrev_b32 v1, 16, v1 :: v_dual_lshlrev_b32 v2, 16, v2
	s_delay_alu instid0(VALU_DEP_1) | instskip(NEXT) | instid1(VALU_DEP_1)
	v_mul_f32_e32 v1, s5, v1
	v_bfe_u32 v3, v1, 16, 1
	v_cmp_o_f32_e32 vcc_lo, v1, v1
	s_delay_alu instid0(VALU_DEP_2) | instskip(NEXT) | instid1(VALU_DEP_1)
	v_add3_u32 v3, v1, v3, 0x7fff
	v_and_b32_e32 v3, 0xffff0000, v3
	s_delay_alu instid0(VALU_DEP_1) | instskip(NEXT) | instid1(VALU_DEP_1)
	v_cndmask_b32_e32 v1, 0x7fc00000, v3, vcc_lo
	v_mul_f32_e32 v1, v1, v2
	s_delay_alu instid0(VALU_DEP_1) | instskip(SKIP_1) | instid1(VALU_DEP_2)
	v_bfe_u32 v2, v1, 16, 1
	v_cmp_o_f32_e32 vcc_lo, v1, v1
	v_add3_u32 v2, v1, v2, 0x7fff
	s_delay_alu instid0(VALU_DEP_1) | instskip(NEXT) | instid1(VALU_DEP_1)
	v_lshrrev_b32_e32 v2, 16, v2
	v_cndmask_b32_e32 v1, 0x7fc0, v2, vcc_lo
	global_store_b16 v4, v1, s[14:15]
	s_wait_xcnt 0x0
	s_or_b32 exec_lo, exec_lo, s16
	s_delay_alu instid0(SALU_CYCLE_1)
	s_mov_b32 s16, exec_lo
	v_cmpx_gt_i32_e64 s35, v0
	s_cbranch_execz .LBB165_6
.LBB165_57:
	s_and_not1_b32 vcc_lo, exec_lo, s29
	s_cbranch_vccnz .LBB165_63
; %bb.58:
	s_and_not1_b32 vcc_lo, exec_lo, s36
	s_cbranch_vccnz .LBB165_64
; %bb.59:
	v_dual_mov_b32 v4, 0 :: v_dual_mov_b32 v1, v0
	v_dual_mov_b32 v6, 0 :: v_dual_mov_b32 v5, 0
	s_add_co_i32 s26, s34, 1
	s_mov_b64 s[24:25], 0xffffffffffffffe0
	s_and_b32 s37, s26, 30
	s_add_nc_u64 s[24:25], s[12:13], s[24:25]
	s_mov_b64 s[26:27], s[12:13]
.LBB165_60:                             ; =>This Inner Loop Header: Depth=1
	s_clause 0x1
	s_load_b128 s[40:43], s[26:27], 0x4
	s_load_b64 s[38:39], s[26:27], 0x14
	s_load_b32 s44, s[24:25], 0xe4
	s_add_co_i32 s37, s37, -2
	s_wait_xcnt 0x0
	s_add_nc_u64 s[26:27], s[26:27], 24
	s_cmp_eq_u32 s37, 0
	s_wait_kmcnt 0x0
	v_mul_hi_u32 v2, s41, v1
	s_delay_alu instid0(VALU_DEP_1) | instskip(NEXT) | instid1(VALU_DEP_1)
	v_add_nc_u32_e32 v2, v1, v2
	v_lshrrev_b32_e32 v2, s42, v2
	s_delay_alu instid0(VALU_DEP_1) | instskip(SKIP_2) | instid1(VALU_DEP_2)
	v_mul_hi_u32 v3, s38, v2
	v_mul_lo_u32 v7, v2, s40
	s_load_b96 s[40:42], s[24:25], 0xec
	v_add_nc_u32_e32 v3, v2, v3
	s_delay_alu instid0(VALU_DEP_2) | instskip(NEXT) | instid1(VALU_DEP_2)
	v_sub_nc_u32_e32 v7, v1, v7
	v_lshrrev_b32_e32 v1, s39, v3
	s_load_b64 s[38:39], s[24:25], 0xfc
	s_delay_alu instid0(VALU_DEP_2)
	v_mad_u32 v4, v7, s44, v4
	s_wait_xcnt 0x0
	s_add_nc_u64 s[24:25], s[24:25], 32
	v_mul_lo_u32 v3, v1, s43
	s_wait_kmcnt 0x0
	v_mad_u32 v5, v7, s41, v5
	v_mad_u32 v6, v7, s40, v6
	s_delay_alu instid0(VALU_DEP_3) | instskip(NEXT) | instid1(VALU_DEP_1)
	v_sub_nc_u32_e32 v2, v2, v3
	v_mad_u32 v4, v2, s42, v4
	s_delay_alu instid0(VALU_DEP_4) | instskip(NEXT) | instid1(VALU_DEP_4)
	v_mad_u32 v5, v2, s39, v5
	v_mad_u32 v6, v2, s38, v6
	s_cbranch_scc0 .LBB165_60
; %bb.61:
	s_bitcmp1_b32 s34, 0
	s_cselect_b32 s37, -1, 0
	s_delay_alu instid0(SALU_CYCLE_1)
	s_and_b32 vcc_lo, exec_lo, s37
	s_cbranch_vccnz .LBB165_65
; %bb.62:
	s_load_b96 s[40:42], s[26:27], 0x4
	s_load_b32 s37, s[24:25], 0xe4
	s_wait_xcnt 0x0
	s_load_b64 s[26:27], s[24:25], 0xec
	s_wait_kmcnt 0x0
	v_mul_hi_u32 v2, s41, v1
	s_delay_alu instid0(VALU_DEP_1) | instskip(NEXT) | instid1(VALU_DEP_1)
	v_add_nc_u32_e32 v2, v1, v2
	v_lshrrev_b32_e32 v2, s42, v2
	s_delay_alu instid0(VALU_DEP_1) | instskip(NEXT) | instid1(VALU_DEP_1)
	v_mul_lo_u32 v2, v2, s40
	v_sub_nc_u32_e32 v1, v1, v2
	s_delay_alu instid0(VALU_DEP_1)
	v_mad_u32 v4, v1, s37, v4
	v_mad_u32 v6, v1, s26, v6
	;; [unrolled: 1-line block ×3, first 2 shown]
	s_branch .LBB165_65
.LBB165_63:
                                        ; implicit-def: $vgpr5
                                        ; implicit-def: $vgpr6
                                        ; implicit-def: $vgpr4
	s_branch .LBB165_66
.LBB165_64:
	v_dual_mov_b32 v5, 0 :: v_dual_mov_b32 v6, 0
	v_mov_b32_e32 v4, 0
.LBB165_65:
	s_cbranch_execnz .LBB165_68
.LBB165_66:
	v_mov_b32_e32 v1, 0
	s_and_not1_b32 vcc_lo, exec_lo, s33
	s_delay_alu instid0(VALU_DEP_1) | instskip(NEXT) | instid1(VALU_DEP_1)
	v_mul_u64_e32 v[2:3], s[18:19], v[0:1]
	v_add_nc_u32_e32 v2, v0, v3
	s_delay_alu instid0(VALU_DEP_1) | instskip(NEXT) | instid1(VALU_DEP_1)
	v_lshrrev_b32_e32 v2, s6, v2
	v_mul_lo_u32 v3, v2, s4
	s_delay_alu instid0(VALU_DEP_1) | instskip(NEXT) | instid1(VALU_DEP_1)
	v_sub_nc_u32_e32 v3, v0, v3
	v_mul_lo_u32 v4, v3, s31
	v_mul_lo_u32 v5, v3, s9
	;; [unrolled: 1-line block ×3, first 2 shown]
	s_cbranch_vccnz .LBB165_68
; %bb.67:
	v_mov_b32_e32 v3, v1
	s_delay_alu instid0(VALU_DEP_1) | instskip(NEXT) | instid1(VALU_DEP_1)
	v_mul_u64_e32 v[8:9], s[22:23], v[2:3]
	v_add_nc_u32_e32 v1, v2, v9
	s_delay_alu instid0(VALU_DEP_1) | instskip(NEXT) | instid1(VALU_DEP_1)
	v_lshrrev_b32_e32 v1, s17, v1
	v_mul_lo_u32 v1, v1, s7
	s_delay_alu instid0(VALU_DEP_1) | instskip(NEXT) | instid1(VALU_DEP_1)
	v_sub_nc_u32_e32 v1, v2, v1
	v_mad_u32 v4, v1, s10, v4
	v_mad_u32 v6, v1, s20, v6
	;; [unrolled: 1-line block ×3, first 2 shown]
.LBB165_68:
	global_load_u16 v1, v6, s[0:1]
	global_load_u16 v2, v5, s[2:3]
	v_add_nc_u32_e32 v0, 0x80, v0
	s_wait_loadcnt 0x0
	v_dual_lshlrev_b32 v1, 16, v1 :: v_dual_lshlrev_b32 v2, 16, v2
	s_delay_alu instid0(VALU_DEP_1) | instskip(NEXT) | instid1(VALU_DEP_1)
	v_mul_f32_e32 v1, s5, v1
	v_bfe_u32 v3, v1, 16, 1
	v_cmp_o_f32_e32 vcc_lo, v1, v1
	s_delay_alu instid0(VALU_DEP_2) | instskip(NEXT) | instid1(VALU_DEP_1)
	v_add3_u32 v3, v1, v3, 0x7fff
	v_and_b32_e32 v3, 0xffff0000, v3
	s_delay_alu instid0(VALU_DEP_1) | instskip(NEXT) | instid1(VALU_DEP_1)
	v_cndmask_b32_e32 v1, 0x7fc00000, v3, vcc_lo
	v_mul_f32_e32 v1, v1, v2
	s_delay_alu instid0(VALU_DEP_1) | instskip(SKIP_1) | instid1(VALU_DEP_2)
	v_bfe_u32 v2, v1, 16, 1
	v_cmp_o_f32_e32 vcc_lo, v1, v1
	v_add3_u32 v2, v1, v2, 0x7fff
	s_delay_alu instid0(VALU_DEP_1) | instskip(NEXT) | instid1(VALU_DEP_1)
	v_lshrrev_b32_e32 v2, 16, v2
	v_cndmask_b32_e32 v1, 0x7fc0, v2, vcc_lo
	global_store_b16 v4, v1, s[14:15]
	s_wait_xcnt 0x0
	s_or_b32 exec_lo, exec_lo, s16
	s_delay_alu instid0(SALU_CYCLE_1)
	s_mov_b32 s16, exec_lo
	v_cmpx_gt_i32_e64 s35, v0
	s_cbranch_execz .LBB165_7
.LBB165_69:
	s_and_not1_b32 vcc_lo, exec_lo, s29
	s_cbranch_vccnz .LBB165_75
; %bb.70:
	s_and_not1_b32 vcc_lo, exec_lo, s36
	s_cbranch_vccnz .LBB165_76
; %bb.71:
	v_dual_mov_b32 v4, 0 :: v_dual_mov_b32 v1, v0
	v_dual_mov_b32 v6, 0 :: v_dual_mov_b32 v5, 0
	s_add_co_i32 s26, s34, 1
	s_mov_b64 s[24:25], 0xffffffffffffffe0
	s_and_b32 s37, s26, 30
	s_add_nc_u64 s[24:25], s[12:13], s[24:25]
	s_mov_b64 s[26:27], s[12:13]
.LBB165_72:                             ; =>This Inner Loop Header: Depth=1
	s_clause 0x1
	s_load_b128 s[40:43], s[26:27], 0x4
	s_load_b64 s[38:39], s[26:27], 0x14
	s_load_b32 s44, s[24:25], 0xe4
	s_add_co_i32 s37, s37, -2
	s_wait_xcnt 0x0
	s_add_nc_u64 s[26:27], s[26:27], 24
	s_cmp_eq_u32 s37, 0
	s_wait_kmcnt 0x0
	v_mul_hi_u32 v2, s41, v1
	s_delay_alu instid0(VALU_DEP_1) | instskip(NEXT) | instid1(VALU_DEP_1)
	v_add_nc_u32_e32 v2, v1, v2
	v_lshrrev_b32_e32 v2, s42, v2
	s_delay_alu instid0(VALU_DEP_1) | instskip(SKIP_2) | instid1(VALU_DEP_2)
	v_mul_hi_u32 v3, s38, v2
	v_mul_lo_u32 v7, v2, s40
	s_load_b96 s[40:42], s[24:25], 0xec
	v_add_nc_u32_e32 v3, v2, v3
	s_delay_alu instid0(VALU_DEP_2) | instskip(NEXT) | instid1(VALU_DEP_2)
	v_sub_nc_u32_e32 v7, v1, v7
	v_lshrrev_b32_e32 v1, s39, v3
	s_load_b64 s[38:39], s[24:25], 0xfc
	s_delay_alu instid0(VALU_DEP_2)
	v_mad_u32 v4, v7, s44, v4
	s_wait_xcnt 0x0
	s_add_nc_u64 s[24:25], s[24:25], 32
	v_mul_lo_u32 v3, v1, s43
	s_wait_kmcnt 0x0
	v_mad_u32 v5, v7, s41, v5
	v_mad_u32 v6, v7, s40, v6
	s_delay_alu instid0(VALU_DEP_3) | instskip(NEXT) | instid1(VALU_DEP_1)
	v_sub_nc_u32_e32 v2, v2, v3
	v_mad_u32 v4, v2, s42, v4
	s_delay_alu instid0(VALU_DEP_4) | instskip(NEXT) | instid1(VALU_DEP_4)
	v_mad_u32 v5, v2, s39, v5
	v_mad_u32 v6, v2, s38, v6
	s_cbranch_scc0 .LBB165_72
; %bb.73:
	s_bitcmp1_b32 s34, 0
	s_cselect_b32 s37, -1, 0
	s_delay_alu instid0(SALU_CYCLE_1)
	s_and_b32 vcc_lo, exec_lo, s37
	s_cbranch_vccnz .LBB165_77
; %bb.74:
	s_load_b96 s[40:42], s[26:27], 0x4
	s_load_b32 s37, s[24:25], 0xe4
	s_wait_xcnt 0x0
	s_load_b64 s[26:27], s[24:25], 0xec
	s_wait_kmcnt 0x0
	v_mul_hi_u32 v2, s41, v1
	s_delay_alu instid0(VALU_DEP_1) | instskip(NEXT) | instid1(VALU_DEP_1)
	v_add_nc_u32_e32 v2, v1, v2
	v_lshrrev_b32_e32 v2, s42, v2
	s_delay_alu instid0(VALU_DEP_1) | instskip(NEXT) | instid1(VALU_DEP_1)
	v_mul_lo_u32 v2, v2, s40
	v_sub_nc_u32_e32 v1, v1, v2
	s_delay_alu instid0(VALU_DEP_1)
	v_mad_u32 v4, v1, s37, v4
	v_mad_u32 v6, v1, s26, v6
	;; [unrolled: 1-line block ×3, first 2 shown]
	s_branch .LBB165_77
.LBB165_75:
                                        ; implicit-def: $vgpr5
                                        ; implicit-def: $vgpr6
                                        ; implicit-def: $vgpr4
	s_branch .LBB165_78
.LBB165_76:
	v_dual_mov_b32 v5, 0 :: v_dual_mov_b32 v6, 0
	v_mov_b32_e32 v4, 0
.LBB165_77:
	s_cbranch_execnz .LBB165_80
.LBB165_78:
	v_mov_b32_e32 v1, 0
	s_and_not1_b32 vcc_lo, exec_lo, s33
	s_delay_alu instid0(VALU_DEP_1) | instskip(NEXT) | instid1(VALU_DEP_1)
	v_mul_u64_e32 v[2:3], s[18:19], v[0:1]
	v_add_nc_u32_e32 v2, v0, v3
	s_delay_alu instid0(VALU_DEP_1) | instskip(NEXT) | instid1(VALU_DEP_1)
	v_lshrrev_b32_e32 v2, s6, v2
	v_mul_lo_u32 v3, v2, s4
	s_delay_alu instid0(VALU_DEP_1) | instskip(NEXT) | instid1(VALU_DEP_1)
	v_sub_nc_u32_e32 v3, v0, v3
	v_mul_lo_u32 v4, v3, s31
	v_mul_lo_u32 v5, v3, s9
	;; [unrolled: 1-line block ×3, first 2 shown]
	s_cbranch_vccnz .LBB165_80
; %bb.79:
	v_mov_b32_e32 v3, v1
	s_delay_alu instid0(VALU_DEP_1) | instskip(NEXT) | instid1(VALU_DEP_1)
	v_mul_u64_e32 v[8:9], s[22:23], v[2:3]
	v_add_nc_u32_e32 v1, v2, v9
	s_delay_alu instid0(VALU_DEP_1) | instskip(NEXT) | instid1(VALU_DEP_1)
	v_lshrrev_b32_e32 v1, s17, v1
	v_mul_lo_u32 v1, v1, s7
	s_delay_alu instid0(VALU_DEP_1) | instskip(NEXT) | instid1(VALU_DEP_1)
	v_sub_nc_u32_e32 v1, v2, v1
	v_mad_u32 v4, v1, s10, v4
	v_mad_u32 v6, v1, s20, v6
	;; [unrolled: 1-line block ×3, first 2 shown]
.LBB165_80:
	global_load_u16 v1, v6, s[0:1]
	global_load_u16 v2, v5, s[2:3]
	v_add_nc_u32_e32 v0, 0x80, v0
	s_wait_loadcnt 0x0
	v_dual_lshlrev_b32 v1, 16, v1 :: v_dual_lshlrev_b32 v2, 16, v2
	s_delay_alu instid0(VALU_DEP_1) | instskip(NEXT) | instid1(VALU_DEP_1)
	v_mul_f32_e32 v1, s5, v1
	v_bfe_u32 v3, v1, 16, 1
	v_cmp_o_f32_e32 vcc_lo, v1, v1
	s_delay_alu instid0(VALU_DEP_2) | instskip(NEXT) | instid1(VALU_DEP_1)
	v_add3_u32 v3, v1, v3, 0x7fff
	v_and_b32_e32 v3, 0xffff0000, v3
	s_delay_alu instid0(VALU_DEP_1) | instskip(NEXT) | instid1(VALU_DEP_1)
	v_cndmask_b32_e32 v1, 0x7fc00000, v3, vcc_lo
	v_mul_f32_e32 v1, v1, v2
	s_delay_alu instid0(VALU_DEP_1) | instskip(SKIP_1) | instid1(VALU_DEP_2)
	v_bfe_u32 v2, v1, 16, 1
	v_cmp_o_f32_e32 vcc_lo, v1, v1
	v_add3_u32 v2, v1, v2, 0x7fff
	s_delay_alu instid0(VALU_DEP_1) | instskip(NEXT) | instid1(VALU_DEP_1)
	v_lshrrev_b32_e32 v2, 16, v2
	v_cndmask_b32_e32 v1, 0x7fc0, v2, vcc_lo
	global_store_b16 v4, v1, s[14:15]
	s_wait_xcnt 0x0
	s_or_b32 exec_lo, exec_lo, s16
	s_delay_alu instid0(SALU_CYCLE_1)
	s_mov_b32 s16, exec_lo
	v_cmpx_gt_i32_e64 s35, v0
	s_cbranch_execz .LBB165_8
.LBB165_81:
	s_and_not1_b32 vcc_lo, exec_lo, s29
	s_cbranch_vccnz .LBB165_87
; %bb.82:
	s_and_not1_b32 vcc_lo, exec_lo, s36
	s_cbranch_vccnz .LBB165_88
; %bb.83:
	v_dual_mov_b32 v4, 0 :: v_dual_mov_b32 v1, v0
	v_dual_mov_b32 v6, 0 :: v_dual_mov_b32 v5, 0
	s_add_co_i32 s26, s34, 1
	s_mov_b64 s[24:25], 0xffffffffffffffe0
	s_and_b32 s37, s26, 30
	s_add_nc_u64 s[24:25], s[12:13], s[24:25]
	s_mov_b64 s[26:27], s[12:13]
.LBB165_84:                             ; =>This Inner Loop Header: Depth=1
	s_clause 0x1
	s_load_b128 s[40:43], s[26:27], 0x4
	s_load_b64 s[38:39], s[26:27], 0x14
	s_load_b32 s44, s[24:25], 0xe4
	s_add_co_i32 s37, s37, -2
	s_wait_xcnt 0x0
	s_add_nc_u64 s[26:27], s[26:27], 24
	s_cmp_eq_u32 s37, 0
	s_wait_kmcnt 0x0
	v_mul_hi_u32 v2, s41, v1
	s_delay_alu instid0(VALU_DEP_1) | instskip(NEXT) | instid1(VALU_DEP_1)
	v_add_nc_u32_e32 v2, v1, v2
	v_lshrrev_b32_e32 v2, s42, v2
	s_delay_alu instid0(VALU_DEP_1) | instskip(SKIP_2) | instid1(VALU_DEP_2)
	v_mul_hi_u32 v3, s38, v2
	v_mul_lo_u32 v7, v2, s40
	s_load_b96 s[40:42], s[24:25], 0xec
	v_add_nc_u32_e32 v3, v2, v3
	s_delay_alu instid0(VALU_DEP_2) | instskip(NEXT) | instid1(VALU_DEP_2)
	v_sub_nc_u32_e32 v7, v1, v7
	v_lshrrev_b32_e32 v1, s39, v3
	s_load_b64 s[38:39], s[24:25], 0xfc
	s_delay_alu instid0(VALU_DEP_2)
	v_mad_u32 v4, v7, s44, v4
	s_wait_xcnt 0x0
	s_add_nc_u64 s[24:25], s[24:25], 32
	v_mul_lo_u32 v3, v1, s43
	s_wait_kmcnt 0x0
	v_mad_u32 v5, v7, s41, v5
	v_mad_u32 v6, v7, s40, v6
	s_delay_alu instid0(VALU_DEP_3) | instskip(NEXT) | instid1(VALU_DEP_1)
	v_sub_nc_u32_e32 v2, v2, v3
	v_mad_u32 v4, v2, s42, v4
	s_delay_alu instid0(VALU_DEP_4) | instskip(NEXT) | instid1(VALU_DEP_4)
	v_mad_u32 v5, v2, s39, v5
	v_mad_u32 v6, v2, s38, v6
	s_cbranch_scc0 .LBB165_84
; %bb.85:
	s_bitcmp1_b32 s34, 0
	s_cselect_b32 s37, -1, 0
	s_delay_alu instid0(SALU_CYCLE_1)
	s_and_b32 vcc_lo, exec_lo, s37
	s_cbranch_vccnz .LBB165_89
; %bb.86:
	s_load_b96 s[40:42], s[26:27], 0x4
	s_load_b32 s37, s[24:25], 0xe4
	s_wait_xcnt 0x0
	s_load_b64 s[26:27], s[24:25], 0xec
	s_wait_kmcnt 0x0
	v_mul_hi_u32 v2, s41, v1
	s_delay_alu instid0(VALU_DEP_1) | instskip(NEXT) | instid1(VALU_DEP_1)
	v_add_nc_u32_e32 v2, v1, v2
	v_lshrrev_b32_e32 v2, s42, v2
	s_delay_alu instid0(VALU_DEP_1) | instskip(NEXT) | instid1(VALU_DEP_1)
	v_mul_lo_u32 v2, v2, s40
	v_sub_nc_u32_e32 v1, v1, v2
	s_delay_alu instid0(VALU_DEP_1)
	v_mad_u32 v4, v1, s37, v4
	v_mad_u32 v6, v1, s26, v6
	;; [unrolled: 1-line block ×3, first 2 shown]
	s_branch .LBB165_89
.LBB165_87:
                                        ; implicit-def: $vgpr5
                                        ; implicit-def: $vgpr6
                                        ; implicit-def: $vgpr4
	s_branch .LBB165_90
.LBB165_88:
	v_dual_mov_b32 v5, 0 :: v_dual_mov_b32 v6, 0
	v_mov_b32_e32 v4, 0
.LBB165_89:
	s_cbranch_execnz .LBB165_92
.LBB165_90:
	v_mov_b32_e32 v1, 0
	s_and_not1_b32 vcc_lo, exec_lo, s33
	s_delay_alu instid0(VALU_DEP_1) | instskip(NEXT) | instid1(VALU_DEP_1)
	v_mul_u64_e32 v[2:3], s[18:19], v[0:1]
	v_add_nc_u32_e32 v2, v0, v3
	s_delay_alu instid0(VALU_DEP_1) | instskip(NEXT) | instid1(VALU_DEP_1)
	v_lshrrev_b32_e32 v2, s6, v2
	v_mul_lo_u32 v3, v2, s4
	s_delay_alu instid0(VALU_DEP_1) | instskip(NEXT) | instid1(VALU_DEP_1)
	v_sub_nc_u32_e32 v3, v0, v3
	v_mul_lo_u32 v4, v3, s31
	v_mul_lo_u32 v5, v3, s9
	;; [unrolled: 1-line block ×3, first 2 shown]
	s_cbranch_vccnz .LBB165_92
; %bb.91:
	v_mov_b32_e32 v3, v1
	s_delay_alu instid0(VALU_DEP_1) | instskip(NEXT) | instid1(VALU_DEP_1)
	v_mul_u64_e32 v[8:9], s[22:23], v[2:3]
	v_add_nc_u32_e32 v1, v2, v9
	s_delay_alu instid0(VALU_DEP_1) | instskip(NEXT) | instid1(VALU_DEP_1)
	v_lshrrev_b32_e32 v1, s17, v1
	v_mul_lo_u32 v1, v1, s7
	s_delay_alu instid0(VALU_DEP_1) | instskip(NEXT) | instid1(VALU_DEP_1)
	v_sub_nc_u32_e32 v1, v2, v1
	v_mad_u32 v4, v1, s10, v4
	v_mad_u32 v6, v1, s20, v6
	v_mad_u32 v5, v1, s21, v5
.LBB165_92:
	global_load_u16 v1, v6, s[0:1]
	global_load_u16 v2, v5, s[2:3]
	v_add_nc_u32_e32 v0, 0x80, v0
	s_wait_loadcnt 0x0
	v_dual_lshlrev_b32 v1, 16, v1 :: v_dual_lshlrev_b32 v2, 16, v2
	s_delay_alu instid0(VALU_DEP_1) | instskip(NEXT) | instid1(VALU_DEP_1)
	v_mul_f32_e32 v1, s5, v1
	v_bfe_u32 v3, v1, 16, 1
	v_cmp_o_f32_e32 vcc_lo, v1, v1
	s_delay_alu instid0(VALU_DEP_2) | instskip(NEXT) | instid1(VALU_DEP_1)
	v_add3_u32 v3, v1, v3, 0x7fff
	v_and_b32_e32 v3, 0xffff0000, v3
	s_delay_alu instid0(VALU_DEP_1) | instskip(NEXT) | instid1(VALU_DEP_1)
	v_cndmask_b32_e32 v1, 0x7fc00000, v3, vcc_lo
	v_mul_f32_e32 v1, v1, v2
	s_delay_alu instid0(VALU_DEP_1) | instskip(SKIP_1) | instid1(VALU_DEP_2)
	v_bfe_u32 v2, v1, 16, 1
	v_cmp_o_f32_e32 vcc_lo, v1, v1
	v_add3_u32 v2, v1, v2, 0x7fff
	s_delay_alu instid0(VALU_DEP_1) | instskip(NEXT) | instid1(VALU_DEP_1)
	v_lshrrev_b32_e32 v2, 16, v2
	v_cndmask_b32_e32 v1, 0x7fc0, v2, vcc_lo
	global_store_b16 v4, v1, s[14:15]
	s_wait_xcnt 0x0
	s_or_b32 exec_lo, exec_lo, s16
	s_delay_alu instid0(SALU_CYCLE_1)
	s_mov_b32 s16, exec_lo
	v_cmpx_gt_i32_e64 s35, v0
	s_cbranch_execz .LBB165_105
.LBB165_93:
	s_and_not1_b32 vcc_lo, exec_lo, s29
	s_cbranch_vccnz .LBB165_99
; %bb.94:
	s_and_not1_b32 vcc_lo, exec_lo, s36
	s_cbranch_vccnz .LBB165_100
; %bb.95:
	v_dual_mov_b32 v4, 0 :: v_dual_mov_b32 v1, v0
	v_dual_mov_b32 v6, 0 :: v_dual_mov_b32 v5, 0
	s_add_co_i32 s26, s34, 1
	s_mov_b64 s[24:25], 0xffffffffffffffe0
	s_and_b32 s35, s26, 30
	s_add_nc_u64 s[24:25], s[12:13], s[24:25]
	s_mov_b64 s[26:27], s[12:13]
.LBB165_96:                             ; =>This Inner Loop Header: Depth=1
	s_clause 0x1
	s_load_b128 s[36:39], s[26:27], 0x4
	s_load_b64 s[40:41], s[26:27], 0x14
	s_load_b32 s42, s[24:25], 0xe4
	s_add_co_i32 s35, s35, -2
	s_wait_xcnt 0x0
	s_add_nc_u64 s[26:27], s[26:27], 24
	s_cmp_eq_u32 s35, 0
	s_wait_kmcnt 0x0
	v_mul_hi_u32 v2, s37, v1
	s_delay_alu instid0(VALU_DEP_1) | instskip(NEXT) | instid1(VALU_DEP_1)
	v_add_nc_u32_e32 v2, v1, v2
	v_lshrrev_b32_e32 v2, s38, v2
	s_delay_alu instid0(VALU_DEP_1) | instskip(SKIP_2) | instid1(VALU_DEP_2)
	v_mul_hi_u32 v3, s40, v2
	v_mul_lo_u32 v7, v2, s36
	s_load_b96 s[36:38], s[24:25], 0xec
	v_add_nc_u32_e32 v3, v2, v3
	s_delay_alu instid0(VALU_DEP_2) | instskip(NEXT) | instid1(VALU_DEP_2)
	v_sub_nc_u32_e32 v7, v1, v7
	v_lshrrev_b32_e32 v1, s41, v3
	s_load_b64 s[40:41], s[24:25], 0xfc
	s_delay_alu instid0(VALU_DEP_2)
	v_mad_u32 v4, v7, s42, v4
	s_wait_xcnt 0x0
	s_add_nc_u64 s[24:25], s[24:25], 32
	v_mul_lo_u32 v3, v1, s39
	s_wait_kmcnt 0x0
	v_mad_u32 v5, v7, s37, v5
	v_mad_u32 v6, v7, s36, v6
	s_delay_alu instid0(VALU_DEP_3) | instskip(NEXT) | instid1(VALU_DEP_1)
	v_sub_nc_u32_e32 v2, v2, v3
	v_mad_u32 v4, v2, s38, v4
	s_delay_alu instid0(VALU_DEP_4) | instskip(NEXT) | instid1(VALU_DEP_4)
	v_mad_u32 v5, v2, s41, v5
	v_mad_u32 v6, v2, s40, v6
	s_cbranch_scc0 .LBB165_96
; %bb.97:
	s_bitcmp1_b32 s34, 0
	s_cselect_b32 s34, -1, 0
	s_delay_alu instid0(SALU_CYCLE_1)
	s_and_b32 vcc_lo, exec_lo, s34
	s_cbranch_vccnz .LBB165_101
; %bb.98:
	s_load_b96 s[36:38], s[26:27], 0x4
	s_load_b32 s34, s[24:25], 0xe4
	s_wait_xcnt 0x0
	s_load_b64 s[26:27], s[24:25], 0xec
	s_wait_kmcnt 0x0
	v_mul_hi_u32 v2, s37, v1
	s_delay_alu instid0(VALU_DEP_1) | instskip(NEXT) | instid1(VALU_DEP_1)
	v_add_nc_u32_e32 v2, v1, v2
	v_lshrrev_b32_e32 v2, s38, v2
	s_delay_alu instid0(VALU_DEP_1) | instskip(NEXT) | instid1(VALU_DEP_1)
	v_mul_lo_u32 v2, v2, s36
	v_sub_nc_u32_e32 v1, v1, v2
	s_delay_alu instid0(VALU_DEP_1)
	v_mad_u32 v4, v1, s34, v4
	v_mad_u32 v6, v1, s26, v6
	;; [unrolled: 1-line block ×3, first 2 shown]
	s_branch .LBB165_101
.LBB165_99:
                                        ; implicit-def: $vgpr5
                                        ; implicit-def: $vgpr6
                                        ; implicit-def: $vgpr4
	s_branch .LBB165_102
.LBB165_100:
	v_dual_mov_b32 v5, 0 :: v_dual_mov_b32 v6, 0
	v_mov_b32_e32 v4, 0
.LBB165_101:
	s_cbranch_execnz .LBB165_104
.LBB165_102:
	v_mov_b32_e32 v1, 0
	s_and_not1_b32 vcc_lo, exec_lo, s33
	s_delay_alu instid0(VALU_DEP_1) | instskip(NEXT) | instid1(VALU_DEP_1)
	v_mul_u64_e32 v[2:3], s[18:19], v[0:1]
	v_add_nc_u32_e32 v2, v0, v3
	s_delay_alu instid0(VALU_DEP_1) | instskip(NEXT) | instid1(VALU_DEP_1)
	v_lshrrev_b32_e32 v2, s6, v2
	v_mul_lo_u32 v3, v2, s4
	s_delay_alu instid0(VALU_DEP_1) | instskip(NEXT) | instid1(VALU_DEP_1)
	v_sub_nc_u32_e32 v0, v0, v3
	v_mul_lo_u32 v4, v0, s31
	v_mul_lo_u32 v5, v0, s9
	;; [unrolled: 1-line block ×3, first 2 shown]
	s_cbranch_vccnz .LBB165_104
; %bb.103:
	v_mov_b32_e32 v3, v1
	s_delay_alu instid0(VALU_DEP_1) | instskip(NEXT) | instid1(VALU_DEP_1)
	v_mul_u64_e32 v[0:1], s[22:23], v[2:3]
	v_add_nc_u32_e32 v0, v2, v1
	s_delay_alu instid0(VALU_DEP_1) | instskip(NEXT) | instid1(VALU_DEP_1)
	v_lshrrev_b32_e32 v0, s17, v0
	v_mul_lo_u32 v0, v0, s7
	s_delay_alu instid0(VALU_DEP_1) | instskip(NEXT) | instid1(VALU_DEP_1)
	v_sub_nc_u32_e32 v0, v2, v0
	v_mad_u32 v4, v0, s10, v4
	v_mad_u32 v6, v0, s20, v6
	;; [unrolled: 1-line block ×3, first 2 shown]
.LBB165_104:
	global_load_u16 v0, v6, s[0:1]
	global_load_u16 v1, v5, s[2:3]
	s_wait_loadcnt 0x0
	v_dual_lshlrev_b32 v0, 16, v0 :: v_dual_lshlrev_b32 v1, 16, v1
	s_delay_alu instid0(VALU_DEP_1) | instskip(NEXT) | instid1(VALU_DEP_1)
	v_mul_f32_e32 v0, s5, v0
	v_bfe_u32 v2, v0, 16, 1
	v_cmp_o_f32_e32 vcc_lo, v0, v0
	s_delay_alu instid0(VALU_DEP_2) | instskip(NEXT) | instid1(VALU_DEP_1)
	v_add3_u32 v2, v0, v2, 0x7fff
	v_and_b32_e32 v2, 0xffff0000, v2
	s_delay_alu instid0(VALU_DEP_1) | instskip(NEXT) | instid1(VALU_DEP_1)
	v_cndmask_b32_e32 v0, 0x7fc00000, v2, vcc_lo
	v_mul_f32_e32 v0, v0, v1
	s_delay_alu instid0(VALU_DEP_1) | instskip(SKIP_1) | instid1(VALU_DEP_2)
	v_bfe_u32 v1, v0, 16, 1
	v_cmp_o_f32_e32 vcc_lo, v0, v0
	v_add3_u32 v1, v0, v1, 0x7fff
	s_delay_alu instid0(VALU_DEP_1) | instskip(NEXT) | instid1(VALU_DEP_1)
	v_lshrrev_b32_e32 v1, 16, v1
	v_cndmask_b32_e32 v0, 0x7fc0, v1, vcc_lo
	global_store_b16 v4, v0, s[14:15]
.LBB165_105:
	s_wait_xcnt 0x0
	s_or_b32 exec_lo, exec_lo, s16
                                        ; implicit-def: $vgpr5
                                        ; implicit-def: $vgpr0
.LBB165_106:
	s_and_not1_saveexec_b32 s0, s30
	s_cbranch_execz .LBB165_113
; %bb.107:
	v_cndmask_b32_e64 v7, 0, 1, s29
	s_and_not1_b32 vcc_lo, exec_lo, s29
	s_cbranch_vccnz .LBB165_114
; %bb.108:
	s_cmp_lg_u32 s11, 0
	s_mov_b32 s4, 0
	s_cbranch_scc0 .LBB165_118
; %bb.109:
	s_min_u32 s5, s28, 15
	v_dual_mov_b32 v1, 0 :: v_dual_mov_b32 v2, v0
	v_dual_mov_b32 v4, 0 :: v_dual_mov_b32 v3, 0
	s_add_co_i32 s2, s5, 1
	s_mov_b64 s[0:1], 0xffffffffffffffe0
	s_and_b32 s6, s2, 30
	s_add_nc_u64 s[0:1], s[12:13], s[0:1]
	s_mov_b64 s[2:3], s[12:13]
.LBB165_110:                            ; =>This Inner Loop Header: Depth=1
	s_clause 0x1
	s_load_b128 s[16:19], s[2:3], 0x4
	s_load_b64 s[14:15], s[2:3], 0x14
	s_clause 0x1
	s_load_b32 s7, s[0:1], 0xe4
	s_load_b96 s[8:10], s[0:1], 0xec
	s_add_co_i32 s6, s6, -2
	s_wait_xcnt 0x0
	s_add_nc_u64 s[2:3], s[2:3], 24
	s_cmp_lg_u32 s6, 0
	s_wait_kmcnt 0x0
	v_mul_hi_u32 v6, s17, v2
	s_delay_alu instid0(VALU_DEP_1) | instskip(NEXT) | instid1(VALU_DEP_1)
	v_add_nc_u32_e32 v6, v2, v6
	v_lshrrev_b32_e32 v6, s18, v6
	s_delay_alu instid0(VALU_DEP_1) | instskip(SKIP_1) | instid1(VALU_DEP_2)
	v_mul_hi_u32 v8, s14, v6
	v_mul_lo_u32 v9, v6, s16
	v_add_nc_u32_e32 v8, v6, v8
	s_delay_alu instid0(VALU_DEP_1) | instskip(SKIP_1) | instid1(VALU_DEP_1)
	v_dual_sub_nc_u32 v9, v2, v9 :: v_dual_lshrrev_b32 v2, s15, v8
	s_load_b64 s[14:15], s[0:1], 0xfc
	v_mad_u32 v1, v9, s7, v1
	v_mad_u32 v3, v9, s9, v3
	;; [unrolled: 1-line block ×3, first 2 shown]
	v_mul_lo_u32 v8, v2, s19
	s_wait_xcnt 0x0
	s_add_nc_u64 s[0:1], s[0:1], 32
	s_delay_alu instid0(VALU_DEP_1) | instskip(NEXT) | instid1(VALU_DEP_1)
	v_sub_nc_u32_e32 v6, v6, v8
	v_mad_u32 v1, v6, s10, v1
	s_wait_kmcnt 0x0
	v_mad_u32 v3, v6, s15, v3
	v_mad_u32 v4, v6, s14, v4
	s_cbranch_scc1 .LBB165_110
; %bb.111:
	s_bitcmp1_b32 s5, 0
	s_cselect_b32 s5, -1, 0
	s_delay_alu instid0(SALU_CYCLE_1)
	s_and_b32 vcc_lo, exec_lo, s5
	s_cbranch_vccnz .LBB165_115
; %bb.112:
	s_load_b96 s[8:10], s[2:3], 0x4
	s_load_b32 s5, s[0:1], 0xe4
	s_wait_xcnt 0x0
	s_load_b64 s[2:3], s[0:1], 0xec
	s_wait_kmcnt 0x0
	v_mul_hi_u32 v6, s9, v2
	s_delay_alu instid0(VALU_DEP_1) | instskip(NEXT) | instid1(VALU_DEP_1)
	v_add_nc_u32_e32 v6, v2, v6
	v_lshrrev_b32_e32 v6, s10, v6
	s_delay_alu instid0(VALU_DEP_1) | instskip(NEXT) | instid1(VALU_DEP_1)
	v_mul_lo_u32 v6, v6, s8
	v_sub_nc_u32_e32 v2, v2, v6
	s_delay_alu instid0(VALU_DEP_1)
	v_mad_u32 v1, v2, s5, v1
	v_mad_u32 v4, v2, s2, v4
	;; [unrolled: 1-line block ×3, first 2 shown]
	s_and_not1_b32 vcc_lo, exec_lo, s4
	s_cbranch_vccz .LBB165_116
	s_branch .LBB165_119
.LBB165_113:
	s_endpgm
.LBB165_114:
	s_mov_b32 s4, -1
                                        ; implicit-def: $vgpr3
                                        ; implicit-def: $vgpr4
                                        ; implicit-def: $vgpr1
.LBB165_115:
	s_delay_alu instid0(SALU_CYCLE_1)
	s_and_not1_b32 vcc_lo, exec_lo, s4
	s_cbranch_vccnz .LBB165_119
.LBB165_116:
	s_clause 0x2
	s_load_b96 s[0:2], s[12:13], 0x4
	s_load_b32 s3, s[12:13], 0xc4
	s_load_b64 s[4:5], s[12:13], 0xcc
	s_cmp_lt_u32 s11, 2
	s_wait_kmcnt 0x0
	v_mul_hi_u32 v1, s1, v0
	s_delay_alu instid0(VALU_DEP_1) | instskip(NEXT) | instid1(VALU_DEP_1)
	v_add_nc_u32_e32 v1, v0, v1
	v_lshrrev_b32_e32 v2, s2, v1
	s_delay_alu instid0(VALU_DEP_1) | instskip(NEXT) | instid1(VALU_DEP_1)
	v_mul_lo_u32 v1, v2, s0
	v_sub_nc_u32_e32 v4, v0, v1
	s_delay_alu instid0(VALU_DEP_1)
	v_mul_lo_u32 v1, v4, s3
	v_mul_lo_u32 v3, v4, s5
	;; [unrolled: 1-line block ×3, first 2 shown]
	s_cbranch_scc1 .LBB165_119
; %bb.117:
	s_clause 0x2
	s_load_b96 s[0:2], s[12:13], 0x10
	s_load_b32 s3, s[12:13], 0xd4
	s_load_b64 s[4:5], s[12:13], 0xdc
	s_wait_kmcnt 0x0
	v_mul_hi_u32 v6, s1, v2
	s_delay_alu instid0(VALU_DEP_1) | instskip(NEXT) | instid1(VALU_DEP_1)
	v_add_nc_u32_e32 v6, v2, v6
	v_lshrrev_b32_e32 v6, s2, v6
	s_delay_alu instid0(VALU_DEP_1) | instskip(NEXT) | instid1(VALU_DEP_1)
	v_mul_lo_u32 v6, v6, s0
	v_sub_nc_u32_e32 v2, v2, v6
	s_delay_alu instid0(VALU_DEP_1)
	v_mad_u32 v1, v2, s3, v1
	v_mad_u32 v4, v2, s4, v4
	;; [unrolled: 1-line block ×3, first 2 shown]
	s_branch .LBB165_119
.LBB165_118:
	v_dual_mov_b32 v3, 0 :: v_dual_mov_b32 v4, 0
	v_mov_b32_e32 v1, 0
	s_and_not1_b32 vcc_lo, exec_lo, s4
	s_cbranch_vccz .LBB165_116
.LBB165_119:
	v_cmp_ne_u32_e32 vcc_lo, 1, v7
	v_add_nc_u32_e32 v6, 0x80, v0
	s_cbranch_vccnz .LBB165_125
; %bb.120:
	s_cmp_lg_u32 s11, 0
	s_mov_b32 s4, 0
	s_cbranch_scc0 .LBB165_129
; %bb.121:
	s_min_u32 s5, s28, 15
	v_dual_mov_b32 v2, 0 :: v_dual_mov_b32 v10, v6
	v_dual_mov_b32 v9, 0 :: v_dual_mov_b32 v8, 0
	s_add_co_i32 s2, s5, 1
	s_mov_b64 s[0:1], 0xffffffffffffffe0
	s_and_b32 s6, s2, 30
	s_add_nc_u64 s[0:1], s[12:13], s[0:1]
	s_mov_b64 s[2:3], s[12:13]
.LBB165_122:                            ; =>This Inner Loop Header: Depth=1
	s_clause 0x1
	s_load_b128 s[16:19], s[2:3], 0x4
	s_load_b64 s[14:15], s[2:3], 0x14
	s_clause 0x1
	s_load_b32 s7, s[0:1], 0xe4
	s_load_b96 s[8:10], s[0:1], 0xec
	s_add_co_i32 s6, s6, -2
	s_wait_xcnt 0x0
	s_add_nc_u64 s[2:3], s[2:3], 24
	s_cmp_lg_u32 s6, 0
	s_wait_kmcnt 0x0
	v_mul_hi_u32 v11, s17, v10
	s_delay_alu instid0(VALU_DEP_1) | instskip(NEXT) | instid1(VALU_DEP_1)
	v_add_nc_u32_e32 v11, v10, v11
	v_lshrrev_b32_e32 v11, s18, v11
	s_delay_alu instid0(VALU_DEP_1) | instskip(SKIP_1) | instid1(VALU_DEP_1)
	v_mul_hi_u32 v12, s14, v11
	v_mul_lo_u32 v13, v11, s16
	v_dual_add_nc_u32 v12, v11, v12 :: v_dual_sub_nc_u32 v13, v10, v13
	s_delay_alu instid0(VALU_DEP_1) | instskip(SKIP_1) | instid1(VALU_DEP_2)
	v_lshrrev_b32_e32 v10, s15, v12
	s_load_b64 s[14:15], s[0:1], 0xfc
	v_mad_u32 v2, v13, s7, v2
	v_mad_u32 v8, v13, s9, v8
	;; [unrolled: 1-line block ×3, first 2 shown]
	v_mul_lo_u32 v12, v10, s19
	s_wait_xcnt 0x0
	s_add_nc_u64 s[0:1], s[0:1], 32
	s_delay_alu instid0(VALU_DEP_1) | instskip(NEXT) | instid1(VALU_DEP_1)
	v_sub_nc_u32_e32 v11, v11, v12
	v_mad_u32 v2, v11, s10, v2
	s_wait_kmcnt 0x0
	v_mad_u32 v8, v11, s15, v8
	v_mad_u32 v9, v11, s14, v9
	s_cbranch_scc1 .LBB165_122
; %bb.123:
	s_bitcmp1_b32 s5, 0
	s_cselect_b32 s5, -1, 0
	s_delay_alu instid0(SALU_CYCLE_1)
	s_and_b32 vcc_lo, exec_lo, s5
	s_cbranch_vccnz .LBB165_126
; %bb.124:
	s_load_b96 s[8:10], s[2:3], 0x4
	s_load_b32 s5, s[0:1], 0xe4
	s_wait_xcnt 0x0
	s_load_b64 s[2:3], s[0:1], 0xec
	s_wait_kmcnt 0x0
	v_mul_hi_u32 v11, s9, v10
	s_delay_alu instid0(VALU_DEP_1) | instskip(NEXT) | instid1(VALU_DEP_1)
	v_add_nc_u32_e32 v11, v10, v11
	v_lshrrev_b32_e32 v11, s10, v11
	s_delay_alu instid0(VALU_DEP_1) | instskip(NEXT) | instid1(VALU_DEP_1)
	v_mul_lo_u32 v11, v11, s8
	v_sub_nc_u32_e32 v10, v10, v11
	s_delay_alu instid0(VALU_DEP_1)
	v_mad_u32 v2, v10, s5, v2
	v_mad_u32 v9, v10, s2, v9
	;; [unrolled: 1-line block ×3, first 2 shown]
	s_and_not1_b32 vcc_lo, exec_lo, s4
	s_cbranch_vccz .LBB165_127
	s_branch .LBB165_130
.LBB165_125:
	s_mov_b32 s4, -1
                                        ; implicit-def: $vgpr8
                                        ; implicit-def: $vgpr9
                                        ; implicit-def: $vgpr2
.LBB165_126:
	s_delay_alu instid0(SALU_CYCLE_1)
	s_and_not1_b32 vcc_lo, exec_lo, s4
	s_cbranch_vccnz .LBB165_130
.LBB165_127:
	s_clause 0x2
	s_load_b96 s[0:2], s[12:13], 0x4
	s_load_b32 s3, s[12:13], 0xc4
	s_load_b64 s[4:5], s[12:13], 0xcc
	s_cmp_lt_u32 s11, 2
	s_wait_kmcnt 0x0
	v_mul_hi_u32 v2, s1, v6
	s_delay_alu instid0(VALU_DEP_1) | instskip(NEXT) | instid1(VALU_DEP_1)
	v_add_nc_u32_e32 v2, v6, v2
	v_lshrrev_b32_e32 v10, s2, v2
	s_delay_alu instid0(VALU_DEP_1) | instskip(NEXT) | instid1(VALU_DEP_1)
	v_mul_lo_u32 v2, v10, s0
	v_sub_nc_u32_e32 v6, v6, v2
	s_delay_alu instid0(VALU_DEP_1)
	v_mul_lo_u32 v2, v6, s3
	v_mul_lo_u32 v8, v6, s5
	;; [unrolled: 1-line block ×3, first 2 shown]
	s_cbranch_scc1 .LBB165_130
; %bb.128:
	s_clause 0x2
	s_load_b96 s[0:2], s[12:13], 0x10
	s_load_b32 s3, s[12:13], 0xd4
	s_load_b64 s[4:5], s[12:13], 0xdc
	s_wait_kmcnt 0x0
	v_mul_hi_u32 v6, s1, v10
	s_delay_alu instid0(VALU_DEP_1) | instskip(NEXT) | instid1(VALU_DEP_1)
	v_add_nc_u32_e32 v6, v10, v6
	v_lshrrev_b32_e32 v6, s2, v6
	s_delay_alu instid0(VALU_DEP_1) | instskip(NEXT) | instid1(VALU_DEP_1)
	v_mul_lo_u32 v6, v6, s0
	v_sub_nc_u32_e32 v6, v10, v6
	s_delay_alu instid0(VALU_DEP_1)
	v_mad_u32 v2, v6, s3, v2
	v_mad_u32 v9, v6, s4, v9
	;; [unrolled: 1-line block ×3, first 2 shown]
	s_branch .LBB165_130
.LBB165_129:
	v_dual_mov_b32 v8, 0 :: v_dual_mov_b32 v9, 0
	v_mov_b32_e32 v2, 0
	s_and_not1_b32 vcc_lo, exec_lo, s4
	s_cbranch_vccz .LBB165_127
.LBB165_130:
	v_cmp_ne_u32_e32 vcc_lo, 1, v7
	v_add_nc_u32_e32 v10, 0x100, v0
	s_cbranch_vccnz .LBB165_136
; %bb.131:
	s_cmp_lg_u32 s11, 0
	s_mov_b32 s4, 0
	s_cbranch_scc0 .LBB165_140
; %bb.132:
	s_min_u32 s5, s28, 15
	v_dual_mov_b32 v6, 0 :: v_dual_mov_b32 v13, v10
	v_dual_mov_b32 v11, 0 :: v_dual_mov_b32 v12, 0
	s_add_co_i32 s2, s5, 1
	s_mov_b64 s[0:1], 0xffffffffffffffe0
	s_and_b32 s6, s2, 30
	s_add_nc_u64 s[0:1], s[12:13], s[0:1]
	s_mov_b64 s[2:3], s[12:13]
.LBB165_133:                            ; =>This Inner Loop Header: Depth=1
	s_clause 0x1
	s_load_b128 s[16:19], s[2:3], 0x4
	s_load_b64 s[14:15], s[2:3], 0x14
	s_clause 0x1
	s_load_b32 s7, s[0:1], 0xe4
	s_load_b96 s[8:10], s[0:1], 0xec
	s_add_co_i32 s6, s6, -2
	s_wait_xcnt 0x0
	s_add_nc_u64 s[2:3], s[2:3], 24
	s_cmp_lg_u32 s6, 0
	s_wait_kmcnt 0x0
	v_mul_hi_u32 v14, s17, v13
	s_delay_alu instid0(VALU_DEP_1) | instskip(NEXT) | instid1(VALU_DEP_1)
	v_add_nc_u32_e32 v14, v13, v14
	v_lshrrev_b32_e32 v14, s18, v14
	s_delay_alu instid0(VALU_DEP_1) | instskip(SKIP_1) | instid1(VALU_DEP_1)
	v_mul_hi_u32 v15, s14, v14
	v_mul_lo_u32 v16, v14, s16
	v_dual_add_nc_u32 v15, v14, v15 :: v_dual_sub_nc_u32 v16, v13, v16
	s_delay_alu instid0(VALU_DEP_1) | instskip(SKIP_1) | instid1(VALU_DEP_2)
	v_lshrrev_b32_e32 v13, s15, v15
	s_load_b64 s[14:15], s[0:1], 0xfc
	v_mad_u32 v6, v16, s7, v6
	v_mad_u32 v12, v16, s9, v12
	;; [unrolled: 1-line block ×3, first 2 shown]
	v_mul_lo_u32 v15, v13, s19
	s_wait_xcnt 0x0
	s_add_nc_u64 s[0:1], s[0:1], 32
	s_delay_alu instid0(VALU_DEP_1) | instskip(NEXT) | instid1(VALU_DEP_1)
	v_sub_nc_u32_e32 v14, v14, v15
	v_mad_u32 v6, v14, s10, v6
	s_wait_kmcnt 0x0
	v_mad_u32 v12, v14, s15, v12
	v_mad_u32 v11, v14, s14, v11
	s_cbranch_scc1 .LBB165_133
; %bb.134:
	s_bitcmp1_b32 s5, 0
	s_cselect_b32 s5, -1, 0
	s_delay_alu instid0(SALU_CYCLE_1)
	s_and_b32 vcc_lo, exec_lo, s5
	s_cbranch_vccnz .LBB165_137
; %bb.135:
	s_load_b96 s[8:10], s[2:3], 0x4
	s_load_b32 s5, s[0:1], 0xe4
	s_wait_xcnt 0x0
	s_load_b64 s[2:3], s[0:1], 0xec
	s_wait_kmcnt 0x0
	v_mul_hi_u32 v14, s9, v13
	s_delay_alu instid0(VALU_DEP_1) | instskip(NEXT) | instid1(VALU_DEP_1)
	v_add_nc_u32_e32 v14, v13, v14
	v_lshrrev_b32_e32 v14, s10, v14
	s_delay_alu instid0(VALU_DEP_1) | instskip(NEXT) | instid1(VALU_DEP_1)
	v_mul_lo_u32 v14, v14, s8
	v_sub_nc_u32_e32 v13, v13, v14
	s_delay_alu instid0(VALU_DEP_1)
	v_mad_u32 v6, v13, s5, v6
	v_mad_u32 v11, v13, s2, v11
	;; [unrolled: 1-line block ×3, first 2 shown]
	s_and_not1_b32 vcc_lo, exec_lo, s4
	s_cbranch_vccz .LBB165_138
	s_branch .LBB165_141
.LBB165_136:
	s_mov_b32 s4, -1
                                        ; implicit-def: $vgpr12
                                        ; implicit-def: $vgpr11
                                        ; implicit-def: $vgpr6
.LBB165_137:
	s_delay_alu instid0(SALU_CYCLE_1)
	s_and_not1_b32 vcc_lo, exec_lo, s4
	s_cbranch_vccnz .LBB165_141
.LBB165_138:
	s_clause 0x2
	s_load_b96 s[0:2], s[12:13], 0x4
	s_load_b32 s3, s[12:13], 0xc4
	s_load_b64 s[4:5], s[12:13], 0xcc
	s_cmp_lt_u32 s11, 2
	s_wait_kmcnt 0x0
	v_mul_hi_u32 v6, s1, v10
	s_delay_alu instid0(VALU_DEP_1) | instskip(NEXT) | instid1(VALU_DEP_1)
	v_add_nc_u32_e32 v6, v10, v6
	v_lshrrev_b32_e32 v13, s2, v6
	s_delay_alu instid0(VALU_DEP_1) | instskip(NEXT) | instid1(VALU_DEP_1)
	v_mul_lo_u32 v6, v13, s0
	v_sub_nc_u32_e32 v10, v10, v6
	s_delay_alu instid0(VALU_DEP_1)
	v_mul_lo_u32 v6, v10, s3
	v_mul_lo_u32 v12, v10, s5
	;; [unrolled: 1-line block ×3, first 2 shown]
	s_cbranch_scc1 .LBB165_141
; %bb.139:
	s_clause 0x2
	s_load_b96 s[0:2], s[12:13], 0x10
	s_load_b32 s3, s[12:13], 0xd4
	s_load_b64 s[4:5], s[12:13], 0xdc
	s_wait_kmcnt 0x0
	v_mul_hi_u32 v10, s1, v13
	s_delay_alu instid0(VALU_DEP_1) | instskip(NEXT) | instid1(VALU_DEP_1)
	v_add_nc_u32_e32 v10, v13, v10
	v_lshrrev_b32_e32 v10, s2, v10
	s_delay_alu instid0(VALU_DEP_1) | instskip(NEXT) | instid1(VALU_DEP_1)
	v_mul_lo_u32 v10, v10, s0
	v_sub_nc_u32_e32 v10, v13, v10
	s_delay_alu instid0(VALU_DEP_1)
	v_mad_u32 v6, v10, s3, v6
	v_mad_u32 v11, v10, s4, v11
	;; [unrolled: 1-line block ×3, first 2 shown]
	s_branch .LBB165_141
.LBB165_140:
	v_dual_mov_b32 v12, 0 :: v_dual_mov_b32 v11, 0
	v_mov_b32_e32 v6, 0
	s_and_not1_b32 vcc_lo, exec_lo, s4
	s_cbranch_vccz .LBB165_138
.LBB165_141:
	v_cmp_ne_u32_e32 vcc_lo, 1, v7
	v_add_nc_u32_e32 v13, 0x180, v0
	s_cbranch_vccnz .LBB165_147
; %bb.142:
	s_cmp_lg_u32 s11, 0
	s_mov_b32 s4, 0
	s_cbranch_scc0 .LBB165_151
; %bb.143:
	s_min_u32 s5, s28, 15
	v_dual_mov_b32 v10, 0 :: v_dual_mov_b32 v16, v13
	v_dual_mov_b32 v15, 0 :: v_dual_mov_b32 v14, 0
	s_add_co_i32 s2, s5, 1
	s_mov_b64 s[0:1], 0xffffffffffffffe0
	s_and_b32 s6, s2, 30
	s_add_nc_u64 s[0:1], s[12:13], s[0:1]
	s_mov_b64 s[2:3], s[12:13]
.LBB165_144:                            ; =>This Inner Loop Header: Depth=1
	s_clause 0x1
	s_load_b128 s[16:19], s[2:3], 0x4
	s_load_b64 s[14:15], s[2:3], 0x14
	s_clause 0x1
	s_load_b32 s7, s[0:1], 0xe4
	s_load_b96 s[8:10], s[0:1], 0xec
	s_add_co_i32 s6, s6, -2
	s_wait_xcnt 0x0
	s_add_nc_u64 s[2:3], s[2:3], 24
	s_cmp_lg_u32 s6, 0
	s_wait_kmcnt 0x0
	v_mul_hi_u32 v17, s17, v16
	s_delay_alu instid0(VALU_DEP_1) | instskip(NEXT) | instid1(VALU_DEP_1)
	v_add_nc_u32_e32 v17, v16, v17
	v_lshrrev_b32_e32 v17, s18, v17
	s_delay_alu instid0(VALU_DEP_1) | instskip(SKIP_1) | instid1(VALU_DEP_1)
	v_mul_hi_u32 v18, s14, v17
	v_mul_lo_u32 v19, v17, s16
	v_dual_add_nc_u32 v18, v17, v18 :: v_dual_sub_nc_u32 v19, v16, v19
	s_delay_alu instid0(VALU_DEP_1) | instskip(SKIP_1) | instid1(VALU_DEP_2)
	v_lshrrev_b32_e32 v16, s15, v18
	s_load_b64 s[14:15], s[0:1], 0xfc
	v_mad_u32 v10, v19, s7, v10
	v_mad_u32 v14, v19, s9, v14
	;; [unrolled: 1-line block ×3, first 2 shown]
	v_mul_lo_u32 v18, v16, s19
	s_wait_xcnt 0x0
	s_add_nc_u64 s[0:1], s[0:1], 32
	s_delay_alu instid0(VALU_DEP_1) | instskip(NEXT) | instid1(VALU_DEP_1)
	v_sub_nc_u32_e32 v17, v17, v18
	v_mad_u32 v10, v17, s10, v10
	s_wait_kmcnt 0x0
	v_mad_u32 v14, v17, s15, v14
	v_mad_u32 v15, v17, s14, v15
	s_cbranch_scc1 .LBB165_144
; %bb.145:
	s_bitcmp1_b32 s5, 0
	s_cselect_b32 s5, -1, 0
	s_delay_alu instid0(SALU_CYCLE_1)
	s_and_b32 vcc_lo, exec_lo, s5
	s_cbranch_vccnz .LBB165_148
; %bb.146:
	s_load_b96 s[8:10], s[2:3], 0x4
	s_load_b32 s5, s[0:1], 0xe4
	s_wait_xcnt 0x0
	s_load_b64 s[2:3], s[0:1], 0xec
	s_wait_kmcnt 0x0
	v_mul_hi_u32 v17, s9, v16
	s_delay_alu instid0(VALU_DEP_1) | instskip(NEXT) | instid1(VALU_DEP_1)
	v_add_nc_u32_e32 v17, v16, v17
	v_lshrrev_b32_e32 v17, s10, v17
	s_delay_alu instid0(VALU_DEP_1) | instskip(NEXT) | instid1(VALU_DEP_1)
	v_mul_lo_u32 v17, v17, s8
	v_sub_nc_u32_e32 v16, v16, v17
	s_delay_alu instid0(VALU_DEP_1)
	v_mad_u32 v10, v16, s5, v10
	v_mad_u32 v15, v16, s2, v15
	;; [unrolled: 1-line block ×3, first 2 shown]
	s_and_not1_b32 vcc_lo, exec_lo, s4
	s_cbranch_vccz .LBB165_149
	s_branch .LBB165_152
.LBB165_147:
	s_mov_b32 s4, -1
                                        ; implicit-def: $vgpr14
                                        ; implicit-def: $vgpr15
                                        ; implicit-def: $vgpr10
.LBB165_148:
	s_delay_alu instid0(SALU_CYCLE_1)
	s_and_not1_b32 vcc_lo, exec_lo, s4
	s_cbranch_vccnz .LBB165_152
.LBB165_149:
	s_clause 0x2
	s_load_b96 s[0:2], s[12:13], 0x4
	s_load_b32 s3, s[12:13], 0xc4
	s_load_b64 s[4:5], s[12:13], 0xcc
	s_cmp_lt_u32 s11, 2
	s_wait_kmcnt 0x0
	v_mul_hi_u32 v10, s1, v13
	s_delay_alu instid0(VALU_DEP_1) | instskip(NEXT) | instid1(VALU_DEP_1)
	v_add_nc_u32_e32 v10, v13, v10
	v_lshrrev_b32_e32 v16, s2, v10
	s_delay_alu instid0(VALU_DEP_1) | instskip(NEXT) | instid1(VALU_DEP_1)
	v_mul_lo_u32 v10, v16, s0
	v_sub_nc_u32_e32 v13, v13, v10
	s_delay_alu instid0(VALU_DEP_1)
	v_mul_lo_u32 v10, v13, s3
	v_mul_lo_u32 v14, v13, s5
	;; [unrolled: 1-line block ×3, first 2 shown]
	s_cbranch_scc1 .LBB165_152
; %bb.150:
	s_clause 0x2
	s_load_b96 s[0:2], s[12:13], 0x10
	s_load_b32 s3, s[12:13], 0xd4
	s_load_b64 s[4:5], s[12:13], 0xdc
	s_wait_kmcnt 0x0
	v_mul_hi_u32 v13, s1, v16
	s_delay_alu instid0(VALU_DEP_1) | instskip(NEXT) | instid1(VALU_DEP_1)
	v_add_nc_u32_e32 v13, v16, v13
	v_lshrrev_b32_e32 v13, s2, v13
	s_delay_alu instid0(VALU_DEP_1) | instskip(NEXT) | instid1(VALU_DEP_1)
	v_mul_lo_u32 v13, v13, s0
	v_sub_nc_u32_e32 v13, v16, v13
	s_delay_alu instid0(VALU_DEP_1)
	v_mad_u32 v10, v13, s3, v10
	v_mad_u32 v15, v13, s4, v15
	;; [unrolled: 1-line block ×3, first 2 shown]
	s_branch .LBB165_152
.LBB165_151:
	v_dual_mov_b32 v14, 0 :: v_dual_mov_b32 v15, 0
	v_mov_b32_e32 v10, 0
	s_and_not1_b32 vcc_lo, exec_lo, s4
	s_cbranch_vccz .LBB165_149
.LBB165_152:
	v_cmp_ne_u32_e32 vcc_lo, 1, v7
	v_add_nc_u32_e32 v16, 0x200, v0
	s_cbranch_vccnz .LBB165_158
; %bb.153:
	s_cmp_lg_u32 s11, 0
	s_mov_b32 s4, 0
	s_cbranch_scc0 .LBB165_162
; %bb.154:
	s_min_u32 s5, s28, 15
	v_dual_mov_b32 v13, 0 :: v_dual_mov_b32 v19, v16
	v_dual_mov_b32 v18, 0 :: v_dual_mov_b32 v17, 0
	s_add_co_i32 s2, s5, 1
	s_mov_b64 s[0:1], 0xffffffffffffffe0
	s_and_b32 s6, s2, 30
	s_add_nc_u64 s[0:1], s[12:13], s[0:1]
	s_mov_b64 s[2:3], s[12:13]
.LBB165_155:                            ; =>This Inner Loop Header: Depth=1
	s_clause 0x1
	s_load_b128 s[16:19], s[2:3], 0x4
	s_load_b64 s[14:15], s[2:3], 0x14
	s_clause 0x1
	s_load_b32 s7, s[0:1], 0xe4
	s_load_b96 s[8:10], s[0:1], 0xec
	s_add_co_i32 s6, s6, -2
	s_wait_xcnt 0x0
	s_add_nc_u64 s[2:3], s[2:3], 24
	s_cmp_lg_u32 s6, 0
	s_wait_kmcnt 0x0
	v_mul_hi_u32 v20, s17, v19
	s_delay_alu instid0(VALU_DEP_1) | instskip(NEXT) | instid1(VALU_DEP_1)
	v_add_nc_u32_e32 v20, v19, v20
	v_lshrrev_b32_e32 v20, s18, v20
	s_delay_alu instid0(VALU_DEP_1) | instskip(SKIP_1) | instid1(VALU_DEP_1)
	v_mul_hi_u32 v21, s14, v20
	v_mul_lo_u32 v22, v20, s16
	v_dual_add_nc_u32 v21, v20, v21 :: v_dual_sub_nc_u32 v22, v19, v22
	s_delay_alu instid0(VALU_DEP_1) | instskip(SKIP_1) | instid1(VALU_DEP_2)
	v_lshrrev_b32_e32 v19, s15, v21
	s_load_b64 s[14:15], s[0:1], 0xfc
	v_mad_u32 v13, v22, s7, v13
	v_mad_u32 v17, v22, s9, v17
	;; [unrolled: 1-line block ×3, first 2 shown]
	v_mul_lo_u32 v21, v19, s19
	s_wait_xcnt 0x0
	s_add_nc_u64 s[0:1], s[0:1], 32
	s_delay_alu instid0(VALU_DEP_1) | instskip(NEXT) | instid1(VALU_DEP_1)
	v_sub_nc_u32_e32 v20, v20, v21
	v_mad_u32 v13, v20, s10, v13
	s_wait_kmcnt 0x0
	v_mad_u32 v17, v20, s15, v17
	v_mad_u32 v18, v20, s14, v18
	s_cbranch_scc1 .LBB165_155
; %bb.156:
	s_bitcmp1_b32 s5, 0
	s_cselect_b32 s5, -1, 0
	s_delay_alu instid0(SALU_CYCLE_1)
	s_and_b32 vcc_lo, exec_lo, s5
	s_cbranch_vccnz .LBB165_159
; %bb.157:
	s_load_b96 s[8:10], s[2:3], 0x4
	s_load_b32 s5, s[0:1], 0xe4
	s_wait_xcnt 0x0
	s_load_b64 s[2:3], s[0:1], 0xec
	s_wait_kmcnt 0x0
	v_mul_hi_u32 v20, s9, v19
	s_delay_alu instid0(VALU_DEP_1) | instskip(NEXT) | instid1(VALU_DEP_1)
	v_add_nc_u32_e32 v20, v19, v20
	v_lshrrev_b32_e32 v20, s10, v20
	s_delay_alu instid0(VALU_DEP_1) | instskip(NEXT) | instid1(VALU_DEP_1)
	v_mul_lo_u32 v20, v20, s8
	v_sub_nc_u32_e32 v19, v19, v20
	s_delay_alu instid0(VALU_DEP_1)
	v_mad_u32 v13, v19, s5, v13
	v_mad_u32 v18, v19, s2, v18
	;; [unrolled: 1-line block ×3, first 2 shown]
	s_and_not1_b32 vcc_lo, exec_lo, s4
	s_cbranch_vccz .LBB165_160
	s_branch .LBB165_163
.LBB165_158:
	s_mov_b32 s4, -1
                                        ; implicit-def: $vgpr17
                                        ; implicit-def: $vgpr18
                                        ; implicit-def: $vgpr13
.LBB165_159:
	s_delay_alu instid0(SALU_CYCLE_1)
	s_and_not1_b32 vcc_lo, exec_lo, s4
	s_cbranch_vccnz .LBB165_163
.LBB165_160:
	s_clause 0x2
	s_load_b96 s[0:2], s[12:13], 0x4
	s_load_b32 s3, s[12:13], 0xc4
	s_load_b64 s[4:5], s[12:13], 0xcc
	s_cmp_lt_u32 s11, 2
	s_wait_kmcnt 0x0
	v_mul_hi_u32 v13, s1, v16
	s_delay_alu instid0(VALU_DEP_1) | instskip(NEXT) | instid1(VALU_DEP_1)
	v_add_nc_u32_e32 v13, v16, v13
	v_lshrrev_b32_e32 v19, s2, v13
	s_delay_alu instid0(VALU_DEP_1) | instskip(NEXT) | instid1(VALU_DEP_1)
	v_mul_lo_u32 v13, v19, s0
	v_sub_nc_u32_e32 v16, v16, v13
	s_delay_alu instid0(VALU_DEP_1)
	v_mul_lo_u32 v13, v16, s3
	v_mul_lo_u32 v17, v16, s5
	;; [unrolled: 1-line block ×3, first 2 shown]
	s_cbranch_scc1 .LBB165_163
; %bb.161:
	s_clause 0x2
	s_load_b96 s[0:2], s[12:13], 0x10
	s_load_b32 s3, s[12:13], 0xd4
	s_load_b64 s[4:5], s[12:13], 0xdc
	s_wait_kmcnt 0x0
	v_mul_hi_u32 v16, s1, v19
	s_delay_alu instid0(VALU_DEP_1) | instskip(NEXT) | instid1(VALU_DEP_1)
	v_add_nc_u32_e32 v16, v19, v16
	v_lshrrev_b32_e32 v16, s2, v16
	s_delay_alu instid0(VALU_DEP_1) | instskip(NEXT) | instid1(VALU_DEP_1)
	v_mul_lo_u32 v16, v16, s0
	v_sub_nc_u32_e32 v16, v19, v16
	s_delay_alu instid0(VALU_DEP_1)
	v_mad_u32 v13, v16, s3, v13
	v_mad_u32 v18, v16, s4, v18
	;; [unrolled: 1-line block ×3, first 2 shown]
	s_branch .LBB165_163
.LBB165_162:
	v_dual_mov_b32 v17, 0 :: v_dual_mov_b32 v18, 0
	v_mov_b32_e32 v13, 0
	s_and_not1_b32 vcc_lo, exec_lo, s4
	s_cbranch_vccz .LBB165_160
.LBB165_163:
	v_cmp_ne_u32_e32 vcc_lo, 1, v7
	v_add_nc_u32_e32 v21, 0x280, v0
	s_cbranch_vccnz .LBB165_169
; %bb.164:
	s_cmp_lg_u32 s11, 0
	s_mov_b32 s4, 0
	s_cbranch_scc0 .LBB165_173
; %bb.165:
	s_min_u32 s5, s28, 15
	v_dual_mov_b32 v16, 0 :: v_dual_mov_b32 v22, v21
	v_dual_mov_b32 v19, 0 :: v_dual_mov_b32 v20, 0
	s_add_co_i32 s2, s5, 1
	s_mov_b64 s[0:1], 0xffffffffffffffe0
	s_and_b32 s6, s2, 30
	s_add_nc_u64 s[0:1], s[12:13], s[0:1]
	s_mov_b64 s[2:3], s[12:13]
.LBB165_166:                            ; =>This Inner Loop Header: Depth=1
	s_clause 0x1
	s_load_b128 s[16:19], s[2:3], 0x4
	s_load_b64 s[14:15], s[2:3], 0x14
	s_clause 0x1
	s_load_b32 s7, s[0:1], 0xe4
	s_load_b96 s[8:10], s[0:1], 0xec
	s_add_co_i32 s6, s6, -2
	s_wait_xcnt 0x0
	s_add_nc_u64 s[2:3], s[2:3], 24
	s_cmp_lg_u32 s6, 0
	s_wait_kmcnt 0x0
	v_mul_hi_u32 v23, s17, v22
	s_delay_alu instid0(VALU_DEP_1) | instskip(NEXT) | instid1(VALU_DEP_1)
	v_add_nc_u32_e32 v23, v22, v23
	v_lshrrev_b32_e32 v23, s18, v23
	s_delay_alu instid0(VALU_DEP_1) | instskip(SKIP_1) | instid1(VALU_DEP_1)
	v_mul_hi_u32 v24, s14, v23
	v_mul_lo_u32 v25, v23, s16
	v_dual_add_nc_u32 v24, v23, v24 :: v_dual_sub_nc_u32 v25, v22, v25
	s_delay_alu instid0(VALU_DEP_1) | instskip(SKIP_1) | instid1(VALU_DEP_2)
	v_lshrrev_b32_e32 v22, s15, v24
	s_load_b64 s[14:15], s[0:1], 0xfc
	v_mad_u32 v16, v25, s7, v16
	v_mad_u32 v20, v25, s9, v20
	;; [unrolled: 1-line block ×3, first 2 shown]
	v_mul_lo_u32 v24, v22, s19
	s_wait_xcnt 0x0
	s_add_nc_u64 s[0:1], s[0:1], 32
	s_delay_alu instid0(VALU_DEP_1) | instskip(NEXT) | instid1(VALU_DEP_1)
	v_sub_nc_u32_e32 v23, v23, v24
	v_mad_u32 v16, v23, s10, v16
	s_wait_kmcnt 0x0
	v_mad_u32 v20, v23, s15, v20
	v_mad_u32 v19, v23, s14, v19
	s_cbranch_scc1 .LBB165_166
; %bb.167:
	s_bitcmp1_b32 s5, 0
	s_cselect_b32 s5, -1, 0
	s_delay_alu instid0(SALU_CYCLE_1)
	s_and_b32 vcc_lo, exec_lo, s5
	s_cbranch_vccnz .LBB165_170
; %bb.168:
	s_load_b96 s[8:10], s[2:3], 0x4
	s_load_b32 s5, s[0:1], 0xe4
	s_wait_xcnt 0x0
	s_load_b64 s[2:3], s[0:1], 0xec
	s_wait_kmcnt 0x0
	v_mul_hi_u32 v23, s9, v22
	s_delay_alu instid0(VALU_DEP_1) | instskip(NEXT) | instid1(VALU_DEP_1)
	v_add_nc_u32_e32 v23, v22, v23
	v_lshrrev_b32_e32 v23, s10, v23
	s_delay_alu instid0(VALU_DEP_1) | instskip(NEXT) | instid1(VALU_DEP_1)
	v_mul_lo_u32 v23, v23, s8
	v_sub_nc_u32_e32 v22, v22, v23
	s_delay_alu instid0(VALU_DEP_1)
	v_mad_u32 v16, v22, s5, v16
	v_mad_u32 v19, v22, s2, v19
	;; [unrolled: 1-line block ×3, first 2 shown]
	s_and_not1_b32 vcc_lo, exec_lo, s4
	s_cbranch_vccz .LBB165_171
	s_branch .LBB165_174
.LBB165_169:
	s_mov_b32 s4, -1
                                        ; implicit-def: $vgpr20
                                        ; implicit-def: $vgpr19
                                        ; implicit-def: $vgpr16
.LBB165_170:
	s_delay_alu instid0(SALU_CYCLE_1)
	s_and_not1_b32 vcc_lo, exec_lo, s4
	s_cbranch_vccnz .LBB165_174
.LBB165_171:
	s_clause 0x2
	s_load_b96 s[0:2], s[12:13], 0x4
	s_load_b32 s3, s[12:13], 0xc4
	s_load_b64 s[4:5], s[12:13], 0xcc
	s_cmp_lt_u32 s11, 2
	s_wait_kmcnt 0x0
	v_mul_hi_u32 v16, s1, v21
	s_delay_alu instid0(VALU_DEP_1) | instskip(NEXT) | instid1(VALU_DEP_1)
	v_add_nc_u32_e32 v16, v21, v16
	v_lshrrev_b32_e32 v22, s2, v16
	s_delay_alu instid0(VALU_DEP_1) | instskip(NEXT) | instid1(VALU_DEP_1)
	v_mul_lo_u32 v16, v22, s0
	v_sub_nc_u32_e32 v19, v21, v16
	s_delay_alu instid0(VALU_DEP_1)
	v_mul_lo_u32 v16, v19, s3
	v_mul_lo_u32 v20, v19, s5
	;; [unrolled: 1-line block ×3, first 2 shown]
	s_cbranch_scc1 .LBB165_174
; %bb.172:
	s_clause 0x2
	s_load_b96 s[0:2], s[12:13], 0x10
	s_load_b32 s3, s[12:13], 0xd4
	s_load_b64 s[4:5], s[12:13], 0xdc
	s_wait_kmcnt 0x0
	v_mul_hi_u32 v21, s1, v22
	s_delay_alu instid0(VALU_DEP_1) | instskip(NEXT) | instid1(VALU_DEP_1)
	v_add_nc_u32_e32 v21, v22, v21
	v_lshrrev_b32_e32 v21, s2, v21
	s_delay_alu instid0(VALU_DEP_1) | instskip(NEXT) | instid1(VALU_DEP_1)
	v_mul_lo_u32 v21, v21, s0
	v_sub_nc_u32_e32 v21, v22, v21
	s_delay_alu instid0(VALU_DEP_1)
	v_mad_u32 v16, v21, s3, v16
	v_mad_u32 v19, v21, s4, v19
	;; [unrolled: 1-line block ×3, first 2 shown]
	s_branch .LBB165_174
.LBB165_173:
	v_dual_mov_b32 v20, 0 :: v_dual_mov_b32 v19, 0
	v_mov_b32_e32 v16, 0
	s_and_not1_b32 vcc_lo, exec_lo, s4
	s_cbranch_vccz .LBB165_171
.LBB165_174:
	v_cmp_ne_u32_e32 vcc_lo, 1, v7
	v_add_nc_u32_e32 v23, 0x300, v0
	s_cbranch_vccnz .LBB165_180
; %bb.175:
	s_cmp_lg_u32 s11, 0
	s_mov_b32 s4, 0
	s_cbranch_scc0 .LBB165_184
; %bb.176:
	s_min_u32 s5, s28, 15
	v_dual_mov_b32 v0, 0 :: v_dual_mov_b32 v24, v23
	v_dual_mov_b32 v22, 0 :: v_dual_mov_b32 v21, 0
	s_add_co_i32 s2, s5, 1
	s_mov_b64 s[0:1], 0xffffffffffffffe0
	s_and_b32 s6, s2, 30
	s_add_nc_u64 s[0:1], s[12:13], s[0:1]
	s_mov_b64 s[2:3], s[12:13]
.LBB165_177:                            ; =>This Inner Loop Header: Depth=1
	s_clause 0x1
	s_load_b128 s[16:19], s[2:3], 0x4
	s_load_b64 s[14:15], s[2:3], 0x14
	s_clause 0x1
	s_load_b32 s7, s[0:1], 0xe4
	s_load_b96 s[8:10], s[0:1], 0xec
	s_add_co_i32 s6, s6, -2
	s_wait_xcnt 0x0
	s_add_nc_u64 s[2:3], s[2:3], 24
	s_cmp_lg_u32 s6, 0
	s_wait_kmcnt 0x0
	v_mul_hi_u32 v25, s17, v24
	s_delay_alu instid0(VALU_DEP_1) | instskip(NEXT) | instid1(VALU_DEP_1)
	v_add_nc_u32_e32 v25, v24, v25
	v_lshrrev_b32_e32 v25, s18, v25
	s_delay_alu instid0(VALU_DEP_1) | instskip(SKIP_1) | instid1(VALU_DEP_1)
	v_mul_hi_u32 v26, s14, v25
	v_mul_lo_u32 v27, v25, s16
	v_dual_add_nc_u32 v26, v25, v26 :: v_dual_sub_nc_u32 v27, v24, v27
	s_delay_alu instid0(VALU_DEP_1) | instskip(SKIP_1) | instid1(VALU_DEP_2)
	v_lshrrev_b32_e32 v24, s15, v26
	s_load_b64 s[14:15], s[0:1], 0xfc
	v_mad_u32 v0, v27, s7, v0
	v_mad_u32 v21, v27, s9, v21
	;; [unrolled: 1-line block ×3, first 2 shown]
	v_mul_lo_u32 v26, v24, s19
	s_wait_xcnt 0x0
	s_add_nc_u64 s[0:1], s[0:1], 32
	s_delay_alu instid0(VALU_DEP_1) | instskip(NEXT) | instid1(VALU_DEP_1)
	v_sub_nc_u32_e32 v25, v25, v26
	v_mad_u32 v0, v25, s10, v0
	s_wait_kmcnt 0x0
	v_mad_u32 v21, v25, s15, v21
	v_mad_u32 v22, v25, s14, v22
	s_cbranch_scc1 .LBB165_177
; %bb.178:
	s_bitcmp1_b32 s5, 0
	s_cselect_b32 s5, -1, 0
	s_delay_alu instid0(SALU_CYCLE_1)
	s_and_b32 vcc_lo, exec_lo, s5
	s_cbranch_vccnz .LBB165_181
; %bb.179:
	s_load_b96 s[8:10], s[2:3], 0x4
	s_load_b32 s5, s[0:1], 0xe4
	s_wait_xcnt 0x0
	s_load_b64 s[2:3], s[0:1], 0xec
	s_wait_kmcnt 0x0
	v_mul_hi_u32 v25, s9, v24
	s_delay_alu instid0(VALU_DEP_1) | instskip(NEXT) | instid1(VALU_DEP_1)
	v_add_nc_u32_e32 v25, v24, v25
	v_lshrrev_b32_e32 v25, s10, v25
	s_delay_alu instid0(VALU_DEP_1) | instskip(NEXT) | instid1(VALU_DEP_1)
	v_mul_lo_u32 v25, v25, s8
	v_sub_nc_u32_e32 v24, v24, v25
	s_delay_alu instid0(VALU_DEP_1)
	v_mad_u32 v0, v24, s5, v0
	v_mad_u32 v22, v24, s2, v22
	;; [unrolled: 1-line block ×3, first 2 shown]
	s_and_not1_b32 vcc_lo, exec_lo, s4
	s_cbranch_vccz .LBB165_182
	s_branch .LBB165_185
.LBB165_180:
	s_mov_b32 s4, -1
                                        ; implicit-def: $vgpr21
                                        ; implicit-def: $vgpr22
                                        ; implicit-def: $vgpr0
.LBB165_181:
	s_delay_alu instid0(SALU_CYCLE_1)
	s_and_not1_b32 vcc_lo, exec_lo, s4
	s_cbranch_vccnz .LBB165_185
.LBB165_182:
	s_clause 0x2
	s_load_b96 s[0:2], s[12:13], 0x4
	s_load_b32 s3, s[12:13], 0xc4
	s_load_b64 s[4:5], s[12:13], 0xcc
	s_cmp_lt_u32 s11, 2
	s_wait_kmcnt 0x0
	v_mul_hi_u32 v0, s1, v23
	s_delay_alu instid0(VALU_DEP_1) | instskip(NEXT) | instid1(VALU_DEP_1)
	v_add_nc_u32_e32 v0, v23, v0
	v_lshrrev_b32_e32 v24, s2, v0
	s_delay_alu instid0(VALU_DEP_1) | instskip(NEXT) | instid1(VALU_DEP_1)
	v_mul_lo_u32 v0, v24, s0
	v_sub_nc_u32_e32 v22, v23, v0
	s_delay_alu instid0(VALU_DEP_1)
	v_mul_lo_u32 v0, v22, s3
	v_mul_lo_u32 v21, v22, s5
	;; [unrolled: 1-line block ×3, first 2 shown]
	s_cbranch_scc1 .LBB165_185
; %bb.183:
	s_clause 0x2
	s_load_b96 s[0:2], s[12:13], 0x10
	s_load_b32 s3, s[12:13], 0xd4
	s_load_b64 s[4:5], s[12:13], 0xdc
	s_wait_kmcnt 0x0
	v_mul_hi_u32 v23, s1, v24
	s_delay_alu instid0(VALU_DEP_1) | instskip(NEXT) | instid1(VALU_DEP_1)
	v_add_nc_u32_e32 v23, v24, v23
	v_lshrrev_b32_e32 v23, s2, v23
	s_delay_alu instid0(VALU_DEP_1) | instskip(NEXT) | instid1(VALU_DEP_1)
	v_mul_lo_u32 v23, v23, s0
	v_sub_nc_u32_e32 v23, v24, v23
	s_delay_alu instid0(VALU_DEP_1)
	v_mad_u32 v0, v23, s3, v0
	v_mad_u32 v22, v23, s4, v22
	;; [unrolled: 1-line block ×3, first 2 shown]
	s_branch .LBB165_185
.LBB165_184:
	v_dual_mov_b32 v21, 0 :: v_dual_mov_b32 v22, 0
	v_mov_b32_e32 v0, 0
	s_and_not1_b32 vcc_lo, exec_lo, s4
	s_cbranch_vccz .LBB165_182
.LBB165_185:
	v_cmp_ne_u32_e32 vcc_lo, 1, v7
	s_cbranch_vccnz .LBB165_191
; %bb.186:
	s_cmp_lg_u32 s11, 0
	s_mov_b32 s4, 0
	s_cbranch_scc0 .LBB165_195
; %bb.187:
	s_min_u32 s5, s28, 15
	v_dual_mov_b32 v7, 0 :: v_dual_mov_b32 v25, v5
	v_dual_mov_b32 v24, 0 :: v_dual_mov_b32 v23, 0
	s_add_co_i32 s2, s5, 1
	s_mov_b64 s[0:1], 0xffffffffffffffe0
	s_and_b32 s6, s2, 30
	s_add_nc_u64 s[0:1], s[12:13], s[0:1]
	s_mov_b64 s[2:3], s[12:13]
.LBB165_188:                            ; =>This Inner Loop Header: Depth=1
	s_clause 0x1
	s_load_b128 s[16:19], s[2:3], 0x4
	s_load_b64 s[14:15], s[2:3], 0x14
	s_clause 0x1
	s_load_b32 s7, s[0:1], 0xe4
	s_load_b96 s[8:10], s[0:1], 0xec
	s_add_co_i32 s6, s6, -2
	s_wait_xcnt 0x0
	s_add_nc_u64 s[2:3], s[2:3], 24
	s_cmp_lg_u32 s6, 0
	s_wait_kmcnt 0x0
	v_mul_hi_u32 v26, s17, v25
	s_delay_alu instid0(VALU_DEP_1) | instskip(NEXT) | instid1(VALU_DEP_1)
	v_add_nc_u32_e32 v26, v25, v26
	v_lshrrev_b32_e32 v26, s18, v26
	s_delay_alu instid0(VALU_DEP_1) | instskip(SKIP_1) | instid1(VALU_DEP_1)
	v_mul_hi_u32 v27, s14, v26
	v_mul_lo_u32 v28, v26, s16
	v_dual_add_nc_u32 v27, v26, v27 :: v_dual_sub_nc_u32 v28, v25, v28
	s_delay_alu instid0(VALU_DEP_1) | instskip(SKIP_1) | instid1(VALU_DEP_2)
	v_lshrrev_b32_e32 v25, s15, v27
	s_load_b64 s[14:15], s[0:1], 0xfc
	v_mad_u32 v7, v28, s7, v7
	v_mad_u32 v23, v28, s9, v23
	;; [unrolled: 1-line block ×3, first 2 shown]
	v_mul_lo_u32 v27, v25, s19
	s_wait_xcnt 0x0
	s_add_nc_u64 s[0:1], s[0:1], 32
	s_delay_alu instid0(VALU_DEP_1) | instskip(NEXT) | instid1(VALU_DEP_1)
	v_sub_nc_u32_e32 v26, v26, v27
	v_mad_u32 v7, v26, s10, v7
	s_wait_kmcnt 0x0
	v_mad_u32 v23, v26, s15, v23
	v_mad_u32 v24, v26, s14, v24
	s_cbranch_scc1 .LBB165_188
; %bb.189:
	s_bitcmp1_b32 s5, 0
	s_cselect_b32 s5, -1, 0
	s_delay_alu instid0(SALU_CYCLE_1)
	s_and_b32 vcc_lo, exec_lo, s5
	s_cbranch_vccnz .LBB165_192
; %bb.190:
	s_load_b96 s[8:10], s[2:3], 0x4
	s_load_b32 s5, s[0:1], 0xe4
	s_wait_xcnt 0x0
	s_load_b64 s[2:3], s[0:1], 0xec
	s_wait_kmcnt 0x0
	v_mul_hi_u32 v26, s9, v25
	s_delay_alu instid0(VALU_DEP_1) | instskip(NEXT) | instid1(VALU_DEP_1)
	v_add_nc_u32_e32 v26, v25, v26
	v_lshrrev_b32_e32 v26, s10, v26
	s_delay_alu instid0(VALU_DEP_1) | instskip(NEXT) | instid1(VALU_DEP_1)
	v_mul_lo_u32 v26, v26, s8
	v_sub_nc_u32_e32 v25, v25, v26
	s_delay_alu instid0(VALU_DEP_1)
	v_mad_u32 v7, v25, s5, v7
	v_mad_u32 v24, v25, s2, v24
	;; [unrolled: 1-line block ×3, first 2 shown]
	s_and_not1_b32 vcc_lo, exec_lo, s4
	s_cbranch_vccz .LBB165_193
	s_branch .LBB165_196
.LBB165_191:
	s_mov_b32 s4, -1
                                        ; implicit-def: $vgpr23
                                        ; implicit-def: $vgpr24
                                        ; implicit-def: $vgpr7
.LBB165_192:
	s_delay_alu instid0(SALU_CYCLE_1)
	s_and_not1_b32 vcc_lo, exec_lo, s4
	s_cbranch_vccnz .LBB165_196
.LBB165_193:
	s_clause 0x2
	s_load_b96 s[0:2], s[12:13], 0x4
	s_load_b32 s3, s[12:13], 0xc4
	s_load_b64 s[4:5], s[12:13], 0xcc
	s_cmp_lt_u32 s11, 2
	s_wait_kmcnt 0x0
	v_mul_hi_u32 v7, s1, v5
	s_delay_alu instid0(VALU_DEP_1) | instskip(NEXT) | instid1(VALU_DEP_1)
	v_add_nc_u32_e32 v7, v5, v7
	v_lshrrev_b32_e32 v25, s2, v7
	s_delay_alu instid0(VALU_DEP_1) | instskip(NEXT) | instid1(VALU_DEP_1)
	v_mul_lo_u32 v7, v25, s0
	v_sub_nc_u32_e32 v5, v5, v7
	s_delay_alu instid0(VALU_DEP_1)
	v_mul_lo_u32 v7, v5, s3
	v_mul_lo_u32 v23, v5, s5
	;; [unrolled: 1-line block ×3, first 2 shown]
	s_cbranch_scc1 .LBB165_196
; %bb.194:
	s_clause 0x2
	s_load_b96 s[0:2], s[12:13], 0x10
	s_load_b32 s3, s[12:13], 0xd4
	s_load_b64 s[4:5], s[12:13], 0xdc
	s_wait_kmcnt 0x0
	v_mul_hi_u32 v5, s1, v25
	s_delay_alu instid0(VALU_DEP_1) | instskip(NEXT) | instid1(VALU_DEP_1)
	v_add_nc_u32_e32 v5, v25, v5
	v_lshrrev_b32_e32 v5, s2, v5
	s_delay_alu instid0(VALU_DEP_1) | instskip(NEXT) | instid1(VALU_DEP_1)
	v_mul_lo_u32 v5, v5, s0
	v_sub_nc_u32_e32 v5, v25, v5
	s_delay_alu instid0(VALU_DEP_1)
	v_mad_u32 v7, v5, s3, v7
	v_mad_u32 v24, v5, s4, v24
	;; [unrolled: 1-line block ×3, first 2 shown]
	s_branch .LBB165_196
.LBB165_195:
	v_dual_mov_b32 v23, 0 :: v_dual_mov_b32 v24, 0
	v_mov_b32_e32 v7, 0
	s_and_not1_b32 vcc_lo, exec_lo, s4
	s_cbranch_vccz .LBB165_193
.LBB165_196:
	s_load_b128 s[0:3], s[12:13], 0x1d8
	s_wait_kmcnt 0x0
	global_load_u16 v5, v4, s[0:1]
	global_load_u16 v25, v3, s[2:3]
	;; [unrolled: 1-line block ×15, first 2 shown]
                                        ; kill: killed $vgpr9
                                        ; kill: killed $sgpr0_sgpr1
                                        ; kill: killed $vgpr18
                                        ; kill: killed $vgpr12
                                        ; kill: killed $vgpr24
                                        ; kill: killed $vgpr20
                                        ; kill: killed $vgpr4
                                        ; kill: killed $vgpr15
                                        ; kill: killed $vgpr8
                                        ; kill: killed $vgpr22
                                        ; kill: killed $vgpr17
                                        ; kill: killed $vgpr11
                                        ; kill: killed $vgpr3
                                        ; kill: killed $vgpr19
                                        ; kill: killed $vgpr14
                                        ; kill: killed $vgpr21
	global_load_u16 v3, v23, s[2:3]
	s_wait_xcnt 0x0
	s_clause 0x1
	s_load_b32 s2, s[12:13], 0x1e8
	s_load_b64 s[0:1], s[12:13], 0x1c8
	s_wait_kmcnt 0x0
	s_lshl_b32 s2, s2, 16
	s_wait_loadcnt 0xf
	v_lshlrev_b32_e32 v4, 16, v5
	s_wait_loadcnt 0xd
	v_dual_lshlrev_b32 v5, 16, v25 :: v_dual_lshlrev_b32 v8, 16, v26
	s_wait_loadcnt 0xb
	v_dual_lshlrev_b32 v9, 16, v27 :: v_dual_lshlrev_b32 v11, 16, v28
	s_wait_loadcnt 0xa
	v_dual_lshlrev_b32 v12, 16, v29 :: v_dual_mul_f32 v4, s2, v4
	s_wait_loadcnt 0x8
	v_dual_lshlrev_b32 v14, 16, v30 :: v_dual_lshlrev_b32 v15, 16, v31
	v_dual_mul_f32 v8, s2, v8 :: v_dual_mul_f32 v11, s2, v11
	s_delay_alu instid0(VALU_DEP_3) | instskip(SKIP_1) | instid1(VALU_DEP_3)
	v_bfe_u32 v24, v4, 16, 1
	s_wait_loadcnt 0x7
	v_dual_mul_f32 v14, s2, v14 :: v_dual_lshlrev_b32 v17, 16, v32
	s_wait_loadcnt 0x6
	v_lshlrev_b32_e32 v18, 16, v33
	v_bfe_u32 v25, v8, 16, 1
	v_add3_u32 v24, v4, v24, 0x7fff
	v_bfe_u32 v26, v11, 16, 1
	v_cmp_o_f32_e32 vcc_lo, v4, v4
	s_wait_loadcnt 0x4
	v_dual_lshlrev_b32 v19, 16, v34 :: v_dual_lshlrev_b32 v20, 16, v35
	v_add3_u32 v25, v8, v25, 0x7fff
	v_and_b32_e32 v24, 0xffff0000, v24
	s_delay_alu instid0(VALU_DEP_3)
	v_dual_mul_f32 v17, s2, v17 :: v_dual_mul_f32 v19, s2, v19
	v_bfe_u32 v27, v14, 16, 1
	v_add3_u32 v26, v11, v26, 0x7fff
	v_and_b32_e32 v25, 0xffff0000, v25
	v_cndmask_b32_e32 v4, 0x7fc00000, v24, vcc_lo
	v_cmp_o_f32_e32 vcc_lo, v8, v8
	s_wait_loadcnt 0x2
	v_dual_lshlrev_b32 v21, 16, v36 :: v_dual_lshlrev_b32 v22, 16, v37
	v_bfe_u32 v28, v17, 16, 1
	v_add3_u32 v27, v14, v27, 0x7fff
	v_and_b32_e32 v26, 0xffff0000, v26
	v_cndmask_b32_e32 v8, 0x7fc00000, v25, vcc_lo
	v_cmp_o_f32_e32 vcc_lo, v11, v11
	s_wait_loadcnt 0x0
	v_dual_lshlrev_b32 v23, 16, v38 :: v_dual_lshlrev_b32 v3, 16, v3
	v_mul_f32_e32 v21, s2, v21
	v_bfe_u32 v29, v19, 16, 1
	v_add3_u32 v28, v17, v28, 0x7fff
	v_and_b32_e32 v27, 0xffff0000, v27
	v_dual_cndmask_b32 v11, 0x7fc00000, v26 :: v_dual_mul_f32 v4, v4, v5
	v_cmp_o_f32_e32 vcc_lo, v14, v14
	v_mul_f32_e32 v23, s2, v23
	v_bfe_u32 v30, v21, 16, 1
	v_add3_u32 v29, v19, v29, 0x7fff
	v_and_b32_e32 v28, 0xffff0000, v28
	v_cndmask_b32_e32 v14, 0x7fc00000, v27, vcc_lo
	v_cmp_o_f32_e32 vcc_lo, v17, v17
	v_bfe_u32 v31, v23, 16, 1
	v_add3_u32 v30, v21, v30, 0x7fff
	v_and_b32_e32 v29, 0xffff0000, v29
	v_mul_f32_e32 v5, v8, v9
	v_cndmask_b32_e32 v17, 0x7fc00000, v28, vcc_lo
	v_cmp_o_f32_e32 vcc_lo, v19, v19
	v_add3_u32 v31, v23, v31, 0x7fff
	v_and_b32_e32 v30, 0xffff0000, v30
	s_delay_alu instid0(VALU_DEP_4)
	v_dual_mul_f32 v8, v11, v12 :: v_dual_mul_f32 v11, v17, v18
	v_cndmask_b32_e32 v19, 0x7fc00000, v29, vcc_lo
	v_cmp_o_f32_e32 vcc_lo, v21, v21
	v_mul_f32_e32 v9, v14, v15
	v_bfe_u32 v15, v4, 16, 1
	v_and_b32_e32 v31, 0xffff0000, v31
	v_dual_mul_f32 v12, v19, v20 :: v_dual_cndmask_b32 v21, 0x7fc00000, v30
	v_cmp_o_f32_e32 vcc_lo, v23, v23
	v_bfe_u32 v17, v5, 16, 1
	v_bfe_u32 v18, v8, 16, 1
	;; [unrolled: 1-line block ×3, first 2 shown]
	v_add3_u32 v15, v4, v15, 0x7fff
	v_bfe_u32 v19, v9, 16, 1
	v_add3_u32 v17, v5, v17, 0x7fff
	v_add3_u32 v18, v8, v18, 0x7fff
	v_cndmask_b32_e32 v23, 0x7fc00000, v31, vcc_lo
	v_add3_u32 v20, v11, v20, 0x7fff
	v_lshrrev_b32_e32 v15, 16, v15
	v_cmp_o_f32_e32 vcc_lo, v4, v4
	v_dual_lshrrev_b32 v17, 16, v17 :: v_dual_lshrrev_b32 v18, 16, v18
	s_delay_alu instid0(VALU_DEP_4) | instskip(NEXT) | instid1(VALU_DEP_4)
	v_dual_mul_f32 v3, v23, v3 :: v_dual_lshrrev_b32 v20, 16, v20
	v_cndmask_b32_e32 v4, 0x7fc0, v15, vcc_lo
	v_cmp_o_f32_e32 vcc_lo, v5, v5
	v_mul_f32_e32 v14, v21, v22
	v_bfe_u32 v21, v12, 16, 1
	v_add3_u32 v19, v9, v19, 0x7fff
	v_bfe_u32 v23, v3, 16, 1
	v_cndmask_b32_e32 v5, 0x7fc0, v17, vcc_lo
	v_cmp_o_f32_e32 vcc_lo, v8, v8
	v_add3_u32 v21, v12, v21, 0x7fff
	v_lshrrev_b32_e32 v19, 16, v19
	v_bfe_u32 v22, v14, 16, 1
	v_add3_u32 v23, v3, v23, 0x7fff
	v_cndmask_b32_e32 v8, 0x7fc0, v18, vcc_lo
	v_cmp_o_f32_e32 vcc_lo, v9, v9
	v_lshrrev_b32_e32 v21, 16, v21
	v_add3_u32 v22, v14, v22, 0x7fff
	v_lshrrev_b32_e32 v23, 16, v23
	v_cndmask_b32_e32 v9, 0x7fc0, v19, vcc_lo
	v_cmp_o_f32_e32 vcc_lo, v11, v11
	s_delay_alu instid0(VALU_DEP_4) | instskip(SKIP_3) | instid1(VALU_DEP_4)
	v_dual_cndmask_b32 v11, 0x7fc0, v20 :: v_dual_lshrrev_b32 v22, 16, v22
	v_cmp_o_f32_e32 vcc_lo, v12, v12
	v_cndmask_b32_e32 v12, 0x7fc0, v21, vcc_lo
	v_cmp_o_f32_e32 vcc_lo, v14, v14
	v_cndmask_b32_e32 v14, 0x7fc0, v22, vcc_lo
	;; [unrolled: 2-line block ×3, first 2 shown]
	s_clause 0x7
	global_store_b16 v1, v4, s[0:1]
	global_store_b16 v2, v5, s[0:1]
	global_store_b16 v6, v8, s[0:1]
	global_store_b16 v10, v9, s[0:1]
	global_store_b16 v13, v11, s[0:1]
	global_store_b16 v16, v12, s[0:1]
	global_store_b16 v0, v14, s[0:1]
	global_store_b16 v7, v3, s[0:1]
	s_endpgm
	.section	.rodata,"a",@progbits
	.p2align	6, 0x0
	.amdhsa_kernel _ZN2at6native32elementwise_kernel_manual_unrollILi128ELi8EZNS0_22gpu_kernel_impl_nocastIZZZNS0_12_GLOBAL__N_116addr_kernel_cudaERNS_14TensorIteratorERKN3c106ScalarES9_ENKUlvE_clEvENKUlvE8_clEvEUlNS6_8BFloat16ESC_SC_E_EEvRNS_18TensorIteratorBaseERKT_EUlibE_EEviT1_
		.amdhsa_group_segment_fixed_size 0
		.amdhsa_private_segment_fixed_size 0
		.amdhsa_kernarg_size 504
		.amdhsa_user_sgpr_count 2
		.amdhsa_user_sgpr_dispatch_ptr 0
		.amdhsa_user_sgpr_queue_ptr 0
		.amdhsa_user_sgpr_kernarg_segment_ptr 1
		.amdhsa_user_sgpr_dispatch_id 0
		.amdhsa_user_sgpr_kernarg_preload_length 0
		.amdhsa_user_sgpr_kernarg_preload_offset 0
		.amdhsa_user_sgpr_private_segment_size 0
		.amdhsa_wavefront_size32 1
		.amdhsa_uses_dynamic_stack 0
		.amdhsa_enable_private_segment 0
		.amdhsa_system_sgpr_workgroup_id_x 1
		.amdhsa_system_sgpr_workgroup_id_y 0
		.amdhsa_system_sgpr_workgroup_id_z 0
		.amdhsa_system_sgpr_workgroup_info 0
		.amdhsa_system_vgpr_workitem_id 0
		.amdhsa_next_free_vgpr 39
		.amdhsa_next_free_sgpr 45
		.amdhsa_named_barrier_count 0
		.amdhsa_reserve_vcc 1
		.amdhsa_float_round_mode_32 0
		.amdhsa_float_round_mode_16_64 0
		.amdhsa_float_denorm_mode_32 3
		.amdhsa_float_denorm_mode_16_64 3
		.amdhsa_fp16_overflow 0
		.amdhsa_memory_ordered 1
		.amdhsa_forward_progress 1
		.amdhsa_inst_pref_size 99
		.amdhsa_round_robin_scheduling 0
		.amdhsa_exception_fp_ieee_invalid_op 0
		.amdhsa_exception_fp_denorm_src 0
		.amdhsa_exception_fp_ieee_div_zero 0
		.amdhsa_exception_fp_ieee_overflow 0
		.amdhsa_exception_fp_ieee_underflow 0
		.amdhsa_exception_fp_ieee_inexact 0
		.amdhsa_exception_int_div_zero 0
	.end_amdhsa_kernel
	.section	.text._ZN2at6native32elementwise_kernel_manual_unrollILi128ELi8EZNS0_22gpu_kernel_impl_nocastIZZZNS0_12_GLOBAL__N_116addr_kernel_cudaERNS_14TensorIteratorERKN3c106ScalarES9_ENKUlvE_clEvENKUlvE8_clEvEUlNS6_8BFloat16ESC_SC_E_EEvRNS_18TensorIteratorBaseERKT_EUlibE_EEviT1_,"axG",@progbits,_ZN2at6native32elementwise_kernel_manual_unrollILi128ELi8EZNS0_22gpu_kernel_impl_nocastIZZZNS0_12_GLOBAL__N_116addr_kernel_cudaERNS_14TensorIteratorERKN3c106ScalarES9_ENKUlvE_clEvENKUlvE8_clEvEUlNS6_8BFloat16ESC_SC_E_EEvRNS_18TensorIteratorBaseERKT_EUlibE_EEviT1_,comdat
.Lfunc_end165:
	.size	_ZN2at6native32elementwise_kernel_manual_unrollILi128ELi8EZNS0_22gpu_kernel_impl_nocastIZZZNS0_12_GLOBAL__N_116addr_kernel_cudaERNS_14TensorIteratorERKN3c106ScalarES9_ENKUlvE_clEvENKUlvE8_clEvEUlNS6_8BFloat16ESC_SC_E_EEvRNS_18TensorIteratorBaseERKT_EUlibE_EEviT1_, .Lfunc_end165-_ZN2at6native32elementwise_kernel_manual_unrollILi128ELi8EZNS0_22gpu_kernel_impl_nocastIZZZNS0_12_GLOBAL__N_116addr_kernel_cudaERNS_14TensorIteratorERKN3c106ScalarES9_ENKUlvE_clEvENKUlvE8_clEvEUlNS6_8BFloat16ESC_SC_E_EEvRNS_18TensorIteratorBaseERKT_EUlibE_EEviT1_
                                        ; -- End function
	.set _ZN2at6native32elementwise_kernel_manual_unrollILi128ELi8EZNS0_22gpu_kernel_impl_nocastIZZZNS0_12_GLOBAL__N_116addr_kernel_cudaERNS_14TensorIteratorERKN3c106ScalarES9_ENKUlvE_clEvENKUlvE8_clEvEUlNS6_8BFloat16ESC_SC_E_EEvRNS_18TensorIteratorBaseERKT_EUlibE_EEviT1_.num_vgpr, 39
	.set _ZN2at6native32elementwise_kernel_manual_unrollILi128ELi8EZNS0_22gpu_kernel_impl_nocastIZZZNS0_12_GLOBAL__N_116addr_kernel_cudaERNS_14TensorIteratorERKN3c106ScalarES9_ENKUlvE_clEvENKUlvE8_clEvEUlNS6_8BFloat16ESC_SC_E_EEvRNS_18TensorIteratorBaseERKT_EUlibE_EEviT1_.num_agpr, 0
	.set _ZN2at6native32elementwise_kernel_manual_unrollILi128ELi8EZNS0_22gpu_kernel_impl_nocastIZZZNS0_12_GLOBAL__N_116addr_kernel_cudaERNS_14TensorIteratorERKN3c106ScalarES9_ENKUlvE_clEvENKUlvE8_clEvEUlNS6_8BFloat16ESC_SC_E_EEvRNS_18TensorIteratorBaseERKT_EUlibE_EEviT1_.numbered_sgpr, 45
	.set _ZN2at6native32elementwise_kernel_manual_unrollILi128ELi8EZNS0_22gpu_kernel_impl_nocastIZZZNS0_12_GLOBAL__N_116addr_kernel_cudaERNS_14TensorIteratorERKN3c106ScalarES9_ENKUlvE_clEvENKUlvE8_clEvEUlNS6_8BFloat16ESC_SC_E_EEvRNS_18TensorIteratorBaseERKT_EUlibE_EEviT1_.num_named_barrier, 0
	.set _ZN2at6native32elementwise_kernel_manual_unrollILi128ELi8EZNS0_22gpu_kernel_impl_nocastIZZZNS0_12_GLOBAL__N_116addr_kernel_cudaERNS_14TensorIteratorERKN3c106ScalarES9_ENKUlvE_clEvENKUlvE8_clEvEUlNS6_8BFloat16ESC_SC_E_EEvRNS_18TensorIteratorBaseERKT_EUlibE_EEviT1_.private_seg_size, 0
	.set _ZN2at6native32elementwise_kernel_manual_unrollILi128ELi8EZNS0_22gpu_kernel_impl_nocastIZZZNS0_12_GLOBAL__N_116addr_kernel_cudaERNS_14TensorIteratorERKN3c106ScalarES9_ENKUlvE_clEvENKUlvE8_clEvEUlNS6_8BFloat16ESC_SC_E_EEvRNS_18TensorIteratorBaseERKT_EUlibE_EEviT1_.uses_vcc, 1
	.set _ZN2at6native32elementwise_kernel_manual_unrollILi128ELi8EZNS0_22gpu_kernel_impl_nocastIZZZNS0_12_GLOBAL__N_116addr_kernel_cudaERNS_14TensorIteratorERKN3c106ScalarES9_ENKUlvE_clEvENKUlvE8_clEvEUlNS6_8BFloat16ESC_SC_E_EEvRNS_18TensorIteratorBaseERKT_EUlibE_EEviT1_.uses_flat_scratch, 0
	.set _ZN2at6native32elementwise_kernel_manual_unrollILi128ELi8EZNS0_22gpu_kernel_impl_nocastIZZZNS0_12_GLOBAL__N_116addr_kernel_cudaERNS_14TensorIteratorERKN3c106ScalarES9_ENKUlvE_clEvENKUlvE8_clEvEUlNS6_8BFloat16ESC_SC_E_EEvRNS_18TensorIteratorBaseERKT_EUlibE_EEviT1_.has_dyn_sized_stack, 0
	.set _ZN2at6native32elementwise_kernel_manual_unrollILi128ELi8EZNS0_22gpu_kernel_impl_nocastIZZZNS0_12_GLOBAL__N_116addr_kernel_cudaERNS_14TensorIteratorERKN3c106ScalarES9_ENKUlvE_clEvENKUlvE8_clEvEUlNS6_8BFloat16ESC_SC_E_EEvRNS_18TensorIteratorBaseERKT_EUlibE_EEviT1_.has_recursion, 0
	.set _ZN2at6native32elementwise_kernel_manual_unrollILi128ELi8EZNS0_22gpu_kernel_impl_nocastIZZZNS0_12_GLOBAL__N_116addr_kernel_cudaERNS_14TensorIteratorERKN3c106ScalarES9_ENKUlvE_clEvENKUlvE8_clEvEUlNS6_8BFloat16ESC_SC_E_EEvRNS_18TensorIteratorBaseERKT_EUlibE_EEviT1_.has_indirect_call, 0
	.section	.AMDGPU.csdata,"",@progbits
; Kernel info:
; codeLenInByte = 12640
; TotalNumSgprs: 47
; NumVgprs: 39
; ScratchSize: 0
; MemoryBound: 0
; FloatMode: 240
; IeeeMode: 1
; LDSByteSize: 0 bytes/workgroup (compile time only)
; SGPRBlocks: 0
; VGPRBlocks: 2
; NumSGPRsForWavesPerEU: 47
; NumVGPRsForWavesPerEU: 39
; NamedBarCnt: 0
; Occupancy: 16
; WaveLimiterHint : 1
; COMPUTE_PGM_RSRC2:SCRATCH_EN: 0
; COMPUTE_PGM_RSRC2:USER_SGPR: 2
; COMPUTE_PGM_RSRC2:TRAP_HANDLER: 0
; COMPUTE_PGM_RSRC2:TGID_X_EN: 1
; COMPUTE_PGM_RSRC2:TGID_Y_EN: 0
; COMPUTE_PGM_RSRC2:TGID_Z_EN: 0
; COMPUTE_PGM_RSRC2:TIDIG_COMP_CNT: 0
	.section	.text._ZN2at6native32elementwise_kernel_manual_unrollILi128ELi4EZNS0_15gpu_kernel_implIZZZNS0_12_GLOBAL__N_116addr_kernel_cudaERNS_14TensorIteratorERKN3c106ScalarES9_ENKUlvE_clEvENKUlvE8_clEvEUlNS6_8BFloat16ESC_SC_E_EEvRNS_18TensorIteratorBaseERKT_EUlibE_EEviT1_,"axG",@progbits,_ZN2at6native32elementwise_kernel_manual_unrollILi128ELi4EZNS0_15gpu_kernel_implIZZZNS0_12_GLOBAL__N_116addr_kernel_cudaERNS_14TensorIteratorERKN3c106ScalarES9_ENKUlvE_clEvENKUlvE8_clEvEUlNS6_8BFloat16ESC_SC_E_EEvRNS_18TensorIteratorBaseERKT_EUlibE_EEviT1_,comdat
	.globl	_ZN2at6native32elementwise_kernel_manual_unrollILi128ELi4EZNS0_15gpu_kernel_implIZZZNS0_12_GLOBAL__N_116addr_kernel_cudaERNS_14TensorIteratorERKN3c106ScalarES9_ENKUlvE_clEvENKUlvE8_clEvEUlNS6_8BFloat16ESC_SC_E_EEvRNS_18TensorIteratorBaseERKT_EUlibE_EEviT1_ ; -- Begin function _ZN2at6native32elementwise_kernel_manual_unrollILi128ELi4EZNS0_15gpu_kernel_implIZZZNS0_12_GLOBAL__N_116addr_kernel_cudaERNS_14TensorIteratorERKN3c106ScalarES9_ENKUlvE_clEvENKUlvE8_clEvEUlNS6_8BFloat16ESC_SC_E_EEvRNS_18TensorIteratorBaseERKT_EUlibE_EEviT1_
	.p2align	8
	.type	_ZN2at6native32elementwise_kernel_manual_unrollILi128ELi4EZNS0_15gpu_kernel_implIZZZNS0_12_GLOBAL__N_116addr_kernel_cudaERNS_14TensorIteratorERKN3c106ScalarES9_ENKUlvE_clEvENKUlvE8_clEvEUlNS6_8BFloat16ESC_SC_E_EEvRNS_18TensorIteratorBaseERKT_EUlibE_EEviT1_,@function
_ZN2at6native32elementwise_kernel_manual_unrollILi128ELi4EZNS0_15gpu_kernel_implIZZZNS0_12_GLOBAL__N_116addr_kernel_cudaERNS_14TensorIteratorERKN3c106ScalarES9_ENKUlvE_clEvENKUlvE8_clEvEUlNS6_8BFloat16ESC_SC_E_EEvRNS_18TensorIteratorBaseERKT_EUlibE_EEviT1_: ; @_ZN2at6native32elementwise_kernel_manual_unrollILi128ELi4EZNS0_15gpu_kernel_implIZZZNS0_12_GLOBAL__N_116addr_kernel_cudaERNS_14TensorIteratorERKN3c106ScalarES9_ENKUlvE_clEvENKUlvE8_clEvEUlNS6_8BFloat16ESC_SC_E_EEvRNS_18TensorIteratorBaseERKT_EUlibE_EEviT1_
; %bb.0:
	v_mov_b32_e32 v1, 0
	s_bfe_u32 s4, ttmp6, 0x4000c
	s_clause 0x1
	s_load_b32 s18, s[0:1], 0x0
	s_load_b64 s[2:3], s[0:1], 0x8
	s_add_co_i32 s13, s4, 1
	s_clause 0x1
	s_load_b128 s[4:7], s[0:1], 0x18
	s_load_b32 s11, s[0:1], 0x28
	global_load_b32 v1, v1, s[0:1] offset:58
	s_load_b96 s[8:10], s[0:1], 0x30
	s_and_b32 s14, ttmp6, 15
	s_wait_xcnt 0x0
	s_mul_i32 s0, ttmp9, s13
	s_getreg_b32 s16, hwreg(HW_REG_IB_STS2, 6, 4)
	s_add_co_i32 s14, s14, s0
	s_mov_b32 s17, 0
	s_wait_kmcnt 0x0
	s_and_b32 s1, s10, 0xffff
	s_wait_loadcnt 0x0
	v_readfirstlane_b32 s12, v1
	s_lshr_b32 s13, s12, 16
	s_lshr_b32 s15, s12, 8
	;; [unrolled: 1-line block ×3, first 2 shown]
	s_cmp_eq_u32 s16, 0
	s_cselect_b32 s0, ttmp9, s14
	s_mov_b32 s14, 0
	v_lshl_or_b32 v6, s0, 9, v0
	s_mov_b32 s0, exec_lo
	s_delay_alu instid0(VALU_DEP_1) | instskip(NEXT) | instid1(VALU_DEP_1)
	v_or_b32_e32 v0, 0x180, v6
	v_cmpx_le_i32_e64 s18, v0
	s_xor_b32 s16, exec_lo, s0
	s_cbranch_execz .LBB166_1624
; %bb.1:
	s_lshl_b32 s17, s1, 16
	s_mov_b32 s0, -1
	s_mov_b32 s24, 0
	s_mov_b32 s22, 0
	;; [unrolled: 1-line block ×5, first 2 shown]
	s_mov_b32 s23, exec_lo
	v_cmpx_gt_i32_e64 s18, v6
	s_cbranch_execz .LBB166_402
; %bb.2:
	s_and_b32 s19, s15, 0xff
	s_delay_alu instid0(SALU_CYCLE_1)
	s_cmp_lt_i32 s19, 23
	s_cbranch_scc1 .LBB166_6
; %bb.3:
	s_and_b32 s20, 0xffff, s19
	s_delay_alu instid0(SALU_CYCLE_1)
	s_cmp_gt_i32 s20, 43
	s_cbranch_scc0 .LBB166_7
; %bb.4:
	s_cmp_gt_i32 s20, 45
	s_cbranch_scc0 .LBB166_8
; %bb.5:
	s_cmp_eq_u32 s20, 46
	s_mov_b32 s22, -1
	s_cselect_b32 s0, -1, 0
	s_branch .LBB166_9
.LBB166_6:
	s_mov_b32 s0, 0
	s_cbranch_execnz .LBB166_14
	s_branch .LBB166_18
.LBB166_7:
	s_mov_b32 s0, 0
	s_cbranch_execnz .LBB166_12
	s_branch .LBB166_13
.LBB166_8:
	s_mov_b32 s21, -1
	s_mov_b32 s0, 0
.LBB166_9:
	s_and_not1_b32 vcc_lo, exec_lo, s21
	s_cbranch_vccnz .LBB166_11
; %bb.10:
	s_cmp_eq_u32 s20, 44
	s_cselect_b32 s0, -1, 0
	s_cmp_lg_u32 s20, 44
	s_cselect_b32 s22, -1, 0
.LBB166_11:
	s_branch .LBB166_13
.LBB166_12:
	s_cmp_lt_i32 s20, 30
	s_cselect_b32 s0, -1, 0
	s_cmp_gt_i32 s20, 29
	s_cselect_b32 s22, -1, 0
.LBB166_13:
	s_branch .LBB166_18
.LBB166_14:
	s_and_b32 s19, 0xffff, s19
	s_mov_b32 s20, -1
	s_cmp_gt_i32 s19, 14
	s_cbranch_scc0 .LBB166_16
; %bb.15:
	s_cmp_eq_u32 s19, 15
	s_mov_b32 s20, 0
	s_cselect_b32 s0, -1, 0
	s_cmp_lg_u32 s19, 15
	s_cselect_b32 s22, -1, 0
.LBB166_16:
	s_and_not1_b32 vcc_lo, exec_lo, s20
	s_cbranch_vccnz .LBB166_18
; %bb.17:
	s_cmp_lt_i32 s19, 12
	s_cselect_b32 s0, -1, 0
	s_cmp_gt_i32 s19, 11
	s_cselect_b32 s22, -1, 0
.LBB166_18:
	s_and_b32 vcc_lo, exec_lo, s0
	s_cbranch_vccz .LBB166_26
; %bb.19:
	v_mul_lo_u32 v0, v6, s8
	s_and_b32 s0, s13, 0xff
	s_delay_alu instid0(SALU_CYCLE_1) | instskip(NEXT) | instid1(VALU_DEP_1)
	s_cmp_lt_i32 s0, 11
	v_ashrrev_i32_e32 v1, 31, v0
	s_delay_alu instid0(VALU_DEP_1)
	v_add_nc_u64_e32 v[0:1], s[4:5], v[0:1]
	s_cbranch_scc1 .LBB166_28
; %bb.20:
	s_and_b32 s19, 0xffff, s0
	s_delay_alu instid0(SALU_CYCLE_1)
	s_cmp_gt_i32 s19, 25
	s_cbranch_scc0 .LBB166_29
; %bb.21:
	s_cmp_gt_i32 s19, 28
	s_cbranch_scc0 .LBB166_30
; %bb.22:
	;; [unrolled: 3-line block ×4, first 2 shown]
	s_cmp_eq_u32 s19, 46
	s_mov_b32 s22, 0
	s_cbranch_scc0 .LBB166_33
; %bb.25:
	global_load_b32 v2, v[0:1], off
	s_mov_b32 s20, -1
	s_mov_b32 s21, 0
	s_branch .LBB166_35
.LBB166_26:
	s_mov_b32 s0, 0
	s_mov_b32 s20, 0
	s_mov_b32 s21, 0
.LBB166_27:
	s_mov_b32 s25, 0
                                        ; implicit-def: $vgpr6
	s_branch .LBB166_401
.LBB166_28:
	s_mov_b32 s21, 0
	s_mov_b32 s20, 0
                                        ; implicit-def: $vgpr2
	s_cbranch_execnz .LBB166_100
	s_branch .LBB166_148
.LBB166_29:
	s_mov_b32 s22, -1
	s_mov_b32 s21, 0
	s_mov_b32 s20, 0
                                        ; implicit-def: $vgpr2
	s_branch .LBB166_64
.LBB166_30:
	s_mov_b32 s22, -1
	s_mov_b32 s21, 0
	s_mov_b32 s20, 0
                                        ; implicit-def: $vgpr2
	s_branch .LBB166_45
.LBB166_31:
	s_mov_b32 s22, -1
	s_mov_b32 s21, 0
	s_mov_b32 s20, 0
                                        ; implicit-def: $vgpr2
	s_branch .LBB166_40
.LBB166_32:
	s_mov_b32 s22, -1
	s_mov_b32 s21, 0
	s_branch .LBB166_34
.LBB166_33:
	s_mov_b32 s21, -1
.LBB166_34:
	s_mov_b32 s20, 0
                                        ; implicit-def: $vgpr2
.LBB166_35:
	s_and_b32 vcc_lo, exec_lo, s22
	s_cbranch_vccz .LBB166_39
; %bb.36:
	s_cmp_eq_u32 s19, 44
	s_cbranch_scc0 .LBB166_38
; %bb.37:
	s_wait_loadcnt 0x0
	global_load_u8 v2, v[0:1], off
	s_mov_b32 s21, 0
	s_mov_b32 s20, -1
	s_wait_loadcnt 0x0
	v_lshlrev_b32_e32 v3, 23, v2
	v_cmp_ne_u32_e32 vcc_lo, 0xff, v2
	s_delay_alu instid0(VALU_DEP_2) | instskip(SKIP_1) | instid1(VALU_DEP_2)
	v_cndmask_b32_e32 v3, 0x7f800001, v3, vcc_lo
	v_cmp_ne_u32_e32 vcc_lo, 0, v2
	v_cndmask_b32_e32 v2, 0x400000, v3, vcc_lo
	s_delay_alu instid0(VALU_DEP_1) | instskip(NEXT) | instid1(VALU_DEP_1)
	v_add_nc_u32_e32 v3, 0x7fff, v2
	v_lshrrev_b32_e32 v3, 16, v3
	v_cmp_o_f32_e32 vcc_lo, v2, v2
	s_delay_alu instid0(VALU_DEP_2)
	v_cndmask_b32_e32 v2, 0x7fc0, v3, vcc_lo
	s_branch .LBB166_39
.LBB166_38:
	s_mov_b32 s21, -1
                                        ; implicit-def: $vgpr2
.LBB166_39:
	s_mov_b32 s22, 0
.LBB166_40:
	s_delay_alu instid0(SALU_CYCLE_1)
	s_and_b32 vcc_lo, exec_lo, s22
	s_cbranch_vccz .LBB166_44
; %bb.41:
	s_cmp_eq_u32 s19, 29
	s_cbranch_scc0 .LBB166_43
; %bb.42:
	s_wait_loadcnt 0x0
	global_load_b64 v[2:3], v[0:1], off
	s_mov_b32 s20, -1
	s_mov_b32 s21, 0
	s_mov_b32 s22, 0
	s_wait_loadcnt 0x0
	v_clz_i32_u32_e32 v4, v3
	s_delay_alu instid0(VALU_DEP_1) | instskip(NEXT) | instid1(VALU_DEP_1)
	v_min_u32_e32 v4, 32, v4
	v_lshlrev_b64_e32 v[2:3], v4, v[2:3]
	s_delay_alu instid0(VALU_DEP_1) | instskip(NEXT) | instid1(VALU_DEP_1)
	v_min_u32_e32 v2, 1, v2
	v_dual_sub_nc_u32 v3, 32, v4 :: v_dual_bitop2_b32 v2, v3, v2 bitop3:0x54
	s_delay_alu instid0(VALU_DEP_1) | instskip(NEXT) | instid1(VALU_DEP_1)
	v_cvt_f32_u32_e32 v2, v2
	v_ldexp_f32 v2, v2, v3
	s_delay_alu instid0(VALU_DEP_1) | instskip(NEXT) | instid1(VALU_DEP_1)
	v_bfe_u32 v3, v2, 16, 1
	v_add3_u32 v2, v2, v3, 0x7fff
	s_delay_alu instid0(VALU_DEP_1)
	v_lshrrev_b32_e32 v2, 16, v2
	s_branch .LBB166_45
.LBB166_43:
	s_mov_b32 s21, -1
                                        ; implicit-def: $vgpr2
.LBB166_44:
	s_mov_b32 s22, 0
.LBB166_45:
	s_delay_alu instid0(SALU_CYCLE_1)
	s_and_b32 vcc_lo, exec_lo, s22
	s_cbranch_vccz .LBB166_63
; %bb.46:
	s_cmp_lt_i32 s19, 27
	s_cbranch_scc1 .LBB166_49
; %bb.47:
	s_cmp_gt_i32 s19, 27
	s_cbranch_scc0 .LBB166_50
; %bb.48:
	s_wait_loadcnt 0x0
	global_load_b32 v2, v[0:1], off
	s_mov_b32 s20, 0
	s_wait_loadcnt 0x0
	v_cvt_f32_u32_e32 v2, v2
	s_delay_alu instid0(VALU_DEP_1) | instskip(NEXT) | instid1(VALU_DEP_1)
	v_bfe_u32 v3, v2, 16, 1
	v_add3_u32 v2, v2, v3, 0x7fff
	s_delay_alu instid0(VALU_DEP_1)
	v_lshrrev_b32_e32 v2, 16, v2
	s_branch .LBB166_51
.LBB166_49:
	s_mov_b32 s20, -1
                                        ; implicit-def: $vgpr2
	s_branch .LBB166_54
.LBB166_50:
	s_mov_b32 s20, -1
                                        ; implicit-def: $vgpr2
.LBB166_51:
	s_delay_alu instid0(SALU_CYCLE_1)
	s_and_not1_b32 vcc_lo, exec_lo, s20
	s_cbranch_vccnz .LBB166_53
; %bb.52:
	s_wait_loadcnt 0x0
	global_load_u16 v2, v[0:1], off
	s_wait_loadcnt 0x0
	v_cvt_f32_u32_e32 v2, v2
	s_delay_alu instid0(VALU_DEP_1) | instskip(NEXT) | instid1(VALU_DEP_1)
	v_bfe_u32 v3, v2, 16, 1
	v_add3_u32 v2, v2, v3, 0x7fff
	s_delay_alu instid0(VALU_DEP_1)
	v_lshrrev_b32_e32 v2, 16, v2
.LBB166_53:
	s_mov_b32 s20, 0
.LBB166_54:
	s_delay_alu instid0(SALU_CYCLE_1)
	s_and_not1_b32 vcc_lo, exec_lo, s20
	s_cbranch_vccnz .LBB166_62
; %bb.55:
	s_wait_loadcnt 0x0
	global_load_u8 v2, v[0:1], off
	s_mov_b32 s20, 0
	s_mov_b32 s22, exec_lo
	s_wait_loadcnt 0x0
	v_cmpx_lt_i16_e32 0x7f, v2
	s_xor_b32 s22, exec_lo, s22
	s_cbranch_execz .LBB166_76
; %bb.56:
	s_mov_b32 s20, -1
	s_mov_b32 s25, exec_lo
	v_cmpx_eq_u16_e32 0x80, v2
; %bb.57:
	s_xor_b32 s20, exec_lo, -1
; %bb.58:
	s_or_b32 exec_lo, exec_lo, s25
	s_delay_alu instid0(SALU_CYCLE_1)
	s_and_b32 s20, s20, exec_lo
	s_or_saveexec_b32 s22, s22
	v_mov_b32_e32 v3, 0x7f800001
	s_xor_b32 exec_lo, exec_lo, s22
	s_cbranch_execnz .LBB166_77
.LBB166_59:
	s_or_b32 exec_lo, exec_lo, s22
	s_and_saveexec_b32 s22, s20
	s_cbranch_execz .LBB166_61
.LBB166_60:
	v_and_b32_e32 v3, 0xffff, v2
	s_delay_alu instid0(VALU_DEP_1) | instskip(SKIP_1) | instid1(VALU_DEP_2)
	v_and_b32_e32 v4, 7, v3
	v_bfe_u32 v8, v3, 3, 4
	v_clz_i32_u32_e32 v5, v4
	s_delay_alu instid0(VALU_DEP_2) | instskip(NEXT) | instid1(VALU_DEP_2)
	v_cmp_eq_u32_e32 vcc_lo, 0, v8
	v_min_u32_e32 v5, 32, v5
	s_delay_alu instid0(VALU_DEP_1) | instskip(NEXT) | instid1(VALU_DEP_1)
	v_subrev_nc_u32_e32 v7, 28, v5
	v_dual_lshlrev_b32 v3, v7, v3 :: v_dual_sub_nc_u32 v5, 29, v5
	s_delay_alu instid0(VALU_DEP_1) | instskip(NEXT) | instid1(VALU_DEP_2)
	v_dual_lshlrev_b32 v2, 24, v2 :: v_dual_bitop2_b32 v3, 7, v3 bitop3:0x40
	v_cndmask_b32_e32 v5, v8, v5, vcc_lo
	s_delay_alu instid0(VALU_DEP_2) | instskip(NEXT) | instid1(VALU_DEP_3)
	v_cndmask_b32_e32 v3, v4, v3, vcc_lo
	v_and_b32_e32 v2, 0x80000000, v2
	s_delay_alu instid0(VALU_DEP_3) | instskip(NEXT) | instid1(VALU_DEP_3)
	v_lshl_add_u32 v4, v5, 23, 0x3b800000
	v_lshlrev_b32_e32 v3, 20, v3
	s_delay_alu instid0(VALU_DEP_1)
	v_or3_b32 v3, v2, v4, v3
.LBB166_61:
	s_or_b32 exec_lo, exec_lo, s22
	s_delay_alu instid0(VALU_DEP_1) | instskip(SKIP_1) | instid1(VALU_DEP_2)
	v_bfe_u32 v2, v3, 16, 1
	v_cmp_o_f32_e32 vcc_lo, v3, v3
	v_add3_u32 v2, v3, v2, 0x7fff
	s_delay_alu instid0(VALU_DEP_1) | instskip(NEXT) | instid1(VALU_DEP_1)
	v_lshrrev_b32_e32 v2, 16, v2
	v_cndmask_b32_e32 v2, 0x7fc0, v2, vcc_lo
.LBB166_62:
	s_mov_b32 s20, -1
.LBB166_63:
	s_mov_b32 s22, 0
.LBB166_64:
	s_delay_alu instid0(SALU_CYCLE_1)
	s_and_b32 vcc_lo, exec_lo, s22
	s_cbranch_vccz .LBB166_99
; %bb.65:
	s_cmp_gt_i32 s19, 22
	s_cbranch_scc0 .LBB166_75
; %bb.66:
	s_cmp_lt_i32 s19, 24
	s_cbranch_scc1 .LBB166_78
; %bb.67:
	s_cmp_gt_i32 s19, 24
	s_cbranch_scc0 .LBB166_79
; %bb.68:
	s_wait_loadcnt 0x0
	global_load_u8 v2, v[0:1], off
	s_mov_b32 s20, 0
	s_mov_b32 s22, exec_lo
	s_wait_loadcnt 0x0
	v_cmpx_lt_i16_e32 0x7f, v2
	s_xor_b32 s22, exec_lo, s22
	s_cbranch_execz .LBB166_91
; %bb.69:
	s_mov_b32 s20, -1
	s_mov_b32 s25, exec_lo
	v_cmpx_eq_u16_e32 0x80, v2
; %bb.70:
	s_xor_b32 s20, exec_lo, -1
; %bb.71:
	s_or_b32 exec_lo, exec_lo, s25
	s_delay_alu instid0(SALU_CYCLE_1)
	s_and_b32 s20, s20, exec_lo
	s_or_saveexec_b32 s22, s22
	v_mov_b32_e32 v3, 0x7f800001
	s_xor_b32 exec_lo, exec_lo, s22
	s_cbranch_execnz .LBB166_92
.LBB166_72:
	s_or_b32 exec_lo, exec_lo, s22
	s_and_saveexec_b32 s22, s20
	s_cbranch_execz .LBB166_74
.LBB166_73:
	v_and_b32_e32 v3, 0xffff, v2
	s_delay_alu instid0(VALU_DEP_1) | instskip(SKIP_1) | instid1(VALU_DEP_2)
	v_and_b32_e32 v4, 3, v3
	v_bfe_u32 v8, v3, 2, 5
	v_clz_i32_u32_e32 v5, v4
	s_delay_alu instid0(VALU_DEP_2) | instskip(NEXT) | instid1(VALU_DEP_2)
	v_cmp_eq_u32_e32 vcc_lo, 0, v8
	v_min_u32_e32 v5, 32, v5
	s_delay_alu instid0(VALU_DEP_1) | instskip(NEXT) | instid1(VALU_DEP_1)
	v_subrev_nc_u32_e32 v7, 29, v5
	v_dual_lshlrev_b32 v3, v7, v3 :: v_dual_sub_nc_u32 v5, 30, v5
	s_delay_alu instid0(VALU_DEP_1) | instskip(NEXT) | instid1(VALU_DEP_2)
	v_dual_lshlrev_b32 v2, 24, v2 :: v_dual_bitop2_b32 v3, 3, v3 bitop3:0x40
	v_cndmask_b32_e32 v5, v8, v5, vcc_lo
	s_delay_alu instid0(VALU_DEP_2) | instskip(NEXT) | instid1(VALU_DEP_3)
	v_cndmask_b32_e32 v3, v4, v3, vcc_lo
	v_and_b32_e32 v2, 0x80000000, v2
	s_delay_alu instid0(VALU_DEP_3) | instskip(NEXT) | instid1(VALU_DEP_3)
	v_lshl_add_u32 v4, v5, 23, 0x37800000
	v_lshlrev_b32_e32 v3, 21, v3
	s_delay_alu instid0(VALU_DEP_1)
	v_or3_b32 v3, v2, v4, v3
.LBB166_74:
	s_or_b32 exec_lo, exec_lo, s22
	s_delay_alu instid0(VALU_DEP_1) | instskip(SKIP_2) | instid1(VALU_DEP_2)
	v_bfe_u32 v2, v3, 16, 1
	v_cmp_o_f32_e32 vcc_lo, v3, v3
	s_mov_b32 s20, 0
	v_add3_u32 v2, v3, v2, 0x7fff
	s_delay_alu instid0(VALU_DEP_1) | instskip(NEXT) | instid1(VALU_DEP_1)
	v_lshrrev_b32_e32 v2, 16, v2
	v_cndmask_b32_e32 v2, 0x7fc0, v2, vcc_lo
	s_branch .LBB166_80
.LBB166_75:
	s_mov_b32 s22, -1
                                        ; implicit-def: $vgpr2
	s_branch .LBB166_86
.LBB166_76:
	s_or_saveexec_b32 s22, s22
	v_mov_b32_e32 v3, 0x7f800001
	s_xor_b32 exec_lo, exec_lo, s22
	s_cbranch_execz .LBB166_59
.LBB166_77:
	v_cmp_ne_u16_e32 vcc_lo, 0, v2
	v_mov_b32_e32 v3, 0
	s_and_not1_b32 s20, s20, exec_lo
	s_and_b32 s25, vcc_lo, exec_lo
	s_delay_alu instid0(SALU_CYCLE_1)
	s_or_b32 s20, s20, s25
	s_or_b32 exec_lo, exec_lo, s22
	s_and_saveexec_b32 s22, s20
	s_cbranch_execnz .LBB166_60
	s_branch .LBB166_61
.LBB166_78:
	s_mov_b32 s20, -1
                                        ; implicit-def: $vgpr2
	s_branch .LBB166_83
.LBB166_79:
	s_mov_b32 s20, -1
                                        ; implicit-def: $vgpr2
.LBB166_80:
	s_delay_alu instid0(SALU_CYCLE_1)
	s_and_b32 vcc_lo, exec_lo, s20
	s_cbranch_vccz .LBB166_82
; %bb.81:
	s_wait_loadcnt 0x0
	global_load_u8 v2, v[0:1], off
	s_wait_loadcnt 0x0
	v_lshlrev_b32_e32 v2, 24, v2
	s_delay_alu instid0(VALU_DEP_1) | instskip(NEXT) | instid1(VALU_DEP_1)
	v_and_b32_e32 v3, 0x7f000000, v2
	v_clz_i32_u32_e32 v4, v3
	v_add_nc_u32_e32 v7, 0x1000000, v3
	v_cmp_ne_u32_e32 vcc_lo, 0, v3
	s_delay_alu instid0(VALU_DEP_3) | instskip(NEXT) | instid1(VALU_DEP_1)
	v_min_u32_e32 v4, 32, v4
	v_sub_nc_u32_e64 v4, v4, 4 clamp
	s_delay_alu instid0(VALU_DEP_1) | instskip(NEXT) | instid1(VALU_DEP_1)
	v_dual_lshlrev_b32 v5, v4, v3 :: v_dual_lshlrev_b32 v4, 23, v4
	v_lshrrev_b32_e32 v5, 4, v5
	s_delay_alu instid0(VALU_DEP_1) | instskip(NEXT) | instid1(VALU_DEP_1)
	v_dual_sub_nc_u32 v4, v5, v4 :: v_dual_ashrrev_i32 v5, 8, v7
	v_add_nc_u32_e32 v4, 0x3c000000, v4
	s_delay_alu instid0(VALU_DEP_1) | instskip(NEXT) | instid1(VALU_DEP_1)
	v_and_or_b32 v4, 0x7f800000, v5, v4
	v_cndmask_b32_e32 v3, 0, v4, vcc_lo
	s_delay_alu instid0(VALU_DEP_1) | instskip(SKIP_1) | instid1(VALU_DEP_2)
	v_and_or_b32 v2, 0x80000000, v2, v3
	v_bfe_u32 v3, v3, 16, 1
	v_cmp_o_f32_e32 vcc_lo, v2, v2
	s_delay_alu instid0(VALU_DEP_2) | instskip(NEXT) | instid1(VALU_DEP_1)
	v_add3_u32 v3, v2, v3, 0x7fff
	v_lshrrev_b32_e32 v3, 16, v3
	s_delay_alu instid0(VALU_DEP_1)
	v_cndmask_b32_e32 v2, 0x7fc0, v3, vcc_lo
.LBB166_82:
	s_mov_b32 s20, 0
.LBB166_83:
	s_delay_alu instid0(SALU_CYCLE_1)
	s_and_not1_b32 vcc_lo, exec_lo, s20
	s_cbranch_vccnz .LBB166_85
; %bb.84:
	s_wait_loadcnt 0x0
	global_load_u8 v2, v[0:1], off
	s_wait_loadcnt 0x0
	v_lshlrev_b32_e32 v3, 25, v2
	v_lshlrev_b16 v2, 8, v2
	s_delay_alu instid0(VALU_DEP_1) | instskip(SKIP_1) | instid1(VALU_DEP_2)
	v_and_or_b32 v5, 0x7f00, v2, 0.5
	v_bfe_i32 v2, v2, 0, 16
	v_dual_add_f32 v5, -0.5, v5 :: v_dual_lshrrev_b32 v4, 4, v3
	v_cmp_gt_u32_e32 vcc_lo, 0x8000000, v3
	s_delay_alu instid0(VALU_DEP_2) | instskip(NEXT) | instid1(VALU_DEP_1)
	v_or_b32_e32 v4, 0x70000000, v4
	v_mul_f32_e32 v4, 0x7800000, v4
	s_delay_alu instid0(VALU_DEP_1) | instskip(NEXT) | instid1(VALU_DEP_1)
	v_cndmask_b32_e32 v3, v4, v5, vcc_lo
	v_and_or_b32 v2, 0x80000000, v2, v3
	v_bfe_u32 v3, v3, 16, 1
	s_delay_alu instid0(VALU_DEP_2) | instskip(NEXT) | instid1(VALU_DEP_2)
	v_cmp_o_f32_e32 vcc_lo, v2, v2
	v_add3_u32 v3, v2, v3, 0x7fff
	s_delay_alu instid0(VALU_DEP_1) | instskip(NEXT) | instid1(VALU_DEP_1)
	v_lshrrev_b32_e32 v3, 16, v3
	v_cndmask_b32_e32 v2, 0x7fc0, v3, vcc_lo
.LBB166_85:
	s_mov_b32 s22, 0
	s_mov_b32 s20, -1
.LBB166_86:
	s_and_not1_b32 vcc_lo, exec_lo, s22
	s_cbranch_vccnz .LBB166_99
; %bb.87:
	s_cmp_gt_i32 s19, 14
	s_cbranch_scc0 .LBB166_90
; %bb.88:
	s_cmp_eq_u32 s19, 15
	s_cbranch_scc0 .LBB166_93
; %bb.89:
	s_wait_loadcnt 0x0
	global_load_u16 v2, v[0:1], off
	s_mov_b32 s20, -1
	s_mov_b32 s21, 0
	s_branch .LBB166_94
.LBB166_90:
	s_mov_b32 s22, -1
                                        ; implicit-def: $vgpr2
	s_branch .LBB166_95
.LBB166_91:
	s_or_saveexec_b32 s22, s22
	v_mov_b32_e32 v3, 0x7f800001
	s_xor_b32 exec_lo, exec_lo, s22
	s_cbranch_execz .LBB166_72
.LBB166_92:
	v_cmp_ne_u16_e32 vcc_lo, 0, v2
	v_mov_b32_e32 v3, 0
	s_and_not1_b32 s20, s20, exec_lo
	s_and_b32 s25, vcc_lo, exec_lo
	s_delay_alu instid0(SALU_CYCLE_1)
	s_or_b32 s20, s20, s25
	s_or_b32 exec_lo, exec_lo, s22
	s_and_saveexec_b32 s22, s20
	s_cbranch_execnz .LBB166_73
	s_branch .LBB166_74
.LBB166_93:
	s_mov_b32 s21, -1
                                        ; implicit-def: $vgpr2
.LBB166_94:
	s_mov_b32 s22, 0
.LBB166_95:
	s_delay_alu instid0(SALU_CYCLE_1)
	s_and_b32 vcc_lo, exec_lo, s22
	s_cbranch_vccz .LBB166_99
; %bb.96:
	s_cmp_eq_u32 s19, 11
	s_cbranch_scc0 .LBB166_98
; %bb.97:
	s_wait_loadcnt 0x0
	global_load_u8 v2, v[0:1], off
	s_mov_b32 s21, 0
	s_mov_b32 s20, -1
	s_wait_loadcnt 0x0
	v_cmp_ne_u16_e32 vcc_lo, 0, v2
	v_cndmask_b32_e64 v2, 0, 1.0, vcc_lo
	s_delay_alu instid0(VALU_DEP_1)
	v_lshrrev_b32_e32 v2, 16, v2
	s_branch .LBB166_99
.LBB166_98:
	s_mov_b32 s21, -1
                                        ; implicit-def: $vgpr2
.LBB166_99:
	s_branch .LBB166_148
.LBB166_100:
	s_and_b32 s0, 0xffff, s0
	s_delay_alu instid0(SALU_CYCLE_1)
	s_cmp_lt_i32 s0, 5
	s_cbranch_scc1 .LBB166_105
; %bb.101:
	s_cmp_lt_i32 s0, 8
	s_cbranch_scc1 .LBB166_106
; %bb.102:
	;; [unrolled: 3-line block ×3, first 2 shown]
	s_cmp_gt_i32 s0, 9
	s_cbranch_scc0 .LBB166_108
; %bb.104:
	s_wait_loadcnt 0x0
	global_load_b64 v[2:3], v[0:1], off
	s_mov_b32 s19, 0
	s_wait_loadcnt 0x0
	v_cvt_f32_f64_e32 v2, v[2:3]
	s_delay_alu instid0(VALU_DEP_1) | instskip(SKIP_1) | instid1(VALU_DEP_2)
	v_bfe_u32 v3, v2, 16, 1
	v_cmp_o_f32_e32 vcc_lo, v2, v2
	v_add3_u32 v3, v2, v3, 0x7fff
	s_delay_alu instid0(VALU_DEP_1) | instskip(NEXT) | instid1(VALU_DEP_1)
	v_lshrrev_b32_e32 v3, 16, v3
	v_cndmask_b32_e32 v2, 0x7fc0, v3, vcc_lo
	s_branch .LBB166_109
.LBB166_105:
	s_mov_b32 s19, -1
                                        ; implicit-def: $vgpr2
	s_branch .LBB166_127
.LBB166_106:
	s_mov_b32 s19, -1
                                        ; implicit-def: $vgpr2
	s_branch .LBB166_115
.LBB166_107:
	s_mov_b32 s19, -1
                                        ; implicit-def: $vgpr2
	s_branch .LBB166_112
.LBB166_108:
	s_mov_b32 s19, -1
                                        ; implicit-def: $vgpr2
.LBB166_109:
	s_delay_alu instid0(SALU_CYCLE_1)
	s_and_not1_b32 vcc_lo, exec_lo, s19
	s_cbranch_vccnz .LBB166_111
; %bb.110:
	s_wait_loadcnt 0x0
	global_load_b32 v2, v[0:1], off
	s_wait_loadcnt 0x0
	v_bfe_u32 v3, v2, 16, 1
	v_cmp_o_f32_e32 vcc_lo, v2, v2
	s_delay_alu instid0(VALU_DEP_2) | instskip(NEXT) | instid1(VALU_DEP_1)
	v_add3_u32 v3, v2, v3, 0x7fff
	v_lshrrev_b32_e32 v3, 16, v3
	s_delay_alu instid0(VALU_DEP_1)
	v_cndmask_b32_e32 v2, 0x7fc0, v3, vcc_lo
.LBB166_111:
	s_mov_b32 s19, 0
.LBB166_112:
	s_delay_alu instid0(SALU_CYCLE_1)
	s_and_not1_b32 vcc_lo, exec_lo, s19
	s_cbranch_vccnz .LBB166_114
; %bb.113:
	s_wait_loadcnt 0x0
	global_load_b32 v2, v[0:1], off
	s_wait_loadcnt 0x0
	v_cvt_f32_f16_e32 v3, v2
	v_cmp_o_f16_e32 vcc_lo, v2, v2
	s_delay_alu instid0(VALU_DEP_2) | instskip(NEXT) | instid1(VALU_DEP_1)
	v_bfe_u32 v4, v3, 16, 1
	v_add3_u32 v3, v3, v4, 0x7fff
	s_delay_alu instid0(VALU_DEP_1) | instskip(NEXT) | instid1(VALU_DEP_1)
	v_lshrrev_b32_e32 v3, 16, v3
	v_cndmask_b32_e32 v2, 0x7fc0, v3, vcc_lo
.LBB166_114:
	s_mov_b32 s19, 0
.LBB166_115:
	s_delay_alu instid0(SALU_CYCLE_1)
	s_and_not1_b32 vcc_lo, exec_lo, s19
	s_cbranch_vccnz .LBB166_126
; %bb.116:
	s_cmp_lt_i32 s0, 6
	s_cbranch_scc1 .LBB166_119
; %bb.117:
	s_cmp_gt_i32 s0, 6
	s_cbranch_scc0 .LBB166_120
; %bb.118:
	s_wait_loadcnt 0x0
	global_load_b64 v[2:3], v[0:1], off
	s_mov_b32 s19, 0
	s_wait_loadcnt 0x0
	v_cvt_f32_f64_e32 v2, v[2:3]
	s_delay_alu instid0(VALU_DEP_1) | instskip(SKIP_1) | instid1(VALU_DEP_2)
	v_bfe_u32 v3, v2, 16, 1
	v_cmp_o_f32_e32 vcc_lo, v2, v2
	v_add3_u32 v3, v2, v3, 0x7fff
	s_delay_alu instid0(VALU_DEP_1) | instskip(NEXT) | instid1(VALU_DEP_1)
	v_lshrrev_b32_e32 v3, 16, v3
	v_cndmask_b32_e32 v2, 0x7fc0, v3, vcc_lo
	s_branch .LBB166_121
.LBB166_119:
	s_mov_b32 s19, -1
                                        ; implicit-def: $vgpr2
	s_branch .LBB166_124
.LBB166_120:
	s_mov_b32 s19, -1
                                        ; implicit-def: $vgpr2
.LBB166_121:
	s_delay_alu instid0(SALU_CYCLE_1)
	s_and_not1_b32 vcc_lo, exec_lo, s19
	s_cbranch_vccnz .LBB166_123
; %bb.122:
	s_wait_loadcnt 0x0
	global_load_b32 v2, v[0:1], off
	s_wait_loadcnt 0x0
	v_bfe_u32 v3, v2, 16, 1
	v_cmp_o_f32_e32 vcc_lo, v2, v2
	s_delay_alu instid0(VALU_DEP_2) | instskip(NEXT) | instid1(VALU_DEP_1)
	v_add3_u32 v3, v2, v3, 0x7fff
	v_lshrrev_b32_e32 v3, 16, v3
	s_delay_alu instid0(VALU_DEP_1)
	v_cndmask_b32_e32 v2, 0x7fc0, v3, vcc_lo
.LBB166_123:
	s_mov_b32 s19, 0
.LBB166_124:
	s_delay_alu instid0(SALU_CYCLE_1)
	s_and_not1_b32 vcc_lo, exec_lo, s19
	s_cbranch_vccnz .LBB166_126
; %bb.125:
	s_wait_loadcnt 0x0
	global_load_u16 v2, v[0:1], off
	s_wait_loadcnt 0x0
	v_cvt_f32_f16_e32 v3, v2
	v_cmp_o_f16_e32 vcc_lo, v2, v2
	s_delay_alu instid0(VALU_DEP_2) | instskip(NEXT) | instid1(VALU_DEP_1)
	v_bfe_u32 v4, v3, 16, 1
	v_add3_u32 v3, v3, v4, 0x7fff
	s_delay_alu instid0(VALU_DEP_1) | instskip(NEXT) | instid1(VALU_DEP_1)
	v_lshrrev_b32_e32 v3, 16, v3
	v_cndmask_b32_e32 v2, 0x7fc0, v3, vcc_lo
.LBB166_126:
	s_mov_b32 s19, 0
.LBB166_127:
	s_delay_alu instid0(SALU_CYCLE_1)
	s_and_not1_b32 vcc_lo, exec_lo, s19
	s_cbranch_vccnz .LBB166_147
; %bb.128:
	s_cmp_lt_i32 s0, 2
	s_cbranch_scc1 .LBB166_132
; %bb.129:
	s_cmp_lt_i32 s0, 3
	s_cbranch_scc1 .LBB166_133
; %bb.130:
	s_cmp_gt_i32 s0, 3
	s_cbranch_scc0 .LBB166_134
; %bb.131:
	s_wait_loadcnt 0x0
	global_load_b64 v[2:3], v[0:1], off
	s_mov_b32 s19, 0
	s_wait_loadcnt 0x0
	v_xor_b32_e32 v4, v2, v3
	v_cls_i32_e32 v5, v3
	s_delay_alu instid0(VALU_DEP_2) | instskip(NEXT) | instid1(VALU_DEP_1)
	v_ashrrev_i32_e32 v4, 31, v4
	v_add_nc_u32_e32 v4, 32, v4
	s_delay_alu instid0(VALU_DEP_1) | instskip(NEXT) | instid1(VALU_DEP_1)
	v_add_min_u32_e64 v4, v5, -1, v4
	v_lshlrev_b64_e32 v[2:3], v4, v[2:3]
	s_delay_alu instid0(VALU_DEP_1) | instskip(NEXT) | instid1(VALU_DEP_1)
	v_min_u32_e32 v2, 1, v2
	v_dual_sub_nc_u32 v3, 32, v4 :: v_dual_bitop2_b32 v2, v3, v2 bitop3:0x54
	s_delay_alu instid0(VALU_DEP_1) | instskip(NEXT) | instid1(VALU_DEP_1)
	v_cvt_f32_i32_e32 v2, v2
	v_ldexp_f32 v2, v2, v3
	s_delay_alu instid0(VALU_DEP_1) | instskip(NEXT) | instid1(VALU_DEP_1)
	v_bfe_u32 v3, v2, 16, 1
	v_add3_u32 v2, v2, v3, 0x7fff
	s_delay_alu instid0(VALU_DEP_1)
	v_lshrrev_b32_e32 v2, 16, v2
	s_branch .LBB166_135
.LBB166_132:
	s_mov_b32 s19, -1
                                        ; implicit-def: $vgpr2
	s_branch .LBB166_141
.LBB166_133:
	s_mov_b32 s19, -1
                                        ; implicit-def: $vgpr2
	s_branch .LBB166_138
.LBB166_134:
	s_mov_b32 s19, -1
                                        ; implicit-def: $vgpr2
.LBB166_135:
	s_delay_alu instid0(SALU_CYCLE_1)
	s_and_not1_b32 vcc_lo, exec_lo, s19
	s_cbranch_vccnz .LBB166_137
; %bb.136:
	s_wait_loadcnt 0x0
	global_load_b32 v2, v[0:1], off
	s_wait_loadcnt 0x0
	v_cvt_f32_i32_e32 v2, v2
	s_delay_alu instid0(VALU_DEP_1) | instskip(NEXT) | instid1(VALU_DEP_1)
	v_bfe_u32 v3, v2, 16, 1
	v_add3_u32 v2, v2, v3, 0x7fff
	s_delay_alu instid0(VALU_DEP_1)
	v_lshrrev_b32_e32 v2, 16, v2
.LBB166_137:
	s_mov_b32 s19, 0
.LBB166_138:
	s_delay_alu instid0(SALU_CYCLE_1)
	s_and_not1_b32 vcc_lo, exec_lo, s19
	s_cbranch_vccnz .LBB166_140
; %bb.139:
	s_wait_loadcnt 0x0
	global_load_i16 v2, v[0:1], off
	s_wait_loadcnt 0x0
	v_cvt_f32_i32_e32 v2, v2
	s_delay_alu instid0(VALU_DEP_1) | instskip(NEXT) | instid1(VALU_DEP_1)
	v_bfe_u32 v3, v2, 16, 1
	v_add3_u32 v2, v2, v3, 0x7fff
	s_delay_alu instid0(VALU_DEP_1)
	v_lshrrev_b32_e32 v2, 16, v2
.LBB166_140:
	s_mov_b32 s19, 0
.LBB166_141:
	s_delay_alu instid0(SALU_CYCLE_1)
	s_and_not1_b32 vcc_lo, exec_lo, s19
	s_cbranch_vccnz .LBB166_147
; %bb.142:
	s_cmp_gt_i32 s0, 0
	s_mov_b32 s0, 0
	s_cbranch_scc0 .LBB166_144
; %bb.143:
	s_wait_loadcnt 0x0
	global_load_i8 v2, v[0:1], off
	s_wait_loadcnt 0x0
	v_cvt_f32_i32_e32 v2, v2
	s_delay_alu instid0(VALU_DEP_1) | instskip(NEXT) | instid1(VALU_DEP_1)
	v_bfe_u32 v3, v2, 16, 1
	v_add3_u32 v2, v2, v3, 0x7fff
	s_delay_alu instid0(VALU_DEP_1)
	v_lshrrev_b32_e32 v2, 16, v2
	s_branch .LBB166_145
.LBB166_144:
	s_mov_b32 s0, -1
                                        ; implicit-def: $vgpr2
.LBB166_145:
	s_delay_alu instid0(SALU_CYCLE_1)
	s_and_not1_b32 vcc_lo, exec_lo, s0
	s_cbranch_vccnz .LBB166_147
; %bb.146:
	global_load_u8 v0, v[0:1], off
	s_wait_loadcnt 0x0
	v_cvt_f32_ubyte0_e32 v0, v0
	s_delay_alu instid0(VALU_DEP_1) | instskip(NEXT) | instid1(VALU_DEP_1)
	v_bfe_u32 v1, v0, 16, 1
	v_add3_u32 v0, v0, v1, 0x7fff
	s_delay_alu instid0(VALU_DEP_1)
	v_lshrrev_b32_e32 v2, 16, v0
.LBB166_147:
	s_mov_b32 s20, -1
.LBB166_148:
	s_mov_b32 s22, 0
	s_mov_b32 s0, 0
	s_and_not1_b32 vcc_lo, exec_lo, s20
	s_mov_b32 s20, 0
	s_mov_b32 s25, 0
	s_cbranch_vccnz .LBB166_401
; %bb.149:
	s_wait_xcnt 0x0
	v_mul_lo_u32 v0, v6, s9
	s_and_b32 s0, 0xffff, s10
	s_delay_alu instid0(SALU_CYCLE_1) | instskip(NEXT) | instid1(VALU_DEP_1)
	s_cmp_lt_i32 s0, 11
	v_ashrrev_i32_e32 v1, 31, v0
	s_delay_alu instid0(VALU_DEP_1)
	v_add_nc_u64_e32 v[0:1], s[6:7], v[0:1]
	s_cbranch_scc1 .LBB166_156
; %bb.150:
	s_cmp_gt_i32 s0, 25
	s_cbranch_scc0 .LBB166_157
; %bb.151:
	s_cmp_gt_i32 s0, 28
	s_cbranch_scc0 .LBB166_158
	;; [unrolled: 3-line block ×4, first 2 shown]
; %bb.154:
	s_cmp_eq_u32 s0, 46
	s_cbranch_scc0 .LBB166_161
; %bb.155:
	global_load_b32 v3, v[0:1], off
	s_mov_b32 s19, -1
	s_branch .LBB166_163
.LBB166_156:
	s_mov_b32 s25, -1
	s_mov_b32 s19, 0
                                        ; implicit-def: $vgpr3
	s_branch .LBB166_228
.LBB166_157:
	s_mov_b32 s25, -1
	s_mov_b32 s19, 0
                                        ; implicit-def: $vgpr3
	s_branch .LBB166_192
.LBB166_158:
	s_mov_b32 s25, -1
	s_mov_b32 s19, 0
                                        ; implicit-def: $vgpr3
	s_branch .LBB166_173
.LBB166_159:
	s_mov_b32 s25, -1
	s_mov_b32 s19, 0
                                        ; implicit-def: $vgpr3
	s_branch .LBB166_168
.LBB166_160:
	s_mov_b32 s25, -1
	s_branch .LBB166_162
.LBB166_161:
	s_mov_b32 s20, -1
.LBB166_162:
	s_mov_b32 s19, 0
                                        ; implicit-def: $vgpr3
.LBB166_163:
	s_and_b32 vcc_lo, exec_lo, s25
	s_cbranch_vccz .LBB166_167
; %bb.164:
	s_cmp_eq_u32 s0, 44
	s_cbranch_scc0 .LBB166_166
; %bb.165:
	s_wait_loadcnt 0x0
	global_load_u8 v3, v[0:1], off
	s_mov_b32 s20, 0
	s_mov_b32 s19, -1
	s_wait_loadcnt 0x0
	v_lshlrev_b32_e32 v4, 23, v3
	v_cmp_ne_u32_e32 vcc_lo, 0xff, v3
	s_delay_alu instid0(VALU_DEP_2) | instskip(SKIP_1) | instid1(VALU_DEP_2)
	v_cndmask_b32_e32 v4, 0x7f800001, v4, vcc_lo
	v_cmp_ne_u32_e32 vcc_lo, 0, v3
	v_cndmask_b32_e32 v3, 0x400000, v4, vcc_lo
	s_delay_alu instid0(VALU_DEP_1) | instskip(NEXT) | instid1(VALU_DEP_1)
	v_add_nc_u32_e32 v4, 0x7fff, v3
	v_lshrrev_b32_e32 v4, 16, v4
	v_cmp_o_f32_e32 vcc_lo, v3, v3
	s_delay_alu instid0(VALU_DEP_2)
	v_cndmask_b32_e32 v3, 0x7fc0, v4, vcc_lo
	s_branch .LBB166_167
.LBB166_166:
	s_mov_b32 s20, -1
                                        ; implicit-def: $vgpr3
.LBB166_167:
	s_mov_b32 s25, 0
.LBB166_168:
	s_delay_alu instid0(SALU_CYCLE_1)
	s_and_b32 vcc_lo, exec_lo, s25
	s_cbranch_vccz .LBB166_172
; %bb.169:
	s_cmp_eq_u32 s0, 29
	s_cbranch_scc0 .LBB166_171
; %bb.170:
	global_load_b64 v[4:5], v[0:1], off
	s_mov_b32 s19, -1
	s_mov_b32 s20, 0
	s_mov_b32 s25, 0
	s_wait_loadcnt 0x0
	v_clz_i32_u32_e32 v3, v5
	s_delay_alu instid0(VALU_DEP_1) | instskip(NEXT) | instid1(VALU_DEP_1)
	v_min_u32_e32 v3, 32, v3
	v_lshlrev_b64_e32 v[4:5], v3, v[4:5]
	v_sub_nc_u32_e32 v3, 32, v3
	s_delay_alu instid0(VALU_DEP_2) | instskip(NEXT) | instid1(VALU_DEP_1)
	v_min_u32_e32 v4, 1, v4
	v_or_b32_e32 v4, v5, v4
	s_delay_alu instid0(VALU_DEP_1) | instskip(NEXT) | instid1(VALU_DEP_1)
	v_cvt_f32_u32_e32 v4, v4
	v_ldexp_f32 v3, v4, v3
	s_delay_alu instid0(VALU_DEP_1) | instskip(NEXT) | instid1(VALU_DEP_1)
	v_bfe_u32 v4, v3, 16, 1
	v_add3_u32 v3, v3, v4, 0x7fff
	s_delay_alu instid0(VALU_DEP_1)
	v_lshrrev_b32_e32 v3, 16, v3
	s_branch .LBB166_173
.LBB166_171:
	s_mov_b32 s20, -1
                                        ; implicit-def: $vgpr3
.LBB166_172:
	s_mov_b32 s25, 0
.LBB166_173:
	s_delay_alu instid0(SALU_CYCLE_1)
	s_and_b32 vcc_lo, exec_lo, s25
	s_cbranch_vccz .LBB166_191
; %bb.174:
	s_cmp_lt_i32 s0, 27
	s_cbranch_scc1 .LBB166_177
; %bb.175:
	s_cmp_gt_i32 s0, 27
	s_cbranch_scc0 .LBB166_178
; %bb.176:
	s_wait_loadcnt 0x0
	global_load_b32 v3, v[0:1], off
	s_mov_b32 s19, 0
	s_wait_loadcnt 0x0
	v_cvt_f32_u32_e32 v3, v3
	s_delay_alu instid0(VALU_DEP_1) | instskip(NEXT) | instid1(VALU_DEP_1)
	v_bfe_u32 v4, v3, 16, 1
	v_add3_u32 v3, v3, v4, 0x7fff
	s_delay_alu instid0(VALU_DEP_1)
	v_lshrrev_b32_e32 v3, 16, v3
	s_branch .LBB166_179
.LBB166_177:
	s_mov_b32 s19, -1
                                        ; implicit-def: $vgpr3
	s_branch .LBB166_182
.LBB166_178:
	s_mov_b32 s19, -1
                                        ; implicit-def: $vgpr3
.LBB166_179:
	s_delay_alu instid0(SALU_CYCLE_1)
	s_and_not1_b32 vcc_lo, exec_lo, s19
	s_cbranch_vccnz .LBB166_181
; %bb.180:
	s_wait_loadcnt 0x0
	global_load_u16 v3, v[0:1], off
	s_wait_loadcnt 0x0
	v_cvt_f32_u32_e32 v3, v3
	s_delay_alu instid0(VALU_DEP_1) | instskip(NEXT) | instid1(VALU_DEP_1)
	v_bfe_u32 v4, v3, 16, 1
	v_add3_u32 v3, v3, v4, 0x7fff
	s_delay_alu instid0(VALU_DEP_1)
	v_lshrrev_b32_e32 v3, 16, v3
.LBB166_181:
	s_mov_b32 s19, 0
.LBB166_182:
	s_delay_alu instid0(SALU_CYCLE_1)
	s_and_not1_b32 vcc_lo, exec_lo, s19
	s_cbranch_vccnz .LBB166_190
; %bb.183:
	s_wait_loadcnt 0x0
	global_load_u8 v3, v[0:1], off
	s_mov_b32 s19, 0
	s_mov_b32 s25, exec_lo
	s_wait_loadcnt 0x0
	v_cmpx_lt_i16_e32 0x7f, v3
	s_xor_b32 s25, exec_lo, s25
	s_cbranch_execz .LBB166_204
; %bb.184:
	s_mov_b32 s19, -1
	s_mov_b32 s26, exec_lo
	v_cmpx_eq_u16_e32 0x80, v3
; %bb.185:
	s_xor_b32 s19, exec_lo, -1
; %bb.186:
	s_or_b32 exec_lo, exec_lo, s26
	s_delay_alu instid0(SALU_CYCLE_1)
	s_and_b32 s19, s19, exec_lo
	s_or_saveexec_b32 s25, s25
	v_mov_b32_e32 v4, 0x7f800001
	s_xor_b32 exec_lo, exec_lo, s25
	s_cbranch_execnz .LBB166_205
.LBB166_187:
	s_or_b32 exec_lo, exec_lo, s25
	s_and_saveexec_b32 s25, s19
	s_cbranch_execz .LBB166_189
.LBB166_188:
	v_and_b32_e32 v4, 0xffff, v3
	s_delay_alu instid0(VALU_DEP_1) | instskip(SKIP_1) | instid1(VALU_DEP_2)
	v_and_b32_e32 v5, 7, v4
	v_bfe_u32 v9, v4, 3, 4
	v_clz_i32_u32_e32 v7, v5
	s_delay_alu instid0(VALU_DEP_2) | instskip(NEXT) | instid1(VALU_DEP_2)
	v_cmp_eq_u32_e32 vcc_lo, 0, v9
	v_min_u32_e32 v7, 32, v7
	s_delay_alu instid0(VALU_DEP_1) | instskip(NEXT) | instid1(VALU_DEP_1)
	v_subrev_nc_u32_e32 v8, 28, v7
	v_dual_lshlrev_b32 v4, v8, v4 :: v_dual_sub_nc_u32 v7, 29, v7
	s_delay_alu instid0(VALU_DEP_1) | instskip(NEXT) | instid1(VALU_DEP_1)
	v_dual_lshlrev_b32 v3, 24, v3 :: v_dual_bitop2_b32 v4, 7, v4 bitop3:0x40
	v_cndmask_b32_e32 v4, v5, v4, vcc_lo
	s_delay_alu instid0(VALU_DEP_3) | instskip(NEXT) | instid1(VALU_DEP_3)
	v_cndmask_b32_e32 v7, v9, v7, vcc_lo
	v_and_b32_e32 v3, 0x80000000, v3
	s_delay_alu instid0(VALU_DEP_3) | instskip(NEXT) | instid1(VALU_DEP_3)
	v_lshlrev_b32_e32 v4, 20, v4
	v_lshl_add_u32 v5, v7, 23, 0x3b800000
	s_delay_alu instid0(VALU_DEP_1)
	v_or3_b32 v4, v3, v5, v4
.LBB166_189:
	s_or_b32 exec_lo, exec_lo, s25
	s_delay_alu instid0(VALU_DEP_1) | instskip(SKIP_1) | instid1(VALU_DEP_2)
	v_bfe_u32 v3, v4, 16, 1
	v_cmp_o_f32_e32 vcc_lo, v4, v4
	v_add3_u32 v3, v4, v3, 0x7fff
	s_delay_alu instid0(VALU_DEP_1) | instskip(NEXT) | instid1(VALU_DEP_1)
	v_lshrrev_b32_e32 v3, 16, v3
	v_cndmask_b32_e32 v3, 0x7fc0, v3, vcc_lo
.LBB166_190:
	s_mov_b32 s19, -1
.LBB166_191:
	s_mov_b32 s25, 0
.LBB166_192:
	s_delay_alu instid0(SALU_CYCLE_1)
	s_and_b32 vcc_lo, exec_lo, s25
	s_cbranch_vccz .LBB166_227
; %bb.193:
	s_cmp_gt_i32 s0, 22
	s_cbranch_scc0 .LBB166_203
; %bb.194:
	s_cmp_lt_i32 s0, 24
	s_cbranch_scc1 .LBB166_206
; %bb.195:
	s_cmp_gt_i32 s0, 24
	s_cbranch_scc0 .LBB166_207
; %bb.196:
	s_wait_loadcnt 0x0
	global_load_u8 v3, v[0:1], off
	s_mov_b32 s19, 0
	s_mov_b32 s25, exec_lo
	s_wait_loadcnt 0x0
	v_cmpx_lt_i16_e32 0x7f, v3
	s_xor_b32 s25, exec_lo, s25
	s_cbranch_execz .LBB166_219
; %bb.197:
	s_mov_b32 s19, -1
	s_mov_b32 s26, exec_lo
	v_cmpx_eq_u16_e32 0x80, v3
; %bb.198:
	s_xor_b32 s19, exec_lo, -1
; %bb.199:
	s_or_b32 exec_lo, exec_lo, s26
	s_delay_alu instid0(SALU_CYCLE_1)
	s_and_b32 s19, s19, exec_lo
	s_or_saveexec_b32 s25, s25
	v_mov_b32_e32 v4, 0x7f800001
	s_xor_b32 exec_lo, exec_lo, s25
	s_cbranch_execnz .LBB166_220
.LBB166_200:
	s_or_b32 exec_lo, exec_lo, s25
	s_and_saveexec_b32 s25, s19
	s_cbranch_execz .LBB166_202
.LBB166_201:
	v_and_b32_e32 v4, 0xffff, v3
	s_delay_alu instid0(VALU_DEP_1) | instskip(SKIP_1) | instid1(VALU_DEP_2)
	v_and_b32_e32 v5, 3, v4
	v_bfe_u32 v9, v4, 2, 5
	v_clz_i32_u32_e32 v7, v5
	s_delay_alu instid0(VALU_DEP_2) | instskip(NEXT) | instid1(VALU_DEP_2)
	v_cmp_eq_u32_e32 vcc_lo, 0, v9
	v_min_u32_e32 v7, 32, v7
	s_delay_alu instid0(VALU_DEP_1) | instskip(NEXT) | instid1(VALU_DEP_1)
	v_subrev_nc_u32_e32 v8, 29, v7
	v_dual_lshlrev_b32 v4, v8, v4 :: v_dual_sub_nc_u32 v7, 30, v7
	s_delay_alu instid0(VALU_DEP_1) | instskip(NEXT) | instid1(VALU_DEP_1)
	v_dual_lshlrev_b32 v3, 24, v3 :: v_dual_bitop2_b32 v4, 3, v4 bitop3:0x40
	v_cndmask_b32_e32 v4, v5, v4, vcc_lo
	s_delay_alu instid0(VALU_DEP_3) | instskip(NEXT) | instid1(VALU_DEP_3)
	v_cndmask_b32_e32 v7, v9, v7, vcc_lo
	v_and_b32_e32 v3, 0x80000000, v3
	s_delay_alu instid0(VALU_DEP_3) | instskip(NEXT) | instid1(VALU_DEP_3)
	v_lshlrev_b32_e32 v4, 21, v4
	v_lshl_add_u32 v5, v7, 23, 0x37800000
	s_delay_alu instid0(VALU_DEP_1)
	v_or3_b32 v4, v3, v5, v4
.LBB166_202:
	s_or_b32 exec_lo, exec_lo, s25
	s_delay_alu instid0(VALU_DEP_1) | instskip(SKIP_2) | instid1(VALU_DEP_2)
	v_bfe_u32 v3, v4, 16, 1
	v_cmp_o_f32_e32 vcc_lo, v4, v4
	s_mov_b32 s19, 0
	v_add3_u32 v3, v4, v3, 0x7fff
	s_delay_alu instid0(VALU_DEP_1) | instskip(NEXT) | instid1(VALU_DEP_1)
	v_lshrrev_b32_e32 v3, 16, v3
	v_cndmask_b32_e32 v3, 0x7fc0, v3, vcc_lo
	s_branch .LBB166_208
.LBB166_203:
	s_mov_b32 s25, -1
                                        ; implicit-def: $vgpr3
	s_branch .LBB166_214
.LBB166_204:
	s_or_saveexec_b32 s25, s25
	v_mov_b32_e32 v4, 0x7f800001
	s_xor_b32 exec_lo, exec_lo, s25
	s_cbranch_execz .LBB166_187
.LBB166_205:
	v_cmp_ne_u16_e32 vcc_lo, 0, v3
	v_mov_b32_e32 v4, 0
	s_and_not1_b32 s19, s19, exec_lo
	s_and_b32 s26, vcc_lo, exec_lo
	s_delay_alu instid0(SALU_CYCLE_1)
	s_or_b32 s19, s19, s26
	s_or_b32 exec_lo, exec_lo, s25
	s_and_saveexec_b32 s25, s19
	s_cbranch_execnz .LBB166_188
	s_branch .LBB166_189
.LBB166_206:
	s_mov_b32 s19, -1
                                        ; implicit-def: $vgpr3
	s_branch .LBB166_211
.LBB166_207:
	s_mov_b32 s19, -1
                                        ; implicit-def: $vgpr3
.LBB166_208:
	s_delay_alu instid0(SALU_CYCLE_1)
	s_and_b32 vcc_lo, exec_lo, s19
	s_cbranch_vccz .LBB166_210
; %bb.209:
	s_wait_loadcnt 0x0
	global_load_u8 v3, v[0:1], off
	s_wait_loadcnt 0x0
	v_lshlrev_b32_e32 v3, 24, v3
	s_delay_alu instid0(VALU_DEP_1) | instskip(NEXT) | instid1(VALU_DEP_1)
	v_and_b32_e32 v4, 0x7f000000, v3
	v_clz_i32_u32_e32 v5, v4
	v_add_nc_u32_e32 v8, 0x1000000, v4
	v_cmp_ne_u32_e32 vcc_lo, 0, v4
	s_delay_alu instid0(VALU_DEP_3) | instskip(NEXT) | instid1(VALU_DEP_1)
	v_min_u32_e32 v5, 32, v5
	v_sub_nc_u32_e64 v5, v5, 4 clamp
	s_delay_alu instid0(VALU_DEP_1) | instskip(NEXT) | instid1(VALU_DEP_1)
	v_dual_lshlrev_b32 v7, v5, v4 :: v_dual_lshlrev_b32 v5, 23, v5
	v_lshrrev_b32_e32 v7, 4, v7
	s_delay_alu instid0(VALU_DEP_1) | instskip(NEXT) | instid1(VALU_DEP_1)
	v_dual_sub_nc_u32 v5, v7, v5 :: v_dual_ashrrev_i32 v7, 8, v8
	v_add_nc_u32_e32 v5, 0x3c000000, v5
	s_delay_alu instid0(VALU_DEP_1) | instskip(NEXT) | instid1(VALU_DEP_1)
	v_and_or_b32 v5, 0x7f800000, v7, v5
	v_cndmask_b32_e32 v4, 0, v5, vcc_lo
	s_delay_alu instid0(VALU_DEP_1) | instskip(SKIP_1) | instid1(VALU_DEP_2)
	v_and_or_b32 v3, 0x80000000, v3, v4
	v_bfe_u32 v4, v4, 16, 1
	v_cmp_o_f32_e32 vcc_lo, v3, v3
	s_delay_alu instid0(VALU_DEP_2) | instskip(NEXT) | instid1(VALU_DEP_1)
	v_add3_u32 v4, v3, v4, 0x7fff
	v_lshrrev_b32_e32 v4, 16, v4
	s_delay_alu instid0(VALU_DEP_1)
	v_cndmask_b32_e32 v3, 0x7fc0, v4, vcc_lo
.LBB166_210:
	s_mov_b32 s19, 0
.LBB166_211:
	s_delay_alu instid0(SALU_CYCLE_1)
	s_and_not1_b32 vcc_lo, exec_lo, s19
	s_cbranch_vccnz .LBB166_213
; %bb.212:
	s_wait_loadcnt 0x0
	global_load_u8 v3, v[0:1], off
	s_wait_loadcnt 0x0
	v_lshlrev_b32_e32 v4, 25, v3
	v_lshlrev_b16 v3, 8, v3
	s_delay_alu instid0(VALU_DEP_1) | instskip(NEXT) | instid1(VALU_DEP_3)
	v_and_or_b32 v7, 0x7f00, v3, 0.5
	v_lshrrev_b32_e32 v5, 4, v4
	v_bfe_i32 v3, v3, 0, 16
	s_delay_alu instid0(VALU_DEP_3) | instskip(NEXT) | instid1(VALU_DEP_3)
	v_add_f32_e32 v7, -0.5, v7
	v_or_b32_e32 v5, 0x70000000, v5
	s_delay_alu instid0(VALU_DEP_1) | instskip(SKIP_1) | instid1(VALU_DEP_2)
	v_mul_f32_e32 v5, 0x7800000, v5
	v_cmp_gt_u32_e32 vcc_lo, 0x8000000, v4
	v_cndmask_b32_e32 v4, v5, v7, vcc_lo
	s_delay_alu instid0(VALU_DEP_1) | instskip(SKIP_1) | instid1(VALU_DEP_2)
	v_and_or_b32 v3, 0x80000000, v3, v4
	v_bfe_u32 v4, v4, 16, 1
	v_cmp_o_f32_e32 vcc_lo, v3, v3
	s_delay_alu instid0(VALU_DEP_2) | instskip(NEXT) | instid1(VALU_DEP_1)
	v_add3_u32 v4, v3, v4, 0x7fff
	v_lshrrev_b32_e32 v4, 16, v4
	s_delay_alu instid0(VALU_DEP_1)
	v_cndmask_b32_e32 v3, 0x7fc0, v4, vcc_lo
.LBB166_213:
	s_mov_b32 s25, 0
	s_mov_b32 s19, -1
.LBB166_214:
	s_and_not1_b32 vcc_lo, exec_lo, s25
	s_cbranch_vccnz .LBB166_227
; %bb.215:
	s_cmp_gt_i32 s0, 14
	s_cbranch_scc0 .LBB166_218
; %bb.216:
	s_cmp_eq_u32 s0, 15
	s_cbranch_scc0 .LBB166_221
; %bb.217:
	s_wait_loadcnt 0x0
	global_load_u16 v3, v[0:1], off
	s_mov_b32 s19, -1
	s_mov_b32 s20, 0
	s_branch .LBB166_222
.LBB166_218:
	s_mov_b32 s25, -1
                                        ; implicit-def: $vgpr3
	s_branch .LBB166_223
.LBB166_219:
	s_or_saveexec_b32 s25, s25
	v_mov_b32_e32 v4, 0x7f800001
	s_xor_b32 exec_lo, exec_lo, s25
	s_cbranch_execz .LBB166_200
.LBB166_220:
	v_cmp_ne_u16_e32 vcc_lo, 0, v3
	v_mov_b32_e32 v4, 0
	s_and_not1_b32 s19, s19, exec_lo
	s_and_b32 s26, vcc_lo, exec_lo
	s_delay_alu instid0(SALU_CYCLE_1)
	s_or_b32 s19, s19, s26
	s_or_b32 exec_lo, exec_lo, s25
	s_and_saveexec_b32 s25, s19
	s_cbranch_execnz .LBB166_201
	s_branch .LBB166_202
.LBB166_221:
	s_mov_b32 s20, -1
                                        ; implicit-def: $vgpr3
.LBB166_222:
	s_mov_b32 s25, 0
.LBB166_223:
	s_delay_alu instid0(SALU_CYCLE_1)
	s_and_b32 vcc_lo, exec_lo, s25
	s_cbranch_vccz .LBB166_227
; %bb.224:
	s_cmp_eq_u32 s0, 11
	s_cbranch_scc0 .LBB166_226
; %bb.225:
	s_wait_loadcnt 0x0
	global_load_u8 v3, v[0:1], off
	s_mov_b32 s20, 0
	s_mov_b32 s19, -1
	s_wait_loadcnt 0x0
	v_cmp_ne_u16_e32 vcc_lo, 0, v3
	v_cndmask_b32_e64 v3, 0, 1.0, vcc_lo
	s_delay_alu instid0(VALU_DEP_1)
	v_lshrrev_b32_e32 v3, 16, v3
	s_branch .LBB166_227
.LBB166_226:
	s_mov_b32 s20, -1
                                        ; implicit-def: $vgpr3
.LBB166_227:
	s_mov_b32 s25, 0
.LBB166_228:
	s_delay_alu instid0(SALU_CYCLE_1)
	s_and_b32 vcc_lo, exec_lo, s25
	s_cbranch_vccz .LBB166_277
; %bb.229:
	s_cmp_lt_i32 s0, 5
	s_cbranch_scc1 .LBB166_234
; %bb.230:
	s_cmp_lt_i32 s0, 8
	s_cbranch_scc1 .LBB166_235
	;; [unrolled: 3-line block ×3, first 2 shown]
; %bb.232:
	s_cmp_gt_i32 s0, 9
	s_cbranch_scc0 .LBB166_237
; %bb.233:
	global_load_b64 v[4:5], v[0:1], off
	s_mov_b32 s19, 0
	s_wait_loadcnt 0x0
	v_cvt_f32_f64_e32 v3, v[4:5]
	s_delay_alu instid0(VALU_DEP_1) | instskip(SKIP_1) | instid1(VALU_DEP_2)
	v_bfe_u32 v4, v3, 16, 1
	v_cmp_o_f32_e32 vcc_lo, v3, v3
	v_add3_u32 v4, v3, v4, 0x7fff
	s_delay_alu instid0(VALU_DEP_1) | instskip(NEXT) | instid1(VALU_DEP_1)
	v_lshrrev_b32_e32 v4, 16, v4
	v_cndmask_b32_e32 v3, 0x7fc0, v4, vcc_lo
	s_branch .LBB166_238
.LBB166_234:
	s_mov_b32 s19, -1
                                        ; implicit-def: $vgpr3
	s_branch .LBB166_256
.LBB166_235:
	s_mov_b32 s19, -1
                                        ; implicit-def: $vgpr3
	s_branch .LBB166_244
.LBB166_236:
	s_mov_b32 s19, -1
                                        ; implicit-def: $vgpr3
	s_branch .LBB166_241
.LBB166_237:
	s_mov_b32 s19, -1
                                        ; implicit-def: $vgpr3
.LBB166_238:
	s_delay_alu instid0(SALU_CYCLE_1)
	s_and_not1_b32 vcc_lo, exec_lo, s19
	s_cbranch_vccnz .LBB166_240
; %bb.239:
	s_wait_loadcnt 0x0
	global_load_b32 v3, v[0:1], off
	s_wait_loadcnt 0x0
	v_bfe_u32 v4, v3, 16, 1
	v_cmp_o_f32_e32 vcc_lo, v3, v3
	s_delay_alu instid0(VALU_DEP_2) | instskip(NEXT) | instid1(VALU_DEP_1)
	v_add3_u32 v4, v3, v4, 0x7fff
	v_lshrrev_b32_e32 v4, 16, v4
	s_delay_alu instid0(VALU_DEP_1)
	v_cndmask_b32_e32 v3, 0x7fc0, v4, vcc_lo
.LBB166_240:
	s_mov_b32 s19, 0
.LBB166_241:
	s_delay_alu instid0(SALU_CYCLE_1)
	s_and_not1_b32 vcc_lo, exec_lo, s19
	s_cbranch_vccnz .LBB166_243
; %bb.242:
	s_wait_loadcnt 0x0
	global_load_b32 v3, v[0:1], off
	s_wait_loadcnt 0x0
	v_cvt_f32_f16_e32 v4, v3
	v_cmp_o_f16_e32 vcc_lo, v3, v3
	s_delay_alu instid0(VALU_DEP_2) | instskip(NEXT) | instid1(VALU_DEP_1)
	v_bfe_u32 v5, v4, 16, 1
	v_add3_u32 v4, v4, v5, 0x7fff
	s_delay_alu instid0(VALU_DEP_1) | instskip(NEXT) | instid1(VALU_DEP_1)
	v_lshrrev_b32_e32 v4, 16, v4
	v_cndmask_b32_e32 v3, 0x7fc0, v4, vcc_lo
.LBB166_243:
	s_mov_b32 s19, 0
.LBB166_244:
	s_delay_alu instid0(SALU_CYCLE_1)
	s_and_not1_b32 vcc_lo, exec_lo, s19
	s_cbranch_vccnz .LBB166_255
; %bb.245:
	s_cmp_lt_i32 s0, 6
	s_cbranch_scc1 .LBB166_248
; %bb.246:
	s_cmp_gt_i32 s0, 6
	s_cbranch_scc0 .LBB166_249
; %bb.247:
	global_load_b64 v[4:5], v[0:1], off
	s_mov_b32 s19, 0
	s_wait_loadcnt 0x0
	v_cvt_f32_f64_e32 v3, v[4:5]
	s_delay_alu instid0(VALU_DEP_1) | instskip(SKIP_1) | instid1(VALU_DEP_2)
	v_bfe_u32 v4, v3, 16, 1
	v_cmp_o_f32_e32 vcc_lo, v3, v3
	v_add3_u32 v4, v3, v4, 0x7fff
	s_delay_alu instid0(VALU_DEP_1) | instskip(NEXT) | instid1(VALU_DEP_1)
	v_lshrrev_b32_e32 v4, 16, v4
	v_cndmask_b32_e32 v3, 0x7fc0, v4, vcc_lo
	s_branch .LBB166_250
.LBB166_248:
	s_mov_b32 s19, -1
                                        ; implicit-def: $vgpr3
	s_branch .LBB166_253
.LBB166_249:
	s_mov_b32 s19, -1
                                        ; implicit-def: $vgpr3
.LBB166_250:
	s_delay_alu instid0(SALU_CYCLE_1)
	s_and_not1_b32 vcc_lo, exec_lo, s19
	s_cbranch_vccnz .LBB166_252
; %bb.251:
	s_wait_loadcnt 0x0
	global_load_b32 v3, v[0:1], off
	s_wait_loadcnt 0x0
	v_bfe_u32 v4, v3, 16, 1
	v_cmp_o_f32_e32 vcc_lo, v3, v3
	s_delay_alu instid0(VALU_DEP_2) | instskip(NEXT) | instid1(VALU_DEP_1)
	v_add3_u32 v4, v3, v4, 0x7fff
	v_lshrrev_b32_e32 v4, 16, v4
	s_delay_alu instid0(VALU_DEP_1)
	v_cndmask_b32_e32 v3, 0x7fc0, v4, vcc_lo
.LBB166_252:
	s_mov_b32 s19, 0
.LBB166_253:
	s_delay_alu instid0(SALU_CYCLE_1)
	s_and_not1_b32 vcc_lo, exec_lo, s19
	s_cbranch_vccnz .LBB166_255
; %bb.254:
	s_wait_loadcnt 0x0
	global_load_u16 v3, v[0:1], off
	s_wait_loadcnt 0x0
	v_cvt_f32_f16_e32 v4, v3
	v_cmp_o_f16_e32 vcc_lo, v3, v3
	s_delay_alu instid0(VALU_DEP_2) | instskip(NEXT) | instid1(VALU_DEP_1)
	v_bfe_u32 v5, v4, 16, 1
	v_add3_u32 v4, v4, v5, 0x7fff
	s_delay_alu instid0(VALU_DEP_1) | instskip(NEXT) | instid1(VALU_DEP_1)
	v_lshrrev_b32_e32 v4, 16, v4
	v_cndmask_b32_e32 v3, 0x7fc0, v4, vcc_lo
.LBB166_255:
	s_mov_b32 s19, 0
.LBB166_256:
	s_delay_alu instid0(SALU_CYCLE_1)
	s_and_not1_b32 vcc_lo, exec_lo, s19
	s_cbranch_vccnz .LBB166_276
; %bb.257:
	s_cmp_lt_i32 s0, 2
	s_cbranch_scc1 .LBB166_261
; %bb.258:
	s_cmp_lt_i32 s0, 3
	s_cbranch_scc1 .LBB166_262
; %bb.259:
	s_cmp_gt_i32 s0, 3
	s_cbranch_scc0 .LBB166_263
; %bb.260:
	global_load_b64 v[4:5], v[0:1], off
	s_mov_b32 s19, 0
	s_wait_loadcnt 0x0
	v_xor_b32_e32 v3, v4, v5
	v_cls_i32_e32 v7, v5
	s_delay_alu instid0(VALU_DEP_2) | instskip(NEXT) | instid1(VALU_DEP_1)
	v_ashrrev_i32_e32 v3, 31, v3
	v_add_nc_u32_e32 v3, 32, v3
	s_delay_alu instid0(VALU_DEP_1) | instskip(NEXT) | instid1(VALU_DEP_1)
	v_add_min_u32_e64 v3, v7, -1, v3
	v_lshlrev_b64_e32 v[4:5], v3, v[4:5]
	v_sub_nc_u32_e32 v3, 32, v3
	s_delay_alu instid0(VALU_DEP_2) | instskip(NEXT) | instid1(VALU_DEP_1)
	v_min_u32_e32 v4, 1, v4
	v_or_b32_e32 v4, v5, v4
	s_delay_alu instid0(VALU_DEP_1) | instskip(NEXT) | instid1(VALU_DEP_1)
	v_cvt_f32_i32_e32 v4, v4
	v_ldexp_f32 v3, v4, v3
	s_delay_alu instid0(VALU_DEP_1) | instskip(NEXT) | instid1(VALU_DEP_1)
	v_bfe_u32 v4, v3, 16, 1
	v_add3_u32 v3, v3, v4, 0x7fff
	s_delay_alu instid0(VALU_DEP_1)
	v_lshrrev_b32_e32 v3, 16, v3
	s_branch .LBB166_264
.LBB166_261:
	s_mov_b32 s19, -1
                                        ; implicit-def: $vgpr3
	s_branch .LBB166_270
.LBB166_262:
	s_mov_b32 s19, -1
                                        ; implicit-def: $vgpr3
	s_branch .LBB166_267
.LBB166_263:
	s_mov_b32 s19, -1
                                        ; implicit-def: $vgpr3
.LBB166_264:
	s_delay_alu instid0(SALU_CYCLE_1)
	s_and_not1_b32 vcc_lo, exec_lo, s19
	s_cbranch_vccnz .LBB166_266
; %bb.265:
	s_wait_loadcnt 0x0
	global_load_b32 v3, v[0:1], off
	s_wait_loadcnt 0x0
	v_cvt_f32_i32_e32 v3, v3
	s_delay_alu instid0(VALU_DEP_1) | instskip(NEXT) | instid1(VALU_DEP_1)
	v_bfe_u32 v4, v3, 16, 1
	v_add3_u32 v3, v3, v4, 0x7fff
	s_delay_alu instid0(VALU_DEP_1)
	v_lshrrev_b32_e32 v3, 16, v3
.LBB166_266:
	s_mov_b32 s19, 0
.LBB166_267:
	s_delay_alu instid0(SALU_CYCLE_1)
	s_and_not1_b32 vcc_lo, exec_lo, s19
	s_cbranch_vccnz .LBB166_269
; %bb.268:
	s_wait_loadcnt 0x0
	global_load_i16 v3, v[0:1], off
	s_wait_loadcnt 0x0
	v_cvt_f32_i32_e32 v3, v3
	s_delay_alu instid0(VALU_DEP_1) | instskip(NEXT) | instid1(VALU_DEP_1)
	v_bfe_u32 v4, v3, 16, 1
	v_add3_u32 v3, v3, v4, 0x7fff
	s_delay_alu instid0(VALU_DEP_1)
	v_lshrrev_b32_e32 v3, 16, v3
.LBB166_269:
	s_mov_b32 s19, 0
.LBB166_270:
	s_delay_alu instid0(SALU_CYCLE_1)
	s_and_not1_b32 vcc_lo, exec_lo, s19
	s_cbranch_vccnz .LBB166_276
; %bb.271:
	s_cmp_gt_i32 s0, 0
	s_mov_b32 s0, 0
	s_cbranch_scc0 .LBB166_273
; %bb.272:
	s_wait_loadcnt 0x0
	global_load_i8 v3, v[0:1], off
	s_wait_loadcnt 0x0
	v_cvt_f32_i32_e32 v3, v3
	s_delay_alu instid0(VALU_DEP_1) | instskip(NEXT) | instid1(VALU_DEP_1)
	v_bfe_u32 v4, v3, 16, 1
	v_add3_u32 v3, v3, v4, 0x7fff
	s_delay_alu instid0(VALU_DEP_1)
	v_lshrrev_b32_e32 v3, 16, v3
	s_branch .LBB166_274
.LBB166_273:
	s_mov_b32 s0, -1
                                        ; implicit-def: $vgpr3
.LBB166_274:
	s_delay_alu instid0(SALU_CYCLE_1)
	s_and_not1_b32 vcc_lo, exec_lo, s0
	s_cbranch_vccnz .LBB166_276
; %bb.275:
	global_load_u8 v0, v[0:1], off
	s_wait_loadcnt 0x0
	v_cvt_f32_ubyte0_e32 v0, v0
	s_delay_alu instid0(VALU_DEP_1) | instskip(NEXT) | instid1(VALU_DEP_1)
	v_bfe_u32 v1, v0, 16, 1
	v_add3_u32 v0, v0, v1, 0x7fff
	s_delay_alu instid0(VALU_DEP_1)
	v_lshrrev_b32_e32 v3, 16, v0
.LBB166_276:
	s_mov_b32 s19, -1
.LBB166_277:
	s_delay_alu instid0(SALU_CYCLE_1)
	s_and_not1_b32 vcc_lo, exec_lo, s19
	s_cbranch_vccnz .LBB166_285
; %bb.278:
	s_wait_loadcnt 0x0
	v_dual_lshlrev_b32 v0, 16, v2 :: v_dual_lshlrev_b32 v2, 16, v3
	s_and_b32 s19, s12, 0xff
	s_delay_alu instid0(SALU_CYCLE_1) | instskip(NEXT) | instid1(VALU_DEP_1)
	s_cmp_lt_i32 s19, 11
	v_mul_f32_e32 v0, s17, v0
	s_delay_alu instid0(VALU_DEP_1) | instskip(SKIP_1) | instid1(VALU_DEP_2)
	v_bfe_u32 v1, v0, 16, 1
	v_cmp_o_f32_e32 vcc_lo, v0, v0
	v_add3_u32 v1, v0, v1, 0x7fff
	s_delay_alu instid0(VALU_DEP_1) | instskip(NEXT) | instid1(VALU_DEP_1)
	v_and_b32_e32 v1, 0xffff0000, v1
	v_cndmask_b32_e32 v0, 0x7fc00000, v1, vcc_lo
	s_delay_alu instid0(VALU_DEP_1) | instskip(SKIP_1) | instid1(VALU_DEP_2)
	v_mul_f32_e32 v2, v0, v2
	v_mul_lo_u32 v0, v6, s11
	v_bfe_u32 v1, v2, 16, 1
	s_delay_alu instid0(VALU_DEP_1) | instskip(NEXT) | instid1(VALU_DEP_3)
	v_add3_u32 v3, v2, v1, 0x7fff
	v_ashrrev_i32_e32 v1, 31, v0
	v_cmp_o_f32_e32 vcc_lo, v2, v2
	s_delay_alu instid0(VALU_DEP_3) | instskip(NEXT) | instid1(VALU_DEP_3)
	v_lshrrev_b32_e32 v3, 16, v3
	v_add_nc_u64_e32 v[0:1], s[2:3], v[0:1]
	s_delay_alu instid0(VALU_DEP_2)
	v_cndmask_b32_e32 v2, 0x7fc0, v3, vcc_lo
	s_cbranch_scc1 .LBB166_286
; %bb.279:
	s_and_b32 s25, 0xffff, s19
	s_delay_alu instid0(SALU_CYCLE_1)
	s_cmp_gt_i32 s25, 25
	s_cbranch_scc0 .LBB166_287
; %bb.280:
	s_cmp_gt_i32 s25, 28
	s_cbranch_scc0 .LBB166_288
; %bb.281:
	;; [unrolled: 3-line block ×4, first 2 shown]
	s_mov_b32 s27, 0
	s_mov_b32 s0, -1
	s_cmp_eq_u32 s25, 46
	s_mov_b32 s26, 0
	s_cbranch_scc0 .LBB166_291
; %bb.284:
	v_and_b32_e32 v3, 0xffff, v2
	s_mov_b32 s26, -1
	s_mov_b32 s0, 0
	global_store_b32 v[0:1], v3, off
	s_branch .LBB166_291
.LBB166_285:
	s_mov_b32 s0, 0
	s_mov_b32 s25, 0
                                        ; implicit-def: $vgpr6
	s_branch .LBB166_401
.LBB166_286:
	s_mov_b32 s25, -1
	s_mov_b32 s0, 0
	s_mov_b32 s26, 0
	s_branch .LBB166_360
.LBB166_287:
	s_mov_b32 s27, -1
	s_mov_b32 s0, 0
	s_mov_b32 s26, 0
	s_branch .LBB166_318
.LBB166_288:
	s_mov_b32 s27, -1
	s_mov_b32 s0, 0
	s_mov_b32 s26, 0
	s_branch .LBB166_301
.LBB166_289:
	s_mov_b32 s27, -1
	s_mov_b32 s0, 0
	s_mov_b32 s26, 0
	s_branch .LBB166_297
.LBB166_290:
	s_mov_b32 s27, -1
	s_mov_b32 s0, 0
	s_mov_b32 s26, 0
.LBB166_291:
	s_and_b32 vcc_lo, exec_lo, s27
	s_cbranch_vccz .LBB166_296
; %bb.292:
	s_cmp_eq_u32 s25, 44
	s_mov_b32 s0, -1
	s_cbranch_scc0 .LBB166_296
; %bb.293:
	s_wait_xcnt 0x0
	v_and_b32_e32 v3, 0xffff, v2
	v_mov_b32_e32 v4, 0xff
	s_mov_b32 s26, exec_lo
	s_delay_alu instid0(VALU_DEP_2) | instskip(NEXT) | instid1(VALU_DEP_1)
	v_bfe_u32 v5, v3, 7, 8
	v_cmpx_ne_u32_e32 0xff, v5
	s_cbranch_execz .LBB166_295
; %bb.294:
	v_dual_lshlrev_b32 v4, 16, v3 :: v_dual_bitop2_b32 v7, 64, v3 bitop3:0x40
	v_lshrrev_b32_e32 v3, 7, v3
	s_delay_alu instid0(VALU_DEP_2) | instskip(NEXT) | instid1(VALU_DEP_3)
	v_and_or_b32 v4, 0x3f0000, v4, v5
	v_cmp_ne_u32_e32 vcc_lo, 0, v7
	s_delay_alu instid0(VALU_DEP_2) | instskip(SKIP_1) | instid1(SALU_CYCLE_1)
	v_cmp_ne_u32_e64 s0, 0, v4
	s_and_b32 s0, vcc_lo, s0
	v_cndmask_b32_e64 v4, 0, 1, s0
	s_delay_alu instid0(VALU_DEP_1)
	v_add_nc_u32_e32 v4, v3, v4
.LBB166_295:
	s_or_b32 exec_lo, exec_lo, s26
	s_mov_b32 s26, -1
	s_mov_b32 s0, 0
	global_store_b8 v[0:1], v4, off
.LBB166_296:
	s_mov_b32 s27, 0
.LBB166_297:
	s_delay_alu instid0(SALU_CYCLE_1)
	s_and_b32 vcc_lo, exec_lo, s27
	s_cbranch_vccz .LBB166_300
; %bb.298:
	s_cmp_eq_u32 s25, 29
	s_mov_b32 s0, -1
	s_cbranch_scc0 .LBB166_300
; %bb.299:
	s_wait_xcnt 0x0
	v_lshlrev_b32_e32 v3, 16, v2
	s_mov_b32 s26, -1
	s_mov_b32 s0, 0
	s_mov_b32 s27, 0
	s_delay_alu instid0(VALU_DEP_1) | instskip(NEXT) | instid1(VALU_DEP_1)
	v_trunc_f32_e32 v3, v3
	v_mul_f32_e32 v4, 0x2f800000, v3
	s_delay_alu instid0(VALU_DEP_1) | instskip(NEXT) | instid1(VALU_DEP_1)
	v_floor_f32_e32 v4, v4
	v_fmamk_f32 v3, v4, 0xcf800000, v3
	v_cvt_u32_f32_e32 v5, v4
	s_delay_alu instid0(VALU_DEP_2)
	v_cvt_u32_f32_e32 v4, v3
	global_store_b64 v[0:1], v[4:5], off
	s_branch .LBB166_301
.LBB166_300:
	s_mov_b32 s27, 0
.LBB166_301:
	s_delay_alu instid0(SALU_CYCLE_1)
	s_and_b32 vcc_lo, exec_lo, s27
	s_cbranch_vccz .LBB166_317
; %bb.302:
	s_cmp_lt_i32 s25, 27
	s_mov_b32 s26, -1
	s_cbranch_scc1 .LBB166_308
; %bb.303:
	s_cmp_gt_i32 s25, 27
	s_cbranch_scc0 .LBB166_305
; %bb.304:
	s_wait_xcnt 0x0
	v_lshlrev_b32_e32 v3, 16, v2
	s_mov_b32 s26, 0
	s_delay_alu instid0(VALU_DEP_1)
	v_cvt_u32_f32_e32 v3, v3
	global_store_b32 v[0:1], v3, off
.LBB166_305:
	s_and_not1_b32 vcc_lo, exec_lo, s26
	s_cbranch_vccnz .LBB166_307
; %bb.306:
	s_wait_xcnt 0x0
	v_lshlrev_b32_e32 v3, 16, v2
	s_delay_alu instid0(VALU_DEP_1)
	v_cvt_u32_f32_e32 v3, v3
	global_store_b16 v[0:1], v3, off
.LBB166_307:
	s_mov_b32 s26, 0
.LBB166_308:
	s_delay_alu instid0(SALU_CYCLE_1)
	s_and_not1_b32 vcc_lo, exec_lo, s26
	s_cbranch_vccnz .LBB166_316
; %bb.309:
	s_wait_xcnt 0x0
	v_lshlrev_b32_e32 v5, 16, v2
	v_mov_b32_e32 v7, 0x80
	s_mov_b32 s26, exec_lo
	s_delay_alu instid0(VALU_DEP_2) | instskip(NEXT) | instid1(VALU_DEP_1)
	v_and_b32_e32 v4, 0x7fffffff, v5
	v_cmpx_gt_u32_e32 0x43800000, v4
	s_cbranch_execz .LBB166_315
; %bb.310:
	v_and_b32_e32 v3, 0xffff, v2
	v_cmp_lt_u32_e32 vcc_lo, 0x3bffffff, v4
	s_mov_b32 s27, 0
                                        ; implicit-def: $vgpr4
	s_and_saveexec_b32 s28, vcc_lo
	s_delay_alu instid0(SALU_CYCLE_1)
	s_xor_b32 s28, exec_lo, s28
	s_cbranch_execz .LBB166_436
; %bb.311:
	v_bfe_u32 v4, v3, 4, 1
	s_mov_b32 s27, exec_lo
	s_delay_alu instid0(VALU_DEP_1) | instskip(NEXT) | instid1(VALU_DEP_1)
	v_add3_u32 v4, v5, v4, 0x487ffff
                                        ; implicit-def: $vgpr5
	v_lshrrev_b32_e32 v4, 20, v4
	s_and_not1_saveexec_b32 s28, s28
	s_cbranch_execnz .LBB166_437
.LBB166_312:
	s_or_b32 exec_lo, exec_lo, s28
	v_mov_b32_e32 v7, 0
	s_and_saveexec_b32 s28, s27
.LBB166_313:
	v_lshrrev_b32_e32 v3, 8, v3
	s_delay_alu instid0(VALU_DEP_1)
	v_and_or_b32 v7, 0x80, v3, v4
.LBB166_314:
	s_or_b32 exec_lo, exec_lo, s28
.LBB166_315:
	s_delay_alu instid0(SALU_CYCLE_1)
	s_or_b32 exec_lo, exec_lo, s26
	global_store_b8 v[0:1], v7, off
.LBB166_316:
	s_mov_b32 s26, -1
.LBB166_317:
	s_mov_b32 s27, 0
.LBB166_318:
	s_delay_alu instid0(SALU_CYCLE_1)
	s_and_b32 vcc_lo, exec_lo, s27
	s_cbranch_vccz .LBB166_359
; %bb.319:
	s_cmp_gt_i32 s25, 22
	s_mov_b32 s27, -1
	s_cbranch_scc0 .LBB166_351
; %bb.320:
	s_cmp_lt_i32 s25, 24
	s_mov_b32 s26, -1
	s_cbranch_scc1 .LBB166_340
; %bb.321:
	s_cmp_gt_i32 s25, 24
	s_cbranch_scc0 .LBB166_329
; %bb.322:
	s_wait_xcnt 0x0
	v_lshlrev_b32_e32 v5, 16, v2
	v_mov_b32_e32 v7, 0x80
	s_mov_b32 s26, exec_lo
	s_delay_alu instid0(VALU_DEP_2) | instskip(NEXT) | instid1(VALU_DEP_1)
	v_and_b32_e32 v4, 0x7fffffff, v5
	v_cmpx_gt_u32_e32 0x47800000, v4
	s_cbranch_execz .LBB166_328
; %bb.323:
	v_and_b32_e32 v3, 0xffff, v2
	v_cmp_lt_u32_e32 vcc_lo, 0x37ffffff, v4
	s_mov_b32 s27, 0
                                        ; implicit-def: $vgpr4
	s_and_saveexec_b32 s28, vcc_lo
	s_delay_alu instid0(SALU_CYCLE_1)
	s_xor_b32 s28, exec_lo, s28
	s_cbranch_execz .LBB166_567
; %bb.324:
	v_bfe_u32 v4, v3, 5, 1
	s_mov_b32 s27, exec_lo
	s_delay_alu instid0(VALU_DEP_1) | instskip(NEXT) | instid1(VALU_DEP_1)
	v_add3_u32 v4, v5, v4, 0x88fffff
                                        ; implicit-def: $vgpr5
	v_lshrrev_b32_e32 v4, 21, v4
	s_and_not1_saveexec_b32 s28, s28
	s_cbranch_execnz .LBB166_568
.LBB166_325:
	s_or_b32 exec_lo, exec_lo, s28
	v_mov_b32_e32 v7, 0
	s_and_saveexec_b32 s28, s27
.LBB166_326:
	v_lshrrev_b32_e32 v3, 8, v3
	s_delay_alu instid0(VALU_DEP_1)
	v_and_or_b32 v7, 0x80, v3, v4
.LBB166_327:
	s_or_b32 exec_lo, exec_lo, s28
.LBB166_328:
	s_delay_alu instid0(SALU_CYCLE_1)
	s_or_b32 exec_lo, exec_lo, s26
	s_mov_b32 s26, 0
	global_store_b8 v[0:1], v7, off
.LBB166_329:
	s_and_b32 vcc_lo, exec_lo, s26
	s_cbranch_vccz .LBB166_339
; %bb.330:
	s_wait_xcnt 0x0
	v_lshlrev_b32_e32 v5, 16, v2
	v_and_b32_e32 v3, 0xffff, v2
	s_mov_b32 s26, exec_lo
                                        ; implicit-def: $vgpr4
	s_delay_alu instid0(VALU_DEP_2) | instskip(NEXT) | instid1(VALU_DEP_1)
	v_and_b32_e32 v7, 0x7fffffff, v5
	v_cmpx_gt_u32_e32 0x43f00000, v7
	s_xor_b32 s26, exec_lo, s26
	s_cbranch_execz .LBB166_336
; %bb.331:
	s_mov_b32 s27, exec_lo
                                        ; implicit-def: $vgpr4
	v_cmpx_lt_u32_e32 0x3c7fffff, v7
	s_xor_b32 s27, exec_lo, s27
; %bb.332:
	v_bfe_u32 v4, v3, 4, 1
	s_delay_alu instid0(VALU_DEP_1) | instskip(NEXT) | instid1(VALU_DEP_1)
	v_add3_u32 v4, v5, v4, 0x407ffff
	v_and_b32_e32 v5, 0xff00000, v4
	v_lshrrev_b32_e32 v4, 20, v4
	s_delay_alu instid0(VALU_DEP_2) | instskip(NEXT) | instid1(VALU_DEP_2)
	v_cmp_ne_u32_e32 vcc_lo, 0x7f00000, v5
                                        ; implicit-def: $vgpr5
	v_cndmask_b32_e32 v4, 0x7e, v4, vcc_lo
; %bb.333:
	s_and_not1_saveexec_b32 s27, s27
; %bb.334:
	v_add_f32_e64 v4, 0x46800000, |v5|
; %bb.335:
	s_or_b32 exec_lo, exec_lo, s27
                                        ; implicit-def: $vgpr7
.LBB166_336:
	s_and_not1_saveexec_b32 s26, s26
; %bb.337:
	v_mov_b32_e32 v4, 0x7f
	v_cmp_lt_u32_e32 vcc_lo, 0x7f800000, v7
	s_delay_alu instid0(VALU_DEP_2)
	v_cndmask_b32_e32 v4, 0x7e, v4, vcc_lo
; %bb.338:
	s_or_b32 exec_lo, exec_lo, s26
	v_lshrrev_b32_e32 v3, 8, v3
	s_delay_alu instid0(VALU_DEP_1)
	v_and_or_b32 v3, 0x80, v3, v4
	global_store_b8 v[0:1], v3, off
.LBB166_339:
	s_mov_b32 s26, 0
.LBB166_340:
	s_delay_alu instid0(SALU_CYCLE_1)
	s_and_not1_b32 vcc_lo, exec_lo, s26
	s_cbranch_vccnz .LBB166_350
; %bb.341:
	s_wait_xcnt 0x0
	v_lshlrev_b32_e32 v5, 16, v2
	v_and_b32_e32 v3, 0xffff, v2
	s_mov_b32 s26, exec_lo
                                        ; implicit-def: $vgpr4
	s_delay_alu instid0(VALU_DEP_2) | instskip(NEXT) | instid1(VALU_DEP_1)
	v_and_b32_e32 v7, 0x7fffffff, v5
	v_cmpx_gt_u32_e32 0x47800000, v7
	s_xor_b32 s26, exec_lo, s26
	s_cbranch_execz .LBB166_347
; %bb.342:
	s_mov_b32 s27, exec_lo
                                        ; implicit-def: $vgpr4
	v_cmpx_lt_u32_e32 0x387fffff, v7
	s_xor_b32 s27, exec_lo, s27
; %bb.343:
	v_bfe_u32 v4, v3, 5, 1
	s_delay_alu instid0(VALU_DEP_1) | instskip(NEXT) | instid1(VALU_DEP_1)
	v_add3_u32 v4, v5, v4, 0x80fffff
                                        ; implicit-def: $vgpr5
	v_lshrrev_b32_e32 v4, 21, v4
; %bb.344:
	s_and_not1_saveexec_b32 s27, s27
; %bb.345:
	v_add_f32_e64 v4, 0x43000000, |v5|
; %bb.346:
	s_or_b32 exec_lo, exec_lo, s27
                                        ; implicit-def: $vgpr7
.LBB166_347:
	s_and_not1_saveexec_b32 s26, s26
; %bb.348:
	v_mov_b32_e32 v4, 0x7f
	v_cmp_lt_u32_e32 vcc_lo, 0x7f800000, v7
	s_delay_alu instid0(VALU_DEP_2)
	v_cndmask_b32_e32 v4, 0x7c, v4, vcc_lo
; %bb.349:
	s_or_b32 exec_lo, exec_lo, s26
	v_lshrrev_b32_e32 v3, 8, v3
	s_delay_alu instid0(VALU_DEP_1)
	v_and_or_b32 v3, 0x80, v3, v4
	global_store_b8 v[0:1], v3, off
.LBB166_350:
	s_mov_b32 s27, 0
	s_mov_b32 s26, -1
.LBB166_351:
	s_and_not1_b32 vcc_lo, exec_lo, s27
	s_cbranch_vccnz .LBB166_359
; %bb.352:
	s_cmp_gt_i32 s25, 14
	s_mov_b32 s27, -1
	s_cbranch_scc0 .LBB166_356
; %bb.353:
	s_cmp_eq_u32 s25, 15
	s_mov_b32 s0, -1
	s_cbranch_scc0 .LBB166_355
; %bb.354:
	s_mov_b32 s26, -1
	s_mov_b32 s0, 0
	global_store_b16 v[0:1], v2, off
.LBB166_355:
	s_mov_b32 s27, 0
.LBB166_356:
	s_delay_alu instid0(SALU_CYCLE_1)
	s_and_b32 vcc_lo, exec_lo, s27
	s_cbranch_vccz .LBB166_359
; %bb.357:
	s_cmp_eq_u32 s25, 11
	s_mov_b32 s0, -1
	s_cbranch_scc0 .LBB166_359
; %bb.358:
	s_wait_xcnt 0x0
	v_and_b32_e32 v3, 0x7fff, v2
	s_mov_b32 s0, 0
	s_mov_b32 s26, -1
	s_delay_alu instid0(VALU_DEP_1)
	v_cmp_ne_u16_e32 vcc_lo, 0, v3
	v_cndmask_b32_e64 v3, 0, 1, vcc_lo
	global_store_b8 v[0:1], v3, off
.LBB166_359:
	s_mov_b32 s25, 0
.LBB166_360:
	s_delay_alu instid0(SALU_CYCLE_1)
	s_and_b32 vcc_lo, exec_lo, s25
	s_cbranch_vccz .LBB166_399
; %bb.361:
	s_and_b32 s19, 0xffff, s19
	s_mov_b32 s25, -1
	s_cmp_lt_i32 s19, 5
	s_cbranch_scc1 .LBB166_382
; %bb.362:
	s_cmp_lt_i32 s19, 8
	s_cbranch_scc1 .LBB166_372
; %bb.363:
	;; [unrolled: 3-line block ×3, first 2 shown]
	s_cmp_gt_i32 s19, 9
	s_cbranch_scc0 .LBB166_366
; %bb.365:
	s_wait_xcnt 0x0
	v_dual_mov_b32 v10, 0 :: v_dual_lshlrev_b32 v3, 16, v2
	s_mov_b32 s25, 0
	s_delay_alu instid0(VALU_DEP_1) | instskip(NEXT) | instid1(VALU_DEP_2)
	v_cvt_f64_f32_e32 v[8:9], v3
	v_mov_b32_e32 v11, v10
	global_store_b128 v[0:1], v[8:11], off
.LBB166_366:
	s_and_not1_b32 vcc_lo, exec_lo, s25
	s_cbranch_vccnz .LBB166_368
; %bb.367:
	s_wait_xcnt 0x0
	v_dual_mov_b32 v5, 0 :: v_dual_lshlrev_b32 v4, 16, v2
	global_store_b64 v[0:1], v[4:5], off
.LBB166_368:
	s_mov_b32 s25, 0
.LBB166_369:
	s_delay_alu instid0(SALU_CYCLE_1)
	s_and_not1_b32 vcc_lo, exec_lo, s25
	s_cbranch_vccnz .LBB166_371
; %bb.370:
	s_wait_xcnt 0x0
	v_lshlrev_b32_e32 v3, 16, v2
	s_delay_alu instid0(VALU_DEP_1) | instskip(NEXT) | instid1(VALU_DEP_1)
	v_cvt_f16_f32_e32 v3, v3
	v_and_b32_e32 v3, 0xffff, v3
	global_store_b32 v[0:1], v3, off
.LBB166_371:
	s_mov_b32 s25, 0
.LBB166_372:
	s_delay_alu instid0(SALU_CYCLE_1)
	s_and_not1_b32 vcc_lo, exec_lo, s25
	s_cbranch_vccnz .LBB166_381
; %bb.373:
	s_cmp_lt_i32 s19, 6
	s_mov_b32 s25, -1
	s_cbranch_scc1 .LBB166_379
; %bb.374:
	s_cmp_gt_i32 s19, 6
	s_cbranch_scc0 .LBB166_376
; %bb.375:
	s_wait_xcnt 0x0
	v_lshlrev_b32_e32 v3, 16, v2
	s_mov_b32 s25, 0
	s_delay_alu instid0(VALU_DEP_1)
	v_cvt_f64_f32_e32 v[4:5], v3
	global_store_b64 v[0:1], v[4:5], off
.LBB166_376:
	s_and_not1_b32 vcc_lo, exec_lo, s25
	s_cbranch_vccnz .LBB166_378
; %bb.377:
	s_wait_xcnt 0x0
	v_lshlrev_b32_e32 v3, 16, v2
	global_store_b32 v[0:1], v3, off
.LBB166_378:
	s_mov_b32 s25, 0
.LBB166_379:
	s_delay_alu instid0(SALU_CYCLE_1)
	s_and_not1_b32 vcc_lo, exec_lo, s25
	s_cbranch_vccnz .LBB166_381
; %bb.380:
	s_wait_xcnt 0x0
	v_lshlrev_b32_e32 v3, 16, v2
	s_delay_alu instid0(VALU_DEP_1)
	v_cvt_f16_f32_e32 v3, v3
	global_store_b16 v[0:1], v3, off
.LBB166_381:
	s_mov_b32 s25, 0
.LBB166_382:
	s_delay_alu instid0(SALU_CYCLE_1)
	s_and_not1_b32 vcc_lo, exec_lo, s25
	s_cbranch_vccnz .LBB166_398
; %bb.383:
	s_cmp_lt_i32 s19, 2
	s_mov_b32 s25, -1
	s_cbranch_scc1 .LBB166_393
; %bb.384:
	s_cmp_lt_i32 s19, 3
	s_cbranch_scc1 .LBB166_390
; %bb.385:
	s_cmp_gt_i32 s19, 3
	s_cbranch_scc0 .LBB166_387
; %bb.386:
	s_wait_xcnt 0x0
	v_lshlrev_b32_e32 v3, 16, v2
	s_mov_b32 s25, 0
	s_delay_alu instid0(VALU_DEP_1) | instskip(NEXT) | instid1(VALU_DEP_1)
	v_trunc_f32_e32 v3, v3
	v_mul_f32_e64 v4, 0x2f800000, |v3|
	s_delay_alu instid0(VALU_DEP_1) | instskip(SKIP_1) | instid1(VALU_DEP_2)
	v_floor_f32_e32 v5, v4
	v_ashrrev_i32_e32 v4, 31, v3
	v_fma_f32 v7, 0xcf800000, v5, |v3|
	v_cvt_u32_f32_e32 v3, v5
	s_delay_alu instid0(VALU_DEP_3) | instskip(NEXT) | instid1(VALU_DEP_3)
	v_mov_b32_e32 v5, v4
	v_cvt_u32_f32_e32 v7, v7
	s_delay_alu instid0(VALU_DEP_3) | instskip(NEXT) | instid1(VALU_DEP_2)
	v_xor_b32_e32 v9, v3, v4
	v_xor_b32_e32 v8, v7, v4
	s_delay_alu instid0(VALU_DEP_1)
	v_sub_nc_u64_e32 v[4:5], v[8:9], v[4:5]
	global_store_b64 v[0:1], v[4:5], off
.LBB166_387:
	s_and_not1_b32 vcc_lo, exec_lo, s25
	s_cbranch_vccnz .LBB166_389
; %bb.388:
	s_wait_xcnt 0x0
	v_lshlrev_b32_e32 v3, 16, v2
	s_delay_alu instid0(VALU_DEP_1)
	v_cvt_i32_f32_e32 v3, v3
	global_store_b32 v[0:1], v3, off
.LBB166_389:
	s_mov_b32 s25, 0
.LBB166_390:
	s_delay_alu instid0(SALU_CYCLE_1)
	s_and_not1_b32 vcc_lo, exec_lo, s25
	s_cbranch_vccnz .LBB166_392
; %bb.391:
	s_wait_xcnt 0x0
	v_lshlrev_b32_e32 v3, 16, v2
	s_delay_alu instid0(VALU_DEP_1)
	v_cvt_i32_f32_e32 v3, v3
	global_store_b16 v[0:1], v3, off
.LBB166_392:
	s_mov_b32 s25, 0
.LBB166_393:
	s_delay_alu instid0(SALU_CYCLE_1)
	s_and_not1_b32 vcc_lo, exec_lo, s25
	s_cbranch_vccnz .LBB166_398
; %bb.394:
	s_wait_xcnt 0x0
	v_lshlrev_b32_e32 v2, 16, v2
	s_cmp_gt_i32 s19, 0
	s_mov_b32 s19, -1
	s_cbranch_scc0 .LBB166_396
; %bb.395:
	s_delay_alu instid0(VALU_DEP_1)
	v_cvt_i32_f32_e32 v3, v2
	s_mov_b32 s19, 0
	global_store_b8 v[0:1], v3, off
.LBB166_396:
	s_and_not1_b32 vcc_lo, exec_lo, s19
	s_cbranch_vccnz .LBB166_398
; %bb.397:
	v_trunc_f32_e32 v2, v2
	s_wait_xcnt 0x0
	s_delay_alu instid0(VALU_DEP_1) | instskip(NEXT) | instid1(VALU_DEP_1)
	v_mul_f32_e64 v3, 0x2f800000, |v2|
	v_floor_f32_e32 v3, v3
	s_delay_alu instid0(VALU_DEP_1) | instskip(SKIP_1) | instid1(VALU_DEP_2)
	v_fma_f32 v3, 0xcf800000, v3, |v2|
	v_ashrrev_i32_e32 v2, 31, v2
	v_cvt_u32_f32_e32 v3, v3
	s_delay_alu instid0(VALU_DEP_1) | instskip(NEXT) | instid1(VALU_DEP_1)
	v_xor_b32_e32 v3, v3, v2
	v_sub_nc_u32_e32 v2, v3, v2
	global_store_b8 v[0:1], v2, off
.LBB166_398:
	s_mov_b32 s26, -1
.LBB166_399:
	s_delay_alu instid0(SALU_CYCLE_1)
	s_and_not1_b32 vcc_lo, exec_lo, s26
	s_cbranch_vccnz .LBB166_27
; %bb.400:
	v_add_nc_u32_e32 v6, 0x80, v6
	s_mov_b32 s25, -1
.LBB166_401:
	s_and_b32 s19, s0, exec_lo
	s_and_b32 s20, s20, exec_lo
	;; [unrolled: 1-line block ×4, first 2 shown]
	s_or_not1_b32 s0, s25, exec_lo
.LBB166_402:
	s_wait_xcnt 0x0
	s_or_b32 exec_lo, exec_lo, s23
	s_and_saveexec_b32 s23, s0
	s_cbranch_execz .LBB166_1245
; %bb.403:
	s_mov_b32 s29, -1
	s_mov_b32 s24, s22
	s_mov_b32 s27, s21
	;; [unrolled: 1-line block ×4, first 2 shown]
	s_mov_b32 s28, exec_lo
	v_cmpx_gt_i32_e64 s18, v6
	s_cbranch_execz .LBB166_810
; %bb.404:
	s_and_b32 s24, s15, 0xff
	s_delay_alu instid0(SALU_CYCLE_1)
	s_cmp_lt_i32 s24, 23
	s_cbranch_scc1 .LBB166_408
; %bb.405:
	s_and_b32 s25, 0xffff, s24
	s_delay_alu instid0(SALU_CYCLE_1)
	s_cmp_gt_i32 s25, 43
	s_cbranch_scc0 .LBB166_409
; %bb.406:
	s_cmp_gt_i32 s25, 45
	s_cbranch_scc0 .LBB166_410
; %bb.407:
	s_cmp_eq_u32 s25, 46
	s_mov_b32 s26, 0
	s_cselect_b32 s0, -1, 0
	s_or_b32 s27, s22, exec_lo
	s_branch .LBB166_411
.LBB166_408:
	s_mov_b32 s0, 0
	s_mov_b32 s27, s22
	s_cbranch_execnz .LBB166_417
	s_branch .LBB166_421
.LBB166_409:
	s_mov_b32 s26, -1
	s_mov_b32 s0, 0
	s_mov_b32 s27, s22
	s_branch .LBB166_414
.LBB166_410:
	s_mov_b32 s26, -1
	s_mov_b32 s0, 0
	s_mov_b32 s27, s22
.LBB166_411:
	s_and_not1_b32 vcc_lo, exec_lo, s26
	s_cbranch_vccnz .LBB166_413
; %bb.412:
	s_cmp_eq_u32 s25, 44
	s_cselect_b32 s0, -1, 0
	s_cmp_lg_u32 s25, 44
	s_cselect_b32 s26, -1, 0
	s_and_not1_b32 s27, s27, exec_lo
	s_and_b32 s26, s26, exec_lo
	s_delay_alu instid0(SALU_CYCLE_1)
	s_or_b32 s27, s27, s26
.LBB166_413:
	s_mov_b32 s26, 0
.LBB166_414:
	s_delay_alu instid0(SALU_CYCLE_1)
	s_and_b32 vcc_lo, exec_lo, s26
	s_cbranch_vccz .LBB166_416
; %bb.415:
	s_cmp_lt_i32 s25, 30
	s_cselect_b32 s0, -1, 0
	s_cmp_gt_i32 s25, 29
	s_cselect_b32 s25, -1, 0
	s_and_not1_b32 s26, s27, exec_lo
	s_and_b32 s25, s25, exec_lo
	s_delay_alu instid0(SALU_CYCLE_1)
	s_or_b32 s27, s26, s25
.LBB166_416:
	s_branch .LBB166_421
.LBB166_417:
	s_and_b32 s24, 0xffff, s24
	s_mov_b32 s25, -1
	s_cmp_gt_i32 s24, 14
	s_cbranch_scc0 .LBB166_419
; %bb.418:
	s_cmp_eq_u32 s24, 15
	s_cselect_b32 s0, -1, 0
	s_cmp_lg_u32 s24, 15
	s_cselect_b32 s25, -1, 0
	s_and_not1_b32 s26, s27, exec_lo
	s_and_b32 s27, s25, exec_lo
	s_mov_b32 s25, 0
	s_or_b32 s27, s26, s27
.LBB166_419:
	s_and_not1_b32 vcc_lo, exec_lo, s25
	s_cbranch_vccnz .LBB166_421
; %bb.420:
	s_cmp_lt_i32 s24, 12
	s_cselect_b32 s0, -1, 0
	s_cmp_gt_i32 s24, 11
	s_cselect_b32 s24, -1, 0
	s_and_not1_b32 s25, s27, exec_lo
	s_and_b32 s24, s24, exec_lo
	s_delay_alu instid0(SALU_CYCLE_1)
	s_or_b32 s27, s25, s24
.LBB166_421:
	s_and_b32 vcc_lo, exec_lo, s0
	s_cbranch_vccz .LBB166_429
; %bb.422:
	v_mul_lo_u32 v0, v6, s8
	s_and_b32 s0, s13, 0xff
	s_delay_alu instid0(SALU_CYCLE_1) | instskip(NEXT) | instid1(VALU_DEP_1)
	s_cmp_lt_i32 s0, 11
	v_ashrrev_i32_e32 v1, 31, v0
	s_delay_alu instid0(VALU_DEP_1)
	v_add_nc_u64_e32 v[0:1], s[4:5], v[0:1]
	s_cbranch_scc1 .LBB166_431
; %bb.423:
	s_and_b32 s25, 0xffff, s0
	s_delay_alu instid0(SALU_CYCLE_1)
	s_cmp_gt_i32 s25, 25
	s_cbranch_scc0 .LBB166_432
; %bb.424:
	s_cmp_gt_i32 s25, 28
	s_cbranch_scc0 .LBB166_433
; %bb.425:
	;; [unrolled: 3-line block ×4, first 2 shown]
	s_cmp_eq_u32 s25, 46
	s_mov_b32 s27, 0
	s_cbranch_scc0 .LBB166_438
; %bb.428:
	s_wait_loadcnt 0x0
	global_load_b32 v2, v[0:1], off
	s_mov_b32 s26, -1
	s_mov_b32 s24, 0
	s_branch .LBB166_440
.LBB166_429:
	s_mov_b32 s29, 0
	s_mov_b32 s0, s19
	;; [unrolled: 1-line block ×4, first 2 shown]
.LBB166_430:
                                        ; implicit-def: $vgpr6
	s_branch .LBB166_809
.LBB166_431:
	s_mov_b32 s25, -1
	s_mov_b32 s26, 0
	s_mov_b32 s24, s21
                                        ; implicit-def: $vgpr2
	s_branch .LBB166_505
.LBB166_432:
	s_mov_b32 s27, -1
	s_mov_b32 s26, 0
	s_mov_b32 s24, s21
                                        ; implicit-def: $vgpr2
	s_branch .LBB166_469
.LBB166_433:
	s_mov_b32 s27, -1
	s_mov_b32 s26, 0
	s_mov_b32 s24, s21
                                        ; implicit-def: $vgpr2
	s_branch .LBB166_450
.LBB166_434:
	s_mov_b32 s27, -1
	s_mov_b32 s26, 0
	s_mov_b32 s24, s21
                                        ; implicit-def: $vgpr2
	s_branch .LBB166_445
.LBB166_435:
	s_mov_b32 s27, -1
	s_mov_b32 s26, 0
	s_mov_b32 s24, s21
	s_branch .LBB166_439
.LBB166_436:
	s_and_not1_saveexec_b32 s28, s28
	s_cbranch_execz .LBB166_312
.LBB166_437:
	v_add_f32_e64 v4, 0x46000000, |v5|
	s_and_not1_b32 s27, s27, exec_lo
	s_delay_alu instid0(VALU_DEP_1) | instskip(NEXT) | instid1(VALU_DEP_1)
	v_and_b32_e32 v4, 0xff, v4
	v_cmp_ne_u32_e32 vcc_lo, 0, v4
	s_and_b32 s29, vcc_lo, exec_lo
	s_delay_alu instid0(SALU_CYCLE_1)
	s_or_b32 s27, s27, s29
	s_or_b32 exec_lo, exec_lo, s28
	v_mov_b32_e32 v7, 0
	s_and_saveexec_b32 s28, s27
	s_cbranch_execnz .LBB166_313
	s_branch .LBB166_314
.LBB166_438:
	s_mov_b32 s24, -1
	s_mov_b32 s26, 0
.LBB166_439:
                                        ; implicit-def: $vgpr2
.LBB166_440:
	s_and_b32 vcc_lo, exec_lo, s27
	s_cbranch_vccz .LBB166_444
; %bb.441:
	s_cmp_eq_u32 s25, 44
	s_cbranch_scc0 .LBB166_443
; %bb.442:
	s_wait_loadcnt 0x0
	global_load_u8 v2, v[0:1], off
	s_mov_b32 s24, 0
	s_mov_b32 s26, -1
	s_wait_loadcnt 0x0
	v_lshlrev_b32_e32 v3, 23, v2
	v_cmp_ne_u32_e32 vcc_lo, 0xff, v2
	s_delay_alu instid0(VALU_DEP_2) | instskip(SKIP_1) | instid1(VALU_DEP_2)
	v_cndmask_b32_e32 v3, 0x7f800001, v3, vcc_lo
	v_cmp_ne_u32_e32 vcc_lo, 0, v2
	v_cndmask_b32_e32 v2, 0x400000, v3, vcc_lo
	s_delay_alu instid0(VALU_DEP_1) | instskip(NEXT) | instid1(VALU_DEP_1)
	v_add_nc_u32_e32 v3, 0x7fff, v2
	v_lshrrev_b32_e32 v3, 16, v3
	v_cmp_o_f32_e32 vcc_lo, v2, v2
	s_delay_alu instid0(VALU_DEP_2)
	v_cndmask_b32_e32 v2, 0x7fc0, v3, vcc_lo
	s_branch .LBB166_444
.LBB166_443:
	s_mov_b32 s24, -1
                                        ; implicit-def: $vgpr2
.LBB166_444:
	s_mov_b32 s27, 0
.LBB166_445:
	s_delay_alu instid0(SALU_CYCLE_1)
	s_and_b32 vcc_lo, exec_lo, s27
	s_cbranch_vccz .LBB166_449
; %bb.446:
	s_cmp_eq_u32 s25, 29
	s_cbranch_scc0 .LBB166_448
; %bb.447:
	s_wait_loadcnt 0x0
	global_load_b64 v[2:3], v[0:1], off
	s_mov_b32 s26, -1
	s_mov_b32 s24, 0
	s_mov_b32 s27, 0
	s_wait_loadcnt 0x0
	v_clz_i32_u32_e32 v4, v3
	s_delay_alu instid0(VALU_DEP_1) | instskip(NEXT) | instid1(VALU_DEP_1)
	v_min_u32_e32 v4, 32, v4
	v_lshlrev_b64_e32 v[2:3], v4, v[2:3]
	s_delay_alu instid0(VALU_DEP_1) | instskip(NEXT) | instid1(VALU_DEP_1)
	v_min_u32_e32 v2, 1, v2
	v_dual_sub_nc_u32 v3, 32, v4 :: v_dual_bitop2_b32 v2, v3, v2 bitop3:0x54
	s_delay_alu instid0(VALU_DEP_1) | instskip(NEXT) | instid1(VALU_DEP_1)
	v_cvt_f32_u32_e32 v2, v2
	v_ldexp_f32 v2, v2, v3
	s_delay_alu instid0(VALU_DEP_1) | instskip(NEXT) | instid1(VALU_DEP_1)
	v_bfe_u32 v3, v2, 16, 1
	v_add3_u32 v2, v2, v3, 0x7fff
	s_delay_alu instid0(VALU_DEP_1)
	v_lshrrev_b32_e32 v2, 16, v2
	s_branch .LBB166_450
.LBB166_448:
	s_mov_b32 s24, -1
                                        ; implicit-def: $vgpr2
.LBB166_449:
	s_mov_b32 s27, 0
.LBB166_450:
	s_delay_alu instid0(SALU_CYCLE_1)
	s_and_b32 vcc_lo, exec_lo, s27
	s_cbranch_vccz .LBB166_468
; %bb.451:
	s_cmp_lt_i32 s25, 27
	s_cbranch_scc1 .LBB166_454
; %bb.452:
	s_cmp_gt_i32 s25, 27
	s_cbranch_scc0 .LBB166_455
; %bb.453:
	s_wait_loadcnt 0x0
	global_load_b32 v2, v[0:1], off
	s_mov_b32 s26, 0
	s_wait_loadcnt 0x0
	v_cvt_f32_u32_e32 v2, v2
	s_delay_alu instid0(VALU_DEP_1) | instskip(NEXT) | instid1(VALU_DEP_1)
	v_bfe_u32 v3, v2, 16, 1
	v_add3_u32 v2, v2, v3, 0x7fff
	s_delay_alu instid0(VALU_DEP_1)
	v_lshrrev_b32_e32 v2, 16, v2
	s_branch .LBB166_456
.LBB166_454:
	s_mov_b32 s26, -1
                                        ; implicit-def: $vgpr2
	s_branch .LBB166_459
.LBB166_455:
	s_mov_b32 s26, -1
                                        ; implicit-def: $vgpr2
.LBB166_456:
	s_delay_alu instid0(SALU_CYCLE_1)
	s_and_not1_b32 vcc_lo, exec_lo, s26
	s_cbranch_vccnz .LBB166_458
; %bb.457:
	s_wait_loadcnt 0x0
	global_load_u16 v2, v[0:1], off
	s_wait_loadcnt 0x0
	v_cvt_f32_u32_e32 v2, v2
	s_delay_alu instid0(VALU_DEP_1) | instskip(NEXT) | instid1(VALU_DEP_1)
	v_bfe_u32 v3, v2, 16, 1
	v_add3_u32 v2, v2, v3, 0x7fff
	s_delay_alu instid0(VALU_DEP_1)
	v_lshrrev_b32_e32 v2, 16, v2
.LBB166_458:
	s_mov_b32 s26, 0
.LBB166_459:
	s_delay_alu instid0(SALU_CYCLE_1)
	s_and_not1_b32 vcc_lo, exec_lo, s26
	s_cbranch_vccnz .LBB166_467
; %bb.460:
	s_wait_loadcnt 0x0
	global_load_u8 v2, v[0:1], off
	s_mov_b32 s26, 0
	s_mov_b32 s27, exec_lo
	s_wait_loadcnt 0x0
	v_cmpx_lt_i16_e32 0x7f, v2
	s_xor_b32 s27, exec_lo, s27
	s_cbranch_execz .LBB166_481
; %bb.461:
	s_mov_b32 s26, -1
	s_mov_b32 s29, exec_lo
	v_cmpx_eq_u16_e32 0x80, v2
; %bb.462:
	s_xor_b32 s26, exec_lo, -1
; %bb.463:
	s_or_b32 exec_lo, exec_lo, s29
	s_delay_alu instid0(SALU_CYCLE_1)
	s_and_b32 s26, s26, exec_lo
	s_or_saveexec_b32 s27, s27
	v_mov_b32_e32 v3, 0x7f800001
	s_xor_b32 exec_lo, exec_lo, s27
	s_cbranch_execnz .LBB166_482
.LBB166_464:
	s_or_b32 exec_lo, exec_lo, s27
	s_and_saveexec_b32 s27, s26
	s_cbranch_execz .LBB166_466
.LBB166_465:
	v_and_b32_e32 v3, 0xffff, v2
	s_delay_alu instid0(VALU_DEP_1) | instskip(SKIP_1) | instid1(VALU_DEP_2)
	v_and_b32_e32 v4, 7, v3
	v_bfe_u32 v8, v3, 3, 4
	v_clz_i32_u32_e32 v5, v4
	s_delay_alu instid0(VALU_DEP_2) | instskip(NEXT) | instid1(VALU_DEP_2)
	v_cmp_eq_u32_e32 vcc_lo, 0, v8
	v_min_u32_e32 v5, 32, v5
	s_delay_alu instid0(VALU_DEP_1) | instskip(NEXT) | instid1(VALU_DEP_1)
	v_subrev_nc_u32_e32 v7, 28, v5
	v_dual_lshlrev_b32 v3, v7, v3 :: v_dual_sub_nc_u32 v5, 29, v5
	s_delay_alu instid0(VALU_DEP_1) | instskip(NEXT) | instid1(VALU_DEP_2)
	v_dual_lshlrev_b32 v2, 24, v2 :: v_dual_bitop2_b32 v3, 7, v3 bitop3:0x40
	v_cndmask_b32_e32 v5, v8, v5, vcc_lo
	s_delay_alu instid0(VALU_DEP_2) | instskip(NEXT) | instid1(VALU_DEP_3)
	v_cndmask_b32_e32 v3, v4, v3, vcc_lo
	v_and_b32_e32 v2, 0x80000000, v2
	s_delay_alu instid0(VALU_DEP_3) | instskip(NEXT) | instid1(VALU_DEP_3)
	v_lshl_add_u32 v4, v5, 23, 0x3b800000
	v_lshlrev_b32_e32 v3, 20, v3
	s_delay_alu instid0(VALU_DEP_1)
	v_or3_b32 v3, v2, v4, v3
.LBB166_466:
	s_or_b32 exec_lo, exec_lo, s27
	s_delay_alu instid0(VALU_DEP_1) | instskip(SKIP_1) | instid1(VALU_DEP_2)
	v_bfe_u32 v2, v3, 16, 1
	v_cmp_o_f32_e32 vcc_lo, v3, v3
	v_add3_u32 v2, v3, v2, 0x7fff
	s_delay_alu instid0(VALU_DEP_1) | instskip(NEXT) | instid1(VALU_DEP_1)
	v_lshrrev_b32_e32 v2, 16, v2
	v_cndmask_b32_e32 v2, 0x7fc0, v2, vcc_lo
.LBB166_467:
	s_mov_b32 s26, -1
.LBB166_468:
	s_mov_b32 s27, 0
.LBB166_469:
	s_delay_alu instid0(SALU_CYCLE_1)
	s_and_b32 vcc_lo, exec_lo, s27
	s_cbranch_vccz .LBB166_504
; %bb.470:
	s_cmp_gt_i32 s25, 22
	s_cbranch_scc0 .LBB166_480
; %bb.471:
	s_cmp_lt_i32 s25, 24
	s_cbranch_scc1 .LBB166_483
; %bb.472:
	s_cmp_gt_i32 s25, 24
	s_cbranch_scc0 .LBB166_484
; %bb.473:
	s_wait_loadcnt 0x0
	global_load_u8 v2, v[0:1], off
	s_mov_b32 s26, 0
	s_mov_b32 s27, exec_lo
	s_wait_loadcnt 0x0
	v_cmpx_lt_i16_e32 0x7f, v2
	s_xor_b32 s27, exec_lo, s27
	s_cbranch_execz .LBB166_496
; %bb.474:
	s_mov_b32 s26, -1
	s_mov_b32 s29, exec_lo
	v_cmpx_eq_u16_e32 0x80, v2
; %bb.475:
	s_xor_b32 s26, exec_lo, -1
; %bb.476:
	s_or_b32 exec_lo, exec_lo, s29
	s_delay_alu instid0(SALU_CYCLE_1)
	s_and_b32 s26, s26, exec_lo
	s_or_saveexec_b32 s27, s27
	v_mov_b32_e32 v3, 0x7f800001
	s_xor_b32 exec_lo, exec_lo, s27
	s_cbranch_execnz .LBB166_497
.LBB166_477:
	s_or_b32 exec_lo, exec_lo, s27
	s_and_saveexec_b32 s27, s26
	s_cbranch_execz .LBB166_479
.LBB166_478:
	v_and_b32_e32 v3, 0xffff, v2
	s_delay_alu instid0(VALU_DEP_1) | instskip(SKIP_1) | instid1(VALU_DEP_2)
	v_and_b32_e32 v4, 3, v3
	v_bfe_u32 v8, v3, 2, 5
	v_clz_i32_u32_e32 v5, v4
	s_delay_alu instid0(VALU_DEP_2) | instskip(NEXT) | instid1(VALU_DEP_2)
	v_cmp_eq_u32_e32 vcc_lo, 0, v8
	v_min_u32_e32 v5, 32, v5
	s_delay_alu instid0(VALU_DEP_1) | instskip(NEXT) | instid1(VALU_DEP_1)
	v_subrev_nc_u32_e32 v7, 29, v5
	v_dual_lshlrev_b32 v3, v7, v3 :: v_dual_sub_nc_u32 v5, 30, v5
	s_delay_alu instid0(VALU_DEP_1) | instskip(NEXT) | instid1(VALU_DEP_2)
	v_dual_lshlrev_b32 v2, 24, v2 :: v_dual_bitop2_b32 v3, 3, v3 bitop3:0x40
	v_cndmask_b32_e32 v5, v8, v5, vcc_lo
	s_delay_alu instid0(VALU_DEP_2) | instskip(NEXT) | instid1(VALU_DEP_3)
	v_cndmask_b32_e32 v3, v4, v3, vcc_lo
	v_and_b32_e32 v2, 0x80000000, v2
	s_delay_alu instid0(VALU_DEP_3) | instskip(NEXT) | instid1(VALU_DEP_3)
	v_lshl_add_u32 v4, v5, 23, 0x37800000
	v_lshlrev_b32_e32 v3, 21, v3
	s_delay_alu instid0(VALU_DEP_1)
	v_or3_b32 v3, v2, v4, v3
.LBB166_479:
	s_or_b32 exec_lo, exec_lo, s27
	s_delay_alu instid0(VALU_DEP_1) | instskip(SKIP_2) | instid1(VALU_DEP_2)
	v_bfe_u32 v2, v3, 16, 1
	v_cmp_o_f32_e32 vcc_lo, v3, v3
	s_mov_b32 s26, 0
	v_add3_u32 v2, v3, v2, 0x7fff
	s_delay_alu instid0(VALU_DEP_1) | instskip(NEXT) | instid1(VALU_DEP_1)
	v_lshrrev_b32_e32 v2, 16, v2
	v_cndmask_b32_e32 v2, 0x7fc0, v2, vcc_lo
	s_branch .LBB166_485
.LBB166_480:
	s_mov_b32 s27, -1
                                        ; implicit-def: $vgpr2
	s_branch .LBB166_491
.LBB166_481:
	s_or_saveexec_b32 s27, s27
	v_mov_b32_e32 v3, 0x7f800001
	s_xor_b32 exec_lo, exec_lo, s27
	s_cbranch_execz .LBB166_464
.LBB166_482:
	v_cmp_ne_u16_e32 vcc_lo, 0, v2
	v_mov_b32_e32 v3, 0
	s_and_not1_b32 s26, s26, exec_lo
	s_and_b32 s29, vcc_lo, exec_lo
	s_delay_alu instid0(SALU_CYCLE_1)
	s_or_b32 s26, s26, s29
	s_or_b32 exec_lo, exec_lo, s27
	s_and_saveexec_b32 s27, s26
	s_cbranch_execnz .LBB166_465
	s_branch .LBB166_466
.LBB166_483:
	s_mov_b32 s26, -1
                                        ; implicit-def: $vgpr2
	s_branch .LBB166_488
.LBB166_484:
	s_mov_b32 s26, -1
                                        ; implicit-def: $vgpr2
.LBB166_485:
	s_delay_alu instid0(SALU_CYCLE_1)
	s_and_b32 vcc_lo, exec_lo, s26
	s_cbranch_vccz .LBB166_487
; %bb.486:
	s_wait_loadcnt 0x0
	global_load_u8 v2, v[0:1], off
	s_wait_loadcnt 0x0
	v_lshlrev_b32_e32 v2, 24, v2
	s_delay_alu instid0(VALU_DEP_1) | instskip(NEXT) | instid1(VALU_DEP_1)
	v_and_b32_e32 v3, 0x7f000000, v2
	v_clz_i32_u32_e32 v4, v3
	v_add_nc_u32_e32 v7, 0x1000000, v3
	v_cmp_ne_u32_e32 vcc_lo, 0, v3
	s_delay_alu instid0(VALU_DEP_3) | instskip(NEXT) | instid1(VALU_DEP_1)
	v_min_u32_e32 v4, 32, v4
	v_sub_nc_u32_e64 v4, v4, 4 clamp
	s_delay_alu instid0(VALU_DEP_1) | instskip(NEXT) | instid1(VALU_DEP_1)
	v_dual_lshlrev_b32 v5, v4, v3 :: v_dual_lshlrev_b32 v4, 23, v4
	v_lshrrev_b32_e32 v5, 4, v5
	s_delay_alu instid0(VALU_DEP_1) | instskip(NEXT) | instid1(VALU_DEP_1)
	v_dual_sub_nc_u32 v4, v5, v4 :: v_dual_ashrrev_i32 v5, 8, v7
	v_add_nc_u32_e32 v4, 0x3c000000, v4
	s_delay_alu instid0(VALU_DEP_1) | instskip(NEXT) | instid1(VALU_DEP_1)
	v_and_or_b32 v4, 0x7f800000, v5, v4
	v_cndmask_b32_e32 v3, 0, v4, vcc_lo
	s_delay_alu instid0(VALU_DEP_1) | instskip(SKIP_1) | instid1(VALU_DEP_2)
	v_and_or_b32 v2, 0x80000000, v2, v3
	v_bfe_u32 v3, v3, 16, 1
	v_cmp_o_f32_e32 vcc_lo, v2, v2
	s_delay_alu instid0(VALU_DEP_2) | instskip(NEXT) | instid1(VALU_DEP_1)
	v_add3_u32 v3, v2, v3, 0x7fff
	v_lshrrev_b32_e32 v3, 16, v3
	s_delay_alu instid0(VALU_DEP_1)
	v_cndmask_b32_e32 v2, 0x7fc0, v3, vcc_lo
.LBB166_487:
	s_mov_b32 s26, 0
.LBB166_488:
	s_delay_alu instid0(SALU_CYCLE_1)
	s_and_not1_b32 vcc_lo, exec_lo, s26
	s_cbranch_vccnz .LBB166_490
; %bb.489:
	s_wait_loadcnt 0x0
	global_load_u8 v2, v[0:1], off
	s_wait_loadcnt 0x0
	v_lshlrev_b32_e32 v3, 25, v2
	v_lshlrev_b16 v2, 8, v2
	s_delay_alu instid0(VALU_DEP_1) | instskip(SKIP_1) | instid1(VALU_DEP_2)
	v_and_or_b32 v5, 0x7f00, v2, 0.5
	v_bfe_i32 v2, v2, 0, 16
	v_dual_add_f32 v5, -0.5, v5 :: v_dual_lshrrev_b32 v4, 4, v3
	v_cmp_gt_u32_e32 vcc_lo, 0x8000000, v3
	s_delay_alu instid0(VALU_DEP_2) | instskip(NEXT) | instid1(VALU_DEP_1)
	v_or_b32_e32 v4, 0x70000000, v4
	v_mul_f32_e32 v4, 0x7800000, v4
	s_delay_alu instid0(VALU_DEP_1) | instskip(NEXT) | instid1(VALU_DEP_1)
	v_cndmask_b32_e32 v3, v4, v5, vcc_lo
	v_and_or_b32 v2, 0x80000000, v2, v3
	v_bfe_u32 v3, v3, 16, 1
	s_delay_alu instid0(VALU_DEP_2) | instskip(NEXT) | instid1(VALU_DEP_2)
	v_cmp_o_f32_e32 vcc_lo, v2, v2
	v_add3_u32 v3, v2, v3, 0x7fff
	s_delay_alu instid0(VALU_DEP_1) | instskip(NEXT) | instid1(VALU_DEP_1)
	v_lshrrev_b32_e32 v3, 16, v3
	v_cndmask_b32_e32 v2, 0x7fc0, v3, vcc_lo
.LBB166_490:
	s_mov_b32 s27, 0
	s_mov_b32 s26, -1
.LBB166_491:
	s_and_not1_b32 vcc_lo, exec_lo, s27
	s_cbranch_vccnz .LBB166_504
; %bb.492:
	s_cmp_gt_i32 s25, 14
	s_cbranch_scc0 .LBB166_495
; %bb.493:
	s_cmp_eq_u32 s25, 15
	s_cbranch_scc0 .LBB166_498
; %bb.494:
	s_wait_loadcnt 0x0
	global_load_u16 v2, v[0:1], off
	s_mov_b32 s26, -1
	s_mov_b32 s24, 0
	s_branch .LBB166_499
.LBB166_495:
	s_mov_b32 s27, -1
                                        ; implicit-def: $vgpr2
	s_branch .LBB166_500
.LBB166_496:
	s_or_saveexec_b32 s27, s27
	v_mov_b32_e32 v3, 0x7f800001
	s_xor_b32 exec_lo, exec_lo, s27
	s_cbranch_execz .LBB166_477
.LBB166_497:
	v_cmp_ne_u16_e32 vcc_lo, 0, v2
	v_mov_b32_e32 v3, 0
	s_and_not1_b32 s26, s26, exec_lo
	s_and_b32 s29, vcc_lo, exec_lo
	s_delay_alu instid0(SALU_CYCLE_1)
	s_or_b32 s26, s26, s29
	s_or_b32 exec_lo, exec_lo, s27
	s_and_saveexec_b32 s27, s26
	s_cbranch_execnz .LBB166_478
	s_branch .LBB166_479
.LBB166_498:
	s_mov_b32 s24, -1
                                        ; implicit-def: $vgpr2
.LBB166_499:
	s_mov_b32 s27, 0
.LBB166_500:
	s_delay_alu instid0(SALU_CYCLE_1)
	s_and_b32 vcc_lo, exec_lo, s27
	s_cbranch_vccz .LBB166_504
; %bb.501:
	s_cmp_eq_u32 s25, 11
	s_cbranch_scc0 .LBB166_503
; %bb.502:
	s_wait_loadcnt 0x0
	global_load_u8 v2, v[0:1], off
	s_mov_b32 s24, 0
	s_mov_b32 s26, -1
	s_wait_loadcnt 0x0
	v_cmp_ne_u16_e32 vcc_lo, 0, v2
	v_cndmask_b32_e64 v2, 0, 1.0, vcc_lo
	s_delay_alu instid0(VALU_DEP_1)
	v_lshrrev_b32_e32 v2, 16, v2
	s_branch .LBB166_504
.LBB166_503:
	s_mov_b32 s24, -1
                                        ; implicit-def: $vgpr2
.LBB166_504:
	s_mov_b32 s25, 0
.LBB166_505:
	s_delay_alu instid0(SALU_CYCLE_1)
	s_and_b32 vcc_lo, exec_lo, s25
	s_cbranch_vccz .LBB166_554
; %bb.506:
	s_and_b32 s0, 0xffff, s0
	s_delay_alu instid0(SALU_CYCLE_1)
	s_cmp_lt_i32 s0, 5
	s_cbranch_scc1 .LBB166_511
; %bb.507:
	s_cmp_lt_i32 s0, 8
	s_cbranch_scc1 .LBB166_512
; %bb.508:
	;; [unrolled: 3-line block ×3, first 2 shown]
	s_cmp_gt_i32 s0, 9
	s_cbranch_scc0 .LBB166_514
; %bb.510:
	s_wait_loadcnt 0x0
	global_load_b64 v[2:3], v[0:1], off
	s_mov_b32 s25, 0
	s_wait_loadcnt 0x0
	v_cvt_f32_f64_e32 v2, v[2:3]
	s_delay_alu instid0(VALU_DEP_1) | instskip(SKIP_1) | instid1(VALU_DEP_2)
	v_bfe_u32 v3, v2, 16, 1
	v_cmp_o_f32_e32 vcc_lo, v2, v2
	v_add3_u32 v3, v2, v3, 0x7fff
	s_delay_alu instid0(VALU_DEP_1) | instskip(NEXT) | instid1(VALU_DEP_1)
	v_lshrrev_b32_e32 v3, 16, v3
	v_cndmask_b32_e32 v2, 0x7fc0, v3, vcc_lo
	s_branch .LBB166_515
.LBB166_511:
	s_mov_b32 s25, -1
                                        ; implicit-def: $vgpr2
	s_branch .LBB166_533
.LBB166_512:
	s_mov_b32 s25, -1
                                        ; implicit-def: $vgpr2
	s_branch .LBB166_521
.LBB166_513:
	s_mov_b32 s25, -1
                                        ; implicit-def: $vgpr2
	s_branch .LBB166_518
.LBB166_514:
	s_mov_b32 s25, -1
                                        ; implicit-def: $vgpr2
.LBB166_515:
	s_delay_alu instid0(SALU_CYCLE_1)
	s_and_not1_b32 vcc_lo, exec_lo, s25
	s_cbranch_vccnz .LBB166_517
; %bb.516:
	s_wait_loadcnt 0x0
	global_load_b32 v2, v[0:1], off
	s_wait_loadcnt 0x0
	v_bfe_u32 v3, v2, 16, 1
	v_cmp_o_f32_e32 vcc_lo, v2, v2
	s_delay_alu instid0(VALU_DEP_2) | instskip(NEXT) | instid1(VALU_DEP_1)
	v_add3_u32 v3, v2, v3, 0x7fff
	v_lshrrev_b32_e32 v3, 16, v3
	s_delay_alu instid0(VALU_DEP_1)
	v_cndmask_b32_e32 v2, 0x7fc0, v3, vcc_lo
.LBB166_517:
	s_mov_b32 s25, 0
.LBB166_518:
	s_delay_alu instid0(SALU_CYCLE_1)
	s_and_not1_b32 vcc_lo, exec_lo, s25
	s_cbranch_vccnz .LBB166_520
; %bb.519:
	s_wait_loadcnt 0x0
	global_load_b32 v2, v[0:1], off
	s_wait_loadcnt 0x0
	v_cvt_f32_f16_e32 v3, v2
	v_cmp_o_f16_e32 vcc_lo, v2, v2
	s_delay_alu instid0(VALU_DEP_2) | instskip(NEXT) | instid1(VALU_DEP_1)
	v_bfe_u32 v4, v3, 16, 1
	v_add3_u32 v3, v3, v4, 0x7fff
	s_delay_alu instid0(VALU_DEP_1) | instskip(NEXT) | instid1(VALU_DEP_1)
	v_lshrrev_b32_e32 v3, 16, v3
	v_cndmask_b32_e32 v2, 0x7fc0, v3, vcc_lo
.LBB166_520:
	s_mov_b32 s25, 0
.LBB166_521:
	s_delay_alu instid0(SALU_CYCLE_1)
	s_and_not1_b32 vcc_lo, exec_lo, s25
	s_cbranch_vccnz .LBB166_532
; %bb.522:
	s_cmp_lt_i32 s0, 6
	s_cbranch_scc1 .LBB166_525
; %bb.523:
	s_cmp_gt_i32 s0, 6
	s_cbranch_scc0 .LBB166_526
; %bb.524:
	s_wait_loadcnt 0x0
	global_load_b64 v[2:3], v[0:1], off
	s_mov_b32 s25, 0
	s_wait_loadcnt 0x0
	v_cvt_f32_f64_e32 v2, v[2:3]
	s_delay_alu instid0(VALU_DEP_1) | instskip(SKIP_1) | instid1(VALU_DEP_2)
	v_bfe_u32 v3, v2, 16, 1
	v_cmp_o_f32_e32 vcc_lo, v2, v2
	v_add3_u32 v3, v2, v3, 0x7fff
	s_delay_alu instid0(VALU_DEP_1) | instskip(NEXT) | instid1(VALU_DEP_1)
	v_lshrrev_b32_e32 v3, 16, v3
	v_cndmask_b32_e32 v2, 0x7fc0, v3, vcc_lo
	s_branch .LBB166_527
.LBB166_525:
	s_mov_b32 s25, -1
                                        ; implicit-def: $vgpr2
	s_branch .LBB166_530
.LBB166_526:
	s_mov_b32 s25, -1
                                        ; implicit-def: $vgpr2
.LBB166_527:
	s_delay_alu instid0(SALU_CYCLE_1)
	s_and_not1_b32 vcc_lo, exec_lo, s25
	s_cbranch_vccnz .LBB166_529
; %bb.528:
	s_wait_loadcnt 0x0
	global_load_b32 v2, v[0:1], off
	s_wait_loadcnt 0x0
	v_bfe_u32 v3, v2, 16, 1
	v_cmp_o_f32_e32 vcc_lo, v2, v2
	s_delay_alu instid0(VALU_DEP_2) | instskip(NEXT) | instid1(VALU_DEP_1)
	v_add3_u32 v3, v2, v3, 0x7fff
	v_lshrrev_b32_e32 v3, 16, v3
	s_delay_alu instid0(VALU_DEP_1)
	v_cndmask_b32_e32 v2, 0x7fc0, v3, vcc_lo
.LBB166_529:
	s_mov_b32 s25, 0
.LBB166_530:
	s_delay_alu instid0(SALU_CYCLE_1)
	s_and_not1_b32 vcc_lo, exec_lo, s25
	s_cbranch_vccnz .LBB166_532
; %bb.531:
	s_wait_loadcnt 0x0
	global_load_u16 v2, v[0:1], off
	s_wait_loadcnt 0x0
	v_cvt_f32_f16_e32 v3, v2
	v_cmp_o_f16_e32 vcc_lo, v2, v2
	s_delay_alu instid0(VALU_DEP_2) | instskip(NEXT) | instid1(VALU_DEP_1)
	v_bfe_u32 v4, v3, 16, 1
	v_add3_u32 v3, v3, v4, 0x7fff
	s_delay_alu instid0(VALU_DEP_1) | instskip(NEXT) | instid1(VALU_DEP_1)
	v_lshrrev_b32_e32 v3, 16, v3
	v_cndmask_b32_e32 v2, 0x7fc0, v3, vcc_lo
.LBB166_532:
	s_mov_b32 s25, 0
.LBB166_533:
	s_delay_alu instid0(SALU_CYCLE_1)
	s_and_not1_b32 vcc_lo, exec_lo, s25
	s_cbranch_vccnz .LBB166_553
; %bb.534:
	s_cmp_lt_i32 s0, 2
	s_cbranch_scc1 .LBB166_538
; %bb.535:
	s_cmp_lt_i32 s0, 3
	s_cbranch_scc1 .LBB166_539
; %bb.536:
	s_cmp_gt_i32 s0, 3
	s_cbranch_scc0 .LBB166_540
; %bb.537:
	s_wait_loadcnt 0x0
	global_load_b64 v[2:3], v[0:1], off
	s_mov_b32 s25, 0
	s_wait_loadcnt 0x0
	v_xor_b32_e32 v4, v2, v3
	v_cls_i32_e32 v5, v3
	s_delay_alu instid0(VALU_DEP_2) | instskip(NEXT) | instid1(VALU_DEP_1)
	v_ashrrev_i32_e32 v4, 31, v4
	v_add_nc_u32_e32 v4, 32, v4
	s_delay_alu instid0(VALU_DEP_1) | instskip(NEXT) | instid1(VALU_DEP_1)
	v_add_min_u32_e64 v4, v5, -1, v4
	v_lshlrev_b64_e32 v[2:3], v4, v[2:3]
	s_delay_alu instid0(VALU_DEP_1) | instskip(NEXT) | instid1(VALU_DEP_1)
	v_min_u32_e32 v2, 1, v2
	v_dual_sub_nc_u32 v3, 32, v4 :: v_dual_bitop2_b32 v2, v3, v2 bitop3:0x54
	s_delay_alu instid0(VALU_DEP_1) | instskip(NEXT) | instid1(VALU_DEP_1)
	v_cvt_f32_i32_e32 v2, v2
	v_ldexp_f32 v2, v2, v3
	s_delay_alu instid0(VALU_DEP_1) | instskip(NEXT) | instid1(VALU_DEP_1)
	v_bfe_u32 v3, v2, 16, 1
	v_add3_u32 v2, v2, v3, 0x7fff
	s_delay_alu instid0(VALU_DEP_1)
	v_lshrrev_b32_e32 v2, 16, v2
	s_branch .LBB166_541
.LBB166_538:
	s_mov_b32 s25, -1
                                        ; implicit-def: $vgpr2
	s_branch .LBB166_547
.LBB166_539:
	s_mov_b32 s25, -1
                                        ; implicit-def: $vgpr2
	s_branch .LBB166_544
.LBB166_540:
	s_mov_b32 s25, -1
                                        ; implicit-def: $vgpr2
.LBB166_541:
	s_delay_alu instid0(SALU_CYCLE_1)
	s_and_not1_b32 vcc_lo, exec_lo, s25
	s_cbranch_vccnz .LBB166_543
; %bb.542:
	s_wait_loadcnt 0x0
	global_load_b32 v2, v[0:1], off
	s_wait_loadcnt 0x0
	v_cvt_f32_i32_e32 v2, v2
	s_delay_alu instid0(VALU_DEP_1) | instskip(NEXT) | instid1(VALU_DEP_1)
	v_bfe_u32 v3, v2, 16, 1
	v_add3_u32 v2, v2, v3, 0x7fff
	s_delay_alu instid0(VALU_DEP_1)
	v_lshrrev_b32_e32 v2, 16, v2
.LBB166_543:
	s_mov_b32 s25, 0
.LBB166_544:
	s_delay_alu instid0(SALU_CYCLE_1)
	s_and_not1_b32 vcc_lo, exec_lo, s25
	s_cbranch_vccnz .LBB166_546
; %bb.545:
	s_wait_loadcnt 0x0
	global_load_i16 v2, v[0:1], off
	s_wait_loadcnt 0x0
	v_cvt_f32_i32_e32 v2, v2
	s_delay_alu instid0(VALU_DEP_1) | instskip(NEXT) | instid1(VALU_DEP_1)
	v_bfe_u32 v3, v2, 16, 1
	v_add3_u32 v2, v2, v3, 0x7fff
	s_delay_alu instid0(VALU_DEP_1)
	v_lshrrev_b32_e32 v2, 16, v2
.LBB166_546:
	s_mov_b32 s25, 0
.LBB166_547:
	s_delay_alu instid0(SALU_CYCLE_1)
	s_and_not1_b32 vcc_lo, exec_lo, s25
	s_cbranch_vccnz .LBB166_553
; %bb.548:
	s_cmp_gt_i32 s0, 0
	s_mov_b32 s0, 0
	s_cbranch_scc0 .LBB166_550
; %bb.549:
	s_wait_loadcnt 0x0
	global_load_i8 v2, v[0:1], off
	s_wait_loadcnt 0x0
	v_cvt_f32_i32_e32 v2, v2
	s_delay_alu instid0(VALU_DEP_1) | instskip(NEXT) | instid1(VALU_DEP_1)
	v_bfe_u32 v3, v2, 16, 1
	v_add3_u32 v2, v2, v3, 0x7fff
	s_delay_alu instid0(VALU_DEP_1)
	v_lshrrev_b32_e32 v2, 16, v2
	s_branch .LBB166_551
.LBB166_550:
	s_mov_b32 s0, -1
                                        ; implicit-def: $vgpr2
.LBB166_551:
	s_delay_alu instid0(SALU_CYCLE_1)
	s_and_not1_b32 vcc_lo, exec_lo, s0
	s_cbranch_vccnz .LBB166_553
; %bb.552:
	global_load_u8 v0, v[0:1], off
	s_wait_loadcnt 0x0
	v_cvt_f32_ubyte0_e32 v0, v0
	s_delay_alu instid0(VALU_DEP_1) | instskip(NEXT) | instid1(VALU_DEP_1)
	v_bfe_u32 v1, v0, 16, 1
	v_add3_u32 v0, v0, v1, 0x7fff
	s_delay_alu instid0(VALU_DEP_1)
	v_lshrrev_b32_e32 v2, 16, v0
.LBB166_553:
	s_mov_b32 s26, -1
.LBB166_554:
	s_mov_b32 s27, 0
	s_mov_b32 s0, s19
	s_and_not1_b32 vcc_lo, exec_lo, s26
	s_mov_b32 s25, s20
	s_mov_b32 s29, 0
	s_cbranch_vccnz .LBB166_809
; %bb.555:
	s_wait_xcnt 0x0
	v_mul_lo_u32 v0, v6, s9
	s_and_b32 s0, 0xffff, s10
	s_delay_alu instid0(SALU_CYCLE_1) | instskip(NEXT) | instid1(VALU_DEP_1)
	s_cmp_lt_i32 s0, 11
	v_ashrrev_i32_e32 v1, 31, v0
	s_delay_alu instid0(VALU_DEP_1)
	v_add_nc_u64_e32 v[0:1], s[6:7], v[0:1]
	s_cbranch_scc1 .LBB166_562
; %bb.556:
	s_cmp_gt_i32 s0, 25
	s_cbranch_scc0 .LBB166_563
; %bb.557:
	s_cmp_gt_i32 s0, 28
	s_cbranch_scc0 .LBB166_564
	;; [unrolled: 3-line block ×4, first 2 shown]
; %bb.560:
	s_cmp_eq_u32 s0, 46
	s_cbranch_scc0 .LBB166_569
; %bb.561:
	s_wait_loadcnt 0x0
	global_load_b32 v3, v[0:1], off
	s_mov_b32 s26, -1
	s_mov_b32 s25, 0
	s_branch .LBB166_571
.LBB166_562:
	s_mov_b32 s29, -1
	s_mov_b32 s26, 0
	s_mov_b32 s25, s20
                                        ; implicit-def: $vgpr3
	s_branch .LBB166_636
.LBB166_563:
	s_mov_b32 s29, -1
	s_mov_b32 s26, 0
	s_mov_b32 s25, s20
                                        ; implicit-def: $vgpr3
	s_branch .LBB166_600
.LBB166_564:
	s_mov_b32 s29, -1
	s_mov_b32 s26, 0
	s_mov_b32 s25, s20
                                        ; implicit-def: $vgpr3
	s_branch .LBB166_581
.LBB166_565:
	s_mov_b32 s29, -1
	s_mov_b32 s26, 0
	s_mov_b32 s25, s20
                                        ; implicit-def: $vgpr3
	s_branch .LBB166_576
.LBB166_566:
	s_mov_b32 s29, -1
	s_mov_b32 s26, 0
	s_mov_b32 s25, s20
	s_branch .LBB166_570
.LBB166_567:
	s_and_not1_saveexec_b32 s28, s28
	s_cbranch_execz .LBB166_325
.LBB166_568:
	v_add_f32_e64 v4, 0x42800000, |v5|
	s_and_not1_b32 s27, s27, exec_lo
	s_delay_alu instid0(VALU_DEP_1) | instskip(NEXT) | instid1(VALU_DEP_1)
	v_and_b32_e32 v4, 0xff, v4
	v_cmp_ne_u32_e32 vcc_lo, 0, v4
	s_and_b32 s29, vcc_lo, exec_lo
	s_delay_alu instid0(SALU_CYCLE_1)
	s_or_b32 s27, s27, s29
	s_or_b32 exec_lo, exec_lo, s28
	v_mov_b32_e32 v7, 0
	s_and_saveexec_b32 s28, s27
	s_cbranch_execnz .LBB166_326
	s_branch .LBB166_327
.LBB166_569:
	s_mov_b32 s25, -1
	s_mov_b32 s26, 0
.LBB166_570:
                                        ; implicit-def: $vgpr3
.LBB166_571:
	s_and_b32 vcc_lo, exec_lo, s29
	s_cbranch_vccz .LBB166_575
; %bb.572:
	s_cmp_eq_u32 s0, 44
	s_cbranch_scc0 .LBB166_574
; %bb.573:
	s_wait_loadcnt 0x0
	global_load_u8 v3, v[0:1], off
	s_mov_b32 s25, 0
	s_mov_b32 s26, -1
	s_wait_loadcnt 0x0
	v_lshlrev_b32_e32 v4, 23, v3
	v_cmp_ne_u32_e32 vcc_lo, 0xff, v3
	s_delay_alu instid0(VALU_DEP_2) | instskip(SKIP_1) | instid1(VALU_DEP_2)
	v_cndmask_b32_e32 v4, 0x7f800001, v4, vcc_lo
	v_cmp_ne_u32_e32 vcc_lo, 0, v3
	v_cndmask_b32_e32 v3, 0x400000, v4, vcc_lo
	s_delay_alu instid0(VALU_DEP_1) | instskip(NEXT) | instid1(VALU_DEP_1)
	v_add_nc_u32_e32 v4, 0x7fff, v3
	v_lshrrev_b32_e32 v4, 16, v4
	v_cmp_o_f32_e32 vcc_lo, v3, v3
	s_delay_alu instid0(VALU_DEP_2)
	v_cndmask_b32_e32 v3, 0x7fc0, v4, vcc_lo
	s_branch .LBB166_575
.LBB166_574:
	s_mov_b32 s25, -1
                                        ; implicit-def: $vgpr3
.LBB166_575:
	s_mov_b32 s29, 0
.LBB166_576:
	s_delay_alu instid0(SALU_CYCLE_1)
	s_and_b32 vcc_lo, exec_lo, s29
	s_cbranch_vccz .LBB166_580
; %bb.577:
	s_cmp_eq_u32 s0, 29
	s_cbranch_scc0 .LBB166_579
; %bb.578:
	global_load_b64 v[4:5], v[0:1], off
	s_mov_b32 s26, -1
	s_mov_b32 s25, 0
	s_mov_b32 s29, 0
	s_wait_loadcnt 0x0
	v_clz_i32_u32_e32 v3, v5
	s_delay_alu instid0(VALU_DEP_1) | instskip(NEXT) | instid1(VALU_DEP_1)
	v_min_u32_e32 v3, 32, v3
	v_lshlrev_b64_e32 v[4:5], v3, v[4:5]
	v_sub_nc_u32_e32 v3, 32, v3
	s_delay_alu instid0(VALU_DEP_2) | instskip(NEXT) | instid1(VALU_DEP_1)
	v_min_u32_e32 v4, 1, v4
	v_or_b32_e32 v4, v5, v4
	s_delay_alu instid0(VALU_DEP_1) | instskip(NEXT) | instid1(VALU_DEP_1)
	v_cvt_f32_u32_e32 v4, v4
	v_ldexp_f32 v3, v4, v3
	s_delay_alu instid0(VALU_DEP_1) | instskip(NEXT) | instid1(VALU_DEP_1)
	v_bfe_u32 v4, v3, 16, 1
	v_add3_u32 v3, v3, v4, 0x7fff
	s_delay_alu instid0(VALU_DEP_1)
	v_lshrrev_b32_e32 v3, 16, v3
	s_branch .LBB166_581
.LBB166_579:
	s_mov_b32 s25, -1
                                        ; implicit-def: $vgpr3
.LBB166_580:
	s_mov_b32 s29, 0
.LBB166_581:
	s_delay_alu instid0(SALU_CYCLE_1)
	s_and_b32 vcc_lo, exec_lo, s29
	s_cbranch_vccz .LBB166_599
; %bb.582:
	s_cmp_lt_i32 s0, 27
	s_cbranch_scc1 .LBB166_585
; %bb.583:
	s_cmp_gt_i32 s0, 27
	s_cbranch_scc0 .LBB166_586
; %bb.584:
	s_wait_loadcnt 0x0
	global_load_b32 v3, v[0:1], off
	s_mov_b32 s26, 0
	s_wait_loadcnt 0x0
	v_cvt_f32_u32_e32 v3, v3
	s_delay_alu instid0(VALU_DEP_1) | instskip(NEXT) | instid1(VALU_DEP_1)
	v_bfe_u32 v4, v3, 16, 1
	v_add3_u32 v3, v3, v4, 0x7fff
	s_delay_alu instid0(VALU_DEP_1)
	v_lshrrev_b32_e32 v3, 16, v3
	s_branch .LBB166_587
.LBB166_585:
	s_mov_b32 s26, -1
                                        ; implicit-def: $vgpr3
	s_branch .LBB166_590
.LBB166_586:
	s_mov_b32 s26, -1
                                        ; implicit-def: $vgpr3
.LBB166_587:
	s_delay_alu instid0(SALU_CYCLE_1)
	s_and_not1_b32 vcc_lo, exec_lo, s26
	s_cbranch_vccnz .LBB166_589
; %bb.588:
	s_wait_loadcnt 0x0
	global_load_u16 v3, v[0:1], off
	s_wait_loadcnt 0x0
	v_cvt_f32_u32_e32 v3, v3
	s_delay_alu instid0(VALU_DEP_1) | instskip(NEXT) | instid1(VALU_DEP_1)
	v_bfe_u32 v4, v3, 16, 1
	v_add3_u32 v3, v3, v4, 0x7fff
	s_delay_alu instid0(VALU_DEP_1)
	v_lshrrev_b32_e32 v3, 16, v3
.LBB166_589:
	s_mov_b32 s26, 0
.LBB166_590:
	s_delay_alu instid0(SALU_CYCLE_1)
	s_and_not1_b32 vcc_lo, exec_lo, s26
	s_cbranch_vccnz .LBB166_598
; %bb.591:
	s_wait_loadcnt 0x0
	global_load_u8 v3, v[0:1], off
	s_mov_b32 s26, 0
	s_mov_b32 s29, exec_lo
	s_wait_loadcnt 0x0
	v_cmpx_lt_i16_e32 0x7f, v3
	s_xor_b32 s29, exec_lo, s29
	s_cbranch_execz .LBB166_612
; %bb.592:
	s_mov_b32 s26, -1
	s_mov_b32 s30, exec_lo
	v_cmpx_eq_u16_e32 0x80, v3
; %bb.593:
	s_xor_b32 s26, exec_lo, -1
; %bb.594:
	s_or_b32 exec_lo, exec_lo, s30
	s_delay_alu instid0(SALU_CYCLE_1)
	s_and_b32 s26, s26, exec_lo
	s_or_saveexec_b32 s29, s29
	v_mov_b32_e32 v4, 0x7f800001
	s_xor_b32 exec_lo, exec_lo, s29
	s_cbranch_execnz .LBB166_613
.LBB166_595:
	s_or_b32 exec_lo, exec_lo, s29
	s_and_saveexec_b32 s29, s26
	s_cbranch_execz .LBB166_597
.LBB166_596:
	v_and_b32_e32 v4, 0xffff, v3
	s_delay_alu instid0(VALU_DEP_1) | instskip(SKIP_1) | instid1(VALU_DEP_2)
	v_and_b32_e32 v5, 7, v4
	v_bfe_u32 v9, v4, 3, 4
	v_clz_i32_u32_e32 v7, v5
	s_delay_alu instid0(VALU_DEP_2) | instskip(NEXT) | instid1(VALU_DEP_2)
	v_cmp_eq_u32_e32 vcc_lo, 0, v9
	v_min_u32_e32 v7, 32, v7
	s_delay_alu instid0(VALU_DEP_1) | instskip(NEXT) | instid1(VALU_DEP_1)
	v_subrev_nc_u32_e32 v8, 28, v7
	v_dual_lshlrev_b32 v4, v8, v4 :: v_dual_sub_nc_u32 v7, 29, v7
	s_delay_alu instid0(VALU_DEP_1) | instskip(NEXT) | instid1(VALU_DEP_1)
	v_dual_lshlrev_b32 v3, 24, v3 :: v_dual_bitop2_b32 v4, 7, v4 bitop3:0x40
	v_cndmask_b32_e32 v4, v5, v4, vcc_lo
	s_delay_alu instid0(VALU_DEP_3) | instskip(NEXT) | instid1(VALU_DEP_3)
	v_cndmask_b32_e32 v7, v9, v7, vcc_lo
	v_and_b32_e32 v3, 0x80000000, v3
	s_delay_alu instid0(VALU_DEP_3) | instskip(NEXT) | instid1(VALU_DEP_3)
	v_lshlrev_b32_e32 v4, 20, v4
	v_lshl_add_u32 v5, v7, 23, 0x3b800000
	s_delay_alu instid0(VALU_DEP_1)
	v_or3_b32 v4, v3, v5, v4
.LBB166_597:
	s_or_b32 exec_lo, exec_lo, s29
	s_delay_alu instid0(VALU_DEP_1) | instskip(SKIP_1) | instid1(VALU_DEP_2)
	v_bfe_u32 v3, v4, 16, 1
	v_cmp_o_f32_e32 vcc_lo, v4, v4
	v_add3_u32 v3, v4, v3, 0x7fff
	s_delay_alu instid0(VALU_DEP_1) | instskip(NEXT) | instid1(VALU_DEP_1)
	v_lshrrev_b32_e32 v3, 16, v3
	v_cndmask_b32_e32 v3, 0x7fc0, v3, vcc_lo
.LBB166_598:
	s_mov_b32 s26, -1
.LBB166_599:
	s_mov_b32 s29, 0
.LBB166_600:
	s_delay_alu instid0(SALU_CYCLE_1)
	s_and_b32 vcc_lo, exec_lo, s29
	s_cbranch_vccz .LBB166_635
; %bb.601:
	s_cmp_gt_i32 s0, 22
	s_cbranch_scc0 .LBB166_611
; %bb.602:
	s_cmp_lt_i32 s0, 24
	s_cbranch_scc1 .LBB166_614
; %bb.603:
	s_cmp_gt_i32 s0, 24
	s_cbranch_scc0 .LBB166_615
; %bb.604:
	s_wait_loadcnt 0x0
	global_load_u8 v3, v[0:1], off
	s_mov_b32 s26, 0
	s_mov_b32 s29, exec_lo
	s_wait_loadcnt 0x0
	v_cmpx_lt_i16_e32 0x7f, v3
	s_xor_b32 s29, exec_lo, s29
	s_cbranch_execz .LBB166_627
; %bb.605:
	s_mov_b32 s26, -1
	s_mov_b32 s30, exec_lo
	v_cmpx_eq_u16_e32 0x80, v3
; %bb.606:
	s_xor_b32 s26, exec_lo, -1
; %bb.607:
	s_or_b32 exec_lo, exec_lo, s30
	s_delay_alu instid0(SALU_CYCLE_1)
	s_and_b32 s26, s26, exec_lo
	s_or_saveexec_b32 s29, s29
	v_mov_b32_e32 v4, 0x7f800001
	s_xor_b32 exec_lo, exec_lo, s29
	s_cbranch_execnz .LBB166_628
.LBB166_608:
	s_or_b32 exec_lo, exec_lo, s29
	s_and_saveexec_b32 s29, s26
	s_cbranch_execz .LBB166_610
.LBB166_609:
	v_and_b32_e32 v4, 0xffff, v3
	s_delay_alu instid0(VALU_DEP_1) | instskip(SKIP_1) | instid1(VALU_DEP_2)
	v_and_b32_e32 v5, 3, v4
	v_bfe_u32 v9, v4, 2, 5
	v_clz_i32_u32_e32 v7, v5
	s_delay_alu instid0(VALU_DEP_2) | instskip(NEXT) | instid1(VALU_DEP_2)
	v_cmp_eq_u32_e32 vcc_lo, 0, v9
	v_min_u32_e32 v7, 32, v7
	s_delay_alu instid0(VALU_DEP_1) | instskip(NEXT) | instid1(VALU_DEP_1)
	v_subrev_nc_u32_e32 v8, 29, v7
	v_dual_lshlrev_b32 v4, v8, v4 :: v_dual_sub_nc_u32 v7, 30, v7
	s_delay_alu instid0(VALU_DEP_1) | instskip(NEXT) | instid1(VALU_DEP_1)
	v_dual_lshlrev_b32 v3, 24, v3 :: v_dual_bitop2_b32 v4, 3, v4 bitop3:0x40
	v_cndmask_b32_e32 v4, v5, v4, vcc_lo
	s_delay_alu instid0(VALU_DEP_3) | instskip(NEXT) | instid1(VALU_DEP_3)
	v_cndmask_b32_e32 v7, v9, v7, vcc_lo
	v_and_b32_e32 v3, 0x80000000, v3
	s_delay_alu instid0(VALU_DEP_3) | instskip(NEXT) | instid1(VALU_DEP_3)
	v_lshlrev_b32_e32 v4, 21, v4
	v_lshl_add_u32 v5, v7, 23, 0x37800000
	s_delay_alu instid0(VALU_DEP_1)
	v_or3_b32 v4, v3, v5, v4
.LBB166_610:
	s_or_b32 exec_lo, exec_lo, s29
	s_delay_alu instid0(VALU_DEP_1) | instskip(SKIP_2) | instid1(VALU_DEP_2)
	v_bfe_u32 v3, v4, 16, 1
	v_cmp_o_f32_e32 vcc_lo, v4, v4
	s_mov_b32 s26, 0
	v_add3_u32 v3, v4, v3, 0x7fff
	s_delay_alu instid0(VALU_DEP_1) | instskip(NEXT) | instid1(VALU_DEP_1)
	v_lshrrev_b32_e32 v3, 16, v3
	v_cndmask_b32_e32 v3, 0x7fc0, v3, vcc_lo
	s_branch .LBB166_616
.LBB166_611:
	s_mov_b32 s29, -1
                                        ; implicit-def: $vgpr3
	s_branch .LBB166_622
.LBB166_612:
	s_or_saveexec_b32 s29, s29
	v_mov_b32_e32 v4, 0x7f800001
	s_xor_b32 exec_lo, exec_lo, s29
	s_cbranch_execz .LBB166_595
.LBB166_613:
	v_cmp_ne_u16_e32 vcc_lo, 0, v3
	v_mov_b32_e32 v4, 0
	s_and_not1_b32 s26, s26, exec_lo
	s_and_b32 s30, vcc_lo, exec_lo
	s_delay_alu instid0(SALU_CYCLE_1)
	s_or_b32 s26, s26, s30
	s_or_b32 exec_lo, exec_lo, s29
	s_and_saveexec_b32 s29, s26
	s_cbranch_execnz .LBB166_596
	s_branch .LBB166_597
.LBB166_614:
	s_mov_b32 s26, -1
                                        ; implicit-def: $vgpr3
	s_branch .LBB166_619
.LBB166_615:
	s_mov_b32 s26, -1
                                        ; implicit-def: $vgpr3
.LBB166_616:
	s_delay_alu instid0(SALU_CYCLE_1)
	s_and_b32 vcc_lo, exec_lo, s26
	s_cbranch_vccz .LBB166_618
; %bb.617:
	s_wait_loadcnt 0x0
	global_load_u8 v3, v[0:1], off
	s_wait_loadcnt 0x0
	v_lshlrev_b32_e32 v3, 24, v3
	s_delay_alu instid0(VALU_DEP_1) | instskip(NEXT) | instid1(VALU_DEP_1)
	v_and_b32_e32 v4, 0x7f000000, v3
	v_clz_i32_u32_e32 v5, v4
	v_add_nc_u32_e32 v8, 0x1000000, v4
	v_cmp_ne_u32_e32 vcc_lo, 0, v4
	s_delay_alu instid0(VALU_DEP_3) | instskip(NEXT) | instid1(VALU_DEP_1)
	v_min_u32_e32 v5, 32, v5
	v_sub_nc_u32_e64 v5, v5, 4 clamp
	s_delay_alu instid0(VALU_DEP_1) | instskip(NEXT) | instid1(VALU_DEP_1)
	v_dual_lshlrev_b32 v7, v5, v4 :: v_dual_lshlrev_b32 v5, 23, v5
	v_lshrrev_b32_e32 v7, 4, v7
	s_delay_alu instid0(VALU_DEP_1) | instskip(NEXT) | instid1(VALU_DEP_1)
	v_dual_sub_nc_u32 v5, v7, v5 :: v_dual_ashrrev_i32 v7, 8, v8
	v_add_nc_u32_e32 v5, 0x3c000000, v5
	s_delay_alu instid0(VALU_DEP_1) | instskip(NEXT) | instid1(VALU_DEP_1)
	v_and_or_b32 v5, 0x7f800000, v7, v5
	v_cndmask_b32_e32 v4, 0, v5, vcc_lo
	s_delay_alu instid0(VALU_DEP_1) | instskip(SKIP_1) | instid1(VALU_DEP_2)
	v_and_or_b32 v3, 0x80000000, v3, v4
	v_bfe_u32 v4, v4, 16, 1
	v_cmp_o_f32_e32 vcc_lo, v3, v3
	s_delay_alu instid0(VALU_DEP_2) | instskip(NEXT) | instid1(VALU_DEP_1)
	v_add3_u32 v4, v3, v4, 0x7fff
	v_lshrrev_b32_e32 v4, 16, v4
	s_delay_alu instid0(VALU_DEP_1)
	v_cndmask_b32_e32 v3, 0x7fc0, v4, vcc_lo
.LBB166_618:
	s_mov_b32 s26, 0
.LBB166_619:
	s_delay_alu instid0(SALU_CYCLE_1)
	s_and_not1_b32 vcc_lo, exec_lo, s26
	s_cbranch_vccnz .LBB166_621
; %bb.620:
	s_wait_loadcnt 0x0
	global_load_u8 v3, v[0:1], off
	s_wait_loadcnt 0x0
	v_lshlrev_b32_e32 v4, 25, v3
	v_lshlrev_b16 v3, 8, v3
	s_delay_alu instid0(VALU_DEP_1) | instskip(NEXT) | instid1(VALU_DEP_3)
	v_and_or_b32 v7, 0x7f00, v3, 0.5
	v_lshrrev_b32_e32 v5, 4, v4
	v_bfe_i32 v3, v3, 0, 16
	s_delay_alu instid0(VALU_DEP_3) | instskip(NEXT) | instid1(VALU_DEP_3)
	v_add_f32_e32 v7, -0.5, v7
	v_or_b32_e32 v5, 0x70000000, v5
	s_delay_alu instid0(VALU_DEP_1) | instskip(SKIP_1) | instid1(VALU_DEP_2)
	v_mul_f32_e32 v5, 0x7800000, v5
	v_cmp_gt_u32_e32 vcc_lo, 0x8000000, v4
	v_cndmask_b32_e32 v4, v5, v7, vcc_lo
	s_delay_alu instid0(VALU_DEP_1) | instskip(SKIP_1) | instid1(VALU_DEP_2)
	v_and_or_b32 v3, 0x80000000, v3, v4
	v_bfe_u32 v4, v4, 16, 1
	v_cmp_o_f32_e32 vcc_lo, v3, v3
	s_delay_alu instid0(VALU_DEP_2) | instskip(NEXT) | instid1(VALU_DEP_1)
	v_add3_u32 v4, v3, v4, 0x7fff
	v_lshrrev_b32_e32 v4, 16, v4
	s_delay_alu instid0(VALU_DEP_1)
	v_cndmask_b32_e32 v3, 0x7fc0, v4, vcc_lo
.LBB166_621:
	s_mov_b32 s29, 0
	s_mov_b32 s26, -1
.LBB166_622:
	s_and_not1_b32 vcc_lo, exec_lo, s29
	s_cbranch_vccnz .LBB166_635
; %bb.623:
	s_cmp_gt_i32 s0, 14
	s_cbranch_scc0 .LBB166_626
; %bb.624:
	s_cmp_eq_u32 s0, 15
	s_cbranch_scc0 .LBB166_629
; %bb.625:
	s_wait_loadcnt 0x0
	global_load_u16 v3, v[0:1], off
	s_mov_b32 s26, -1
	s_mov_b32 s25, 0
	s_branch .LBB166_630
.LBB166_626:
	s_mov_b32 s29, -1
                                        ; implicit-def: $vgpr3
	s_branch .LBB166_631
.LBB166_627:
	s_or_saveexec_b32 s29, s29
	v_mov_b32_e32 v4, 0x7f800001
	s_xor_b32 exec_lo, exec_lo, s29
	s_cbranch_execz .LBB166_608
.LBB166_628:
	v_cmp_ne_u16_e32 vcc_lo, 0, v3
	v_mov_b32_e32 v4, 0
	s_and_not1_b32 s26, s26, exec_lo
	s_and_b32 s30, vcc_lo, exec_lo
	s_delay_alu instid0(SALU_CYCLE_1)
	s_or_b32 s26, s26, s30
	s_or_b32 exec_lo, exec_lo, s29
	s_and_saveexec_b32 s29, s26
	s_cbranch_execnz .LBB166_609
	s_branch .LBB166_610
.LBB166_629:
	s_mov_b32 s25, -1
                                        ; implicit-def: $vgpr3
.LBB166_630:
	s_mov_b32 s29, 0
.LBB166_631:
	s_delay_alu instid0(SALU_CYCLE_1)
	s_and_b32 vcc_lo, exec_lo, s29
	s_cbranch_vccz .LBB166_635
; %bb.632:
	s_cmp_eq_u32 s0, 11
	s_cbranch_scc0 .LBB166_634
; %bb.633:
	s_wait_loadcnt 0x0
	global_load_u8 v3, v[0:1], off
	s_mov_b32 s25, 0
	s_mov_b32 s26, -1
	s_wait_loadcnt 0x0
	v_cmp_ne_u16_e32 vcc_lo, 0, v3
	v_cndmask_b32_e64 v3, 0, 1.0, vcc_lo
	s_delay_alu instid0(VALU_DEP_1)
	v_lshrrev_b32_e32 v3, 16, v3
	s_branch .LBB166_635
.LBB166_634:
	s_mov_b32 s25, -1
                                        ; implicit-def: $vgpr3
.LBB166_635:
	s_mov_b32 s29, 0
.LBB166_636:
	s_delay_alu instid0(SALU_CYCLE_1)
	s_and_b32 vcc_lo, exec_lo, s29
	s_cbranch_vccz .LBB166_685
; %bb.637:
	s_cmp_lt_i32 s0, 5
	s_cbranch_scc1 .LBB166_642
; %bb.638:
	s_cmp_lt_i32 s0, 8
	s_cbranch_scc1 .LBB166_643
	;; [unrolled: 3-line block ×3, first 2 shown]
; %bb.640:
	s_cmp_gt_i32 s0, 9
	s_cbranch_scc0 .LBB166_645
; %bb.641:
	global_load_b64 v[4:5], v[0:1], off
	s_mov_b32 s26, 0
	s_wait_loadcnt 0x0
	v_cvt_f32_f64_e32 v3, v[4:5]
	s_delay_alu instid0(VALU_DEP_1) | instskip(SKIP_1) | instid1(VALU_DEP_2)
	v_bfe_u32 v4, v3, 16, 1
	v_cmp_o_f32_e32 vcc_lo, v3, v3
	v_add3_u32 v4, v3, v4, 0x7fff
	s_delay_alu instid0(VALU_DEP_1) | instskip(NEXT) | instid1(VALU_DEP_1)
	v_lshrrev_b32_e32 v4, 16, v4
	v_cndmask_b32_e32 v3, 0x7fc0, v4, vcc_lo
	s_branch .LBB166_646
.LBB166_642:
	s_mov_b32 s26, -1
                                        ; implicit-def: $vgpr3
	s_branch .LBB166_664
.LBB166_643:
	s_mov_b32 s26, -1
                                        ; implicit-def: $vgpr3
	s_branch .LBB166_652
.LBB166_644:
	s_mov_b32 s26, -1
                                        ; implicit-def: $vgpr3
	s_branch .LBB166_649
.LBB166_645:
	s_mov_b32 s26, -1
                                        ; implicit-def: $vgpr3
.LBB166_646:
	s_delay_alu instid0(SALU_CYCLE_1)
	s_and_not1_b32 vcc_lo, exec_lo, s26
	s_cbranch_vccnz .LBB166_648
; %bb.647:
	s_wait_loadcnt 0x0
	global_load_b32 v3, v[0:1], off
	s_wait_loadcnt 0x0
	v_bfe_u32 v4, v3, 16, 1
	v_cmp_o_f32_e32 vcc_lo, v3, v3
	s_delay_alu instid0(VALU_DEP_2) | instskip(NEXT) | instid1(VALU_DEP_1)
	v_add3_u32 v4, v3, v4, 0x7fff
	v_lshrrev_b32_e32 v4, 16, v4
	s_delay_alu instid0(VALU_DEP_1)
	v_cndmask_b32_e32 v3, 0x7fc0, v4, vcc_lo
.LBB166_648:
	s_mov_b32 s26, 0
.LBB166_649:
	s_delay_alu instid0(SALU_CYCLE_1)
	s_and_not1_b32 vcc_lo, exec_lo, s26
	s_cbranch_vccnz .LBB166_651
; %bb.650:
	s_wait_loadcnt 0x0
	global_load_b32 v3, v[0:1], off
	s_wait_loadcnt 0x0
	v_cvt_f32_f16_e32 v4, v3
	v_cmp_o_f16_e32 vcc_lo, v3, v3
	s_delay_alu instid0(VALU_DEP_2) | instskip(NEXT) | instid1(VALU_DEP_1)
	v_bfe_u32 v5, v4, 16, 1
	v_add3_u32 v4, v4, v5, 0x7fff
	s_delay_alu instid0(VALU_DEP_1) | instskip(NEXT) | instid1(VALU_DEP_1)
	v_lshrrev_b32_e32 v4, 16, v4
	v_cndmask_b32_e32 v3, 0x7fc0, v4, vcc_lo
.LBB166_651:
	s_mov_b32 s26, 0
.LBB166_652:
	s_delay_alu instid0(SALU_CYCLE_1)
	s_and_not1_b32 vcc_lo, exec_lo, s26
	s_cbranch_vccnz .LBB166_663
; %bb.653:
	s_cmp_lt_i32 s0, 6
	s_cbranch_scc1 .LBB166_656
; %bb.654:
	s_cmp_gt_i32 s0, 6
	s_cbranch_scc0 .LBB166_657
; %bb.655:
	global_load_b64 v[4:5], v[0:1], off
	s_mov_b32 s26, 0
	s_wait_loadcnt 0x0
	v_cvt_f32_f64_e32 v3, v[4:5]
	s_delay_alu instid0(VALU_DEP_1) | instskip(SKIP_1) | instid1(VALU_DEP_2)
	v_bfe_u32 v4, v3, 16, 1
	v_cmp_o_f32_e32 vcc_lo, v3, v3
	v_add3_u32 v4, v3, v4, 0x7fff
	s_delay_alu instid0(VALU_DEP_1) | instskip(NEXT) | instid1(VALU_DEP_1)
	v_lshrrev_b32_e32 v4, 16, v4
	v_cndmask_b32_e32 v3, 0x7fc0, v4, vcc_lo
	s_branch .LBB166_658
.LBB166_656:
	s_mov_b32 s26, -1
                                        ; implicit-def: $vgpr3
	s_branch .LBB166_661
.LBB166_657:
	s_mov_b32 s26, -1
                                        ; implicit-def: $vgpr3
.LBB166_658:
	s_delay_alu instid0(SALU_CYCLE_1)
	s_and_not1_b32 vcc_lo, exec_lo, s26
	s_cbranch_vccnz .LBB166_660
; %bb.659:
	s_wait_loadcnt 0x0
	global_load_b32 v3, v[0:1], off
	s_wait_loadcnt 0x0
	v_bfe_u32 v4, v3, 16, 1
	v_cmp_o_f32_e32 vcc_lo, v3, v3
	s_delay_alu instid0(VALU_DEP_2) | instskip(NEXT) | instid1(VALU_DEP_1)
	v_add3_u32 v4, v3, v4, 0x7fff
	v_lshrrev_b32_e32 v4, 16, v4
	s_delay_alu instid0(VALU_DEP_1)
	v_cndmask_b32_e32 v3, 0x7fc0, v4, vcc_lo
.LBB166_660:
	s_mov_b32 s26, 0
.LBB166_661:
	s_delay_alu instid0(SALU_CYCLE_1)
	s_and_not1_b32 vcc_lo, exec_lo, s26
	s_cbranch_vccnz .LBB166_663
; %bb.662:
	s_wait_loadcnt 0x0
	global_load_u16 v3, v[0:1], off
	s_wait_loadcnt 0x0
	v_cvt_f32_f16_e32 v4, v3
	v_cmp_o_f16_e32 vcc_lo, v3, v3
	s_delay_alu instid0(VALU_DEP_2) | instskip(NEXT) | instid1(VALU_DEP_1)
	v_bfe_u32 v5, v4, 16, 1
	v_add3_u32 v4, v4, v5, 0x7fff
	s_delay_alu instid0(VALU_DEP_1) | instskip(NEXT) | instid1(VALU_DEP_1)
	v_lshrrev_b32_e32 v4, 16, v4
	v_cndmask_b32_e32 v3, 0x7fc0, v4, vcc_lo
.LBB166_663:
	s_mov_b32 s26, 0
.LBB166_664:
	s_delay_alu instid0(SALU_CYCLE_1)
	s_and_not1_b32 vcc_lo, exec_lo, s26
	s_cbranch_vccnz .LBB166_684
; %bb.665:
	s_cmp_lt_i32 s0, 2
	s_cbranch_scc1 .LBB166_669
; %bb.666:
	s_cmp_lt_i32 s0, 3
	s_cbranch_scc1 .LBB166_670
; %bb.667:
	s_cmp_gt_i32 s0, 3
	s_cbranch_scc0 .LBB166_671
; %bb.668:
	global_load_b64 v[4:5], v[0:1], off
	s_mov_b32 s26, 0
	s_wait_loadcnt 0x0
	v_xor_b32_e32 v3, v4, v5
	v_cls_i32_e32 v7, v5
	s_delay_alu instid0(VALU_DEP_2) | instskip(NEXT) | instid1(VALU_DEP_1)
	v_ashrrev_i32_e32 v3, 31, v3
	v_add_nc_u32_e32 v3, 32, v3
	s_delay_alu instid0(VALU_DEP_1) | instskip(NEXT) | instid1(VALU_DEP_1)
	v_add_min_u32_e64 v3, v7, -1, v3
	v_lshlrev_b64_e32 v[4:5], v3, v[4:5]
	v_sub_nc_u32_e32 v3, 32, v3
	s_delay_alu instid0(VALU_DEP_2) | instskip(NEXT) | instid1(VALU_DEP_1)
	v_min_u32_e32 v4, 1, v4
	v_or_b32_e32 v4, v5, v4
	s_delay_alu instid0(VALU_DEP_1) | instskip(NEXT) | instid1(VALU_DEP_1)
	v_cvt_f32_i32_e32 v4, v4
	v_ldexp_f32 v3, v4, v3
	s_delay_alu instid0(VALU_DEP_1) | instskip(NEXT) | instid1(VALU_DEP_1)
	v_bfe_u32 v4, v3, 16, 1
	v_add3_u32 v3, v3, v4, 0x7fff
	s_delay_alu instid0(VALU_DEP_1)
	v_lshrrev_b32_e32 v3, 16, v3
	s_branch .LBB166_672
.LBB166_669:
	s_mov_b32 s26, -1
                                        ; implicit-def: $vgpr3
	s_branch .LBB166_678
.LBB166_670:
	s_mov_b32 s26, -1
                                        ; implicit-def: $vgpr3
	s_branch .LBB166_675
.LBB166_671:
	s_mov_b32 s26, -1
                                        ; implicit-def: $vgpr3
.LBB166_672:
	s_delay_alu instid0(SALU_CYCLE_1)
	s_and_not1_b32 vcc_lo, exec_lo, s26
	s_cbranch_vccnz .LBB166_674
; %bb.673:
	s_wait_loadcnt 0x0
	global_load_b32 v3, v[0:1], off
	s_wait_loadcnt 0x0
	v_cvt_f32_i32_e32 v3, v3
	s_delay_alu instid0(VALU_DEP_1) | instskip(NEXT) | instid1(VALU_DEP_1)
	v_bfe_u32 v4, v3, 16, 1
	v_add3_u32 v3, v3, v4, 0x7fff
	s_delay_alu instid0(VALU_DEP_1)
	v_lshrrev_b32_e32 v3, 16, v3
.LBB166_674:
	s_mov_b32 s26, 0
.LBB166_675:
	s_delay_alu instid0(SALU_CYCLE_1)
	s_and_not1_b32 vcc_lo, exec_lo, s26
	s_cbranch_vccnz .LBB166_677
; %bb.676:
	s_wait_loadcnt 0x0
	global_load_i16 v3, v[0:1], off
	s_wait_loadcnt 0x0
	v_cvt_f32_i32_e32 v3, v3
	s_delay_alu instid0(VALU_DEP_1) | instskip(NEXT) | instid1(VALU_DEP_1)
	v_bfe_u32 v4, v3, 16, 1
	v_add3_u32 v3, v3, v4, 0x7fff
	s_delay_alu instid0(VALU_DEP_1)
	v_lshrrev_b32_e32 v3, 16, v3
.LBB166_677:
	s_mov_b32 s26, 0
.LBB166_678:
	s_delay_alu instid0(SALU_CYCLE_1)
	s_and_not1_b32 vcc_lo, exec_lo, s26
	s_cbranch_vccnz .LBB166_684
; %bb.679:
	s_cmp_gt_i32 s0, 0
	s_mov_b32 s0, 0
	s_cbranch_scc0 .LBB166_681
; %bb.680:
	s_wait_loadcnt 0x0
	global_load_i8 v3, v[0:1], off
	s_wait_loadcnt 0x0
	v_cvt_f32_i32_e32 v3, v3
	s_delay_alu instid0(VALU_DEP_1) | instskip(NEXT) | instid1(VALU_DEP_1)
	v_bfe_u32 v4, v3, 16, 1
	v_add3_u32 v3, v3, v4, 0x7fff
	s_delay_alu instid0(VALU_DEP_1)
	v_lshrrev_b32_e32 v3, 16, v3
	s_branch .LBB166_682
.LBB166_681:
	s_mov_b32 s0, -1
                                        ; implicit-def: $vgpr3
.LBB166_682:
	s_delay_alu instid0(SALU_CYCLE_1)
	s_and_not1_b32 vcc_lo, exec_lo, s0
	s_cbranch_vccnz .LBB166_684
; %bb.683:
	global_load_u8 v0, v[0:1], off
	s_wait_loadcnt 0x0
	v_cvt_f32_ubyte0_e32 v0, v0
	s_delay_alu instid0(VALU_DEP_1) | instskip(NEXT) | instid1(VALU_DEP_1)
	v_bfe_u32 v1, v0, 16, 1
	v_add3_u32 v0, v0, v1, 0x7fff
	s_delay_alu instid0(VALU_DEP_1)
	v_lshrrev_b32_e32 v3, 16, v0
.LBB166_684:
	s_mov_b32 s26, -1
.LBB166_685:
	s_delay_alu instid0(SALU_CYCLE_1)
	s_and_not1_b32 vcc_lo, exec_lo, s26
	s_cbranch_vccnz .LBB166_693
; %bb.686:
	s_wait_loadcnt 0x0
	v_dual_lshlrev_b32 v0, 16, v2 :: v_dual_lshlrev_b32 v2, 16, v3
	s_and_b32 s26, s12, 0xff
	s_delay_alu instid0(SALU_CYCLE_1) | instskip(NEXT) | instid1(VALU_DEP_1)
	s_cmp_lt_i32 s26, 11
	v_mul_f32_e32 v0, s17, v0
	s_delay_alu instid0(VALU_DEP_1) | instskip(SKIP_1) | instid1(VALU_DEP_2)
	v_bfe_u32 v1, v0, 16, 1
	v_cmp_o_f32_e32 vcc_lo, v0, v0
	v_add3_u32 v1, v0, v1, 0x7fff
	s_delay_alu instid0(VALU_DEP_1) | instskip(NEXT) | instid1(VALU_DEP_1)
	v_and_b32_e32 v1, 0xffff0000, v1
	v_cndmask_b32_e32 v0, 0x7fc00000, v1, vcc_lo
	s_delay_alu instid0(VALU_DEP_1) | instskip(SKIP_1) | instid1(VALU_DEP_2)
	v_mul_f32_e32 v2, v0, v2
	v_mul_lo_u32 v0, v6, s11
	v_bfe_u32 v1, v2, 16, 1
	s_delay_alu instid0(VALU_DEP_1) | instskip(NEXT) | instid1(VALU_DEP_3)
	v_add3_u32 v3, v2, v1, 0x7fff
	v_ashrrev_i32_e32 v1, 31, v0
	v_cmp_o_f32_e32 vcc_lo, v2, v2
	s_delay_alu instid0(VALU_DEP_3) | instskip(NEXT) | instid1(VALU_DEP_3)
	v_lshrrev_b32_e32 v3, 16, v3
	v_add_nc_u64_e32 v[0:1], s[2:3], v[0:1]
	s_delay_alu instid0(VALU_DEP_2)
	v_cndmask_b32_e32 v2, 0x7fc0, v3, vcc_lo
	s_cbranch_scc1 .LBB166_694
; %bb.687:
	s_and_b32 s29, 0xffff, s26
	s_delay_alu instid0(SALU_CYCLE_1)
	s_cmp_gt_i32 s29, 25
	s_cbranch_scc0 .LBB166_695
; %bb.688:
	s_cmp_gt_i32 s29, 28
	s_cbranch_scc0 .LBB166_696
; %bb.689:
	;; [unrolled: 3-line block ×4, first 2 shown]
	s_mov_b32 s31, 0
	s_mov_b32 s0, -1
	s_cmp_eq_u32 s29, 46
	s_mov_b32 s30, 0
	s_cbranch_scc0 .LBB166_699
; %bb.692:
	v_and_b32_e32 v3, 0xffff, v2
	s_mov_b32 s30, -1
	s_mov_b32 s0, 0
	global_store_b32 v[0:1], v3, off
	s_branch .LBB166_699
.LBB166_693:
	s_mov_b32 s29, 0
	s_mov_b32 s0, s19
	s_branch .LBB166_430
.LBB166_694:
	s_mov_b32 s29, -1
	s_mov_b32 s30, 0
	s_mov_b32 s0, s19
	s_branch .LBB166_768
.LBB166_695:
	s_mov_b32 s31, -1
	s_mov_b32 s30, 0
	s_mov_b32 s0, s19
	s_branch .LBB166_726
.LBB166_696:
	s_mov_b32 s31, -1
	s_mov_b32 s30, 0
	s_mov_b32 s0, s19
	s_branch .LBB166_709
.LBB166_697:
	s_mov_b32 s31, -1
	s_mov_b32 s30, 0
	s_mov_b32 s0, s19
	s_branch .LBB166_705
.LBB166_698:
	s_mov_b32 s31, -1
	s_mov_b32 s30, 0
	s_mov_b32 s0, s19
.LBB166_699:
	s_and_b32 vcc_lo, exec_lo, s31
	s_cbranch_vccz .LBB166_704
; %bb.700:
	s_cmp_eq_u32 s29, 44
	s_mov_b32 s0, -1
	s_cbranch_scc0 .LBB166_704
; %bb.701:
	s_wait_xcnt 0x0
	v_and_b32_e32 v3, 0xffff, v2
	v_mov_b32_e32 v4, 0xff
	s_mov_b32 s30, exec_lo
	s_delay_alu instid0(VALU_DEP_2) | instskip(NEXT) | instid1(VALU_DEP_1)
	v_bfe_u32 v5, v3, 7, 8
	v_cmpx_ne_u32_e32 0xff, v5
	s_cbranch_execz .LBB166_703
; %bb.702:
	v_dual_lshlrev_b32 v4, 16, v3 :: v_dual_bitop2_b32 v7, 64, v3 bitop3:0x40
	v_lshrrev_b32_e32 v3, 7, v3
	s_delay_alu instid0(VALU_DEP_2) | instskip(NEXT) | instid1(VALU_DEP_3)
	v_and_or_b32 v4, 0x3f0000, v4, v5
	v_cmp_ne_u32_e32 vcc_lo, 0, v7
	s_delay_alu instid0(VALU_DEP_2) | instskip(SKIP_1) | instid1(SALU_CYCLE_1)
	v_cmp_ne_u32_e64 s0, 0, v4
	s_and_b32 s0, vcc_lo, s0
	v_cndmask_b32_e64 v4, 0, 1, s0
	s_delay_alu instid0(VALU_DEP_1)
	v_add_nc_u32_e32 v4, v3, v4
.LBB166_703:
	s_or_b32 exec_lo, exec_lo, s30
	s_mov_b32 s30, -1
	s_mov_b32 s0, 0
	global_store_b8 v[0:1], v4, off
.LBB166_704:
	s_mov_b32 s31, 0
.LBB166_705:
	s_delay_alu instid0(SALU_CYCLE_1)
	s_and_b32 vcc_lo, exec_lo, s31
	s_cbranch_vccz .LBB166_708
; %bb.706:
	s_cmp_eq_u32 s29, 29
	s_mov_b32 s0, -1
	s_cbranch_scc0 .LBB166_708
; %bb.707:
	s_wait_xcnt 0x0
	v_lshlrev_b32_e32 v3, 16, v2
	s_mov_b32 s30, -1
	s_mov_b32 s0, 0
	s_mov_b32 s31, 0
	s_delay_alu instid0(VALU_DEP_1) | instskip(NEXT) | instid1(VALU_DEP_1)
	v_trunc_f32_e32 v3, v3
	v_mul_f32_e32 v4, 0x2f800000, v3
	s_delay_alu instid0(VALU_DEP_1) | instskip(NEXT) | instid1(VALU_DEP_1)
	v_floor_f32_e32 v4, v4
	v_fmamk_f32 v3, v4, 0xcf800000, v3
	v_cvt_u32_f32_e32 v5, v4
	s_delay_alu instid0(VALU_DEP_2)
	v_cvt_u32_f32_e32 v4, v3
	global_store_b64 v[0:1], v[4:5], off
	s_branch .LBB166_709
.LBB166_708:
	s_mov_b32 s31, 0
.LBB166_709:
	s_delay_alu instid0(SALU_CYCLE_1)
	s_and_b32 vcc_lo, exec_lo, s31
	s_cbranch_vccz .LBB166_725
; %bb.710:
	s_cmp_lt_i32 s29, 27
	s_mov_b32 s30, -1
	s_cbranch_scc1 .LBB166_716
; %bb.711:
	s_cmp_gt_i32 s29, 27
	s_cbranch_scc0 .LBB166_713
; %bb.712:
	s_wait_xcnt 0x0
	v_lshlrev_b32_e32 v3, 16, v2
	s_mov_b32 s30, 0
	s_delay_alu instid0(VALU_DEP_1)
	v_cvt_u32_f32_e32 v3, v3
	global_store_b32 v[0:1], v3, off
.LBB166_713:
	s_and_not1_b32 vcc_lo, exec_lo, s30
	s_cbranch_vccnz .LBB166_715
; %bb.714:
	s_wait_xcnt 0x0
	v_lshlrev_b32_e32 v3, 16, v2
	s_delay_alu instid0(VALU_DEP_1)
	v_cvt_u32_f32_e32 v3, v3
	global_store_b16 v[0:1], v3, off
.LBB166_715:
	s_mov_b32 s30, 0
.LBB166_716:
	s_delay_alu instid0(SALU_CYCLE_1)
	s_and_not1_b32 vcc_lo, exec_lo, s30
	s_cbranch_vccnz .LBB166_724
; %bb.717:
	s_wait_xcnt 0x0
	v_lshlrev_b32_e32 v5, 16, v2
	v_mov_b32_e32 v7, 0x80
	s_mov_b32 s30, exec_lo
	s_delay_alu instid0(VALU_DEP_2) | instskip(NEXT) | instid1(VALU_DEP_1)
	v_and_b32_e32 v4, 0x7fffffff, v5
	v_cmpx_gt_u32_e32 0x43800000, v4
	s_cbranch_execz .LBB166_723
; %bb.718:
	v_and_b32_e32 v3, 0xffff, v2
	v_cmp_lt_u32_e32 vcc_lo, 0x3bffffff, v4
	s_mov_b32 s31, 0
                                        ; implicit-def: $vgpr4
	s_and_saveexec_b32 s33, vcc_lo
	s_delay_alu instid0(SALU_CYCLE_1)
	s_xor_b32 s33, exec_lo, s33
	s_cbranch_execz .LBB166_846
; %bb.719:
	v_bfe_u32 v4, v3, 4, 1
	s_mov_b32 s31, exec_lo
	s_delay_alu instid0(VALU_DEP_1) | instskip(NEXT) | instid1(VALU_DEP_1)
	v_add3_u32 v4, v5, v4, 0x487ffff
                                        ; implicit-def: $vgpr5
	v_lshrrev_b32_e32 v4, 20, v4
	s_and_not1_saveexec_b32 s33, s33
	s_cbranch_execnz .LBB166_847
.LBB166_720:
	s_or_b32 exec_lo, exec_lo, s33
	v_mov_b32_e32 v7, 0
	s_and_saveexec_b32 s33, s31
.LBB166_721:
	v_lshrrev_b32_e32 v3, 8, v3
	s_delay_alu instid0(VALU_DEP_1)
	v_and_or_b32 v7, 0x80, v3, v4
.LBB166_722:
	s_or_b32 exec_lo, exec_lo, s33
.LBB166_723:
	s_delay_alu instid0(SALU_CYCLE_1)
	s_or_b32 exec_lo, exec_lo, s30
	global_store_b8 v[0:1], v7, off
.LBB166_724:
	s_mov_b32 s30, -1
.LBB166_725:
	s_mov_b32 s31, 0
.LBB166_726:
	s_delay_alu instid0(SALU_CYCLE_1)
	s_and_b32 vcc_lo, exec_lo, s31
	s_cbranch_vccz .LBB166_767
; %bb.727:
	s_cmp_gt_i32 s29, 22
	s_mov_b32 s31, -1
	s_cbranch_scc0 .LBB166_759
; %bb.728:
	s_cmp_lt_i32 s29, 24
	s_mov_b32 s30, -1
	s_cbranch_scc1 .LBB166_748
; %bb.729:
	s_cmp_gt_i32 s29, 24
	s_cbranch_scc0 .LBB166_737
; %bb.730:
	s_wait_xcnt 0x0
	v_lshlrev_b32_e32 v5, 16, v2
	v_mov_b32_e32 v7, 0x80
	s_mov_b32 s30, exec_lo
	s_delay_alu instid0(VALU_DEP_2) | instskip(NEXT) | instid1(VALU_DEP_1)
	v_and_b32_e32 v4, 0x7fffffff, v5
	v_cmpx_gt_u32_e32 0x47800000, v4
	s_cbranch_execz .LBB166_736
; %bb.731:
	v_and_b32_e32 v3, 0xffff, v2
	v_cmp_lt_u32_e32 vcc_lo, 0x37ffffff, v4
	s_mov_b32 s31, 0
                                        ; implicit-def: $vgpr4
	s_and_saveexec_b32 s33, vcc_lo
	s_delay_alu instid0(SALU_CYCLE_1)
	s_xor_b32 s33, exec_lo, s33
	s_cbranch_execz .LBB166_977
; %bb.732:
	v_bfe_u32 v4, v3, 5, 1
	s_mov_b32 s31, exec_lo
	s_delay_alu instid0(VALU_DEP_1) | instskip(NEXT) | instid1(VALU_DEP_1)
	v_add3_u32 v4, v5, v4, 0x88fffff
                                        ; implicit-def: $vgpr5
	v_lshrrev_b32_e32 v4, 21, v4
	s_and_not1_saveexec_b32 s33, s33
	s_cbranch_execnz .LBB166_978
.LBB166_733:
	s_or_b32 exec_lo, exec_lo, s33
	v_mov_b32_e32 v7, 0
	s_and_saveexec_b32 s33, s31
.LBB166_734:
	v_lshrrev_b32_e32 v3, 8, v3
	s_delay_alu instid0(VALU_DEP_1)
	v_and_or_b32 v7, 0x80, v3, v4
.LBB166_735:
	s_or_b32 exec_lo, exec_lo, s33
.LBB166_736:
	s_delay_alu instid0(SALU_CYCLE_1)
	s_or_b32 exec_lo, exec_lo, s30
	s_mov_b32 s30, 0
	global_store_b8 v[0:1], v7, off
.LBB166_737:
	s_and_b32 vcc_lo, exec_lo, s30
	s_cbranch_vccz .LBB166_747
; %bb.738:
	s_wait_xcnt 0x0
	v_lshlrev_b32_e32 v5, 16, v2
	v_and_b32_e32 v3, 0xffff, v2
	s_mov_b32 s30, exec_lo
                                        ; implicit-def: $vgpr4
	s_delay_alu instid0(VALU_DEP_2) | instskip(NEXT) | instid1(VALU_DEP_1)
	v_and_b32_e32 v7, 0x7fffffff, v5
	v_cmpx_gt_u32_e32 0x43f00000, v7
	s_xor_b32 s30, exec_lo, s30
	s_cbranch_execz .LBB166_744
; %bb.739:
	s_mov_b32 s31, exec_lo
                                        ; implicit-def: $vgpr4
	v_cmpx_lt_u32_e32 0x3c7fffff, v7
	s_xor_b32 s31, exec_lo, s31
; %bb.740:
	v_bfe_u32 v4, v3, 4, 1
	s_delay_alu instid0(VALU_DEP_1) | instskip(NEXT) | instid1(VALU_DEP_1)
	v_add3_u32 v4, v5, v4, 0x407ffff
	v_and_b32_e32 v5, 0xff00000, v4
	v_lshrrev_b32_e32 v4, 20, v4
	s_delay_alu instid0(VALU_DEP_2) | instskip(NEXT) | instid1(VALU_DEP_2)
	v_cmp_ne_u32_e32 vcc_lo, 0x7f00000, v5
                                        ; implicit-def: $vgpr5
	v_cndmask_b32_e32 v4, 0x7e, v4, vcc_lo
; %bb.741:
	s_and_not1_saveexec_b32 s31, s31
; %bb.742:
	v_add_f32_e64 v4, 0x46800000, |v5|
; %bb.743:
	s_or_b32 exec_lo, exec_lo, s31
                                        ; implicit-def: $vgpr7
.LBB166_744:
	s_and_not1_saveexec_b32 s30, s30
; %bb.745:
	v_mov_b32_e32 v4, 0x7f
	v_cmp_lt_u32_e32 vcc_lo, 0x7f800000, v7
	s_delay_alu instid0(VALU_DEP_2)
	v_cndmask_b32_e32 v4, 0x7e, v4, vcc_lo
; %bb.746:
	s_or_b32 exec_lo, exec_lo, s30
	v_lshrrev_b32_e32 v3, 8, v3
	s_delay_alu instid0(VALU_DEP_1)
	v_and_or_b32 v3, 0x80, v3, v4
	global_store_b8 v[0:1], v3, off
.LBB166_747:
	s_mov_b32 s30, 0
.LBB166_748:
	s_delay_alu instid0(SALU_CYCLE_1)
	s_and_not1_b32 vcc_lo, exec_lo, s30
	s_cbranch_vccnz .LBB166_758
; %bb.749:
	s_wait_xcnt 0x0
	v_lshlrev_b32_e32 v5, 16, v2
	v_and_b32_e32 v3, 0xffff, v2
	s_mov_b32 s30, exec_lo
                                        ; implicit-def: $vgpr4
	s_delay_alu instid0(VALU_DEP_2) | instskip(NEXT) | instid1(VALU_DEP_1)
	v_and_b32_e32 v7, 0x7fffffff, v5
	v_cmpx_gt_u32_e32 0x47800000, v7
	s_xor_b32 s30, exec_lo, s30
	s_cbranch_execz .LBB166_755
; %bb.750:
	s_mov_b32 s31, exec_lo
                                        ; implicit-def: $vgpr4
	v_cmpx_lt_u32_e32 0x387fffff, v7
	s_xor_b32 s31, exec_lo, s31
; %bb.751:
	v_bfe_u32 v4, v3, 5, 1
	s_delay_alu instid0(VALU_DEP_1) | instskip(NEXT) | instid1(VALU_DEP_1)
	v_add3_u32 v4, v5, v4, 0x80fffff
                                        ; implicit-def: $vgpr5
	v_lshrrev_b32_e32 v4, 21, v4
; %bb.752:
	s_and_not1_saveexec_b32 s31, s31
; %bb.753:
	v_add_f32_e64 v4, 0x43000000, |v5|
; %bb.754:
	s_or_b32 exec_lo, exec_lo, s31
                                        ; implicit-def: $vgpr7
.LBB166_755:
	s_and_not1_saveexec_b32 s30, s30
; %bb.756:
	v_mov_b32_e32 v4, 0x7f
	v_cmp_lt_u32_e32 vcc_lo, 0x7f800000, v7
	s_delay_alu instid0(VALU_DEP_2)
	v_cndmask_b32_e32 v4, 0x7c, v4, vcc_lo
; %bb.757:
	s_or_b32 exec_lo, exec_lo, s30
	v_lshrrev_b32_e32 v3, 8, v3
	s_delay_alu instid0(VALU_DEP_1)
	v_and_or_b32 v3, 0x80, v3, v4
	global_store_b8 v[0:1], v3, off
.LBB166_758:
	s_mov_b32 s31, 0
	s_mov_b32 s30, -1
.LBB166_759:
	s_and_not1_b32 vcc_lo, exec_lo, s31
	s_cbranch_vccnz .LBB166_767
; %bb.760:
	s_cmp_gt_i32 s29, 14
	s_mov_b32 s31, -1
	s_cbranch_scc0 .LBB166_764
; %bb.761:
	s_cmp_eq_u32 s29, 15
	s_mov_b32 s0, -1
	s_cbranch_scc0 .LBB166_763
; %bb.762:
	s_mov_b32 s30, -1
	s_mov_b32 s0, 0
	global_store_b16 v[0:1], v2, off
.LBB166_763:
	s_mov_b32 s31, 0
.LBB166_764:
	s_delay_alu instid0(SALU_CYCLE_1)
	s_and_b32 vcc_lo, exec_lo, s31
	s_cbranch_vccz .LBB166_767
; %bb.765:
	s_cmp_eq_u32 s29, 11
	s_mov_b32 s0, -1
	s_cbranch_scc0 .LBB166_767
; %bb.766:
	s_wait_xcnt 0x0
	v_and_b32_e32 v3, 0x7fff, v2
	s_mov_b32 s0, 0
	s_mov_b32 s30, -1
	s_delay_alu instid0(VALU_DEP_1)
	v_cmp_ne_u16_e32 vcc_lo, 0, v3
	v_cndmask_b32_e64 v3, 0, 1, vcc_lo
	global_store_b8 v[0:1], v3, off
.LBB166_767:
	s_mov_b32 s29, 0
.LBB166_768:
	s_delay_alu instid0(SALU_CYCLE_1)
	s_and_b32 vcc_lo, exec_lo, s29
	s_cbranch_vccz .LBB166_807
; %bb.769:
	s_and_b32 s26, 0xffff, s26
	s_mov_b32 s29, -1
	s_cmp_lt_i32 s26, 5
	s_cbranch_scc1 .LBB166_790
; %bb.770:
	s_cmp_lt_i32 s26, 8
	s_cbranch_scc1 .LBB166_780
; %bb.771:
	s_cmp_lt_i32 s26, 9
	s_cbranch_scc1 .LBB166_777
; %bb.772:
	s_cmp_gt_i32 s26, 9
	s_cbranch_scc0 .LBB166_774
; %bb.773:
	s_wait_xcnt 0x0
	v_dual_mov_b32 v10, 0 :: v_dual_lshlrev_b32 v3, 16, v2
	s_mov_b32 s29, 0
	s_delay_alu instid0(VALU_DEP_1) | instskip(NEXT) | instid1(VALU_DEP_2)
	v_cvt_f64_f32_e32 v[8:9], v3
	v_mov_b32_e32 v11, v10
	global_store_b128 v[0:1], v[8:11], off
.LBB166_774:
	s_and_not1_b32 vcc_lo, exec_lo, s29
	s_cbranch_vccnz .LBB166_776
; %bb.775:
	s_wait_xcnt 0x0
	v_dual_mov_b32 v5, 0 :: v_dual_lshlrev_b32 v4, 16, v2
	global_store_b64 v[0:1], v[4:5], off
.LBB166_776:
	s_mov_b32 s29, 0
.LBB166_777:
	s_delay_alu instid0(SALU_CYCLE_1)
	s_and_not1_b32 vcc_lo, exec_lo, s29
	s_cbranch_vccnz .LBB166_779
; %bb.778:
	s_wait_xcnt 0x0
	v_lshlrev_b32_e32 v3, 16, v2
	s_delay_alu instid0(VALU_DEP_1) | instskip(NEXT) | instid1(VALU_DEP_1)
	v_cvt_f16_f32_e32 v3, v3
	v_and_b32_e32 v3, 0xffff, v3
	global_store_b32 v[0:1], v3, off
.LBB166_779:
	s_mov_b32 s29, 0
.LBB166_780:
	s_delay_alu instid0(SALU_CYCLE_1)
	s_and_not1_b32 vcc_lo, exec_lo, s29
	s_cbranch_vccnz .LBB166_789
; %bb.781:
	s_cmp_lt_i32 s26, 6
	s_mov_b32 s29, -1
	s_cbranch_scc1 .LBB166_787
; %bb.782:
	s_cmp_gt_i32 s26, 6
	s_cbranch_scc0 .LBB166_784
; %bb.783:
	s_wait_xcnt 0x0
	v_lshlrev_b32_e32 v3, 16, v2
	s_mov_b32 s29, 0
	s_delay_alu instid0(VALU_DEP_1)
	v_cvt_f64_f32_e32 v[4:5], v3
	global_store_b64 v[0:1], v[4:5], off
.LBB166_784:
	s_and_not1_b32 vcc_lo, exec_lo, s29
	s_cbranch_vccnz .LBB166_786
; %bb.785:
	s_wait_xcnt 0x0
	v_lshlrev_b32_e32 v3, 16, v2
	global_store_b32 v[0:1], v3, off
.LBB166_786:
	s_mov_b32 s29, 0
.LBB166_787:
	s_delay_alu instid0(SALU_CYCLE_1)
	s_and_not1_b32 vcc_lo, exec_lo, s29
	s_cbranch_vccnz .LBB166_789
; %bb.788:
	s_wait_xcnt 0x0
	v_lshlrev_b32_e32 v3, 16, v2
	s_delay_alu instid0(VALU_DEP_1)
	v_cvt_f16_f32_e32 v3, v3
	global_store_b16 v[0:1], v3, off
.LBB166_789:
	s_mov_b32 s29, 0
.LBB166_790:
	s_delay_alu instid0(SALU_CYCLE_1)
	s_and_not1_b32 vcc_lo, exec_lo, s29
	s_cbranch_vccnz .LBB166_806
; %bb.791:
	s_cmp_lt_i32 s26, 2
	s_mov_b32 s29, -1
	s_cbranch_scc1 .LBB166_801
; %bb.792:
	s_cmp_lt_i32 s26, 3
	s_cbranch_scc1 .LBB166_798
; %bb.793:
	s_cmp_gt_i32 s26, 3
	s_cbranch_scc0 .LBB166_795
; %bb.794:
	s_wait_xcnt 0x0
	v_lshlrev_b32_e32 v3, 16, v2
	s_mov_b32 s29, 0
	s_delay_alu instid0(VALU_DEP_1) | instskip(NEXT) | instid1(VALU_DEP_1)
	v_trunc_f32_e32 v3, v3
	v_mul_f32_e64 v4, 0x2f800000, |v3|
	s_delay_alu instid0(VALU_DEP_1) | instskip(SKIP_1) | instid1(VALU_DEP_2)
	v_floor_f32_e32 v5, v4
	v_ashrrev_i32_e32 v4, 31, v3
	v_fma_f32 v7, 0xcf800000, v5, |v3|
	v_cvt_u32_f32_e32 v3, v5
	s_delay_alu instid0(VALU_DEP_3) | instskip(NEXT) | instid1(VALU_DEP_3)
	v_mov_b32_e32 v5, v4
	v_cvt_u32_f32_e32 v7, v7
	s_delay_alu instid0(VALU_DEP_3) | instskip(NEXT) | instid1(VALU_DEP_2)
	v_xor_b32_e32 v9, v3, v4
	v_xor_b32_e32 v8, v7, v4
	s_delay_alu instid0(VALU_DEP_1)
	v_sub_nc_u64_e32 v[4:5], v[8:9], v[4:5]
	global_store_b64 v[0:1], v[4:5], off
.LBB166_795:
	s_and_not1_b32 vcc_lo, exec_lo, s29
	s_cbranch_vccnz .LBB166_797
; %bb.796:
	s_wait_xcnt 0x0
	v_lshlrev_b32_e32 v3, 16, v2
	s_delay_alu instid0(VALU_DEP_1)
	v_cvt_i32_f32_e32 v3, v3
	global_store_b32 v[0:1], v3, off
.LBB166_797:
	s_mov_b32 s29, 0
.LBB166_798:
	s_delay_alu instid0(SALU_CYCLE_1)
	s_and_not1_b32 vcc_lo, exec_lo, s29
	s_cbranch_vccnz .LBB166_800
; %bb.799:
	s_wait_xcnt 0x0
	v_lshlrev_b32_e32 v3, 16, v2
	s_delay_alu instid0(VALU_DEP_1)
	v_cvt_i32_f32_e32 v3, v3
	global_store_b16 v[0:1], v3, off
.LBB166_800:
	s_mov_b32 s29, 0
.LBB166_801:
	s_delay_alu instid0(SALU_CYCLE_1)
	s_and_not1_b32 vcc_lo, exec_lo, s29
	s_cbranch_vccnz .LBB166_806
; %bb.802:
	s_wait_xcnt 0x0
	v_lshlrev_b32_e32 v2, 16, v2
	s_cmp_gt_i32 s26, 0
	s_mov_b32 s26, -1
	s_cbranch_scc0 .LBB166_804
; %bb.803:
	s_delay_alu instid0(VALU_DEP_1)
	v_cvt_i32_f32_e32 v3, v2
	s_mov_b32 s26, 0
	global_store_b8 v[0:1], v3, off
.LBB166_804:
	s_and_not1_b32 vcc_lo, exec_lo, s26
	s_cbranch_vccnz .LBB166_806
; %bb.805:
	v_trunc_f32_e32 v2, v2
	s_wait_xcnt 0x0
	s_delay_alu instid0(VALU_DEP_1) | instskip(NEXT) | instid1(VALU_DEP_1)
	v_mul_f32_e64 v3, 0x2f800000, |v2|
	v_floor_f32_e32 v3, v3
	s_delay_alu instid0(VALU_DEP_1) | instskip(SKIP_1) | instid1(VALU_DEP_2)
	v_fma_f32 v3, 0xcf800000, v3, |v2|
	v_ashrrev_i32_e32 v2, 31, v2
	v_cvt_u32_f32_e32 v3, v3
	s_delay_alu instid0(VALU_DEP_1) | instskip(NEXT) | instid1(VALU_DEP_1)
	v_xor_b32_e32 v3, v3, v2
	v_sub_nc_u32_e32 v2, v3, v2
	global_store_b8 v[0:1], v2, off
.LBB166_806:
	s_mov_b32 s30, -1
.LBB166_807:
	s_delay_alu instid0(SALU_CYCLE_1)
	s_and_not1_b32 vcc_lo, exec_lo, s30
	s_cbranch_vccnz .LBB166_818
; %bb.808:
	v_add_nc_u32_e32 v6, 0x80, v6
	s_mov_b32 s29, -1
.LBB166_809:
	s_and_not1_b32 s26, s19, exec_lo
	s_and_b32 s0, s0, exec_lo
	s_and_not1_b32 s30, s20, exec_lo
	s_and_b32 s31, s25, exec_lo
	s_or_b32 s25, s26, s0
	s_or_b32 s26, s30, s31
	s_and_not1_b32 s0, s21, exec_lo
	s_and_b32 s24, s24, exec_lo
	s_and_not1_b32 s30, s22, exec_lo
	s_and_b32 s31, s27, exec_lo
	s_or_b32 s27, s0, s24
	s_or_b32 s24, s30, s31
	s_or_not1_b32 s29, s29, exec_lo
.LBB166_810:
	s_wait_xcnt 0x0
	s_or_b32 exec_lo, exec_lo, s28
	s_mov_b32 s0, 0
	s_and_saveexec_b32 s28, s29
	s_cbranch_execz .LBB166_1244
; %bb.811:
	s_mov_b32 s31, -1
	s_mov_b32 s0, s24
	s_mov_b32 s30, s27
	;; [unrolled: 1-line block ×4, first 2 shown]
	s_mov_b32 s29, exec_lo
	v_cmpx_gt_i32_e64 s18, v6
	s_cbranch_execz .LBB166_1220
; %bb.812:
	s_and_b32 s30, s15, 0xff
	s_delay_alu instid0(SALU_CYCLE_1)
	s_cmp_lt_i32 s30, 23
	s_cbranch_scc1 .LBB166_816
; %bb.813:
	s_and_b32 s33, 0xffff, s30
	s_delay_alu instid0(SALU_CYCLE_1)
	s_cmp_gt_i32 s33, 43
	s_cbranch_scc0 .LBB166_817
; %bb.814:
	s_cmp_gt_i32 s33, 45
	s_cbranch_scc0 .LBB166_819
; %bb.815:
	s_cmp_eq_u32 s33, 46
	s_mov_b32 s34, 0
	s_cselect_b32 s0, -1, 0
	s_or_b32 s31, s24, exec_lo
	s_branch .LBB166_820
.LBB166_816:
	s_mov_b32 s33, -1
	s_mov_b32 s0, 0
	s_mov_b32 s31, s24
	s_branch .LBB166_826
.LBB166_817:
	s_mov_b32 s34, -1
	s_mov_b32 s0, 0
	s_mov_b32 s31, s24
	s_branch .LBB166_823
.LBB166_818:
	s_mov_b32 s29, 0
	s_branch .LBB166_430
.LBB166_819:
	s_mov_b32 s34, -1
	s_mov_b32 s0, 0
	s_mov_b32 s31, s24
.LBB166_820:
	s_and_not1_b32 vcc_lo, exec_lo, s34
	s_cbranch_vccnz .LBB166_822
; %bb.821:
	s_cmp_eq_u32 s33, 44
	s_cselect_b32 s0, -1, 0
	s_cmp_lg_u32 s33, 44
	s_cselect_b32 s34, -1, 0
	s_and_not1_b32 s31, s31, exec_lo
	s_and_b32 s34, s34, exec_lo
	s_delay_alu instid0(SALU_CYCLE_1)
	s_or_b32 s31, s31, s34
.LBB166_822:
	s_mov_b32 s34, 0
.LBB166_823:
	s_delay_alu instid0(SALU_CYCLE_1)
	s_and_b32 vcc_lo, exec_lo, s34
	s_cbranch_vccz .LBB166_825
; %bb.824:
	s_cmp_lt_i32 s33, 30
	s_cselect_b32 s0, -1, 0
	s_cmp_gt_i32 s33, 29
	s_cselect_b32 s33, -1, 0
	s_and_not1_b32 s31, s31, exec_lo
	s_and_b32 s33, s33, exec_lo
	s_delay_alu instid0(SALU_CYCLE_1)
	s_or_b32 s31, s31, s33
.LBB166_825:
	s_mov_b32 s33, 0
.LBB166_826:
	s_delay_alu instid0(SALU_CYCLE_1)
	s_and_b32 vcc_lo, exec_lo, s33
	s_cbranch_vccz .LBB166_831
; %bb.827:
	s_and_b32 s30, 0xffff, s30
	s_mov_b32 s33, -1
	s_cmp_gt_i32 s30, 14
	s_cbranch_scc0 .LBB166_829
; %bb.828:
	s_cmp_eq_u32 s30, 15
	s_cselect_b32 s0, -1, 0
	s_cmp_lg_u32 s30, 15
	s_cselect_b32 s33, -1, 0
	s_and_not1_b32 s31, s31, exec_lo
	s_and_b32 s34, s33, exec_lo
	s_mov_b32 s33, 0
	s_or_b32 s31, s31, s34
.LBB166_829:
	s_and_not1_b32 vcc_lo, exec_lo, s33
	s_cbranch_vccnz .LBB166_831
; %bb.830:
	s_cmp_lt_i32 s30, 12
	s_cselect_b32 s0, -1, 0
	s_cmp_gt_i32 s30, 11
	s_cselect_b32 s30, -1, 0
	s_and_not1_b32 s31, s31, exec_lo
	s_and_b32 s30, s30, exec_lo
	s_delay_alu instid0(SALU_CYCLE_1)
	s_or_b32 s31, s31, s30
.LBB166_831:
	s_and_b32 vcc_lo, exec_lo, s0
	s_cbranch_vccz .LBB166_839
; %bb.832:
	v_mul_lo_u32 v0, v6, s8
	s_and_b32 s0, s13, 0xff
	s_delay_alu instid0(SALU_CYCLE_1) | instskip(NEXT) | instid1(VALU_DEP_1)
	s_cmp_lt_i32 s0, 11
	v_ashrrev_i32_e32 v1, 31, v0
	s_delay_alu instid0(VALU_DEP_1)
	v_add_nc_u64_e32 v[0:1], s[4:5], v[0:1]
	s_cbranch_scc1 .LBB166_841
; %bb.833:
	s_and_b32 s31, 0xffff, s0
	s_delay_alu instid0(SALU_CYCLE_1)
	s_cmp_gt_i32 s31, 25
	s_cbranch_scc0 .LBB166_842
; %bb.834:
	s_cmp_gt_i32 s31, 28
	s_cbranch_scc0 .LBB166_843
; %bb.835:
	;; [unrolled: 3-line block ×4, first 2 shown]
	s_cmp_eq_u32 s31, 46
	s_mov_b32 s34, 0
	s_cbranch_scc0 .LBB166_848
; %bb.838:
	s_wait_loadcnt 0x0
	global_load_b32 v2, v[0:1], off
	s_mov_b32 s33, -1
	s_mov_b32 s30, 0
	s_branch .LBB166_850
.LBB166_839:
	s_mov_b32 s35, 0
	s_mov_b32 s0, s25
	;; [unrolled: 1-line block ×4, first 2 shown]
.LBB166_840:
                                        ; implicit-def: $vgpr6
	s_branch .LBB166_1219
.LBB166_841:
	s_mov_b32 s31, -1
	s_mov_b32 s33, 0
	s_mov_b32 s30, s27
                                        ; implicit-def: $vgpr2
	s_branch .LBB166_915
.LBB166_842:
	s_mov_b32 s34, -1
	s_mov_b32 s33, 0
	s_mov_b32 s30, s27
                                        ; implicit-def: $vgpr2
	s_branch .LBB166_879
.LBB166_843:
	s_mov_b32 s34, -1
	s_mov_b32 s33, 0
	s_mov_b32 s30, s27
                                        ; implicit-def: $vgpr2
	s_branch .LBB166_860
.LBB166_844:
	s_mov_b32 s34, -1
	s_mov_b32 s33, 0
	s_mov_b32 s30, s27
                                        ; implicit-def: $vgpr2
	s_branch .LBB166_855
.LBB166_845:
	s_mov_b32 s34, -1
	s_mov_b32 s33, 0
	s_mov_b32 s30, s27
	s_branch .LBB166_849
.LBB166_846:
	s_and_not1_saveexec_b32 s33, s33
	s_cbranch_execz .LBB166_720
.LBB166_847:
	v_add_f32_e64 v4, 0x46000000, |v5|
	s_and_not1_b32 s31, s31, exec_lo
	s_delay_alu instid0(VALU_DEP_1) | instskip(NEXT) | instid1(VALU_DEP_1)
	v_and_b32_e32 v4, 0xff, v4
	v_cmp_ne_u32_e32 vcc_lo, 0, v4
	s_and_b32 s34, vcc_lo, exec_lo
	s_delay_alu instid0(SALU_CYCLE_1)
	s_or_b32 s31, s31, s34
	s_or_b32 exec_lo, exec_lo, s33
	v_mov_b32_e32 v7, 0
	s_and_saveexec_b32 s33, s31
	s_cbranch_execnz .LBB166_721
	s_branch .LBB166_722
.LBB166_848:
	s_mov_b32 s30, -1
	s_mov_b32 s33, 0
.LBB166_849:
                                        ; implicit-def: $vgpr2
.LBB166_850:
	s_and_b32 vcc_lo, exec_lo, s34
	s_cbranch_vccz .LBB166_854
; %bb.851:
	s_cmp_eq_u32 s31, 44
	s_cbranch_scc0 .LBB166_853
; %bb.852:
	s_wait_loadcnt 0x0
	global_load_u8 v2, v[0:1], off
	s_mov_b32 s30, 0
	s_mov_b32 s33, -1
	s_wait_loadcnt 0x0
	v_lshlrev_b32_e32 v3, 23, v2
	v_cmp_ne_u32_e32 vcc_lo, 0xff, v2
	s_delay_alu instid0(VALU_DEP_2) | instskip(SKIP_1) | instid1(VALU_DEP_2)
	v_cndmask_b32_e32 v3, 0x7f800001, v3, vcc_lo
	v_cmp_ne_u32_e32 vcc_lo, 0, v2
	v_cndmask_b32_e32 v2, 0x400000, v3, vcc_lo
	s_delay_alu instid0(VALU_DEP_1) | instskip(NEXT) | instid1(VALU_DEP_1)
	v_add_nc_u32_e32 v3, 0x7fff, v2
	v_lshrrev_b32_e32 v3, 16, v3
	v_cmp_o_f32_e32 vcc_lo, v2, v2
	s_delay_alu instid0(VALU_DEP_2)
	v_cndmask_b32_e32 v2, 0x7fc0, v3, vcc_lo
	s_branch .LBB166_854
.LBB166_853:
	s_mov_b32 s30, -1
                                        ; implicit-def: $vgpr2
.LBB166_854:
	s_mov_b32 s34, 0
.LBB166_855:
	s_delay_alu instid0(SALU_CYCLE_1)
	s_and_b32 vcc_lo, exec_lo, s34
	s_cbranch_vccz .LBB166_859
; %bb.856:
	s_cmp_eq_u32 s31, 29
	s_cbranch_scc0 .LBB166_858
; %bb.857:
	s_wait_loadcnt 0x0
	global_load_b64 v[2:3], v[0:1], off
	s_mov_b32 s33, -1
	s_mov_b32 s30, 0
	s_mov_b32 s34, 0
	s_wait_loadcnt 0x0
	v_clz_i32_u32_e32 v4, v3
	s_delay_alu instid0(VALU_DEP_1) | instskip(NEXT) | instid1(VALU_DEP_1)
	v_min_u32_e32 v4, 32, v4
	v_lshlrev_b64_e32 v[2:3], v4, v[2:3]
	s_delay_alu instid0(VALU_DEP_1) | instskip(NEXT) | instid1(VALU_DEP_1)
	v_min_u32_e32 v2, 1, v2
	v_dual_sub_nc_u32 v3, 32, v4 :: v_dual_bitop2_b32 v2, v3, v2 bitop3:0x54
	s_delay_alu instid0(VALU_DEP_1) | instskip(NEXT) | instid1(VALU_DEP_1)
	v_cvt_f32_u32_e32 v2, v2
	v_ldexp_f32 v2, v2, v3
	s_delay_alu instid0(VALU_DEP_1) | instskip(NEXT) | instid1(VALU_DEP_1)
	v_bfe_u32 v3, v2, 16, 1
	v_add3_u32 v2, v2, v3, 0x7fff
	s_delay_alu instid0(VALU_DEP_1)
	v_lshrrev_b32_e32 v2, 16, v2
	s_branch .LBB166_860
.LBB166_858:
	s_mov_b32 s30, -1
                                        ; implicit-def: $vgpr2
.LBB166_859:
	s_mov_b32 s34, 0
.LBB166_860:
	s_delay_alu instid0(SALU_CYCLE_1)
	s_and_b32 vcc_lo, exec_lo, s34
	s_cbranch_vccz .LBB166_878
; %bb.861:
	s_cmp_lt_i32 s31, 27
	s_cbranch_scc1 .LBB166_864
; %bb.862:
	s_cmp_gt_i32 s31, 27
	s_cbranch_scc0 .LBB166_865
; %bb.863:
	s_wait_loadcnt 0x0
	global_load_b32 v2, v[0:1], off
	s_mov_b32 s33, 0
	s_wait_loadcnt 0x0
	v_cvt_f32_u32_e32 v2, v2
	s_delay_alu instid0(VALU_DEP_1) | instskip(NEXT) | instid1(VALU_DEP_1)
	v_bfe_u32 v3, v2, 16, 1
	v_add3_u32 v2, v2, v3, 0x7fff
	s_delay_alu instid0(VALU_DEP_1)
	v_lshrrev_b32_e32 v2, 16, v2
	s_branch .LBB166_866
.LBB166_864:
	s_mov_b32 s33, -1
                                        ; implicit-def: $vgpr2
	s_branch .LBB166_869
.LBB166_865:
	s_mov_b32 s33, -1
                                        ; implicit-def: $vgpr2
.LBB166_866:
	s_delay_alu instid0(SALU_CYCLE_1)
	s_and_not1_b32 vcc_lo, exec_lo, s33
	s_cbranch_vccnz .LBB166_868
; %bb.867:
	s_wait_loadcnt 0x0
	global_load_u16 v2, v[0:1], off
	s_wait_loadcnt 0x0
	v_cvt_f32_u32_e32 v2, v2
	s_delay_alu instid0(VALU_DEP_1) | instskip(NEXT) | instid1(VALU_DEP_1)
	v_bfe_u32 v3, v2, 16, 1
	v_add3_u32 v2, v2, v3, 0x7fff
	s_delay_alu instid0(VALU_DEP_1)
	v_lshrrev_b32_e32 v2, 16, v2
.LBB166_868:
	s_mov_b32 s33, 0
.LBB166_869:
	s_delay_alu instid0(SALU_CYCLE_1)
	s_and_not1_b32 vcc_lo, exec_lo, s33
	s_cbranch_vccnz .LBB166_877
; %bb.870:
	s_wait_loadcnt 0x0
	global_load_u8 v2, v[0:1], off
	s_mov_b32 s33, 0
	s_mov_b32 s34, exec_lo
	s_wait_loadcnt 0x0
	v_cmpx_lt_i16_e32 0x7f, v2
	s_xor_b32 s34, exec_lo, s34
	s_cbranch_execz .LBB166_891
; %bb.871:
	s_mov_b32 s33, -1
	s_mov_b32 s35, exec_lo
	v_cmpx_eq_u16_e32 0x80, v2
; %bb.872:
	s_xor_b32 s33, exec_lo, -1
; %bb.873:
	s_or_b32 exec_lo, exec_lo, s35
	s_delay_alu instid0(SALU_CYCLE_1)
	s_and_b32 s33, s33, exec_lo
	s_or_saveexec_b32 s34, s34
	v_mov_b32_e32 v3, 0x7f800001
	s_xor_b32 exec_lo, exec_lo, s34
	s_cbranch_execnz .LBB166_892
.LBB166_874:
	s_or_b32 exec_lo, exec_lo, s34
	s_and_saveexec_b32 s34, s33
	s_cbranch_execz .LBB166_876
.LBB166_875:
	v_and_b32_e32 v3, 0xffff, v2
	s_delay_alu instid0(VALU_DEP_1) | instskip(SKIP_1) | instid1(VALU_DEP_2)
	v_and_b32_e32 v4, 7, v3
	v_bfe_u32 v8, v3, 3, 4
	v_clz_i32_u32_e32 v5, v4
	s_delay_alu instid0(VALU_DEP_2) | instskip(NEXT) | instid1(VALU_DEP_2)
	v_cmp_eq_u32_e32 vcc_lo, 0, v8
	v_min_u32_e32 v5, 32, v5
	s_delay_alu instid0(VALU_DEP_1) | instskip(NEXT) | instid1(VALU_DEP_1)
	v_subrev_nc_u32_e32 v7, 28, v5
	v_dual_lshlrev_b32 v3, v7, v3 :: v_dual_sub_nc_u32 v5, 29, v5
	s_delay_alu instid0(VALU_DEP_1) | instskip(NEXT) | instid1(VALU_DEP_2)
	v_dual_lshlrev_b32 v2, 24, v2 :: v_dual_bitop2_b32 v3, 7, v3 bitop3:0x40
	v_cndmask_b32_e32 v5, v8, v5, vcc_lo
	s_delay_alu instid0(VALU_DEP_2) | instskip(NEXT) | instid1(VALU_DEP_3)
	v_cndmask_b32_e32 v3, v4, v3, vcc_lo
	v_and_b32_e32 v2, 0x80000000, v2
	s_delay_alu instid0(VALU_DEP_3) | instskip(NEXT) | instid1(VALU_DEP_3)
	v_lshl_add_u32 v4, v5, 23, 0x3b800000
	v_lshlrev_b32_e32 v3, 20, v3
	s_delay_alu instid0(VALU_DEP_1)
	v_or3_b32 v3, v2, v4, v3
.LBB166_876:
	s_or_b32 exec_lo, exec_lo, s34
	s_delay_alu instid0(VALU_DEP_1) | instskip(SKIP_1) | instid1(VALU_DEP_2)
	v_bfe_u32 v2, v3, 16, 1
	v_cmp_o_f32_e32 vcc_lo, v3, v3
	v_add3_u32 v2, v3, v2, 0x7fff
	s_delay_alu instid0(VALU_DEP_1) | instskip(NEXT) | instid1(VALU_DEP_1)
	v_lshrrev_b32_e32 v2, 16, v2
	v_cndmask_b32_e32 v2, 0x7fc0, v2, vcc_lo
.LBB166_877:
	s_mov_b32 s33, -1
.LBB166_878:
	s_mov_b32 s34, 0
.LBB166_879:
	s_delay_alu instid0(SALU_CYCLE_1)
	s_and_b32 vcc_lo, exec_lo, s34
	s_cbranch_vccz .LBB166_914
; %bb.880:
	s_cmp_gt_i32 s31, 22
	s_cbranch_scc0 .LBB166_890
; %bb.881:
	s_cmp_lt_i32 s31, 24
	s_cbranch_scc1 .LBB166_893
; %bb.882:
	s_cmp_gt_i32 s31, 24
	s_cbranch_scc0 .LBB166_894
; %bb.883:
	s_wait_loadcnt 0x0
	global_load_u8 v2, v[0:1], off
	s_mov_b32 s33, 0
	s_mov_b32 s34, exec_lo
	s_wait_loadcnt 0x0
	v_cmpx_lt_i16_e32 0x7f, v2
	s_xor_b32 s34, exec_lo, s34
	s_cbranch_execz .LBB166_906
; %bb.884:
	s_mov_b32 s33, -1
	s_mov_b32 s35, exec_lo
	v_cmpx_eq_u16_e32 0x80, v2
; %bb.885:
	s_xor_b32 s33, exec_lo, -1
; %bb.886:
	s_or_b32 exec_lo, exec_lo, s35
	s_delay_alu instid0(SALU_CYCLE_1)
	s_and_b32 s33, s33, exec_lo
	s_or_saveexec_b32 s34, s34
	v_mov_b32_e32 v3, 0x7f800001
	s_xor_b32 exec_lo, exec_lo, s34
	s_cbranch_execnz .LBB166_907
.LBB166_887:
	s_or_b32 exec_lo, exec_lo, s34
	s_and_saveexec_b32 s34, s33
	s_cbranch_execz .LBB166_889
.LBB166_888:
	v_and_b32_e32 v3, 0xffff, v2
	s_delay_alu instid0(VALU_DEP_1) | instskip(SKIP_1) | instid1(VALU_DEP_2)
	v_and_b32_e32 v4, 3, v3
	v_bfe_u32 v8, v3, 2, 5
	v_clz_i32_u32_e32 v5, v4
	s_delay_alu instid0(VALU_DEP_2) | instskip(NEXT) | instid1(VALU_DEP_2)
	v_cmp_eq_u32_e32 vcc_lo, 0, v8
	v_min_u32_e32 v5, 32, v5
	s_delay_alu instid0(VALU_DEP_1) | instskip(NEXT) | instid1(VALU_DEP_1)
	v_subrev_nc_u32_e32 v7, 29, v5
	v_dual_lshlrev_b32 v3, v7, v3 :: v_dual_sub_nc_u32 v5, 30, v5
	s_delay_alu instid0(VALU_DEP_1) | instskip(NEXT) | instid1(VALU_DEP_2)
	v_dual_lshlrev_b32 v2, 24, v2 :: v_dual_bitop2_b32 v3, 3, v3 bitop3:0x40
	v_cndmask_b32_e32 v5, v8, v5, vcc_lo
	s_delay_alu instid0(VALU_DEP_2) | instskip(NEXT) | instid1(VALU_DEP_3)
	v_cndmask_b32_e32 v3, v4, v3, vcc_lo
	v_and_b32_e32 v2, 0x80000000, v2
	s_delay_alu instid0(VALU_DEP_3) | instskip(NEXT) | instid1(VALU_DEP_3)
	v_lshl_add_u32 v4, v5, 23, 0x37800000
	v_lshlrev_b32_e32 v3, 21, v3
	s_delay_alu instid0(VALU_DEP_1)
	v_or3_b32 v3, v2, v4, v3
.LBB166_889:
	s_or_b32 exec_lo, exec_lo, s34
	s_delay_alu instid0(VALU_DEP_1) | instskip(SKIP_2) | instid1(VALU_DEP_2)
	v_bfe_u32 v2, v3, 16, 1
	v_cmp_o_f32_e32 vcc_lo, v3, v3
	s_mov_b32 s33, 0
	v_add3_u32 v2, v3, v2, 0x7fff
	s_delay_alu instid0(VALU_DEP_1) | instskip(NEXT) | instid1(VALU_DEP_1)
	v_lshrrev_b32_e32 v2, 16, v2
	v_cndmask_b32_e32 v2, 0x7fc0, v2, vcc_lo
	s_branch .LBB166_895
.LBB166_890:
	s_mov_b32 s34, -1
                                        ; implicit-def: $vgpr2
	s_branch .LBB166_901
.LBB166_891:
	s_or_saveexec_b32 s34, s34
	v_mov_b32_e32 v3, 0x7f800001
	s_xor_b32 exec_lo, exec_lo, s34
	s_cbranch_execz .LBB166_874
.LBB166_892:
	v_cmp_ne_u16_e32 vcc_lo, 0, v2
	v_mov_b32_e32 v3, 0
	s_and_not1_b32 s33, s33, exec_lo
	s_and_b32 s35, vcc_lo, exec_lo
	s_delay_alu instid0(SALU_CYCLE_1)
	s_or_b32 s33, s33, s35
	s_or_b32 exec_lo, exec_lo, s34
	s_and_saveexec_b32 s34, s33
	s_cbranch_execnz .LBB166_875
	s_branch .LBB166_876
.LBB166_893:
	s_mov_b32 s33, -1
                                        ; implicit-def: $vgpr2
	s_branch .LBB166_898
.LBB166_894:
	s_mov_b32 s33, -1
                                        ; implicit-def: $vgpr2
.LBB166_895:
	s_delay_alu instid0(SALU_CYCLE_1)
	s_and_b32 vcc_lo, exec_lo, s33
	s_cbranch_vccz .LBB166_897
; %bb.896:
	s_wait_loadcnt 0x0
	global_load_u8 v2, v[0:1], off
	s_wait_loadcnt 0x0
	v_lshlrev_b32_e32 v2, 24, v2
	s_delay_alu instid0(VALU_DEP_1) | instskip(NEXT) | instid1(VALU_DEP_1)
	v_and_b32_e32 v3, 0x7f000000, v2
	v_clz_i32_u32_e32 v4, v3
	v_add_nc_u32_e32 v7, 0x1000000, v3
	v_cmp_ne_u32_e32 vcc_lo, 0, v3
	s_delay_alu instid0(VALU_DEP_3) | instskip(NEXT) | instid1(VALU_DEP_1)
	v_min_u32_e32 v4, 32, v4
	v_sub_nc_u32_e64 v4, v4, 4 clamp
	s_delay_alu instid0(VALU_DEP_1) | instskip(NEXT) | instid1(VALU_DEP_1)
	v_dual_lshlrev_b32 v5, v4, v3 :: v_dual_lshlrev_b32 v4, 23, v4
	v_lshrrev_b32_e32 v5, 4, v5
	s_delay_alu instid0(VALU_DEP_1) | instskip(NEXT) | instid1(VALU_DEP_1)
	v_dual_sub_nc_u32 v4, v5, v4 :: v_dual_ashrrev_i32 v5, 8, v7
	v_add_nc_u32_e32 v4, 0x3c000000, v4
	s_delay_alu instid0(VALU_DEP_1) | instskip(NEXT) | instid1(VALU_DEP_1)
	v_and_or_b32 v4, 0x7f800000, v5, v4
	v_cndmask_b32_e32 v3, 0, v4, vcc_lo
	s_delay_alu instid0(VALU_DEP_1) | instskip(SKIP_1) | instid1(VALU_DEP_2)
	v_and_or_b32 v2, 0x80000000, v2, v3
	v_bfe_u32 v3, v3, 16, 1
	v_cmp_o_f32_e32 vcc_lo, v2, v2
	s_delay_alu instid0(VALU_DEP_2) | instskip(NEXT) | instid1(VALU_DEP_1)
	v_add3_u32 v3, v2, v3, 0x7fff
	v_lshrrev_b32_e32 v3, 16, v3
	s_delay_alu instid0(VALU_DEP_1)
	v_cndmask_b32_e32 v2, 0x7fc0, v3, vcc_lo
.LBB166_897:
	s_mov_b32 s33, 0
.LBB166_898:
	s_delay_alu instid0(SALU_CYCLE_1)
	s_and_not1_b32 vcc_lo, exec_lo, s33
	s_cbranch_vccnz .LBB166_900
; %bb.899:
	s_wait_loadcnt 0x0
	global_load_u8 v2, v[0:1], off
	s_wait_loadcnt 0x0
	v_lshlrev_b32_e32 v3, 25, v2
	v_lshlrev_b16 v2, 8, v2
	s_delay_alu instid0(VALU_DEP_1) | instskip(SKIP_1) | instid1(VALU_DEP_2)
	v_and_or_b32 v5, 0x7f00, v2, 0.5
	v_bfe_i32 v2, v2, 0, 16
	v_dual_add_f32 v5, -0.5, v5 :: v_dual_lshrrev_b32 v4, 4, v3
	v_cmp_gt_u32_e32 vcc_lo, 0x8000000, v3
	s_delay_alu instid0(VALU_DEP_2) | instskip(NEXT) | instid1(VALU_DEP_1)
	v_or_b32_e32 v4, 0x70000000, v4
	v_mul_f32_e32 v4, 0x7800000, v4
	s_delay_alu instid0(VALU_DEP_1) | instskip(NEXT) | instid1(VALU_DEP_1)
	v_cndmask_b32_e32 v3, v4, v5, vcc_lo
	v_and_or_b32 v2, 0x80000000, v2, v3
	v_bfe_u32 v3, v3, 16, 1
	s_delay_alu instid0(VALU_DEP_2) | instskip(NEXT) | instid1(VALU_DEP_2)
	v_cmp_o_f32_e32 vcc_lo, v2, v2
	v_add3_u32 v3, v2, v3, 0x7fff
	s_delay_alu instid0(VALU_DEP_1) | instskip(NEXT) | instid1(VALU_DEP_1)
	v_lshrrev_b32_e32 v3, 16, v3
	v_cndmask_b32_e32 v2, 0x7fc0, v3, vcc_lo
.LBB166_900:
	s_mov_b32 s34, 0
	s_mov_b32 s33, -1
.LBB166_901:
	s_and_not1_b32 vcc_lo, exec_lo, s34
	s_cbranch_vccnz .LBB166_914
; %bb.902:
	s_cmp_gt_i32 s31, 14
	s_cbranch_scc0 .LBB166_905
; %bb.903:
	s_cmp_eq_u32 s31, 15
	s_cbranch_scc0 .LBB166_908
; %bb.904:
	s_wait_loadcnt 0x0
	global_load_u16 v2, v[0:1], off
	s_mov_b32 s33, -1
	s_mov_b32 s30, 0
	s_branch .LBB166_909
.LBB166_905:
	s_mov_b32 s34, -1
                                        ; implicit-def: $vgpr2
	s_branch .LBB166_910
.LBB166_906:
	s_or_saveexec_b32 s34, s34
	v_mov_b32_e32 v3, 0x7f800001
	s_xor_b32 exec_lo, exec_lo, s34
	s_cbranch_execz .LBB166_887
.LBB166_907:
	v_cmp_ne_u16_e32 vcc_lo, 0, v2
	v_mov_b32_e32 v3, 0
	s_and_not1_b32 s33, s33, exec_lo
	s_and_b32 s35, vcc_lo, exec_lo
	s_delay_alu instid0(SALU_CYCLE_1)
	s_or_b32 s33, s33, s35
	s_or_b32 exec_lo, exec_lo, s34
	s_and_saveexec_b32 s34, s33
	s_cbranch_execnz .LBB166_888
	s_branch .LBB166_889
.LBB166_908:
	s_mov_b32 s30, -1
                                        ; implicit-def: $vgpr2
.LBB166_909:
	s_mov_b32 s34, 0
.LBB166_910:
	s_delay_alu instid0(SALU_CYCLE_1)
	s_and_b32 vcc_lo, exec_lo, s34
	s_cbranch_vccz .LBB166_914
; %bb.911:
	s_cmp_eq_u32 s31, 11
	s_cbranch_scc0 .LBB166_913
; %bb.912:
	s_wait_loadcnt 0x0
	global_load_u8 v2, v[0:1], off
	s_mov_b32 s30, 0
	s_mov_b32 s33, -1
	s_wait_loadcnt 0x0
	v_cmp_ne_u16_e32 vcc_lo, 0, v2
	v_cndmask_b32_e64 v2, 0, 1.0, vcc_lo
	s_delay_alu instid0(VALU_DEP_1)
	v_lshrrev_b32_e32 v2, 16, v2
	s_branch .LBB166_914
.LBB166_913:
	s_mov_b32 s30, -1
                                        ; implicit-def: $vgpr2
.LBB166_914:
	s_mov_b32 s31, 0
.LBB166_915:
	s_delay_alu instid0(SALU_CYCLE_1)
	s_and_b32 vcc_lo, exec_lo, s31
	s_cbranch_vccz .LBB166_964
; %bb.916:
	s_and_b32 s0, 0xffff, s0
	s_delay_alu instid0(SALU_CYCLE_1)
	s_cmp_lt_i32 s0, 5
	s_cbranch_scc1 .LBB166_921
; %bb.917:
	s_cmp_lt_i32 s0, 8
	s_cbranch_scc1 .LBB166_922
; %bb.918:
	;; [unrolled: 3-line block ×3, first 2 shown]
	s_cmp_gt_i32 s0, 9
	s_cbranch_scc0 .LBB166_924
; %bb.920:
	s_wait_loadcnt 0x0
	global_load_b64 v[2:3], v[0:1], off
	s_mov_b32 s31, 0
	s_wait_loadcnt 0x0
	v_cvt_f32_f64_e32 v2, v[2:3]
	s_delay_alu instid0(VALU_DEP_1) | instskip(SKIP_1) | instid1(VALU_DEP_2)
	v_bfe_u32 v3, v2, 16, 1
	v_cmp_o_f32_e32 vcc_lo, v2, v2
	v_add3_u32 v3, v2, v3, 0x7fff
	s_delay_alu instid0(VALU_DEP_1) | instskip(NEXT) | instid1(VALU_DEP_1)
	v_lshrrev_b32_e32 v3, 16, v3
	v_cndmask_b32_e32 v2, 0x7fc0, v3, vcc_lo
	s_branch .LBB166_925
.LBB166_921:
	s_mov_b32 s31, -1
                                        ; implicit-def: $vgpr2
	s_branch .LBB166_943
.LBB166_922:
	s_mov_b32 s31, -1
                                        ; implicit-def: $vgpr2
	s_branch .LBB166_931
.LBB166_923:
	s_mov_b32 s31, -1
                                        ; implicit-def: $vgpr2
	s_branch .LBB166_928
.LBB166_924:
	s_mov_b32 s31, -1
                                        ; implicit-def: $vgpr2
.LBB166_925:
	s_delay_alu instid0(SALU_CYCLE_1)
	s_and_not1_b32 vcc_lo, exec_lo, s31
	s_cbranch_vccnz .LBB166_927
; %bb.926:
	s_wait_loadcnt 0x0
	global_load_b32 v2, v[0:1], off
	s_wait_loadcnt 0x0
	v_bfe_u32 v3, v2, 16, 1
	v_cmp_o_f32_e32 vcc_lo, v2, v2
	s_delay_alu instid0(VALU_DEP_2) | instskip(NEXT) | instid1(VALU_DEP_1)
	v_add3_u32 v3, v2, v3, 0x7fff
	v_lshrrev_b32_e32 v3, 16, v3
	s_delay_alu instid0(VALU_DEP_1)
	v_cndmask_b32_e32 v2, 0x7fc0, v3, vcc_lo
.LBB166_927:
	s_mov_b32 s31, 0
.LBB166_928:
	s_delay_alu instid0(SALU_CYCLE_1)
	s_and_not1_b32 vcc_lo, exec_lo, s31
	s_cbranch_vccnz .LBB166_930
; %bb.929:
	s_wait_loadcnt 0x0
	global_load_b32 v2, v[0:1], off
	s_wait_loadcnt 0x0
	v_cvt_f32_f16_e32 v3, v2
	v_cmp_o_f16_e32 vcc_lo, v2, v2
	s_delay_alu instid0(VALU_DEP_2) | instskip(NEXT) | instid1(VALU_DEP_1)
	v_bfe_u32 v4, v3, 16, 1
	v_add3_u32 v3, v3, v4, 0x7fff
	s_delay_alu instid0(VALU_DEP_1) | instskip(NEXT) | instid1(VALU_DEP_1)
	v_lshrrev_b32_e32 v3, 16, v3
	v_cndmask_b32_e32 v2, 0x7fc0, v3, vcc_lo
.LBB166_930:
	s_mov_b32 s31, 0
.LBB166_931:
	s_delay_alu instid0(SALU_CYCLE_1)
	s_and_not1_b32 vcc_lo, exec_lo, s31
	s_cbranch_vccnz .LBB166_942
; %bb.932:
	s_cmp_lt_i32 s0, 6
	s_cbranch_scc1 .LBB166_935
; %bb.933:
	s_cmp_gt_i32 s0, 6
	s_cbranch_scc0 .LBB166_936
; %bb.934:
	s_wait_loadcnt 0x0
	global_load_b64 v[2:3], v[0:1], off
	s_mov_b32 s31, 0
	s_wait_loadcnt 0x0
	v_cvt_f32_f64_e32 v2, v[2:3]
	s_delay_alu instid0(VALU_DEP_1) | instskip(SKIP_1) | instid1(VALU_DEP_2)
	v_bfe_u32 v3, v2, 16, 1
	v_cmp_o_f32_e32 vcc_lo, v2, v2
	v_add3_u32 v3, v2, v3, 0x7fff
	s_delay_alu instid0(VALU_DEP_1) | instskip(NEXT) | instid1(VALU_DEP_1)
	v_lshrrev_b32_e32 v3, 16, v3
	v_cndmask_b32_e32 v2, 0x7fc0, v3, vcc_lo
	s_branch .LBB166_937
.LBB166_935:
	s_mov_b32 s31, -1
                                        ; implicit-def: $vgpr2
	s_branch .LBB166_940
.LBB166_936:
	s_mov_b32 s31, -1
                                        ; implicit-def: $vgpr2
.LBB166_937:
	s_delay_alu instid0(SALU_CYCLE_1)
	s_and_not1_b32 vcc_lo, exec_lo, s31
	s_cbranch_vccnz .LBB166_939
; %bb.938:
	s_wait_loadcnt 0x0
	global_load_b32 v2, v[0:1], off
	s_wait_loadcnt 0x0
	v_bfe_u32 v3, v2, 16, 1
	v_cmp_o_f32_e32 vcc_lo, v2, v2
	s_delay_alu instid0(VALU_DEP_2) | instskip(NEXT) | instid1(VALU_DEP_1)
	v_add3_u32 v3, v2, v3, 0x7fff
	v_lshrrev_b32_e32 v3, 16, v3
	s_delay_alu instid0(VALU_DEP_1)
	v_cndmask_b32_e32 v2, 0x7fc0, v3, vcc_lo
.LBB166_939:
	s_mov_b32 s31, 0
.LBB166_940:
	s_delay_alu instid0(SALU_CYCLE_1)
	s_and_not1_b32 vcc_lo, exec_lo, s31
	s_cbranch_vccnz .LBB166_942
; %bb.941:
	s_wait_loadcnt 0x0
	global_load_u16 v2, v[0:1], off
	s_wait_loadcnt 0x0
	v_cvt_f32_f16_e32 v3, v2
	v_cmp_o_f16_e32 vcc_lo, v2, v2
	s_delay_alu instid0(VALU_DEP_2) | instskip(NEXT) | instid1(VALU_DEP_1)
	v_bfe_u32 v4, v3, 16, 1
	v_add3_u32 v3, v3, v4, 0x7fff
	s_delay_alu instid0(VALU_DEP_1) | instskip(NEXT) | instid1(VALU_DEP_1)
	v_lshrrev_b32_e32 v3, 16, v3
	v_cndmask_b32_e32 v2, 0x7fc0, v3, vcc_lo
.LBB166_942:
	s_mov_b32 s31, 0
.LBB166_943:
	s_delay_alu instid0(SALU_CYCLE_1)
	s_and_not1_b32 vcc_lo, exec_lo, s31
	s_cbranch_vccnz .LBB166_963
; %bb.944:
	s_cmp_lt_i32 s0, 2
	s_cbranch_scc1 .LBB166_948
; %bb.945:
	s_cmp_lt_i32 s0, 3
	s_cbranch_scc1 .LBB166_949
; %bb.946:
	s_cmp_gt_i32 s0, 3
	s_cbranch_scc0 .LBB166_950
; %bb.947:
	s_wait_loadcnt 0x0
	global_load_b64 v[2:3], v[0:1], off
	s_mov_b32 s31, 0
	s_wait_loadcnt 0x0
	v_xor_b32_e32 v4, v2, v3
	v_cls_i32_e32 v5, v3
	s_delay_alu instid0(VALU_DEP_2) | instskip(NEXT) | instid1(VALU_DEP_1)
	v_ashrrev_i32_e32 v4, 31, v4
	v_add_nc_u32_e32 v4, 32, v4
	s_delay_alu instid0(VALU_DEP_1) | instskip(NEXT) | instid1(VALU_DEP_1)
	v_add_min_u32_e64 v4, v5, -1, v4
	v_lshlrev_b64_e32 v[2:3], v4, v[2:3]
	s_delay_alu instid0(VALU_DEP_1) | instskip(NEXT) | instid1(VALU_DEP_1)
	v_min_u32_e32 v2, 1, v2
	v_dual_sub_nc_u32 v3, 32, v4 :: v_dual_bitop2_b32 v2, v3, v2 bitop3:0x54
	s_delay_alu instid0(VALU_DEP_1) | instskip(NEXT) | instid1(VALU_DEP_1)
	v_cvt_f32_i32_e32 v2, v2
	v_ldexp_f32 v2, v2, v3
	s_delay_alu instid0(VALU_DEP_1) | instskip(NEXT) | instid1(VALU_DEP_1)
	v_bfe_u32 v3, v2, 16, 1
	v_add3_u32 v2, v2, v3, 0x7fff
	s_delay_alu instid0(VALU_DEP_1)
	v_lshrrev_b32_e32 v2, 16, v2
	s_branch .LBB166_951
.LBB166_948:
	s_mov_b32 s31, -1
                                        ; implicit-def: $vgpr2
	s_branch .LBB166_957
.LBB166_949:
	s_mov_b32 s31, -1
                                        ; implicit-def: $vgpr2
	s_branch .LBB166_954
.LBB166_950:
	s_mov_b32 s31, -1
                                        ; implicit-def: $vgpr2
.LBB166_951:
	s_delay_alu instid0(SALU_CYCLE_1)
	s_and_not1_b32 vcc_lo, exec_lo, s31
	s_cbranch_vccnz .LBB166_953
; %bb.952:
	s_wait_loadcnt 0x0
	global_load_b32 v2, v[0:1], off
	s_wait_loadcnt 0x0
	v_cvt_f32_i32_e32 v2, v2
	s_delay_alu instid0(VALU_DEP_1) | instskip(NEXT) | instid1(VALU_DEP_1)
	v_bfe_u32 v3, v2, 16, 1
	v_add3_u32 v2, v2, v3, 0x7fff
	s_delay_alu instid0(VALU_DEP_1)
	v_lshrrev_b32_e32 v2, 16, v2
.LBB166_953:
	s_mov_b32 s31, 0
.LBB166_954:
	s_delay_alu instid0(SALU_CYCLE_1)
	s_and_not1_b32 vcc_lo, exec_lo, s31
	s_cbranch_vccnz .LBB166_956
; %bb.955:
	s_wait_loadcnt 0x0
	global_load_i16 v2, v[0:1], off
	s_wait_loadcnt 0x0
	v_cvt_f32_i32_e32 v2, v2
	s_delay_alu instid0(VALU_DEP_1) | instskip(NEXT) | instid1(VALU_DEP_1)
	v_bfe_u32 v3, v2, 16, 1
	v_add3_u32 v2, v2, v3, 0x7fff
	s_delay_alu instid0(VALU_DEP_1)
	v_lshrrev_b32_e32 v2, 16, v2
.LBB166_956:
	s_mov_b32 s31, 0
.LBB166_957:
	s_delay_alu instid0(SALU_CYCLE_1)
	s_and_not1_b32 vcc_lo, exec_lo, s31
	s_cbranch_vccnz .LBB166_963
; %bb.958:
	s_cmp_gt_i32 s0, 0
	s_mov_b32 s0, 0
	s_cbranch_scc0 .LBB166_960
; %bb.959:
	s_wait_loadcnt 0x0
	global_load_i8 v2, v[0:1], off
	s_wait_loadcnt 0x0
	v_cvt_f32_i32_e32 v2, v2
	s_delay_alu instid0(VALU_DEP_1) | instskip(NEXT) | instid1(VALU_DEP_1)
	v_bfe_u32 v3, v2, 16, 1
	v_add3_u32 v2, v2, v3, 0x7fff
	s_delay_alu instid0(VALU_DEP_1)
	v_lshrrev_b32_e32 v2, 16, v2
	s_branch .LBB166_961
.LBB166_960:
	s_mov_b32 s0, -1
                                        ; implicit-def: $vgpr2
.LBB166_961:
	s_delay_alu instid0(SALU_CYCLE_1)
	s_and_not1_b32 vcc_lo, exec_lo, s0
	s_cbranch_vccnz .LBB166_963
; %bb.962:
	global_load_u8 v0, v[0:1], off
	s_wait_loadcnt 0x0
	v_cvt_f32_ubyte0_e32 v0, v0
	s_delay_alu instid0(VALU_DEP_1) | instskip(NEXT) | instid1(VALU_DEP_1)
	v_bfe_u32 v1, v0, 16, 1
	v_add3_u32 v0, v0, v1, 0x7fff
	s_delay_alu instid0(VALU_DEP_1)
	v_lshrrev_b32_e32 v2, 16, v0
.LBB166_963:
	s_mov_b32 s33, -1
.LBB166_964:
	s_mov_b32 s31, 0
	s_mov_b32 s0, s25
	s_and_not1_b32 vcc_lo, exec_lo, s33
	s_mov_b32 s33, s26
	s_mov_b32 s35, 0
	s_cbranch_vccnz .LBB166_1219
; %bb.965:
	s_wait_xcnt 0x0
	v_mul_lo_u32 v0, v6, s9
	s_and_b32 s0, 0xffff, s10
	s_delay_alu instid0(SALU_CYCLE_1) | instskip(NEXT) | instid1(VALU_DEP_1)
	s_cmp_lt_i32 s0, 11
	v_ashrrev_i32_e32 v1, 31, v0
	s_delay_alu instid0(VALU_DEP_1)
	v_add_nc_u64_e32 v[0:1], s[6:7], v[0:1]
	s_cbranch_scc1 .LBB166_972
; %bb.966:
	s_cmp_gt_i32 s0, 25
	s_cbranch_scc0 .LBB166_973
; %bb.967:
	s_cmp_gt_i32 s0, 28
	s_cbranch_scc0 .LBB166_974
	;; [unrolled: 3-line block ×4, first 2 shown]
; %bb.970:
	s_cmp_eq_u32 s0, 46
	s_cbranch_scc0 .LBB166_979
; %bb.971:
	s_wait_loadcnt 0x0
	global_load_b32 v3, v[0:1], off
	s_mov_b32 s34, -1
	s_mov_b32 s33, 0
	s_branch .LBB166_981
.LBB166_972:
	s_mov_b32 s35, -1
	s_mov_b32 s34, 0
	s_mov_b32 s33, s26
                                        ; implicit-def: $vgpr3
	s_branch .LBB166_1046
.LBB166_973:
	s_mov_b32 s35, -1
	s_mov_b32 s34, 0
	s_mov_b32 s33, s26
                                        ; implicit-def: $vgpr3
	s_branch .LBB166_1010
.LBB166_974:
	s_mov_b32 s35, -1
	s_mov_b32 s34, 0
	s_mov_b32 s33, s26
                                        ; implicit-def: $vgpr3
	s_branch .LBB166_991
.LBB166_975:
	s_mov_b32 s35, -1
	s_mov_b32 s34, 0
	s_mov_b32 s33, s26
                                        ; implicit-def: $vgpr3
	s_branch .LBB166_986
.LBB166_976:
	s_mov_b32 s35, -1
	s_mov_b32 s34, 0
	s_mov_b32 s33, s26
	s_branch .LBB166_980
.LBB166_977:
	s_and_not1_saveexec_b32 s33, s33
	s_cbranch_execz .LBB166_733
.LBB166_978:
	v_add_f32_e64 v4, 0x42800000, |v5|
	s_and_not1_b32 s31, s31, exec_lo
	s_delay_alu instid0(VALU_DEP_1) | instskip(NEXT) | instid1(VALU_DEP_1)
	v_and_b32_e32 v4, 0xff, v4
	v_cmp_ne_u32_e32 vcc_lo, 0, v4
	s_and_b32 s34, vcc_lo, exec_lo
	s_delay_alu instid0(SALU_CYCLE_1)
	s_or_b32 s31, s31, s34
	s_or_b32 exec_lo, exec_lo, s33
	v_mov_b32_e32 v7, 0
	s_and_saveexec_b32 s33, s31
	s_cbranch_execnz .LBB166_734
	s_branch .LBB166_735
.LBB166_979:
	s_mov_b32 s33, -1
	s_mov_b32 s34, 0
.LBB166_980:
                                        ; implicit-def: $vgpr3
.LBB166_981:
	s_and_b32 vcc_lo, exec_lo, s35
	s_cbranch_vccz .LBB166_985
; %bb.982:
	s_cmp_eq_u32 s0, 44
	s_cbranch_scc0 .LBB166_984
; %bb.983:
	s_wait_loadcnt 0x0
	global_load_u8 v3, v[0:1], off
	s_mov_b32 s33, 0
	s_mov_b32 s34, -1
	s_wait_loadcnt 0x0
	v_lshlrev_b32_e32 v4, 23, v3
	v_cmp_ne_u32_e32 vcc_lo, 0xff, v3
	s_delay_alu instid0(VALU_DEP_2) | instskip(SKIP_1) | instid1(VALU_DEP_2)
	v_cndmask_b32_e32 v4, 0x7f800001, v4, vcc_lo
	v_cmp_ne_u32_e32 vcc_lo, 0, v3
	v_cndmask_b32_e32 v3, 0x400000, v4, vcc_lo
	s_delay_alu instid0(VALU_DEP_1) | instskip(NEXT) | instid1(VALU_DEP_1)
	v_add_nc_u32_e32 v4, 0x7fff, v3
	v_lshrrev_b32_e32 v4, 16, v4
	v_cmp_o_f32_e32 vcc_lo, v3, v3
	s_delay_alu instid0(VALU_DEP_2)
	v_cndmask_b32_e32 v3, 0x7fc0, v4, vcc_lo
	s_branch .LBB166_985
.LBB166_984:
	s_mov_b32 s33, -1
                                        ; implicit-def: $vgpr3
.LBB166_985:
	s_mov_b32 s35, 0
.LBB166_986:
	s_delay_alu instid0(SALU_CYCLE_1)
	s_and_b32 vcc_lo, exec_lo, s35
	s_cbranch_vccz .LBB166_990
; %bb.987:
	s_cmp_eq_u32 s0, 29
	s_cbranch_scc0 .LBB166_989
; %bb.988:
	global_load_b64 v[4:5], v[0:1], off
	s_mov_b32 s34, -1
	s_mov_b32 s33, 0
	s_mov_b32 s35, 0
	s_wait_loadcnt 0x0
	v_clz_i32_u32_e32 v3, v5
	s_delay_alu instid0(VALU_DEP_1) | instskip(NEXT) | instid1(VALU_DEP_1)
	v_min_u32_e32 v3, 32, v3
	v_lshlrev_b64_e32 v[4:5], v3, v[4:5]
	v_sub_nc_u32_e32 v3, 32, v3
	s_delay_alu instid0(VALU_DEP_2) | instskip(NEXT) | instid1(VALU_DEP_1)
	v_min_u32_e32 v4, 1, v4
	v_or_b32_e32 v4, v5, v4
	s_delay_alu instid0(VALU_DEP_1) | instskip(NEXT) | instid1(VALU_DEP_1)
	v_cvt_f32_u32_e32 v4, v4
	v_ldexp_f32 v3, v4, v3
	s_delay_alu instid0(VALU_DEP_1) | instskip(NEXT) | instid1(VALU_DEP_1)
	v_bfe_u32 v4, v3, 16, 1
	v_add3_u32 v3, v3, v4, 0x7fff
	s_delay_alu instid0(VALU_DEP_1)
	v_lshrrev_b32_e32 v3, 16, v3
	s_branch .LBB166_991
.LBB166_989:
	s_mov_b32 s33, -1
                                        ; implicit-def: $vgpr3
.LBB166_990:
	s_mov_b32 s35, 0
.LBB166_991:
	s_delay_alu instid0(SALU_CYCLE_1)
	s_and_b32 vcc_lo, exec_lo, s35
	s_cbranch_vccz .LBB166_1009
; %bb.992:
	s_cmp_lt_i32 s0, 27
	s_cbranch_scc1 .LBB166_995
; %bb.993:
	s_cmp_gt_i32 s0, 27
	s_cbranch_scc0 .LBB166_996
; %bb.994:
	s_wait_loadcnt 0x0
	global_load_b32 v3, v[0:1], off
	s_mov_b32 s34, 0
	s_wait_loadcnt 0x0
	v_cvt_f32_u32_e32 v3, v3
	s_delay_alu instid0(VALU_DEP_1) | instskip(NEXT) | instid1(VALU_DEP_1)
	v_bfe_u32 v4, v3, 16, 1
	v_add3_u32 v3, v3, v4, 0x7fff
	s_delay_alu instid0(VALU_DEP_1)
	v_lshrrev_b32_e32 v3, 16, v3
	s_branch .LBB166_997
.LBB166_995:
	s_mov_b32 s34, -1
                                        ; implicit-def: $vgpr3
	s_branch .LBB166_1000
.LBB166_996:
	s_mov_b32 s34, -1
                                        ; implicit-def: $vgpr3
.LBB166_997:
	s_delay_alu instid0(SALU_CYCLE_1)
	s_and_not1_b32 vcc_lo, exec_lo, s34
	s_cbranch_vccnz .LBB166_999
; %bb.998:
	s_wait_loadcnt 0x0
	global_load_u16 v3, v[0:1], off
	s_wait_loadcnt 0x0
	v_cvt_f32_u32_e32 v3, v3
	s_delay_alu instid0(VALU_DEP_1) | instskip(NEXT) | instid1(VALU_DEP_1)
	v_bfe_u32 v4, v3, 16, 1
	v_add3_u32 v3, v3, v4, 0x7fff
	s_delay_alu instid0(VALU_DEP_1)
	v_lshrrev_b32_e32 v3, 16, v3
.LBB166_999:
	s_mov_b32 s34, 0
.LBB166_1000:
	s_delay_alu instid0(SALU_CYCLE_1)
	s_and_not1_b32 vcc_lo, exec_lo, s34
	s_cbranch_vccnz .LBB166_1008
; %bb.1001:
	s_wait_loadcnt 0x0
	global_load_u8 v3, v[0:1], off
	s_mov_b32 s34, 0
	s_mov_b32 s35, exec_lo
	s_wait_loadcnt 0x0
	v_cmpx_lt_i16_e32 0x7f, v3
	s_xor_b32 s35, exec_lo, s35
	s_cbranch_execz .LBB166_1022
; %bb.1002:
	s_mov_b32 s34, -1
	s_mov_b32 s36, exec_lo
	v_cmpx_eq_u16_e32 0x80, v3
; %bb.1003:
	s_xor_b32 s34, exec_lo, -1
; %bb.1004:
	s_or_b32 exec_lo, exec_lo, s36
	s_delay_alu instid0(SALU_CYCLE_1)
	s_and_b32 s34, s34, exec_lo
	s_or_saveexec_b32 s35, s35
	v_mov_b32_e32 v4, 0x7f800001
	s_xor_b32 exec_lo, exec_lo, s35
	s_cbranch_execnz .LBB166_1023
.LBB166_1005:
	s_or_b32 exec_lo, exec_lo, s35
	s_and_saveexec_b32 s35, s34
	s_cbranch_execz .LBB166_1007
.LBB166_1006:
	v_and_b32_e32 v4, 0xffff, v3
	s_delay_alu instid0(VALU_DEP_1) | instskip(SKIP_1) | instid1(VALU_DEP_2)
	v_and_b32_e32 v5, 7, v4
	v_bfe_u32 v9, v4, 3, 4
	v_clz_i32_u32_e32 v7, v5
	s_delay_alu instid0(VALU_DEP_2) | instskip(NEXT) | instid1(VALU_DEP_2)
	v_cmp_eq_u32_e32 vcc_lo, 0, v9
	v_min_u32_e32 v7, 32, v7
	s_delay_alu instid0(VALU_DEP_1) | instskip(NEXT) | instid1(VALU_DEP_1)
	v_subrev_nc_u32_e32 v8, 28, v7
	v_dual_lshlrev_b32 v4, v8, v4 :: v_dual_sub_nc_u32 v7, 29, v7
	s_delay_alu instid0(VALU_DEP_1) | instskip(NEXT) | instid1(VALU_DEP_1)
	v_dual_lshlrev_b32 v3, 24, v3 :: v_dual_bitop2_b32 v4, 7, v4 bitop3:0x40
	v_cndmask_b32_e32 v4, v5, v4, vcc_lo
	s_delay_alu instid0(VALU_DEP_3) | instskip(NEXT) | instid1(VALU_DEP_3)
	v_cndmask_b32_e32 v7, v9, v7, vcc_lo
	v_and_b32_e32 v3, 0x80000000, v3
	s_delay_alu instid0(VALU_DEP_3) | instskip(NEXT) | instid1(VALU_DEP_3)
	v_lshlrev_b32_e32 v4, 20, v4
	v_lshl_add_u32 v5, v7, 23, 0x3b800000
	s_delay_alu instid0(VALU_DEP_1)
	v_or3_b32 v4, v3, v5, v4
.LBB166_1007:
	s_or_b32 exec_lo, exec_lo, s35
	s_delay_alu instid0(VALU_DEP_1) | instskip(SKIP_1) | instid1(VALU_DEP_2)
	v_bfe_u32 v3, v4, 16, 1
	v_cmp_o_f32_e32 vcc_lo, v4, v4
	v_add3_u32 v3, v4, v3, 0x7fff
	s_delay_alu instid0(VALU_DEP_1) | instskip(NEXT) | instid1(VALU_DEP_1)
	v_lshrrev_b32_e32 v3, 16, v3
	v_cndmask_b32_e32 v3, 0x7fc0, v3, vcc_lo
.LBB166_1008:
	s_mov_b32 s34, -1
.LBB166_1009:
	s_mov_b32 s35, 0
.LBB166_1010:
	s_delay_alu instid0(SALU_CYCLE_1)
	s_and_b32 vcc_lo, exec_lo, s35
	s_cbranch_vccz .LBB166_1045
; %bb.1011:
	s_cmp_gt_i32 s0, 22
	s_cbranch_scc0 .LBB166_1021
; %bb.1012:
	s_cmp_lt_i32 s0, 24
	s_cbranch_scc1 .LBB166_1024
; %bb.1013:
	s_cmp_gt_i32 s0, 24
	s_cbranch_scc0 .LBB166_1025
; %bb.1014:
	s_wait_loadcnt 0x0
	global_load_u8 v3, v[0:1], off
	s_mov_b32 s34, 0
	s_mov_b32 s35, exec_lo
	s_wait_loadcnt 0x0
	v_cmpx_lt_i16_e32 0x7f, v3
	s_xor_b32 s35, exec_lo, s35
	s_cbranch_execz .LBB166_1037
; %bb.1015:
	s_mov_b32 s34, -1
	s_mov_b32 s36, exec_lo
	v_cmpx_eq_u16_e32 0x80, v3
; %bb.1016:
	s_xor_b32 s34, exec_lo, -1
; %bb.1017:
	s_or_b32 exec_lo, exec_lo, s36
	s_delay_alu instid0(SALU_CYCLE_1)
	s_and_b32 s34, s34, exec_lo
	s_or_saveexec_b32 s35, s35
	v_mov_b32_e32 v4, 0x7f800001
	s_xor_b32 exec_lo, exec_lo, s35
	s_cbranch_execnz .LBB166_1038
.LBB166_1018:
	s_or_b32 exec_lo, exec_lo, s35
	s_and_saveexec_b32 s35, s34
	s_cbranch_execz .LBB166_1020
.LBB166_1019:
	v_and_b32_e32 v4, 0xffff, v3
	s_delay_alu instid0(VALU_DEP_1) | instskip(SKIP_1) | instid1(VALU_DEP_2)
	v_and_b32_e32 v5, 3, v4
	v_bfe_u32 v9, v4, 2, 5
	v_clz_i32_u32_e32 v7, v5
	s_delay_alu instid0(VALU_DEP_2) | instskip(NEXT) | instid1(VALU_DEP_2)
	v_cmp_eq_u32_e32 vcc_lo, 0, v9
	v_min_u32_e32 v7, 32, v7
	s_delay_alu instid0(VALU_DEP_1) | instskip(NEXT) | instid1(VALU_DEP_1)
	v_subrev_nc_u32_e32 v8, 29, v7
	v_dual_lshlrev_b32 v4, v8, v4 :: v_dual_sub_nc_u32 v7, 30, v7
	s_delay_alu instid0(VALU_DEP_1) | instskip(NEXT) | instid1(VALU_DEP_1)
	v_dual_lshlrev_b32 v3, 24, v3 :: v_dual_bitop2_b32 v4, 3, v4 bitop3:0x40
	v_cndmask_b32_e32 v4, v5, v4, vcc_lo
	s_delay_alu instid0(VALU_DEP_3) | instskip(NEXT) | instid1(VALU_DEP_3)
	v_cndmask_b32_e32 v7, v9, v7, vcc_lo
	v_and_b32_e32 v3, 0x80000000, v3
	s_delay_alu instid0(VALU_DEP_3) | instskip(NEXT) | instid1(VALU_DEP_3)
	v_lshlrev_b32_e32 v4, 21, v4
	v_lshl_add_u32 v5, v7, 23, 0x37800000
	s_delay_alu instid0(VALU_DEP_1)
	v_or3_b32 v4, v3, v5, v4
.LBB166_1020:
	s_or_b32 exec_lo, exec_lo, s35
	s_delay_alu instid0(VALU_DEP_1) | instskip(SKIP_2) | instid1(VALU_DEP_2)
	v_bfe_u32 v3, v4, 16, 1
	v_cmp_o_f32_e32 vcc_lo, v4, v4
	s_mov_b32 s34, 0
	v_add3_u32 v3, v4, v3, 0x7fff
	s_delay_alu instid0(VALU_DEP_1) | instskip(NEXT) | instid1(VALU_DEP_1)
	v_lshrrev_b32_e32 v3, 16, v3
	v_cndmask_b32_e32 v3, 0x7fc0, v3, vcc_lo
	s_branch .LBB166_1026
.LBB166_1021:
	s_mov_b32 s35, -1
                                        ; implicit-def: $vgpr3
	s_branch .LBB166_1032
.LBB166_1022:
	s_or_saveexec_b32 s35, s35
	v_mov_b32_e32 v4, 0x7f800001
	s_xor_b32 exec_lo, exec_lo, s35
	s_cbranch_execz .LBB166_1005
.LBB166_1023:
	v_cmp_ne_u16_e32 vcc_lo, 0, v3
	v_mov_b32_e32 v4, 0
	s_and_not1_b32 s34, s34, exec_lo
	s_and_b32 s36, vcc_lo, exec_lo
	s_delay_alu instid0(SALU_CYCLE_1)
	s_or_b32 s34, s34, s36
	s_or_b32 exec_lo, exec_lo, s35
	s_and_saveexec_b32 s35, s34
	s_cbranch_execnz .LBB166_1006
	s_branch .LBB166_1007
.LBB166_1024:
	s_mov_b32 s34, -1
                                        ; implicit-def: $vgpr3
	s_branch .LBB166_1029
.LBB166_1025:
	s_mov_b32 s34, -1
                                        ; implicit-def: $vgpr3
.LBB166_1026:
	s_delay_alu instid0(SALU_CYCLE_1)
	s_and_b32 vcc_lo, exec_lo, s34
	s_cbranch_vccz .LBB166_1028
; %bb.1027:
	s_wait_loadcnt 0x0
	global_load_u8 v3, v[0:1], off
	s_wait_loadcnt 0x0
	v_lshlrev_b32_e32 v3, 24, v3
	s_delay_alu instid0(VALU_DEP_1) | instskip(NEXT) | instid1(VALU_DEP_1)
	v_and_b32_e32 v4, 0x7f000000, v3
	v_clz_i32_u32_e32 v5, v4
	v_add_nc_u32_e32 v8, 0x1000000, v4
	v_cmp_ne_u32_e32 vcc_lo, 0, v4
	s_delay_alu instid0(VALU_DEP_3) | instskip(NEXT) | instid1(VALU_DEP_1)
	v_min_u32_e32 v5, 32, v5
	v_sub_nc_u32_e64 v5, v5, 4 clamp
	s_delay_alu instid0(VALU_DEP_1) | instskip(NEXT) | instid1(VALU_DEP_1)
	v_dual_lshlrev_b32 v7, v5, v4 :: v_dual_lshlrev_b32 v5, 23, v5
	v_lshrrev_b32_e32 v7, 4, v7
	s_delay_alu instid0(VALU_DEP_1) | instskip(NEXT) | instid1(VALU_DEP_1)
	v_dual_sub_nc_u32 v5, v7, v5 :: v_dual_ashrrev_i32 v7, 8, v8
	v_add_nc_u32_e32 v5, 0x3c000000, v5
	s_delay_alu instid0(VALU_DEP_1) | instskip(NEXT) | instid1(VALU_DEP_1)
	v_and_or_b32 v5, 0x7f800000, v7, v5
	v_cndmask_b32_e32 v4, 0, v5, vcc_lo
	s_delay_alu instid0(VALU_DEP_1) | instskip(SKIP_1) | instid1(VALU_DEP_2)
	v_and_or_b32 v3, 0x80000000, v3, v4
	v_bfe_u32 v4, v4, 16, 1
	v_cmp_o_f32_e32 vcc_lo, v3, v3
	s_delay_alu instid0(VALU_DEP_2) | instskip(NEXT) | instid1(VALU_DEP_1)
	v_add3_u32 v4, v3, v4, 0x7fff
	v_lshrrev_b32_e32 v4, 16, v4
	s_delay_alu instid0(VALU_DEP_1)
	v_cndmask_b32_e32 v3, 0x7fc0, v4, vcc_lo
.LBB166_1028:
	s_mov_b32 s34, 0
.LBB166_1029:
	s_delay_alu instid0(SALU_CYCLE_1)
	s_and_not1_b32 vcc_lo, exec_lo, s34
	s_cbranch_vccnz .LBB166_1031
; %bb.1030:
	s_wait_loadcnt 0x0
	global_load_u8 v3, v[0:1], off
	s_wait_loadcnt 0x0
	v_lshlrev_b32_e32 v4, 25, v3
	v_lshlrev_b16 v3, 8, v3
	s_delay_alu instid0(VALU_DEP_1) | instskip(NEXT) | instid1(VALU_DEP_3)
	v_and_or_b32 v7, 0x7f00, v3, 0.5
	v_lshrrev_b32_e32 v5, 4, v4
	v_bfe_i32 v3, v3, 0, 16
	s_delay_alu instid0(VALU_DEP_3) | instskip(NEXT) | instid1(VALU_DEP_3)
	v_add_f32_e32 v7, -0.5, v7
	v_or_b32_e32 v5, 0x70000000, v5
	s_delay_alu instid0(VALU_DEP_1) | instskip(SKIP_1) | instid1(VALU_DEP_2)
	v_mul_f32_e32 v5, 0x7800000, v5
	v_cmp_gt_u32_e32 vcc_lo, 0x8000000, v4
	v_cndmask_b32_e32 v4, v5, v7, vcc_lo
	s_delay_alu instid0(VALU_DEP_1) | instskip(SKIP_1) | instid1(VALU_DEP_2)
	v_and_or_b32 v3, 0x80000000, v3, v4
	v_bfe_u32 v4, v4, 16, 1
	v_cmp_o_f32_e32 vcc_lo, v3, v3
	s_delay_alu instid0(VALU_DEP_2) | instskip(NEXT) | instid1(VALU_DEP_1)
	v_add3_u32 v4, v3, v4, 0x7fff
	v_lshrrev_b32_e32 v4, 16, v4
	s_delay_alu instid0(VALU_DEP_1)
	v_cndmask_b32_e32 v3, 0x7fc0, v4, vcc_lo
.LBB166_1031:
	s_mov_b32 s35, 0
	s_mov_b32 s34, -1
.LBB166_1032:
	s_and_not1_b32 vcc_lo, exec_lo, s35
	s_cbranch_vccnz .LBB166_1045
; %bb.1033:
	s_cmp_gt_i32 s0, 14
	s_cbranch_scc0 .LBB166_1036
; %bb.1034:
	s_cmp_eq_u32 s0, 15
	s_cbranch_scc0 .LBB166_1039
; %bb.1035:
	s_wait_loadcnt 0x0
	global_load_u16 v3, v[0:1], off
	s_mov_b32 s34, -1
	s_mov_b32 s33, 0
	s_branch .LBB166_1040
.LBB166_1036:
	s_mov_b32 s35, -1
                                        ; implicit-def: $vgpr3
	s_branch .LBB166_1041
.LBB166_1037:
	s_or_saveexec_b32 s35, s35
	v_mov_b32_e32 v4, 0x7f800001
	s_xor_b32 exec_lo, exec_lo, s35
	s_cbranch_execz .LBB166_1018
.LBB166_1038:
	v_cmp_ne_u16_e32 vcc_lo, 0, v3
	v_mov_b32_e32 v4, 0
	s_and_not1_b32 s34, s34, exec_lo
	s_and_b32 s36, vcc_lo, exec_lo
	s_delay_alu instid0(SALU_CYCLE_1)
	s_or_b32 s34, s34, s36
	s_or_b32 exec_lo, exec_lo, s35
	s_and_saveexec_b32 s35, s34
	s_cbranch_execnz .LBB166_1019
	s_branch .LBB166_1020
.LBB166_1039:
	s_mov_b32 s33, -1
                                        ; implicit-def: $vgpr3
.LBB166_1040:
	s_mov_b32 s35, 0
.LBB166_1041:
	s_delay_alu instid0(SALU_CYCLE_1)
	s_and_b32 vcc_lo, exec_lo, s35
	s_cbranch_vccz .LBB166_1045
; %bb.1042:
	s_cmp_eq_u32 s0, 11
	s_cbranch_scc0 .LBB166_1044
; %bb.1043:
	s_wait_loadcnt 0x0
	global_load_u8 v3, v[0:1], off
	s_mov_b32 s33, 0
	s_mov_b32 s34, -1
	s_wait_loadcnt 0x0
	v_cmp_ne_u16_e32 vcc_lo, 0, v3
	v_cndmask_b32_e64 v3, 0, 1.0, vcc_lo
	s_delay_alu instid0(VALU_DEP_1)
	v_lshrrev_b32_e32 v3, 16, v3
	s_branch .LBB166_1045
.LBB166_1044:
	s_mov_b32 s33, -1
                                        ; implicit-def: $vgpr3
.LBB166_1045:
	s_mov_b32 s35, 0
.LBB166_1046:
	s_delay_alu instid0(SALU_CYCLE_1)
	s_and_b32 vcc_lo, exec_lo, s35
	s_cbranch_vccz .LBB166_1095
; %bb.1047:
	s_cmp_lt_i32 s0, 5
	s_cbranch_scc1 .LBB166_1052
; %bb.1048:
	s_cmp_lt_i32 s0, 8
	s_cbranch_scc1 .LBB166_1053
	;; [unrolled: 3-line block ×3, first 2 shown]
; %bb.1050:
	s_cmp_gt_i32 s0, 9
	s_cbranch_scc0 .LBB166_1055
; %bb.1051:
	global_load_b64 v[4:5], v[0:1], off
	s_mov_b32 s34, 0
	s_wait_loadcnt 0x0
	v_cvt_f32_f64_e32 v3, v[4:5]
	s_delay_alu instid0(VALU_DEP_1) | instskip(SKIP_1) | instid1(VALU_DEP_2)
	v_bfe_u32 v4, v3, 16, 1
	v_cmp_o_f32_e32 vcc_lo, v3, v3
	v_add3_u32 v4, v3, v4, 0x7fff
	s_delay_alu instid0(VALU_DEP_1) | instskip(NEXT) | instid1(VALU_DEP_1)
	v_lshrrev_b32_e32 v4, 16, v4
	v_cndmask_b32_e32 v3, 0x7fc0, v4, vcc_lo
	s_branch .LBB166_1056
.LBB166_1052:
	s_mov_b32 s34, -1
                                        ; implicit-def: $vgpr3
	s_branch .LBB166_1074
.LBB166_1053:
	s_mov_b32 s34, -1
                                        ; implicit-def: $vgpr3
	s_branch .LBB166_1062
.LBB166_1054:
	s_mov_b32 s34, -1
                                        ; implicit-def: $vgpr3
	s_branch .LBB166_1059
.LBB166_1055:
	s_mov_b32 s34, -1
                                        ; implicit-def: $vgpr3
.LBB166_1056:
	s_delay_alu instid0(SALU_CYCLE_1)
	s_and_not1_b32 vcc_lo, exec_lo, s34
	s_cbranch_vccnz .LBB166_1058
; %bb.1057:
	s_wait_loadcnt 0x0
	global_load_b32 v3, v[0:1], off
	s_wait_loadcnt 0x0
	v_bfe_u32 v4, v3, 16, 1
	v_cmp_o_f32_e32 vcc_lo, v3, v3
	s_delay_alu instid0(VALU_DEP_2) | instskip(NEXT) | instid1(VALU_DEP_1)
	v_add3_u32 v4, v3, v4, 0x7fff
	v_lshrrev_b32_e32 v4, 16, v4
	s_delay_alu instid0(VALU_DEP_1)
	v_cndmask_b32_e32 v3, 0x7fc0, v4, vcc_lo
.LBB166_1058:
	s_mov_b32 s34, 0
.LBB166_1059:
	s_delay_alu instid0(SALU_CYCLE_1)
	s_and_not1_b32 vcc_lo, exec_lo, s34
	s_cbranch_vccnz .LBB166_1061
; %bb.1060:
	s_wait_loadcnt 0x0
	global_load_b32 v3, v[0:1], off
	s_wait_loadcnt 0x0
	v_cvt_f32_f16_e32 v4, v3
	v_cmp_o_f16_e32 vcc_lo, v3, v3
	s_delay_alu instid0(VALU_DEP_2) | instskip(NEXT) | instid1(VALU_DEP_1)
	v_bfe_u32 v5, v4, 16, 1
	v_add3_u32 v4, v4, v5, 0x7fff
	s_delay_alu instid0(VALU_DEP_1) | instskip(NEXT) | instid1(VALU_DEP_1)
	v_lshrrev_b32_e32 v4, 16, v4
	v_cndmask_b32_e32 v3, 0x7fc0, v4, vcc_lo
.LBB166_1061:
	s_mov_b32 s34, 0
.LBB166_1062:
	s_delay_alu instid0(SALU_CYCLE_1)
	s_and_not1_b32 vcc_lo, exec_lo, s34
	s_cbranch_vccnz .LBB166_1073
; %bb.1063:
	s_cmp_lt_i32 s0, 6
	s_cbranch_scc1 .LBB166_1066
; %bb.1064:
	s_cmp_gt_i32 s0, 6
	s_cbranch_scc0 .LBB166_1067
; %bb.1065:
	global_load_b64 v[4:5], v[0:1], off
	s_mov_b32 s34, 0
	s_wait_loadcnt 0x0
	v_cvt_f32_f64_e32 v3, v[4:5]
	s_delay_alu instid0(VALU_DEP_1) | instskip(SKIP_1) | instid1(VALU_DEP_2)
	v_bfe_u32 v4, v3, 16, 1
	v_cmp_o_f32_e32 vcc_lo, v3, v3
	v_add3_u32 v4, v3, v4, 0x7fff
	s_delay_alu instid0(VALU_DEP_1) | instskip(NEXT) | instid1(VALU_DEP_1)
	v_lshrrev_b32_e32 v4, 16, v4
	v_cndmask_b32_e32 v3, 0x7fc0, v4, vcc_lo
	s_branch .LBB166_1068
.LBB166_1066:
	s_mov_b32 s34, -1
                                        ; implicit-def: $vgpr3
	s_branch .LBB166_1071
.LBB166_1067:
	s_mov_b32 s34, -1
                                        ; implicit-def: $vgpr3
.LBB166_1068:
	s_delay_alu instid0(SALU_CYCLE_1)
	s_and_not1_b32 vcc_lo, exec_lo, s34
	s_cbranch_vccnz .LBB166_1070
; %bb.1069:
	s_wait_loadcnt 0x0
	global_load_b32 v3, v[0:1], off
	s_wait_loadcnt 0x0
	v_bfe_u32 v4, v3, 16, 1
	v_cmp_o_f32_e32 vcc_lo, v3, v3
	s_delay_alu instid0(VALU_DEP_2) | instskip(NEXT) | instid1(VALU_DEP_1)
	v_add3_u32 v4, v3, v4, 0x7fff
	v_lshrrev_b32_e32 v4, 16, v4
	s_delay_alu instid0(VALU_DEP_1)
	v_cndmask_b32_e32 v3, 0x7fc0, v4, vcc_lo
.LBB166_1070:
	s_mov_b32 s34, 0
.LBB166_1071:
	s_delay_alu instid0(SALU_CYCLE_1)
	s_and_not1_b32 vcc_lo, exec_lo, s34
	s_cbranch_vccnz .LBB166_1073
; %bb.1072:
	s_wait_loadcnt 0x0
	global_load_u16 v3, v[0:1], off
	s_wait_loadcnt 0x0
	v_cvt_f32_f16_e32 v4, v3
	v_cmp_o_f16_e32 vcc_lo, v3, v3
	s_delay_alu instid0(VALU_DEP_2) | instskip(NEXT) | instid1(VALU_DEP_1)
	v_bfe_u32 v5, v4, 16, 1
	v_add3_u32 v4, v4, v5, 0x7fff
	s_delay_alu instid0(VALU_DEP_1) | instskip(NEXT) | instid1(VALU_DEP_1)
	v_lshrrev_b32_e32 v4, 16, v4
	v_cndmask_b32_e32 v3, 0x7fc0, v4, vcc_lo
.LBB166_1073:
	s_mov_b32 s34, 0
.LBB166_1074:
	s_delay_alu instid0(SALU_CYCLE_1)
	s_and_not1_b32 vcc_lo, exec_lo, s34
	s_cbranch_vccnz .LBB166_1094
; %bb.1075:
	s_cmp_lt_i32 s0, 2
	s_cbranch_scc1 .LBB166_1079
; %bb.1076:
	s_cmp_lt_i32 s0, 3
	s_cbranch_scc1 .LBB166_1080
; %bb.1077:
	s_cmp_gt_i32 s0, 3
	s_cbranch_scc0 .LBB166_1081
; %bb.1078:
	global_load_b64 v[4:5], v[0:1], off
	s_mov_b32 s34, 0
	s_wait_loadcnt 0x0
	v_xor_b32_e32 v3, v4, v5
	v_cls_i32_e32 v7, v5
	s_delay_alu instid0(VALU_DEP_2) | instskip(NEXT) | instid1(VALU_DEP_1)
	v_ashrrev_i32_e32 v3, 31, v3
	v_add_nc_u32_e32 v3, 32, v3
	s_delay_alu instid0(VALU_DEP_1) | instskip(NEXT) | instid1(VALU_DEP_1)
	v_add_min_u32_e64 v3, v7, -1, v3
	v_lshlrev_b64_e32 v[4:5], v3, v[4:5]
	v_sub_nc_u32_e32 v3, 32, v3
	s_delay_alu instid0(VALU_DEP_2) | instskip(NEXT) | instid1(VALU_DEP_1)
	v_min_u32_e32 v4, 1, v4
	v_or_b32_e32 v4, v5, v4
	s_delay_alu instid0(VALU_DEP_1) | instskip(NEXT) | instid1(VALU_DEP_1)
	v_cvt_f32_i32_e32 v4, v4
	v_ldexp_f32 v3, v4, v3
	s_delay_alu instid0(VALU_DEP_1) | instskip(NEXT) | instid1(VALU_DEP_1)
	v_bfe_u32 v4, v3, 16, 1
	v_add3_u32 v3, v3, v4, 0x7fff
	s_delay_alu instid0(VALU_DEP_1)
	v_lshrrev_b32_e32 v3, 16, v3
	s_branch .LBB166_1082
.LBB166_1079:
	s_mov_b32 s34, -1
                                        ; implicit-def: $vgpr3
	s_branch .LBB166_1088
.LBB166_1080:
	s_mov_b32 s34, -1
                                        ; implicit-def: $vgpr3
	s_branch .LBB166_1085
.LBB166_1081:
	s_mov_b32 s34, -1
                                        ; implicit-def: $vgpr3
.LBB166_1082:
	s_delay_alu instid0(SALU_CYCLE_1)
	s_and_not1_b32 vcc_lo, exec_lo, s34
	s_cbranch_vccnz .LBB166_1084
; %bb.1083:
	s_wait_loadcnt 0x0
	global_load_b32 v3, v[0:1], off
	s_wait_loadcnt 0x0
	v_cvt_f32_i32_e32 v3, v3
	s_delay_alu instid0(VALU_DEP_1) | instskip(NEXT) | instid1(VALU_DEP_1)
	v_bfe_u32 v4, v3, 16, 1
	v_add3_u32 v3, v3, v4, 0x7fff
	s_delay_alu instid0(VALU_DEP_1)
	v_lshrrev_b32_e32 v3, 16, v3
.LBB166_1084:
	s_mov_b32 s34, 0
.LBB166_1085:
	s_delay_alu instid0(SALU_CYCLE_1)
	s_and_not1_b32 vcc_lo, exec_lo, s34
	s_cbranch_vccnz .LBB166_1087
; %bb.1086:
	s_wait_loadcnt 0x0
	global_load_i16 v3, v[0:1], off
	s_wait_loadcnt 0x0
	v_cvt_f32_i32_e32 v3, v3
	s_delay_alu instid0(VALU_DEP_1) | instskip(NEXT) | instid1(VALU_DEP_1)
	v_bfe_u32 v4, v3, 16, 1
	v_add3_u32 v3, v3, v4, 0x7fff
	s_delay_alu instid0(VALU_DEP_1)
	v_lshrrev_b32_e32 v3, 16, v3
.LBB166_1087:
	s_mov_b32 s34, 0
.LBB166_1088:
	s_delay_alu instid0(SALU_CYCLE_1)
	s_and_not1_b32 vcc_lo, exec_lo, s34
	s_cbranch_vccnz .LBB166_1094
; %bb.1089:
	s_cmp_gt_i32 s0, 0
	s_mov_b32 s0, 0
	s_cbranch_scc0 .LBB166_1091
; %bb.1090:
	s_wait_loadcnt 0x0
	global_load_i8 v3, v[0:1], off
	s_wait_loadcnt 0x0
	v_cvt_f32_i32_e32 v3, v3
	s_delay_alu instid0(VALU_DEP_1) | instskip(NEXT) | instid1(VALU_DEP_1)
	v_bfe_u32 v4, v3, 16, 1
	v_add3_u32 v3, v3, v4, 0x7fff
	s_delay_alu instid0(VALU_DEP_1)
	v_lshrrev_b32_e32 v3, 16, v3
	s_branch .LBB166_1092
.LBB166_1091:
	s_mov_b32 s0, -1
                                        ; implicit-def: $vgpr3
.LBB166_1092:
	s_delay_alu instid0(SALU_CYCLE_1)
	s_and_not1_b32 vcc_lo, exec_lo, s0
	s_cbranch_vccnz .LBB166_1094
; %bb.1093:
	global_load_u8 v0, v[0:1], off
	s_wait_loadcnt 0x0
	v_cvt_f32_ubyte0_e32 v0, v0
	s_delay_alu instid0(VALU_DEP_1) | instskip(NEXT) | instid1(VALU_DEP_1)
	v_bfe_u32 v1, v0, 16, 1
	v_add3_u32 v0, v0, v1, 0x7fff
	s_delay_alu instid0(VALU_DEP_1)
	v_lshrrev_b32_e32 v3, 16, v0
.LBB166_1094:
	s_mov_b32 s34, -1
.LBB166_1095:
	s_delay_alu instid0(SALU_CYCLE_1)
	s_and_not1_b32 vcc_lo, exec_lo, s34
	s_cbranch_vccnz .LBB166_1103
; %bb.1096:
	s_wait_loadcnt 0x0
	v_dual_lshlrev_b32 v0, 16, v2 :: v_dual_lshlrev_b32 v2, 16, v3
	s_and_b32 s34, s12, 0xff
	s_delay_alu instid0(SALU_CYCLE_1) | instskip(NEXT) | instid1(VALU_DEP_1)
	s_cmp_lt_i32 s34, 11
	v_mul_f32_e32 v0, s17, v0
	s_delay_alu instid0(VALU_DEP_1) | instskip(SKIP_1) | instid1(VALU_DEP_2)
	v_bfe_u32 v1, v0, 16, 1
	v_cmp_o_f32_e32 vcc_lo, v0, v0
	v_add3_u32 v1, v0, v1, 0x7fff
	s_delay_alu instid0(VALU_DEP_1) | instskip(NEXT) | instid1(VALU_DEP_1)
	v_and_b32_e32 v1, 0xffff0000, v1
	v_cndmask_b32_e32 v0, 0x7fc00000, v1, vcc_lo
	s_delay_alu instid0(VALU_DEP_1) | instskip(SKIP_1) | instid1(VALU_DEP_2)
	v_mul_f32_e32 v2, v0, v2
	v_mul_lo_u32 v0, v6, s11
	v_bfe_u32 v1, v2, 16, 1
	s_delay_alu instid0(VALU_DEP_1) | instskip(NEXT) | instid1(VALU_DEP_3)
	v_add3_u32 v3, v2, v1, 0x7fff
	v_ashrrev_i32_e32 v1, 31, v0
	v_cmp_o_f32_e32 vcc_lo, v2, v2
	s_delay_alu instid0(VALU_DEP_3) | instskip(NEXT) | instid1(VALU_DEP_3)
	v_lshrrev_b32_e32 v3, 16, v3
	v_add_nc_u64_e32 v[0:1], s[2:3], v[0:1]
	s_delay_alu instid0(VALU_DEP_2)
	v_cndmask_b32_e32 v2, 0x7fc0, v3, vcc_lo
	s_cbranch_scc1 .LBB166_1104
; %bb.1097:
	s_and_b32 s35, 0xffff, s34
	s_delay_alu instid0(SALU_CYCLE_1)
	s_cmp_gt_i32 s35, 25
	s_cbranch_scc0 .LBB166_1105
; %bb.1098:
	s_cmp_gt_i32 s35, 28
	s_cbranch_scc0 .LBB166_1106
; %bb.1099:
	;; [unrolled: 3-line block ×4, first 2 shown]
	s_mov_b32 s37, 0
	s_mov_b32 s0, -1
	s_cmp_eq_u32 s35, 46
	s_mov_b32 s36, 0
	s_cbranch_scc0 .LBB166_1109
; %bb.1102:
	v_and_b32_e32 v3, 0xffff, v2
	s_mov_b32 s36, -1
	s_mov_b32 s0, 0
	global_store_b32 v[0:1], v3, off
	s_branch .LBB166_1109
.LBB166_1103:
	s_mov_b32 s35, 0
	s_mov_b32 s0, s25
	s_branch .LBB166_840
.LBB166_1104:
	s_mov_b32 s35, -1
	s_mov_b32 s36, 0
	s_mov_b32 s0, s25
	s_branch .LBB166_1178
.LBB166_1105:
	s_mov_b32 s37, -1
	s_mov_b32 s36, 0
	s_mov_b32 s0, s25
	s_branch .LBB166_1136
.LBB166_1106:
	s_mov_b32 s37, -1
	s_mov_b32 s36, 0
	s_mov_b32 s0, s25
	s_branch .LBB166_1119
.LBB166_1107:
	s_mov_b32 s37, -1
	s_mov_b32 s36, 0
	s_mov_b32 s0, s25
	s_branch .LBB166_1115
.LBB166_1108:
	s_mov_b32 s37, -1
	s_mov_b32 s36, 0
	s_mov_b32 s0, s25
.LBB166_1109:
	s_and_b32 vcc_lo, exec_lo, s37
	s_cbranch_vccz .LBB166_1114
; %bb.1110:
	s_cmp_eq_u32 s35, 44
	s_mov_b32 s0, -1
	s_cbranch_scc0 .LBB166_1114
; %bb.1111:
	s_wait_xcnt 0x0
	v_and_b32_e32 v3, 0xffff, v2
	v_mov_b32_e32 v4, 0xff
	s_mov_b32 s36, exec_lo
	s_delay_alu instid0(VALU_DEP_2) | instskip(NEXT) | instid1(VALU_DEP_1)
	v_bfe_u32 v5, v3, 7, 8
	v_cmpx_ne_u32_e32 0xff, v5
	s_cbranch_execz .LBB166_1113
; %bb.1112:
	v_dual_lshlrev_b32 v4, 16, v3 :: v_dual_bitop2_b32 v7, 64, v3 bitop3:0x40
	v_lshrrev_b32_e32 v3, 7, v3
	s_delay_alu instid0(VALU_DEP_2) | instskip(NEXT) | instid1(VALU_DEP_3)
	v_and_or_b32 v4, 0x3f0000, v4, v5
	v_cmp_ne_u32_e32 vcc_lo, 0, v7
	s_delay_alu instid0(VALU_DEP_2) | instskip(SKIP_1) | instid1(SALU_CYCLE_1)
	v_cmp_ne_u32_e64 s0, 0, v4
	s_and_b32 s0, vcc_lo, s0
	v_cndmask_b32_e64 v4, 0, 1, s0
	s_delay_alu instid0(VALU_DEP_1)
	v_add_nc_u32_e32 v4, v3, v4
.LBB166_1113:
	s_or_b32 exec_lo, exec_lo, s36
	s_mov_b32 s36, -1
	s_mov_b32 s0, 0
	global_store_b8 v[0:1], v4, off
.LBB166_1114:
	s_mov_b32 s37, 0
.LBB166_1115:
	s_delay_alu instid0(SALU_CYCLE_1)
	s_and_b32 vcc_lo, exec_lo, s37
	s_cbranch_vccz .LBB166_1118
; %bb.1116:
	s_cmp_eq_u32 s35, 29
	s_mov_b32 s0, -1
	s_cbranch_scc0 .LBB166_1118
; %bb.1117:
	s_wait_xcnt 0x0
	v_lshlrev_b32_e32 v3, 16, v2
	s_mov_b32 s36, -1
	s_mov_b32 s0, 0
	s_mov_b32 s37, 0
	s_delay_alu instid0(VALU_DEP_1) | instskip(NEXT) | instid1(VALU_DEP_1)
	v_trunc_f32_e32 v3, v3
	v_mul_f32_e32 v4, 0x2f800000, v3
	s_delay_alu instid0(VALU_DEP_1) | instskip(NEXT) | instid1(VALU_DEP_1)
	v_floor_f32_e32 v4, v4
	v_fmamk_f32 v3, v4, 0xcf800000, v3
	v_cvt_u32_f32_e32 v5, v4
	s_delay_alu instid0(VALU_DEP_2)
	v_cvt_u32_f32_e32 v4, v3
	global_store_b64 v[0:1], v[4:5], off
	s_branch .LBB166_1119
.LBB166_1118:
	s_mov_b32 s37, 0
.LBB166_1119:
	s_delay_alu instid0(SALU_CYCLE_1)
	s_and_b32 vcc_lo, exec_lo, s37
	s_cbranch_vccz .LBB166_1135
; %bb.1120:
	s_cmp_lt_i32 s35, 27
	s_mov_b32 s36, -1
	s_cbranch_scc1 .LBB166_1126
; %bb.1121:
	s_cmp_gt_i32 s35, 27
	s_cbranch_scc0 .LBB166_1123
; %bb.1122:
	s_wait_xcnt 0x0
	v_lshlrev_b32_e32 v3, 16, v2
	s_mov_b32 s36, 0
	s_delay_alu instid0(VALU_DEP_1)
	v_cvt_u32_f32_e32 v3, v3
	global_store_b32 v[0:1], v3, off
.LBB166_1123:
	s_and_not1_b32 vcc_lo, exec_lo, s36
	s_cbranch_vccnz .LBB166_1125
; %bb.1124:
	s_wait_xcnt 0x0
	v_lshlrev_b32_e32 v3, 16, v2
	s_delay_alu instid0(VALU_DEP_1)
	v_cvt_u32_f32_e32 v3, v3
	global_store_b16 v[0:1], v3, off
.LBB166_1125:
	s_mov_b32 s36, 0
.LBB166_1126:
	s_delay_alu instid0(SALU_CYCLE_1)
	s_and_not1_b32 vcc_lo, exec_lo, s36
	s_cbranch_vccnz .LBB166_1134
; %bb.1127:
	s_wait_xcnt 0x0
	v_lshlrev_b32_e32 v5, 16, v2
	v_mov_b32_e32 v7, 0x80
	s_mov_b32 s36, exec_lo
	s_delay_alu instid0(VALU_DEP_2) | instskip(NEXT) | instid1(VALU_DEP_1)
	v_and_b32_e32 v4, 0x7fffffff, v5
	v_cmpx_gt_u32_e32 0x43800000, v4
	s_cbranch_execz .LBB166_1133
; %bb.1128:
	v_and_b32_e32 v3, 0xffff, v2
	v_cmp_lt_u32_e32 vcc_lo, 0x3bffffff, v4
	s_mov_b32 s37, 0
                                        ; implicit-def: $vgpr4
	s_and_saveexec_b32 s38, vcc_lo
	s_delay_alu instid0(SALU_CYCLE_1)
	s_xor_b32 s38, exec_lo, s38
	s_cbranch_execz .LBB166_2069
; %bb.1129:
	v_bfe_u32 v4, v3, 4, 1
	s_mov_b32 s37, exec_lo
	s_delay_alu instid0(VALU_DEP_1) | instskip(NEXT) | instid1(VALU_DEP_1)
	v_add3_u32 v4, v5, v4, 0x487ffff
                                        ; implicit-def: $vgpr5
	v_lshrrev_b32_e32 v4, 20, v4
	s_and_not1_saveexec_b32 s38, s38
	s_cbranch_execnz .LBB166_2070
.LBB166_1130:
	s_or_b32 exec_lo, exec_lo, s38
	v_mov_b32_e32 v7, 0
	s_and_saveexec_b32 s38, s37
.LBB166_1131:
	v_lshrrev_b32_e32 v3, 8, v3
	s_delay_alu instid0(VALU_DEP_1)
	v_and_or_b32 v7, 0x80, v3, v4
.LBB166_1132:
	s_or_b32 exec_lo, exec_lo, s38
.LBB166_1133:
	s_delay_alu instid0(SALU_CYCLE_1)
	s_or_b32 exec_lo, exec_lo, s36
	global_store_b8 v[0:1], v7, off
.LBB166_1134:
	s_mov_b32 s36, -1
.LBB166_1135:
	s_mov_b32 s37, 0
.LBB166_1136:
	s_delay_alu instid0(SALU_CYCLE_1)
	s_and_b32 vcc_lo, exec_lo, s37
	s_cbranch_vccz .LBB166_1177
; %bb.1137:
	s_cmp_gt_i32 s35, 22
	s_mov_b32 s37, -1
	s_cbranch_scc0 .LBB166_1169
; %bb.1138:
	s_cmp_lt_i32 s35, 24
	s_mov_b32 s36, -1
	s_cbranch_scc1 .LBB166_1158
; %bb.1139:
	s_cmp_gt_i32 s35, 24
	s_cbranch_scc0 .LBB166_1147
; %bb.1140:
	s_wait_xcnt 0x0
	v_lshlrev_b32_e32 v5, 16, v2
	v_mov_b32_e32 v7, 0x80
	s_mov_b32 s36, exec_lo
	s_delay_alu instid0(VALU_DEP_2) | instskip(NEXT) | instid1(VALU_DEP_1)
	v_and_b32_e32 v4, 0x7fffffff, v5
	v_cmpx_gt_u32_e32 0x47800000, v4
	s_cbranch_execz .LBB166_1146
; %bb.1141:
	v_and_b32_e32 v3, 0xffff, v2
	v_cmp_lt_u32_e32 vcc_lo, 0x37ffffff, v4
	s_mov_b32 s37, 0
                                        ; implicit-def: $vgpr4
	s_and_saveexec_b32 s38, vcc_lo
	s_delay_alu instid0(SALU_CYCLE_1)
	s_xor_b32 s38, exec_lo, s38
	s_cbranch_execz .LBB166_2222
; %bb.1142:
	v_bfe_u32 v4, v3, 5, 1
	s_mov_b32 s37, exec_lo
	s_delay_alu instid0(VALU_DEP_1) | instskip(NEXT) | instid1(VALU_DEP_1)
	v_add3_u32 v4, v5, v4, 0x88fffff
                                        ; implicit-def: $vgpr5
	v_lshrrev_b32_e32 v4, 21, v4
	s_and_not1_saveexec_b32 s38, s38
	s_cbranch_execnz .LBB166_2223
.LBB166_1143:
	s_or_b32 exec_lo, exec_lo, s38
	v_mov_b32_e32 v7, 0
	s_and_saveexec_b32 s38, s37
.LBB166_1144:
	v_lshrrev_b32_e32 v3, 8, v3
	s_delay_alu instid0(VALU_DEP_1)
	v_and_or_b32 v7, 0x80, v3, v4
.LBB166_1145:
	s_or_b32 exec_lo, exec_lo, s38
.LBB166_1146:
	s_delay_alu instid0(SALU_CYCLE_1)
	s_or_b32 exec_lo, exec_lo, s36
	s_mov_b32 s36, 0
	global_store_b8 v[0:1], v7, off
.LBB166_1147:
	s_and_b32 vcc_lo, exec_lo, s36
	s_cbranch_vccz .LBB166_1157
; %bb.1148:
	s_wait_xcnt 0x0
	v_lshlrev_b32_e32 v5, 16, v2
	v_and_b32_e32 v3, 0xffff, v2
	s_mov_b32 s36, exec_lo
                                        ; implicit-def: $vgpr4
	s_delay_alu instid0(VALU_DEP_2) | instskip(NEXT) | instid1(VALU_DEP_1)
	v_and_b32_e32 v7, 0x7fffffff, v5
	v_cmpx_gt_u32_e32 0x43f00000, v7
	s_xor_b32 s36, exec_lo, s36
	s_cbranch_execz .LBB166_1154
; %bb.1149:
	s_mov_b32 s37, exec_lo
                                        ; implicit-def: $vgpr4
	v_cmpx_lt_u32_e32 0x3c7fffff, v7
	s_xor_b32 s37, exec_lo, s37
; %bb.1150:
	v_bfe_u32 v4, v3, 4, 1
	s_delay_alu instid0(VALU_DEP_1) | instskip(NEXT) | instid1(VALU_DEP_1)
	v_add3_u32 v4, v5, v4, 0x407ffff
	v_and_b32_e32 v5, 0xff00000, v4
	v_lshrrev_b32_e32 v4, 20, v4
	s_delay_alu instid0(VALU_DEP_2) | instskip(NEXT) | instid1(VALU_DEP_2)
	v_cmp_ne_u32_e32 vcc_lo, 0x7f00000, v5
                                        ; implicit-def: $vgpr5
	v_cndmask_b32_e32 v4, 0x7e, v4, vcc_lo
; %bb.1151:
	s_and_not1_saveexec_b32 s37, s37
; %bb.1152:
	v_add_f32_e64 v4, 0x46800000, |v5|
; %bb.1153:
	s_or_b32 exec_lo, exec_lo, s37
                                        ; implicit-def: $vgpr7
.LBB166_1154:
	s_and_not1_saveexec_b32 s36, s36
; %bb.1155:
	v_mov_b32_e32 v4, 0x7f
	v_cmp_lt_u32_e32 vcc_lo, 0x7f800000, v7
	s_delay_alu instid0(VALU_DEP_2)
	v_cndmask_b32_e32 v4, 0x7e, v4, vcc_lo
; %bb.1156:
	s_or_b32 exec_lo, exec_lo, s36
	v_lshrrev_b32_e32 v3, 8, v3
	s_delay_alu instid0(VALU_DEP_1)
	v_and_or_b32 v3, 0x80, v3, v4
	global_store_b8 v[0:1], v3, off
.LBB166_1157:
	s_mov_b32 s36, 0
.LBB166_1158:
	s_delay_alu instid0(SALU_CYCLE_1)
	s_and_not1_b32 vcc_lo, exec_lo, s36
	s_cbranch_vccnz .LBB166_1168
; %bb.1159:
	s_wait_xcnt 0x0
	v_lshlrev_b32_e32 v5, 16, v2
	v_and_b32_e32 v3, 0xffff, v2
	s_mov_b32 s36, exec_lo
                                        ; implicit-def: $vgpr4
	s_delay_alu instid0(VALU_DEP_2) | instskip(NEXT) | instid1(VALU_DEP_1)
	v_and_b32_e32 v7, 0x7fffffff, v5
	v_cmpx_gt_u32_e32 0x47800000, v7
	s_xor_b32 s36, exec_lo, s36
	s_cbranch_execz .LBB166_1165
; %bb.1160:
	s_mov_b32 s37, exec_lo
                                        ; implicit-def: $vgpr4
	v_cmpx_lt_u32_e32 0x387fffff, v7
	s_xor_b32 s37, exec_lo, s37
; %bb.1161:
	v_bfe_u32 v4, v3, 5, 1
	s_delay_alu instid0(VALU_DEP_1) | instskip(NEXT) | instid1(VALU_DEP_1)
	v_add3_u32 v4, v5, v4, 0x80fffff
                                        ; implicit-def: $vgpr5
	v_lshrrev_b32_e32 v4, 21, v4
; %bb.1162:
	s_and_not1_saveexec_b32 s37, s37
; %bb.1163:
	v_add_f32_e64 v4, 0x43000000, |v5|
; %bb.1164:
	s_or_b32 exec_lo, exec_lo, s37
                                        ; implicit-def: $vgpr7
.LBB166_1165:
	s_and_not1_saveexec_b32 s36, s36
; %bb.1166:
	v_mov_b32_e32 v4, 0x7f
	v_cmp_lt_u32_e32 vcc_lo, 0x7f800000, v7
	s_delay_alu instid0(VALU_DEP_2)
	v_cndmask_b32_e32 v4, 0x7c, v4, vcc_lo
; %bb.1167:
	s_or_b32 exec_lo, exec_lo, s36
	v_lshrrev_b32_e32 v3, 8, v3
	s_delay_alu instid0(VALU_DEP_1)
	v_and_or_b32 v3, 0x80, v3, v4
	global_store_b8 v[0:1], v3, off
.LBB166_1168:
	s_mov_b32 s37, 0
	s_mov_b32 s36, -1
.LBB166_1169:
	s_and_not1_b32 vcc_lo, exec_lo, s37
	s_cbranch_vccnz .LBB166_1177
; %bb.1170:
	s_cmp_gt_i32 s35, 14
	s_mov_b32 s37, -1
	s_cbranch_scc0 .LBB166_1174
; %bb.1171:
	s_cmp_eq_u32 s35, 15
	s_mov_b32 s0, -1
	s_cbranch_scc0 .LBB166_1173
; %bb.1172:
	s_mov_b32 s36, -1
	s_mov_b32 s0, 0
	global_store_b16 v[0:1], v2, off
.LBB166_1173:
	s_mov_b32 s37, 0
.LBB166_1174:
	s_delay_alu instid0(SALU_CYCLE_1)
	s_and_b32 vcc_lo, exec_lo, s37
	s_cbranch_vccz .LBB166_1177
; %bb.1175:
	s_cmp_eq_u32 s35, 11
	s_mov_b32 s0, -1
	s_cbranch_scc0 .LBB166_1177
; %bb.1176:
	s_wait_xcnt 0x0
	v_and_b32_e32 v3, 0x7fff, v2
	s_mov_b32 s0, 0
	s_mov_b32 s36, -1
	s_delay_alu instid0(VALU_DEP_1)
	v_cmp_ne_u16_e32 vcc_lo, 0, v3
	v_cndmask_b32_e64 v3, 0, 1, vcc_lo
	global_store_b8 v[0:1], v3, off
.LBB166_1177:
	s_mov_b32 s35, 0
.LBB166_1178:
	s_delay_alu instid0(SALU_CYCLE_1)
	s_and_b32 vcc_lo, exec_lo, s35
	s_cbranch_vccz .LBB166_1217
; %bb.1179:
	s_and_b32 s34, 0xffff, s34
	s_mov_b32 s35, -1
	s_cmp_lt_i32 s34, 5
	s_cbranch_scc1 .LBB166_1200
; %bb.1180:
	s_cmp_lt_i32 s34, 8
	s_cbranch_scc1 .LBB166_1190
; %bb.1181:
	;; [unrolled: 3-line block ×3, first 2 shown]
	s_cmp_gt_i32 s34, 9
	s_cbranch_scc0 .LBB166_1184
; %bb.1183:
	s_wait_xcnt 0x0
	v_dual_mov_b32 v10, 0 :: v_dual_lshlrev_b32 v3, 16, v2
	s_mov_b32 s35, 0
	s_delay_alu instid0(VALU_DEP_1) | instskip(NEXT) | instid1(VALU_DEP_2)
	v_cvt_f64_f32_e32 v[8:9], v3
	v_mov_b32_e32 v11, v10
	global_store_b128 v[0:1], v[8:11], off
.LBB166_1184:
	s_and_not1_b32 vcc_lo, exec_lo, s35
	s_cbranch_vccnz .LBB166_1186
; %bb.1185:
	s_wait_xcnt 0x0
	v_dual_mov_b32 v5, 0 :: v_dual_lshlrev_b32 v4, 16, v2
	global_store_b64 v[0:1], v[4:5], off
.LBB166_1186:
	s_mov_b32 s35, 0
.LBB166_1187:
	s_delay_alu instid0(SALU_CYCLE_1)
	s_and_not1_b32 vcc_lo, exec_lo, s35
	s_cbranch_vccnz .LBB166_1189
; %bb.1188:
	s_wait_xcnt 0x0
	v_lshlrev_b32_e32 v3, 16, v2
	s_delay_alu instid0(VALU_DEP_1) | instskip(NEXT) | instid1(VALU_DEP_1)
	v_cvt_f16_f32_e32 v3, v3
	v_and_b32_e32 v3, 0xffff, v3
	global_store_b32 v[0:1], v3, off
.LBB166_1189:
	s_mov_b32 s35, 0
.LBB166_1190:
	s_delay_alu instid0(SALU_CYCLE_1)
	s_and_not1_b32 vcc_lo, exec_lo, s35
	s_cbranch_vccnz .LBB166_1199
; %bb.1191:
	s_cmp_lt_i32 s34, 6
	s_mov_b32 s35, -1
	s_cbranch_scc1 .LBB166_1197
; %bb.1192:
	s_cmp_gt_i32 s34, 6
	s_cbranch_scc0 .LBB166_1194
; %bb.1193:
	s_wait_xcnt 0x0
	v_lshlrev_b32_e32 v3, 16, v2
	s_mov_b32 s35, 0
	s_delay_alu instid0(VALU_DEP_1)
	v_cvt_f64_f32_e32 v[4:5], v3
	global_store_b64 v[0:1], v[4:5], off
.LBB166_1194:
	s_and_not1_b32 vcc_lo, exec_lo, s35
	s_cbranch_vccnz .LBB166_1196
; %bb.1195:
	s_wait_xcnt 0x0
	v_lshlrev_b32_e32 v3, 16, v2
	global_store_b32 v[0:1], v3, off
.LBB166_1196:
	s_mov_b32 s35, 0
.LBB166_1197:
	s_delay_alu instid0(SALU_CYCLE_1)
	s_and_not1_b32 vcc_lo, exec_lo, s35
	s_cbranch_vccnz .LBB166_1199
; %bb.1198:
	s_wait_xcnt 0x0
	v_lshlrev_b32_e32 v3, 16, v2
	s_delay_alu instid0(VALU_DEP_1)
	v_cvt_f16_f32_e32 v3, v3
	global_store_b16 v[0:1], v3, off
.LBB166_1199:
	s_mov_b32 s35, 0
.LBB166_1200:
	s_delay_alu instid0(SALU_CYCLE_1)
	s_and_not1_b32 vcc_lo, exec_lo, s35
	s_cbranch_vccnz .LBB166_1216
; %bb.1201:
	s_cmp_lt_i32 s34, 2
	s_mov_b32 s35, -1
	s_cbranch_scc1 .LBB166_1211
; %bb.1202:
	s_cmp_lt_i32 s34, 3
	s_cbranch_scc1 .LBB166_1208
; %bb.1203:
	s_cmp_gt_i32 s34, 3
	s_cbranch_scc0 .LBB166_1205
; %bb.1204:
	s_wait_xcnt 0x0
	v_lshlrev_b32_e32 v3, 16, v2
	s_mov_b32 s35, 0
	s_delay_alu instid0(VALU_DEP_1) | instskip(NEXT) | instid1(VALU_DEP_1)
	v_trunc_f32_e32 v3, v3
	v_mul_f32_e64 v4, 0x2f800000, |v3|
	s_delay_alu instid0(VALU_DEP_1) | instskip(SKIP_1) | instid1(VALU_DEP_2)
	v_floor_f32_e32 v5, v4
	v_ashrrev_i32_e32 v4, 31, v3
	v_fma_f32 v7, 0xcf800000, v5, |v3|
	v_cvt_u32_f32_e32 v3, v5
	s_delay_alu instid0(VALU_DEP_3) | instskip(NEXT) | instid1(VALU_DEP_3)
	v_mov_b32_e32 v5, v4
	v_cvt_u32_f32_e32 v7, v7
	s_delay_alu instid0(VALU_DEP_3) | instskip(NEXT) | instid1(VALU_DEP_2)
	v_xor_b32_e32 v9, v3, v4
	v_xor_b32_e32 v8, v7, v4
	s_delay_alu instid0(VALU_DEP_1)
	v_sub_nc_u64_e32 v[4:5], v[8:9], v[4:5]
	global_store_b64 v[0:1], v[4:5], off
.LBB166_1205:
	s_and_not1_b32 vcc_lo, exec_lo, s35
	s_cbranch_vccnz .LBB166_1207
; %bb.1206:
	s_wait_xcnt 0x0
	v_lshlrev_b32_e32 v3, 16, v2
	s_delay_alu instid0(VALU_DEP_1)
	v_cvt_i32_f32_e32 v3, v3
	global_store_b32 v[0:1], v3, off
.LBB166_1207:
	s_mov_b32 s35, 0
.LBB166_1208:
	s_delay_alu instid0(SALU_CYCLE_1)
	s_and_not1_b32 vcc_lo, exec_lo, s35
	s_cbranch_vccnz .LBB166_1210
; %bb.1209:
	s_wait_xcnt 0x0
	v_lshlrev_b32_e32 v3, 16, v2
	s_delay_alu instid0(VALU_DEP_1)
	v_cvt_i32_f32_e32 v3, v3
	global_store_b16 v[0:1], v3, off
.LBB166_1210:
	s_mov_b32 s35, 0
.LBB166_1211:
	s_delay_alu instid0(SALU_CYCLE_1)
	s_and_not1_b32 vcc_lo, exec_lo, s35
	s_cbranch_vccnz .LBB166_1216
; %bb.1212:
	s_wait_xcnt 0x0
	v_lshlrev_b32_e32 v2, 16, v2
	s_cmp_gt_i32 s34, 0
	s_mov_b32 s34, -1
	s_cbranch_scc0 .LBB166_1214
; %bb.1213:
	s_delay_alu instid0(VALU_DEP_1)
	v_cvt_i32_f32_e32 v3, v2
	s_mov_b32 s34, 0
	global_store_b8 v[0:1], v3, off
.LBB166_1214:
	s_and_not1_b32 vcc_lo, exec_lo, s34
	s_cbranch_vccnz .LBB166_1216
; %bb.1215:
	v_trunc_f32_e32 v2, v2
	s_wait_xcnt 0x0
	s_delay_alu instid0(VALU_DEP_1) | instskip(NEXT) | instid1(VALU_DEP_1)
	v_mul_f32_e64 v3, 0x2f800000, |v2|
	v_floor_f32_e32 v3, v3
	s_delay_alu instid0(VALU_DEP_1) | instskip(SKIP_1) | instid1(VALU_DEP_2)
	v_fma_f32 v3, 0xcf800000, v3, |v2|
	v_ashrrev_i32_e32 v2, 31, v2
	v_cvt_u32_f32_e32 v3, v3
	s_delay_alu instid0(VALU_DEP_1) | instskip(NEXT) | instid1(VALU_DEP_1)
	v_xor_b32_e32 v3, v3, v2
	v_sub_nc_u32_e32 v2, v3, v2
	global_store_b8 v[0:1], v2, off
.LBB166_1216:
	s_mov_b32 s36, -1
.LBB166_1217:
	s_delay_alu instid0(SALU_CYCLE_1)
	s_and_not1_b32 vcc_lo, exec_lo, s36
	s_cbranch_vccnz .LBB166_1228
; %bb.1218:
	v_add_nc_u32_e32 v6, 0x80, v6
	s_mov_b32 s35, -1
.LBB166_1219:
	s_and_not1_b32 s34, s25, exec_lo
	s_and_b32 s0, s0, exec_lo
	s_and_not1_b32 s36, s26, exec_lo
	s_and_b32 s33, s33, exec_lo
	s_or_b32 s34, s34, s0
	s_or_b32 s33, s36, s33
	s_and_not1_b32 s0, s27, exec_lo
	s_and_b32 s30, s30, exec_lo
	s_and_not1_b32 s36, s24, exec_lo
	s_and_b32 s31, s31, exec_lo
	s_or_b32 s30, s0, s30
	s_or_b32 s0, s36, s31
	s_or_not1_b32 s31, s35, exec_lo
.LBB166_1220:
	s_wait_xcnt 0x0
	s_or_b32 exec_lo, exec_lo, s29
	s_mov_b32 s35, 0
	s_and_saveexec_b32 s29, s31
	s_cbranch_execz .LBB166_1243
; %bb.1221:
	v_cmp_gt_i32_e32 vcc_lo, s18, v6
	s_mov_b32 s31, 0
	s_mov_b32 s35, s0
	s_and_saveexec_b32 s18, vcc_lo
	s_cbranch_execz .LBB166_1242
; %bb.1222:
	s_and_b32 s36, s15, 0xff
	s_delay_alu instid0(SALU_CYCLE_1)
	s_cmp_lt_i32 s36, 23
	s_cbranch_scc1 .LBB166_1226
; %bb.1223:
	s_and_b32 s37, 0xffff, s36
	s_delay_alu instid0(SALU_CYCLE_1)
	s_cmp_gt_i32 s37, 43
	s_cbranch_scc0 .LBB166_1227
; %bb.1224:
	s_cmp_gt_i32 s37, 45
	s_cbranch_scc0 .LBB166_1229
; %bb.1225:
	s_cmp_lg_u32 s37, 46
	s_mov_b32 s38, 0
	s_cselect_b32 s31, -1, 0
	s_and_not1_b32 s35, s0, exec_lo
	s_and_b32 s39, s31, exec_lo
	s_mov_b32 s31, -1
	s_or_b32 s35, s35, s39
	s_branch .LBB166_1230
.LBB166_1226:
	s_mov_b32 s37, -1
	s_mov_b32 s35, s0
	s_branch .LBB166_1236
.LBB166_1227:
	s_mov_b32 s38, -1
	s_mov_b32 s35, s0
	s_branch .LBB166_1233
.LBB166_1228:
	s_mov_b32 s35, 0
	s_branch .LBB166_840
.LBB166_1229:
	s_mov_b32 s38, -1
	s_mov_b32 s35, s0
.LBB166_1230:
	s_and_not1_b32 vcc_lo, exec_lo, s38
	s_cbranch_vccnz .LBB166_1232
; %bb.1231:
	s_cmp_eq_u32 s37, 44
	s_cselect_b32 s31, -1, 0
	s_cmp_lg_u32 s37, 44
	s_cselect_b32 s38, -1, 0
	s_and_not1_b32 s35, s35, exec_lo
	s_and_b32 s38, s38, exec_lo
	s_delay_alu instid0(SALU_CYCLE_1)
	s_or_b32 s35, s35, s38
.LBB166_1232:
	s_mov_b32 s38, 0
.LBB166_1233:
	s_delay_alu instid0(SALU_CYCLE_1)
	s_and_b32 vcc_lo, exec_lo, s38
	s_cbranch_vccz .LBB166_1235
; %bb.1234:
	s_cmp_lt_i32 s37, 30
	s_cselect_b32 s31, -1, 0
	s_cmp_gt_i32 s37, 29
	s_cselect_b32 s37, -1, 0
	s_and_not1_b32 s35, s35, exec_lo
	s_and_b32 s37, s37, exec_lo
	s_delay_alu instid0(SALU_CYCLE_1)
	s_or_b32 s35, s35, s37
.LBB166_1235:
	s_mov_b32 s37, 0
.LBB166_1236:
	s_delay_alu instid0(SALU_CYCLE_1)
	s_and_b32 vcc_lo, exec_lo, s37
	s_cbranch_vccz .LBB166_1241
; %bb.1237:
	s_and_b32 s36, 0xffff, s36
	s_mov_b32 s37, -1
	s_cmp_gt_i32 s36, 14
	s_cbranch_scc0 .LBB166_1239
; %bb.1238:
	s_cmp_eq_u32 s36, 15
	s_cselect_b32 s31, -1, 0
	s_cmp_lg_u32 s36, 15
	s_cselect_b32 s37, -1, 0
	s_and_not1_b32 s35, s35, exec_lo
	s_and_b32 s38, s37, exec_lo
	s_mov_b32 s37, 0
	s_or_b32 s35, s35, s38
.LBB166_1239:
	s_and_not1_b32 vcc_lo, exec_lo, s37
	s_cbranch_vccnz .LBB166_1241
; %bb.1240:
	s_cmp_lt_i32 s36, 12
	s_cselect_b32 s31, -1, 0
	s_cmp_gt_i32 s36, 11
	s_cselect_b32 s36, -1, 0
	s_and_not1_b32 s35, s35, exec_lo
	s_and_b32 s36, s36, exec_lo
	s_delay_alu instid0(SALU_CYCLE_1)
	s_or_b32 s35, s35, s36
.LBB166_1241:
	s_and_not1_b32 s36, s0, exec_lo
	s_and_b32 s35, s35, exec_lo
	s_and_b32 s31, s31, exec_lo
	s_or_b32 s35, s36, s35
.LBB166_1242:
	s_or_b32 exec_lo, exec_lo, s18
	s_delay_alu instid0(SALU_CYCLE_1)
	s_and_not1_b32 s0, s0, exec_lo
	s_and_b32 s18, s35, exec_lo
	s_and_b32 s35, s31, exec_lo
	s_or_b32 s0, s0, s18
.LBB166_1243:
	s_or_b32 exec_lo, exec_lo, s29
	s_delay_alu instid0(SALU_CYCLE_1)
	s_and_not1_b32 s18, s25, exec_lo
	s_and_b32 s25, s34, exec_lo
	s_and_not1_b32 s27, s27, exec_lo
	s_or_b32 s25, s18, s25
	s_and_not1_b32 s18, s26, exec_lo
	s_and_b32 s26, s33, exec_lo
	s_and_b32 s29, s30, exec_lo
	s_or_b32 s26, s18, s26
	s_and_not1_b32 s18, s24, exec_lo
	s_and_b32 s24, s0, exec_lo
	s_or_b32 s27, s27, s29
	s_and_b32 s0, s35, exec_lo
	s_or_b32 s24, s18, s24
.LBB166_1244:
	s_or_b32 exec_lo, exec_lo, s28
	s_delay_alu instid0(SALU_CYCLE_1)
	s_and_not1_b32 s18, s19, exec_lo
	s_and_b32 s19, s25, exec_lo
	s_and_not1_b32 s21, s21, exec_lo
	s_or_b32 s19, s18, s19
	s_and_not1_b32 s18, s20, exec_lo
	s_and_b32 s20, s26, exec_lo
	s_and_b32 s25, s27, exec_lo
	s_or_b32 s20, s18, s20
	s_and_not1_b32 s18, s22, exec_lo
	s_and_b32 s22, s24, exec_lo
	s_or_b32 s21, s21, s25
	s_and_b32 s24, s0, exec_lo
	s_or_b32 s22, s18, s22
.LBB166_1245:
	s_or_b32 exec_lo, exec_lo, s23
	s_mov_b32 s25, 0
	s_mov_b32 s18, 0
	s_and_saveexec_b32 s0, s22
	s_cbranch_execnz .LBB166_1260
.LBB166_1246:
	s_or_b32 exec_lo, exec_lo, s0
	s_mov_b32 s26, 0
	s_mov_b32 s23, 0
                                        ; implicit-def: $sgpr0
                                        ; implicit-def: $vgpr0_vgpr1
                                        ; implicit-def: $vgpr2
	s_and_saveexec_b32 s22, s24
	s_cbranch_execz .LBB166_1254
; %bb.1247:
	v_mul_lo_u32 v0, v6, s8
	s_and_b32 s0, s13, 0xff
	s_delay_alu instid0(SALU_CYCLE_1) | instskip(NEXT) | instid1(VALU_DEP_1)
	s_cmp_lt_i32 s0, 11
	v_ashrrev_i32_e32 v1, 31, v0
	s_delay_alu instid0(VALU_DEP_1)
	v_add_nc_u64_e32 v[0:1], s[4:5], v[0:1]
	s_cbranch_scc1 .LBB166_1257
; %bb.1248:
	s_and_b32 s23, 0xffff, s0
	s_delay_alu instid0(SALU_CYCLE_1)
	s_cmp_gt_i32 s23, 25
	s_cbranch_scc0 .LBB166_1258
; %bb.1249:
	s_cmp_gt_i32 s23, 28
	s_cbranch_scc0 .LBB166_1259
; %bb.1250:
	s_cmp_gt_i32 s23, 43
	s_cbranch_scc0 .LBB166_1261
; %bb.1251:
	s_cmp_gt_i32 s23, 45
	s_cbranch_scc0 .LBB166_1262
; %bb.1252:
	s_cmp_eq_u32 s23, 46
	s_mov_b32 s27, 0
	s_cbranch_scc0 .LBB166_1263
; %bb.1253:
	s_wait_loadcnt 0x0
	global_load_b32 v2, v[0:1], off
	s_mov_b32 s24, 0
	s_mov_b32 s26, -1
	s_branch .LBB166_1265
.LBB166_1254:
	s_or_b32 exec_lo, exec_lo, s22
	s_and_saveexec_b32 s22, s21
	s_cbranch_execnz .LBB166_1328
.LBB166_1255:
	s_or_b32 exec_lo, exec_lo, s22
	s_and_saveexec_b32 s21, s25
	s_delay_alu instid0(SALU_CYCLE_1)
	s_xor_b32 s21, exec_lo, s21
	s_cbranch_execz .LBB166_1329
.LBB166_1256:
	s_wait_loadcnt 0x0
	global_load_u8 v2, v[0:1], off
	s_or_b32 s23, s23, exec_lo
	s_wait_loadcnt 0x0
	v_cmp_ne_u16_e32 vcc_lo, 0, v2
	v_cndmask_b32_e64 v2, 0, 1.0, vcc_lo
	s_delay_alu instid0(VALU_DEP_1)
	v_lshrrev_b32_e32 v2, 16, v2
	s_wait_xcnt 0x0
	s_or_b32 exec_lo, exec_lo, s21
	s_and_saveexec_b32 s21, s26
	s_cbranch_execz .LBB166_1375
	s_branch .LBB166_1330
.LBB166_1257:
	s_mov_b32 s27, -1
	s_mov_b32 s24, s21
                                        ; implicit-def: $vgpr2
	s_branch .LBB166_1327
.LBB166_1258:
	s_mov_b32 s24, s21
                                        ; implicit-def: $vgpr2
	s_cbranch_execnz .LBB166_1294
	s_branch .LBB166_1326
.LBB166_1259:
	s_mov_b32 s27, -1
	s_mov_b32 s24, s21
                                        ; implicit-def: $vgpr2
	s_branch .LBB166_1275
.LBB166_1260:
	s_mov_b32 s18, exec_lo
	s_and_not1_b32 s24, s24, exec_lo
	s_trap 2
	s_branch .LBB166_1246
.LBB166_1261:
	s_mov_b32 s27, -1
	s_mov_b32 s24, s21
                                        ; implicit-def: $vgpr2
	s_branch .LBB166_1270
.LBB166_1262:
	s_mov_b32 s27, -1
	s_mov_b32 s24, s21
	s_branch .LBB166_1264
.LBB166_1263:
	s_mov_b32 s24, -1
.LBB166_1264:
                                        ; implicit-def: $vgpr2
.LBB166_1265:
	s_and_b32 vcc_lo, exec_lo, s27
	s_cbranch_vccz .LBB166_1269
; %bb.1266:
	s_cmp_eq_u32 s23, 44
	s_cbranch_scc0 .LBB166_1268
; %bb.1267:
	s_wait_loadcnt 0x0
	global_load_u8 v2, v[0:1], off
	s_mov_b32 s24, 0
	s_mov_b32 s26, -1
	s_wait_loadcnt 0x0
	v_lshlrev_b32_e32 v3, 23, v2
	v_cmp_ne_u32_e32 vcc_lo, 0xff, v2
	s_delay_alu instid0(VALU_DEP_2) | instskip(SKIP_1) | instid1(VALU_DEP_2)
	v_cndmask_b32_e32 v3, 0x7f800001, v3, vcc_lo
	v_cmp_ne_u32_e32 vcc_lo, 0, v2
	v_cndmask_b32_e32 v2, 0x400000, v3, vcc_lo
	s_delay_alu instid0(VALU_DEP_1) | instskip(NEXT) | instid1(VALU_DEP_1)
	v_add_nc_u32_e32 v3, 0x7fff, v2
	v_lshrrev_b32_e32 v3, 16, v3
	v_cmp_o_f32_e32 vcc_lo, v2, v2
	s_delay_alu instid0(VALU_DEP_2)
	v_cndmask_b32_e32 v2, 0x7fc0, v3, vcc_lo
	s_branch .LBB166_1269
.LBB166_1268:
	s_mov_b32 s24, -1
                                        ; implicit-def: $vgpr2
.LBB166_1269:
	s_mov_b32 s27, 0
.LBB166_1270:
	s_delay_alu instid0(SALU_CYCLE_1)
	s_and_b32 vcc_lo, exec_lo, s27
	s_cbranch_vccz .LBB166_1274
; %bb.1271:
	s_cmp_eq_u32 s23, 29
	s_cbranch_scc0 .LBB166_1273
; %bb.1272:
	s_wait_loadcnt 0x0
	global_load_b64 v[2:3], v[0:1], off
	s_mov_b32 s24, 0
	s_mov_b32 s26, -1
	s_mov_b32 s27, 0
	s_wait_loadcnt 0x0
	v_clz_i32_u32_e32 v4, v3
	s_delay_alu instid0(VALU_DEP_1) | instskip(NEXT) | instid1(VALU_DEP_1)
	v_min_u32_e32 v4, 32, v4
	v_lshlrev_b64_e32 v[2:3], v4, v[2:3]
	s_delay_alu instid0(VALU_DEP_1) | instskip(NEXT) | instid1(VALU_DEP_1)
	v_min_u32_e32 v2, 1, v2
	v_dual_sub_nc_u32 v3, 32, v4 :: v_dual_bitop2_b32 v2, v3, v2 bitop3:0x54
	s_delay_alu instid0(VALU_DEP_1) | instskip(NEXT) | instid1(VALU_DEP_1)
	v_cvt_f32_u32_e32 v2, v2
	v_ldexp_f32 v2, v2, v3
	s_delay_alu instid0(VALU_DEP_1) | instskip(NEXT) | instid1(VALU_DEP_1)
	v_bfe_u32 v3, v2, 16, 1
	v_add3_u32 v2, v2, v3, 0x7fff
	s_delay_alu instid0(VALU_DEP_1)
	v_lshrrev_b32_e32 v2, 16, v2
	s_branch .LBB166_1275
.LBB166_1273:
	s_mov_b32 s24, -1
                                        ; implicit-def: $vgpr2
.LBB166_1274:
	s_mov_b32 s27, 0
.LBB166_1275:
	s_delay_alu instid0(SALU_CYCLE_1)
	s_and_b32 vcc_lo, exec_lo, s27
	s_cbranch_vccz .LBB166_1293
; %bb.1276:
	s_cmp_lt_i32 s23, 27
	s_cbranch_scc1 .LBB166_1279
; %bb.1277:
	s_cmp_gt_i32 s23, 27
	s_cbranch_scc0 .LBB166_1280
; %bb.1278:
	s_wait_loadcnt 0x0
	global_load_b32 v2, v[0:1], off
	s_mov_b32 s26, 0
	s_wait_loadcnt 0x0
	v_cvt_f32_u32_e32 v2, v2
	s_delay_alu instid0(VALU_DEP_1) | instskip(NEXT) | instid1(VALU_DEP_1)
	v_bfe_u32 v3, v2, 16, 1
	v_add3_u32 v2, v2, v3, 0x7fff
	s_delay_alu instid0(VALU_DEP_1)
	v_lshrrev_b32_e32 v2, 16, v2
	s_branch .LBB166_1281
.LBB166_1279:
	s_mov_b32 s26, -1
                                        ; implicit-def: $vgpr2
	s_branch .LBB166_1284
.LBB166_1280:
	s_mov_b32 s26, -1
                                        ; implicit-def: $vgpr2
.LBB166_1281:
	s_delay_alu instid0(SALU_CYCLE_1)
	s_and_not1_b32 vcc_lo, exec_lo, s26
	s_cbranch_vccnz .LBB166_1283
; %bb.1282:
	s_wait_loadcnt 0x0
	global_load_u16 v2, v[0:1], off
	s_wait_loadcnt 0x0
	v_cvt_f32_u32_e32 v2, v2
	s_delay_alu instid0(VALU_DEP_1) | instskip(NEXT) | instid1(VALU_DEP_1)
	v_bfe_u32 v3, v2, 16, 1
	v_add3_u32 v2, v2, v3, 0x7fff
	s_delay_alu instid0(VALU_DEP_1)
	v_lshrrev_b32_e32 v2, 16, v2
.LBB166_1283:
	s_mov_b32 s26, 0
.LBB166_1284:
	s_delay_alu instid0(SALU_CYCLE_1)
	s_and_not1_b32 vcc_lo, exec_lo, s26
	s_cbranch_vccnz .LBB166_1292
; %bb.1285:
	s_wait_loadcnt 0x0
	global_load_u8 v2, v[0:1], off
	s_mov_b32 s26, 0
	s_mov_b32 s27, exec_lo
	s_wait_loadcnt 0x0
	v_cmpx_lt_i16_e32 0x7f, v2
	s_xor_b32 s27, exec_lo, s27
	s_cbranch_execz .LBB166_1305
; %bb.1286:
	s_mov_b32 s26, -1
	s_mov_b32 s28, exec_lo
	v_cmpx_eq_u16_e32 0x80, v2
; %bb.1287:
	s_xor_b32 s26, exec_lo, -1
; %bb.1288:
	s_or_b32 exec_lo, exec_lo, s28
	s_delay_alu instid0(SALU_CYCLE_1)
	s_and_b32 s26, s26, exec_lo
	s_or_saveexec_b32 s27, s27
	v_mov_b32_e32 v3, 0x7f800001
	s_xor_b32 exec_lo, exec_lo, s27
	s_cbranch_execnz .LBB166_1306
.LBB166_1289:
	s_or_b32 exec_lo, exec_lo, s27
	s_and_saveexec_b32 s27, s26
	s_cbranch_execz .LBB166_1291
.LBB166_1290:
	v_and_b32_e32 v3, 0xffff, v2
	s_delay_alu instid0(VALU_DEP_1) | instskip(SKIP_1) | instid1(VALU_DEP_2)
	v_and_b32_e32 v4, 7, v3
	v_bfe_u32 v8, v3, 3, 4
	v_clz_i32_u32_e32 v5, v4
	s_delay_alu instid0(VALU_DEP_2) | instskip(NEXT) | instid1(VALU_DEP_2)
	v_cmp_eq_u32_e32 vcc_lo, 0, v8
	v_min_u32_e32 v5, 32, v5
	s_delay_alu instid0(VALU_DEP_1) | instskip(NEXT) | instid1(VALU_DEP_1)
	v_subrev_nc_u32_e32 v7, 28, v5
	v_dual_lshlrev_b32 v3, v7, v3 :: v_dual_sub_nc_u32 v5, 29, v5
	s_delay_alu instid0(VALU_DEP_1) | instskip(NEXT) | instid1(VALU_DEP_2)
	v_dual_lshlrev_b32 v2, 24, v2 :: v_dual_bitop2_b32 v3, 7, v3 bitop3:0x40
	v_cndmask_b32_e32 v5, v8, v5, vcc_lo
	s_delay_alu instid0(VALU_DEP_2) | instskip(NEXT) | instid1(VALU_DEP_3)
	v_cndmask_b32_e32 v3, v4, v3, vcc_lo
	v_and_b32_e32 v2, 0x80000000, v2
	s_delay_alu instid0(VALU_DEP_3) | instskip(NEXT) | instid1(VALU_DEP_3)
	v_lshl_add_u32 v4, v5, 23, 0x3b800000
	v_lshlrev_b32_e32 v3, 20, v3
	s_delay_alu instid0(VALU_DEP_1)
	v_or3_b32 v3, v2, v4, v3
.LBB166_1291:
	s_or_b32 exec_lo, exec_lo, s27
	s_delay_alu instid0(VALU_DEP_1) | instskip(SKIP_1) | instid1(VALU_DEP_2)
	v_bfe_u32 v2, v3, 16, 1
	v_cmp_o_f32_e32 vcc_lo, v3, v3
	v_add3_u32 v2, v3, v2, 0x7fff
	s_delay_alu instid0(VALU_DEP_1) | instskip(NEXT) | instid1(VALU_DEP_1)
	v_lshrrev_b32_e32 v2, 16, v2
	v_cndmask_b32_e32 v2, 0x7fc0, v2, vcc_lo
.LBB166_1292:
	s_mov_b32 s26, -1
.LBB166_1293:
	s_branch .LBB166_1326
.LBB166_1294:
	s_cmp_gt_i32 s23, 22
	s_cbranch_scc0 .LBB166_1304
; %bb.1295:
	s_cmp_lt_i32 s23, 24
	s_cbranch_scc1 .LBB166_1307
; %bb.1296:
	s_cmp_gt_i32 s23, 24
	s_cbranch_scc0 .LBB166_1308
; %bb.1297:
	s_wait_loadcnt 0x0
	global_load_u8 v2, v[0:1], off
	s_mov_b32 s26, exec_lo
	s_wait_loadcnt 0x0
	v_cmpx_lt_i16_e32 0x7f, v2
	s_xor_b32 s26, exec_lo, s26
	s_cbranch_execz .LBB166_1320
; %bb.1298:
	s_mov_b32 s25, -1
	s_mov_b32 s27, exec_lo
	v_cmpx_eq_u16_e32 0x80, v2
; %bb.1299:
	s_xor_b32 s25, exec_lo, -1
; %bb.1300:
	s_or_b32 exec_lo, exec_lo, s27
	s_delay_alu instid0(SALU_CYCLE_1)
	s_and_b32 s25, s25, exec_lo
	s_or_saveexec_b32 s26, s26
	v_mov_b32_e32 v3, 0x7f800001
	s_xor_b32 exec_lo, exec_lo, s26
	s_cbranch_execnz .LBB166_1321
.LBB166_1301:
	s_or_b32 exec_lo, exec_lo, s26
	s_and_saveexec_b32 s26, s25
	s_cbranch_execz .LBB166_1303
.LBB166_1302:
	v_and_b32_e32 v3, 0xffff, v2
	s_delay_alu instid0(VALU_DEP_1) | instskip(SKIP_1) | instid1(VALU_DEP_2)
	v_and_b32_e32 v4, 3, v3
	v_bfe_u32 v8, v3, 2, 5
	v_clz_i32_u32_e32 v5, v4
	s_delay_alu instid0(VALU_DEP_2) | instskip(NEXT) | instid1(VALU_DEP_2)
	v_cmp_eq_u32_e32 vcc_lo, 0, v8
	v_min_u32_e32 v5, 32, v5
	s_delay_alu instid0(VALU_DEP_1) | instskip(NEXT) | instid1(VALU_DEP_1)
	v_subrev_nc_u32_e32 v7, 29, v5
	v_dual_lshlrev_b32 v3, v7, v3 :: v_dual_sub_nc_u32 v5, 30, v5
	s_delay_alu instid0(VALU_DEP_1) | instskip(NEXT) | instid1(VALU_DEP_2)
	v_dual_lshlrev_b32 v2, 24, v2 :: v_dual_bitop2_b32 v3, 3, v3 bitop3:0x40
	v_cndmask_b32_e32 v5, v8, v5, vcc_lo
	s_delay_alu instid0(VALU_DEP_2) | instskip(NEXT) | instid1(VALU_DEP_3)
	v_cndmask_b32_e32 v3, v4, v3, vcc_lo
	v_and_b32_e32 v2, 0x80000000, v2
	s_delay_alu instid0(VALU_DEP_3) | instskip(NEXT) | instid1(VALU_DEP_3)
	v_lshl_add_u32 v4, v5, 23, 0x37800000
	v_lshlrev_b32_e32 v3, 21, v3
	s_delay_alu instid0(VALU_DEP_1)
	v_or3_b32 v3, v2, v4, v3
.LBB166_1303:
	s_or_b32 exec_lo, exec_lo, s26
	s_delay_alu instid0(VALU_DEP_1) | instskip(SKIP_2) | instid1(VALU_DEP_2)
	v_bfe_u32 v2, v3, 16, 1
	v_cmp_o_f32_e32 vcc_lo, v3, v3
	s_mov_b32 s25, 0
	v_add3_u32 v2, v3, v2, 0x7fff
	s_delay_alu instid0(VALU_DEP_1) | instskip(NEXT) | instid1(VALU_DEP_1)
	v_lshrrev_b32_e32 v2, 16, v2
	v_cndmask_b32_e32 v2, 0x7fc0, v2, vcc_lo
	s_branch .LBB166_1309
.LBB166_1304:
	s_mov_b32 s25, -1
                                        ; implicit-def: $vgpr2
	s_branch .LBB166_1315
.LBB166_1305:
	s_or_saveexec_b32 s27, s27
	v_mov_b32_e32 v3, 0x7f800001
	s_xor_b32 exec_lo, exec_lo, s27
	s_cbranch_execz .LBB166_1289
.LBB166_1306:
	v_cmp_ne_u16_e32 vcc_lo, 0, v2
	v_mov_b32_e32 v3, 0
	s_and_not1_b32 s26, s26, exec_lo
	s_and_b32 s28, vcc_lo, exec_lo
	s_delay_alu instid0(SALU_CYCLE_1)
	s_or_b32 s26, s26, s28
	s_or_b32 exec_lo, exec_lo, s27
	s_and_saveexec_b32 s27, s26
	s_cbranch_execnz .LBB166_1290
	s_branch .LBB166_1291
.LBB166_1307:
	s_mov_b32 s25, -1
                                        ; implicit-def: $vgpr2
	s_branch .LBB166_1312
.LBB166_1308:
	s_mov_b32 s25, -1
                                        ; implicit-def: $vgpr2
.LBB166_1309:
	s_delay_alu instid0(SALU_CYCLE_1)
	s_and_b32 vcc_lo, exec_lo, s25
	s_cbranch_vccz .LBB166_1311
; %bb.1310:
	s_wait_loadcnt 0x0
	global_load_u8 v2, v[0:1], off
	s_wait_loadcnt 0x0
	v_lshlrev_b32_e32 v2, 24, v2
	s_delay_alu instid0(VALU_DEP_1) | instskip(NEXT) | instid1(VALU_DEP_1)
	v_and_b32_e32 v3, 0x7f000000, v2
	v_clz_i32_u32_e32 v4, v3
	v_add_nc_u32_e32 v7, 0x1000000, v3
	v_cmp_ne_u32_e32 vcc_lo, 0, v3
	s_delay_alu instid0(VALU_DEP_3) | instskip(NEXT) | instid1(VALU_DEP_1)
	v_min_u32_e32 v4, 32, v4
	v_sub_nc_u32_e64 v4, v4, 4 clamp
	s_delay_alu instid0(VALU_DEP_1) | instskip(NEXT) | instid1(VALU_DEP_1)
	v_dual_lshlrev_b32 v5, v4, v3 :: v_dual_lshlrev_b32 v4, 23, v4
	v_lshrrev_b32_e32 v5, 4, v5
	s_delay_alu instid0(VALU_DEP_1) | instskip(NEXT) | instid1(VALU_DEP_1)
	v_dual_sub_nc_u32 v4, v5, v4 :: v_dual_ashrrev_i32 v5, 8, v7
	v_add_nc_u32_e32 v4, 0x3c000000, v4
	s_delay_alu instid0(VALU_DEP_1) | instskip(NEXT) | instid1(VALU_DEP_1)
	v_and_or_b32 v4, 0x7f800000, v5, v4
	v_cndmask_b32_e32 v3, 0, v4, vcc_lo
	s_delay_alu instid0(VALU_DEP_1) | instskip(SKIP_1) | instid1(VALU_DEP_2)
	v_and_or_b32 v2, 0x80000000, v2, v3
	v_bfe_u32 v3, v3, 16, 1
	v_cmp_o_f32_e32 vcc_lo, v2, v2
	s_delay_alu instid0(VALU_DEP_2) | instskip(NEXT) | instid1(VALU_DEP_1)
	v_add3_u32 v3, v2, v3, 0x7fff
	v_lshrrev_b32_e32 v3, 16, v3
	s_delay_alu instid0(VALU_DEP_1)
	v_cndmask_b32_e32 v2, 0x7fc0, v3, vcc_lo
.LBB166_1311:
	s_mov_b32 s25, 0
.LBB166_1312:
	s_delay_alu instid0(SALU_CYCLE_1)
	s_and_not1_b32 vcc_lo, exec_lo, s25
	s_cbranch_vccnz .LBB166_1314
; %bb.1313:
	s_wait_loadcnt 0x0
	global_load_u8 v2, v[0:1], off
	s_wait_loadcnt 0x0
	v_lshlrev_b32_e32 v3, 25, v2
	v_lshlrev_b16 v2, 8, v2
	s_delay_alu instid0(VALU_DEP_1) | instskip(SKIP_1) | instid1(VALU_DEP_2)
	v_and_or_b32 v5, 0x7f00, v2, 0.5
	v_bfe_i32 v2, v2, 0, 16
	v_dual_add_f32 v5, -0.5, v5 :: v_dual_lshrrev_b32 v4, 4, v3
	v_cmp_gt_u32_e32 vcc_lo, 0x8000000, v3
	s_delay_alu instid0(VALU_DEP_2) | instskip(NEXT) | instid1(VALU_DEP_1)
	v_or_b32_e32 v4, 0x70000000, v4
	v_mul_f32_e32 v4, 0x7800000, v4
	s_delay_alu instid0(VALU_DEP_1) | instskip(NEXT) | instid1(VALU_DEP_1)
	v_cndmask_b32_e32 v3, v4, v5, vcc_lo
	v_and_or_b32 v2, 0x80000000, v2, v3
	v_bfe_u32 v3, v3, 16, 1
	s_delay_alu instid0(VALU_DEP_2) | instskip(NEXT) | instid1(VALU_DEP_2)
	v_cmp_o_f32_e32 vcc_lo, v2, v2
	v_add3_u32 v3, v2, v3, 0x7fff
	s_delay_alu instid0(VALU_DEP_1) | instskip(NEXT) | instid1(VALU_DEP_1)
	v_lshrrev_b32_e32 v3, 16, v3
	v_cndmask_b32_e32 v2, 0x7fc0, v3, vcc_lo
.LBB166_1314:
	s_mov_b32 s25, 0
	s_mov_b32 s26, -1
.LBB166_1315:
	s_and_not1_b32 vcc_lo, exec_lo, s25
	s_mov_b32 s25, 0
	s_cbranch_vccnz .LBB166_1326
; %bb.1316:
	s_cmp_gt_i32 s23, 14
	s_cbranch_scc0 .LBB166_1319
; %bb.1317:
	s_cmp_eq_u32 s23, 15
	s_cbranch_scc0 .LBB166_1322
; %bb.1318:
	s_wait_loadcnt 0x0
	global_load_u16 v2, v[0:1], off
	s_mov_b32 s24, 0
	s_mov_b32 s26, -1
	s_branch .LBB166_1324
.LBB166_1319:
	s_mov_b32 s25, -1
	s_branch .LBB166_1323
.LBB166_1320:
	s_or_saveexec_b32 s26, s26
	v_mov_b32_e32 v3, 0x7f800001
	s_xor_b32 exec_lo, exec_lo, s26
	s_cbranch_execz .LBB166_1301
.LBB166_1321:
	v_cmp_ne_u16_e32 vcc_lo, 0, v2
	v_mov_b32_e32 v3, 0
	s_and_not1_b32 s25, s25, exec_lo
	s_and_b32 s27, vcc_lo, exec_lo
	s_delay_alu instid0(SALU_CYCLE_1)
	s_or_b32 s25, s25, s27
	s_or_b32 exec_lo, exec_lo, s26
	s_and_saveexec_b32 s26, s25
	s_cbranch_execnz .LBB166_1302
	s_branch .LBB166_1303
.LBB166_1322:
	s_mov_b32 s24, -1
.LBB166_1323:
                                        ; implicit-def: $vgpr2
.LBB166_1324:
	s_and_b32 vcc_lo, exec_lo, s25
	s_mov_b32 s25, 0
	s_cbranch_vccz .LBB166_1326
; %bb.1325:
	s_cmp_lg_u32 s23, 11
	s_mov_b32 s25, -1
	s_cselect_b32 s23, -1, 0
	s_and_not1_b32 s24, s24, exec_lo
	s_and_b32 s23, s23, exec_lo
	s_delay_alu instid0(SALU_CYCLE_1)
	s_or_b32 s24, s24, s23
.LBB166_1326:
	s_mov_b32 s27, 0
.LBB166_1327:
	s_and_not1_b32 s21, s21, exec_lo
	s_and_b32 s24, s24, exec_lo
	s_and_b32 s23, s26, exec_lo
	;; [unrolled: 1-line block ×4, first 2 shown]
	s_or_b32 s21, s21, s24
	s_wait_xcnt 0x0
	s_or_b32 exec_lo, exec_lo, s22
	s_and_saveexec_b32 s22, s21
	s_cbranch_execz .LBB166_1255
.LBB166_1328:
	s_or_b32 s18, s18, exec_lo
	s_and_not1_b32 s25, s25, exec_lo
	s_trap 2
	s_or_b32 exec_lo, exec_lo, s22
	s_and_saveexec_b32 s21, s25
	s_delay_alu instid0(SALU_CYCLE_1)
	s_xor_b32 s21, exec_lo, s21
	s_cbranch_execnz .LBB166_1256
.LBB166_1329:
	s_or_b32 exec_lo, exec_lo, s21
	s_and_saveexec_b32 s21, s26
	s_cbranch_execz .LBB166_1375
.LBB166_1330:
	s_sext_i32_i16 s22, s0
	s_delay_alu instid0(SALU_CYCLE_1)
	s_cmp_lt_i32 s22, 5
	s_cbranch_scc1 .LBB166_1335
; %bb.1331:
	s_cmp_lt_i32 s22, 8
	s_cbranch_scc1 .LBB166_1336
; %bb.1332:
	;; [unrolled: 3-line block ×3, first 2 shown]
	s_cmp_gt_i32 s22, 9
	s_cbranch_scc0 .LBB166_1338
; %bb.1334:
	s_wait_loadcnt 0x0
	global_load_b64 v[2:3], v[0:1], off
	s_mov_b32 s22, 0
	s_wait_loadcnt 0x0
	v_cvt_f32_f64_e32 v2, v[2:3]
	s_delay_alu instid0(VALU_DEP_1) | instskip(SKIP_1) | instid1(VALU_DEP_2)
	v_bfe_u32 v3, v2, 16, 1
	v_cmp_o_f32_e32 vcc_lo, v2, v2
	v_add3_u32 v3, v2, v3, 0x7fff
	s_delay_alu instid0(VALU_DEP_1) | instskip(NEXT) | instid1(VALU_DEP_1)
	v_lshrrev_b32_e32 v3, 16, v3
	v_cndmask_b32_e32 v2, 0x7fc0, v3, vcc_lo
	s_branch .LBB166_1339
.LBB166_1335:
                                        ; implicit-def: $vgpr2
	s_branch .LBB166_1356
.LBB166_1336:
                                        ; implicit-def: $vgpr2
	s_branch .LBB166_1345
.LBB166_1337:
	s_mov_b32 s22, -1
                                        ; implicit-def: $vgpr2
	s_branch .LBB166_1342
.LBB166_1338:
	s_mov_b32 s22, -1
                                        ; implicit-def: $vgpr2
.LBB166_1339:
	s_delay_alu instid0(SALU_CYCLE_1)
	s_and_not1_b32 vcc_lo, exec_lo, s22
	s_cbranch_vccnz .LBB166_1341
; %bb.1340:
	s_wait_loadcnt 0x0
	global_load_b32 v2, v[0:1], off
	s_wait_loadcnt 0x0
	v_bfe_u32 v3, v2, 16, 1
	v_cmp_o_f32_e32 vcc_lo, v2, v2
	s_delay_alu instid0(VALU_DEP_2) | instskip(NEXT) | instid1(VALU_DEP_1)
	v_add3_u32 v3, v2, v3, 0x7fff
	v_lshrrev_b32_e32 v3, 16, v3
	s_delay_alu instid0(VALU_DEP_1)
	v_cndmask_b32_e32 v2, 0x7fc0, v3, vcc_lo
.LBB166_1341:
	s_mov_b32 s22, 0
.LBB166_1342:
	s_delay_alu instid0(SALU_CYCLE_1)
	s_and_not1_b32 vcc_lo, exec_lo, s22
	s_cbranch_vccnz .LBB166_1344
; %bb.1343:
	s_wait_loadcnt 0x0
	global_load_b32 v2, v[0:1], off
	s_wait_loadcnt 0x0
	v_cvt_f32_f16_e32 v3, v2
	v_cmp_o_f16_e32 vcc_lo, v2, v2
	s_delay_alu instid0(VALU_DEP_2) | instskip(NEXT) | instid1(VALU_DEP_1)
	v_bfe_u32 v4, v3, 16, 1
	v_add3_u32 v3, v3, v4, 0x7fff
	s_delay_alu instid0(VALU_DEP_1) | instskip(NEXT) | instid1(VALU_DEP_1)
	v_lshrrev_b32_e32 v3, 16, v3
	v_cndmask_b32_e32 v2, 0x7fc0, v3, vcc_lo
.LBB166_1344:
	s_cbranch_execnz .LBB166_1355
.LBB166_1345:
	s_sext_i32_i16 s22, s0
	s_delay_alu instid0(SALU_CYCLE_1)
	s_cmp_lt_i32 s22, 6
	s_cbranch_scc1 .LBB166_1348
; %bb.1346:
	s_cmp_gt_i32 s22, 6
	s_cbranch_scc0 .LBB166_1349
; %bb.1347:
	s_wait_loadcnt 0x0
	global_load_b64 v[2:3], v[0:1], off
	s_mov_b32 s22, 0
	s_wait_loadcnt 0x0
	v_cvt_f32_f64_e32 v2, v[2:3]
	s_delay_alu instid0(VALU_DEP_1) | instskip(SKIP_1) | instid1(VALU_DEP_2)
	v_bfe_u32 v3, v2, 16, 1
	v_cmp_o_f32_e32 vcc_lo, v2, v2
	v_add3_u32 v3, v2, v3, 0x7fff
	s_delay_alu instid0(VALU_DEP_1) | instskip(NEXT) | instid1(VALU_DEP_1)
	v_lshrrev_b32_e32 v3, 16, v3
	v_cndmask_b32_e32 v2, 0x7fc0, v3, vcc_lo
	s_branch .LBB166_1350
.LBB166_1348:
	s_mov_b32 s22, -1
                                        ; implicit-def: $vgpr2
	s_branch .LBB166_1353
.LBB166_1349:
	s_mov_b32 s22, -1
                                        ; implicit-def: $vgpr2
.LBB166_1350:
	s_delay_alu instid0(SALU_CYCLE_1)
	s_and_not1_b32 vcc_lo, exec_lo, s22
	s_cbranch_vccnz .LBB166_1352
; %bb.1351:
	s_wait_loadcnt 0x0
	global_load_b32 v2, v[0:1], off
	s_wait_loadcnt 0x0
	v_bfe_u32 v3, v2, 16, 1
	v_cmp_o_f32_e32 vcc_lo, v2, v2
	s_delay_alu instid0(VALU_DEP_2) | instskip(NEXT) | instid1(VALU_DEP_1)
	v_add3_u32 v3, v2, v3, 0x7fff
	v_lshrrev_b32_e32 v3, 16, v3
	s_delay_alu instid0(VALU_DEP_1)
	v_cndmask_b32_e32 v2, 0x7fc0, v3, vcc_lo
.LBB166_1352:
	s_mov_b32 s22, 0
.LBB166_1353:
	s_delay_alu instid0(SALU_CYCLE_1)
	s_and_not1_b32 vcc_lo, exec_lo, s22
	s_cbranch_vccnz .LBB166_1355
; %bb.1354:
	s_wait_loadcnt 0x0
	global_load_u16 v2, v[0:1], off
	s_wait_loadcnt 0x0
	v_cvt_f32_f16_e32 v3, v2
	v_cmp_o_f16_e32 vcc_lo, v2, v2
	s_delay_alu instid0(VALU_DEP_2) | instskip(NEXT) | instid1(VALU_DEP_1)
	v_bfe_u32 v4, v3, 16, 1
	v_add3_u32 v3, v3, v4, 0x7fff
	s_delay_alu instid0(VALU_DEP_1) | instskip(NEXT) | instid1(VALU_DEP_1)
	v_lshrrev_b32_e32 v3, 16, v3
	v_cndmask_b32_e32 v2, 0x7fc0, v3, vcc_lo
.LBB166_1355:
	s_cbranch_execnz .LBB166_1374
.LBB166_1356:
	s_sext_i32_i16 s22, s0
	s_delay_alu instid0(SALU_CYCLE_1)
	s_cmp_lt_i32 s22, 2
	s_cbranch_scc1 .LBB166_1360
; %bb.1357:
	s_cmp_lt_i32 s22, 3
	s_cbranch_scc1 .LBB166_1361
; %bb.1358:
	s_cmp_gt_i32 s22, 3
	s_cbranch_scc0 .LBB166_1362
; %bb.1359:
	s_wait_loadcnt 0x0
	global_load_b64 v[2:3], v[0:1], off
	s_mov_b32 s22, 0
	s_wait_loadcnt 0x0
	v_xor_b32_e32 v4, v2, v3
	v_cls_i32_e32 v5, v3
	s_delay_alu instid0(VALU_DEP_2) | instskip(NEXT) | instid1(VALU_DEP_1)
	v_ashrrev_i32_e32 v4, 31, v4
	v_add_nc_u32_e32 v4, 32, v4
	s_delay_alu instid0(VALU_DEP_1) | instskip(NEXT) | instid1(VALU_DEP_1)
	v_add_min_u32_e64 v4, v5, -1, v4
	v_lshlrev_b64_e32 v[2:3], v4, v[2:3]
	s_delay_alu instid0(VALU_DEP_1) | instskip(NEXT) | instid1(VALU_DEP_1)
	v_min_u32_e32 v2, 1, v2
	v_dual_sub_nc_u32 v3, 32, v4 :: v_dual_bitop2_b32 v2, v3, v2 bitop3:0x54
	s_delay_alu instid0(VALU_DEP_1) | instskip(NEXT) | instid1(VALU_DEP_1)
	v_cvt_f32_i32_e32 v2, v2
	v_ldexp_f32 v2, v2, v3
	s_delay_alu instid0(VALU_DEP_1) | instskip(NEXT) | instid1(VALU_DEP_1)
	v_bfe_u32 v3, v2, 16, 1
	v_add3_u32 v2, v2, v3, 0x7fff
	s_delay_alu instid0(VALU_DEP_1)
	v_lshrrev_b32_e32 v2, 16, v2
	s_branch .LBB166_1363
.LBB166_1360:
                                        ; implicit-def: $vgpr2
	s_branch .LBB166_1369
.LBB166_1361:
	s_mov_b32 s22, -1
                                        ; implicit-def: $vgpr2
	s_branch .LBB166_1366
.LBB166_1362:
	s_mov_b32 s22, -1
                                        ; implicit-def: $vgpr2
.LBB166_1363:
	s_delay_alu instid0(SALU_CYCLE_1)
	s_and_not1_b32 vcc_lo, exec_lo, s22
	s_cbranch_vccnz .LBB166_1365
; %bb.1364:
	s_wait_loadcnt 0x0
	global_load_b32 v2, v[0:1], off
	s_wait_loadcnt 0x0
	v_cvt_f32_i32_e32 v2, v2
	s_delay_alu instid0(VALU_DEP_1) | instskip(NEXT) | instid1(VALU_DEP_1)
	v_bfe_u32 v3, v2, 16, 1
	v_add3_u32 v2, v2, v3, 0x7fff
	s_delay_alu instid0(VALU_DEP_1)
	v_lshrrev_b32_e32 v2, 16, v2
.LBB166_1365:
	s_mov_b32 s22, 0
.LBB166_1366:
	s_delay_alu instid0(SALU_CYCLE_1)
	s_and_not1_b32 vcc_lo, exec_lo, s22
	s_cbranch_vccnz .LBB166_1368
; %bb.1367:
	s_wait_loadcnt 0x0
	global_load_i16 v2, v[0:1], off
	s_wait_loadcnt 0x0
	v_cvt_f32_i32_e32 v2, v2
	s_delay_alu instid0(VALU_DEP_1) | instskip(NEXT) | instid1(VALU_DEP_1)
	v_bfe_u32 v3, v2, 16, 1
	v_add3_u32 v2, v2, v3, 0x7fff
	s_delay_alu instid0(VALU_DEP_1)
	v_lshrrev_b32_e32 v2, 16, v2
.LBB166_1368:
	s_cbranch_execnz .LBB166_1374
.LBB166_1369:
	s_sext_i32_i16 s0, s0
	s_delay_alu instid0(SALU_CYCLE_1)
	s_cmp_gt_i32 s0, 0
	s_mov_b32 s0, 0
	s_cbranch_scc0 .LBB166_1371
; %bb.1370:
	s_wait_loadcnt 0x0
	global_load_i8 v2, v[0:1], off
	s_wait_loadcnt 0x0
	v_cvt_f32_i32_e32 v2, v2
	s_delay_alu instid0(VALU_DEP_1) | instskip(NEXT) | instid1(VALU_DEP_1)
	v_bfe_u32 v3, v2, 16, 1
	v_add3_u32 v2, v2, v3, 0x7fff
	s_delay_alu instid0(VALU_DEP_1)
	v_lshrrev_b32_e32 v2, 16, v2
	s_branch .LBB166_1372
.LBB166_1371:
	s_mov_b32 s0, -1
                                        ; implicit-def: $vgpr2
.LBB166_1372:
	s_delay_alu instid0(SALU_CYCLE_1)
	s_and_not1_b32 vcc_lo, exec_lo, s0
	s_cbranch_vccnz .LBB166_1374
; %bb.1373:
	global_load_u8 v0, v[0:1], off
	s_wait_loadcnt 0x0
	v_cvt_f32_ubyte0_e32 v0, v0
	s_delay_alu instid0(VALU_DEP_1) | instskip(NEXT) | instid1(VALU_DEP_1)
	v_bfe_u32 v1, v0, 16, 1
	v_add3_u32 v0, v0, v1, 0x7fff
	s_delay_alu instid0(VALU_DEP_1)
	v_lshrrev_b32_e32 v2, 16, v0
.LBB166_1374:
	s_or_b32 s23, s23, exec_lo
.LBB166_1375:
	s_wait_xcnt 0x0
	s_or_b32 exec_lo, exec_lo, s21
	s_mov_b32 s22, 0
	s_mov_b32 s21, 0
	;; [unrolled: 1-line block ×3, first 2 shown]
                                        ; implicit-def: $vgpr0_vgpr1
                                        ; implicit-def: $vgpr4
	s_and_saveexec_b32 s0, s23
	s_cbranch_execz .LBB166_1383
; %bb.1376:
	v_mul_lo_u32 v0, v6, s9
	s_and_b32 s21, 0xffff, s10
	s_delay_alu instid0(SALU_CYCLE_1) | instskip(NEXT) | instid1(VALU_DEP_1)
	s_cmp_lt_i32 s21, 11
	v_ashrrev_i32_e32 v1, 31, v0
	s_delay_alu instid0(VALU_DEP_1)
	v_add_nc_u64_e32 v[0:1], s[6:7], v[0:1]
	s_cbranch_scc1 .LBB166_1386
; %bb.1377:
	s_cmp_gt_i32 s21, 25
	s_mov_b32 s23, 0
	s_cbranch_scc0 .LBB166_1387
; %bb.1378:
	s_cmp_gt_i32 s21, 28
	s_cbranch_scc0 .LBB166_1388
; %bb.1379:
	s_cmp_gt_i32 s21, 43
	;; [unrolled: 3-line block ×3, first 2 shown]
	s_cbranch_scc0 .LBB166_1390
; %bb.1381:
	s_cmp_eq_u32 s21, 46
	s_mov_b32 s25, 0
	s_cbranch_scc0 .LBB166_1391
; %bb.1382:
	global_load_b32 v4, v[0:1], off
	s_mov_b32 s24, -1
	s_branch .LBB166_1393
.LBB166_1383:
	s_or_b32 exec_lo, exec_lo, s0
	s_and_saveexec_b32 s0, s20
	s_cbranch_execnz .LBB166_1456
.LBB166_1384:
	s_or_b32 exec_lo, exec_lo, s0
	s_and_saveexec_b32 s0, s22
	s_delay_alu instid0(SALU_CYCLE_1)
	s_xor_b32 s0, exec_lo, s0
	s_cbranch_execz .LBB166_1457
.LBB166_1385:
	s_wait_loadcnt 0x0
	global_load_u8 v3, v[0:1], off
	s_or_b32 s24, s24, exec_lo
	s_wait_loadcnt 0x0
	v_cmp_ne_u16_e32 vcc_lo, 0, v3
	v_cndmask_b32_e64 v3, 0, 1.0, vcc_lo
	s_delay_alu instid0(VALU_DEP_1)
	v_lshrrev_b32_e32 v4, 16, v3
	s_wait_xcnt 0x0
	s_or_b32 exec_lo, exec_lo, s0
	s_and_saveexec_b32 s0, s21
	s_cbranch_execz .LBB166_1503
	s_branch .LBB166_1458
.LBB166_1386:
	s_mov_b32 s21, -1
	s_mov_b32 s23, 0
	s_mov_b32 s22, s20
                                        ; implicit-def: $vgpr4
	s_branch .LBB166_1455
.LBB166_1387:
	s_mov_b32 s22, s20
                                        ; implicit-def: $vgpr4
	s_cbranch_execnz .LBB166_1422
	s_branch .LBB166_1454
.LBB166_1388:
	s_mov_b32 s25, -1
	s_mov_b32 s22, s20
                                        ; implicit-def: $vgpr4
	s_branch .LBB166_1403
.LBB166_1389:
	s_mov_b32 s25, -1
	s_mov_b32 s22, s20
                                        ; implicit-def: $vgpr4
	s_branch .LBB166_1398
.LBB166_1390:
	s_mov_b32 s25, -1
	s_mov_b32 s22, s20
	s_branch .LBB166_1392
.LBB166_1391:
	s_mov_b32 s22, -1
.LBB166_1392:
                                        ; implicit-def: $vgpr4
.LBB166_1393:
	s_and_b32 vcc_lo, exec_lo, s25
	s_cbranch_vccz .LBB166_1397
; %bb.1394:
	s_cmp_eq_u32 s21, 44
	s_cbranch_scc0 .LBB166_1396
; %bb.1395:
	s_wait_loadcnt 0x0
	global_load_u8 v3, v[0:1], off
	s_mov_b32 s22, 0
	s_mov_b32 s24, -1
	s_wait_loadcnt 0x0
	v_lshlrev_b32_e32 v4, 23, v3
	v_cmp_ne_u32_e32 vcc_lo, 0xff, v3
	s_delay_alu instid0(VALU_DEP_2) | instskip(SKIP_1) | instid1(VALU_DEP_2)
	v_cndmask_b32_e32 v4, 0x7f800001, v4, vcc_lo
	v_cmp_ne_u32_e32 vcc_lo, 0, v3
	v_cndmask_b32_e32 v3, 0x400000, v4, vcc_lo
	s_delay_alu instid0(VALU_DEP_1) | instskip(NEXT) | instid1(VALU_DEP_1)
	v_add_nc_u32_e32 v4, 0x7fff, v3
	v_lshrrev_b32_e32 v4, 16, v4
	v_cmp_o_f32_e32 vcc_lo, v3, v3
	s_delay_alu instid0(VALU_DEP_2)
	v_cndmask_b32_e32 v4, 0x7fc0, v4, vcc_lo
	s_branch .LBB166_1397
.LBB166_1396:
	s_mov_b32 s22, -1
                                        ; implicit-def: $vgpr4
.LBB166_1397:
	s_mov_b32 s25, 0
.LBB166_1398:
	s_delay_alu instid0(SALU_CYCLE_1)
	s_and_b32 vcc_lo, exec_lo, s25
	s_cbranch_vccz .LBB166_1402
; %bb.1399:
	s_cmp_eq_u32 s21, 29
	s_cbranch_scc0 .LBB166_1401
; %bb.1400:
	s_wait_loadcnt 0x0
	global_load_b64 v[4:5], v[0:1], off
	s_mov_b32 s22, 0
	s_mov_b32 s24, -1
	s_mov_b32 s25, 0
	s_wait_loadcnt 0x0
	v_clz_i32_u32_e32 v3, v5
	s_delay_alu instid0(VALU_DEP_1) | instskip(NEXT) | instid1(VALU_DEP_1)
	v_min_u32_e32 v3, 32, v3
	v_lshlrev_b64_e32 v[4:5], v3, v[4:5]
	v_sub_nc_u32_e32 v3, 32, v3
	s_delay_alu instid0(VALU_DEP_2) | instskip(NEXT) | instid1(VALU_DEP_1)
	v_min_u32_e32 v4, 1, v4
	v_or_b32_e32 v4, v5, v4
	s_delay_alu instid0(VALU_DEP_1) | instskip(NEXT) | instid1(VALU_DEP_1)
	v_cvt_f32_u32_e32 v4, v4
	v_ldexp_f32 v3, v4, v3
	s_delay_alu instid0(VALU_DEP_1) | instskip(NEXT) | instid1(VALU_DEP_1)
	v_bfe_u32 v4, v3, 16, 1
	v_add3_u32 v3, v3, v4, 0x7fff
	s_delay_alu instid0(VALU_DEP_1)
	v_lshrrev_b32_e32 v4, 16, v3
	s_branch .LBB166_1403
.LBB166_1401:
	s_mov_b32 s22, -1
                                        ; implicit-def: $vgpr4
.LBB166_1402:
	s_mov_b32 s25, 0
.LBB166_1403:
	s_delay_alu instid0(SALU_CYCLE_1)
	s_and_b32 vcc_lo, exec_lo, s25
	s_cbranch_vccz .LBB166_1421
; %bb.1404:
	s_cmp_lt_i32 s21, 27
	s_cbranch_scc1 .LBB166_1407
; %bb.1405:
	s_cmp_gt_i32 s21, 27
	s_cbranch_scc0 .LBB166_1408
; %bb.1406:
	s_wait_loadcnt 0x0
	global_load_b32 v3, v[0:1], off
	s_mov_b32 s24, 0
	s_wait_loadcnt 0x0
	v_cvt_f32_u32_e32 v3, v3
	s_delay_alu instid0(VALU_DEP_1) | instskip(NEXT) | instid1(VALU_DEP_1)
	v_bfe_u32 v4, v3, 16, 1
	v_add3_u32 v3, v3, v4, 0x7fff
	s_delay_alu instid0(VALU_DEP_1)
	v_lshrrev_b32_e32 v4, 16, v3
	s_branch .LBB166_1409
.LBB166_1407:
	s_mov_b32 s24, -1
                                        ; implicit-def: $vgpr4
	s_branch .LBB166_1412
.LBB166_1408:
	s_mov_b32 s24, -1
                                        ; implicit-def: $vgpr4
.LBB166_1409:
	s_delay_alu instid0(SALU_CYCLE_1)
	s_and_not1_b32 vcc_lo, exec_lo, s24
	s_cbranch_vccnz .LBB166_1411
; %bb.1410:
	s_wait_loadcnt 0x0
	global_load_u16 v3, v[0:1], off
	s_wait_loadcnt 0x0
	v_cvt_f32_u32_e32 v3, v3
	s_delay_alu instid0(VALU_DEP_1) | instskip(NEXT) | instid1(VALU_DEP_1)
	v_bfe_u32 v4, v3, 16, 1
	v_add3_u32 v3, v3, v4, 0x7fff
	s_delay_alu instid0(VALU_DEP_1)
	v_lshrrev_b32_e32 v4, 16, v3
.LBB166_1411:
	s_mov_b32 s24, 0
.LBB166_1412:
	s_delay_alu instid0(SALU_CYCLE_1)
	s_and_not1_b32 vcc_lo, exec_lo, s24
	s_cbranch_vccnz .LBB166_1420
; %bb.1413:
	s_wait_loadcnt 0x0
	global_load_u8 v3, v[0:1], off
	s_mov_b32 s24, 0
	s_mov_b32 s25, exec_lo
	s_wait_loadcnt 0x0
	v_cmpx_lt_i16_e32 0x7f, v3
	s_xor_b32 s25, exec_lo, s25
	s_cbranch_execz .LBB166_1433
; %bb.1414:
	s_mov_b32 s24, -1
	s_mov_b32 s26, exec_lo
	v_cmpx_eq_u16_e32 0x80, v3
; %bb.1415:
	s_xor_b32 s24, exec_lo, -1
; %bb.1416:
	s_or_b32 exec_lo, exec_lo, s26
	s_delay_alu instid0(SALU_CYCLE_1)
	s_and_b32 s24, s24, exec_lo
	s_or_saveexec_b32 s25, s25
	v_mov_b32_e32 v4, 0x7f800001
	s_xor_b32 exec_lo, exec_lo, s25
	s_cbranch_execnz .LBB166_1434
.LBB166_1417:
	s_or_b32 exec_lo, exec_lo, s25
	s_and_saveexec_b32 s25, s24
	s_cbranch_execz .LBB166_1419
.LBB166_1418:
	v_and_b32_e32 v4, 0xffff, v3
	s_delay_alu instid0(VALU_DEP_1) | instskip(SKIP_1) | instid1(VALU_DEP_2)
	v_and_b32_e32 v5, 7, v4
	v_bfe_u32 v9, v4, 3, 4
	v_clz_i32_u32_e32 v7, v5
	s_delay_alu instid0(VALU_DEP_2) | instskip(NEXT) | instid1(VALU_DEP_2)
	v_cmp_eq_u32_e32 vcc_lo, 0, v9
	v_min_u32_e32 v7, 32, v7
	s_delay_alu instid0(VALU_DEP_1) | instskip(NEXT) | instid1(VALU_DEP_1)
	v_subrev_nc_u32_e32 v8, 28, v7
	v_dual_lshlrev_b32 v4, v8, v4 :: v_dual_sub_nc_u32 v7, 29, v7
	s_delay_alu instid0(VALU_DEP_1) | instskip(NEXT) | instid1(VALU_DEP_1)
	v_dual_lshlrev_b32 v3, 24, v3 :: v_dual_bitop2_b32 v4, 7, v4 bitop3:0x40
	v_cndmask_b32_e32 v4, v5, v4, vcc_lo
	s_delay_alu instid0(VALU_DEP_3) | instskip(NEXT) | instid1(VALU_DEP_3)
	v_cndmask_b32_e32 v7, v9, v7, vcc_lo
	v_and_b32_e32 v3, 0x80000000, v3
	s_delay_alu instid0(VALU_DEP_3) | instskip(NEXT) | instid1(VALU_DEP_3)
	v_lshlrev_b32_e32 v4, 20, v4
	v_lshl_add_u32 v5, v7, 23, 0x3b800000
	s_delay_alu instid0(VALU_DEP_1)
	v_or3_b32 v4, v3, v5, v4
.LBB166_1419:
	s_or_b32 exec_lo, exec_lo, s25
	s_delay_alu instid0(VALU_DEP_1) | instskip(SKIP_1) | instid1(VALU_DEP_2)
	v_bfe_u32 v3, v4, 16, 1
	v_cmp_o_f32_e32 vcc_lo, v4, v4
	v_add3_u32 v3, v4, v3, 0x7fff
	s_delay_alu instid0(VALU_DEP_1) | instskip(NEXT) | instid1(VALU_DEP_1)
	v_lshrrev_b32_e32 v3, 16, v3
	v_cndmask_b32_e32 v4, 0x7fc0, v3, vcc_lo
.LBB166_1420:
	s_mov_b32 s24, -1
.LBB166_1421:
	s_branch .LBB166_1454
.LBB166_1422:
	s_cmp_gt_i32 s21, 22
	s_cbranch_scc0 .LBB166_1432
; %bb.1423:
	s_cmp_lt_i32 s21, 24
	s_cbranch_scc1 .LBB166_1435
; %bb.1424:
	s_cmp_gt_i32 s21, 24
	s_cbranch_scc0 .LBB166_1436
; %bb.1425:
	s_wait_loadcnt 0x0
	global_load_u8 v3, v[0:1], off
	s_mov_b32 s24, exec_lo
	s_wait_loadcnt 0x0
	v_cmpx_lt_i16_e32 0x7f, v3
	s_xor_b32 s24, exec_lo, s24
	s_cbranch_execz .LBB166_1448
; %bb.1426:
	s_mov_b32 s23, -1
	s_mov_b32 s25, exec_lo
	v_cmpx_eq_u16_e32 0x80, v3
; %bb.1427:
	s_xor_b32 s23, exec_lo, -1
; %bb.1428:
	s_or_b32 exec_lo, exec_lo, s25
	s_delay_alu instid0(SALU_CYCLE_1)
	s_and_b32 s23, s23, exec_lo
	s_or_saveexec_b32 s24, s24
	v_mov_b32_e32 v4, 0x7f800001
	s_xor_b32 exec_lo, exec_lo, s24
	s_cbranch_execnz .LBB166_1449
.LBB166_1429:
	s_or_b32 exec_lo, exec_lo, s24
	s_and_saveexec_b32 s24, s23
	s_cbranch_execz .LBB166_1431
.LBB166_1430:
	v_and_b32_e32 v4, 0xffff, v3
	s_delay_alu instid0(VALU_DEP_1) | instskip(SKIP_1) | instid1(VALU_DEP_2)
	v_and_b32_e32 v5, 3, v4
	v_bfe_u32 v9, v4, 2, 5
	v_clz_i32_u32_e32 v7, v5
	s_delay_alu instid0(VALU_DEP_2) | instskip(NEXT) | instid1(VALU_DEP_2)
	v_cmp_eq_u32_e32 vcc_lo, 0, v9
	v_min_u32_e32 v7, 32, v7
	s_delay_alu instid0(VALU_DEP_1) | instskip(NEXT) | instid1(VALU_DEP_1)
	v_subrev_nc_u32_e32 v8, 29, v7
	v_dual_lshlrev_b32 v4, v8, v4 :: v_dual_sub_nc_u32 v7, 30, v7
	s_delay_alu instid0(VALU_DEP_1) | instskip(NEXT) | instid1(VALU_DEP_1)
	v_dual_lshlrev_b32 v3, 24, v3 :: v_dual_bitop2_b32 v4, 3, v4 bitop3:0x40
	v_cndmask_b32_e32 v4, v5, v4, vcc_lo
	s_delay_alu instid0(VALU_DEP_3) | instskip(NEXT) | instid1(VALU_DEP_3)
	v_cndmask_b32_e32 v7, v9, v7, vcc_lo
	v_and_b32_e32 v3, 0x80000000, v3
	s_delay_alu instid0(VALU_DEP_3) | instskip(NEXT) | instid1(VALU_DEP_3)
	v_lshlrev_b32_e32 v4, 21, v4
	v_lshl_add_u32 v5, v7, 23, 0x37800000
	s_delay_alu instid0(VALU_DEP_1)
	v_or3_b32 v4, v3, v5, v4
.LBB166_1431:
	s_or_b32 exec_lo, exec_lo, s24
	s_delay_alu instid0(VALU_DEP_1) | instskip(SKIP_2) | instid1(VALU_DEP_2)
	v_bfe_u32 v3, v4, 16, 1
	v_cmp_o_f32_e32 vcc_lo, v4, v4
	s_mov_b32 s23, 0
	v_add3_u32 v3, v4, v3, 0x7fff
	s_delay_alu instid0(VALU_DEP_1) | instskip(NEXT) | instid1(VALU_DEP_1)
	v_lshrrev_b32_e32 v3, 16, v3
	v_cndmask_b32_e32 v4, 0x7fc0, v3, vcc_lo
	s_branch .LBB166_1437
.LBB166_1432:
	s_mov_b32 s23, -1
                                        ; implicit-def: $vgpr4
	s_branch .LBB166_1443
.LBB166_1433:
	s_or_saveexec_b32 s25, s25
	v_mov_b32_e32 v4, 0x7f800001
	s_xor_b32 exec_lo, exec_lo, s25
	s_cbranch_execz .LBB166_1417
.LBB166_1434:
	v_cmp_ne_u16_e32 vcc_lo, 0, v3
	v_mov_b32_e32 v4, 0
	s_and_not1_b32 s24, s24, exec_lo
	s_and_b32 s26, vcc_lo, exec_lo
	s_delay_alu instid0(SALU_CYCLE_1)
	s_or_b32 s24, s24, s26
	s_or_b32 exec_lo, exec_lo, s25
	s_and_saveexec_b32 s25, s24
	s_cbranch_execnz .LBB166_1418
	s_branch .LBB166_1419
.LBB166_1435:
	s_mov_b32 s23, -1
                                        ; implicit-def: $vgpr4
	s_branch .LBB166_1440
.LBB166_1436:
	s_mov_b32 s23, -1
                                        ; implicit-def: $vgpr4
.LBB166_1437:
	s_delay_alu instid0(SALU_CYCLE_1)
	s_and_b32 vcc_lo, exec_lo, s23
	s_cbranch_vccz .LBB166_1439
; %bb.1438:
	s_wait_loadcnt 0x0
	global_load_u8 v3, v[0:1], off
	s_wait_loadcnt 0x0
	v_lshlrev_b32_e32 v3, 24, v3
	s_delay_alu instid0(VALU_DEP_1) | instskip(NEXT) | instid1(VALU_DEP_1)
	v_and_b32_e32 v4, 0x7f000000, v3
	v_clz_i32_u32_e32 v5, v4
	v_add_nc_u32_e32 v8, 0x1000000, v4
	v_cmp_ne_u32_e32 vcc_lo, 0, v4
	s_delay_alu instid0(VALU_DEP_3) | instskip(NEXT) | instid1(VALU_DEP_1)
	v_min_u32_e32 v5, 32, v5
	v_sub_nc_u32_e64 v5, v5, 4 clamp
	s_delay_alu instid0(VALU_DEP_1) | instskip(NEXT) | instid1(VALU_DEP_1)
	v_dual_lshlrev_b32 v7, v5, v4 :: v_dual_lshlrev_b32 v5, 23, v5
	v_lshrrev_b32_e32 v7, 4, v7
	s_delay_alu instid0(VALU_DEP_1) | instskip(NEXT) | instid1(VALU_DEP_1)
	v_dual_sub_nc_u32 v5, v7, v5 :: v_dual_ashrrev_i32 v7, 8, v8
	v_add_nc_u32_e32 v5, 0x3c000000, v5
	s_delay_alu instid0(VALU_DEP_1) | instskip(NEXT) | instid1(VALU_DEP_1)
	v_and_or_b32 v5, 0x7f800000, v7, v5
	v_cndmask_b32_e32 v4, 0, v5, vcc_lo
	s_delay_alu instid0(VALU_DEP_1) | instskip(SKIP_1) | instid1(VALU_DEP_2)
	v_and_or_b32 v3, 0x80000000, v3, v4
	v_bfe_u32 v4, v4, 16, 1
	v_cmp_o_f32_e32 vcc_lo, v3, v3
	s_delay_alu instid0(VALU_DEP_2) | instskip(NEXT) | instid1(VALU_DEP_1)
	v_add3_u32 v4, v3, v4, 0x7fff
	v_lshrrev_b32_e32 v4, 16, v4
	s_delay_alu instid0(VALU_DEP_1)
	v_cndmask_b32_e32 v4, 0x7fc0, v4, vcc_lo
.LBB166_1439:
	s_mov_b32 s23, 0
.LBB166_1440:
	s_delay_alu instid0(SALU_CYCLE_1)
	s_and_not1_b32 vcc_lo, exec_lo, s23
	s_cbranch_vccnz .LBB166_1442
; %bb.1441:
	s_wait_loadcnt 0x0
	global_load_u8 v3, v[0:1], off
	s_wait_loadcnt 0x0
	v_lshlrev_b32_e32 v4, 25, v3
	v_lshlrev_b16 v3, 8, v3
	s_delay_alu instid0(VALU_DEP_1) | instskip(NEXT) | instid1(VALU_DEP_3)
	v_and_or_b32 v7, 0x7f00, v3, 0.5
	v_lshrrev_b32_e32 v5, 4, v4
	v_bfe_i32 v3, v3, 0, 16
	s_delay_alu instid0(VALU_DEP_3) | instskip(NEXT) | instid1(VALU_DEP_3)
	v_add_f32_e32 v7, -0.5, v7
	v_or_b32_e32 v5, 0x70000000, v5
	s_delay_alu instid0(VALU_DEP_1) | instskip(SKIP_1) | instid1(VALU_DEP_2)
	v_mul_f32_e32 v5, 0x7800000, v5
	v_cmp_gt_u32_e32 vcc_lo, 0x8000000, v4
	v_cndmask_b32_e32 v4, v5, v7, vcc_lo
	s_delay_alu instid0(VALU_DEP_1) | instskip(SKIP_1) | instid1(VALU_DEP_2)
	v_and_or_b32 v3, 0x80000000, v3, v4
	v_bfe_u32 v4, v4, 16, 1
	v_cmp_o_f32_e32 vcc_lo, v3, v3
	s_delay_alu instid0(VALU_DEP_2) | instskip(NEXT) | instid1(VALU_DEP_1)
	v_add3_u32 v4, v3, v4, 0x7fff
	v_lshrrev_b32_e32 v4, 16, v4
	s_delay_alu instid0(VALU_DEP_1)
	v_cndmask_b32_e32 v4, 0x7fc0, v4, vcc_lo
.LBB166_1442:
	s_mov_b32 s23, 0
	s_mov_b32 s24, -1
.LBB166_1443:
	s_and_not1_b32 vcc_lo, exec_lo, s23
	s_mov_b32 s23, 0
	s_cbranch_vccnz .LBB166_1454
; %bb.1444:
	s_cmp_gt_i32 s21, 14
	s_cbranch_scc0 .LBB166_1447
; %bb.1445:
	s_cmp_eq_u32 s21, 15
	s_cbranch_scc0 .LBB166_1450
; %bb.1446:
	s_wait_loadcnt 0x0
	global_load_u16 v4, v[0:1], off
	s_mov_b32 s22, 0
	s_mov_b32 s24, -1
	s_branch .LBB166_1452
.LBB166_1447:
	s_mov_b32 s23, -1
	s_branch .LBB166_1451
.LBB166_1448:
	s_or_saveexec_b32 s24, s24
	v_mov_b32_e32 v4, 0x7f800001
	s_xor_b32 exec_lo, exec_lo, s24
	s_cbranch_execz .LBB166_1429
.LBB166_1449:
	v_cmp_ne_u16_e32 vcc_lo, 0, v3
	v_mov_b32_e32 v4, 0
	s_and_not1_b32 s23, s23, exec_lo
	s_and_b32 s25, vcc_lo, exec_lo
	s_delay_alu instid0(SALU_CYCLE_1)
	s_or_b32 s23, s23, s25
	s_or_b32 exec_lo, exec_lo, s24
	s_and_saveexec_b32 s24, s23
	s_cbranch_execnz .LBB166_1430
	s_branch .LBB166_1431
.LBB166_1450:
	s_mov_b32 s22, -1
.LBB166_1451:
                                        ; implicit-def: $vgpr4
.LBB166_1452:
	s_and_b32 vcc_lo, exec_lo, s23
	s_mov_b32 s23, 0
	s_cbranch_vccz .LBB166_1454
; %bb.1453:
	s_cmp_lg_u32 s21, 11
	s_mov_b32 s23, -1
	s_cselect_b32 s21, -1, 0
	s_and_not1_b32 s22, s22, exec_lo
	s_and_b32 s21, s21, exec_lo
	s_delay_alu instid0(SALU_CYCLE_1)
	s_or_b32 s22, s22, s21
.LBB166_1454:
	s_mov_b32 s21, 0
.LBB166_1455:
	s_and_not1_b32 s20, s20, exec_lo
	s_and_b32 s25, s22, exec_lo
	s_and_b32 s24, s24, exec_lo
	;; [unrolled: 1-line block ×4, first 2 shown]
	s_or_b32 s20, s20, s25
	s_wait_xcnt 0x0
	s_or_b32 exec_lo, exec_lo, s0
	s_and_saveexec_b32 s0, s20
	s_cbranch_execz .LBB166_1384
.LBB166_1456:
	s_or_b32 s18, s18, exec_lo
	s_and_not1_b32 s22, s22, exec_lo
	s_trap 2
	s_or_b32 exec_lo, exec_lo, s0
	s_and_saveexec_b32 s0, s22
	s_delay_alu instid0(SALU_CYCLE_1)
	s_xor_b32 s0, exec_lo, s0
	s_cbranch_execnz .LBB166_1385
.LBB166_1457:
	s_or_b32 exec_lo, exec_lo, s0
	s_and_saveexec_b32 s0, s21
	s_cbranch_execz .LBB166_1503
.LBB166_1458:
	s_sext_i32_i16 s20, s10
	s_delay_alu instid0(SALU_CYCLE_1)
	s_cmp_lt_i32 s20, 5
	s_cbranch_scc1 .LBB166_1463
; %bb.1459:
	s_cmp_lt_i32 s20, 8
	s_cbranch_scc1 .LBB166_1464
; %bb.1460:
	;; [unrolled: 3-line block ×3, first 2 shown]
	s_cmp_gt_i32 s20, 9
	s_cbranch_scc0 .LBB166_1466
; %bb.1462:
	s_wait_loadcnt 0x0
	global_load_b64 v[4:5], v[0:1], off
	s_mov_b32 s20, 0
	s_wait_loadcnt 0x0
	v_cvt_f32_f64_e32 v3, v[4:5]
	s_delay_alu instid0(VALU_DEP_1) | instskip(SKIP_1) | instid1(VALU_DEP_2)
	v_bfe_u32 v4, v3, 16, 1
	v_cmp_o_f32_e32 vcc_lo, v3, v3
	v_add3_u32 v4, v3, v4, 0x7fff
	s_delay_alu instid0(VALU_DEP_1) | instskip(NEXT) | instid1(VALU_DEP_1)
	v_lshrrev_b32_e32 v4, 16, v4
	v_cndmask_b32_e32 v4, 0x7fc0, v4, vcc_lo
	s_branch .LBB166_1467
.LBB166_1463:
                                        ; implicit-def: $vgpr4
	s_branch .LBB166_1484
.LBB166_1464:
                                        ; implicit-def: $vgpr4
	s_branch .LBB166_1473
.LBB166_1465:
	s_mov_b32 s20, -1
                                        ; implicit-def: $vgpr4
	s_branch .LBB166_1470
.LBB166_1466:
	s_mov_b32 s20, -1
                                        ; implicit-def: $vgpr4
.LBB166_1467:
	s_delay_alu instid0(SALU_CYCLE_1)
	s_and_not1_b32 vcc_lo, exec_lo, s20
	s_cbranch_vccnz .LBB166_1469
; %bb.1468:
	s_wait_loadcnt 0x0
	global_load_b32 v3, v[0:1], off
	s_wait_loadcnt 0x0
	v_bfe_u32 v4, v3, 16, 1
	v_cmp_o_f32_e32 vcc_lo, v3, v3
	s_delay_alu instid0(VALU_DEP_2) | instskip(NEXT) | instid1(VALU_DEP_1)
	v_add3_u32 v4, v3, v4, 0x7fff
	v_lshrrev_b32_e32 v4, 16, v4
	s_delay_alu instid0(VALU_DEP_1)
	v_cndmask_b32_e32 v4, 0x7fc0, v4, vcc_lo
.LBB166_1469:
	s_mov_b32 s20, 0
.LBB166_1470:
	s_delay_alu instid0(SALU_CYCLE_1)
	s_and_not1_b32 vcc_lo, exec_lo, s20
	s_cbranch_vccnz .LBB166_1472
; %bb.1471:
	s_wait_loadcnt 0x0
	global_load_b32 v3, v[0:1], off
	s_wait_loadcnt 0x0
	v_cvt_f32_f16_e32 v4, v3
	v_cmp_o_f16_e32 vcc_lo, v3, v3
	s_delay_alu instid0(VALU_DEP_2) | instskip(NEXT) | instid1(VALU_DEP_1)
	v_bfe_u32 v5, v4, 16, 1
	v_add3_u32 v4, v4, v5, 0x7fff
	s_delay_alu instid0(VALU_DEP_1) | instskip(NEXT) | instid1(VALU_DEP_1)
	v_lshrrev_b32_e32 v4, 16, v4
	v_cndmask_b32_e32 v4, 0x7fc0, v4, vcc_lo
.LBB166_1472:
	s_cbranch_execnz .LBB166_1483
.LBB166_1473:
	s_sext_i32_i16 s20, s10
	s_delay_alu instid0(SALU_CYCLE_1)
	s_cmp_lt_i32 s20, 6
	s_cbranch_scc1 .LBB166_1476
; %bb.1474:
	s_cmp_gt_i32 s20, 6
	s_cbranch_scc0 .LBB166_1477
; %bb.1475:
	s_wait_loadcnt 0x0
	global_load_b64 v[4:5], v[0:1], off
	s_mov_b32 s20, 0
	s_wait_loadcnt 0x0
	v_cvt_f32_f64_e32 v3, v[4:5]
	s_delay_alu instid0(VALU_DEP_1) | instskip(SKIP_1) | instid1(VALU_DEP_2)
	v_bfe_u32 v4, v3, 16, 1
	v_cmp_o_f32_e32 vcc_lo, v3, v3
	v_add3_u32 v4, v3, v4, 0x7fff
	s_delay_alu instid0(VALU_DEP_1) | instskip(NEXT) | instid1(VALU_DEP_1)
	v_lshrrev_b32_e32 v4, 16, v4
	v_cndmask_b32_e32 v4, 0x7fc0, v4, vcc_lo
	s_branch .LBB166_1478
.LBB166_1476:
	s_mov_b32 s20, -1
                                        ; implicit-def: $vgpr4
	s_branch .LBB166_1481
.LBB166_1477:
	s_mov_b32 s20, -1
                                        ; implicit-def: $vgpr4
.LBB166_1478:
	s_delay_alu instid0(SALU_CYCLE_1)
	s_and_not1_b32 vcc_lo, exec_lo, s20
	s_cbranch_vccnz .LBB166_1480
; %bb.1479:
	s_wait_loadcnt 0x0
	global_load_b32 v3, v[0:1], off
	s_wait_loadcnt 0x0
	v_bfe_u32 v4, v3, 16, 1
	v_cmp_o_f32_e32 vcc_lo, v3, v3
	s_delay_alu instid0(VALU_DEP_2) | instskip(NEXT) | instid1(VALU_DEP_1)
	v_add3_u32 v4, v3, v4, 0x7fff
	v_lshrrev_b32_e32 v4, 16, v4
	s_delay_alu instid0(VALU_DEP_1)
	v_cndmask_b32_e32 v4, 0x7fc0, v4, vcc_lo
.LBB166_1480:
	s_mov_b32 s20, 0
.LBB166_1481:
	s_delay_alu instid0(SALU_CYCLE_1)
	s_and_not1_b32 vcc_lo, exec_lo, s20
	s_cbranch_vccnz .LBB166_1483
; %bb.1482:
	s_wait_loadcnt 0x0
	global_load_u16 v3, v[0:1], off
	s_wait_loadcnt 0x0
	v_cvt_f32_f16_e32 v4, v3
	v_cmp_o_f16_e32 vcc_lo, v3, v3
	s_delay_alu instid0(VALU_DEP_2) | instskip(NEXT) | instid1(VALU_DEP_1)
	v_bfe_u32 v5, v4, 16, 1
	v_add3_u32 v4, v4, v5, 0x7fff
	s_delay_alu instid0(VALU_DEP_1) | instskip(NEXT) | instid1(VALU_DEP_1)
	v_lshrrev_b32_e32 v4, 16, v4
	v_cndmask_b32_e32 v4, 0x7fc0, v4, vcc_lo
.LBB166_1483:
	s_cbranch_execnz .LBB166_1502
.LBB166_1484:
	s_sext_i32_i16 s20, s10
	s_delay_alu instid0(SALU_CYCLE_1)
	s_cmp_lt_i32 s20, 2
	s_cbranch_scc1 .LBB166_1488
; %bb.1485:
	s_cmp_lt_i32 s20, 3
	s_cbranch_scc1 .LBB166_1489
; %bb.1486:
	s_cmp_gt_i32 s20, 3
	s_cbranch_scc0 .LBB166_1490
; %bb.1487:
	s_wait_loadcnt 0x0
	global_load_b64 v[4:5], v[0:1], off
	s_mov_b32 s20, 0
	s_wait_loadcnt 0x0
	v_xor_b32_e32 v3, v4, v5
	v_cls_i32_e32 v7, v5
	s_delay_alu instid0(VALU_DEP_2) | instskip(NEXT) | instid1(VALU_DEP_1)
	v_ashrrev_i32_e32 v3, 31, v3
	v_add_nc_u32_e32 v3, 32, v3
	s_delay_alu instid0(VALU_DEP_1) | instskip(NEXT) | instid1(VALU_DEP_1)
	v_add_min_u32_e64 v3, v7, -1, v3
	v_lshlrev_b64_e32 v[4:5], v3, v[4:5]
	v_sub_nc_u32_e32 v3, 32, v3
	s_delay_alu instid0(VALU_DEP_2) | instskip(NEXT) | instid1(VALU_DEP_1)
	v_min_u32_e32 v4, 1, v4
	v_or_b32_e32 v4, v5, v4
	s_delay_alu instid0(VALU_DEP_1) | instskip(NEXT) | instid1(VALU_DEP_1)
	v_cvt_f32_i32_e32 v4, v4
	v_ldexp_f32 v3, v4, v3
	s_delay_alu instid0(VALU_DEP_1) | instskip(NEXT) | instid1(VALU_DEP_1)
	v_bfe_u32 v4, v3, 16, 1
	v_add3_u32 v3, v3, v4, 0x7fff
	s_delay_alu instid0(VALU_DEP_1)
	v_lshrrev_b32_e32 v4, 16, v3
	s_branch .LBB166_1491
.LBB166_1488:
                                        ; implicit-def: $vgpr4
	s_branch .LBB166_1497
.LBB166_1489:
	s_mov_b32 s20, -1
                                        ; implicit-def: $vgpr4
	s_branch .LBB166_1494
.LBB166_1490:
	s_mov_b32 s20, -1
                                        ; implicit-def: $vgpr4
.LBB166_1491:
	s_delay_alu instid0(SALU_CYCLE_1)
	s_and_not1_b32 vcc_lo, exec_lo, s20
	s_cbranch_vccnz .LBB166_1493
; %bb.1492:
	s_wait_loadcnt 0x0
	global_load_b32 v3, v[0:1], off
	s_wait_loadcnt 0x0
	v_cvt_f32_i32_e32 v3, v3
	s_delay_alu instid0(VALU_DEP_1) | instskip(NEXT) | instid1(VALU_DEP_1)
	v_bfe_u32 v4, v3, 16, 1
	v_add3_u32 v3, v3, v4, 0x7fff
	s_delay_alu instid0(VALU_DEP_1)
	v_lshrrev_b32_e32 v4, 16, v3
.LBB166_1493:
	s_mov_b32 s20, 0
.LBB166_1494:
	s_delay_alu instid0(SALU_CYCLE_1)
	s_and_not1_b32 vcc_lo, exec_lo, s20
	s_cbranch_vccnz .LBB166_1496
; %bb.1495:
	s_wait_loadcnt 0x0
	global_load_i16 v3, v[0:1], off
	s_wait_loadcnt 0x0
	v_cvt_f32_i32_e32 v3, v3
	s_delay_alu instid0(VALU_DEP_1) | instskip(NEXT) | instid1(VALU_DEP_1)
	v_bfe_u32 v4, v3, 16, 1
	v_add3_u32 v3, v3, v4, 0x7fff
	s_delay_alu instid0(VALU_DEP_1)
	v_lshrrev_b32_e32 v4, 16, v3
.LBB166_1496:
	s_cbranch_execnz .LBB166_1502
.LBB166_1497:
	s_sext_i32_i16 s20, s10
	s_delay_alu instid0(SALU_CYCLE_1)
	s_cmp_gt_i32 s20, 0
	s_mov_b32 s20, 0
	s_cbranch_scc0 .LBB166_1499
; %bb.1498:
	s_wait_loadcnt 0x0
	global_load_i8 v3, v[0:1], off
	s_wait_loadcnt 0x0
	v_cvt_f32_i32_e32 v3, v3
	s_delay_alu instid0(VALU_DEP_1) | instskip(NEXT) | instid1(VALU_DEP_1)
	v_bfe_u32 v4, v3, 16, 1
	v_add3_u32 v3, v3, v4, 0x7fff
	s_delay_alu instid0(VALU_DEP_1)
	v_lshrrev_b32_e32 v4, 16, v3
	s_branch .LBB166_1500
.LBB166_1499:
	s_mov_b32 s20, -1
                                        ; implicit-def: $vgpr4
.LBB166_1500:
	s_delay_alu instid0(SALU_CYCLE_1)
	s_and_not1_b32 vcc_lo, exec_lo, s20
	s_cbranch_vccnz .LBB166_1502
; %bb.1501:
	global_load_u8 v0, v[0:1], off
	s_wait_loadcnt 0x0
	v_cvt_f32_ubyte0_e32 v0, v0
	s_delay_alu instid0(VALU_DEP_1) | instskip(NEXT) | instid1(VALU_DEP_1)
	v_bfe_u32 v1, v0, 16, 1
	v_add3_u32 v0, v0, v1, 0x7fff
	s_delay_alu instid0(VALU_DEP_1)
	v_lshrrev_b32_e32 v4, 16, v0
.LBB166_1502:
	s_or_b32 s24, s24, exec_lo
.LBB166_1503:
	s_wait_xcnt 0x0
	s_or_b32 exec_lo, exec_lo, s0
	s_mov_b32 s0, 0
	s_mov_b32 s22, 0
                                        ; implicit-def: $sgpr20
                                        ; implicit-def: $vgpr0_vgpr1
                                        ; implicit-def: $vgpr3
	s_and_saveexec_b32 s21, s24
	s_cbranch_execz .LBB166_1511
; %bb.1504:
	s_wait_loadcnt 0x0
	v_dual_lshlrev_b32 v0, 16, v2 :: v_dual_lshlrev_b32 v2, 16, v4
	s_and_b32 s20, s12, 0xff
	s_delay_alu instid0(SALU_CYCLE_1) | instskip(NEXT) | instid1(VALU_DEP_1)
	s_cmp_lt_i32 s20, 11
	v_mul_f32_e32 v0, s17, v0
	s_delay_alu instid0(VALU_DEP_1) | instskip(SKIP_1) | instid1(VALU_DEP_2)
	v_bfe_u32 v1, v0, 16, 1
	v_cmp_o_f32_e32 vcc_lo, v0, v0
	v_add3_u32 v1, v0, v1, 0x7fff
	s_delay_alu instid0(VALU_DEP_1) | instskip(NEXT) | instid1(VALU_DEP_1)
	v_and_b32_e32 v1, 0xffff0000, v1
	v_cndmask_b32_e32 v0, 0x7fc00000, v1, vcc_lo
	s_delay_alu instid0(VALU_DEP_1) | instskip(SKIP_1) | instid1(VALU_DEP_2)
	v_mul_f32_e32 v2, v0, v2
	v_mul_lo_u32 v0, v6, s11
	v_bfe_u32 v1, v2, 16, 1
	s_delay_alu instid0(VALU_DEP_1) | instskip(NEXT) | instid1(VALU_DEP_3)
	v_add3_u32 v3, v2, v1, 0x7fff
	v_ashrrev_i32_e32 v1, 31, v0
	v_cmp_o_f32_e32 vcc_lo, v2, v2
	s_delay_alu instid0(VALU_DEP_3) | instskip(NEXT) | instid1(VALU_DEP_3)
	v_lshrrev_b32_e32 v3, 16, v3
	v_add_nc_u64_e32 v[0:1], s[2:3], v[0:1]
	s_delay_alu instid0(VALU_DEP_2)
	v_cndmask_b32_e32 v3, 0x7fc0, v3, vcc_lo
	s_cbranch_scc1 .LBB166_1514
; %bb.1505:
	s_and_b32 s17, 0xffff, s20
	s_mov_b32 s22, -1
	s_cmp_gt_i32 s17, 25
	s_mov_b32 s0, s19
	s_cbranch_scc0 .LBB166_1542
; %bb.1506:
	s_cmp_gt_i32 s17, 28
	s_mov_b32 s0, s19
	s_cbranch_scc0 .LBB166_1526
; %bb.1507:
	;; [unrolled: 4-line block ×4, first 2 shown]
	s_cmp_eq_u32 s17, 46
	s_mov_b32 s0, -1
	s_cbranch_scc0 .LBB166_1515
; %bb.1510:
	v_and_b32_e32 v2, 0xffff, v3
	s_mov_b32 s0, 0
	s_mov_b32 s22, 0
	global_store_b32 v[0:1], v2, off
	s_branch .LBB166_1516
.LBB166_1511:
	s_or_b32 exec_lo, exec_lo, s21
	s_and_saveexec_b32 s17, s19
	s_cbranch_execnz .LBB166_1584
.LBB166_1512:
	s_or_b32 exec_lo, exec_lo, s17
	s_and_saveexec_b32 s17, s0
	s_delay_alu instid0(SALU_CYCLE_1)
	s_xor_b32 s0, exec_lo, s17
	s_cbranch_execz .LBB166_1585
.LBB166_1513:
	s_wait_loadcnt 0x0
	v_and_b32_e32 v2, 0x7fff, v3
	s_delay_alu instid0(VALU_DEP_1)
	v_cmp_ne_u16_e32 vcc_lo, 0, v2
	v_cndmask_b32_e64 v2, 0, 1, vcc_lo
	global_store_b8 v[0:1], v2, off
	s_wait_xcnt 0x0
	s_or_b32 exec_lo, exec_lo, s0
	s_and_saveexec_b32 s0, s22
	s_delay_alu instid0(SALU_CYCLE_1)
	s_xor_b32 s0, exec_lo, s0
	s_cbranch_execz .LBB166_1623
	s_branch .LBB166_1586
.LBB166_1514:
	s_mov_b32 s23, 0
	s_mov_b32 s22, -1
	s_mov_b32 s0, s19
	s_branch .LBB166_1583
.LBB166_1515:
	s_mov_b32 s22, 0
.LBB166_1516:
	s_delay_alu instid0(SALU_CYCLE_1)
	s_and_b32 vcc_lo, exec_lo, s22
	s_cbranch_vccz .LBB166_1521
; %bb.1517:
	s_cmp_eq_u32 s17, 44
	s_mov_b32 s0, -1
	s_cbranch_scc0 .LBB166_1521
; %bb.1518:
	s_wait_xcnt 0x0
	v_and_b32_e32 v2, 0xffff, v3
	v_mov_b32_e32 v4, 0xff
	s_mov_b32 s22, exec_lo
	s_delay_alu instid0(VALU_DEP_2) | instskip(NEXT) | instid1(VALU_DEP_1)
	v_bfe_u32 v5, v2, 7, 8
	v_cmpx_ne_u32_e32 0xff, v5
	s_cbranch_execz .LBB166_1520
; %bb.1519:
	v_dual_lshlrev_b32 v4, 16, v2 :: v_dual_bitop2_b32 v6, 64, v2 bitop3:0x40
	v_lshrrev_b32_e32 v2, 7, v2
	s_delay_alu instid0(VALU_DEP_2) | instskip(NEXT) | instid1(VALU_DEP_3)
	v_and_or_b32 v4, 0x3f0000, v4, v5
	v_cmp_ne_u32_e32 vcc_lo, 0, v6
	s_delay_alu instid0(VALU_DEP_2) | instskip(SKIP_1) | instid1(SALU_CYCLE_1)
	v_cmp_ne_u32_e64 s0, 0, v4
	s_and_b32 s0, vcc_lo, s0
	v_cndmask_b32_e64 v4, 0, 1, s0
	s_delay_alu instid0(VALU_DEP_1)
	v_add_nc_u32_e32 v4, v2, v4
.LBB166_1520:
	s_or_b32 exec_lo, exec_lo, s22
	s_mov_b32 s0, 0
	global_store_b8 v[0:1], v4, off
.LBB166_1521:
	s_mov_b32 s22, 0
.LBB166_1522:
	s_delay_alu instid0(SALU_CYCLE_1)
	s_and_b32 vcc_lo, exec_lo, s22
	s_cbranch_vccz .LBB166_1525
; %bb.1523:
	s_cmp_eq_u32 s17, 29
	s_mov_b32 s0, -1
	s_cbranch_scc0 .LBB166_1525
; %bb.1524:
	s_wait_xcnt 0x0
	v_lshlrev_b32_e32 v2, 16, v3
	s_mov_b32 s0, 0
	s_mov_b32 s22, 0
	s_delay_alu instid0(VALU_DEP_1) | instskip(NEXT) | instid1(VALU_DEP_1)
	v_trunc_f32_e32 v2, v2
	v_mul_f32_e32 v4, 0x2f800000, v2
	s_delay_alu instid0(VALU_DEP_1) | instskip(NEXT) | instid1(VALU_DEP_1)
	v_floor_f32_e32 v4, v4
	v_fmamk_f32 v2, v4, 0xcf800000, v2
	v_cvt_u32_f32_e32 v5, v4
	s_delay_alu instid0(VALU_DEP_2)
	v_cvt_u32_f32_e32 v4, v2
	global_store_b64 v[0:1], v[4:5], off
	s_branch .LBB166_1526
.LBB166_1525:
	s_mov_b32 s22, 0
.LBB166_1526:
	s_delay_alu instid0(SALU_CYCLE_1)
	s_and_b32 vcc_lo, exec_lo, s22
	s_cbranch_vccz .LBB166_1541
; %bb.1527:
	s_cmp_lt_i32 s17, 27
	s_mov_b32 s22, -1
	s_cbranch_scc1 .LBB166_1533
; %bb.1528:
	s_cmp_gt_i32 s17, 27
	s_cbranch_scc0 .LBB166_1530
; %bb.1529:
	s_wait_xcnt 0x0
	v_lshlrev_b32_e32 v2, 16, v3
	s_mov_b32 s22, 0
	s_delay_alu instid0(VALU_DEP_1)
	v_cvt_u32_f32_e32 v2, v2
	global_store_b32 v[0:1], v2, off
.LBB166_1530:
	s_and_not1_b32 vcc_lo, exec_lo, s22
	s_cbranch_vccnz .LBB166_1532
; %bb.1531:
	s_wait_xcnt 0x0
	v_lshlrev_b32_e32 v2, 16, v3
	s_delay_alu instid0(VALU_DEP_1)
	v_cvt_u32_f32_e32 v2, v2
	global_store_b16 v[0:1], v2, off
.LBB166_1532:
	s_mov_b32 s22, 0
.LBB166_1533:
	s_delay_alu instid0(SALU_CYCLE_1)
	s_and_not1_b32 vcc_lo, exec_lo, s22
	s_cbranch_vccnz .LBB166_1541
; %bb.1534:
	s_wait_xcnt 0x0
	v_dual_mov_b32 v6, 0x80 :: v_dual_lshlrev_b32 v5, 16, v3
	s_mov_b32 s22, exec_lo
	s_delay_alu instid0(VALU_DEP_1) | instskip(NEXT) | instid1(VALU_DEP_1)
	v_and_b32_e32 v4, 0x7fffffff, v5
	v_cmpx_gt_u32_e32 0x43800000, v4
	s_cbranch_execz .LBB166_1540
; %bb.1535:
	v_and_b32_e32 v2, 0xffff, v3
	v_cmp_lt_u32_e32 vcc_lo, 0x3bffffff, v4
	s_mov_b32 s23, 0
                                        ; implicit-def: $vgpr4
	s_and_saveexec_b32 s24, vcc_lo
	s_delay_alu instid0(SALU_CYCLE_1)
	s_xor_b32 s24, exec_lo, s24
	s_cbranch_execz .LBB166_1655
; %bb.1536:
	v_bfe_u32 v4, v2, 4, 1
	s_mov_b32 s23, exec_lo
	s_delay_alu instid0(VALU_DEP_1) | instskip(NEXT) | instid1(VALU_DEP_1)
	v_add3_u32 v4, v5, v4, 0x487ffff
                                        ; implicit-def: $vgpr5
	v_lshrrev_b32_e32 v4, 20, v4
	s_and_not1_saveexec_b32 s24, s24
	s_cbranch_execnz .LBB166_1656
.LBB166_1537:
	s_or_b32 exec_lo, exec_lo, s24
	v_mov_b32_e32 v6, 0
	s_and_saveexec_b32 s24, s23
.LBB166_1538:
	v_lshrrev_b32_e32 v2, 8, v2
	s_delay_alu instid0(VALU_DEP_1)
	v_and_or_b32 v6, 0x80, v2, v4
.LBB166_1539:
	s_or_b32 exec_lo, exec_lo, s24
.LBB166_1540:
	s_delay_alu instid0(SALU_CYCLE_1)
	s_or_b32 exec_lo, exec_lo, s22
	global_store_b8 v[0:1], v6, off
.LBB166_1541:
	s_mov_b32 s22, 0
.LBB166_1542:
	s_delay_alu instid0(SALU_CYCLE_1)
	s_and_b32 vcc_lo, exec_lo, s22
	s_mov_b32 s22, 0
	s_cbranch_vccz .LBB166_1582
; %bb.1543:
	s_cmp_gt_i32 s17, 22
	s_mov_b32 s23, -1
	s_cbranch_scc0 .LBB166_1575
; %bb.1544:
	s_cmp_lt_i32 s17, 24
	s_cbranch_scc1 .LBB166_1564
; %bb.1545:
	s_cmp_gt_i32 s17, 24
	s_cbranch_scc0 .LBB166_1553
; %bb.1546:
	s_wait_xcnt 0x0
	v_dual_mov_b32 v6, 0x80 :: v_dual_lshlrev_b32 v5, 16, v3
	s_mov_b32 s23, exec_lo
	s_delay_alu instid0(VALU_DEP_1) | instskip(NEXT) | instid1(VALU_DEP_1)
	v_and_b32_e32 v4, 0x7fffffff, v5
	v_cmpx_gt_u32_e32 0x47800000, v4
	s_cbranch_execz .LBB166_1552
; %bb.1547:
	v_and_b32_e32 v2, 0xffff, v3
	v_cmp_lt_u32_e32 vcc_lo, 0x37ffffff, v4
	s_mov_b32 s24, 0
                                        ; implicit-def: $vgpr4
	s_and_saveexec_b32 s25, vcc_lo
	s_delay_alu instid0(SALU_CYCLE_1)
	s_xor_b32 s25, exec_lo, s25
	s_cbranch_execz .LBB166_1658
; %bb.1548:
	v_bfe_u32 v4, v2, 5, 1
	s_mov_b32 s24, exec_lo
	s_delay_alu instid0(VALU_DEP_1) | instskip(NEXT) | instid1(VALU_DEP_1)
	v_add3_u32 v4, v5, v4, 0x88fffff
                                        ; implicit-def: $vgpr5
	v_lshrrev_b32_e32 v4, 21, v4
	s_and_not1_saveexec_b32 s25, s25
	s_cbranch_execnz .LBB166_1659
.LBB166_1549:
	s_or_b32 exec_lo, exec_lo, s25
	v_mov_b32_e32 v6, 0
	s_and_saveexec_b32 s25, s24
.LBB166_1550:
	v_lshrrev_b32_e32 v2, 8, v2
	s_delay_alu instid0(VALU_DEP_1)
	v_and_or_b32 v6, 0x80, v2, v4
.LBB166_1551:
	s_or_b32 exec_lo, exec_lo, s25
.LBB166_1552:
	s_delay_alu instid0(SALU_CYCLE_1)
	s_or_b32 exec_lo, exec_lo, s23
	s_mov_b32 s23, 0
	global_store_b8 v[0:1], v6, off
.LBB166_1553:
	s_and_b32 vcc_lo, exec_lo, s23
	s_cbranch_vccz .LBB166_1563
; %bb.1554:
	s_wait_xcnt 0x0
	v_lshlrev_b32_e32 v5, 16, v3
	v_and_b32_e32 v2, 0xffff, v3
	s_mov_b32 s23, exec_lo
                                        ; implicit-def: $vgpr4
	s_delay_alu instid0(VALU_DEP_2) | instskip(NEXT) | instid1(VALU_DEP_1)
	v_and_b32_e32 v6, 0x7fffffff, v5
	v_cmpx_gt_u32_e32 0x43f00000, v6
	s_xor_b32 s23, exec_lo, s23
	s_cbranch_execz .LBB166_1560
; %bb.1555:
	s_mov_b32 s24, exec_lo
                                        ; implicit-def: $vgpr4
	v_cmpx_lt_u32_e32 0x3c7fffff, v6
	s_xor_b32 s24, exec_lo, s24
; %bb.1556:
	v_bfe_u32 v4, v2, 4, 1
	s_delay_alu instid0(VALU_DEP_1) | instskip(NEXT) | instid1(VALU_DEP_1)
	v_add3_u32 v4, v5, v4, 0x407ffff
	v_and_b32_e32 v5, 0xff00000, v4
	v_lshrrev_b32_e32 v4, 20, v4
	s_delay_alu instid0(VALU_DEP_2) | instskip(NEXT) | instid1(VALU_DEP_2)
	v_cmp_ne_u32_e32 vcc_lo, 0x7f00000, v5
                                        ; implicit-def: $vgpr5
	v_cndmask_b32_e32 v4, 0x7e, v4, vcc_lo
; %bb.1557:
	s_and_not1_saveexec_b32 s24, s24
; %bb.1558:
	v_add_f32_e64 v4, 0x46800000, |v5|
; %bb.1559:
	s_or_b32 exec_lo, exec_lo, s24
                                        ; implicit-def: $vgpr6
.LBB166_1560:
	s_and_not1_saveexec_b32 s23, s23
; %bb.1561:
	v_mov_b32_e32 v4, 0x7f
	v_cmp_lt_u32_e32 vcc_lo, 0x7f800000, v6
	s_delay_alu instid0(VALU_DEP_2)
	v_cndmask_b32_e32 v4, 0x7e, v4, vcc_lo
; %bb.1562:
	s_or_b32 exec_lo, exec_lo, s23
	v_lshrrev_b32_e32 v2, 8, v2
	s_delay_alu instid0(VALU_DEP_1)
	v_and_or_b32 v2, 0x80, v2, v4
	global_store_b8 v[0:1], v2, off
.LBB166_1563:
	s_mov_b32 s23, 0
.LBB166_1564:
	s_delay_alu instid0(SALU_CYCLE_1)
	s_and_not1_b32 vcc_lo, exec_lo, s23
	s_cbranch_vccnz .LBB166_1574
; %bb.1565:
	s_wait_xcnt 0x0
	v_lshlrev_b32_e32 v5, 16, v3
	v_and_b32_e32 v2, 0xffff, v3
	s_mov_b32 s23, exec_lo
                                        ; implicit-def: $vgpr4
	s_delay_alu instid0(VALU_DEP_2) | instskip(NEXT) | instid1(VALU_DEP_1)
	v_and_b32_e32 v6, 0x7fffffff, v5
	v_cmpx_gt_u32_e32 0x47800000, v6
	s_xor_b32 s23, exec_lo, s23
	s_cbranch_execz .LBB166_1571
; %bb.1566:
	s_mov_b32 s24, exec_lo
                                        ; implicit-def: $vgpr4
	v_cmpx_lt_u32_e32 0x387fffff, v6
	s_xor_b32 s24, exec_lo, s24
; %bb.1567:
	v_bfe_u32 v4, v2, 5, 1
	s_delay_alu instid0(VALU_DEP_1) | instskip(NEXT) | instid1(VALU_DEP_1)
	v_add3_u32 v4, v5, v4, 0x80fffff
                                        ; implicit-def: $vgpr5
	v_lshrrev_b32_e32 v4, 21, v4
; %bb.1568:
	s_and_not1_saveexec_b32 s24, s24
; %bb.1569:
	v_add_f32_e64 v4, 0x43000000, |v5|
; %bb.1570:
	s_or_b32 exec_lo, exec_lo, s24
                                        ; implicit-def: $vgpr6
.LBB166_1571:
	s_and_not1_saveexec_b32 s23, s23
; %bb.1572:
	v_mov_b32_e32 v4, 0x7f
	v_cmp_lt_u32_e32 vcc_lo, 0x7f800000, v6
	s_delay_alu instid0(VALU_DEP_2)
	v_cndmask_b32_e32 v4, 0x7c, v4, vcc_lo
; %bb.1573:
	s_or_b32 exec_lo, exec_lo, s23
	v_lshrrev_b32_e32 v2, 8, v2
	s_delay_alu instid0(VALU_DEP_1)
	v_and_or_b32 v2, 0x80, v2, v4
	global_store_b8 v[0:1], v2, off
.LBB166_1574:
	s_mov_b32 s23, 0
.LBB166_1575:
	s_delay_alu instid0(SALU_CYCLE_1)
	s_and_not1_b32 vcc_lo, exec_lo, s23
	s_mov_b32 s23, 0
	s_cbranch_vccnz .LBB166_1583
; %bb.1576:
	s_cmp_gt_i32 s17, 14
	s_mov_b32 s23, -1
	s_cbranch_scc0 .LBB166_1580
; %bb.1577:
	s_cmp_eq_u32 s17, 15
	s_mov_b32 s0, -1
	s_cbranch_scc0 .LBB166_1579
; %bb.1578:
	s_mov_b32 s0, 0
	global_store_b16 v[0:1], v3, off
.LBB166_1579:
	s_mov_b32 s23, 0
.LBB166_1580:
	s_delay_alu instid0(SALU_CYCLE_1)
	s_and_b32 vcc_lo, exec_lo, s23
	s_mov_b32 s23, 0
	s_cbranch_vccz .LBB166_1583
; %bb.1581:
	s_cmp_lg_u32 s17, 11
	s_mov_b32 s23, -1
	s_cselect_b32 s17, -1, 0
	s_and_not1_b32 s0, s0, exec_lo
	s_and_b32 s17, s17, exec_lo
	s_delay_alu instid0(SALU_CYCLE_1)
	s_or_b32 s0, s0, s17
	s_branch .LBB166_1583
.LBB166_1582:
	s_mov_b32 s23, 0
.LBB166_1583:
	s_and_not1_b32 s17, s19, exec_lo
	s_and_b32 s19, s0, exec_lo
	s_and_b32 s22, s22, exec_lo
	;; [unrolled: 1-line block ×3, first 2 shown]
	s_or_b32 s19, s17, s19
	s_wait_xcnt 0x0
	s_or_b32 exec_lo, exec_lo, s21
	s_and_saveexec_b32 s17, s19
	s_cbranch_execz .LBB166_1512
.LBB166_1584:
	s_or_b32 s18, s18, exec_lo
	s_and_not1_b32 s0, s0, exec_lo
	s_trap 2
	s_or_b32 exec_lo, exec_lo, s17
	s_and_saveexec_b32 s17, s0
	s_delay_alu instid0(SALU_CYCLE_1)
	s_xor_b32 s0, exec_lo, s17
	s_cbranch_execnz .LBB166_1513
.LBB166_1585:
	s_or_b32 exec_lo, exec_lo, s0
	s_and_saveexec_b32 s0, s22
	s_delay_alu instid0(SALU_CYCLE_1)
	s_xor_b32 s0, exec_lo, s0
	s_cbranch_execz .LBB166_1623
.LBB166_1586:
	s_sext_i32_i16 s19, s20
	s_mov_b32 s17, -1
	s_cmp_lt_i32 s19, 5
	s_cbranch_scc1 .LBB166_1607
; %bb.1587:
	s_cmp_lt_i32 s19, 8
	s_cbranch_scc1 .LBB166_1597
; %bb.1588:
	;; [unrolled: 3-line block ×3, first 2 shown]
	s_cmp_gt_i32 s19, 9
	s_cbranch_scc0 .LBB166_1591
; %bb.1590:
	s_wait_loadcnt 0x0
	v_dual_lshlrev_b32 v2, 16, v3 :: v_dual_mov_b32 v6, 0
	s_mov_b32 s17, 0
	s_delay_alu instid0(VALU_DEP_1) | instskip(NEXT) | instid1(VALU_DEP_2)
	v_cvt_f64_f32_e32 v[4:5], v2
	v_mov_b32_e32 v7, v6
	global_store_b128 v[0:1], v[4:7], off
.LBB166_1591:
	s_and_not1_b32 vcc_lo, exec_lo, s17
	s_cbranch_vccnz .LBB166_1593
; %bb.1592:
	s_wait_loadcnt 0x0
	v_dual_mov_b32 v5, 0 :: v_dual_lshlrev_b32 v4, 16, v3
	global_store_b64 v[0:1], v[4:5], off
.LBB166_1593:
	s_mov_b32 s17, 0
.LBB166_1594:
	s_delay_alu instid0(SALU_CYCLE_1)
	s_and_not1_b32 vcc_lo, exec_lo, s17
	s_cbranch_vccnz .LBB166_1596
; %bb.1595:
	s_wait_loadcnt 0x0
	v_lshlrev_b32_e32 v2, 16, v3
	s_delay_alu instid0(VALU_DEP_1) | instskip(NEXT) | instid1(VALU_DEP_1)
	v_cvt_f16_f32_e32 v2, v2
	v_and_b32_e32 v2, 0xffff, v2
	global_store_b32 v[0:1], v2, off
.LBB166_1596:
	s_mov_b32 s17, 0
.LBB166_1597:
	s_delay_alu instid0(SALU_CYCLE_1)
	s_and_not1_b32 vcc_lo, exec_lo, s17
	s_cbranch_vccnz .LBB166_1606
; %bb.1598:
	s_sext_i32_i16 s19, s20
	s_mov_b32 s17, -1
	s_cmp_lt_i32 s19, 6
	s_cbranch_scc1 .LBB166_1604
; %bb.1599:
	s_cmp_gt_i32 s19, 6
	s_cbranch_scc0 .LBB166_1601
; %bb.1600:
	s_wait_loadcnt 0x0
	v_lshlrev_b32_e32 v2, 16, v3
	s_mov_b32 s17, 0
	s_delay_alu instid0(VALU_DEP_1)
	v_cvt_f64_f32_e32 v[4:5], v2
	global_store_b64 v[0:1], v[4:5], off
.LBB166_1601:
	s_and_not1_b32 vcc_lo, exec_lo, s17
	s_cbranch_vccnz .LBB166_1603
; %bb.1602:
	s_wait_loadcnt 0x0
	v_lshlrev_b32_e32 v2, 16, v3
	global_store_b32 v[0:1], v2, off
.LBB166_1603:
	s_mov_b32 s17, 0
.LBB166_1604:
	s_delay_alu instid0(SALU_CYCLE_1)
	s_and_not1_b32 vcc_lo, exec_lo, s17
	s_cbranch_vccnz .LBB166_1606
; %bb.1605:
	s_wait_loadcnt 0x0
	v_lshlrev_b32_e32 v2, 16, v3
	s_delay_alu instid0(VALU_DEP_1)
	v_cvt_f16_f32_e32 v2, v2
	global_store_b16 v[0:1], v2, off
.LBB166_1606:
	s_mov_b32 s17, 0
.LBB166_1607:
	s_delay_alu instid0(SALU_CYCLE_1)
	s_and_not1_b32 vcc_lo, exec_lo, s17
	s_cbranch_vccnz .LBB166_1623
; %bb.1608:
	s_sext_i32_i16 s19, s20
	s_mov_b32 s17, -1
	s_cmp_lt_i32 s19, 2
	s_cbranch_scc1 .LBB166_1618
; %bb.1609:
	s_cmp_lt_i32 s19, 3
	s_cbranch_scc1 .LBB166_1615
; %bb.1610:
	s_cmp_gt_i32 s19, 3
	s_cbranch_scc0 .LBB166_1612
; %bb.1611:
	s_wait_loadcnt 0x0
	v_lshlrev_b32_e32 v2, 16, v3
	s_mov_b32 s17, 0
	s_delay_alu instid0(VALU_DEP_1) | instskip(NEXT) | instid1(VALU_DEP_1)
	v_trunc_f32_e32 v2, v2
	v_mul_f32_e64 v4, 0x2f800000, |v2|
	s_delay_alu instid0(VALU_DEP_1) | instskip(SKIP_1) | instid1(VALU_DEP_2)
	v_floor_f32_e32 v5, v4
	v_ashrrev_i32_e32 v4, 31, v2
	v_fma_f32 v6, 0xcf800000, v5, |v2|
	v_cvt_u32_f32_e32 v2, v5
	s_delay_alu instid0(VALU_DEP_3) | instskip(NEXT) | instid1(VALU_DEP_3)
	v_mov_b32_e32 v5, v4
	v_cvt_u32_f32_e32 v6, v6
	s_delay_alu instid0(VALU_DEP_3) | instskip(NEXT) | instid1(VALU_DEP_2)
	v_xor_b32_e32 v7, v2, v4
	v_xor_b32_e32 v6, v6, v4
	s_delay_alu instid0(VALU_DEP_1)
	v_sub_nc_u64_e32 v[4:5], v[6:7], v[4:5]
	global_store_b64 v[0:1], v[4:5], off
.LBB166_1612:
	s_and_not1_b32 vcc_lo, exec_lo, s17
	s_cbranch_vccnz .LBB166_1614
; %bb.1613:
	s_wait_loadcnt 0x0
	v_lshlrev_b32_e32 v2, 16, v3
	s_delay_alu instid0(VALU_DEP_1)
	v_cvt_i32_f32_e32 v2, v2
	global_store_b32 v[0:1], v2, off
.LBB166_1614:
	s_mov_b32 s17, 0
.LBB166_1615:
	s_delay_alu instid0(SALU_CYCLE_1)
	s_and_not1_b32 vcc_lo, exec_lo, s17
	s_cbranch_vccnz .LBB166_1617
; %bb.1616:
	s_wait_loadcnt 0x0
	v_lshlrev_b32_e32 v2, 16, v3
	s_delay_alu instid0(VALU_DEP_1)
	v_cvt_i32_f32_e32 v2, v2
	global_store_b16 v[0:1], v2, off
.LBB166_1617:
	s_mov_b32 s17, 0
.LBB166_1618:
	s_delay_alu instid0(SALU_CYCLE_1)
	s_and_not1_b32 vcc_lo, exec_lo, s17
	s_cbranch_vccnz .LBB166_1623
; %bb.1619:
	s_wait_loadcnt 0x0
	v_lshlrev_b32_e32 v2, 16, v3
	s_sext_i32_i16 s17, s20
	s_delay_alu instid0(SALU_CYCLE_1)
	s_cmp_gt_i32 s17, 0
	s_mov_b32 s17, -1
	s_cbranch_scc0 .LBB166_1621
; %bb.1620:
	v_cvt_i32_f32_e32 v3, v2
	s_mov_b32 s17, 0
	global_store_b8 v[0:1], v3, off
.LBB166_1621:
	s_and_not1_b32 vcc_lo, exec_lo, s17
	s_cbranch_vccnz .LBB166_1623
; %bb.1622:
	v_trunc_f32_e32 v2, v2
	s_wait_xcnt 0x0
	s_delay_alu instid0(VALU_DEP_1) | instskip(NEXT) | instid1(VALU_DEP_1)
	v_mul_f32_e64 v3, 0x2f800000, |v2|
	v_floor_f32_e32 v3, v3
	s_delay_alu instid0(VALU_DEP_1) | instskip(SKIP_1) | instid1(VALU_DEP_2)
	v_fma_f32 v3, 0xcf800000, v3, |v2|
	v_ashrrev_i32_e32 v2, 31, v2
	v_cvt_u32_f32_e32 v3, v3
	s_delay_alu instid0(VALU_DEP_1) | instskip(NEXT) | instid1(VALU_DEP_1)
	v_xor_b32_e32 v3, v3, v2
	v_sub_nc_u32_e32 v2, v3, v2
	global_store_b8 v[0:1], v2, off
.LBB166_1623:
	s_wait_xcnt 0x0
	s_or_b32 exec_lo, exec_lo, s0
	s_delay_alu instid0(SALU_CYCLE_1)
	s_and_b32 s17, s18, exec_lo
                                        ; implicit-def: $vgpr6
.LBB166_1624:
	s_or_saveexec_b32 s16, s16
	s_mov_b32 s0, 0
                                        ; implicit-def: $sgpr18
                                        ; implicit-def: $vgpr0_vgpr1
                                        ; implicit-def: $vgpr4
	s_xor_b32 exec_lo, exec_lo, s16
	s_cbranch_execz .LBB166_3192
; %bb.1625:
	s_and_b32 s15, s15, 0xff
	s_delay_alu instid0(SALU_CYCLE_1)
	s_cmp_lt_i32 s15, 23
	s_cbranch_scc1 .LBB166_1629
; %bb.1626:
	s_and_b32 s18, 0xffff, s15
	s_delay_alu instid0(SALU_CYCLE_1)
	s_cmp_gt_i32 s18, 43
	s_cbranch_scc0 .LBB166_1630
; %bb.1627:
	s_cmp_gt_i32 s18, 45
	s_cbranch_scc0 .LBB166_1631
; %bb.1628:
	s_cmp_lg_u32 s18, 46
	s_mov_b32 s0, -1
	s_cselect_b32 s14, -1, 0
	s_cbranch_execz .LBB166_1632
	s_branch .LBB166_1633
.LBB166_1629:
	s_cbranch_execnz .LBB166_1636
	s_branch .LBB166_1640
.LBB166_1630:
	s_cbranch_execnz .LBB166_1634
	s_branch .LBB166_1635
.LBB166_1631:
.LBB166_1632:
	s_cmp_eq_u32 s18, 44
	s_cselect_b32 s0, -1, 0
	s_cmp_lg_u32 s18, 44
	s_cselect_b32 s14, -1, 0
.LBB166_1633:
	s_branch .LBB166_1635
.LBB166_1634:
	s_cmp_lt_i32 s18, 30
	s_cselect_b32 s0, -1, 0
	s_cmp_gt_i32 s18, 29
	s_cselect_b32 s14, -1, 0
.LBB166_1635:
	s_branch .LBB166_1640
.LBB166_1636:
	s_and_b32 s18, 0xffff, s15
	s_mov_b32 s19, -1
	s_cmp_gt_i32 s18, 14
	s_cbranch_scc0 .LBB166_1638
; %bb.1637:
	s_cmp_eq_u32 s18, 15
	s_mov_b32 s19, 0
	s_cselect_b32 s0, -1, 0
	s_cmp_lg_u32 s18, 15
	s_cselect_b32 s14, -1, 0
.LBB166_1638:
	s_and_not1_b32 vcc_lo, exec_lo, s19
	s_cbranch_vccnz .LBB166_1640
; %bb.1639:
	s_cmp_lt_i32 s18, 12
	s_cselect_b32 s0, -1, 0
	s_cmp_gt_i32 s18, 11
	s_cselect_b32 s14, -1, 0
.LBB166_1640:
	s_delay_alu instid0(SALU_CYCLE_1)
	s_and_b32 vcc_lo, exec_lo, s14
	s_mov_b32 s14, s17
	s_cbranch_vccnz .LBB166_1653
; %bb.1641:
	s_and_not1_b32 vcc_lo, exec_lo, s0
	s_cbranch_vccnz .LBB166_3190
.LBB166_1642:
	v_mul_lo_u32 v0, s8, v6
	s_and_b32 s13, s13, 0xff
	s_delay_alu instid0(SALU_CYCLE_1) | instskip(NEXT) | instid1(VALU_DEP_1)
	s_cmp_lt_i32 s13, 11
	v_ashrrev_i32_e32 v1, 31, v0
	s_wait_loadcnt 0x0
	s_delay_alu instid0(VALU_DEP_1)
	v_add_nc_u64_e32 v[2:3], s[4:5], v[0:1]
	s_cbranch_scc1 .LBB166_1649
; %bb.1643:
	s_and_b32 s0, 0xffff, s13
	s_mov_b32 s19, 0
	s_cmp_gt_i32 s0, 25
	s_cbranch_scc0 .LBB166_1651
; %bb.1644:
	s_cmp_gt_i32 s0, 28
	s_cbranch_scc0 .LBB166_1652
; %bb.1645:
	;; [unrolled: 3-line block ×4, first 2 shown]
	s_cmp_eq_u32 s0, 46
	s_mov_b32 s21, 0
	s_cbranch_scc0 .LBB166_1660
; %bb.1648:
	global_load_b32 v7, v[2:3], off
	s_mov_b32 s18, 0
	s_mov_b32 s20, -1
	s_branch .LBB166_1662
.LBB166_1649:
	s_mov_b32 s20, 0
                                        ; implicit-def: $vgpr7
	s_cbranch_execnz .LBB166_1727
.LBB166_1650:
	s_and_not1_b32 vcc_lo, exec_lo, s20
	s_cbranch_vccz .LBB166_1774
	s_branch .LBB166_3190
.LBB166_1651:
	s_mov_b32 s20, 0
	s_mov_b32 s18, 0
                                        ; implicit-def: $vgpr7
	s_cbranch_execnz .LBB166_1691
	s_branch .LBB166_1723
.LBB166_1652:
	s_mov_b32 s21, -1
	s_mov_b32 s20, 0
	s_mov_b32 s18, 0
                                        ; implicit-def: $vgpr7
	s_branch .LBB166_1672
.LBB166_1653:
	s_or_b32 s14, s17, exec_lo
	s_trap 2
	s_cbranch_execz .LBB166_1642
	s_branch .LBB166_3190
.LBB166_1654:
	s_mov_b32 s21, -1
	s_mov_b32 s20, 0
	s_mov_b32 s18, 0
                                        ; implicit-def: $vgpr7
	s_branch .LBB166_1667
.LBB166_1655:
	s_and_not1_saveexec_b32 s24, s24
	s_cbranch_execz .LBB166_1537
.LBB166_1656:
	v_add_f32_e64 v4, 0x46000000, |v5|
	s_and_not1_b32 s23, s23, exec_lo
	s_delay_alu instid0(VALU_DEP_1) | instskip(NEXT) | instid1(VALU_DEP_1)
	v_and_b32_e32 v4, 0xff, v4
	v_cmp_ne_u32_e32 vcc_lo, 0, v4
	s_and_b32 s25, vcc_lo, exec_lo
	s_delay_alu instid0(SALU_CYCLE_1)
	s_or_b32 s23, s23, s25
	s_or_b32 exec_lo, exec_lo, s24
	v_mov_b32_e32 v6, 0
	s_and_saveexec_b32 s24, s23
	s_cbranch_execnz .LBB166_1538
	s_branch .LBB166_1539
.LBB166_1657:
	s_mov_b32 s21, -1
	s_mov_b32 s20, 0
	s_mov_b32 s18, 0
	s_branch .LBB166_1661
.LBB166_1658:
	s_and_not1_saveexec_b32 s25, s25
	s_cbranch_execz .LBB166_1549
.LBB166_1659:
	v_add_f32_e64 v4, 0x42800000, |v5|
	s_and_not1_b32 s24, s24, exec_lo
	s_delay_alu instid0(VALU_DEP_1) | instskip(NEXT) | instid1(VALU_DEP_1)
	v_and_b32_e32 v4, 0xff, v4
	v_cmp_ne_u32_e32 vcc_lo, 0, v4
	s_and_b32 s26, vcc_lo, exec_lo
	s_delay_alu instid0(SALU_CYCLE_1)
	s_or_b32 s24, s24, s26
	s_or_b32 exec_lo, exec_lo, s25
	v_mov_b32_e32 v6, 0
	s_and_saveexec_b32 s25, s24
	s_cbranch_execnz .LBB166_1550
	s_branch .LBB166_1551
.LBB166_1660:
	s_mov_b32 s18, -1
	s_mov_b32 s20, 0
.LBB166_1661:
                                        ; implicit-def: $vgpr7
.LBB166_1662:
	s_and_b32 vcc_lo, exec_lo, s21
	s_cbranch_vccz .LBB166_1666
; %bb.1663:
	s_cmp_eq_u32 s0, 44
	s_cbranch_scc0 .LBB166_1665
; %bb.1664:
	global_load_u8 v1, v[2:3], off
	s_mov_b32 s18, 0
	s_mov_b32 s20, -1
	s_wait_loadcnt 0x0
	v_lshlrev_b32_e32 v4, 23, v1
	v_cmp_ne_u32_e32 vcc_lo, 0xff, v1
	s_delay_alu instid0(VALU_DEP_2) | instskip(SKIP_1) | instid1(VALU_DEP_2)
	v_cndmask_b32_e32 v4, 0x7f800001, v4, vcc_lo
	v_cmp_ne_u32_e32 vcc_lo, 0, v1
	v_cndmask_b32_e32 v1, 0x400000, v4, vcc_lo
	s_delay_alu instid0(VALU_DEP_1) | instskip(NEXT) | instid1(VALU_DEP_1)
	v_add_nc_u32_e32 v4, 0x7fff, v1
	v_lshrrev_b32_e32 v4, 16, v4
	v_cmp_o_f32_e32 vcc_lo, v1, v1
	s_delay_alu instid0(VALU_DEP_2)
	v_cndmask_b32_e32 v7, 0x7fc0, v4, vcc_lo
	s_branch .LBB166_1666
.LBB166_1665:
	s_mov_b32 s18, -1
                                        ; implicit-def: $vgpr7
.LBB166_1666:
	s_mov_b32 s21, 0
.LBB166_1667:
	s_delay_alu instid0(SALU_CYCLE_1)
	s_and_b32 vcc_lo, exec_lo, s21
	s_cbranch_vccz .LBB166_1671
; %bb.1668:
	s_cmp_eq_u32 s0, 29
	s_cbranch_scc0 .LBB166_1670
; %bb.1669:
	global_load_b64 v[4:5], v[2:3], off
	s_mov_b32 s18, 0
	s_mov_b32 s20, -1
	s_mov_b32 s21, 0
	s_wait_loadcnt 0x0
	v_clz_i32_u32_e32 v1, v5
	s_delay_alu instid0(VALU_DEP_1) | instskip(NEXT) | instid1(VALU_DEP_1)
	v_min_u32_e32 v1, 32, v1
	v_lshlrev_b64_e32 v[4:5], v1, v[4:5]
	v_sub_nc_u32_e32 v1, 32, v1
	s_delay_alu instid0(VALU_DEP_2) | instskip(NEXT) | instid1(VALU_DEP_1)
	v_min_u32_e32 v4, 1, v4
	v_or_b32_e32 v4, v5, v4
	s_delay_alu instid0(VALU_DEP_1) | instskip(NEXT) | instid1(VALU_DEP_1)
	v_cvt_f32_u32_e32 v4, v4
	v_ldexp_f32 v1, v4, v1
	s_delay_alu instid0(VALU_DEP_1) | instskip(NEXT) | instid1(VALU_DEP_1)
	v_bfe_u32 v4, v1, 16, 1
	v_add3_u32 v1, v1, v4, 0x7fff
	s_delay_alu instid0(VALU_DEP_1)
	v_lshrrev_b32_e32 v7, 16, v1
	s_branch .LBB166_1672
.LBB166_1670:
	s_mov_b32 s18, -1
                                        ; implicit-def: $vgpr7
.LBB166_1671:
	s_mov_b32 s21, 0
.LBB166_1672:
	s_delay_alu instid0(SALU_CYCLE_1)
	s_and_b32 vcc_lo, exec_lo, s21
	s_cbranch_vccz .LBB166_1690
; %bb.1673:
	s_cmp_lt_i32 s0, 27
	s_cbranch_scc1 .LBB166_1676
; %bb.1674:
	s_cmp_gt_i32 s0, 27
	s_cbranch_scc0 .LBB166_1677
; %bb.1675:
	global_load_b32 v1, v[2:3], off
	s_mov_b32 s20, 0
	s_wait_loadcnt 0x0
	v_cvt_f32_u32_e32 v1, v1
	s_delay_alu instid0(VALU_DEP_1) | instskip(NEXT) | instid1(VALU_DEP_1)
	v_bfe_u32 v4, v1, 16, 1
	v_add3_u32 v1, v1, v4, 0x7fff
	s_delay_alu instid0(VALU_DEP_1)
	v_lshrrev_b32_e32 v7, 16, v1
	s_branch .LBB166_1678
.LBB166_1676:
	s_mov_b32 s20, -1
                                        ; implicit-def: $vgpr7
	s_branch .LBB166_1681
.LBB166_1677:
	s_mov_b32 s20, -1
                                        ; implicit-def: $vgpr7
.LBB166_1678:
	s_delay_alu instid0(SALU_CYCLE_1)
	s_and_not1_b32 vcc_lo, exec_lo, s20
	s_cbranch_vccnz .LBB166_1680
; %bb.1679:
	global_load_u16 v1, v[2:3], off
	s_wait_loadcnt 0x0
	v_cvt_f32_u32_e32 v1, v1
	s_delay_alu instid0(VALU_DEP_1) | instskip(NEXT) | instid1(VALU_DEP_1)
	v_bfe_u32 v4, v1, 16, 1
	v_add3_u32 v1, v1, v4, 0x7fff
	s_delay_alu instid0(VALU_DEP_1)
	v_lshrrev_b32_e32 v7, 16, v1
.LBB166_1680:
	s_mov_b32 s20, 0
.LBB166_1681:
	s_delay_alu instid0(SALU_CYCLE_1)
	s_and_not1_b32 vcc_lo, exec_lo, s20
	s_cbranch_vccnz .LBB166_1689
; %bb.1682:
	global_load_u8 v1, v[2:3], off
	s_mov_b32 s20, 0
	s_mov_b32 s21, exec_lo
	s_wait_loadcnt 0x0
	v_cmpx_lt_i16_e32 0x7f, v1
	s_xor_b32 s21, exec_lo, s21
	s_cbranch_execz .LBB166_1702
; %bb.1683:
	s_mov_b32 s20, -1
	s_mov_b32 s22, exec_lo
	v_cmpx_eq_u16_e32 0x80, v1
; %bb.1684:
	s_xor_b32 s20, exec_lo, -1
; %bb.1685:
	s_or_b32 exec_lo, exec_lo, s22
	s_delay_alu instid0(SALU_CYCLE_1)
	s_and_b32 s20, s20, exec_lo
	s_or_saveexec_b32 s21, s21
	v_mov_b32_e32 v4, 0x7f800001
	s_xor_b32 exec_lo, exec_lo, s21
	s_cbranch_execnz .LBB166_1703
.LBB166_1686:
	s_or_b32 exec_lo, exec_lo, s21
	s_and_saveexec_b32 s21, s20
	s_cbranch_execz .LBB166_1688
.LBB166_1687:
	v_and_b32_e32 v4, 0xffff, v1
	s_delay_alu instid0(VALU_DEP_1) | instskip(SKIP_1) | instid1(VALU_DEP_2)
	v_and_b32_e32 v5, 7, v4
	v_bfe_u32 v9, v4, 3, 4
	v_clz_i32_u32_e32 v7, v5
	s_delay_alu instid0(VALU_DEP_2) | instskip(NEXT) | instid1(VALU_DEP_2)
	v_cmp_eq_u32_e32 vcc_lo, 0, v9
	v_min_u32_e32 v7, 32, v7
	s_delay_alu instid0(VALU_DEP_1) | instskip(NEXT) | instid1(VALU_DEP_1)
	v_subrev_nc_u32_e32 v8, 28, v7
	v_dual_lshlrev_b32 v4, v8, v4 :: v_dual_sub_nc_u32 v7, 29, v7
	s_delay_alu instid0(VALU_DEP_1) | instskip(NEXT) | instid1(VALU_DEP_2)
	v_dual_lshlrev_b32 v1, 24, v1 :: v_dual_bitop2_b32 v4, 7, v4 bitop3:0x40
	v_cndmask_b32_e32 v7, v9, v7, vcc_lo
	s_delay_alu instid0(VALU_DEP_2) | instskip(NEXT) | instid1(VALU_DEP_3)
	v_cndmask_b32_e32 v4, v5, v4, vcc_lo
	v_and_b32_e32 v1, 0x80000000, v1
	s_delay_alu instid0(VALU_DEP_3) | instskip(NEXT) | instid1(VALU_DEP_3)
	v_lshl_add_u32 v5, v7, 23, 0x3b800000
	v_lshlrev_b32_e32 v4, 20, v4
	s_delay_alu instid0(VALU_DEP_1)
	v_or3_b32 v4, v1, v5, v4
.LBB166_1688:
	s_or_b32 exec_lo, exec_lo, s21
	s_delay_alu instid0(VALU_DEP_1) | instskip(SKIP_1) | instid1(VALU_DEP_2)
	v_bfe_u32 v1, v4, 16, 1
	v_cmp_o_f32_e32 vcc_lo, v4, v4
	v_add3_u32 v1, v4, v1, 0x7fff
	s_delay_alu instid0(VALU_DEP_1) | instskip(NEXT) | instid1(VALU_DEP_1)
	v_lshrrev_b32_e32 v1, 16, v1
	v_cndmask_b32_e32 v7, 0x7fc0, v1, vcc_lo
.LBB166_1689:
	s_mov_b32 s20, -1
.LBB166_1690:
	s_branch .LBB166_1723
.LBB166_1691:
	s_cmp_gt_i32 s0, 22
	s_cbranch_scc0 .LBB166_1701
; %bb.1692:
	s_cmp_lt_i32 s0, 24
	s_cbranch_scc1 .LBB166_1704
; %bb.1693:
	s_cmp_gt_i32 s0, 24
	s_cbranch_scc0 .LBB166_1705
; %bb.1694:
	global_load_u8 v1, v[2:3], off
	s_mov_b32 s20, exec_lo
	s_wait_loadcnt 0x0
	v_cmpx_lt_i16_e32 0x7f, v1
	s_xor_b32 s20, exec_lo, s20
	s_cbranch_execz .LBB166_1717
; %bb.1695:
	s_mov_b32 s19, -1
	s_mov_b32 s21, exec_lo
	v_cmpx_eq_u16_e32 0x80, v1
; %bb.1696:
	s_xor_b32 s19, exec_lo, -1
; %bb.1697:
	s_or_b32 exec_lo, exec_lo, s21
	s_delay_alu instid0(SALU_CYCLE_1)
	s_and_b32 s19, s19, exec_lo
	s_or_saveexec_b32 s20, s20
	v_mov_b32_e32 v4, 0x7f800001
	s_xor_b32 exec_lo, exec_lo, s20
	s_cbranch_execnz .LBB166_1718
.LBB166_1698:
	s_or_b32 exec_lo, exec_lo, s20
	s_and_saveexec_b32 s20, s19
	s_cbranch_execz .LBB166_1700
.LBB166_1699:
	v_and_b32_e32 v4, 0xffff, v1
	s_delay_alu instid0(VALU_DEP_1) | instskip(SKIP_1) | instid1(VALU_DEP_2)
	v_and_b32_e32 v5, 3, v4
	v_bfe_u32 v9, v4, 2, 5
	v_clz_i32_u32_e32 v7, v5
	s_delay_alu instid0(VALU_DEP_2) | instskip(NEXT) | instid1(VALU_DEP_2)
	v_cmp_eq_u32_e32 vcc_lo, 0, v9
	v_min_u32_e32 v7, 32, v7
	s_delay_alu instid0(VALU_DEP_1) | instskip(NEXT) | instid1(VALU_DEP_1)
	v_subrev_nc_u32_e32 v8, 29, v7
	v_dual_lshlrev_b32 v4, v8, v4 :: v_dual_sub_nc_u32 v7, 30, v7
	s_delay_alu instid0(VALU_DEP_1) | instskip(NEXT) | instid1(VALU_DEP_2)
	v_dual_lshlrev_b32 v1, 24, v1 :: v_dual_bitop2_b32 v4, 3, v4 bitop3:0x40
	v_cndmask_b32_e32 v7, v9, v7, vcc_lo
	s_delay_alu instid0(VALU_DEP_2) | instskip(NEXT) | instid1(VALU_DEP_3)
	v_cndmask_b32_e32 v4, v5, v4, vcc_lo
	v_and_b32_e32 v1, 0x80000000, v1
	s_delay_alu instid0(VALU_DEP_3) | instskip(NEXT) | instid1(VALU_DEP_3)
	v_lshl_add_u32 v5, v7, 23, 0x37800000
	v_lshlrev_b32_e32 v4, 21, v4
	s_delay_alu instid0(VALU_DEP_1)
	v_or3_b32 v4, v1, v5, v4
.LBB166_1700:
	s_or_b32 exec_lo, exec_lo, s20
	s_delay_alu instid0(VALU_DEP_1) | instskip(SKIP_2) | instid1(VALU_DEP_2)
	v_bfe_u32 v1, v4, 16, 1
	v_cmp_o_f32_e32 vcc_lo, v4, v4
	s_mov_b32 s19, 0
	v_add3_u32 v1, v4, v1, 0x7fff
	s_delay_alu instid0(VALU_DEP_1) | instskip(NEXT) | instid1(VALU_DEP_1)
	v_lshrrev_b32_e32 v1, 16, v1
	v_cndmask_b32_e32 v7, 0x7fc0, v1, vcc_lo
	s_branch .LBB166_1706
.LBB166_1701:
	s_mov_b32 s19, -1
                                        ; implicit-def: $vgpr7
	s_branch .LBB166_1712
.LBB166_1702:
	s_or_saveexec_b32 s21, s21
	v_mov_b32_e32 v4, 0x7f800001
	s_xor_b32 exec_lo, exec_lo, s21
	s_cbranch_execz .LBB166_1686
.LBB166_1703:
	v_cmp_ne_u16_e32 vcc_lo, 0, v1
	v_mov_b32_e32 v4, 0
	s_and_not1_b32 s20, s20, exec_lo
	s_and_b32 s22, vcc_lo, exec_lo
	s_delay_alu instid0(SALU_CYCLE_1)
	s_or_b32 s20, s20, s22
	s_or_b32 exec_lo, exec_lo, s21
	s_and_saveexec_b32 s21, s20
	s_cbranch_execnz .LBB166_1687
	s_branch .LBB166_1688
.LBB166_1704:
	s_mov_b32 s19, -1
                                        ; implicit-def: $vgpr7
	s_branch .LBB166_1709
.LBB166_1705:
	s_mov_b32 s19, -1
                                        ; implicit-def: $vgpr7
.LBB166_1706:
	s_delay_alu instid0(SALU_CYCLE_1)
	s_and_b32 vcc_lo, exec_lo, s19
	s_cbranch_vccz .LBB166_1708
; %bb.1707:
	global_load_u8 v1, v[2:3], off
	s_wait_loadcnt 0x0
	v_lshlrev_b32_e32 v1, 24, v1
	s_delay_alu instid0(VALU_DEP_1) | instskip(NEXT) | instid1(VALU_DEP_1)
	v_and_b32_e32 v4, 0x7f000000, v1
	v_clz_i32_u32_e32 v5, v4
	v_add_nc_u32_e32 v8, 0x1000000, v4
	v_cmp_ne_u32_e32 vcc_lo, 0, v4
	s_delay_alu instid0(VALU_DEP_3) | instskip(NEXT) | instid1(VALU_DEP_1)
	v_min_u32_e32 v5, 32, v5
	v_sub_nc_u32_e64 v5, v5, 4 clamp
	s_delay_alu instid0(VALU_DEP_1) | instskip(NEXT) | instid1(VALU_DEP_1)
	v_dual_lshlrev_b32 v7, v5, v4 :: v_dual_lshlrev_b32 v5, 23, v5
	v_lshrrev_b32_e32 v7, 4, v7
	s_delay_alu instid0(VALU_DEP_1) | instskip(NEXT) | instid1(VALU_DEP_1)
	v_dual_sub_nc_u32 v5, v7, v5 :: v_dual_ashrrev_i32 v7, 8, v8
	v_add_nc_u32_e32 v5, 0x3c000000, v5
	s_delay_alu instid0(VALU_DEP_1) | instskip(NEXT) | instid1(VALU_DEP_1)
	v_and_or_b32 v5, 0x7f800000, v7, v5
	v_cndmask_b32_e32 v4, 0, v5, vcc_lo
	s_delay_alu instid0(VALU_DEP_1) | instskip(SKIP_1) | instid1(VALU_DEP_2)
	v_and_or_b32 v1, 0x80000000, v1, v4
	v_bfe_u32 v4, v4, 16, 1
	v_cmp_o_f32_e32 vcc_lo, v1, v1
	s_delay_alu instid0(VALU_DEP_2) | instskip(NEXT) | instid1(VALU_DEP_1)
	v_add3_u32 v4, v1, v4, 0x7fff
	v_lshrrev_b32_e32 v4, 16, v4
	s_delay_alu instid0(VALU_DEP_1)
	v_cndmask_b32_e32 v7, 0x7fc0, v4, vcc_lo
.LBB166_1708:
	s_mov_b32 s19, 0
.LBB166_1709:
	s_delay_alu instid0(SALU_CYCLE_1)
	s_and_not1_b32 vcc_lo, exec_lo, s19
	s_cbranch_vccnz .LBB166_1711
; %bb.1710:
	global_load_u8 v1, v[2:3], off
	s_wait_loadcnt 0x0
	v_lshlrev_b32_e32 v4, 25, v1
	v_lshlrev_b16 v1, 8, v1
	s_delay_alu instid0(VALU_DEP_1) | instskip(SKIP_1) | instid1(VALU_DEP_2)
	v_and_or_b32 v7, 0x7f00, v1, 0.5
	v_bfe_i32 v1, v1, 0, 16
	v_dual_add_f32 v7, -0.5, v7 :: v_dual_lshrrev_b32 v5, 4, v4
	v_cmp_gt_u32_e32 vcc_lo, 0x8000000, v4
	s_delay_alu instid0(VALU_DEP_2) | instskip(NEXT) | instid1(VALU_DEP_1)
	v_or_b32_e32 v5, 0x70000000, v5
	v_mul_f32_e32 v5, 0x7800000, v5
	s_delay_alu instid0(VALU_DEP_1) | instskip(NEXT) | instid1(VALU_DEP_1)
	v_cndmask_b32_e32 v4, v5, v7, vcc_lo
	v_and_or_b32 v1, 0x80000000, v1, v4
	v_bfe_u32 v4, v4, 16, 1
	s_delay_alu instid0(VALU_DEP_2) | instskip(NEXT) | instid1(VALU_DEP_2)
	v_cmp_o_f32_e32 vcc_lo, v1, v1
	v_add3_u32 v4, v1, v4, 0x7fff
	s_delay_alu instid0(VALU_DEP_1) | instskip(NEXT) | instid1(VALU_DEP_1)
	v_lshrrev_b32_e32 v4, 16, v4
	v_cndmask_b32_e32 v7, 0x7fc0, v4, vcc_lo
.LBB166_1711:
	s_mov_b32 s19, 0
	s_mov_b32 s20, -1
.LBB166_1712:
	s_and_not1_b32 vcc_lo, exec_lo, s19
	s_mov_b32 s19, 0
	s_cbranch_vccnz .LBB166_1723
; %bb.1713:
	s_cmp_gt_i32 s0, 14
	s_cbranch_scc0 .LBB166_1716
; %bb.1714:
	s_cmp_eq_u32 s0, 15
	s_cbranch_scc0 .LBB166_1719
; %bb.1715:
	s_wait_loadcnt 0x0
	global_load_u16 v7, v[2:3], off
	s_mov_b32 s18, 0
	s_mov_b32 s20, -1
	s_branch .LBB166_1721
.LBB166_1716:
	s_mov_b32 s19, -1
	s_branch .LBB166_1720
.LBB166_1717:
	s_or_saveexec_b32 s20, s20
	v_mov_b32_e32 v4, 0x7f800001
	s_xor_b32 exec_lo, exec_lo, s20
	s_cbranch_execz .LBB166_1698
.LBB166_1718:
	v_cmp_ne_u16_e32 vcc_lo, 0, v1
	v_mov_b32_e32 v4, 0
	s_and_not1_b32 s19, s19, exec_lo
	s_and_b32 s21, vcc_lo, exec_lo
	s_delay_alu instid0(SALU_CYCLE_1)
	s_or_b32 s19, s19, s21
	s_or_b32 exec_lo, exec_lo, s20
	s_and_saveexec_b32 s20, s19
	s_cbranch_execnz .LBB166_1699
	s_branch .LBB166_1700
.LBB166_1719:
	s_mov_b32 s18, -1
.LBB166_1720:
                                        ; implicit-def: $vgpr7
.LBB166_1721:
	s_and_b32 vcc_lo, exec_lo, s19
	s_mov_b32 s19, 0
	s_cbranch_vccz .LBB166_1723
; %bb.1722:
	s_cmp_lg_u32 s0, 11
	s_mov_b32 s19, -1
	s_cselect_b32 s18, -1, 0
.LBB166_1723:
	s_delay_alu instid0(SALU_CYCLE_1)
	s_and_b32 vcc_lo, exec_lo, s18
	s_cbranch_vccnz .LBB166_1786
; %bb.1724:
	s_and_not1_b32 vcc_lo, exec_lo, s19
	s_cbranch_vccnz .LBB166_1726
.LBB166_1725:
	global_load_u8 v1, v[2:3], off
	s_mov_b32 s20, -1
	s_wait_loadcnt 0x0
	v_cmp_ne_u16_e32 vcc_lo, 0, v1
	v_cndmask_b32_e64 v1, 0, 1.0, vcc_lo
	s_delay_alu instid0(VALU_DEP_1)
	v_lshrrev_b32_e32 v7, 16, v1
.LBB166_1726:
	s_branch .LBB166_1650
.LBB166_1727:
	s_and_b32 s0, 0xffff, s13
	s_delay_alu instid0(SALU_CYCLE_1)
	s_cmp_lt_i32 s0, 5
	s_cbranch_scc1 .LBB166_1732
; %bb.1728:
	s_cmp_lt_i32 s0, 8
	s_cbranch_scc1 .LBB166_1733
; %bb.1729:
	;; [unrolled: 3-line block ×3, first 2 shown]
	s_cmp_gt_i32 s0, 9
	s_cbranch_scc0 .LBB166_1735
; %bb.1731:
	global_load_b64 v[4:5], v[2:3], off
	s_mov_b32 s18, 0
	s_wait_loadcnt 0x0
	v_cvt_f32_f64_e32 v1, v[4:5]
	s_delay_alu instid0(VALU_DEP_1) | instskip(SKIP_1) | instid1(VALU_DEP_2)
	v_bfe_u32 v4, v1, 16, 1
	v_cmp_o_f32_e32 vcc_lo, v1, v1
	v_add3_u32 v4, v1, v4, 0x7fff
	s_delay_alu instid0(VALU_DEP_1) | instskip(NEXT) | instid1(VALU_DEP_1)
	v_lshrrev_b32_e32 v4, 16, v4
	v_cndmask_b32_e32 v7, 0x7fc0, v4, vcc_lo
	s_branch .LBB166_1736
.LBB166_1732:
                                        ; implicit-def: $vgpr7
	s_branch .LBB166_1754
.LBB166_1733:
	s_mov_b32 s18, -1
                                        ; implicit-def: $vgpr7
	s_branch .LBB166_1742
.LBB166_1734:
	s_mov_b32 s18, -1
                                        ; implicit-def: $vgpr7
	s_branch .LBB166_1739
.LBB166_1735:
	s_mov_b32 s18, -1
                                        ; implicit-def: $vgpr7
.LBB166_1736:
	s_delay_alu instid0(SALU_CYCLE_1)
	s_and_not1_b32 vcc_lo, exec_lo, s18
	s_cbranch_vccnz .LBB166_1738
; %bb.1737:
	global_load_b32 v1, v[2:3], off
	s_wait_loadcnt 0x0
	v_bfe_u32 v4, v1, 16, 1
	v_cmp_o_f32_e32 vcc_lo, v1, v1
	s_delay_alu instid0(VALU_DEP_2) | instskip(NEXT) | instid1(VALU_DEP_1)
	v_add3_u32 v4, v1, v4, 0x7fff
	v_lshrrev_b32_e32 v4, 16, v4
	s_delay_alu instid0(VALU_DEP_1)
	v_cndmask_b32_e32 v7, 0x7fc0, v4, vcc_lo
.LBB166_1738:
	s_mov_b32 s18, 0
.LBB166_1739:
	s_delay_alu instid0(SALU_CYCLE_1)
	s_and_not1_b32 vcc_lo, exec_lo, s18
	s_cbranch_vccnz .LBB166_1741
; %bb.1740:
	global_load_b32 v1, v[2:3], off
	s_wait_loadcnt 0x0
	v_cvt_f32_f16_e32 v4, v1
	v_cmp_o_f16_e32 vcc_lo, v1, v1
	s_delay_alu instid0(VALU_DEP_2) | instskip(NEXT) | instid1(VALU_DEP_1)
	v_bfe_u32 v5, v4, 16, 1
	v_add3_u32 v4, v4, v5, 0x7fff
	s_delay_alu instid0(VALU_DEP_1) | instskip(NEXT) | instid1(VALU_DEP_1)
	v_lshrrev_b32_e32 v4, 16, v4
	v_cndmask_b32_e32 v7, 0x7fc0, v4, vcc_lo
.LBB166_1741:
	s_mov_b32 s18, 0
.LBB166_1742:
	s_delay_alu instid0(SALU_CYCLE_1)
	s_and_not1_b32 vcc_lo, exec_lo, s18
	s_cbranch_vccnz .LBB166_1753
; %bb.1743:
	s_cmp_lt_i32 s0, 6
	s_cbranch_scc1 .LBB166_1746
; %bb.1744:
	s_cmp_gt_i32 s0, 6
	s_cbranch_scc0 .LBB166_1747
; %bb.1745:
	global_load_b64 v[4:5], v[2:3], off
	s_mov_b32 s18, 0
	s_wait_loadcnt 0x0
	v_cvt_f32_f64_e32 v1, v[4:5]
	s_delay_alu instid0(VALU_DEP_1) | instskip(SKIP_1) | instid1(VALU_DEP_2)
	v_bfe_u32 v4, v1, 16, 1
	v_cmp_o_f32_e32 vcc_lo, v1, v1
	v_add3_u32 v4, v1, v4, 0x7fff
	s_delay_alu instid0(VALU_DEP_1) | instskip(NEXT) | instid1(VALU_DEP_1)
	v_lshrrev_b32_e32 v4, 16, v4
	v_cndmask_b32_e32 v7, 0x7fc0, v4, vcc_lo
	s_branch .LBB166_1748
.LBB166_1746:
	s_mov_b32 s18, -1
                                        ; implicit-def: $vgpr7
	s_branch .LBB166_1751
.LBB166_1747:
	s_mov_b32 s18, -1
                                        ; implicit-def: $vgpr7
.LBB166_1748:
	s_delay_alu instid0(SALU_CYCLE_1)
	s_and_not1_b32 vcc_lo, exec_lo, s18
	s_cbranch_vccnz .LBB166_1750
; %bb.1749:
	global_load_b32 v1, v[2:3], off
	s_wait_loadcnt 0x0
	v_bfe_u32 v4, v1, 16, 1
	v_cmp_o_f32_e32 vcc_lo, v1, v1
	s_delay_alu instid0(VALU_DEP_2) | instskip(NEXT) | instid1(VALU_DEP_1)
	v_add3_u32 v4, v1, v4, 0x7fff
	v_lshrrev_b32_e32 v4, 16, v4
	s_delay_alu instid0(VALU_DEP_1)
	v_cndmask_b32_e32 v7, 0x7fc0, v4, vcc_lo
.LBB166_1750:
	s_mov_b32 s18, 0
.LBB166_1751:
	s_delay_alu instid0(SALU_CYCLE_1)
	s_and_not1_b32 vcc_lo, exec_lo, s18
	s_cbranch_vccnz .LBB166_1753
; %bb.1752:
	global_load_u16 v1, v[2:3], off
	s_wait_loadcnt 0x0
	v_cvt_f32_f16_e32 v4, v1
	v_cmp_o_f16_e32 vcc_lo, v1, v1
	s_delay_alu instid0(VALU_DEP_2) | instskip(NEXT) | instid1(VALU_DEP_1)
	v_bfe_u32 v5, v4, 16, 1
	v_add3_u32 v4, v4, v5, 0x7fff
	s_delay_alu instid0(VALU_DEP_1) | instskip(NEXT) | instid1(VALU_DEP_1)
	v_lshrrev_b32_e32 v4, 16, v4
	v_cndmask_b32_e32 v7, 0x7fc0, v4, vcc_lo
.LBB166_1753:
	s_cbranch_execnz .LBB166_1773
.LBB166_1754:
	s_cmp_lt_i32 s0, 2
	s_cbranch_scc1 .LBB166_1758
; %bb.1755:
	s_cmp_lt_i32 s0, 3
	s_cbranch_scc1 .LBB166_1759
; %bb.1756:
	s_cmp_gt_i32 s0, 3
	s_cbranch_scc0 .LBB166_1760
; %bb.1757:
	global_load_b64 v[4:5], v[2:3], off
	s_mov_b32 s18, 0
	s_wait_loadcnt 0x0
	v_xor_b32_e32 v1, v4, v5
	v_cls_i32_e32 v7, v5
	s_delay_alu instid0(VALU_DEP_2) | instskip(NEXT) | instid1(VALU_DEP_1)
	v_ashrrev_i32_e32 v1, 31, v1
	v_add_nc_u32_e32 v1, 32, v1
	s_delay_alu instid0(VALU_DEP_1) | instskip(NEXT) | instid1(VALU_DEP_1)
	v_add_min_u32_e64 v1, v7, -1, v1
	v_lshlrev_b64_e32 v[4:5], v1, v[4:5]
	v_sub_nc_u32_e32 v1, 32, v1
	s_delay_alu instid0(VALU_DEP_2) | instskip(NEXT) | instid1(VALU_DEP_1)
	v_min_u32_e32 v4, 1, v4
	v_or_b32_e32 v4, v5, v4
	s_delay_alu instid0(VALU_DEP_1) | instskip(NEXT) | instid1(VALU_DEP_1)
	v_cvt_f32_i32_e32 v4, v4
	v_ldexp_f32 v1, v4, v1
	s_delay_alu instid0(VALU_DEP_1) | instskip(NEXT) | instid1(VALU_DEP_1)
	v_bfe_u32 v4, v1, 16, 1
	v_add3_u32 v1, v1, v4, 0x7fff
	s_delay_alu instid0(VALU_DEP_1)
	v_lshrrev_b32_e32 v7, 16, v1
	s_branch .LBB166_1761
.LBB166_1758:
	s_mov_b32 s18, -1
                                        ; implicit-def: $vgpr7
	s_branch .LBB166_1767
.LBB166_1759:
	s_mov_b32 s18, -1
                                        ; implicit-def: $vgpr7
	s_branch .LBB166_1764
.LBB166_1760:
	s_mov_b32 s18, -1
                                        ; implicit-def: $vgpr7
.LBB166_1761:
	s_delay_alu instid0(SALU_CYCLE_1)
	s_and_not1_b32 vcc_lo, exec_lo, s18
	s_cbranch_vccnz .LBB166_1763
; %bb.1762:
	global_load_b32 v1, v[2:3], off
	s_wait_loadcnt 0x0
	v_cvt_f32_i32_e32 v1, v1
	s_delay_alu instid0(VALU_DEP_1) | instskip(NEXT) | instid1(VALU_DEP_1)
	v_bfe_u32 v4, v1, 16, 1
	v_add3_u32 v1, v1, v4, 0x7fff
	s_delay_alu instid0(VALU_DEP_1)
	v_lshrrev_b32_e32 v7, 16, v1
.LBB166_1763:
	s_mov_b32 s18, 0
.LBB166_1764:
	s_delay_alu instid0(SALU_CYCLE_1)
	s_and_not1_b32 vcc_lo, exec_lo, s18
	s_cbranch_vccnz .LBB166_1766
; %bb.1765:
	global_load_i16 v1, v[2:3], off
	s_wait_loadcnt 0x0
	v_cvt_f32_i32_e32 v1, v1
	s_delay_alu instid0(VALU_DEP_1) | instskip(NEXT) | instid1(VALU_DEP_1)
	v_bfe_u32 v4, v1, 16, 1
	v_add3_u32 v1, v1, v4, 0x7fff
	s_delay_alu instid0(VALU_DEP_1)
	v_lshrrev_b32_e32 v7, 16, v1
.LBB166_1766:
	s_mov_b32 s18, 0
.LBB166_1767:
	s_delay_alu instid0(SALU_CYCLE_1)
	s_and_not1_b32 vcc_lo, exec_lo, s18
	s_cbranch_vccnz .LBB166_1773
; %bb.1768:
	s_cmp_gt_i32 s0, 0
	s_mov_b32 s0, 0
	s_cbranch_scc0 .LBB166_1770
; %bb.1769:
	global_load_i8 v1, v[2:3], off
	s_wait_loadcnt 0x0
	v_cvt_f32_i32_e32 v1, v1
	s_delay_alu instid0(VALU_DEP_1) | instskip(NEXT) | instid1(VALU_DEP_1)
	v_bfe_u32 v4, v1, 16, 1
	v_add3_u32 v1, v1, v4, 0x7fff
	s_delay_alu instid0(VALU_DEP_1)
	v_lshrrev_b32_e32 v7, 16, v1
	s_branch .LBB166_1771
.LBB166_1770:
	s_mov_b32 s0, -1
                                        ; implicit-def: $vgpr7
.LBB166_1771:
	s_delay_alu instid0(SALU_CYCLE_1)
	s_and_not1_b32 vcc_lo, exec_lo, s0
	s_cbranch_vccnz .LBB166_1773
; %bb.1772:
	global_load_u8 v1, v[2:3], off
	s_wait_loadcnt 0x0
	v_cvt_f32_ubyte0_e32 v1, v1
	s_wait_xcnt 0x0
	s_delay_alu instid0(VALU_DEP_1) | instskip(NEXT) | instid1(VALU_DEP_1)
	v_bfe_u32 v2, v1, 16, 1
	v_add3_u32 v1, v1, v2, 0x7fff
	s_delay_alu instid0(VALU_DEP_1)
	v_lshrrev_b32_e32 v7, 16, v1
.LBB166_1773:
.LBB166_1774:
	s_wait_xcnt 0x0
	v_mul_lo_u32 v2, s9, v6
	s_and_b32 s0, 0xffff, s10
	s_delay_alu instid0(SALU_CYCLE_1) | instskip(NEXT) | instid1(VALU_DEP_1)
	s_cmp_lt_i32 s0, 11
	v_ashrrev_i32_e32 v3, 31, v2
	s_delay_alu instid0(VALU_DEP_1)
	v_add_nc_u64_e32 v[4:5], s[6:7], v[2:3]
	s_cbranch_scc1 .LBB166_1781
; %bb.1775:
	s_cmp_gt_i32 s0, 25
	s_mov_b32 s18, 0
	s_cbranch_scc0 .LBB166_1783
; %bb.1776:
	s_cmp_gt_i32 s0, 28
	s_cbranch_scc0 .LBB166_1784
; %bb.1777:
	s_cmp_gt_i32 s0, 43
	s_cbranch_scc0 .LBB166_1785
; %bb.1778:
	s_cmp_gt_i32 s0, 45
	s_cbranch_scc0 .LBB166_1787
; %bb.1779:
	s_cmp_eq_u32 s0, 46
	s_mov_b32 s20, 0
	s_cbranch_scc0 .LBB166_1788
; %bb.1780:
	global_load_b32 v8, v[4:5], off
	s_mov_b32 s10, 0
	s_mov_b32 s19, -1
	s_branch .LBB166_1790
.LBB166_1781:
	s_mov_b32 s19, 0
                                        ; implicit-def: $vgpr8
	s_cbranch_execnz .LBB166_1856
.LBB166_1782:
	s_and_not1_b32 vcc_lo, exec_lo, s19
	s_cbranch_vccz .LBB166_1904
	s_branch .LBB166_3190
.LBB166_1783:
	s_mov_b32 s20, -1
	s_mov_b32 s19, 0
	s_mov_b32 s10, 0
                                        ; implicit-def: $vgpr8
	s_branch .LBB166_1819
.LBB166_1784:
	s_mov_b32 s20, -1
	s_mov_b32 s19, 0
	s_mov_b32 s10, 0
                                        ; implicit-def: $vgpr8
	s_branch .LBB166_1800
.LBB166_1785:
	s_mov_b32 s20, -1
	s_mov_b32 s19, 0
	s_mov_b32 s10, 0
                                        ; implicit-def: $vgpr8
	s_branch .LBB166_1795
.LBB166_1786:
	s_or_b32 s14, s14, exec_lo
	s_trap 2
	s_cbranch_execz .LBB166_1725
	s_branch .LBB166_1726
.LBB166_1787:
	s_mov_b32 s20, -1
	s_mov_b32 s19, 0
	s_mov_b32 s10, 0
	s_branch .LBB166_1789
.LBB166_1788:
	s_mov_b32 s10, -1
	s_mov_b32 s19, 0
.LBB166_1789:
                                        ; implicit-def: $vgpr8
.LBB166_1790:
	s_and_b32 vcc_lo, exec_lo, s20
	s_cbranch_vccz .LBB166_1794
; %bb.1791:
	s_cmp_eq_u32 s0, 44
	s_cbranch_scc0 .LBB166_1793
; %bb.1792:
	global_load_u8 v1, v[4:5], off
	s_mov_b32 s10, 0
	s_mov_b32 s19, -1
	s_wait_loadcnt 0x0
	v_lshlrev_b32_e32 v3, 23, v1
	v_cmp_ne_u32_e32 vcc_lo, 0xff, v1
	s_delay_alu instid0(VALU_DEP_2) | instskip(SKIP_1) | instid1(VALU_DEP_2)
	v_cndmask_b32_e32 v3, 0x7f800001, v3, vcc_lo
	v_cmp_ne_u32_e32 vcc_lo, 0, v1
	v_cndmask_b32_e32 v1, 0x400000, v3, vcc_lo
	s_delay_alu instid0(VALU_DEP_1) | instskip(SKIP_1) | instid1(VALU_DEP_2)
	v_add_nc_u32_e32 v3, 0x7fff, v1
	v_cmp_o_f32_e32 vcc_lo, v1, v1
	v_lshrrev_b32_e32 v3, 16, v3
	s_delay_alu instid0(VALU_DEP_1)
	v_cndmask_b32_e32 v8, 0x7fc0, v3, vcc_lo
	s_branch .LBB166_1794
.LBB166_1793:
	s_mov_b32 s10, -1
                                        ; implicit-def: $vgpr8
.LBB166_1794:
	s_mov_b32 s20, 0
.LBB166_1795:
	s_delay_alu instid0(SALU_CYCLE_1)
	s_and_b32 vcc_lo, exec_lo, s20
	s_cbranch_vccz .LBB166_1799
; %bb.1796:
	s_cmp_eq_u32 s0, 29
	s_cbranch_scc0 .LBB166_1798
; %bb.1797:
	s_wait_loadcnt 0x0
	global_load_b64 v[8:9], v[4:5], off
	s_mov_b32 s10, 0
	s_mov_b32 s19, -1
	s_mov_b32 s20, 0
	s_wait_loadcnt 0x0
	v_clz_i32_u32_e32 v1, v9
	s_delay_alu instid0(VALU_DEP_1) | instskip(NEXT) | instid1(VALU_DEP_1)
	v_min_u32_e32 v1, 32, v1
	v_lshlrev_b64_e32 v[8:9], v1, v[8:9]
	v_sub_nc_u32_e32 v1, 32, v1
	s_delay_alu instid0(VALU_DEP_2) | instskip(NEXT) | instid1(VALU_DEP_1)
	v_min_u32_e32 v3, 1, v8
	v_or_b32_e32 v3, v9, v3
	s_delay_alu instid0(VALU_DEP_1) | instskip(NEXT) | instid1(VALU_DEP_1)
	v_cvt_f32_u32_e32 v3, v3
	v_ldexp_f32 v1, v3, v1
	s_delay_alu instid0(VALU_DEP_1) | instskip(NEXT) | instid1(VALU_DEP_1)
	v_bfe_u32 v3, v1, 16, 1
	v_add3_u32 v1, v1, v3, 0x7fff
	s_delay_alu instid0(VALU_DEP_1)
	v_lshrrev_b32_e32 v8, 16, v1
	s_branch .LBB166_1800
.LBB166_1798:
	s_mov_b32 s10, -1
                                        ; implicit-def: $vgpr8
.LBB166_1799:
	s_mov_b32 s20, 0
.LBB166_1800:
	s_delay_alu instid0(SALU_CYCLE_1)
	s_and_b32 vcc_lo, exec_lo, s20
	s_cbranch_vccz .LBB166_1818
; %bb.1801:
	s_cmp_lt_i32 s0, 27
	s_cbranch_scc1 .LBB166_1804
; %bb.1802:
	s_cmp_gt_i32 s0, 27
	s_cbranch_scc0 .LBB166_1805
; %bb.1803:
	global_load_b32 v1, v[4:5], off
	s_mov_b32 s19, 0
	s_wait_loadcnt 0x0
	v_cvt_f32_u32_e32 v1, v1
	s_delay_alu instid0(VALU_DEP_1) | instskip(NEXT) | instid1(VALU_DEP_1)
	v_bfe_u32 v3, v1, 16, 1
	v_add3_u32 v1, v1, v3, 0x7fff
	s_delay_alu instid0(VALU_DEP_1)
	v_lshrrev_b32_e32 v8, 16, v1
	s_branch .LBB166_1806
.LBB166_1804:
	s_mov_b32 s19, -1
                                        ; implicit-def: $vgpr8
	s_branch .LBB166_1809
.LBB166_1805:
	s_mov_b32 s19, -1
                                        ; implicit-def: $vgpr8
.LBB166_1806:
	s_delay_alu instid0(SALU_CYCLE_1)
	s_and_not1_b32 vcc_lo, exec_lo, s19
	s_cbranch_vccnz .LBB166_1808
; %bb.1807:
	global_load_u16 v1, v[4:5], off
	s_wait_loadcnt 0x0
	v_cvt_f32_u32_e32 v1, v1
	s_delay_alu instid0(VALU_DEP_1) | instskip(NEXT) | instid1(VALU_DEP_1)
	v_bfe_u32 v3, v1, 16, 1
	v_add3_u32 v1, v1, v3, 0x7fff
	s_delay_alu instid0(VALU_DEP_1)
	v_lshrrev_b32_e32 v8, 16, v1
.LBB166_1808:
	s_mov_b32 s19, 0
.LBB166_1809:
	s_delay_alu instid0(SALU_CYCLE_1)
	s_and_not1_b32 vcc_lo, exec_lo, s19
	s_cbranch_vccnz .LBB166_1817
; %bb.1810:
	global_load_u8 v1, v[4:5], off
	s_mov_b32 s19, 0
	s_mov_b32 s20, exec_lo
	s_wait_loadcnt 0x0
	v_cmpx_lt_i16_e32 0x7f, v1
	s_xor_b32 s20, exec_lo, s20
	s_cbranch_execz .LBB166_1831
; %bb.1811:
	s_mov_b32 s19, -1
	s_mov_b32 s21, exec_lo
	v_cmpx_eq_u16_e32 0x80, v1
; %bb.1812:
	s_xor_b32 s19, exec_lo, -1
; %bb.1813:
	s_or_b32 exec_lo, exec_lo, s21
	s_delay_alu instid0(SALU_CYCLE_1)
	s_and_b32 s19, s19, exec_lo
	s_or_saveexec_b32 s20, s20
	v_mov_b32_e32 v3, 0x7f800001
	s_xor_b32 exec_lo, exec_lo, s20
	s_cbranch_execnz .LBB166_1832
.LBB166_1814:
	s_or_b32 exec_lo, exec_lo, s20
	s_and_saveexec_b32 s20, s19
	s_cbranch_execz .LBB166_1816
.LBB166_1815:
	v_and_b32_e32 v3, 0xffff, v1
	s_delay_alu instid0(VALU_DEP_1) | instskip(SKIP_1) | instid1(VALU_DEP_2)
	v_and_b32_e32 v8, 7, v3
	v_bfe_u32 v11, v3, 3, 4
	v_clz_i32_u32_e32 v9, v8
	s_delay_alu instid0(VALU_DEP_2) | instskip(NEXT) | instid1(VALU_DEP_2)
	v_cmp_eq_u32_e32 vcc_lo, 0, v11
	v_min_u32_e32 v9, 32, v9
	s_delay_alu instid0(VALU_DEP_1) | instskip(NEXT) | instid1(VALU_DEP_1)
	v_subrev_nc_u32_e32 v10, 28, v9
	v_dual_lshlrev_b32 v3, v10, v3 :: v_dual_sub_nc_u32 v9, 29, v9
	s_delay_alu instid0(VALU_DEP_1) | instskip(NEXT) | instid1(VALU_DEP_1)
	v_dual_lshlrev_b32 v1, 24, v1 :: v_dual_bitop2_b32 v3, 7, v3 bitop3:0x40
	v_dual_cndmask_b32 v3, v8, v3, vcc_lo :: v_dual_cndmask_b32 v9, v11, v9, vcc_lo
	s_delay_alu instid0(VALU_DEP_2) | instskip(NEXT) | instid1(VALU_DEP_2)
	v_and_b32_e32 v1, 0x80000000, v1
	v_lshlrev_b32_e32 v3, 20, v3
	s_delay_alu instid0(VALU_DEP_3) | instskip(NEXT) | instid1(VALU_DEP_1)
	v_lshl_add_u32 v8, v9, 23, 0x3b800000
	v_or3_b32 v3, v1, v8, v3
.LBB166_1816:
	s_or_b32 exec_lo, exec_lo, s20
	s_delay_alu instid0(VALU_DEP_1) | instskip(SKIP_1) | instid1(VALU_DEP_2)
	v_bfe_u32 v1, v3, 16, 1
	v_cmp_o_f32_e32 vcc_lo, v3, v3
	v_add3_u32 v1, v3, v1, 0x7fff
	s_delay_alu instid0(VALU_DEP_1) | instskip(NEXT) | instid1(VALU_DEP_1)
	v_lshrrev_b32_e32 v1, 16, v1
	v_cndmask_b32_e32 v8, 0x7fc0, v1, vcc_lo
.LBB166_1817:
	s_mov_b32 s19, -1
.LBB166_1818:
	s_mov_b32 s20, 0
.LBB166_1819:
	s_delay_alu instid0(SALU_CYCLE_1)
	s_and_b32 vcc_lo, exec_lo, s20
	s_cbranch_vccz .LBB166_1852
; %bb.1820:
	s_cmp_gt_i32 s0, 22
	s_cbranch_scc0 .LBB166_1830
; %bb.1821:
	s_cmp_lt_i32 s0, 24
	s_cbranch_scc1 .LBB166_1833
; %bb.1822:
	s_cmp_gt_i32 s0, 24
	s_cbranch_scc0 .LBB166_1834
; %bb.1823:
	global_load_u8 v1, v[4:5], off
	s_mov_b32 s19, exec_lo
	s_wait_loadcnt 0x0
	v_cmpx_lt_i16_e32 0x7f, v1
	s_xor_b32 s19, exec_lo, s19
	s_cbranch_execz .LBB166_1846
; %bb.1824:
	s_mov_b32 s18, -1
	s_mov_b32 s20, exec_lo
	v_cmpx_eq_u16_e32 0x80, v1
; %bb.1825:
	s_xor_b32 s18, exec_lo, -1
; %bb.1826:
	s_or_b32 exec_lo, exec_lo, s20
	s_delay_alu instid0(SALU_CYCLE_1)
	s_and_b32 s18, s18, exec_lo
	s_or_saveexec_b32 s19, s19
	v_mov_b32_e32 v3, 0x7f800001
	s_xor_b32 exec_lo, exec_lo, s19
	s_cbranch_execnz .LBB166_1847
.LBB166_1827:
	s_or_b32 exec_lo, exec_lo, s19
	s_and_saveexec_b32 s19, s18
	s_cbranch_execz .LBB166_1829
.LBB166_1828:
	v_and_b32_e32 v3, 0xffff, v1
	s_delay_alu instid0(VALU_DEP_1) | instskip(SKIP_1) | instid1(VALU_DEP_2)
	v_and_b32_e32 v8, 3, v3
	v_bfe_u32 v11, v3, 2, 5
	v_clz_i32_u32_e32 v9, v8
	s_delay_alu instid0(VALU_DEP_2) | instskip(NEXT) | instid1(VALU_DEP_2)
	v_cmp_eq_u32_e32 vcc_lo, 0, v11
	v_min_u32_e32 v9, 32, v9
	s_delay_alu instid0(VALU_DEP_1) | instskip(NEXT) | instid1(VALU_DEP_1)
	v_subrev_nc_u32_e32 v10, 29, v9
	v_dual_lshlrev_b32 v3, v10, v3 :: v_dual_sub_nc_u32 v9, 30, v9
	s_delay_alu instid0(VALU_DEP_1) | instskip(NEXT) | instid1(VALU_DEP_1)
	v_dual_lshlrev_b32 v1, 24, v1 :: v_dual_bitop2_b32 v3, 3, v3 bitop3:0x40
	v_dual_cndmask_b32 v3, v8, v3, vcc_lo :: v_dual_cndmask_b32 v9, v11, v9, vcc_lo
	s_delay_alu instid0(VALU_DEP_2) | instskip(NEXT) | instid1(VALU_DEP_2)
	v_and_b32_e32 v1, 0x80000000, v1
	v_lshlrev_b32_e32 v3, 21, v3
	s_delay_alu instid0(VALU_DEP_3) | instskip(NEXT) | instid1(VALU_DEP_1)
	v_lshl_add_u32 v8, v9, 23, 0x37800000
	v_or3_b32 v3, v1, v8, v3
.LBB166_1829:
	s_or_b32 exec_lo, exec_lo, s19
	s_delay_alu instid0(VALU_DEP_1) | instskip(SKIP_2) | instid1(VALU_DEP_2)
	v_bfe_u32 v1, v3, 16, 1
	v_cmp_o_f32_e32 vcc_lo, v3, v3
	s_mov_b32 s18, 0
	v_add3_u32 v1, v3, v1, 0x7fff
	s_delay_alu instid0(VALU_DEP_1) | instskip(NEXT) | instid1(VALU_DEP_1)
	v_lshrrev_b32_e32 v1, 16, v1
	v_cndmask_b32_e32 v8, 0x7fc0, v1, vcc_lo
	s_branch .LBB166_1835
.LBB166_1830:
	s_mov_b32 s18, -1
                                        ; implicit-def: $vgpr8
	s_branch .LBB166_1841
.LBB166_1831:
	s_or_saveexec_b32 s20, s20
	v_mov_b32_e32 v3, 0x7f800001
	s_xor_b32 exec_lo, exec_lo, s20
	s_cbranch_execz .LBB166_1814
.LBB166_1832:
	v_cmp_ne_u16_e32 vcc_lo, 0, v1
	v_mov_b32_e32 v3, 0
	s_and_not1_b32 s19, s19, exec_lo
	s_and_b32 s21, vcc_lo, exec_lo
	s_delay_alu instid0(SALU_CYCLE_1)
	s_or_b32 s19, s19, s21
	s_or_b32 exec_lo, exec_lo, s20
	s_and_saveexec_b32 s20, s19
	s_cbranch_execnz .LBB166_1815
	s_branch .LBB166_1816
.LBB166_1833:
	s_mov_b32 s18, -1
                                        ; implicit-def: $vgpr8
	s_branch .LBB166_1838
.LBB166_1834:
	s_mov_b32 s18, -1
                                        ; implicit-def: $vgpr8
.LBB166_1835:
	s_delay_alu instid0(SALU_CYCLE_1)
	s_and_b32 vcc_lo, exec_lo, s18
	s_cbranch_vccz .LBB166_1837
; %bb.1836:
	global_load_u8 v1, v[4:5], off
	s_wait_loadcnt 0x0
	v_lshlrev_b32_e32 v1, 24, v1
	s_delay_alu instid0(VALU_DEP_1) | instskip(NEXT) | instid1(VALU_DEP_1)
	v_and_b32_e32 v3, 0x7f000000, v1
	v_clz_i32_u32_e32 v8, v3
	v_cmp_ne_u32_e32 vcc_lo, 0, v3
	v_add_nc_u32_e32 v10, 0x1000000, v3
	s_delay_alu instid0(VALU_DEP_3) | instskip(NEXT) | instid1(VALU_DEP_1)
	v_min_u32_e32 v8, 32, v8
	v_sub_nc_u32_e64 v8, v8, 4 clamp
	s_delay_alu instid0(VALU_DEP_1) | instskip(NEXT) | instid1(VALU_DEP_1)
	v_dual_lshlrev_b32 v9, v8, v3 :: v_dual_lshlrev_b32 v8, 23, v8
	v_lshrrev_b32_e32 v9, 4, v9
	s_delay_alu instid0(VALU_DEP_1) | instskip(NEXT) | instid1(VALU_DEP_1)
	v_dual_sub_nc_u32 v8, v9, v8 :: v_dual_ashrrev_i32 v9, 8, v10
	v_add_nc_u32_e32 v8, 0x3c000000, v8
	s_delay_alu instid0(VALU_DEP_1) | instskip(NEXT) | instid1(VALU_DEP_1)
	v_and_or_b32 v8, 0x7f800000, v9, v8
	v_cndmask_b32_e32 v3, 0, v8, vcc_lo
	s_delay_alu instid0(VALU_DEP_1) | instskip(SKIP_1) | instid1(VALU_DEP_2)
	v_and_or_b32 v1, 0x80000000, v1, v3
	v_bfe_u32 v3, v3, 16, 1
	v_cmp_o_f32_e32 vcc_lo, v1, v1
	s_delay_alu instid0(VALU_DEP_2) | instskip(NEXT) | instid1(VALU_DEP_1)
	v_add3_u32 v3, v1, v3, 0x7fff
	v_lshrrev_b32_e32 v3, 16, v3
	s_delay_alu instid0(VALU_DEP_1)
	v_cndmask_b32_e32 v8, 0x7fc0, v3, vcc_lo
.LBB166_1837:
	s_mov_b32 s18, 0
.LBB166_1838:
	s_delay_alu instid0(SALU_CYCLE_1)
	s_and_not1_b32 vcc_lo, exec_lo, s18
	s_cbranch_vccnz .LBB166_1840
; %bb.1839:
	global_load_u8 v1, v[4:5], off
	s_wait_loadcnt 0x0
	v_lshlrev_b32_e32 v3, 25, v1
	v_lshlrev_b16 v1, 8, v1
	s_delay_alu instid0(VALU_DEP_1) | instskip(NEXT) | instid1(VALU_DEP_3)
	v_and_or_b32 v9, 0x7f00, v1, 0.5
	v_lshrrev_b32_e32 v8, 4, v3
	v_bfe_i32 v1, v1, 0, 16
	s_delay_alu instid0(VALU_DEP_3) | instskip(NEXT) | instid1(VALU_DEP_3)
	v_add_f32_e32 v9, -0.5, v9
	v_or_b32_e32 v8, 0x70000000, v8
	s_delay_alu instid0(VALU_DEP_1) | instskip(SKIP_1) | instid1(VALU_DEP_2)
	v_mul_f32_e32 v8, 0x7800000, v8
	v_cmp_gt_u32_e32 vcc_lo, 0x8000000, v3
	v_cndmask_b32_e32 v3, v8, v9, vcc_lo
	s_delay_alu instid0(VALU_DEP_1) | instskip(SKIP_1) | instid1(VALU_DEP_2)
	v_and_or_b32 v1, 0x80000000, v1, v3
	v_bfe_u32 v3, v3, 16, 1
	v_cmp_o_f32_e32 vcc_lo, v1, v1
	s_delay_alu instid0(VALU_DEP_2) | instskip(NEXT) | instid1(VALU_DEP_1)
	v_add3_u32 v3, v1, v3, 0x7fff
	v_lshrrev_b32_e32 v3, 16, v3
	s_delay_alu instid0(VALU_DEP_1)
	v_cndmask_b32_e32 v8, 0x7fc0, v3, vcc_lo
.LBB166_1840:
	s_mov_b32 s18, 0
	s_mov_b32 s19, -1
.LBB166_1841:
	s_and_not1_b32 vcc_lo, exec_lo, s18
	s_mov_b32 s18, 0
	s_cbranch_vccnz .LBB166_1852
; %bb.1842:
	s_cmp_gt_i32 s0, 14
	s_cbranch_scc0 .LBB166_1845
; %bb.1843:
	s_cmp_eq_u32 s0, 15
	s_cbranch_scc0 .LBB166_1848
; %bb.1844:
	s_wait_loadcnt 0x0
	global_load_u16 v8, v[4:5], off
	s_mov_b32 s10, 0
	s_mov_b32 s19, -1
	s_branch .LBB166_1850
.LBB166_1845:
	s_mov_b32 s18, -1
	s_branch .LBB166_1849
.LBB166_1846:
	s_or_saveexec_b32 s19, s19
	v_mov_b32_e32 v3, 0x7f800001
	s_xor_b32 exec_lo, exec_lo, s19
	s_cbranch_execz .LBB166_1827
.LBB166_1847:
	v_cmp_ne_u16_e32 vcc_lo, 0, v1
	v_mov_b32_e32 v3, 0
	s_and_not1_b32 s18, s18, exec_lo
	s_and_b32 s20, vcc_lo, exec_lo
	s_delay_alu instid0(SALU_CYCLE_1)
	s_or_b32 s18, s18, s20
	s_or_b32 exec_lo, exec_lo, s19
	s_and_saveexec_b32 s19, s18
	s_cbranch_execnz .LBB166_1828
	s_branch .LBB166_1829
.LBB166_1848:
	s_mov_b32 s10, -1
.LBB166_1849:
                                        ; implicit-def: $vgpr8
.LBB166_1850:
	s_and_b32 vcc_lo, exec_lo, s18
	s_mov_b32 s18, 0
	s_cbranch_vccz .LBB166_1852
; %bb.1851:
	s_cmp_lg_u32 s0, 11
	s_mov_b32 s18, -1
	s_cselect_b32 s10, -1, 0
.LBB166_1852:
	s_delay_alu instid0(SALU_CYCLE_1)
	s_and_b32 vcc_lo, exec_lo, s10
	s_cbranch_vccnz .LBB166_1934
; %bb.1853:
	s_and_not1_b32 vcc_lo, exec_lo, s18
	s_cbranch_vccnz .LBB166_1855
.LBB166_1854:
	global_load_u8 v1, v[4:5], off
	s_mov_b32 s19, -1
	s_wait_loadcnt 0x0
	v_cmp_ne_u16_e32 vcc_lo, 0, v1
	v_cndmask_b32_e64 v1, 0, 1.0, vcc_lo
	s_delay_alu instid0(VALU_DEP_1)
	v_lshrrev_b32_e32 v8, 16, v1
.LBB166_1855:
	s_branch .LBB166_1782
.LBB166_1856:
	s_cmp_lt_i32 s0, 5
	s_cbranch_scc1 .LBB166_1861
; %bb.1857:
	s_cmp_lt_i32 s0, 8
	s_cbranch_scc1 .LBB166_1862
; %bb.1858:
	s_cmp_lt_i32 s0, 9
	s_cbranch_scc1 .LBB166_1863
; %bb.1859:
	s_cmp_gt_i32 s0, 9
	s_cbranch_scc0 .LBB166_1864
; %bb.1860:
	s_wait_loadcnt 0x0
	global_load_b64 v[8:9], v[4:5], off
	s_mov_b32 s10, 0
	s_wait_loadcnt 0x0
	v_cvt_f32_f64_e32 v1, v[8:9]
	s_delay_alu instid0(VALU_DEP_1) | instskip(SKIP_1) | instid1(VALU_DEP_2)
	v_bfe_u32 v3, v1, 16, 1
	v_cmp_o_f32_e32 vcc_lo, v1, v1
	v_add3_u32 v3, v1, v3, 0x7fff
	s_delay_alu instid0(VALU_DEP_1) | instskip(NEXT) | instid1(VALU_DEP_1)
	v_lshrrev_b32_e32 v3, 16, v3
	v_cndmask_b32_e32 v8, 0x7fc0, v3, vcc_lo
	s_branch .LBB166_1865
.LBB166_1861:
	s_mov_b32 s10, -1
                                        ; implicit-def: $vgpr8
	s_branch .LBB166_1883
.LBB166_1862:
	s_mov_b32 s10, -1
                                        ; implicit-def: $vgpr8
	s_branch .LBB166_1871
.LBB166_1863:
	s_mov_b32 s10, -1
                                        ; implicit-def: $vgpr8
	s_branch .LBB166_1868
.LBB166_1864:
	s_mov_b32 s10, -1
                                        ; implicit-def: $vgpr8
.LBB166_1865:
	s_delay_alu instid0(SALU_CYCLE_1)
	s_and_not1_b32 vcc_lo, exec_lo, s10
	s_cbranch_vccnz .LBB166_1867
; %bb.1866:
	global_load_b32 v1, v[4:5], off
	s_wait_loadcnt 0x0
	v_bfe_u32 v3, v1, 16, 1
	v_cmp_o_f32_e32 vcc_lo, v1, v1
	s_delay_alu instid0(VALU_DEP_2) | instskip(NEXT) | instid1(VALU_DEP_1)
	v_add3_u32 v3, v1, v3, 0x7fff
	v_lshrrev_b32_e32 v3, 16, v3
	s_delay_alu instid0(VALU_DEP_1)
	v_cndmask_b32_e32 v8, 0x7fc0, v3, vcc_lo
.LBB166_1867:
	s_mov_b32 s10, 0
.LBB166_1868:
	s_delay_alu instid0(SALU_CYCLE_1)
	s_and_not1_b32 vcc_lo, exec_lo, s10
	s_cbranch_vccnz .LBB166_1870
; %bb.1869:
	global_load_b32 v1, v[4:5], off
	s_wait_loadcnt 0x0
	v_cvt_f32_f16_e32 v3, v1
	v_cmp_o_f16_e32 vcc_lo, v1, v1
	s_delay_alu instid0(VALU_DEP_2) | instskip(NEXT) | instid1(VALU_DEP_1)
	v_bfe_u32 v8, v3, 16, 1
	v_add3_u32 v3, v3, v8, 0x7fff
	s_delay_alu instid0(VALU_DEP_1) | instskip(NEXT) | instid1(VALU_DEP_1)
	v_lshrrev_b32_e32 v3, 16, v3
	v_cndmask_b32_e32 v8, 0x7fc0, v3, vcc_lo
.LBB166_1870:
	s_mov_b32 s10, 0
.LBB166_1871:
	s_delay_alu instid0(SALU_CYCLE_1)
	s_and_not1_b32 vcc_lo, exec_lo, s10
	s_cbranch_vccnz .LBB166_1882
; %bb.1872:
	s_cmp_lt_i32 s0, 6
	s_cbranch_scc1 .LBB166_1875
; %bb.1873:
	s_cmp_gt_i32 s0, 6
	s_cbranch_scc0 .LBB166_1876
; %bb.1874:
	s_wait_loadcnt 0x0
	global_load_b64 v[8:9], v[4:5], off
	s_mov_b32 s10, 0
	s_wait_loadcnt 0x0
	v_cvt_f32_f64_e32 v1, v[8:9]
	s_delay_alu instid0(VALU_DEP_1) | instskip(SKIP_1) | instid1(VALU_DEP_2)
	v_bfe_u32 v3, v1, 16, 1
	v_cmp_o_f32_e32 vcc_lo, v1, v1
	v_add3_u32 v3, v1, v3, 0x7fff
	s_delay_alu instid0(VALU_DEP_1) | instskip(NEXT) | instid1(VALU_DEP_1)
	v_lshrrev_b32_e32 v3, 16, v3
	v_cndmask_b32_e32 v8, 0x7fc0, v3, vcc_lo
	s_branch .LBB166_1877
.LBB166_1875:
	s_mov_b32 s10, -1
                                        ; implicit-def: $vgpr8
	s_branch .LBB166_1880
.LBB166_1876:
	s_mov_b32 s10, -1
                                        ; implicit-def: $vgpr8
.LBB166_1877:
	s_delay_alu instid0(SALU_CYCLE_1)
	s_and_not1_b32 vcc_lo, exec_lo, s10
	s_cbranch_vccnz .LBB166_1879
; %bb.1878:
	global_load_b32 v1, v[4:5], off
	s_wait_loadcnt 0x0
	v_bfe_u32 v3, v1, 16, 1
	v_cmp_o_f32_e32 vcc_lo, v1, v1
	s_delay_alu instid0(VALU_DEP_2) | instskip(NEXT) | instid1(VALU_DEP_1)
	v_add3_u32 v3, v1, v3, 0x7fff
	v_lshrrev_b32_e32 v3, 16, v3
	s_delay_alu instid0(VALU_DEP_1)
	v_cndmask_b32_e32 v8, 0x7fc0, v3, vcc_lo
.LBB166_1879:
	s_mov_b32 s10, 0
.LBB166_1880:
	s_delay_alu instid0(SALU_CYCLE_1)
	s_and_not1_b32 vcc_lo, exec_lo, s10
	s_cbranch_vccnz .LBB166_1882
; %bb.1881:
	global_load_u16 v1, v[4:5], off
	s_wait_loadcnt 0x0
	v_cvt_f32_f16_e32 v3, v1
	v_cmp_o_f16_e32 vcc_lo, v1, v1
	s_delay_alu instid0(VALU_DEP_2) | instskip(NEXT) | instid1(VALU_DEP_1)
	v_bfe_u32 v8, v3, 16, 1
	v_add3_u32 v3, v3, v8, 0x7fff
	s_delay_alu instid0(VALU_DEP_1) | instskip(NEXT) | instid1(VALU_DEP_1)
	v_lshrrev_b32_e32 v3, 16, v3
	v_cndmask_b32_e32 v8, 0x7fc0, v3, vcc_lo
.LBB166_1882:
	s_mov_b32 s10, 0
.LBB166_1883:
	s_delay_alu instid0(SALU_CYCLE_1)
	s_and_not1_b32 vcc_lo, exec_lo, s10
	s_cbranch_vccnz .LBB166_1903
; %bb.1884:
	s_cmp_lt_i32 s0, 2
	s_cbranch_scc1 .LBB166_1888
; %bb.1885:
	s_cmp_lt_i32 s0, 3
	s_cbranch_scc1 .LBB166_1889
; %bb.1886:
	s_cmp_gt_i32 s0, 3
	s_cbranch_scc0 .LBB166_1890
; %bb.1887:
	s_wait_loadcnt 0x0
	global_load_b64 v[8:9], v[4:5], off
	s_mov_b32 s10, 0
	s_wait_loadcnt 0x0
	v_xor_b32_e32 v1, v8, v9
	v_cls_i32_e32 v3, v9
	s_delay_alu instid0(VALU_DEP_2) | instskip(NEXT) | instid1(VALU_DEP_1)
	v_ashrrev_i32_e32 v1, 31, v1
	v_add_nc_u32_e32 v1, 32, v1
	s_delay_alu instid0(VALU_DEP_1) | instskip(NEXT) | instid1(VALU_DEP_1)
	v_add_min_u32_e64 v1, v3, -1, v1
	v_lshlrev_b64_e32 v[8:9], v1, v[8:9]
	v_sub_nc_u32_e32 v1, 32, v1
	s_delay_alu instid0(VALU_DEP_2) | instskip(NEXT) | instid1(VALU_DEP_1)
	v_min_u32_e32 v3, 1, v8
	v_or_b32_e32 v3, v9, v3
	s_delay_alu instid0(VALU_DEP_1) | instskip(NEXT) | instid1(VALU_DEP_1)
	v_cvt_f32_i32_e32 v3, v3
	v_ldexp_f32 v1, v3, v1
	s_delay_alu instid0(VALU_DEP_1) | instskip(NEXT) | instid1(VALU_DEP_1)
	v_bfe_u32 v3, v1, 16, 1
	v_add3_u32 v1, v1, v3, 0x7fff
	s_delay_alu instid0(VALU_DEP_1)
	v_lshrrev_b32_e32 v8, 16, v1
	s_branch .LBB166_1891
.LBB166_1888:
	s_mov_b32 s10, -1
                                        ; implicit-def: $vgpr8
	s_branch .LBB166_1897
.LBB166_1889:
	s_mov_b32 s10, -1
                                        ; implicit-def: $vgpr8
	s_branch .LBB166_1894
.LBB166_1890:
	s_mov_b32 s10, -1
                                        ; implicit-def: $vgpr8
.LBB166_1891:
	s_delay_alu instid0(SALU_CYCLE_1)
	s_and_not1_b32 vcc_lo, exec_lo, s10
	s_cbranch_vccnz .LBB166_1893
; %bb.1892:
	global_load_b32 v1, v[4:5], off
	s_wait_loadcnt 0x0
	v_cvt_f32_i32_e32 v1, v1
	s_delay_alu instid0(VALU_DEP_1) | instskip(NEXT) | instid1(VALU_DEP_1)
	v_bfe_u32 v3, v1, 16, 1
	v_add3_u32 v1, v1, v3, 0x7fff
	s_delay_alu instid0(VALU_DEP_1)
	v_lshrrev_b32_e32 v8, 16, v1
.LBB166_1893:
	s_mov_b32 s10, 0
.LBB166_1894:
	s_delay_alu instid0(SALU_CYCLE_1)
	s_and_not1_b32 vcc_lo, exec_lo, s10
	s_cbranch_vccnz .LBB166_1896
; %bb.1895:
	global_load_i16 v1, v[4:5], off
	s_wait_loadcnt 0x0
	v_cvt_f32_i32_e32 v1, v1
	s_delay_alu instid0(VALU_DEP_1) | instskip(NEXT) | instid1(VALU_DEP_1)
	v_bfe_u32 v3, v1, 16, 1
	v_add3_u32 v1, v1, v3, 0x7fff
	s_delay_alu instid0(VALU_DEP_1)
	v_lshrrev_b32_e32 v8, 16, v1
.LBB166_1896:
	s_mov_b32 s10, 0
.LBB166_1897:
	s_delay_alu instid0(SALU_CYCLE_1)
	s_and_not1_b32 vcc_lo, exec_lo, s10
	s_cbranch_vccnz .LBB166_1903
; %bb.1898:
	s_cmp_gt_i32 s0, 0
	s_mov_b32 s10, 0
	s_cbranch_scc0 .LBB166_1900
; %bb.1899:
	global_load_i8 v1, v[4:5], off
	s_wait_loadcnt 0x0
	v_cvt_f32_i32_e32 v1, v1
	s_delay_alu instid0(VALU_DEP_1) | instskip(NEXT) | instid1(VALU_DEP_1)
	v_bfe_u32 v3, v1, 16, 1
	v_add3_u32 v1, v1, v3, 0x7fff
	s_delay_alu instid0(VALU_DEP_1)
	v_lshrrev_b32_e32 v8, 16, v1
	s_branch .LBB166_1901
.LBB166_1900:
	s_mov_b32 s10, -1
                                        ; implicit-def: $vgpr8
.LBB166_1901:
	s_delay_alu instid0(SALU_CYCLE_1)
	s_and_not1_b32 vcc_lo, exec_lo, s10
	s_cbranch_vccnz .LBB166_1903
; %bb.1902:
	global_load_u8 v1, v[4:5], off
	s_wait_loadcnt 0x0
	v_cvt_f32_ubyte0_e32 v1, v1
	s_delay_alu instid0(VALU_DEP_1) | instskip(NEXT) | instid1(VALU_DEP_1)
	v_bfe_u32 v3, v1, 16, 1
	v_add3_u32 v1, v1, v3, 0x7fff
	s_delay_alu instid0(VALU_DEP_1)
	v_lshrrev_b32_e32 v8, 16, v1
.LBB166_1903:
.LBB166_1904:
	s_cmp_lt_i32 s15, 23
	s_cbranch_scc1 .LBB166_1908
; %bb.1905:
	s_and_b32 s19, 0xffff, s15
	s_delay_alu instid0(SALU_CYCLE_1)
	s_cmp_gt_i32 s19, 43
	s_cbranch_scc0 .LBB166_1909
; %bb.1906:
	s_cmp_gt_i32 s19, 45
	s_cbranch_scc0 .LBB166_1910
; %bb.1907:
	s_cmp_lg_u32 s19, 46
	s_mov_b32 s20, 0
	s_mov_b32 s10, -1
	s_cselect_b32 s18, -1, 0
	s_branch .LBB166_1911
.LBB166_1908:
	s_mov_b32 s19, -1
	s_mov_b32 s10, 0
	s_mov_b32 s18, 0
	s_branch .LBB166_1917
.LBB166_1909:
	s_mov_b32 s20, -1
	s_mov_b32 s10, 0
	s_mov_b32 s18, 0
	s_branch .LBB166_1914
.LBB166_1910:
	s_mov_b32 s20, -1
	s_mov_b32 s10, 0
	s_mov_b32 s18, 0
.LBB166_1911:
	s_and_not1_b32 vcc_lo, exec_lo, s20
	s_cbranch_vccnz .LBB166_1913
; %bb.1912:
	s_cmp_eq_u32 s19, 44
	s_cselect_b32 s10, -1, 0
	s_cmp_lg_u32 s19, 44
	s_cselect_b32 s18, -1, 0
.LBB166_1913:
	s_mov_b32 s20, 0
.LBB166_1914:
	s_delay_alu instid0(SALU_CYCLE_1)
	s_and_b32 vcc_lo, exec_lo, s20
	s_cbranch_vccz .LBB166_1916
; %bb.1915:
	s_cmp_lt_i32 s19, 30
	s_cselect_b32 s10, -1, 0
	s_cmp_gt_i32 s19, 29
	s_cselect_b32 s18, -1, 0
.LBB166_1916:
	s_mov_b32 s19, 0
.LBB166_1917:
	s_delay_alu instid0(SALU_CYCLE_1)
	s_and_b32 vcc_lo, exec_lo, s19
	s_cbranch_vccz .LBB166_1922
; %bb.1918:
	s_and_b32 s19, 0xffff, s15
	s_mov_b32 s20, -1
	s_cmp_gt_i32 s19, 14
	s_cbranch_scc0 .LBB166_1920
; %bb.1919:
	s_cmp_eq_u32 s19, 15
	s_mov_b32 s20, 0
	s_cselect_b32 s10, -1, 0
	s_cmp_lg_u32 s19, 15
	s_cselect_b32 s18, -1, 0
.LBB166_1920:
	s_and_not1_b32 vcc_lo, exec_lo, s20
	s_cbranch_vccnz .LBB166_1922
; %bb.1921:
	s_cmp_lt_i32 s19, 12
	s_cselect_b32 s10, -1, 0
	s_cmp_gt_i32 s19, 11
	s_cselect_b32 s18, -1, 0
.LBB166_1922:
	s_delay_alu instid0(SALU_CYCLE_1)
	s_and_b32 vcc_lo, exec_lo, s18
	s_cbranch_vccnz .LBB166_1935
; %bb.1923:
	s_and_not1_b32 vcc_lo, exec_lo, s10
	s_cbranch_vccnz .LBB166_3190
.LBB166_1924:
	s_lshl_b32 s8, s8, 7
	s_cmp_lt_i32 s13, 11
	v_add_nc_u32_e32 v0, s8, v0
	s_delay_alu instid0(VALU_DEP_1) | instskip(SKIP_1) | instid1(VALU_DEP_1)
	v_ashrrev_i32_e32 v1, 31, v0
	s_wait_xcnt 0x0
	v_add_nc_u64_e32 v[4:5], s[4:5], v[0:1]
	s_cbranch_scc1 .LBB166_1931
; %bb.1925:
	s_and_b32 s10, 0xffff, s13
	s_mov_b32 s19, 0
	s_cmp_gt_i32 s10, 25
	s_cbranch_scc0 .LBB166_1932
; %bb.1926:
	s_cmp_gt_i32 s10, 28
	s_cbranch_scc0 .LBB166_1933
; %bb.1927:
	;; [unrolled: 3-line block ×4, first 2 shown]
	s_cmp_eq_u32 s10, 46
	s_mov_b32 s21, 0
	s_cbranch_scc0 .LBB166_1938
; %bb.1930:
	global_load_b32 v9, v[4:5], off
	s_mov_b32 s18, 0
	s_mov_b32 s20, -1
	s_branch .LBB166_1940
.LBB166_1931:
	s_mov_b32 s10, -1
	s_mov_b32 s20, 0
                                        ; implicit-def: $vgpr9
	s_branch .LBB166_2006
.LBB166_1932:
	s_mov_b32 s21, -1
	s_mov_b32 s20, 0
	s_mov_b32 s18, 0
                                        ; implicit-def: $vgpr9
	s_branch .LBB166_1969
.LBB166_1933:
	s_mov_b32 s21, -1
	s_mov_b32 s20, 0
	s_mov_b32 s18, 0
                                        ; implicit-def: $vgpr9
	s_branch .LBB166_1950
.LBB166_1934:
	s_or_b32 s14, s14, exec_lo
	s_trap 2
	s_cbranch_execz .LBB166_1854
	s_branch .LBB166_1855
.LBB166_1935:
	s_or_b32 s14, s14, exec_lo
	s_trap 2
	s_cbranch_execz .LBB166_1924
	s_branch .LBB166_3190
.LBB166_1936:
	s_mov_b32 s21, -1
	s_mov_b32 s20, 0
	s_mov_b32 s18, 0
                                        ; implicit-def: $vgpr9
	s_branch .LBB166_1945
.LBB166_1937:
	s_mov_b32 s21, -1
	s_mov_b32 s20, 0
	s_mov_b32 s18, 0
	s_branch .LBB166_1939
.LBB166_1938:
	s_mov_b32 s18, -1
	s_mov_b32 s20, 0
.LBB166_1939:
                                        ; implicit-def: $vgpr9
.LBB166_1940:
	s_and_b32 vcc_lo, exec_lo, s21
	s_cbranch_vccz .LBB166_1944
; %bb.1941:
	s_cmp_eq_u32 s10, 44
	s_cbranch_scc0 .LBB166_1943
; %bb.1942:
	global_load_u8 v1, v[4:5], off
	s_mov_b32 s18, 0
	s_mov_b32 s20, -1
	s_wait_loadcnt 0x0
	v_lshlrev_b32_e32 v3, 23, v1
	v_cmp_ne_u32_e32 vcc_lo, 0xff, v1
	s_delay_alu instid0(VALU_DEP_2) | instskip(SKIP_1) | instid1(VALU_DEP_2)
	v_cndmask_b32_e32 v3, 0x7f800001, v3, vcc_lo
	v_cmp_ne_u32_e32 vcc_lo, 0, v1
	v_cndmask_b32_e32 v1, 0x400000, v3, vcc_lo
	s_delay_alu instid0(VALU_DEP_1) | instskip(SKIP_1) | instid1(VALU_DEP_2)
	v_add_nc_u32_e32 v3, 0x7fff, v1
	v_cmp_o_f32_e32 vcc_lo, v1, v1
	v_lshrrev_b32_e32 v3, 16, v3
	s_delay_alu instid0(VALU_DEP_1)
	v_cndmask_b32_e32 v9, 0x7fc0, v3, vcc_lo
	s_branch .LBB166_1944
.LBB166_1943:
	s_mov_b32 s18, -1
                                        ; implicit-def: $vgpr9
.LBB166_1944:
	s_mov_b32 s21, 0
.LBB166_1945:
	s_delay_alu instid0(SALU_CYCLE_1)
	s_and_b32 vcc_lo, exec_lo, s21
	s_cbranch_vccz .LBB166_1949
; %bb.1946:
	s_cmp_eq_u32 s10, 29
	s_cbranch_scc0 .LBB166_1948
; %bb.1947:
	global_load_b64 v[10:11], v[4:5], off
	s_mov_b32 s18, 0
	s_mov_b32 s20, -1
	s_mov_b32 s21, 0
	s_wait_loadcnt 0x0
	v_clz_i32_u32_e32 v1, v11
	s_delay_alu instid0(VALU_DEP_1) | instskip(NEXT) | instid1(VALU_DEP_1)
	v_min_u32_e32 v1, 32, v1
	v_lshlrev_b64_e32 v[10:11], v1, v[10:11]
	v_sub_nc_u32_e32 v1, 32, v1
	s_delay_alu instid0(VALU_DEP_2) | instskip(NEXT) | instid1(VALU_DEP_1)
	v_min_u32_e32 v3, 1, v10
	v_or_b32_e32 v3, v11, v3
	s_delay_alu instid0(VALU_DEP_1) | instskip(NEXT) | instid1(VALU_DEP_1)
	v_cvt_f32_u32_e32 v3, v3
	v_ldexp_f32 v1, v3, v1
	s_delay_alu instid0(VALU_DEP_1) | instskip(NEXT) | instid1(VALU_DEP_1)
	v_bfe_u32 v3, v1, 16, 1
	v_add3_u32 v1, v1, v3, 0x7fff
	s_delay_alu instid0(VALU_DEP_1)
	v_lshrrev_b32_e32 v9, 16, v1
	s_branch .LBB166_1950
.LBB166_1948:
	s_mov_b32 s18, -1
                                        ; implicit-def: $vgpr9
.LBB166_1949:
	s_mov_b32 s21, 0
.LBB166_1950:
	s_delay_alu instid0(SALU_CYCLE_1)
	s_and_b32 vcc_lo, exec_lo, s21
	s_cbranch_vccz .LBB166_1968
; %bb.1951:
	s_cmp_lt_i32 s10, 27
	s_cbranch_scc1 .LBB166_1954
; %bb.1952:
	s_cmp_gt_i32 s10, 27
	s_cbranch_scc0 .LBB166_1955
; %bb.1953:
	global_load_b32 v1, v[4:5], off
	s_mov_b32 s20, 0
	s_wait_loadcnt 0x0
	v_cvt_f32_u32_e32 v1, v1
	s_delay_alu instid0(VALU_DEP_1) | instskip(NEXT) | instid1(VALU_DEP_1)
	v_bfe_u32 v3, v1, 16, 1
	v_add3_u32 v1, v1, v3, 0x7fff
	s_delay_alu instid0(VALU_DEP_1)
	v_lshrrev_b32_e32 v9, 16, v1
	s_branch .LBB166_1956
.LBB166_1954:
	s_mov_b32 s20, -1
                                        ; implicit-def: $vgpr9
	s_branch .LBB166_1959
.LBB166_1955:
	s_mov_b32 s20, -1
                                        ; implicit-def: $vgpr9
.LBB166_1956:
	s_delay_alu instid0(SALU_CYCLE_1)
	s_and_not1_b32 vcc_lo, exec_lo, s20
	s_cbranch_vccnz .LBB166_1958
; %bb.1957:
	global_load_u16 v1, v[4:5], off
	s_wait_loadcnt 0x0
	v_cvt_f32_u32_e32 v1, v1
	s_delay_alu instid0(VALU_DEP_1) | instskip(NEXT) | instid1(VALU_DEP_1)
	v_bfe_u32 v3, v1, 16, 1
	v_add3_u32 v1, v1, v3, 0x7fff
	s_delay_alu instid0(VALU_DEP_1)
	v_lshrrev_b32_e32 v9, 16, v1
.LBB166_1958:
	s_mov_b32 s20, 0
.LBB166_1959:
	s_delay_alu instid0(SALU_CYCLE_1)
	s_and_not1_b32 vcc_lo, exec_lo, s20
	s_cbranch_vccnz .LBB166_1967
; %bb.1960:
	global_load_u8 v1, v[4:5], off
	s_mov_b32 s20, 0
	s_mov_b32 s21, exec_lo
	s_wait_loadcnt 0x0
	v_cmpx_lt_i16_e32 0x7f, v1
	s_xor_b32 s21, exec_lo, s21
	s_cbranch_execz .LBB166_1981
; %bb.1961:
	s_mov_b32 s20, -1
	s_mov_b32 s22, exec_lo
	v_cmpx_eq_u16_e32 0x80, v1
; %bb.1962:
	s_xor_b32 s20, exec_lo, -1
; %bb.1963:
	s_or_b32 exec_lo, exec_lo, s22
	s_delay_alu instid0(SALU_CYCLE_1)
	s_and_b32 s20, s20, exec_lo
	s_or_saveexec_b32 s21, s21
	v_mov_b32_e32 v3, 0x7f800001
	s_xor_b32 exec_lo, exec_lo, s21
	s_cbranch_execnz .LBB166_1982
.LBB166_1964:
	s_or_b32 exec_lo, exec_lo, s21
	s_and_saveexec_b32 s21, s20
	s_cbranch_execz .LBB166_1966
.LBB166_1965:
	v_and_b32_e32 v3, 0xffff, v1
	s_delay_alu instid0(VALU_DEP_1) | instskip(SKIP_1) | instid1(VALU_DEP_2)
	v_and_b32_e32 v9, 7, v3
	v_bfe_u32 v12, v3, 3, 4
	v_clz_i32_u32_e32 v10, v9
	s_delay_alu instid0(VALU_DEP_2) | instskip(NEXT) | instid1(VALU_DEP_2)
	v_cmp_eq_u32_e32 vcc_lo, 0, v12
	v_min_u32_e32 v10, 32, v10
	s_delay_alu instid0(VALU_DEP_1) | instskip(NEXT) | instid1(VALU_DEP_1)
	v_subrev_nc_u32_e32 v11, 28, v10
	v_dual_lshlrev_b32 v3, v11, v3 :: v_dual_sub_nc_u32 v10, 29, v10
	s_delay_alu instid0(VALU_DEP_1) | instskip(NEXT) | instid1(VALU_DEP_1)
	v_dual_lshlrev_b32 v1, 24, v1 :: v_dual_bitop2_b32 v3, 7, v3 bitop3:0x40
	v_dual_cndmask_b32 v10, v12, v10 :: v_dual_cndmask_b32 v3, v9, v3
	s_delay_alu instid0(VALU_DEP_2) | instskip(NEXT) | instid1(VALU_DEP_2)
	v_and_b32_e32 v1, 0x80000000, v1
	v_lshl_add_u32 v9, v10, 23, 0x3b800000
	s_delay_alu instid0(VALU_DEP_3) | instskip(NEXT) | instid1(VALU_DEP_1)
	v_lshlrev_b32_e32 v3, 20, v3
	v_or3_b32 v3, v1, v9, v3
.LBB166_1966:
	s_or_b32 exec_lo, exec_lo, s21
	s_delay_alu instid0(VALU_DEP_1) | instskip(SKIP_1) | instid1(VALU_DEP_2)
	v_bfe_u32 v1, v3, 16, 1
	v_cmp_o_f32_e32 vcc_lo, v3, v3
	v_add3_u32 v1, v3, v1, 0x7fff
	s_delay_alu instid0(VALU_DEP_1) | instskip(NEXT) | instid1(VALU_DEP_1)
	v_lshrrev_b32_e32 v1, 16, v1
	v_cndmask_b32_e32 v9, 0x7fc0, v1, vcc_lo
.LBB166_1967:
	s_mov_b32 s20, -1
.LBB166_1968:
	s_mov_b32 s21, 0
.LBB166_1969:
	s_delay_alu instid0(SALU_CYCLE_1)
	s_and_b32 vcc_lo, exec_lo, s21
	s_cbranch_vccz .LBB166_2002
; %bb.1970:
	s_cmp_gt_i32 s10, 22
	s_cbranch_scc0 .LBB166_1980
; %bb.1971:
	s_cmp_lt_i32 s10, 24
	s_cbranch_scc1 .LBB166_1983
; %bb.1972:
	s_cmp_gt_i32 s10, 24
	s_cbranch_scc0 .LBB166_1984
; %bb.1973:
	global_load_u8 v1, v[4:5], off
	s_mov_b32 s20, exec_lo
	s_wait_loadcnt 0x0
	v_cmpx_lt_i16_e32 0x7f, v1
	s_xor_b32 s20, exec_lo, s20
	s_cbranch_execz .LBB166_1996
; %bb.1974:
	s_mov_b32 s19, -1
	s_mov_b32 s21, exec_lo
	v_cmpx_eq_u16_e32 0x80, v1
; %bb.1975:
	s_xor_b32 s19, exec_lo, -1
; %bb.1976:
	s_or_b32 exec_lo, exec_lo, s21
	s_delay_alu instid0(SALU_CYCLE_1)
	s_and_b32 s19, s19, exec_lo
	s_or_saveexec_b32 s20, s20
	v_mov_b32_e32 v3, 0x7f800001
	s_xor_b32 exec_lo, exec_lo, s20
	s_cbranch_execnz .LBB166_1997
.LBB166_1977:
	s_or_b32 exec_lo, exec_lo, s20
	s_and_saveexec_b32 s20, s19
	s_cbranch_execz .LBB166_1979
.LBB166_1978:
	v_and_b32_e32 v3, 0xffff, v1
	s_delay_alu instid0(VALU_DEP_1) | instskip(SKIP_1) | instid1(VALU_DEP_2)
	v_and_b32_e32 v9, 3, v3
	v_bfe_u32 v12, v3, 2, 5
	v_clz_i32_u32_e32 v10, v9
	s_delay_alu instid0(VALU_DEP_2) | instskip(NEXT) | instid1(VALU_DEP_2)
	v_cmp_eq_u32_e32 vcc_lo, 0, v12
	v_min_u32_e32 v10, 32, v10
	s_delay_alu instid0(VALU_DEP_1) | instskip(NEXT) | instid1(VALU_DEP_1)
	v_subrev_nc_u32_e32 v11, 29, v10
	v_dual_lshlrev_b32 v3, v11, v3 :: v_dual_sub_nc_u32 v10, 30, v10
	s_delay_alu instid0(VALU_DEP_1) | instskip(NEXT) | instid1(VALU_DEP_1)
	v_dual_lshlrev_b32 v1, 24, v1 :: v_dual_bitop2_b32 v3, 3, v3 bitop3:0x40
	v_dual_cndmask_b32 v10, v12, v10 :: v_dual_cndmask_b32 v3, v9, v3
	s_delay_alu instid0(VALU_DEP_2) | instskip(NEXT) | instid1(VALU_DEP_2)
	v_and_b32_e32 v1, 0x80000000, v1
	v_lshl_add_u32 v9, v10, 23, 0x37800000
	s_delay_alu instid0(VALU_DEP_3) | instskip(NEXT) | instid1(VALU_DEP_1)
	v_lshlrev_b32_e32 v3, 21, v3
	v_or3_b32 v3, v1, v9, v3
.LBB166_1979:
	s_or_b32 exec_lo, exec_lo, s20
	s_delay_alu instid0(VALU_DEP_1) | instskip(SKIP_2) | instid1(VALU_DEP_2)
	v_bfe_u32 v1, v3, 16, 1
	v_cmp_o_f32_e32 vcc_lo, v3, v3
	s_mov_b32 s19, 0
	v_add3_u32 v1, v3, v1, 0x7fff
	s_delay_alu instid0(VALU_DEP_1) | instskip(NEXT) | instid1(VALU_DEP_1)
	v_lshrrev_b32_e32 v1, 16, v1
	v_cndmask_b32_e32 v9, 0x7fc0, v1, vcc_lo
	s_branch .LBB166_1985
.LBB166_1980:
	s_mov_b32 s19, -1
                                        ; implicit-def: $vgpr9
	s_branch .LBB166_1991
.LBB166_1981:
	s_or_saveexec_b32 s21, s21
	v_mov_b32_e32 v3, 0x7f800001
	s_xor_b32 exec_lo, exec_lo, s21
	s_cbranch_execz .LBB166_1964
.LBB166_1982:
	v_cmp_ne_u16_e32 vcc_lo, 0, v1
	v_mov_b32_e32 v3, 0
	s_and_not1_b32 s20, s20, exec_lo
	s_and_b32 s22, vcc_lo, exec_lo
	s_delay_alu instid0(SALU_CYCLE_1)
	s_or_b32 s20, s20, s22
	s_or_b32 exec_lo, exec_lo, s21
	s_and_saveexec_b32 s21, s20
	s_cbranch_execnz .LBB166_1965
	s_branch .LBB166_1966
.LBB166_1983:
	s_mov_b32 s19, -1
                                        ; implicit-def: $vgpr9
	s_branch .LBB166_1988
.LBB166_1984:
	s_mov_b32 s19, -1
                                        ; implicit-def: $vgpr9
.LBB166_1985:
	s_delay_alu instid0(SALU_CYCLE_1)
	s_and_b32 vcc_lo, exec_lo, s19
	s_cbranch_vccz .LBB166_1987
; %bb.1986:
	global_load_u8 v1, v[4:5], off
	s_wait_loadcnt 0x0
	v_lshlrev_b32_e32 v1, 24, v1
	s_delay_alu instid0(VALU_DEP_1) | instskip(NEXT) | instid1(VALU_DEP_1)
	v_and_b32_e32 v3, 0x7f000000, v1
	v_clz_i32_u32_e32 v9, v3
	v_add_nc_u32_e32 v11, 0x1000000, v3
	v_cmp_ne_u32_e32 vcc_lo, 0, v3
	s_delay_alu instid0(VALU_DEP_3) | instskip(NEXT) | instid1(VALU_DEP_1)
	v_min_u32_e32 v9, 32, v9
	v_sub_nc_u32_e64 v9, v9, 4 clamp
	s_delay_alu instid0(VALU_DEP_1) | instskip(NEXT) | instid1(VALU_DEP_1)
	v_dual_lshlrev_b32 v10, v9, v3 :: v_dual_lshlrev_b32 v9, 23, v9
	v_lshrrev_b32_e32 v10, 4, v10
	s_delay_alu instid0(VALU_DEP_1) | instskip(NEXT) | instid1(VALU_DEP_1)
	v_dual_sub_nc_u32 v9, v10, v9 :: v_dual_ashrrev_i32 v10, 8, v11
	v_add_nc_u32_e32 v9, 0x3c000000, v9
	s_delay_alu instid0(VALU_DEP_1) | instskip(NEXT) | instid1(VALU_DEP_1)
	v_and_or_b32 v9, 0x7f800000, v10, v9
	v_cndmask_b32_e32 v3, 0, v9, vcc_lo
	s_delay_alu instid0(VALU_DEP_1) | instskip(SKIP_1) | instid1(VALU_DEP_2)
	v_and_or_b32 v1, 0x80000000, v1, v3
	v_bfe_u32 v3, v3, 16, 1
	v_cmp_o_f32_e32 vcc_lo, v1, v1
	s_delay_alu instid0(VALU_DEP_2) | instskip(NEXT) | instid1(VALU_DEP_1)
	v_add3_u32 v3, v1, v3, 0x7fff
	v_lshrrev_b32_e32 v3, 16, v3
	s_delay_alu instid0(VALU_DEP_1)
	v_cndmask_b32_e32 v9, 0x7fc0, v3, vcc_lo
.LBB166_1987:
	s_mov_b32 s19, 0
.LBB166_1988:
	s_delay_alu instid0(SALU_CYCLE_1)
	s_and_not1_b32 vcc_lo, exec_lo, s19
	s_cbranch_vccnz .LBB166_1990
; %bb.1989:
	global_load_u8 v1, v[4:5], off
	s_wait_loadcnt 0x0
	v_lshlrev_b32_e32 v3, 25, v1
	v_lshlrev_b16 v1, 8, v1
	s_delay_alu instid0(VALU_DEP_1) | instskip(SKIP_1) | instid1(VALU_DEP_2)
	v_and_or_b32 v10, 0x7f00, v1, 0.5
	v_bfe_i32 v1, v1, 0, 16
	v_dual_add_f32 v10, -0.5, v10 :: v_dual_lshrrev_b32 v9, 4, v3
	v_cmp_gt_u32_e32 vcc_lo, 0x8000000, v3
	s_delay_alu instid0(VALU_DEP_2) | instskip(NEXT) | instid1(VALU_DEP_1)
	v_or_b32_e32 v9, 0x70000000, v9
	v_mul_f32_e32 v9, 0x7800000, v9
	s_delay_alu instid0(VALU_DEP_1) | instskip(NEXT) | instid1(VALU_DEP_1)
	v_cndmask_b32_e32 v3, v9, v10, vcc_lo
	v_and_or_b32 v1, 0x80000000, v1, v3
	v_bfe_u32 v3, v3, 16, 1
	s_delay_alu instid0(VALU_DEP_2) | instskip(NEXT) | instid1(VALU_DEP_2)
	v_cmp_o_f32_e32 vcc_lo, v1, v1
	v_add3_u32 v3, v1, v3, 0x7fff
	s_delay_alu instid0(VALU_DEP_1) | instskip(NEXT) | instid1(VALU_DEP_1)
	v_lshrrev_b32_e32 v3, 16, v3
	v_cndmask_b32_e32 v9, 0x7fc0, v3, vcc_lo
.LBB166_1990:
	s_mov_b32 s19, 0
	s_mov_b32 s20, -1
.LBB166_1991:
	s_and_not1_b32 vcc_lo, exec_lo, s19
	s_mov_b32 s19, 0
	s_cbranch_vccnz .LBB166_2002
; %bb.1992:
	s_cmp_gt_i32 s10, 14
	s_cbranch_scc0 .LBB166_1995
; %bb.1993:
	s_cmp_eq_u32 s10, 15
	s_cbranch_scc0 .LBB166_1998
; %bb.1994:
	s_wait_loadcnt 0x0
	global_load_u16 v9, v[4:5], off
	s_mov_b32 s18, 0
	s_mov_b32 s20, -1
	s_branch .LBB166_2000
.LBB166_1995:
	s_mov_b32 s19, -1
	s_branch .LBB166_1999
.LBB166_1996:
	s_or_saveexec_b32 s20, s20
	v_mov_b32_e32 v3, 0x7f800001
	s_xor_b32 exec_lo, exec_lo, s20
	s_cbranch_execz .LBB166_1977
.LBB166_1997:
	v_cmp_ne_u16_e32 vcc_lo, 0, v1
	v_mov_b32_e32 v3, 0
	s_and_not1_b32 s19, s19, exec_lo
	s_and_b32 s21, vcc_lo, exec_lo
	s_delay_alu instid0(SALU_CYCLE_1)
	s_or_b32 s19, s19, s21
	s_or_b32 exec_lo, exec_lo, s20
	s_and_saveexec_b32 s20, s19
	s_cbranch_execnz .LBB166_1978
	s_branch .LBB166_1979
.LBB166_1998:
	s_mov_b32 s18, -1
.LBB166_1999:
                                        ; implicit-def: $vgpr9
.LBB166_2000:
	s_and_b32 vcc_lo, exec_lo, s19
	s_mov_b32 s19, 0
	s_cbranch_vccz .LBB166_2002
; %bb.2001:
	s_cmp_lg_u32 s10, 11
	s_mov_b32 s19, -1
	s_cselect_b32 s18, -1, 0
.LBB166_2002:
	s_delay_alu instid0(SALU_CYCLE_1)
	s_and_b32 vcc_lo, exec_lo, s18
	s_cbranch_vccnz .LBB166_2067
; %bb.2003:
	s_and_not1_b32 vcc_lo, exec_lo, s19
	s_cbranch_vccnz .LBB166_2005
.LBB166_2004:
	global_load_u8 v1, v[4:5], off
	s_mov_b32 s20, -1
	s_wait_loadcnt 0x0
	v_cmp_ne_u16_e32 vcc_lo, 0, v1
	v_cndmask_b32_e64 v1, 0, 1.0, vcc_lo
	s_delay_alu instid0(VALU_DEP_1)
	v_lshrrev_b32_e32 v9, 16, v1
.LBB166_2005:
	s_mov_b32 s10, 0
.LBB166_2006:
	s_delay_alu instid0(SALU_CYCLE_1)
	s_and_b32 vcc_lo, exec_lo, s10
	s_cbranch_vccz .LBB166_2055
; %bb.2007:
	s_and_b32 s10, 0xffff, s13
	s_delay_alu instid0(SALU_CYCLE_1)
	s_cmp_lt_i32 s10, 5
	s_cbranch_scc1 .LBB166_2012
; %bb.2008:
	s_cmp_lt_i32 s10, 8
	s_cbranch_scc1 .LBB166_2013
; %bb.2009:
	;; [unrolled: 3-line block ×3, first 2 shown]
	s_cmp_gt_i32 s10, 9
	s_cbranch_scc0 .LBB166_2015
; %bb.2011:
	global_load_b64 v[10:11], v[4:5], off
	s_mov_b32 s18, 0
	s_wait_loadcnt 0x0
	v_cvt_f32_f64_e32 v1, v[10:11]
	s_delay_alu instid0(VALU_DEP_1) | instskip(SKIP_1) | instid1(VALU_DEP_2)
	v_bfe_u32 v3, v1, 16, 1
	v_cmp_o_f32_e32 vcc_lo, v1, v1
	v_add3_u32 v3, v1, v3, 0x7fff
	s_delay_alu instid0(VALU_DEP_1) | instskip(NEXT) | instid1(VALU_DEP_1)
	v_lshrrev_b32_e32 v3, 16, v3
	v_cndmask_b32_e32 v9, 0x7fc0, v3, vcc_lo
	s_branch .LBB166_2016
.LBB166_2012:
	s_mov_b32 s18, -1
                                        ; implicit-def: $vgpr9
	s_branch .LBB166_2034
.LBB166_2013:
	s_mov_b32 s18, -1
                                        ; implicit-def: $vgpr9
	s_branch .LBB166_2022
.LBB166_2014:
	s_mov_b32 s18, -1
                                        ; implicit-def: $vgpr9
	s_branch .LBB166_2019
.LBB166_2015:
	s_mov_b32 s18, -1
                                        ; implicit-def: $vgpr9
.LBB166_2016:
	s_delay_alu instid0(SALU_CYCLE_1)
	s_and_not1_b32 vcc_lo, exec_lo, s18
	s_cbranch_vccnz .LBB166_2018
; %bb.2017:
	global_load_b32 v1, v[4:5], off
	s_wait_loadcnt 0x0
	v_bfe_u32 v3, v1, 16, 1
	v_cmp_o_f32_e32 vcc_lo, v1, v1
	s_delay_alu instid0(VALU_DEP_2) | instskip(NEXT) | instid1(VALU_DEP_1)
	v_add3_u32 v3, v1, v3, 0x7fff
	v_lshrrev_b32_e32 v3, 16, v3
	s_delay_alu instid0(VALU_DEP_1)
	v_cndmask_b32_e32 v9, 0x7fc0, v3, vcc_lo
.LBB166_2018:
	s_mov_b32 s18, 0
.LBB166_2019:
	s_delay_alu instid0(SALU_CYCLE_1)
	s_and_not1_b32 vcc_lo, exec_lo, s18
	s_cbranch_vccnz .LBB166_2021
; %bb.2020:
	global_load_b32 v1, v[4:5], off
	s_wait_loadcnt 0x0
	v_cvt_f32_f16_e32 v3, v1
	v_cmp_o_f16_e32 vcc_lo, v1, v1
	s_delay_alu instid0(VALU_DEP_2) | instskip(NEXT) | instid1(VALU_DEP_1)
	v_bfe_u32 v9, v3, 16, 1
	v_add3_u32 v3, v3, v9, 0x7fff
	s_delay_alu instid0(VALU_DEP_1) | instskip(NEXT) | instid1(VALU_DEP_1)
	v_lshrrev_b32_e32 v3, 16, v3
	v_cndmask_b32_e32 v9, 0x7fc0, v3, vcc_lo
.LBB166_2021:
	s_mov_b32 s18, 0
.LBB166_2022:
	s_delay_alu instid0(SALU_CYCLE_1)
	s_and_not1_b32 vcc_lo, exec_lo, s18
	s_cbranch_vccnz .LBB166_2033
; %bb.2023:
	s_cmp_lt_i32 s10, 6
	s_cbranch_scc1 .LBB166_2026
; %bb.2024:
	s_cmp_gt_i32 s10, 6
	s_cbranch_scc0 .LBB166_2027
; %bb.2025:
	global_load_b64 v[10:11], v[4:5], off
	s_mov_b32 s18, 0
	s_wait_loadcnt 0x0
	v_cvt_f32_f64_e32 v1, v[10:11]
	s_delay_alu instid0(VALU_DEP_1) | instskip(SKIP_1) | instid1(VALU_DEP_2)
	v_bfe_u32 v3, v1, 16, 1
	v_cmp_o_f32_e32 vcc_lo, v1, v1
	v_add3_u32 v3, v1, v3, 0x7fff
	s_delay_alu instid0(VALU_DEP_1) | instskip(NEXT) | instid1(VALU_DEP_1)
	v_lshrrev_b32_e32 v3, 16, v3
	v_cndmask_b32_e32 v9, 0x7fc0, v3, vcc_lo
	s_branch .LBB166_2028
.LBB166_2026:
	s_mov_b32 s18, -1
                                        ; implicit-def: $vgpr9
	s_branch .LBB166_2031
.LBB166_2027:
	s_mov_b32 s18, -1
                                        ; implicit-def: $vgpr9
.LBB166_2028:
	s_delay_alu instid0(SALU_CYCLE_1)
	s_and_not1_b32 vcc_lo, exec_lo, s18
	s_cbranch_vccnz .LBB166_2030
; %bb.2029:
	global_load_b32 v1, v[4:5], off
	s_wait_loadcnt 0x0
	v_bfe_u32 v3, v1, 16, 1
	v_cmp_o_f32_e32 vcc_lo, v1, v1
	s_delay_alu instid0(VALU_DEP_2) | instskip(NEXT) | instid1(VALU_DEP_1)
	v_add3_u32 v3, v1, v3, 0x7fff
	v_lshrrev_b32_e32 v3, 16, v3
	s_delay_alu instid0(VALU_DEP_1)
	v_cndmask_b32_e32 v9, 0x7fc0, v3, vcc_lo
.LBB166_2030:
	s_mov_b32 s18, 0
.LBB166_2031:
	s_delay_alu instid0(SALU_CYCLE_1)
	s_and_not1_b32 vcc_lo, exec_lo, s18
	s_cbranch_vccnz .LBB166_2033
; %bb.2032:
	global_load_u16 v1, v[4:5], off
	s_wait_loadcnt 0x0
	v_cvt_f32_f16_e32 v3, v1
	v_cmp_o_f16_e32 vcc_lo, v1, v1
	s_delay_alu instid0(VALU_DEP_2) | instskip(NEXT) | instid1(VALU_DEP_1)
	v_bfe_u32 v9, v3, 16, 1
	v_add3_u32 v3, v3, v9, 0x7fff
	s_delay_alu instid0(VALU_DEP_1) | instskip(NEXT) | instid1(VALU_DEP_1)
	v_lshrrev_b32_e32 v3, 16, v3
	v_cndmask_b32_e32 v9, 0x7fc0, v3, vcc_lo
.LBB166_2033:
	s_mov_b32 s18, 0
.LBB166_2034:
	s_delay_alu instid0(SALU_CYCLE_1)
	s_and_not1_b32 vcc_lo, exec_lo, s18
	s_cbranch_vccnz .LBB166_2054
; %bb.2035:
	s_cmp_lt_i32 s10, 2
	s_cbranch_scc1 .LBB166_2039
; %bb.2036:
	s_cmp_lt_i32 s10, 3
	s_cbranch_scc1 .LBB166_2040
; %bb.2037:
	s_cmp_gt_i32 s10, 3
	s_cbranch_scc0 .LBB166_2041
; %bb.2038:
	global_load_b64 v[10:11], v[4:5], off
	s_mov_b32 s18, 0
	s_wait_loadcnt 0x0
	v_xor_b32_e32 v1, v10, v11
	v_cls_i32_e32 v3, v11
	s_delay_alu instid0(VALU_DEP_2) | instskip(NEXT) | instid1(VALU_DEP_1)
	v_ashrrev_i32_e32 v1, 31, v1
	v_add_nc_u32_e32 v1, 32, v1
	s_delay_alu instid0(VALU_DEP_1) | instskip(NEXT) | instid1(VALU_DEP_1)
	v_add_min_u32_e64 v1, v3, -1, v1
	v_lshlrev_b64_e32 v[10:11], v1, v[10:11]
	v_sub_nc_u32_e32 v1, 32, v1
	s_delay_alu instid0(VALU_DEP_2) | instskip(NEXT) | instid1(VALU_DEP_1)
	v_min_u32_e32 v3, 1, v10
	v_or_b32_e32 v3, v11, v3
	s_delay_alu instid0(VALU_DEP_1) | instskip(NEXT) | instid1(VALU_DEP_1)
	v_cvt_f32_i32_e32 v3, v3
	v_ldexp_f32 v1, v3, v1
	s_delay_alu instid0(VALU_DEP_1) | instskip(NEXT) | instid1(VALU_DEP_1)
	v_bfe_u32 v3, v1, 16, 1
	v_add3_u32 v1, v1, v3, 0x7fff
	s_delay_alu instid0(VALU_DEP_1)
	v_lshrrev_b32_e32 v9, 16, v1
	s_branch .LBB166_2042
.LBB166_2039:
	s_mov_b32 s18, -1
                                        ; implicit-def: $vgpr9
	s_branch .LBB166_2048
.LBB166_2040:
	s_mov_b32 s18, -1
                                        ; implicit-def: $vgpr9
	s_branch .LBB166_2045
.LBB166_2041:
	s_mov_b32 s18, -1
                                        ; implicit-def: $vgpr9
.LBB166_2042:
	s_delay_alu instid0(SALU_CYCLE_1)
	s_and_not1_b32 vcc_lo, exec_lo, s18
	s_cbranch_vccnz .LBB166_2044
; %bb.2043:
	global_load_b32 v1, v[4:5], off
	s_wait_loadcnt 0x0
	v_cvt_f32_i32_e32 v1, v1
	s_delay_alu instid0(VALU_DEP_1) | instskip(NEXT) | instid1(VALU_DEP_1)
	v_bfe_u32 v3, v1, 16, 1
	v_add3_u32 v1, v1, v3, 0x7fff
	s_delay_alu instid0(VALU_DEP_1)
	v_lshrrev_b32_e32 v9, 16, v1
.LBB166_2044:
	s_mov_b32 s18, 0
.LBB166_2045:
	s_delay_alu instid0(SALU_CYCLE_1)
	s_and_not1_b32 vcc_lo, exec_lo, s18
	s_cbranch_vccnz .LBB166_2047
; %bb.2046:
	global_load_i16 v1, v[4:5], off
	s_wait_loadcnt 0x0
	v_cvt_f32_i32_e32 v1, v1
	s_delay_alu instid0(VALU_DEP_1) | instskip(NEXT) | instid1(VALU_DEP_1)
	v_bfe_u32 v3, v1, 16, 1
	v_add3_u32 v1, v1, v3, 0x7fff
	s_delay_alu instid0(VALU_DEP_1)
	v_lshrrev_b32_e32 v9, 16, v1
.LBB166_2047:
	s_mov_b32 s18, 0
.LBB166_2048:
	s_delay_alu instid0(SALU_CYCLE_1)
	s_and_not1_b32 vcc_lo, exec_lo, s18
	s_cbranch_vccnz .LBB166_2054
; %bb.2049:
	s_cmp_gt_i32 s10, 0
	s_mov_b32 s10, 0
	s_cbranch_scc0 .LBB166_2051
; %bb.2050:
	global_load_i8 v1, v[4:5], off
	s_wait_loadcnt 0x0
	v_cvt_f32_i32_e32 v1, v1
	s_delay_alu instid0(VALU_DEP_1) | instskip(NEXT) | instid1(VALU_DEP_1)
	v_bfe_u32 v3, v1, 16, 1
	v_add3_u32 v1, v1, v3, 0x7fff
	s_delay_alu instid0(VALU_DEP_1)
	v_lshrrev_b32_e32 v9, 16, v1
	s_branch .LBB166_2052
.LBB166_2051:
	s_mov_b32 s10, -1
                                        ; implicit-def: $vgpr9
.LBB166_2052:
	s_delay_alu instid0(SALU_CYCLE_1)
	s_and_not1_b32 vcc_lo, exec_lo, s10
	s_cbranch_vccnz .LBB166_2054
; %bb.2053:
	global_load_u8 v1, v[4:5], off
	s_wait_loadcnt 0x0
	v_cvt_f32_ubyte0_e32 v1, v1
	s_delay_alu instid0(VALU_DEP_1) | instskip(NEXT) | instid1(VALU_DEP_1)
	v_bfe_u32 v3, v1, 16, 1
	v_add3_u32 v1, v1, v3, 0x7fff
	s_delay_alu instid0(VALU_DEP_1)
	v_lshrrev_b32_e32 v9, 16, v1
.LBB166_2054:
	s_mov_b32 s20, -1
.LBB166_2055:
	s_delay_alu instid0(SALU_CYCLE_1)
	s_and_not1_b32 vcc_lo, exec_lo, s20
	s_cbranch_vccnz .LBB166_3190
; %bb.2056:
	s_lshl_b32 s9, s9, 7
	s_cmp_lt_i32 s0, 11
	v_add_nc_u32_e32 v2, s9, v2
	s_delay_alu instid0(VALU_DEP_1) | instskip(SKIP_1) | instid1(VALU_DEP_1)
	v_ashrrev_i32_e32 v3, 31, v2
	s_wait_xcnt 0x0
	v_add_nc_u64_e32 v[4:5], s[6:7], v[2:3]
	s_cbranch_scc1 .LBB166_2063
; %bb.2057:
	s_cmp_gt_i32 s0, 25
	s_mov_b32 s18, 0
	s_cbranch_scc0 .LBB166_2064
; %bb.2058:
	s_cmp_gt_i32 s0, 28
	s_cbranch_scc0 .LBB166_2065
; %bb.2059:
	s_cmp_gt_i32 s0, 43
	;; [unrolled: 3-line block ×3, first 2 shown]
	s_cbranch_scc0 .LBB166_2068
; %bb.2061:
	s_cmp_eq_u32 s0, 46
	s_mov_b32 s20, 0
	s_cbranch_scc0 .LBB166_2071
; %bb.2062:
	global_load_b32 v10, v[4:5], off
	s_mov_b32 s10, 0
	s_mov_b32 s19, -1
	s_branch .LBB166_2073
.LBB166_2063:
	s_mov_b32 s10, -1
	s_mov_b32 s19, 0
                                        ; implicit-def: $vgpr10
	s_branch .LBB166_2139
.LBB166_2064:
	s_mov_b32 s20, -1
	s_mov_b32 s19, 0
	s_mov_b32 s10, 0
                                        ; implicit-def: $vgpr10
	s_branch .LBB166_2102
.LBB166_2065:
	s_mov_b32 s20, -1
	s_mov_b32 s19, 0
	s_mov_b32 s10, 0
                                        ; implicit-def: $vgpr10
	s_branch .LBB166_2083
.LBB166_2066:
	s_mov_b32 s20, -1
	s_mov_b32 s19, 0
	s_mov_b32 s10, 0
                                        ; implicit-def: $vgpr10
	s_branch .LBB166_2078
.LBB166_2067:
	s_or_b32 s14, s14, exec_lo
	s_trap 2
	s_cbranch_execz .LBB166_2004
	s_branch .LBB166_2005
.LBB166_2068:
	s_mov_b32 s20, -1
	s_mov_b32 s19, 0
	s_mov_b32 s10, 0
	s_branch .LBB166_2072
.LBB166_2069:
	s_and_not1_saveexec_b32 s38, s38
	s_cbranch_execz .LBB166_1130
.LBB166_2070:
	v_add_f32_e64 v4, 0x46000000, |v5|
	s_and_not1_b32 s37, s37, exec_lo
	s_delay_alu instid0(VALU_DEP_1) | instskip(NEXT) | instid1(VALU_DEP_1)
	v_and_b32_e32 v4, 0xff, v4
	v_cmp_ne_u32_e32 vcc_lo, 0, v4
	s_and_b32 s39, vcc_lo, exec_lo
	s_delay_alu instid0(SALU_CYCLE_1)
	s_or_b32 s37, s37, s39
	s_or_b32 exec_lo, exec_lo, s38
	v_mov_b32_e32 v7, 0
	s_and_saveexec_b32 s38, s37
	s_cbranch_execnz .LBB166_1131
	s_branch .LBB166_1132
.LBB166_2071:
	s_mov_b32 s10, -1
	s_mov_b32 s19, 0
.LBB166_2072:
                                        ; implicit-def: $vgpr10
.LBB166_2073:
	s_and_b32 vcc_lo, exec_lo, s20
	s_cbranch_vccz .LBB166_2077
; %bb.2074:
	s_cmp_eq_u32 s0, 44
	s_cbranch_scc0 .LBB166_2076
; %bb.2075:
	global_load_u8 v1, v[4:5], off
	s_mov_b32 s10, 0
	s_mov_b32 s19, -1
	s_wait_loadcnt 0x0
	v_lshlrev_b32_e32 v3, 23, v1
	v_cmp_ne_u32_e32 vcc_lo, 0xff, v1
	s_delay_alu instid0(VALU_DEP_2) | instskip(SKIP_1) | instid1(VALU_DEP_2)
	v_cndmask_b32_e32 v3, 0x7f800001, v3, vcc_lo
	v_cmp_ne_u32_e32 vcc_lo, 0, v1
	v_cndmask_b32_e32 v1, 0x400000, v3, vcc_lo
	s_delay_alu instid0(VALU_DEP_1) | instskip(SKIP_1) | instid1(VALU_DEP_2)
	v_add_nc_u32_e32 v3, 0x7fff, v1
	v_cmp_o_f32_e32 vcc_lo, v1, v1
	v_lshrrev_b32_e32 v3, 16, v3
	s_delay_alu instid0(VALU_DEP_1)
	v_cndmask_b32_e32 v10, 0x7fc0, v3, vcc_lo
	s_branch .LBB166_2077
.LBB166_2076:
	s_mov_b32 s10, -1
                                        ; implicit-def: $vgpr10
.LBB166_2077:
	s_mov_b32 s20, 0
.LBB166_2078:
	s_delay_alu instid0(SALU_CYCLE_1)
	s_and_b32 vcc_lo, exec_lo, s20
	s_cbranch_vccz .LBB166_2082
; %bb.2079:
	s_cmp_eq_u32 s0, 29
	s_cbranch_scc0 .LBB166_2081
; %bb.2080:
	s_wait_loadcnt 0x0
	global_load_b64 v[10:11], v[4:5], off
	s_mov_b32 s10, 0
	s_mov_b32 s19, -1
	s_mov_b32 s20, 0
	s_wait_loadcnt 0x0
	v_clz_i32_u32_e32 v1, v11
	s_delay_alu instid0(VALU_DEP_1) | instskip(NEXT) | instid1(VALU_DEP_1)
	v_min_u32_e32 v1, 32, v1
	v_lshlrev_b64_e32 v[10:11], v1, v[10:11]
	v_sub_nc_u32_e32 v1, 32, v1
	s_delay_alu instid0(VALU_DEP_2) | instskip(NEXT) | instid1(VALU_DEP_1)
	v_min_u32_e32 v3, 1, v10
	v_or_b32_e32 v3, v11, v3
	s_delay_alu instid0(VALU_DEP_1) | instskip(NEXT) | instid1(VALU_DEP_1)
	v_cvt_f32_u32_e32 v3, v3
	v_ldexp_f32 v1, v3, v1
	s_delay_alu instid0(VALU_DEP_1) | instskip(NEXT) | instid1(VALU_DEP_1)
	v_bfe_u32 v3, v1, 16, 1
	v_add3_u32 v1, v1, v3, 0x7fff
	s_delay_alu instid0(VALU_DEP_1)
	v_lshrrev_b32_e32 v10, 16, v1
	s_branch .LBB166_2083
.LBB166_2081:
	s_mov_b32 s10, -1
                                        ; implicit-def: $vgpr10
.LBB166_2082:
	s_mov_b32 s20, 0
.LBB166_2083:
	s_delay_alu instid0(SALU_CYCLE_1)
	s_and_b32 vcc_lo, exec_lo, s20
	s_cbranch_vccz .LBB166_2101
; %bb.2084:
	s_cmp_lt_i32 s0, 27
	s_cbranch_scc1 .LBB166_2087
; %bb.2085:
	s_cmp_gt_i32 s0, 27
	s_cbranch_scc0 .LBB166_2088
; %bb.2086:
	global_load_b32 v1, v[4:5], off
	s_mov_b32 s19, 0
	s_wait_loadcnt 0x0
	v_cvt_f32_u32_e32 v1, v1
	s_delay_alu instid0(VALU_DEP_1) | instskip(NEXT) | instid1(VALU_DEP_1)
	v_bfe_u32 v3, v1, 16, 1
	v_add3_u32 v1, v1, v3, 0x7fff
	s_delay_alu instid0(VALU_DEP_1)
	v_lshrrev_b32_e32 v10, 16, v1
	s_branch .LBB166_2089
.LBB166_2087:
	s_mov_b32 s19, -1
                                        ; implicit-def: $vgpr10
	s_branch .LBB166_2092
.LBB166_2088:
	s_mov_b32 s19, -1
                                        ; implicit-def: $vgpr10
.LBB166_2089:
	s_delay_alu instid0(SALU_CYCLE_1)
	s_and_not1_b32 vcc_lo, exec_lo, s19
	s_cbranch_vccnz .LBB166_2091
; %bb.2090:
	global_load_u16 v1, v[4:5], off
	s_wait_loadcnt 0x0
	v_cvt_f32_u32_e32 v1, v1
	s_delay_alu instid0(VALU_DEP_1) | instskip(NEXT) | instid1(VALU_DEP_1)
	v_bfe_u32 v3, v1, 16, 1
	v_add3_u32 v1, v1, v3, 0x7fff
	s_delay_alu instid0(VALU_DEP_1)
	v_lshrrev_b32_e32 v10, 16, v1
.LBB166_2091:
	s_mov_b32 s19, 0
.LBB166_2092:
	s_delay_alu instid0(SALU_CYCLE_1)
	s_and_not1_b32 vcc_lo, exec_lo, s19
	s_cbranch_vccnz .LBB166_2100
; %bb.2093:
	global_load_u8 v1, v[4:5], off
	s_mov_b32 s19, 0
	s_mov_b32 s20, exec_lo
	s_wait_loadcnt 0x0
	v_cmpx_lt_i16_e32 0x7f, v1
	s_xor_b32 s20, exec_lo, s20
	s_cbranch_execz .LBB166_2114
; %bb.2094:
	s_mov_b32 s19, -1
	s_mov_b32 s21, exec_lo
	v_cmpx_eq_u16_e32 0x80, v1
; %bb.2095:
	s_xor_b32 s19, exec_lo, -1
; %bb.2096:
	s_or_b32 exec_lo, exec_lo, s21
	s_delay_alu instid0(SALU_CYCLE_1)
	s_and_b32 s19, s19, exec_lo
	s_or_saveexec_b32 s20, s20
	v_mov_b32_e32 v3, 0x7f800001
	s_xor_b32 exec_lo, exec_lo, s20
	s_cbranch_execnz .LBB166_2115
.LBB166_2097:
	s_or_b32 exec_lo, exec_lo, s20
	s_and_saveexec_b32 s20, s19
	s_cbranch_execz .LBB166_2099
.LBB166_2098:
	v_and_b32_e32 v3, 0xffff, v1
	s_delay_alu instid0(VALU_DEP_1) | instskip(SKIP_1) | instid1(VALU_DEP_2)
	v_dual_lshlrev_b32 v1, 24, v1 :: v_dual_bitop2_b32 v10, 7, v3 bitop3:0x40
	v_bfe_u32 v13, v3, 3, 4
	v_and_b32_e32 v1, 0x80000000, v1
	s_delay_alu instid0(VALU_DEP_3) | instskip(NEXT) | instid1(VALU_DEP_3)
	v_clz_i32_u32_e32 v11, v10
	v_cmp_eq_u32_e32 vcc_lo, 0, v13
	s_delay_alu instid0(VALU_DEP_2) | instskip(NEXT) | instid1(VALU_DEP_1)
	v_min_u32_e32 v11, 32, v11
	v_subrev_nc_u32_e32 v12, 28, v11
	v_sub_nc_u32_e32 v11, 29, v11
	s_delay_alu instid0(VALU_DEP_2) | instskip(NEXT) | instid1(VALU_DEP_2)
	v_lshlrev_b32_e32 v3, v12, v3
	v_cndmask_b32_e32 v11, v13, v11, vcc_lo
	s_delay_alu instid0(VALU_DEP_2) | instskip(NEXT) | instid1(VALU_DEP_1)
	v_and_b32_e32 v3, 7, v3
	v_cndmask_b32_e32 v3, v10, v3, vcc_lo
	s_delay_alu instid0(VALU_DEP_3) | instskip(NEXT) | instid1(VALU_DEP_2)
	v_lshl_add_u32 v10, v11, 23, 0x3b800000
	v_lshlrev_b32_e32 v3, 20, v3
	s_delay_alu instid0(VALU_DEP_1)
	v_or3_b32 v3, v1, v10, v3
.LBB166_2099:
	s_or_b32 exec_lo, exec_lo, s20
	s_delay_alu instid0(VALU_DEP_1) | instskip(SKIP_1) | instid1(VALU_DEP_2)
	v_bfe_u32 v1, v3, 16, 1
	v_cmp_o_f32_e32 vcc_lo, v3, v3
	v_add3_u32 v1, v3, v1, 0x7fff
	s_delay_alu instid0(VALU_DEP_1) | instskip(NEXT) | instid1(VALU_DEP_1)
	v_lshrrev_b32_e32 v1, 16, v1
	v_cndmask_b32_e32 v10, 0x7fc0, v1, vcc_lo
.LBB166_2100:
	s_mov_b32 s19, -1
.LBB166_2101:
	s_mov_b32 s20, 0
.LBB166_2102:
	s_delay_alu instid0(SALU_CYCLE_1)
	s_and_b32 vcc_lo, exec_lo, s20
	s_cbranch_vccz .LBB166_2135
; %bb.2103:
	s_cmp_gt_i32 s0, 22
	s_cbranch_scc0 .LBB166_2113
; %bb.2104:
	s_cmp_lt_i32 s0, 24
	s_cbranch_scc1 .LBB166_2116
; %bb.2105:
	s_cmp_gt_i32 s0, 24
	s_cbranch_scc0 .LBB166_2117
; %bb.2106:
	global_load_u8 v1, v[4:5], off
	s_mov_b32 s19, exec_lo
	s_wait_loadcnt 0x0
	v_cmpx_lt_i16_e32 0x7f, v1
	s_xor_b32 s19, exec_lo, s19
	s_cbranch_execz .LBB166_2129
; %bb.2107:
	s_mov_b32 s18, -1
	s_mov_b32 s20, exec_lo
	v_cmpx_eq_u16_e32 0x80, v1
; %bb.2108:
	s_xor_b32 s18, exec_lo, -1
; %bb.2109:
	s_or_b32 exec_lo, exec_lo, s20
	s_delay_alu instid0(SALU_CYCLE_1)
	s_and_b32 s18, s18, exec_lo
	s_or_saveexec_b32 s19, s19
	v_mov_b32_e32 v3, 0x7f800001
	s_xor_b32 exec_lo, exec_lo, s19
	s_cbranch_execnz .LBB166_2130
.LBB166_2110:
	s_or_b32 exec_lo, exec_lo, s19
	s_and_saveexec_b32 s19, s18
	s_cbranch_execz .LBB166_2112
.LBB166_2111:
	v_and_b32_e32 v3, 0xffff, v1
	s_delay_alu instid0(VALU_DEP_1) | instskip(SKIP_1) | instid1(VALU_DEP_2)
	v_dual_lshlrev_b32 v1, 24, v1 :: v_dual_bitop2_b32 v10, 3, v3 bitop3:0x40
	v_bfe_u32 v13, v3, 2, 5
	v_and_b32_e32 v1, 0x80000000, v1
	s_delay_alu instid0(VALU_DEP_3) | instskip(NEXT) | instid1(VALU_DEP_3)
	v_clz_i32_u32_e32 v11, v10
	v_cmp_eq_u32_e32 vcc_lo, 0, v13
	s_delay_alu instid0(VALU_DEP_2) | instskip(NEXT) | instid1(VALU_DEP_1)
	v_min_u32_e32 v11, 32, v11
	v_subrev_nc_u32_e32 v12, 29, v11
	v_sub_nc_u32_e32 v11, 30, v11
	s_delay_alu instid0(VALU_DEP_2) | instskip(NEXT) | instid1(VALU_DEP_2)
	v_lshlrev_b32_e32 v3, v12, v3
	v_cndmask_b32_e32 v11, v13, v11, vcc_lo
	s_delay_alu instid0(VALU_DEP_2) | instskip(NEXT) | instid1(VALU_DEP_1)
	v_and_b32_e32 v3, 3, v3
	v_cndmask_b32_e32 v3, v10, v3, vcc_lo
	s_delay_alu instid0(VALU_DEP_3) | instskip(NEXT) | instid1(VALU_DEP_2)
	v_lshl_add_u32 v10, v11, 23, 0x37800000
	v_lshlrev_b32_e32 v3, 21, v3
	s_delay_alu instid0(VALU_DEP_1)
	v_or3_b32 v3, v1, v10, v3
.LBB166_2112:
	s_or_b32 exec_lo, exec_lo, s19
	s_delay_alu instid0(VALU_DEP_1) | instskip(SKIP_2) | instid1(VALU_DEP_2)
	v_bfe_u32 v1, v3, 16, 1
	v_cmp_o_f32_e32 vcc_lo, v3, v3
	s_mov_b32 s18, 0
	v_add3_u32 v1, v3, v1, 0x7fff
	s_delay_alu instid0(VALU_DEP_1) | instskip(NEXT) | instid1(VALU_DEP_1)
	v_lshrrev_b32_e32 v1, 16, v1
	v_cndmask_b32_e32 v10, 0x7fc0, v1, vcc_lo
	s_branch .LBB166_2118
.LBB166_2113:
	s_mov_b32 s18, -1
                                        ; implicit-def: $vgpr10
	s_branch .LBB166_2124
.LBB166_2114:
	s_or_saveexec_b32 s20, s20
	v_mov_b32_e32 v3, 0x7f800001
	s_xor_b32 exec_lo, exec_lo, s20
	s_cbranch_execz .LBB166_2097
.LBB166_2115:
	v_cmp_ne_u16_e32 vcc_lo, 0, v1
	v_mov_b32_e32 v3, 0
	s_and_not1_b32 s19, s19, exec_lo
	s_and_b32 s21, vcc_lo, exec_lo
	s_delay_alu instid0(SALU_CYCLE_1)
	s_or_b32 s19, s19, s21
	s_or_b32 exec_lo, exec_lo, s20
	s_and_saveexec_b32 s20, s19
	s_cbranch_execnz .LBB166_2098
	s_branch .LBB166_2099
.LBB166_2116:
	s_mov_b32 s18, -1
                                        ; implicit-def: $vgpr10
	s_branch .LBB166_2121
.LBB166_2117:
	s_mov_b32 s18, -1
                                        ; implicit-def: $vgpr10
.LBB166_2118:
	s_delay_alu instid0(SALU_CYCLE_1)
	s_and_b32 vcc_lo, exec_lo, s18
	s_cbranch_vccz .LBB166_2120
; %bb.2119:
	global_load_u8 v1, v[4:5], off
	s_wait_loadcnt 0x0
	v_lshlrev_b32_e32 v1, 24, v1
	s_delay_alu instid0(VALU_DEP_1) | instskip(NEXT) | instid1(VALU_DEP_1)
	v_and_b32_e32 v3, 0x7f000000, v1
	v_clz_i32_u32_e32 v10, v3
	v_cmp_ne_u32_e32 vcc_lo, 0, v3
	v_add_nc_u32_e32 v12, 0x1000000, v3
	s_delay_alu instid0(VALU_DEP_3) | instskip(NEXT) | instid1(VALU_DEP_1)
	v_min_u32_e32 v10, 32, v10
	v_sub_nc_u32_e64 v10, v10, 4 clamp
	s_delay_alu instid0(VALU_DEP_1) | instskip(NEXT) | instid1(VALU_DEP_1)
	v_dual_lshlrev_b32 v11, v10, v3 :: v_dual_lshlrev_b32 v10, 23, v10
	v_lshrrev_b32_e32 v11, 4, v11
	s_delay_alu instid0(VALU_DEP_1) | instskip(NEXT) | instid1(VALU_DEP_1)
	v_dual_sub_nc_u32 v10, v11, v10 :: v_dual_ashrrev_i32 v11, 8, v12
	v_add_nc_u32_e32 v10, 0x3c000000, v10
	s_delay_alu instid0(VALU_DEP_1) | instskip(NEXT) | instid1(VALU_DEP_1)
	v_and_or_b32 v10, 0x7f800000, v11, v10
	v_cndmask_b32_e32 v3, 0, v10, vcc_lo
	s_delay_alu instid0(VALU_DEP_1) | instskip(SKIP_1) | instid1(VALU_DEP_2)
	v_and_or_b32 v1, 0x80000000, v1, v3
	v_bfe_u32 v3, v3, 16, 1
	v_cmp_o_f32_e32 vcc_lo, v1, v1
	s_delay_alu instid0(VALU_DEP_2) | instskip(NEXT) | instid1(VALU_DEP_1)
	v_add3_u32 v3, v1, v3, 0x7fff
	v_lshrrev_b32_e32 v3, 16, v3
	s_delay_alu instid0(VALU_DEP_1)
	v_cndmask_b32_e32 v10, 0x7fc0, v3, vcc_lo
.LBB166_2120:
	s_mov_b32 s18, 0
.LBB166_2121:
	s_delay_alu instid0(SALU_CYCLE_1)
	s_and_not1_b32 vcc_lo, exec_lo, s18
	s_cbranch_vccnz .LBB166_2123
; %bb.2122:
	global_load_u8 v1, v[4:5], off
	s_wait_loadcnt 0x0
	v_lshlrev_b32_e32 v3, 25, v1
	v_lshlrev_b16 v1, 8, v1
	s_delay_alu instid0(VALU_DEP_1) | instskip(SKIP_1) | instid1(VALU_DEP_2)
	v_and_or_b32 v11, 0x7f00, v1, 0.5
	v_bfe_i32 v1, v1, 0, 16
	v_add_f32_e32 v11, -0.5, v11
	v_lshrrev_b32_e32 v10, 4, v3
	v_cmp_gt_u32_e32 vcc_lo, 0x8000000, v3
	s_delay_alu instid0(VALU_DEP_2) | instskip(NEXT) | instid1(VALU_DEP_1)
	v_or_b32_e32 v10, 0x70000000, v10
	v_mul_f32_e32 v10, 0x7800000, v10
	s_delay_alu instid0(VALU_DEP_1) | instskip(NEXT) | instid1(VALU_DEP_1)
	v_cndmask_b32_e32 v3, v10, v11, vcc_lo
	v_and_or_b32 v1, 0x80000000, v1, v3
	v_bfe_u32 v3, v3, 16, 1
	s_delay_alu instid0(VALU_DEP_2) | instskip(NEXT) | instid1(VALU_DEP_2)
	v_cmp_o_f32_e32 vcc_lo, v1, v1
	v_add3_u32 v3, v1, v3, 0x7fff
	s_delay_alu instid0(VALU_DEP_1) | instskip(NEXT) | instid1(VALU_DEP_1)
	v_lshrrev_b32_e32 v3, 16, v3
	v_cndmask_b32_e32 v10, 0x7fc0, v3, vcc_lo
.LBB166_2123:
	s_mov_b32 s18, 0
	s_mov_b32 s19, -1
.LBB166_2124:
	s_and_not1_b32 vcc_lo, exec_lo, s18
	s_mov_b32 s18, 0
	s_cbranch_vccnz .LBB166_2135
; %bb.2125:
	s_cmp_gt_i32 s0, 14
	s_cbranch_scc0 .LBB166_2128
; %bb.2126:
	s_cmp_eq_u32 s0, 15
	s_cbranch_scc0 .LBB166_2131
; %bb.2127:
	s_wait_loadcnt 0x0
	global_load_u16 v10, v[4:5], off
	s_mov_b32 s10, 0
	s_mov_b32 s19, -1
	s_branch .LBB166_2133
.LBB166_2128:
	s_mov_b32 s18, -1
	s_branch .LBB166_2132
.LBB166_2129:
	s_or_saveexec_b32 s19, s19
	v_mov_b32_e32 v3, 0x7f800001
	s_xor_b32 exec_lo, exec_lo, s19
	s_cbranch_execz .LBB166_2110
.LBB166_2130:
	v_cmp_ne_u16_e32 vcc_lo, 0, v1
	v_mov_b32_e32 v3, 0
	s_and_not1_b32 s18, s18, exec_lo
	s_and_b32 s20, vcc_lo, exec_lo
	s_delay_alu instid0(SALU_CYCLE_1)
	s_or_b32 s18, s18, s20
	s_or_b32 exec_lo, exec_lo, s19
	s_and_saveexec_b32 s19, s18
	s_cbranch_execnz .LBB166_2111
	s_branch .LBB166_2112
.LBB166_2131:
	s_mov_b32 s10, -1
.LBB166_2132:
                                        ; implicit-def: $vgpr10
.LBB166_2133:
	s_and_b32 vcc_lo, exec_lo, s18
	s_mov_b32 s18, 0
	s_cbranch_vccz .LBB166_2135
; %bb.2134:
	s_cmp_lg_u32 s0, 11
	s_mov_b32 s18, -1
	s_cselect_b32 s10, -1, 0
.LBB166_2135:
	s_delay_alu instid0(SALU_CYCLE_1)
	s_and_b32 vcc_lo, exec_lo, s10
	s_cbranch_vccnz .LBB166_2219
; %bb.2136:
	s_and_not1_b32 vcc_lo, exec_lo, s18
	s_cbranch_vccnz .LBB166_2138
.LBB166_2137:
	global_load_u8 v1, v[4:5], off
	s_mov_b32 s19, -1
	s_wait_loadcnt 0x0
	v_cmp_ne_u16_e32 vcc_lo, 0, v1
	v_cndmask_b32_e64 v1, 0, 1.0, vcc_lo
	s_delay_alu instid0(VALU_DEP_1)
	v_lshrrev_b32_e32 v10, 16, v1
.LBB166_2138:
	s_mov_b32 s10, 0
.LBB166_2139:
	s_delay_alu instid0(SALU_CYCLE_1)
	s_and_b32 vcc_lo, exec_lo, s10
	s_cbranch_vccz .LBB166_2188
; %bb.2140:
	s_cmp_lt_i32 s0, 5
	s_cbranch_scc1 .LBB166_2145
; %bb.2141:
	s_cmp_lt_i32 s0, 8
	s_cbranch_scc1 .LBB166_2146
; %bb.2142:
	s_cmp_lt_i32 s0, 9
	s_cbranch_scc1 .LBB166_2147
; %bb.2143:
	s_cmp_gt_i32 s0, 9
	s_cbranch_scc0 .LBB166_2148
; %bb.2144:
	s_wait_loadcnt 0x0
	global_load_b64 v[10:11], v[4:5], off
	s_mov_b32 s10, 0
	s_wait_loadcnt 0x0
	v_cvt_f32_f64_e32 v1, v[10:11]
	s_delay_alu instid0(VALU_DEP_1) | instskip(SKIP_1) | instid1(VALU_DEP_2)
	v_bfe_u32 v3, v1, 16, 1
	v_cmp_o_f32_e32 vcc_lo, v1, v1
	v_add3_u32 v3, v1, v3, 0x7fff
	s_delay_alu instid0(VALU_DEP_1) | instskip(NEXT) | instid1(VALU_DEP_1)
	v_lshrrev_b32_e32 v3, 16, v3
	v_cndmask_b32_e32 v10, 0x7fc0, v3, vcc_lo
	s_branch .LBB166_2149
.LBB166_2145:
	s_mov_b32 s10, -1
                                        ; implicit-def: $vgpr10
	s_branch .LBB166_2167
.LBB166_2146:
	s_mov_b32 s10, -1
                                        ; implicit-def: $vgpr10
	s_branch .LBB166_2155
.LBB166_2147:
	s_mov_b32 s10, -1
                                        ; implicit-def: $vgpr10
	s_branch .LBB166_2152
.LBB166_2148:
	s_mov_b32 s10, -1
                                        ; implicit-def: $vgpr10
.LBB166_2149:
	s_delay_alu instid0(SALU_CYCLE_1)
	s_and_not1_b32 vcc_lo, exec_lo, s10
	s_cbranch_vccnz .LBB166_2151
; %bb.2150:
	global_load_b32 v1, v[4:5], off
	s_wait_loadcnt 0x0
	v_bfe_u32 v3, v1, 16, 1
	v_cmp_o_f32_e32 vcc_lo, v1, v1
	s_delay_alu instid0(VALU_DEP_2) | instskip(NEXT) | instid1(VALU_DEP_1)
	v_add3_u32 v3, v1, v3, 0x7fff
	v_lshrrev_b32_e32 v3, 16, v3
	s_delay_alu instid0(VALU_DEP_1)
	v_cndmask_b32_e32 v10, 0x7fc0, v3, vcc_lo
.LBB166_2151:
	s_mov_b32 s10, 0
.LBB166_2152:
	s_delay_alu instid0(SALU_CYCLE_1)
	s_and_not1_b32 vcc_lo, exec_lo, s10
	s_cbranch_vccnz .LBB166_2154
; %bb.2153:
	global_load_b32 v1, v[4:5], off
	s_wait_loadcnt 0x0
	v_cvt_f32_f16_e32 v3, v1
	v_cmp_o_f16_e32 vcc_lo, v1, v1
	s_delay_alu instid0(VALU_DEP_2) | instskip(NEXT) | instid1(VALU_DEP_1)
	v_bfe_u32 v10, v3, 16, 1
	v_add3_u32 v3, v3, v10, 0x7fff
	s_delay_alu instid0(VALU_DEP_1) | instskip(NEXT) | instid1(VALU_DEP_1)
	v_lshrrev_b32_e32 v3, 16, v3
	v_cndmask_b32_e32 v10, 0x7fc0, v3, vcc_lo
.LBB166_2154:
	s_mov_b32 s10, 0
.LBB166_2155:
	s_delay_alu instid0(SALU_CYCLE_1)
	s_and_not1_b32 vcc_lo, exec_lo, s10
	s_cbranch_vccnz .LBB166_2166
; %bb.2156:
	s_cmp_lt_i32 s0, 6
	s_cbranch_scc1 .LBB166_2159
; %bb.2157:
	s_cmp_gt_i32 s0, 6
	s_cbranch_scc0 .LBB166_2160
; %bb.2158:
	s_wait_loadcnt 0x0
	global_load_b64 v[10:11], v[4:5], off
	s_mov_b32 s10, 0
	s_wait_loadcnt 0x0
	v_cvt_f32_f64_e32 v1, v[10:11]
	s_delay_alu instid0(VALU_DEP_1) | instskip(SKIP_1) | instid1(VALU_DEP_2)
	v_bfe_u32 v3, v1, 16, 1
	v_cmp_o_f32_e32 vcc_lo, v1, v1
	v_add3_u32 v3, v1, v3, 0x7fff
	s_delay_alu instid0(VALU_DEP_1) | instskip(NEXT) | instid1(VALU_DEP_1)
	v_lshrrev_b32_e32 v3, 16, v3
	v_cndmask_b32_e32 v10, 0x7fc0, v3, vcc_lo
	s_branch .LBB166_2161
.LBB166_2159:
	s_mov_b32 s10, -1
                                        ; implicit-def: $vgpr10
	s_branch .LBB166_2164
.LBB166_2160:
	s_mov_b32 s10, -1
                                        ; implicit-def: $vgpr10
.LBB166_2161:
	s_delay_alu instid0(SALU_CYCLE_1)
	s_and_not1_b32 vcc_lo, exec_lo, s10
	s_cbranch_vccnz .LBB166_2163
; %bb.2162:
	global_load_b32 v1, v[4:5], off
	s_wait_loadcnt 0x0
	v_bfe_u32 v3, v1, 16, 1
	v_cmp_o_f32_e32 vcc_lo, v1, v1
	s_delay_alu instid0(VALU_DEP_2) | instskip(NEXT) | instid1(VALU_DEP_1)
	v_add3_u32 v3, v1, v3, 0x7fff
	v_lshrrev_b32_e32 v3, 16, v3
	s_delay_alu instid0(VALU_DEP_1)
	v_cndmask_b32_e32 v10, 0x7fc0, v3, vcc_lo
.LBB166_2163:
	s_mov_b32 s10, 0
.LBB166_2164:
	s_delay_alu instid0(SALU_CYCLE_1)
	s_and_not1_b32 vcc_lo, exec_lo, s10
	s_cbranch_vccnz .LBB166_2166
; %bb.2165:
	global_load_u16 v1, v[4:5], off
	s_wait_loadcnt 0x0
	v_cvt_f32_f16_e32 v3, v1
	v_cmp_o_f16_e32 vcc_lo, v1, v1
	s_delay_alu instid0(VALU_DEP_2) | instskip(NEXT) | instid1(VALU_DEP_1)
	v_bfe_u32 v10, v3, 16, 1
	v_add3_u32 v3, v3, v10, 0x7fff
	s_delay_alu instid0(VALU_DEP_1) | instskip(NEXT) | instid1(VALU_DEP_1)
	v_lshrrev_b32_e32 v3, 16, v3
	v_cndmask_b32_e32 v10, 0x7fc0, v3, vcc_lo
.LBB166_2166:
	s_mov_b32 s10, 0
.LBB166_2167:
	s_delay_alu instid0(SALU_CYCLE_1)
	s_and_not1_b32 vcc_lo, exec_lo, s10
	s_cbranch_vccnz .LBB166_2187
; %bb.2168:
	s_cmp_lt_i32 s0, 2
	s_cbranch_scc1 .LBB166_2172
; %bb.2169:
	s_cmp_lt_i32 s0, 3
	s_cbranch_scc1 .LBB166_2173
; %bb.2170:
	s_cmp_gt_i32 s0, 3
	s_cbranch_scc0 .LBB166_2174
; %bb.2171:
	s_wait_loadcnt 0x0
	global_load_b64 v[10:11], v[4:5], off
	s_mov_b32 s10, 0
	s_wait_loadcnt 0x0
	v_xor_b32_e32 v1, v10, v11
	v_cls_i32_e32 v3, v11
	s_delay_alu instid0(VALU_DEP_2) | instskip(NEXT) | instid1(VALU_DEP_1)
	v_ashrrev_i32_e32 v1, 31, v1
	v_add_nc_u32_e32 v1, 32, v1
	s_delay_alu instid0(VALU_DEP_1) | instskip(NEXT) | instid1(VALU_DEP_1)
	v_add_min_u32_e64 v1, v3, -1, v1
	v_lshlrev_b64_e32 v[10:11], v1, v[10:11]
	v_sub_nc_u32_e32 v1, 32, v1
	s_delay_alu instid0(VALU_DEP_2) | instskip(NEXT) | instid1(VALU_DEP_1)
	v_min_u32_e32 v3, 1, v10
	v_or_b32_e32 v3, v11, v3
	s_delay_alu instid0(VALU_DEP_1) | instskip(NEXT) | instid1(VALU_DEP_1)
	v_cvt_f32_i32_e32 v3, v3
	v_ldexp_f32 v1, v3, v1
	s_delay_alu instid0(VALU_DEP_1) | instskip(NEXT) | instid1(VALU_DEP_1)
	v_bfe_u32 v3, v1, 16, 1
	v_add3_u32 v1, v1, v3, 0x7fff
	s_delay_alu instid0(VALU_DEP_1)
	v_lshrrev_b32_e32 v10, 16, v1
	s_branch .LBB166_2175
.LBB166_2172:
	s_mov_b32 s10, -1
                                        ; implicit-def: $vgpr10
	s_branch .LBB166_2181
.LBB166_2173:
	s_mov_b32 s10, -1
                                        ; implicit-def: $vgpr10
	s_branch .LBB166_2178
.LBB166_2174:
	s_mov_b32 s10, -1
                                        ; implicit-def: $vgpr10
.LBB166_2175:
	s_delay_alu instid0(SALU_CYCLE_1)
	s_and_not1_b32 vcc_lo, exec_lo, s10
	s_cbranch_vccnz .LBB166_2177
; %bb.2176:
	global_load_b32 v1, v[4:5], off
	s_wait_loadcnt 0x0
	v_cvt_f32_i32_e32 v1, v1
	s_delay_alu instid0(VALU_DEP_1) | instskip(NEXT) | instid1(VALU_DEP_1)
	v_bfe_u32 v3, v1, 16, 1
	v_add3_u32 v1, v1, v3, 0x7fff
	s_delay_alu instid0(VALU_DEP_1)
	v_lshrrev_b32_e32 v10, 16, v1
.LBB166_2177:
	s_mov_b32 s10, 0
.LBB166_2178:
	s_delay_alu instid0(SALU_CYCLE_1)
	s_and_not1_b32 vcc_lo, exec_lo, s10
	s_cbranch_vccnz .LBB166_2180
; %bb.2179:
	global_load_i16 v1, v[4:5], off
	s_wait_loadcnt 0x0
	v_cvt_f32_i32_e32 v1, v1
	s_delay_alu instid0(VALU_DEP_1) | instskip(NEXT) | instid1(VALU_DEP_1)
	v_bfe_u32 v3, v1, 16, 1
	v_add3_u32 v1, v1, v3, 0x7fff
	s_delay_alu instid0(VALU_DEP_1)
	v_lshrrev_b32_e32 v10, 16, v1
.LBB166_2180:
	s_mov_b32 s10, 0
.LBB166_2181:
	s_delay_alu instid0(SALU_CYCLE_1)
	s_and_not1_b32 vcc_lo, exec_lo, s10
	s_cbranch_vccnz .LBB166_2187
; %bb.2182:
	s_cmp_gt_i32 s0, 0
	s_mov_b32 s10, 0
	s_cbranch_scc0 .LBB166_2184
; %bb.2183:
	global_load_i8 v1, v[4:5], off
	s_wait_loadcnt 0x0
	v_cvt_f32_i32_e32 v1, v1
	s_delay_alu instid0(VALU_DEP_1) | instskip(NEXT) | instid1(VALU_DEP_1)
	v_bfe_u32 v3, v1, 16, 1
	v_add3_u32 v1, v1, v3, 0x7fff
	s_delay_alu instid0(VALU_DEP_1)
	v_lshrrev_b32_e32 v10, 16, v1
	s_branch .LBB166_2185
.LBB166_2184:
	s_mov_b32 s10, -1
                                        ; implicit-def: $vgpr10
.LBB166_2185:
	s_delay_alu instid0(SALU_CYCLE_1)
	s_and_not1_b32 vcc_lo, exec_lo, s10
	s_cbranch_vccnz .LBB166_2187
; %bb.2186:
	global_load_u8 v1, v[4:5], off
	s_wait_loadcnt 0x0
	v_cvt_f32_ubyte0_e32 v1, v1
	s_delay_alu instid0(VALU_DEP_1) | instskip(NEXT) | instid1(VALU_DEP_1)
	v_bfe_u32 v3, v1, 16, 1
	v_add3_u32 v1, v1, v3, 0x7fff
	s_delay_alu instid0(VALU_DEP_1)
	v_lshrrev_b32_e32 v10, 16, v1
.LBB166_2187:
	s_mov_b32 s19, -1
.LBB166_2188:
	s_delay_alu instid0(SALU_CYCLE_1)
	s_and_not1_b32 vcc_lo, exec_lo, s19
	s_cbranch_vccnz .LBB166_3190
; %bb.2189:
	s_cmp_lt_i32 s15, 23
	s_cbranch_scc1 .LBB166_2193
; %bb.2190:
	s_and_b32 s19, 0xffff, s15
	s_delay_alu instid0(SALU_CYCLE_1)
	s_cmp_gt_i32 s19, 43
	s_cbranch_scc0 .LBB166_2194
; %bb.2191:
	s_cmp_gt_i32 s19, 45
	s_cbranch_scc0 .LBB166_2195
; %bb.2192:
	s_cmp_lg_u32 s19, 46
	s_mov_b32 s20, 0
	s_mov_b32 s10, -1
	s_cselect_b32 s18, -1, 0
	s_branch .LBB166_2196
.LBB166_2193:
	s_mov_b32 s19, -1
	s_mov_b32 s10, 0
	s_mov_b32 s18, 0
	s_branch .LBB166_2202
.LBB166_2194:
	s_mov_b32 s20, -1
	s_mov_b32 s10, 0
	s_mov_b32 s18, 0
	s_branch .LBB166_2199
.LBB166_2195:
	s_mov_b32 s20, -1
	s_mov_b32 s10, 0
	s_mov_b32 s18, 0
.LBB166_2196:
	s_and_not1_b32 vcc_lo, exec_lo, s20
	s_cbranch_vccnz .LBB166_2198
; %bb.2197:
	s_cmp_eq_u32 s19, 44
	s_cselect_b32 s10, -1, 0
	s_cmp_lg_u32 s19, 44
	s_cselect_b32 s18, -1, 0
.LBB166_2198:
	s_mov_b32 s20, 0
.LBB166_2199:
	s_delay_alu instid0(SALU_CYCLE_1)
	s_and_b32 vcc_lo, exec_lo, s20
	s_cbranch_vccz .LBB166_2201
; %bb.2200:
	s_cmp_lt_i32 s19, 30
	s_cselect_b32 s10, -1, 0
	s_cmp_gt_i32 s19, 29
	s_cselect_b32 s18, -1, 0
.LBB166_2201:
	s_mov_b32 s19, 0
.LBB166_2202:
	s_delay_alu instid0(SALU_CYCLE_1)
	s_and_b32 vcc_lo, exec_lo, s19
	s_cbranch_vccz .LBB166_2207
; %bb.2203:
	s_and_b32 s19, 0xffff, s15
	s_mov_b32 s20, -1
	s_cmp_gt_i32 s19, 14
	s_cbranch_scc0 .LBB166_2205
; %bb.2204:
	s_cmp_eq_u32 s19, 15
	s_mov_b32 s20, 0
	s_cselect_b32 s10, -1, 0
	s_cmp_lg_u32 s19, 15
	s_cselect_b32 s18, -1, 0
.LBB166_2205:
	s_and_not1_b32 vcc_lo, exec_lo, s20
	s_cbranch_vccnz .LBB166_2207
; %bb.2206:
	s_cmp_lt_i32 s19, 12
	s_cselect_b32 s10, -1, 0
	s_cmp_gt_i32 s19, 11
	s_cselect_b32 s18, -1, 0
.LBB166_2207:
	s_delay_alu instid0(SALU_CYCLE_1)
	s_and_b32 vcc_lo, exec_lo, s18
	s_cbranch_vccnz .LBB166_2220
; %bb.2208:
	s_and_not1_b32 vcc_lo, exec_lo, s10
	s_cbranch_vccnz .LBB166_3190
.LBB166_2209:
	v_add_nc_u32_e32 v0, s8, v0
	s_cmp_lt_i32 s13, 11
	s_delay_alu instid0(VALU_DEP_1) | instskip(SKIP_1) | instid1(VALU_DEP_1)
	v_ashrrev_i32_e32 v1, 31, v0
	s_wait_xcnt 0x0
	v_add_nc_u64_e32 v[4:5], s[4:5], v[0:1]
	s_cbranch_scc1 .LBB166_2216
; %bb.2210:
	s_and_b32 s10, 0xffff, s13
	s_mov_b32 s19, 0
	s_cmp_gt_i32 s10, 25
	s_cbranch_scc0 .LBB166_2217
; %bb.2211:
	s_cmp_gt_i32 s10, 28
	s_cbranch_scc0 .LBB166_2218
; %bb.2212:
	;; [unrolled: 3-line block ×4, first 2 shown]
	s_cmp_eq_u32 s10, 46
	s_mov_b32 s21, 0
	s_cbranch_scc0 .LBB166_2225
; %bb.2215:
	global_load_b32 v11, v[4:5], off
	s_mov_b32 s18, 0
	s_mov_b32 s20, -1
	s_branch .LBB166_2227
.LBB166_2216:
	s_mov_b32 s10, -1
	s_mov_b32 s20, 0
                                        ; implicit-def: $vgpr11
	s_branch .LBB166_2293
.LBB166_2217:
	s_mov_b32 s21, -1
	s_mov_b32 s20, 0
	s_mov_b32 s18, 0
                                        ; implicit-def: $vgpr11
	s_branch .LBB166_2256
.LBB166_2218:
	s_mov_b32 s21, -1
	s_mov_b32 s20, 0
	s_mov_b32 s18, 0
                                        ; implicit-def: $vgpr11
	s_branch .LBB166_2237
.LBB166_2219:
	s_or_b32 s14, s14, exec_lo
	s_trap 2
	s_cbranch_execz .LBB166_2137
	s_branch .LBB166_2138
.LBB166_2220:
	s_or_b32 s14, s14, exec_lo
	s_trap 2
	s_cbranch_execz .LBB166_2209
	s_branch .LBB166_3190
.LBB166_2221:
	s_mov_b32 s21, -1
	s_mov_b32 s20, 0
	s_mov_b32 s18, 0
                                        ; implicit-def: $vgpr11
	s_branch .LBB166_2232
.LBB166_2222:
	s_and_not1_saveexec_b32 s38, s38
	s_cbranch_execz .LBB166_1143
.LBB166_2223:
	v_add_f32_e64 v4, 0x42800000, |v5|
	s_and_not1_b32 s37, s37, exec_lo
	s_delay_alu instid0(VALU_DEP_1) | instskip(NEXT) | instid1(VALU_DEP_1)
	v_and_b32_e32 v4, 0xff, v4
	v_cmp_ne_u32_e32 vcc_lo, 0, v4
	s_and_b32 s39, vcc_lo, exec_lo
	s_delay_alu instid0(SALU_CYCLE_1)
	s_or_b32 s37, s37, s39
	s_or_b32 exec_lo, exec_lo, s38
	v_mov_b32_e32 v7, 0
	s_and_saveexec_b32 s38, s37
	s_cbranch_execnz .LBB166_1144
	s_branch .LBB166_1145
.LBB166_2224:
	s_mov_b32 s21, -1
	s_mov_b32 s20, 0
	s_mov_b32 s18, 0
	s_branch .LBB166_2226
.LBB166_2225:
	s_mov_b32 s18, -1
	s_mov_b32 s20, 0
.LBB166_2226:
                                        ; implicit-def: $vgpr11
.LBB166_2227:
	s_and_b32 vcc_lo, exec_lo, s21
	s_cbranch_vccz .LBB166_2231
; %bb.2228:
	s_cmp_eq_u32 s10, 44
	s_cbranch_scc0 .LBB166_2230
; %bb.2229:
	global_load_u8 v1, v[4:5], off
	s_mov_b32 s18, 0
	s_mov_b32 s20, -1
	s_wait_loadcnt 0x0
	v_lshlrev_b32_e32 v3, 23, v1
	v_cmp_ne_u32_e32 vcc_lo, 0xff, v1
	s_delay_alu instid0(VALU_DEP_2) | instskip(SKIP_1) | instid1(VALU_DEP_2)
	v_cndmask_b32_e32 v3, 0x7f800001, v3, vcc_lo
	v_cmp_ne_u32_e32 vcc_lo, 0, v1
	v_cndmask_b32_e32 v1, 0x400000, v3, vcc_lo
	s_delay_alu instid0(VALU_DEP_1) | instskip(SKIP_1) | instid1(VALU_DEP_2)
	v_add_nc_u32_e32 v3, 0x7fff, v1
	v_cmp_o_f32_e32 vcc_lo, v1, v1
	v_lshrrev_b32_e32 v3, 16, v3
	s_delay_alu instid0(VALU_DEP_1)
	v_cndmask_b32_e32 v11, 0x7fc0, v3, vcc_lo
	s_branch .LBB166_2231
.LBB166_2230:
	s_mov_b32 s18, -1
                                        ; implicit-def: $vgpr11
.LBB166_2231:
	s_mov_b32 s21, 0
.LBB166_2232:
	s_delay_alu instid0(SALU_CYCLE_1)
	s_and_b32 vcc_lo, exec_lo, s21
	s_cbranch_vccz .LBB166_2236
; %bb.2233:
	s_cmp_eq_u32 s10, 29
	s_cbranch_scc0 .LBB166_2235
; %bb.2234:
	global_load_b64 v[12:13], v[4:5], off
	s_mov_b32 s18, 0
	s_mov_b32 s20, -1
	s_mov_b32 s21, 0
	s_wait_loadcnt 0x0
	v_clz_i32_u32_e32 v1, v13
	s_delay_alu instid0(VALU_DEP_1) | instskip(NEXT) | instid1(VALU_DEP_1)
	v_min_u32_e32 v1, 32, v1
	v_lshlrev_b64_e32 v[12:13], v1, v[12:13]
	v_sub_nc_u32_e32 v1, 32, v1
	s_delay_alu instid0(VALU_DEP_2) | instskip(NEXT) | instid1(VALU_DEP_1)
	v_min_u32_e32 v3, 1, v12
	v_or_b32_e32 v3, v13, v3
	s_delay_alu instid0(VALU_DEP_1) | instskip(NEXT) | instid1(VALU_DEP_1)
	v_cvt_f32_u32_e32 v3, v3
	v_ldexp_f32 v1, v3, v1
	s_delay_alu instid0(VALU_DEP_1) | instskip(NEXT) | instid1(VALU_DEP_1)
	v_bfe_u32 v3, v1, 16, 1
	v_add3_u32 v1, v1, v3, 0x7fff
	s_delay_alu instid0(VALU_DEP_1)
	v_lshrrev_b32_e32 v11, 16, v1
	s_branch .LBB166_2237
.LBB166_2235:
	s_mov_b32 s18, -1
                                        ; implicit-def: $vgpr11
.LBB166_2236:
	s_mov_b32 s21, 0
.LBB166_2237:
	s_delay_alu instid0(SALU_CYCLE_1)
	s_and_b32 vcc_lo, exec_lo, s21
	s_cbranch_vccz .LBB166_2255
; %bb.2238:
	s_cmp_lt_i32 s10, 27
	s_cbranch_scc1 .LBB166_2241
; %bb.2239:
	s_cmp_gt_i32 s10, 27
	s_cbranch_scc0 .LBB166_2242
; %bb.2240:
	global_load_b32 v1, v[4:5], off
	s_mov_b32 s20, 0
	s_wait_loadcnt 0x0
	v_cvt_f32_u32_e32 v1, v1
	s_delay_alu instid0(VALU_DEP_1) | instskip(NEXT) | instid1(VALU_DEP_1)
	v_bfe_u32 v3, v1, 16, 1
	v_add3_u32 v1, v1, v3, 0x7fff
	s_delay_alu instid0(VALU_DEP_1)
	v_lshrrev_b32_e32 v11, 16, v1
	s_branch .LBB166_2243
.LBB166_2241:
	s_mov_b32 s20, -1
                                        ; implicit-def: $vgpr11
	s_branch .LBB166_2246
.LBB166_2242:
	s_mov_b32 s20, -1
                                        ; implicit-def: $vgpr11
.LBB166_2243:
	s_delay_alu instid0(SALU_CYCLE_1)
	s_and_not1_b32 vcc_lo, exec_lo, s20
	s_cbranch_vccnz .LBB166_2245
; %bb.2244:
	global_load_u16 v1, v[4:5], off
	s_wait_loadcnt 0x0
	v_cvt_f32_u32_e32 v1, v1
	s_delay_alu instid0(VALU_DEP_1) | instskip(NEXT) | instid1(VALU_DEP_1)
	v_bfe_u32 v3, v1, 16, 1
	v_add3_u32 v1, v1, v3, 0x7fff
	s_delay_alu instid0(VALU_DEP_1)
	v_lshrrev_b32_e32 v11, 16, v1
.LBB166_2245:
	s_mov_b32 s20, 0
.LBB166_2246:
	s_delay_alu instid0(SALU_CYCLE_1)
	s_and_not1_b32 vcc_lo, exec_lo, s20
	s_cbranch_vccnz .LBB166_2254
; %bb.2247:
	global_load_u8 v1, v[4:5], off
	s_mov_b32 s20, 0
	s_mov_b32 s21, exec_lo
	s_wait_loadcnt 0x0
	v_cmpx_lt_i16_e32 0x7f, v1
	s_xor_b32 s21, exec_lo, s21
	s_cbranch_execz .LBB166_2268
; %bb.2248:
	s_mov_b32 s20, -1
	s_mov_b32 s22, exec_lo
	v_cmpx_eq_u16_e32 0x80, v1
; %bb.2249:
	s_xor_b32 s20, exec_lo, -1
; %bb.2250:
	s_or_b32 exec_lo, exec_lo, s22
	s_delay_alu instid0(SALU_CYCLE_1)
	s_and_b32 s20, s20, exec_lo
	s_or_saveexec_b32 s21, s21
	v_mov_b32_e32 v3, 0x7f800001
	s_xor_b32 exec_lo, exec_lo, s21
	s_cbranch_execnz .LBB166_2269
.LBB166_2251:
	s_or_b32 exec_lo, exec_lo, s21
	s_and_saveexec_b32 s21, s20
	s_cbranch_execz .LBB166_2253
.LBB166_2252:
	v_and_b32_e32 v3, 0xffff, v1
	s_delay_alu instid0(VALU_DEP_1) | instskip(SKIP_1) | instid1(VALU_DEP_2)
	v_and_b32_e32 v11, 7, v3
	v_bfe_u32 v14, v3, 3, 4
	v_clz_i32_u32_e32 v12, v11
	s_delay_alu instid0(VALU_DEP_2) | instskip(NEXT) | instid1(VALU_DEP_2)
	v_cmp_eq_u32_e32 vcc_lo, 0, v14
	v_min_u32_e32 v12, 32, v12
	s_delay_alu instid0(VALU_DEP_1) | instskip(NEXT) | instid1(VALU_DEP_1)
	v_subrev_nc_u32_e32 v13, 28, v12
	v_dual_lshlrev_b32 v3, v13, v3 :: v_dual_sub_nc_u32 v12, 29, v12
	s_delay_alu instid0(VALU_DEP_1) | instskip(NEXT) | instid1(VALU_DEP_1)
	v_dual_lshlrev_b32 v1, 24, v1 :: v_dual_bitop2_b32 v3, 7, v3 bitop3:0x40
	v_dual_cndmask_b32 v12, v14, v12 :: v_dual_cndmask_b32 v3, v11, v3
	s_delay_alu instid0(VALU_DEP_2) | instskip(NEXT) | instid1(VALU_DEP_2)
	v_and_b32_e32 v1, 0x80000000, v1
	v_lshl_add_u32 v11, v12, 23, 0x3b800000
	s_delay_alu instid0(VALU_DEP_3) | instskip(NEXT) | instid1(VALU_DEP_1)
	v_lshlrev_b32_e32 v3, 20, v3
	v_or3_b32 v3, v1, v11, v3
.LBB166_2253:
	s_or_b32 exec_lo, exec_lo, s21
	s_delay_alu instid0(VALU_DEP_1) | instskip(SKIP_1) | instid1(VALU_DEP_2)
	v_bfe_u32 v1, v3, 16, 1
	v_cmp_o_f32_e32 vcc_lo, v3, v3
	v_add3_u32 v1, v3, v1, 0x7fff
	s_delay_alu instid0(VALU_DEP_1) | instskip(NEXT) | instid1(VALU_DEP_1)
	v_lshrrev_b32_e32 v1, 16, v1
	v_cndmask_b32_e32 v11, 0x7fc0, v1, vcc_lo
.LBB166_2254:
	s_mov_b32 s20, -1
.LBB166_2255:
	s_mov_b32 s21, 0
.LBB166_2256:
	s_delay_alu instid0(SALU_CYCLE_1)
	s_and_b32 vcc_lo, exec_lo, s21
	s_cbranch_vccz .LBB166_2289
; %bb.2257:
	s_cmp_gt_i32 s10, 22
	s_cbranch_scc0 .LBB166_2267
; %bb.2258:
	s_cmp_lt_i32 s10, 24
	s_cbranch_scc1 .LBB166_2270
; %bb.2259:
	s_cmp_gt_i32 s10, 24
	s_cbranch_scc0 .LBB166_2271
; %bb.2260:
	global_load_u8 v1, v[4:5], off
	s_mov_b32 s20, exec_lo
	s_wait_loadcnt 0x0
	v_cmpx_lt_i16_e32 0x7f, v1
	s_xor_b32 s20, exec_lo, s20
	s_cbranch_execz .LBB166_2283
; %bb.2261:
	s_mov_b32 s19, -1
	s_mov_b32 s21, exec_lo
	v_cmpx_eq_u16_e32 0x80, v1
; %bb.2262:
	s_xor_b32 s19, exec_lo, -1
; %bb.2263:
	s_or_b32 exec_lo, exec_lo, s21
	s_delay_alu instid0(SALU_CYCLE_1)
	s_and_b32 s19, s19, exec_lo
	s_or_saveexec_b32 s20, s20
	v_mov_b32_e32 v3, 0x7f800001
	s_xor_b32 exec_lo, exec_lo, s20
	s_cbranch_execnz .LBB166_2284
.LBB166_2264:
	s_or_b32 exec_lo, exec_lo, s20
	s_and_saveexec_b32 s20, s19
	s_cbranch_execz .LBB166_2266
.LBB166_2265:
	v_and_b32_e32 v3, 0xffff, v1
	s_delay_alu instid0(VALU_DEP_1) | instskip(SKIP_1) | instid1(VALU_DEP_2)
	v_and_b32_e32 v11, 3, v3
	v_bfe_u32 v14, v3, 2, 5
	v_clz_i32_u32_e32 v12, v11
	s_delay_alu instid0(VALU_DEP_2) | instskip(NEXT) | instid1(VALU_DEP_2)
	v_cmp_eq_u32_e32 vcc_lo, 0, v14
	v_min_u32_e32 v12, 32, v12
	s_delay_alu instid0(VALU_DEP_1) | instskip(NEXT) | instid1(VALU_DEP_1)
	v_subrev_nc_u32_e32 v13, 29, v12
	v_dual_lshlrev_b32 v3, v13, v3 :: v_dual_sub_nc_u32 v12, 30, v12
	s_delay_alu instid0(VALU_DEP_1) | instskip(NEXT) | instid1(VALU_DEP_1)
	v_dual_lshlrev_b32 v1, 24, v1 :: v_dual_bitop2_b32 v3, 3, v3 bitop3:0x40
	v_dual_cndmask_b32 v12, v14, v12 :: v_dual_cndmask_b32 v3, v11, v3
	s_delay_alu instid0(VALU_DEP_2) | instskip(NEXT) | instid1(VALU_DEP_2)
	v_and_b32_e32 v1, 0x80000000, v1
	v_lshl_add_u32 v11, v12, 23, 0x37800000
	s_delay_alu instid0(VALU_DEP_3) | instskip(NEXT) | instid1(VALU_DEP_1)
	v_lshlrev_b32_e32 v3, 21, v3
	v_or3_b32 v3, v1, v11, v3
.LBB166_2266:
	s_or_b32 exec_lo, exec_lo, s20
	s_delay_alu instid0(VALU_DEP_1) | instskip(SKIP_2) | instid1(VALU_DEP_2)
	v_bfe_u32 v1, v3, 16, 1
	v_cmp_o_f32_e32 vcc_lo, v3, v3
	s_mov_b32 s19, 0
	v_add3_u32 v1, v3, v1, 0x7fff
	s_delay_alu instid0(VALU_DEP_1) | instskip(NEXT) | instid1(VALU_DEP_1)
	v_lshrrev_b32_e32 v1, 16, v1
	v_cndmask_b32_e32 v11, 0x7fc0, v1, vcc_lo
	s_branch .LBB166_2272
.LBB166_2267:
	s_mov_b32 s19, -1
                                        ; implicit-def: $vgpr11
	s_branch .LBB166_2278
.LBB166_2268:
	s_or_saveexec_b32 s21, s21
	v_mov_b32_e32 v3, 0x7f800001
	s_xor_b32 exec_lo, exec_lo, s21
	s_cbranch_execz .LBB166_2251
.LBB166_2269:
	v_cmp_ne_u16_e32 vcc_lo, 0, v1
	v_mov_b32_e32 v3, 0
	s_and_not1_b32 s20, s20, exec_lo
	s_and_b32 s22, vcc_lo, exec_lo
	s_delay_alu instid0(SALU_CYCLE_1)
	s_or_b32 s20, s20, s22
	s_or_b32 exec_lo, exec_lo, s21
	s_and_saveexec_b32 s21, s20
	s_cbranch_execnz .LBB166_2252
	s_branch .LBB166_2253
.LBB166_2270:
	s_mov_b32 s19, -1
                                        ; implicit-def: $vgpr11
	s_branch .LBB166_2275
.LBB166_2271:
	s_mov_b32 s19, -1
                                        ; implicit-def: $vgpr11
.LBB166_2272:
	s_delay_alu instid0(SALU_CYCLE_1)
	s_and_b32 vcc_lo, exec_lo, s19
	s_cbranch_vccz .LBB166_2274
; %bb.2273:
	global_load_u8 v1, v[4:5], off
	s_wait_loadcnt 0x0
	v_lshlrev_b32_e32 v1, 24, v1
	s_delay_alu instid0(VALU_DEP_1) | instskip(NEXT) | instid1(VALU_DEP_1)
	v_and_b32_e32 v3, 0x7f000000, v1
	v_clz_i32_u32_e32 v11, v3
	v_add_nc_u32_e32 v13, 0x1000000, v3
	v_cmp_ne_u32_e32 vcc_lo, 0, v3
	s_delay_alu instid0(VALU_DEP_3) | instskip(NEXT) | instid1(VALU_DEP_1)
	v_min_u32_e32 v11, 32, v11
	v_sub_nc_u32_e64 v11, v11, 4 clamp
	s_delay_alu instid0(VALU_DEP_1) | instskip(NEXT) | instid1(VALU_DEP_1)
	v_lshlrev_b32_e32 v12, v11, v3
	v_dual_lshlrev_b32 v11, 23, v11 :: v_dual_lshrrev_b32 v12, 4, v12
	s_delay_alu instid0(VALU_DEP_1) | instskip(NEXT) | instid1(VALU_DEP_1)
	v_dual_sub_nc_u32 v11, v12, v11 :: v_dual_ashrrev_i32 v12, 8, v13
	v_add_nc_u32_e32 v11, 0x3c000000, v11
	s_delay_alu instid0(VALU_DEP_1) | instskip(NEXT) | instid1(VALU_DEP_1)
	v_and_or_b32 v11, 0x7f800000, v12, v11
	v_cndmask_b32_e32 v3, 0, v11, vcc_lo
	s_delay_alu instid0(VALU_DEP_1) | instskip(SKIP_1) | instid1(VALU_DEP_2)
	v_and_or_b32 v1, 0x80000000, v1, v3
	v_bfe_u32 v3, v3, 16, 1
	v_cmp_o_f32_e32 vcc_lo, v1, v1
	s_delay_alu instid0(VALU_DEP_2) | instskip(NEXT) | instid1(VALU_DEP_1)
	v_add3_u32 v3, v1, v3, 0x7fff
	v_lshrrev_b32_e32 v3, 16, v3
	s_delay_alu instid0(VALU_DEP_1)
	v_cndmask_b32_e32 v11, 0x7fc0, v3, vcc_lo
.LBB166_2274:
	s_mov_b32 s19, 0
.LBB166_2275:
	s_delay_alu instid0(SALU_CYCLE_1)
	s_and_not1_b32 vcc_lo, exec_lo, s19
	s_cbranch_vccnz .LBB166_2277
; %bb.2276:
	global_load_u8 v1, v[4:5], off
	s_wait_loadcnt 0x0
	v_lshlrev_b32_e32 v3, 25, v1
	v_lshlrev_b16 v1, 8, v1
	s_delay_alu instid0(VALU_DEP_1) | instskip(SKIP_1) | instid1(VALU_DEP_2)
	v_and_or_b32 v12, 0x7f00, v1, 0.5
	v_bfe_i32 v1, v1, 0, 16
	v_dual_add_f32 v12, -0.5, v12 :: v_dual_lshrrev_b32 v11, 4, v3
	v_cmp_gt_u32_e32 vcc_lo, 0x8000000, v3
	s_delay_alu instid0(VALU_DEP_2) | instskip(NEXT) | instid1(VALU_DEP_1)
	v_or_b32_e32 v11, 0x70000000, v11
	v_mul_f32_e32 v11, 0x7800000, v11
	s_delay_alu instid0(VALU_DEP_1) | instskip(NEXT) | instid1(VALU_DEP_1)
	v_cndmask_b32_e32 v3, v11, v12, vcc_lo
	v_and_or_b32 v1, 0x80000000, v1, v3
	v_bfe_u32 v3, v3, 16, 1
	s_delay_alu instid0(VALU_DEP_2) | instskip(NEXT) | instid1(VALU_DEP_2)
	v_cmp_o_f32_e32 vcc_lo, v1, v1
	v_add3_u32 v3, v1, v3, 0x7fff
	s_delay_alu instid0(VALU_DEP_1) | instskip(NEXT) | instid1(VALU_DEP_1)
	v_lshrrev_b32_e32 v3, 16, v3
	v_cndmask_b32_e32 v11, 0x7fc0, v3, vcc_lo
.LBB166_2277:
	s_mov_b32 s19, 0
	s_mov_b32 s20, -1
.LBB166_2278:
	s_and_not1_b32 vcc_lo, exec_lo, s19
	s_mov_b32 s19, 0
	s_cbranch_vccnz .LBB166_2289
; %bb.2279:
	s_cmp_gt_i32 s10, 14
	s_cbranch_scc0 .LBB166_2282
; %bb.2280:
	s_cmp_eq_u32 s10, 15
	s_cbranch_scc0 .LBB166_2285
; %bb.2281:
	s_wait_loadcnt 0x0
	global_load_u16 v11, v[4:5], off
	s_mov_b32 s18, 0
	s_mov_b32 s20, -1
	s_branch .LBB166_2287
.LBB166_2282:
	s_mov_b32 s19, -1
	s_branch .LBB166_2286
.LBB166_2283:
	s_or_saveexec_b32 s20, s20
	v_mov_b32_e32 v3, 0x7f800001
	s_xor_b32 exec_lo, exec_lo, s20
	s_cbranch_execz .LBB166_2264
.LBB166_2284:
	v_cmp_ne_u16_e32 vcc_lo, 0, v1
	v_mov_b32_e32 v3, 0
	s_and_not1_b32 s19, s19, exec_lo
	s_and_b32 s21, vcc_lo, exec_lo
	s_delay_alu instid0(SALU_CYCLE_1)
	s_or_b32 s19, s19, s21
	s_or_b32 exec_lo, exec_lo, s20
	s_and_saveexec_b32 s20, s19
	s_cbranch_execnz .LBB166_2265
	s_branch .LBB166_2266
.LBB166_2285:
	s_mov_b32 s18, -1
.LBB166_2286:
                                        ; implicit-def: $vgpr11
.LBB166_2287:
	s_and_b32 vcc_lo, exec_lo, s19
	s_mov_b32 s19, 0
	s_cbranch_vccz .LBB166_2289
; %bb.2288:
	s_cmp_lg_u32 s10, 11
	s_mov_b32 s19, -1
	s_cselect_b32 s18, -1, 0
.LBB166_2289:
	s_delay_alu instid0(SALU_CYCLE_1)
	s_and_b32 vcc_lo, exec_lo, s18
	s_cbranch_vccnz .LBB166_2354
; %bb.2290:
	s_and_not1_b32 vcc_lo, exec_lo, s19
	s_cbranch_vccnz .LBB166_2292
.LBB166_2291:
	global_load_u8 v1, v[4:5], off
	s_mov_b32 s20, -1
	s_wait_loadcnt 0x0
	v_cmp_ne_u16_e32 vcc_lo, 0, v1
	v_cndmask_b32_e64 v1, 0, 1.0, vcc_lo
	s_delay_alu instid0(VALU_DEP_1)
	v_lshrrev_b32_e32 v11, 16, v1
.LBB166_2292:
	s_mov_b32 s10, 0
.LBB166_2293:
	s_delay_alu instid0(SALU_CYCLE_1)
	s_and_b32 vcc_lo, exec_lo, s10
	s_cbranch_vccz .LBB166_2342
; %bb.2294:
	s_and_b32 s10, 0xffff, s13
	s_delay_alu instid0(SALU_CYCLE_1)
	s_cmp_lt_i32 s10, 5
	s_cbranch_scc1 .LBB166_2299
; %bb.2295:
	s_cmp_lt_i32 s10, 8
	s_cbranch_scc1 .LBB166_2300
; %bb.2296:
	;; [unrolled: 3-line block ×3, first 2 shown]
	s_cmp_gt_i32 s10, 9
	s_cbranch_scc0 .LBB166_2302
; %bb.2298:
	global_load_b64 v[12:13], v[4:5], off
	s_mov_b32 s18, 0
	s_wait_loadcnt 0x0
	v_cvt_f32_f64_e32 v1, v[12:13]
	s_delay_alu instid0(VALU_DEP_1) | instskip(SKIP_1) | instid1(VALU_DEP_2)
	v_bfe_u32 v3, v1, 16, 1
	v_cmp_o_f32_e32 vcc_lo, v1, v1
	v_add3_u32 v3, v1, v3, 0x7fff
	s_delay_alu instid0(VALU_DEP_1) | instskip(NEXT) | instid1(VALU_DEP_1)
	v_lshrrev_b32_e32 v3, 16, v3
	v_cndmask_b32_e32 v11, 0x7fc0, v3, vcc_lo
	s_branch .LBB166_2303
.LBB166_2299:
	s_mov_b32 s18, -1
                                        ; implicit-def: $vgpr11
	s_branch .LBB166_2321
.LBB166_2300:
	s_mov_b32 s18, -1
                                        ; implicit-def: $vgpr11
	s_branch .LBB166_2309
.LBB166_2301:
	s_mov_b32 s18, -1
                                        ; implicit-def: $vgpr11
	s_branch .LBB166_2306
.LBB166_2302:
	s_mov_b32 s18, -1
                                        ; implicit-def: $vgpr11
.LBB166_2303:
	s_delay_alu instid0(SALU_CYCLE_1)
	s_and_not1_b32 vcc_lo, exec_lo, s18
	s_cbranch_vccnz .LBB166_2305
; %bb.2304:
	global_load_b32 v1, v[4:5], off
	s_wait_loadcnt 0x0
	v_bfe_u32 v3, v1, 16, 1
	v_cmp_o_f32_e32 vcc_lo, v1, v1
	s_delay_alu instid0(VALU_DEP_2) | instskip(NEXT) | instid1(VALU_DEP_1)
	v_add3_u32 v3, v1, v3, 0x7fff
	v_lshrrev_b32_e32 v3, 16, v3
	s_delay_alu instid0(VALU_DEP_1)
	v_cndmask_b32_e32 v11, 0x7fc0, v3, vcc_lo
.LBB166_2305:
	s_mov_b32 s18, 0
.LBB166_2306:
	s_delay_alu instid0(SALU_CYCLE_1)
	s_and_not1_b32 vcc_lo, exec_lo, s18
	s_cbranch_vccnz .LBB166_2308
; %bb.2307:
	global_load_b32 v1, v[4:5], off
	s_wait_loadcnt 0x0
	v_cvt_f32_f16_e32 v3, v1
	v_cmp_o_f16_e32 vcc_lo, v1, v1
	s_delay_alu instid0(VALU_DEP_2) | instskip(NEXT) | instid1(VALU_DEP_1)
	v_bfe_u32 v11, v3, 16, 1
	v_add3_u32 v3, v3, v11, 0x7fff
	s_delay_alu instid0(VALU_DEP_1) | instskip(NEXT) | instid1(VALU_DEP_1)
	v_lshrrev_b32_e32 v3, 16, v3
	v_cndmask_b32_e32 v11, 0x7fc0, v3, vcc_lo
.LBB166_2308:
	s_mov_b32 s18, 0
.LBB166_2309:
	s_delay_alu instid0(SALU_CYCLE_1)
	s_and_not1_b32 vcc_lo, exec_lo, s18
	s_cbranch_vccnz .LBB166_2320
; %bb.2310:
	s_cmp_lt_i32 s10, 6
	s_cbranch_scc1 .LBB166_2313
; %bb.2311:
	s_cmp_gt_i32 s10, 6
	s_cbranch_scc0 .LBB166_2314
; %bb.2312:
	global_load_b64 v[12:13], v[4:5], off
	s_mov_b32 s18, 0
	s_wait_loadcnt 0x0
	v_cvt_f32_f64_e32 v1, v[12:13]
	s_delay_alu instid0(VALU_DEP_1) | instskip(SKIP_1) | instid1(VALU_DEP_2)
	v_bfe_u32 v3, v1, 16, 1
	v_cmp_o_f32_e32 vcc_lo, v1, v1
	v_add3_u32 v3, v1, v3, 0x7fff
	s_delay_alu instid0(VALU_DEP_1) | instskip(NEXT) | instid1(VALU_DEP_1)
	v_lshrrev_b32_e32 v3, 16, v3
	v_cndmask_b32_e32 v11, 0x7fc0, v3, vcc_lo
	s_branch .LBB166_2315
.LBB166_2313:
	s_mov_b32 s18, -1
                                        ; implicit-def: $vgpr11
	s_branch .LBB166_2318
.LBB166_2314:
	s_mov_b32 s18, -1
                                        ; implicit-def: $vgpr11
.LBB166_2315:
	s_delay_alu instid0(SALU_CYCLE_1)
	s_and_not1_b32 vcc_lo, exec_lo, s18
	s_cbranch_vccnz .LBB166_2317
; %bb.2316:
	global_load_b32 v1, v[4:5], off
	s_wait_loadcnt 0x0
	v_bfe_u32 v3, v1, 16, 1
	v_cmp_o_f32_e32 vcc_lo, v1, v1
	s_delay_alu instid0(VALU_DEP_2) | instskip(NEXT) | instid1(VALU_DEP_1)
	v_add3_u32 v3, v1, v3, 0x7fff
	v_lshrrev_b32_e32 v3, 16, v3
	s_delay_alu instid0(VALU_DEP_1)
	v_cndmask_b32_e32 v11, 0x7fc0, v3, vcc_lo
.LBB166_2317:
	s_mov_b32 s18, 0
.LBB166_2318:
	s_delay_alu instid0(SALU_CYCLE_1)
	s_and_not1_b32 vcc_lo, exec_lo, s18
	s_cbranch_vccnz .LBB166_2320
; %bb.2319:
	global_load_u16 v1, v[4:5], off
	s_wait_loadcnt 0x0
	v_cvt_f32_f16_e32 v3, v1
	v_cmp_o_f16_e32 vcc_lo, v1, v1
	s_delay_alu instid0(VALU_DEP_2) | instskip(NEXT) | instid1(VALU_DEP_1)
	v_bfe_u32 v11, v3, 16, 1
	v_add3_u32 v3, v3, v11, 0x7fff
	s_delay_alu instid0(VALU_DEP_1) | instskip(NEXT) | instid1(VALU_DEP_1)
	v_lshrrev_b32_e32 v3, 16, v3
	v_cndmask_b32_e32 v11, 0x7fc0, v3, vcc_lo
.LBB166_2320:
	s_mov_b32 s18, 0
.LBB166_2321:
	s_delay_alu instid0(SALU_CYCLE_1)
	s_and_not1_b32 vcc_lo, exec_lo, s18
	s_cbranch_vccnz .LBB166_2341
; %bb.2322:
	s_cmp_lt_i32 s10, 2
	s_cbranch_scc1 .LBB166_2326
; %bb.2323:
	s_cmp_lt_i32 s10, 3
	s_cbranch_scc1 .LBB166_2327
; %bb.2324:
	s_cmp_gt_i32 s10, 3
	s_cbranch_scc0 .LBB166_2328
; %bb.2325:
	global_load_b64 v[12:13], v[4:5], off
	s_mov_b32 s18, 0
	s_wait_loadcnt 0x0
	v_xor_b32_e32 v1, v12, v13
	v_cls_i32_e32 v3, v13
	s_delay_alu instid0(VALU_DEP_2) | instskip(NEXT) | instid1(VALU_DEP_1)
	v_ashrrev_i32_e32 v1, 31, v1
	v_add_nc_u32_e32 v1, 32, v1
	s_delay_alu instid0(VALU_DEP_1) | instskip(NEXT) | instid1(VALU_DEP_1)
	v_add_min_u32_e64 v1, v3, -1, v1
	v_lshlrev_b64_e32 v[12:13], v1, v[12:13]
	v_sub_nc_u32_e32 v1, 32, v1
	s_delay_alu instid0(VALU_DEP_2) | instskip(NEXT) | instid1(VALU_DEP_1)
	v_min_u32_e32 v3, 1, v12
	v_or_b32_e32 v3, v13, v3
	s_delay_alu instid0(VALU_DEP_1) | instskip(NEXT) | instid1(VALU_DEP_1)
	v_cvt_f32_i32_e32 v3, v3
	v_ldexp_f32 v1, v3, v1
	s_delay_alu instid0(VALU_DEP_1) | instskip(NEXT) | instid1(VALU_DEP_1)
	v_bfe_u32 v3, v1, 16, 1
	v_add3_u32 v1, v1, v3, 0x7fff
	s_delay_alu instid0(VALU_DEP_1)
	v_lshrrev_b32_e32 v11, 16, v1
	s_branch .LBB166_2329
.LBB166_2326:
	s_mov_b32 s18, -1
                                        ; implicit-def: $vgpr11
	s_branch .LBB166_2335
.LBB166_2327:
	s_mov_b32 s18, -1
                                        ; implicit-def: $vgpr11
	s_branch .LBB166_2332
.LBB166_2328:
	s_mov_b32 s18, -1
                                        ; implicit-def: $vgpr11
.LBB166_2329:
	s_delay_alu instid0(SALU_CYCLE_1)
	s_and_not1_b32 vcc_lo, exec_lo, s18
	s_cbranch_vccnz .LBB166_2331
; %bb.2330:
	global_load_b32 v1, v[4:5], off
	s_wait_loadcnt 0x0
	v_cvt_f32_i32_e32 v1, v1
	s_delay_alu instid0(VALU_DEP_1) | instskip(NEXT) | instid1(VALU_DEP_1)
	v_bfe_u32 v3, v1, 16, 1
	v_add3_u32 v1, v1, v3, 0x7fff
	s_delay_alu instid0(VALU_DEP_1)
	v_lshrrev_b32_e32 v11, 16, v1
.LBB166_2331:
	s_mov_b32 s18, 0
.LBB166_2332:
	s_delay_alu instid0(SALU_CYCLE_1)
	s_and_not1_b32 vcc_lo, exec_lo, s18
	s_cbranch_vccnz .LBB166_2334
; %bb.2333:
	global_load_i16 v1, v[4:5], off
	s_wait_loadcnt 0x0
	v_cvt_f32_i32_e32 v1, v1
	s_delay_alu instid0(VALU_DEP_1) | instskip(NEXT) | instid1(VALU_DEP_1)
	v_bfe_u32 v3, v1, 16, 1
	v_add3_u32 v1, v1, v3, 0x7fff
	s_delay_alu instid0(VALU_DEP_1)
	v_lshrrev_b32_e32 v11, 16, v1
.LBB166_2334:
	s_mov_b32 s18, 0
.LBB166_2335:
	s_delay_alu instid0(SALU_CYCLE_1)
	s_and_not1_b32 vcc_lo, exec_lo, s18
	s_cbranch_vccnz .LBB166_2341
; %bb.2336:
	s_cmp_gt_i32 s10, 0
	s_mov_b32 s10, 0
	s_cbranch_scc0 .LBB166_2338
; %bb.2337:
	global_load_i8 v1, v[4:5], off
	s_wait_loadcnt 0x0
	v_cvt_f32_i32_e32 v1, v1
	s_delay_alu instid0(VALU_DEP_1) | instskip(NEXT) | instid1(VALU_DEP_1)
	v_bfe_u32 v3, v1, 16, 1
	v_add3_u32 v1, v1, v3, 0x7fff
	s_delay_alu instid0(VALU_DEP_1)
	v_lshrrev_b32_e32 v11, 16, v1
	s_branch .LBB166_2339
.LBB166_2338:
	s_mov_b32 s10, -1
                                        ; implicit-def: $vgpr11
.LBB166_2339:
	s_delay_alu instid0(SALU_CYCLE_1)
	s_and_not1_b32 vcc_lo, exec_lo, s10
	s_cbranch_vccnz .LBB166_2341
; %bb.2340:
	global_load_u8 v1, v[4:5], off
	s_wait_loadcnt 0x0
	v_cvt_f32_ubyte0_e32 v1, v1
	s_delay_alu instid0(VALU_DEP_1) | instskip(NEXT) | instid1(VALU_DEP_1)
	v_bfe_u32 v3, v1, 16, 1
	v_add3_u32 v1, v1, v3, 0x7fff
	s_delay_alu instid0(VALU_DEP_1)
	v_lshrrev_b32_e32 v11, 16, v1
.LBB166_2341:
	s_mov_b32 s20, -1
.LBB166_2342:
	s_delay_alu instid0(SALU_CYCLE_1)
	s_and_not1_b32 vcc_lo, exec_lo, s20
	s_cbranch_vccnz .LBB166_3190
; %bb.2343:
	v_add_nc_u32_e32 v2, s9, v2
	s_cmp_lt_i32 s0, 11
	s_delay_alu instid0(VALU_DEP_1) | instskip(SKIP_1) | instid1(VALU_DEP_1)
	v_ashrrev_i32_e32 v3, 31, v2
	s_wait_xcnt 0x0
	v_add_nc_u64_e32 v[4:5], s[6:7], v[2:3]
	s_cbranch_scc1 .LBB166_2350
; %bb.2344:
	s_cmp_gt_i32 s0, 25
	s_mov_b32 s18, 0
	s_cbranch_scc0 .LBB166_2351
; %bb.2345:
	s_cmp_gt_i32 s0, 28
	s_cbranch_scc0 .LBB166_2352
; %bb.2346:
	s_cmp_gt_i32 s0, 43
	;; [unrolled: 3-line block ×3, first 2 shown]
	s_cbranch_scc0 .LBB166_2355
; %bb.2348:
	s_cmp_eq_u32 s0, 46
	s_mov_b32 s20, 0
	s_cbranch_scc0 .LBB166_2356
; %bb.2349:
	global_load_b32 v12, v[4:5], off
	s_mov_b32 s10, 0
	s_mov_b32 s19, -1
	s_branch .LBB166_2358
.LBB166_2350:
	s_mov_b32 s10, -1
	s_mov_b32 s19, 0
                                        ; implicit-def: $vgpr12
	s_branch .LBB166_2424
.LBB166_2351:
	s_mov_b32 s20, -1
	s_mov_b32 s19, 0
	s_mov_b32 s10, 0
                                        ; implicit-def: $vgpr12
	s_branch .LBB166_2387
.LBB166_2352:
	s_mov_b32 s20, -1
	s_mov_b32 s19, 0
	s_mov_b32 s10, 0
                                        ; implicit-def: $vgpr12
	s_branch .LBB166_2368
.LBB166_2353:
	s_mov_b32 s20, -1
	s_mov_b32 s19, 0
	s_mov_b32 s10, 0
                                        ; implicit-def: $vgpr12
	s_branch .LBB166_2363
.LBB166_2354:
	s_or_b32 s14, s14, exec_lo
	s_trap 2
	s_cbranch_execz .LBB166_2291
	s_branch .LBB166_2292
.LBB166_2355:
	s_mov_b32 s20, -1
	s_mov_b32 s19, 0
	s_mov_b32 s10, 0
	s_branch .LBB166_2357
.LBB166_2356:
	s_mov_b32 s10, -1
	s_mov_b32 s19, 0
.LBB166_2357:
                                        ; implicit-def: $vgpr12
.LBB166_2358:
	s_and_b32 vcc_lo, exec_lo, s20
	s_cbranch_vccz .LBB166_2362
; %bb.2359:
	s_cmp_eq_u32 s0, 44
	s_cbranch_scc0 .LBB166_2361
; %bb.2360:
	global_load_u8 v1, v[4:5], off
	s_mov_b32 s10, 0
	s_mov_b32 s19, -1
	s_wait_loadcnt 0x0
	v_lshlrev_b32_e32 v3, 23, v1
	v_cmp_ne_u32_e32 vcc_lo, 0xff, v1
	s_delay_alu instid0(VALU_DEP_2) | instskip(SKIP_1) | instid1(VALU_DEP_2)
	v_cndmask_b32_e32 v3, 0x7f800001, v3, vcc_lo
	v_cmp_ne_u32_e32 vcc_lo, 0, v1
	v_cndmask_b32_e32 v1, 0x400000, v3, vcc_lo
	s_delay_alu instid0(VALU_DEP_1) | instskip(SKIP_1) | instid1(VALU_DEP_2)
	v_add_nc_u32_e32 v3, 0x7fff, v1
	v_cmp_o_f32_e32 vcc_lo, v1, v1
	v_lshrrev_b32_e32 v3, 16, v3
	s_delay_alu instid0(VALU_DEP_1)
	v_cndmask_b32_e32 v12, 0x7fc0, v3, vcc_lo
	s_branch .LBB166_2362
.LBB166_2361:
	s_mov_b32 s10, -1
                                        ; implicit-def: $vgpr12
.LBB166_2362:
	s_mov_b32 s20, 0
.LBB166_2363:
	s_delay_alu instid0(SALU_CYCLE_1)
	s_and_b32 vcc_lo, exec_lo, s20
	s_cbranch_vccz .LBB166_2367
; %bb.2364:
	s_cmp_eq_u32 s0, 29
	s_cbranch_scc0 .LBB166_2366
; %bb.2365:
	s_wait_loadcnt 0x0
	global_load_b64 v[12:13], v[4:5], off
	s_mov_b32 s10, 0
	s_mov_b32 s19, -1
	s_mov_b32 s20, 0
	s_wait_loadcnt 0x0
	v_clz_i32_u32_e32 v1, v13
	s_delay_alu instid0(VALU_DEP_1) | instskip(NEXT) | instid1(VALU_DEP_1)
	v_min_u32_e32 v1, 32, v1
	v_lshlrev_b64_e32 v[12:13], v1, v[12:13]
	v_sub_nc_u32_e32 v1, 32, v1
	s_delay_alu instid0(VALU_DEP_2) | instskip(NEXT) | instid1(VALU_DEP_1)
	v_min_u32_e32 v3, 1, v12
	v_or_b32_e32 v3, v13, v3
	s_delay_alu instid0(VALU_DEP_1) | instskip(NEXT) | instid1(VALU_DEP_1)
	v_cvt_f32_u32_e32 v3, v3
	v_ldexp_f32 v1, v3, v1
	s_delay_alu instid0(VALU_DEP_1) | instskip(NEXT) | instid1(VALU_DEP_1)
	v_bfe_u32 v3, v1, 16, 1
	v_add3_u32 v1, v1, v3, 0x7fff
	s_delay_alu instid0(VALU_DEP_1)
	v_lshrrev_b32_e32 v12, 16, v1
	s_branch .LBB166_2368
.LBB166_2366:
	s_mov_b32 s10, -1
                                        ; implicit-def: $vgpr12
.LBB166_2367:
	s_mov_b32 s20, 0
.LBB166_2368:
	s_delay_alu instid0(SALU_CYCLE_1)
	s_and_b32 vcc_lo, exec_lo, s20
	s_cbranch_vccz .LBB166_2386
; %bb.2369:
	s_cmp_lt_i32 s0, 27
	s_cbranch_scc1 .LBB166_2372
; %bb.2370:
	s_cmp_gt_i32 s0, 27
	s_cbranch_scc0 .LBB166_2373
; %bb.2371:
	global_load_b32 v1, v[4:5], off
	s_mov_b32 s19, 0
	s_wait_loadcnt 0x0
	v_cvt_f32_u32_e32 v1, v1
	s_delay_alu instid0(VALU_DEP_1) | instskip(NEXT) | instid1(VALU_DEP_1)
	v_bfe_u32 v3, v1, 16, 1
	v_add3_u32 v1, v1, v3, 0x7fff
	s_delay_alu instid0(VALU_DEP_1)
	v_lshrrev_b32_e32 v12, 16, v1
	s_branch .LBB166_2374
.LBB166_2372:
	s_mov_b32 s19, -1
                                        ; implicit-def: $vgpr12
	s_branch .LBB166_2377
.LBB166_2373:
	s_mov_b32 s19, -1
                                        ; implicit-def: $vgpr12
.LBB166_2374:
	s_delay_alu instid0(SALU_CYCLE_1)
	s_and_not1_b32 vcc_lo, exec_lo, s19
	s_cbranch_vccnz .LBB166_2376
; %bb.2375:
	global_load_u16 v1, v[4:5], off
	s_wait_loadcnt 0x0
	v_cvt_f32_u32_e32 v1, v1
	s_delay_alu instid0(VALU_DEP_1) | instskip(NEXT) | instid1(VALU_DEP_1)
	v_bfe_u32 v3, v1, 16, 1
	v_add3_u32 v1, v1, v3, 0x7fff
	s_delay_alu instid0(VALU_DEP_1)
	v_lshrrev_b32_e32 v12, 16, v1
.LBB166_2376:
	s_mov_b32 s19, 0
.LBB166_2377:
	s_delay_alu instid0(SALU_CYCLE_1)
	s_and_not1_b32 vcc_lo, exec_lo, s19
	s_cbranch_vccnz .LBB166_2385
; %bb.2378:
	global_load_u8 v1, v[4:5], off
	s_mov_b32 s19, 0
	s_mov_b32 s20, exec_lo
	s_wait_loadcnt 0x0
	v_cmpx_lt_i16_e32 0x7f, v1
	s_xor_b32 s20, exec_lo, s20
	s_cbranch_execz .LBB166_2399
; %bb.2379:
	s_mov_b32 s19, -1
	s_mov_b32 s21, exec_lo
	v_cmpx_eq_u16_e32 0x80, v1
; %bb.2380:
	s_xor_b32 s19, exec_lo, -1
; %bb.2381:
	s_or_b32 exec_lo, exec_lo, s21
	s_delay_alu instid0(SALU_CYCLE_1)
	s_and_b32 s19, s19, exec_lo
	s_or_saveexec_b32 s20, s20
	v_mov_b32_e32 v3, 0x7f800001
	s_xor_b32 exec_lo, exec_lo, s20
	s_cbranch_execnz .LBB166_2400
.LBB166_2382:
	s_or_b32 exec_lo, exec_lo, s20
	s_and_saveexec_b32 s20, s19
	s_cbranch_execz .LBB166_2384
.LBB166_2383:
	v_and_b32_e32 v3, 0xffff, v1
	s_delay_alu instid0(VALU_DEP_1) | instskip(SKIP_1) | instid1(VALU_DEP_2)
	v_and_b32_e32 v12, 7, v3
	v_bfe_u32 v15, v3, 3, 4
	v_clz_i32_u32_e32 v13, v12
	s_delay_alu instid0(VALU_DEP_2) | instskip(NEXT) | instid1(VALU_DEP_2)
	v_cmp_eq_u32_e32 vcc_lo, 0, v15
	v_min_u32_e32 v13, 32, v13
	s_delay_alu instid0(VALU_DEP_1) | instskip(NEXT) | instid1(VALU_DEP_1)
	v_subrev_nc_u32_e32 v14, 28, v13
	v_dual_lshlrev_b32 v3, v14, v3 :: v_dual_sub_nc_u32 v13, 29, v13
	s_delay_alu instid0(VALU_DEP_1) | instskip(NEXT) | instid1(VALU_DEP_1)
	v_dual_lshlrev_b32 v1, 24, v1 :: v_dual_bitop2_b32 v3, 7, v3 bitop3:0x40
	v_dual_cndmask_b32 v3, v12, v3, vcc_lo :: v_dual_cndmask_b32 v13, v15, v13, vcc_lo
	s_delay_alu instid0(VALU_DEP_2) | instskip(NEXT) | instid1(VALU_DEP_2)
	v_and_b32_e32 v1, 0x80000000, v1
	v_lshlrev_b32_e32 v3, 20, v3
	s_delay_alu instid0(VALU_DEP_3) | instskip(NEXT) | instid1(VALU_DEP_1)
	v_lshl_add_u32 v12, v13, 23, 0x3b800000
	v_or3_b32 v3, v1, v12, v3
.LBB166_2384:
	s_or_b32 exec_lo, exec_lo, s20
	s_delay_alu instid0(VALU_DEP_1) | instskip(SKIP_1) | instid1(VALU_DEP_2)
	v_bfe_u32 v1, v3, 16, 1
	v_cmp_o_f32_e32 vcc_lo, v3, v3
	v_add3_u32 v1, v3, v1, 0x7fff
	s_delay_alu instid0(VALU_DEP_1) | instskip(NEXT) | instid1(VALU_DEP_1)
	v_lshrrev_b32_e32 v1, 16, v1
	v_cndmask_b32_e32 v12, 0x7fc0, v1, vcc_lo
.LBB166_2385:
	s_mov_b32 s19, -1
.LBB166_2386:
	s_mov_b32 s20, 0
.LBB166_2387:
	s_delay_alu instid0(SALU_CYCLE_1)
	s_and_b32 vcc_lo, exec_lo, s20
	s_cbranch_vccz .LBB166_2420
; %bb.2388:
	s_cmp_gt_i32 s0, 22
	s_cbranch_scc0 .LBB166_2398
; %bb.2389:
	s_cmp_lt_i32 s0, 24
	s_cbranch_scc1 .LBB166_2401
; %bb.2390:
	s_cmp_gt_i32 s0, 24
	s_cbranch_scc0 .LBB166_2402
; %bb.2391:
	global_load_u8 v1, v[4:5], off
	s_mov_b32 s19, exec_lo
	s_wait_loadcnt 0x0
	v_cmpx_lt_i16_e32 0x7f, v1
	s_xor_b32 s19, exec_lo, s19
	s_cbranch_execz .LBB166_2414
; %bb.2392:
	s_mov_b32 s18, -1
	s_mov_b32 s20, exec_lo
	v_cmpx_eq_u16_e32 0x80, v1
; %bb.2393:
	s_xor_b32 s18, exec_lo, -1
; %bb.2394:
	s_or_b32 exec_lo, exec_lo, s20
	s_delay_alu instid0(SALU_CYCLE_1)
	s_and_b32 s18, s18, exec_lo
	s_or_saveexec_b32 s19, s19
	v_mov_b32_e32 v3, 0x7f800001
	s_xor_b32 exec_lo, exec_lo, s19
	s_cbranch_execnz .LBB166_2415
.LBB166_2395:
	s_or_b32 exec_lo, exec_lo, s19
	s_and_saveexec_b32 s19, s18
	s_cbranch_execz .LBB166_2397
.LBB166_2396:
	v_and_b32_e32 v3, 0xffff, v1
	s_delay_alu instid0(VALU_DEP_1) | instskip(SKIP_1) | instid1(VALU_DEP_2)
	v_and_b32_e32 v12, 3, v3
	v_bfe_u32 v15, v3, 2, 5
	v_clz_i32_u32_e32 v13, v12
	s_delay_alu instid0(VALU_DEP_2) | instskip(NEXT) | instid1(VALU_DEP_2)
	v_cmp_eq_u32_e32 vcc_lo, 0, v15
	v_min_u32_e32 v13, 32, v13
	s_delay_alu instid0(VALU_DEP_1) | instskip(NEXT) | instid1(VALU_DEP_1)
	v_subrev_nc_u32_e32 v14, 29, v13
	v_dual_lshlrev_b32 v3, v14, v3 :: v_dual_sub_nc_u32 v13, 30, v13
	s_delay_alu instid0(VALU_DEP_1) | instskip(NEXT) | instid1(VALU_DEP_1)
	v_dual_lshlrev_b32 v1, 24, v1 :: v_dual_bitop2_b32 v3, 3, v3 bitop3:0x40
	v_dual_cndmask_b32 v3, v12, v3, vcc_lo :: v_dual_cndmask_b32 v13, v15, v13, vcc_lo
	s_delay_alu instid0(VALU_DEP_2) | instskip(NEXT) | instid1(VALU_DEP_2)
	v_and_b32_e32 v1, 0x80000000, v1
	v_lshlrev_b32_e32 v3, 21, v3
	s_delay_alu instid0(VALU_DEP_3) | instskip(NEXT) | instid1(VALU_DEP_1)
	v_lshl_add_u32 v12, v13, 23, 0x37800000
	v_or3_b32 v3, v1, v12, v3
.LBB166_2397:
	s_or_b32 exec_lo, exec_lo, s19
	s_delay_alu instid0(VALU_DEP_1) | instskip(SKIP_2) | instid1(VALU_DEP_2)
	v_bfe_u32 v1, v3, 16, 1
	v_cmp_o_f32_e32 vcc_lo, v3, v3
	s_mov_b32 s18, 0
	v_add3_u32 v1, v3, v1, 0x7fff
	s_delay_alu instid0(VALU_DEP_1) | instskip(NEXT) | instid1(VALU_DEP_1)
	v_lshrrev_b32_e32 v1, 16, v1
	v_cndmask_b32_e32 v12, 0x7fc0, v1, vcc_lo
	s_branch .LBB166_2403
.LBB166_2398:
	s_mov_b32 s18, -1
                                        ; implicit-def: $vgpr12
	s_branch .LBB166_2409
.LBB166_2399:
	s_or_saveexec_b32 s20, s20
	v_mov_b32_e32 v3, 0x7f800001
	s_xor_b32 exec_lo, exec_lo, s20
	s_cbranch_execz .LBB166_2382
.LBB166_2400:
	v_cmp_ne_u16_e32 vcc_lo, 0, v1
	v_mov_b32_e32 v3, 0
	s_and_not1_b32 s19, s19, exec_lo
	s_and_b32 s21, vcc_lo, exec_lo
	s_delay_alu instid0(SALU_CYCLE_1)
	s_or_b32 s19, s19, s21
	s_or_b32 exec_lo, exec_lo, s20
	s_and_saveexec_b32 s20, s19
	s_cbranch_execnz .LBB166_2383
	s_branch .LBB166_2384
.LBB166_2401:
	s_mov_b32 s18, -1
                                        ; implicit-def: $vgpr12
	s_branch .LBB166_2406
.LBB166_2402:
	s_mov_b32 s18, -1
                                        ; implicit-def: $vgpr12
.LBB166_2403:
	s_delay_alu instid0(SALU_CYCLE_1)
	s_and_b32 vcc_lo, exec_lo, s18
	s_cbranch_vccz .LBB166_2405
; %bb.2404:
	global_load_u8 v1, v[4:5], off
	s_wait_loadcnt 0x0
	v_lshlrev_b32_e32 v1, 24, v1
	s_delay_alu instid0(VALU_DEP_1) | instskip(NEXT) | instid1(VALU_DEP_1)
	v_and_b32_e32 v3, 0x7f000000, v1
	v_clz_i32_u32_e32 v12, v3
	v_cmp_ne_u32_e32 vcc_lo, 0, v3
	v_add_nc_u32_e32 v14, 0x1000000, v3
	s_delay_alu instid0(VALU_DEP_3) | instskip(NEXT) | instid1(VALU_DEP_1)
	v_min_u32_e32 v12, 32, v12
	v_sub_nc_u32_e64 v12, v12, 4 clamp
	s_delay_alu instid0(VALU_DEP_1) | instskip(NEXT) | instid1(VALU_DEP_1)
	v_dual_lshlrev_b32 v13, v12, v3 :: v_dual_lshlrev_b32 v12, 23, v12
	v_lshrrev_b32_e32 v13, 4, v13
	s_delay_alu instid0(VALU_DEP_1) | instskip(NEXT) | instid1(VALU_DEP_1)
	v_dual_sub_nc_u32 v12, v13, v12 :: v_dual_ashrrev_i32 v13, 8, v14
	v_add_nc_u32_e32 v12, 0x3c000000, v12
	s_delay_alu instid0(VALU_DEP_1) | instskip(NEXT) | instid1(VALU_DEP_1)
	v_and_or_b32 v12, 0x7f800000, v13, v12
	v_cndmask_b32_e32 v3, 0, v12, vcc_lo
	s_delay_alu instid0(VALU_DEP_1) | instskip(SKIP_1) | instid1(VALU_DEP_2)
	v_and_or_b32 v1, 0x80000000, v1, v3
	v_bfe_u32 v3, v3, 16, 1
	v_cmp_o_f32_e32 vcc_lo, v1, v1
	s_delay_alu instid0(VALU_DEP_2) | instskip(NEXT) | instid1(VALU_DEP_1)
	v_add3_u32 v3, v1, v3, 0x7fff
	v_lshrrev_b32_e32 v3, 16, v3
	s_delay_alu instid0(VALU_DEP_1)
	v_cndmask_b32_e32 v12, 0x7fc0, v3, vcc_lo
.LBB166_2405:
	s_mov_b32 s18, 0
.LBB166_2406:
	s_delay_alu instid0(SALU_CYCLE_1)
	s_and_not1_b32 vcc_lo, exec_lo, s18
	s_cbranch_vccnz .LBB166_2408
; %bb.2407:
	global_load_u8 v1, v[4:5], off
	s_wait_loadcnt 0x0
	v_lshlrev_b32_e32 v3, 25, v1
	v_lshlrev_b16 v1, 8, v1
	s_delay_alu instid0(VALU_DEP_1) | instskip(NEXT) | instid1(VALU_DEP_3)
	v_and_or_b32 v13, 0x7f00, v1, 0.5
	v_lshrrev_b32_e32 v12, 4, v3
	v_bfe_i32 v1, v1, 0, 16
	s_delay_alu instid0(VALU_DEP_3) | instskip(NEXT) | instid1(VALU_DEP_3)
	v_add_f32_e32 v13, -0.5, v13
	v_or_b32_e32 v12, 0x70000000, v12
	s_delay_alu instid0(VALU_DEP_1) | instskip(SKIP_1) | instid1(VALU_DEP_2)
	v_mul_f32_e32 v12, 0x7800000, v12
	v_cmp_gt_u32_e32 vcc_lo, 0x8000000, v3
	v_cndmask_b32_e32 v3, v12, v13, vcc_lo
	s_delay_alu instid0(VALU_DEP_1) | instskip(SKIP_1) | instid1(VALU_DEP_2)
	v_and_or_b32 v1, 0x80000000, v1, v3
	v_bfe_u32 v3, v3, 16, 1
	v_cmp_o_f32_e32 vcc_lo, v1, v1
	s_delay_alu instid0(VALU_DEP_2) | instskip(NEXT) | instid1(VALU_DEP_1)
	v_add3_u32 v3, v1, v3, 0x7fff
	v_lshrrev_b32_e32 v3, 16, v3
	s_delay_alu instid0(VALU_DEP_1)
	v_cndmask_b32_e32 v12, 0x7fc0, v3, vcc_lo
.LBB166_2408:
	s_mov_b32 s18, 0
	s_mov_b32 s19, -1
.LBB166_2409:
	s_and_not1_b32 vcc_lo, exec_lo, s18
	s_mov_b32 s18, 0
	s_cbranch_vccnz .LBB166_2420
; %bb.2410:
	s_cmp_gt_i32 s0, 14
	s_cbranch_scc0 .LBB166_2413
; %bb.2411:
	s_cmp_eq_u32 s0, 15
	s_cbranch_scc0 .LBB166_2416
; %bb.2412:
	s_wait_loadcnt 0x0
	global_load_u16 v12, v[4:5], off
	s_mov_b32 s10, 0
	s_mov_b32 s19, -1
	s_branch .LBB166_2418
.LBB166_2413:
	s_mov_b32 s18, -1
	s_branch .LBB166_2417
.LBB166_2414:
	s_or_saveexec_b32 s19, s19
	v_mov_b32_e32 v3, 0x7f800001
	s_xor_b32 exec_lo, exec_lo, s19
	s_cbranch_execz .LBB166_2395
.LBB166_2415:
	v_cmp_ne_u16_e32 vcc_lo, 0, v1
	v_mov_b32_e32 v3, 0
	s_and_not1_b32 s18, s18, exec_lo
	s_and_b32 s20, vcc_lo, exec_lo
	s_delay_alu instid0(SALU_CYCLE_1)
	s_or_b32 s18, s18, s20
	s_or_b32 exec_lo, exec_lo, s19
	s_and_saveexec_b32 s19, s18
	s_cbranch_execnz .LBB166_2396
	s_branch .LBB166_2397
.LBB166_2416:
	s_mov_b32 s10, -1
.LBB166_2417:
                                        ; implicit-def: $vgpr12
.LBB166_2418:
	s_and_b32 vcc_lo, exec_lo, s18
	s_mov_b32 s18, 0
	s_cbranch_vccz .LBB166_2420
; %bb.2419:
	s_cmp_lg_u32 s0, 11
	s_mov_b32 s18, -1
	s_cselect_b32 s10, -1, 0
.LBB166_2420:
	s_delay_alu instid0(SALU_CYCLE_1)
	s_and_b32 vcc_lo, exec_lo, s10
	s_cbranch_vccnz .LBB166_2504
; %bb.2421:
	s_and_not1_b32 vcc_lo, exec_lo, s18
	s_cbranch_vccnz .LBB166_2423
.LBB166_2422:
	global_load_u8 v1, v[4:5], off
	s_mov_b32 s19, -1
	s_wait_loadcnt 0x0
	v_cmp_ne_u16_e32 vcc_lo, 0, v1
	v_cndmask_b32_e64 v1, 0, 1.0, vcc_lo
	s_delay_alu instid0(VALU_DEP_1)
	v_lshrrev_b32_e32 v12, 16, v1
.LBB166_2423:
	s_mov_b32 s10, 0
.LBB166_2424:
	s_delay_alu instid0(SALU_CYCLE_1)
	s_and_b32 vcc_lo, exec_lo, s10
	s_cbranch_vccz .LBB166_2473
; %bb.2425:
	s_cmp_lt_i32 s0, 5
	s_cbranch_scc1 .LBB166_2430
; %bb.2426:
	s_cmp_lt_i32 s0, 8
	s_cbranch_scc1 .LBB166_2431
	;; [unrolled: 3-line block ×3, first 2 shown]
; %bb.2428:
	s_cmp_gt_i32 s0, 9
	s_cbranch_scc0 .LBB166_2433
; %bb.2429:
	s_wait_loadcnt 0x0
	global_load_b64 v[12:13], v[4:5], off
	s_mov_b32 s10, 0
	s_wait_loadcnt 0x0
	v_cvt_f32_f64_e32 v1, v[12:13]
	s_delay_alu instid0(VALU_DEP_1) | instskip(SKIP_1) | instid1(VALU_DEP_2)
	v_bfe_u32 v3, v1, 16, 1
	v_cmp_o_f32_e32 vcc_lo, v1, v1
	v_add3_u32 v3, v1, v3, 0x7fff
	s_delay_alu instid0(VALU_DEP_1) | instskip(NEXT) | instid1(VALU_DEP_1)
	v_lshrrev_b32_e32 v3, 16, v3
	v_cndmask_b32_e32 v12, 0x7fc0, v3, vcc_lo
	s_branch .LBB166_2434
.LBB166_2430:
	s_mov_b32 s10, -1
                                        ; implicit-def: $vgpr12
	s_branch .LBB166_2452
.LBB166_2431:
	s_mov_b32 s10, -1
                                        ; implicit-def: $vgpr12
	s_branch .LBB166_2440
.LBB166_2432:
	s_mov_b32 s10, -1
                                        ; implicit-def: $vgpr12
	s_branch .LBB166_2437
.LBB166_2433:
	s_mov_b32 s10, -1
                                        ; implicit-def: $vgpr12
.LBB166_2434:
	s_delay_alu instid0(SALU_CYCLE_1)
	s_and_not1_b32 vcc_lo, exec_lo, s10
	s_cbranch_vccnz .LBB166_2436
; %bb.2435:
	global_load_b32 v1, v[4:5], off
	s_wait_loadcnt 0x0
	v_bfe_u32 v3, v1, 16, 1
	v_cmp_o_f32_e32 vcc_lo, v1, v1
	s_delay_alu instid0(VALU_DEP_2) | instskip(NEXT) | instid1(VALU_DEP_1)
	v_add3_u32 v3, v1, v3, 0x7fff
	v_lshrrev_b32_e32 v3, 16, v3
	s_delay_alu instid0(VALU_DEP_1)
	v_cndmask_b32_e32 v12, 0x7fc0, v3, vcc_lo
.LBB166_2436:
	s_mov_b32 s10, 0
.LBB166_2437:
	s_delay_alu instid0(SALU_CYCLE_1)
	s_and_not1_b32 vcc_lo, exec_lo, s10
	s_cbranch_vccnz .LBB166_2439
; %bb.2438:
	global_load_b32 v1, v[4:5], off
	s_wait_loadcnt 0x0
	v_cvt_f32_f16_e32 v3, v1
	v_cmp_o_f16_e32 vcc_lo, v1, v1
	s_delay_alu instid0(VALU_DEP_2) | instskip(NEXT) | instid1(VALU_DEP_1)
	v_bfe_u32 v12, v3, 16, 1
	v_add3_u32 v3, v3, v12, 0x7fff
	s_delay_alu instid0(VALU_DEP_1) | instskip(NEXT) | instid1(VALU_DEP_1)
	v_lshrrev_b32_e32 v3, 16, v3
	v_cndmask_b32_e32 v12, 0x7fc0, v3, vcc_lo
.LBB166_2439:
	s_mov_b32 s10, 0
.LBB166_2440:
	s_delay_alu instid0(SALU_CYCLE_1)
	s_and_not1_b32 vcc_lo, exec_lo, s10
	s_cbranch_vccnz .LBB166_2451
; %bb.2441:
	s_cmp_lt_i32 s0, 6
	s_cbranch_scc1 .LBB166_2444
; %bb.2442:
	s_cmp_gt_i32 s0, 6
	s_cbranch_scc0 .LBB166_2445
; %bb.2443:
	s_wait_loadcnt 0x0
	global_load_b64 v[12:13], v[4:5], off
	s_mov_b32 s10, 0
	s_wait_loadcnt 0x0
	v_cvt_f32_f64_e32 v1, v[12:13]
	s_delay_alu instid0(VALU_DEP_1) | instskip(SKIP_1) | instid1(VALU_DEP_2)
	v_bfe_u32 v3, v1, 16, 1
	v_cmp_o_f32_e32 vcc_lo, v1, v1
	v_add3_u32 v3, v1, v3, 0x7fff
	s_delay_alu instid0(VALU_DEP_1) | instskip(NEXT) | instid1(VALU_DEP_1)
	v_lshrrev_b32_e32 v3, 16, v3
	v_cndmask_b32_e32 v12, 0x7fc0, v3, vcc_lo
	s_branch .LBB166_2446
.LBB166_2444:
	s_mov_b32 s10, -1
                                        ; implicit-def: $vgpr12
	s_branch .LBB166_2449
.LBB166_2445:
	s_mov_b32 s10, -1
                                        ; implicit-def: $vgpr12
.LBB166_2446:
	s_delay_alu instid0(SALU_CYCLE_1)
	s_and_not1_b32 vcc_lo, exec_lo, s10
	s_cbranch_vccnz .LBB166_2448
; %bb.2447:
	global_load_b32 v1, v[4:5], off
	s_wait_loadcnt 0x0
	v_bfe_u32 v3, v1, 16, 1
	v_cmp_o_f32_e32 vcc_lo, v1, v1
	s_delay_alu instid0(VALU_DEP_2) | instskip(NEXT) | instid1(VALU_DEP_1)
	v_add3_u32 v3, v1, v3, 0x7fff
	v_lshrrev_b32_e32 v3, 16, v3
	s_delay_alu instid0(VALU_DEP_1)
	v_cndmask_b32_e32 v12, 0x7fc0, v3, vcc_lo
.LBB166_2448:
	s_mov_b32 s10, 0
.LBB166_2449:
	s_delay_alu instid0(SALU_CYCLE_1)
	s_and_not1_b32 vcc_lo, exec_lo, s10
	s_cbranch_vccnz .LBB166_2451
; %bb.2450:
	global_load_u16 v1, v[4:5], off
	s_wait_loadcnt 0x0
	v_cvt_f32_f16_e32 v3, v1
	v_cmp_o_f16_e32 vcc_lo, v1, v1
	s_delay_alu instid0(VALU_DEP_2) | instskip(NEXT) | instid1(VALU_DEP_1)
	v_bfe_u32 v12, v3, 16, 1
	v_add3_u32 v3, v3, v12, 0x7fff
	s_delay_alu instid0(VALU_DEP_1) | instskip(NEXT) | instid1(VALU_DEP_1)
	v_lshrrev_b32_e32 v3, 16, v3
	v_cndmask_b32_e32 v12, 0x7fc0, v3, vcc_lo
.LBB166_2451:
	s_mov_b32 s10, 0
.LBB166_2452:
	s_delay_alu instid0(SALU_CYCLE_1)
	s_and_not1_b32 vcc_lo, exec_lo, s10
	s_cbranch_vccnz .LBB166_2472
; %bb.2453:
	s_cmp_lt_i32 s0, 2
	s_cbranch_scc1 .LBB166_2457
; %bb.2454:
	s_cmp_lt_i32 s0, 3
	s_cbranch_scc1 .LBB166_2458
; %bb.2455:
	s_cmp_gt_i32 s0, 3
	s_cbranch_scc0 .LBB166_2459
; %bb.2456:
	s_wait_loadcnt 0x0
	global_load_b64 v[12:13], v[4:5], off
	s_mov_b32 s10, 0
	s_wait_loadcnt 0x0
	v_xor_b32_e32 v1, v12, v13
	v_cls_i32_e32 v3, v13
	s_delay_alu instid0(VALU_DEP_2) | instskip(NEXT) | instid1(VALU_DEP_1)
	v_ashrrev_i32_e32 v1, 31, v1
	v_add_nc_u32_e32 v1, 32, v1
	s_delay_alu instid0(VALU_DEP_1) | instskip(NEXT) | instid1(VALU_DEP_1)
	v_add_min_u32_e64 v1, v3, -1, v1
	v_lshlrev_b64_e32 v[12:13], v1, v[12:13]
	v_sub_nc_u32_e32 v1, 32, v1
	s_delay_alu instid0(VALU_DEP_2) | instskip(NEXT) | instid1(VALU_DEP_1)
	v_min_u32_e32 v3, 1, v12
	v_or_b32_e32 v3, v13, v3
	s_delay_alu instid0(VALU_DEP_1) | instskip(NEXT) | instid1(VALU_DEP_1)
	v_cvt_f32_i32_e32 v3, v3
	v_ldexp_f32 v1, v3, v1
	s_delay_alu instid0(VALU_DEP_1) | instskip(NEXT) | instid1(VALU_DEP_1)
	v_bfe_u32 v3, v1, 16, 1
	v_add3_u32 v1, v1, v3, 0x7fff
	s_delay_alu instid0(VALU_DEP_1)
	v_lshrrev_b32_e32 v12, 16, v1
	s_branch .LBB166_2460
.LBB166_2457:
	s_mov_b32 s10, -1
                                        ; implicit-def: $vgpr12
	s_branch .LBB166_2466
.LBB166_2458:
	s_mov_b32 s10, -1
                                        ; implicit-def: $vgpr12
	s_branch .LBB166_2463
.LBB166_2459:
	s_mov_b32 s10, -1
                                        ; implicit-def: $vgpr12
.LBB166_2460:
	s_delay_alu instid0(SALU_CYCLE_1)
	s_and_not1_b32 vcc_lo, exec_lo, s10
	s_cbranch_vccnz .LBB166_2462
; %bb.2461:
	global_load_b32 v1, v[4:5], off
	s_wait_loadcnt 0x0
	v_cvt_f32_i32_e32 v1, v1
	s_delay_alu instid0(VALU_DEP_1) | instskip(NEXT) | instid1(VALU_DEP_1)
	v_bfe_u32 v3, v1, 16, 1
	v_add3_u32 v1, v1, v3, 0x7fff
	s_delay_alu instid0(VALU_DEP_1)
	v_lshrrev_b32_e32 v12, 16, v1
.LBB166_2462:
	s_mov_b32 s10, 0
.LBB166_2463:
	s_delay_alu instid0(SALU_CYCLE_1)
	s_and_not1_b32 vcc_lo, exec_lo, s10
	s_cbranch_vccnz .LBB166_2465
; %bb.2464:
	global_load_i16 v1, v[4:5], off
	s_wait_loadcnt 0x0
	v_cvt_f32_i32_e32 v1, v1
	s_delay_alu instid0(VALU_DEP_1) | instskip(NEXT) | instid1(VALU_DEP_1)
	v_bfe_u32 v3, v1, 16, 1
	v_add3_u32 v1, v1, v3, 0x7fff
	s_delay_alu instid0(VALU_DEP_1)
	v_lshrrev_b32_e32 v12, 16, v1
.LBB166_2465:
	s_mov_b32 s10, 0
.LBB166_2466:
	s_delay_alu instid0(SALU_CYCLE_1)
	s_and_not1_b32 vcc_lo, exec_lo, s10
	s_cbranch_vccnz .LBB166_2472
; %bb.2467:
	s_cmp_gt_i32 s0, 0
	s_mov_b32 s10, 0
	s_cbranch_scc0 .LBB166_2469
; %bb.2468:
	global_load_i8 v1, v[4:5], off
	s_wait_loadcnt 0x0
	v_cvt_f32_i32_e32 v1, v1
	s_delay_alu instid0(VALU_DEP_1) | instskip(NEXT) | instid1(VALU_DEP_1)
	v_bfe_u32 v3, v1, 16, 1
	v_add3_u32 v1, v1, v3, 0x7fff
	s_delay_alu instid0(VALU_DEP_1)
	v_lshrrev_b32_e32 v12, 16, v1
	s_branch .LBB166_2470
.LBB166_2469:
	s_mov_b32 s10, -1
                                        ; implicit-def: $vgpr12
.LBB166_2470:
	s_delay_alu instid0(SALU_CYCLE_1)
	s_and_not1_b32 vcc_lo, exec_lo, s10
	s_cbranch_vccnz .LBB166_2472
; %bb.2471:
	global_load_u8 v1, v[4:5], off
	s_wait_loadcnt 0x0
	v_cvt_f32_ubyte0_e32 v1, v1
	s_delay_alu instid0(VALU_DEP_1) | instskip(NEXT) | instid1(VALU_DEP_1)
	v_bfe_u32 v3, v1, 16, 1
	v_add3_u32 v1, v1, v3, 0x7fff
	s_delay_alu instid0(VALU_DEP_1)
	v_lshrrev_b32_e32 v12, 16, v1
.LBB166_2472:
	s_mov_b32 s19, -1
.LBB166_2473:
	s_delay_alu instid0(SALU_CYCLE_1)
	s_and_not1_b32 vcc_lo, exec_lo, s19
	s_cbranch_vccnz .LBB166_3190
; %bb.2474:
	s_cmp_lt_i32 s15, 23
	s_cbranch_scc1 .LBB166_2478
; %bb.2475:
	s_and_b32 s19, 0xffff, s15
	s_delay_alu instid0(SALU_CYCLE_1)
	s_cmp_gt_i32 s19, 43
	s_cbranch_scc0 .LBB166_2479
; %bb.2476:
	s_cmp_gt_i32 s19, 45
	s_cbranch_scc0 .LBB166_2480
; %bb.2477:
	s_cmp_lg_u32 s19, 46
	s_mov_b32 s20, 0
	s_mov_b32 s10, -1
	s_cselect_b32 s18, -1, 0
	s_branch .LBB166_2481
.LBB166_2478:
	s_mov_b32 s19, -1
	s_mov_b32 s10, 0
	s_mov_b32 s18, 0
	s_branch .LBB166_2487
.LBB166_2479:
	s_mov_b32 s20, -1
	s_mov_b32 s10, 0
	s_mov_b32 s18, 0
	s_branch .LBB166_2484
.LBB166_2480:
	s_mov_b32 s20, -1
	s_mov_b32 s10, 0
	s_mov_b32 s18, 0
.LBB166_2481:
	s_and_not1_b32 vcc_lo, exec_lo, s20
	s_cbranch_vccnz .LBB166_2483
; %bb.2482:
	s_cmp_eq_u32 s19, 44
	s_cselect_b32 s10, -1, 0
	s_cmp_lg_u32 s19, 44
	s_cselect_b32 s18, -1, 0
.LBB166_2483:
	s_mov_b32 s20, 0
.LBB166_2484:
	s_delay_alu instid0(SALU_CYCLE_1)
	s_and_b32 vcc_lo, exec_lo, s20
	s_cbranch_vccz .LBB166_2486
; %bb.2485:
	s_cmp_lt_i32 s19, 30
	s_cselect_b32 s10, -1, 0
	s_cmp_gt_i32 s19, 29
	s_cselect_b32 s18, -1, 0
.LBB166_2486:
	s_mov_b32 s19, 0
.LBB166_2487:
	s_delay_alu instid0(SALU_CYCLE_1)
	s_and_b32 vcc_lo, exec_lo, s19
	s_cbranch_vccz .LBB166_2492
; %bb.2488:
	s_and_b32 s15, 0xffff, s15
	s_mov_b32 s19, -1
	s_cmp_gt_i32 s15, 14
	s_cbranch_scc0 .LBB166_2490
; %bb.2489:
	s_cmp_eq_u32 s15, 15
	s_mov_b32 s19, 0
	s_cselect_b32 s10, -1, 0
	s_cmp_lg_u32 s15, 15
	s_cselect_b32 s18, -1, 0
.LBB166_2490:
	s_and_not1_b32 vcc_lo, exec_lo, s19
	s_cbranch_vccnz .LBB166_2492
; %bb.2491:
	s_cmp_lt_i32 s15, 12
	s_cselect_b32 s10, -1, 0
	s_cmp_gt_i32 s15, 11
	s_cselect_b32 s18, -1, 0
.LBB166_2492:
	s_delay_alu instid0(SALU_CYCLE_1)
	s_and_b32 vcc_lo, exec_lo, s18
	s_cbranch_vccnz .LBB166_2505
; %bb.2493:
	s_and_not1_b32 vcc_lo, exec_lo, s10
	s_cbranch_vccnz .LBB166_3190
.LBB166_2494:
	v_add_nc_u32_e32 v0, s8, v0
	s_cmp_lt_i32 s13, 11
	s_delay_alu instid0(VALU_DEP_1) | instskip(NEXT) | instid1(VALU_DEP_1)
	v_ashrrev_i32_e32 v1, 31, v0
	v_add_nc_u64_e32 v[0:1], s[4:5], v[0:1]
	s_cbranch_scc1 .LBB166_2501
; %bb.2495:
	s_and_b32 s4, 0xffff, s13
	s_mov_b32 s8, 0
	s_cmp_gt_i32 s4, 25
	s_cbranch_scc0 .LBB166_2502
; %bb.2496:
	s_cmp_gt_i32 s4, 28
	s_cbranch_scc0 .LBB166_2503
; %bb.2497:
	s_cmp_gt_i32 s4, 43
	s_cbranch_scc0 .LBB166_2506
; %bb.2498:
	s_cmp_gt_i32 s4, 45
	s_cbranch_scc0 .LBB166_2507
; %bb.2499:
	s_cmp_eq_u32 s4, 46
	s_mov_b32 s15, 0
	s_cbranch_scc0 .LBB166_2508
; %bb.2500:
	global_load_b32 v4, v[0:1], off
	s_mov_b32 s5, 0
	s_mov_b32 s10, -1
	s_branch .LBB166_2510
.LBB166_2501:
	s_mov_b32 s4, -1
	s_mov_b32 s10, 0
                                        ; implicit-def: $vgpr4
	s_branch .LBB166_2576
.LBB166_2502:
	s_mov_b32 s15, -1
	s_mov_b32 s10, 0
	s_mov_b32 s5, 0
                                        ; implicit-def: $vgpr4
	s_branch .LBB166_2539
.LBB166_2503:
	s_mov_b32 s15, -1
	s_mov_b32 s10, 0
	s_mov_b32 s5, 0
                                        ; implicit-def: $vgpr4
	s_branch .LBB166_2520
.LBB166_2504:
	s_or_b32 s14, s14, exec_lo
	s_trap 2
	s_cbranch_execz .LBB166_2422
	s_branch .LBB166_2423
.LBB166_2505:
	s_or_b32 s14, s14, exec_lo
	s_trap 2
	s_cbranch_execz .LBB166_2494
	s_branch .LBB166_3190
.LBB166_2506:
	s_mov_b32 s15, -1
	s_mov_b32 s10, 0
	s_mov_b32 s5, 0
                                        ; implicit-def: $vgpr4
	s_branch .LBB166_2515
.LBB166_2507:
	s_mov_b32 s15, -1
	s_mov_b32 s10, 0
	s_mov_b32 s5, 0
	s_branch .LBB166_2509
.LBB166_2508:
	s_mov_b32 s5, -1
	s_mov_b32 s10, 0
.LBB166_2509:
                                        ; implicit-def: $vgpr4
.LBB166_2510:
	s_and_b32 vcc_lo, exec_lo, s15
	s_cbranch_vccz .LBB166_2514
; %bb.2511:
	s_cmp_eq_u32 s4, 44
	s_cbranch_scc0 .LBB166_2513
; %bb.2512:
	global_load_u8 v3, v[0:1], off
	s_mov_b32 s5, 0
	s_mov_b32 s10, -1
	s_wait_loadcnt 0x0
	s_wait_xcnt 0x1
	v_lshlrev_b32_e32 v4, 23, v3
	v_cmp_ne_u32_e32 vcc_lo, 0xff, v3
	s_delay_alu instid0(VALU_DEP_2) | instskip(SKIP_1) | instid1(VALU_DEP_2)
	v_cndmask_b32_e32 v4, 0x7f800001, v4, vcc_lo
	v_cmp_ne_u32_e32 vcc_lo, 0, v3
	v_cndmask_b32_e32 v3, 0x400000, v4, vcc_lo
	s_delay_alu instid0(VALU_DEP_1) | instskip(NEXT) | instid1(VALU_DEP_1)
	v_add_nc_u32_e32 v4, 0x7fff, v3
	v_lshrrev_b32_e32 v4, 16, v4
	v_cmp_o_f32_e32 vcc_lo, v3, v3
	s_delay_alu instid0(VALU_DEP_2)
	v_cndmask_b32_e32 v4, 0x7fc0, v4, vcc_lo
	s_branch .LBB166_2514
.LBB166_2513:
	s_mov_b32 s5, -1
                                        ; implicit-def: $vgpr4
.LBB166_2514:
	s_mov_b32 s15, 0
.LBB166_2515:
	s_delay_alu instid0(SALU_CYCLE_1)
	s_and_b32 vcc_lo, exec_lo, s15
	s_cbranch_vccz .LBB166_2519
; %bb.2516:
	s_cmp_eq_u32 s4, 29
	s_cbranch_scc0 .LBB166_2518
; %bb.2517:
	s_wait_loadcnt 0x0
	global_load_b64 v[4:5], v[0:1], off
	s_mov_b32 s5, 0
	s_mov_b32 s10, -1
	s_mov_b32 s15, 0
	s_wait_loadcnt 0x0
	v_clz_i32_u32_e32 v3, v5
	s_delay_alu instid0(VALU_DEP_1) | instskip(NEXT) | instid1(VALU_DEP_1)
	v_min_u32_e32 v3, 32, v3
	v_lshlrev_b64_e32 v[4:5], v3, v[4:5]
	v_sub_nc_u32_e32 v3, 32, v3
	s_delay_alu instid0(VALU_DEP_2) | instskip(NEXT) | instid1(VALU_DEP_1)
	v_min_u32_e32 v4, 1, v4
	v_or_b32_e32 v4, v5, v4
	s_delay_alu instid0(VALU_DEP_1) | instskip(NEXT) | instid1(VALU_DEP_1)
	v_cvt_f32_u32_e32 v4, v4
	v_ldexp_f32 v3, v4, v3
	s_delay_alu instid0(VALU_DEP_1) | instskip(NEXT) | instid1(VALU_DEP_1)
	v_bfe_u32 v4, v3, 16, 1
	v_add3_u32 v3, v3, v4, 0x7fff
	s_delay_alu instid0(VALU_DEP_1)
	v_lshrrev_b32_e32 v4, 16, v3
	s_branch .LBB166_2520
.LBB166_2518:
	s_mov_b32 s5, -1
                                        ; implicit-def: $vgpr4
.LBB166_2519:
	s_mov_b32 s15, 0
.LBB166_2520:
	s_delay_alu instid0(SALU_CYCLE_1)
	s_and_b32 vcc_lo, exec_lo, s15
	s_cbranch_vccz .LBB166_2538
; %bb.2521:
	s_cmp_lt_i32 s4, 27
	s_cbranch_scc1 .LBB166_2524
; %bb.2522:
	s_cmp_gt_i32 s4, 27
	s_cbranch_scc0 .LBB166_2525
; %bb.2523:
	global_load_b32 v3, v[0:1], off
	s_mov_b32 s10, 0
	s_wait_loadcnt 0x0
	v_cvt_f32_u32_e32 v3, v3
	s_wait_xcnt 0x1
	s_delay_alu instid0(VALU_DEP_1) | instskip(NEXT) | instid1(VALU_DEP_1)
	v_bfe_u32 v4, v3, 16, 1
	v_add3_u32 v3, v3, v4, 0x7fff
	s_delay_alu instid0(VALU_DEP_1)
	v_lshrrev_b32_e32 v4, 16, v3
	s_branch .LBB166_2526
.LBB166_2524:
	s_mov_b32 s10, -1
                                        ; implicit-def: $vgpr4
	s_branch .LBB166_2529
.LBB166_2525:
	s_mov_b32 s10, -1
                                        ; implicit-def: $vgpr4
.LBB166_2526:
	s_delay_alu instid0(SALU_CYCLE_1)
	s_and_not1_b32 vcc_lo, exec_lo, s10
	s_cbranch_vccnz .LBB166_2528
; %bb.2527:
	global_load_u16 v3, v[0:1], off
	s_wait_loadcnt 0x0
	v_cvt_f32_u32_e32 v3, v3
	s_wait_xcnt 0x1
	s_delay_alu instid0(VALU_DEP_1) | instskip(NEXT) | instid1(VALU_DEP_1)
	v_bfe_u32 v4, v3, 16, 1
	v_add3_u32 v3, v3, v4, 0x7fff
	s_delay_alu instid0(VALU_DEP_1)
	v_lshrrev_b32_e32 v4, 16, v3
.LBB166_2528:
	s_mov_b32 s10, 0
.LBB166_2529:
	s_delay_alu instid0(SALU_CYCLE_1)
	s_and_not1_b32 vcc_lo, exec_lo, s10
	s_cbranch_vccnz .LBB166_2537
; %bb.2530:
	global_load_u8 v3, v[0:1], off
	s_mov_b32 s10, 0
	s_mov_b32 s15, exec_lo
	s_wait_loadcnt 0x0
	v_cmpx_lt_i16_e32 0x7f, v3
	s_xor_b32 s15, exec_lo, s15
	s_cbranch_execz .LBB166_2551
; %bb.2531:
	s_mov_b32 s10, -1
	s_mov_b32 s18, exec_lo
	v_cmpx_eq_u16_e32 0x80, v3
; %bb.2532:
	s_xor_b32 s10, exec_lo, -1
; %bb.2533:
	s_or_b32 exec_lo, exec_lo, s18
	s_delay_alu instid0(SALU_CYCLE_1)
	s_and_b32 s10, s10, exec_lo
	s_or_saveexec_b32 s15, s15
	v_mov_b32_e32 v4, 0x7f800001
	s_xor_b32 exec_lo, exec_lo, s15
	s_cbranch_execnz .LBB166_2552
.LBB166_2534:
	s_or_b32 exec_lo, exec_lo, s15
	s_and_saveexec_b32 s15, s10
	s_cbranch_execz .LBB166_2536
.LBB166_2535:
	v_and_b32_e32 v4, 0xffff, v3
	s_delay_alu instid0(VALU_DEP_1) | instskip(SKIP_1) | instid1(VALU_DEP_2)
	v_and_b32_e32 v5, 7, v4
	v_bfe_u32 v15, v4, 3, 4
	v_clz_i32_u32_e32 v13, v5
	s_delay_alu instid0(VALU_DEP_2) | instskip(NEXT) | instid1(VALU_DEP_2)
	v_cmp_eq_u32_e32 vcc_lo, 0, v15
	v_min_u32_e32 v13, 32, v13
	s_delay_alu instid0(VALU_DEP_1) | instskip(NEXT) | instid1(VALU_DEP_1)
	v_subrev_nc_u32_e32 v14, 28, v13
	v_dual_lshlrev_b32 v4, v14, v4 :: v_dual_sub_nc_u32 v13, 29, v13
	s_delay_alu instid0(VALU_DEP_1) | instskip(NEXT) | instid1(VALU_DEP_1)
	v_dual_lshlrev_b32 v3, 24, v3 :: v_dual_bitop2_b32 v4, 7, v4 bitop3:0x40
	v_dual_cndmask_b32 v13, v15, v13 :: v_dual_cndmask_b32 v4, v5, v4
	s_delay_alu instid0(VALU_DEP_2) | instskip(NEXT) | instid1(VALU_DEP_2)
	v_and_b32_e32 v3, 0x80000000, v3
	v_lshl_add_u32 v5, v13, 23, 0x3b800000
	s_delay_alu instid0(VALU_DEP_3) | instskip(NEXT) | instid1(VALU_DEP_1)
	v_lshlrev_b32_e32 v4, 20, v4
	v_or3_b32 v4, v3, v5, v4
.LBB166_2536:
	s_or_b32 exec_lo, exec_lo, s15
	s_delay_alu instid0(VALU_DEP_1) | instskip(SKIP_1) | instid1(VALU_DEP_2)
	v_bfe_u32 v3, v4, 16, 1
	v_cmp_o_f32_e32 vcc_lo, v4, v4
	v_add3_u32 v3, v4, v3, 0x7fff
	s_delay_alu instid0(VALU_DEP_1) | instskip(NEXT) | instid1(VALU_DEP_1)
	v_lshrrev_b32_e32 v3, 16, v3
	v_cndmask_b32_e32 v4, 0x7fc0, v3, vcc_lo
.LBB166_2537:
	s_mov_b32 s10, -1
.LBB166_2538:
	s_mov_b32 s15, 0
.LBB166_2539:
	s_delay_alu instid0(SALU_CYCLE_1)
	s_and_b32 vcc_lo, exec_lo, s15
	s_cbranch_vccz .LBB166_2572
; %bb.2540:
	s_cmp_gt_i32 s4, 22
	s_cbranch_scc0 .LBB166_2550
; %bb.2541:
	s_cmp_lt_i32 s4, 24
	s_cbranch_scc1 .LBB166_2553
; %bb.2542:
	s_cmp_gt_i32 s4, 24
	s_cbranch_scc0 .LBB166_2554
; %bb.2543:
	global_load_u8 v3, v[0:1], off
	s_mov_b32 s10, exec_lo
	s_wait_loadcnt 0x0
	v_cmpx_lt_i16_e32 0x7f, v3
	s_xor_b32 s10, exec_lo, s10
	s_cbranch_execz .LBB166_2566
; %bb.2544:
	s_mov_b32 s8, -1
	s_mov_b32 s15, exec_lo
	v_cmpx_eq_u16_e32 0x80, v3
; %bb.2545:
	s_xor_b32 s8, exec_lo, -1
; %bb.2546:
	s_or_b32 exec_lo, exec_lo, s15
	s_delay_alu instid0(SALU_CYCLE_1)
	s_and_b32 s8, s8, exec_lo
	s_or_saveexec_b32 s10, s10
	v_mov_b32_e32 v4, 0x7f800001
	s_xor_b32 exec_lo, exec_lo, s10
	s_cbranch_execnz .LBB166_2567
.LBB166_2547:
	s_or_b32 exec_lo, exec_lo, s10
	s_and_saveexec_b32 s10, s8
	s_cbranch_execz .LBB166_2549
.LBB166_2548:
	v_and_b32_e32 v4, 0xffff, v3
	s_delay_alu instid0(VALU_DEP_1) | instskip(SKIP_1) | instid1(VALU_DEP_2)
	v_and_b32_e32 v5, 3, v4
	v_bfe_u32 v15, v4, 2, 5
	v_clz_i32_u32_e32 v13, v5
	s_delay_alu instid0(VALU_DEP_2) | instskip(NEXT) | instid1(VALU_DEP_2)
	v_cmp_eq_u32_e32 vcc_lo, 0, v15
	v_min_u32_e32 v13, 32, v13
	s_delay_alu instid0(VALU_DEP_1) | instskip(NEXT) | instid1(VALU_DEP_1)
	v_subrev_nc_u32_e32 v14, 29, v13
	v_dual_lshlrev_b32 v4, v14, v4 :: v_dual_sub_nc_u32 v13, 30, v13
	s_delay_alu instid0(VALU_DEP_1) | instskip(NEXT) | instid1(VALU_DEP_1)
	v_dual_lshlrev_b32 v3, 24, v3 :: v_dual_bitop2_b32 v4, 3, v4 bitop3:0x40
	v_dual_cndmask_b32 v13, v15, v13 :: v_dual_cndmask_b32 v4, v5, v4
	s_delay_alu instid0(VALU_DEP_2) | instskip(NEXT) | instid1(VALU_DEP_2)
	v_and_b32_e32 v3, 0x80000000, v3
	v_lshl_add_u32 v5, v13, 23, 0x37800000
	s_delay_alu instid0(VALU_DEP_3) | instskip(NEXT) | instid1(VALU_DEP_1)
	v_lshlrev_b32_e32 v4, 21, v4
	v_or3_b32 v4, v3, v5, v4
.LBB166_2549:
	s_or_b32 exec_lo, exec_lo, s10
	s_delay_alu instid0(VALU_DEP_1) | instskip(SKIP_2) | instid1(VALU_DEP_2)
	v_bfe_u32 v3, v4, 16, 1
	v_cmp_o_f32_e32 vcc_lo, v4, v4
	s_mov_b32 s8, 0
	v_add3_u32 v3, v4, v3, 0x7fff
	s_delay_alu instid0(VALU_DEP_1) | instskip(NEXT) | instid1(VALU_DEP_1)
	v_lshrrev_b32_e32 v3, 16, v3
	v_cndmask_b32_e32 v4, 0x7fc0, v3, vcc_lo
	s_branch .LBB166_2555
.LBB166_2550:
	s_mov_b32 s8, -1
                                        ; implicit-def: $vgpr4
	s_branch .LBB166_2561
.LBB166_2551:
	s_or_saveexec_b32 s15, s15
	v_mov_b32_e32 v4, 0x7f800001
	s_xor_b32 exec_lo, exec_lo, s15
	s_cbranch_execz .LBB166_2534
.LBB166_2552:
	v_cmp_ne_u16_e32 vcc_lo, 0, v3
	v_mov_b32_e32 v4, 0
	s_and_not1_b32 s10, s10, exec_lo
	s_and_b32 s18, vcc_lo, exec_lo
	s_delay_alu instid0(SALU_CYCLE_1)
	s_or_b32 s10, s10, s18
	s_or_b32 exec_lo, exec_lo, s15
	s_and_saveexec_b32 s15, s10
	s_cbranch_execnz .LBB166_2535
	s_branch .LBB166_2536
.LBB166_2553:
	s_mov_b32 s8, -1
                                        ; implicit-def: $vgpr4
	s_branch .LBB166_2558
.LBB166_2554:
	s_mov_b32 s8, -1
                                        ; implicit-def: $vgpr4
.LBB166_2555:
	s_delay_alu instid0(SALU_CYCLE_1)
	s_and_b32 vcc_lo, exec_lo, s8
	s_cbranch_vccz .LBB166_2557
; %bb.2556:
	global_load_u8 v3, v[0:1], off
	s_wait_loadcnt 0x0
	v_lshlrev_b32_e32 v3, 24, v3
	s_wait_xcnt 0x1
	s_delay_alu instid0(VALU_DEP_1) | instskip(NEXT) | instid1(VALU_DEP_1)
	v_and_b32_e32 v4, 0x7f000000, v3
	v_clz_i32_u32_e32 v5, v4
	v_add_nc_u32_e32 v14, 0x1000000, v4
	v_cmp_ne_u32_e32 vcc_lo, 0, v4
	s_delay_alu instid0(VALU_DEP_3) | instskip(NEXT) | instid1(VALU_DEP_1)
	v_min_u32_e32 v5, 32, v5
	v_sub_nc_u32_e64 v5, v5, 4 clamp
	s_delay_alu instid0(VALU_DEP_1) | instskip(NEXT) | instid1(VALU_DEP_1)
	v_dual_lshlrev_b32 v13, v5, v4 :: v_dual_lshlrev_b32 v5, 23, v5
	v_lshrrev_b32_e32 v13, 4, v13
	s_delay_alu instid0(VALU_DEP_1) | instskip(NEXT) | instid1(VALU_DEP_1)
	v_dual_sub_nc_u32 v5, v13, v5 :: v_dual_ashrrev_i32 v13, 8, v14
	v_add_nc_u32_e32 v5, 0x3c000000, v5
	s_delay_alu instid0(VALU_DEP_1) | instskip(NEXT) | instid1(VALU_DEP_1)
	v_and_or_b32 v5, 0x7f800000, v13, v5
	v_cndmask_b32_e32 v4, 0, v5, vcc_lo
	s_delay_alu instid0(VALU_DEP_1) | instskip(SKIP_1) | instid1(VALU_DEP_2)
	v_and_or_b32 v3, 0x80000000, v3, v4
	v_bfe_u32 v4, v4, 16, 1
	v_cmp_o_f32_e32 vcc_lo, v3, v3
	s_delay_alu instid0(VALU_DEP_2) | instskip(NEXT) | instid1(VALU_DEP_1)
	v_add3_u32 v4, v3, v4, 0x7fff
	v_lshrrev_b32_e32 v4, 16, v4
	s_delay_alu instid0(VALU_DEP_1)
	v_cndmask_b32_e32 v4, 0x7fc0, v4, vcc_lo
.LBB166_2557:
	s_mov_b32 s8, 0
.LBB166_2558:
	s_delay_alu instid0(SALU_CYCLE_1)
	s_and_not1_b32 vcc_lo, exec_lo, s8
	s_cbranch_vccnz .LBB166_2560
; %bb.2559:
	global_load_u8 v3, v[0:1], off
	s_wait_loadcnt 0x0
	s_wait_xcnt 0x1
	v_lshlrev_b32_e32 v4, 25, v3
	v_lshlrev_b16 v3, 8, v3
	s_delay_alu instid0(VALU_DEP_1) | instskip(SKIP_1) | instid1(VALU_DEP_2)
	v_and_or_b32 v13, 0x7f00, v3, 0.5
	v_bfe_i32 v3, v3, 0, 16
	v_dual_add_f32 v13, -0.5, v13 :: v_dual_lshrrev_b32 v5, 4, v4
	v_cmp_gt_u32_e32 vcc_lo, 0x8000000, v4
	s_delay_alu instid0(VALU_DEP_2) | instskip(NEXT) | instid1(VALU_DEP_1)
	v_or_b32_e32 v5, 0x70000000, v5
	v_mul_f32_e32 v5, 0x7800000, v5
	s_delay_alu instid0(VALU_DEP_1) | instskip(NEXT) | instid1(VALU_DEP_1)
	v_cndmask_b32_e32 v4, v5, v13, vcc_lo
	v_and_or_b32 v3, 0x80000000, v3, v4
	v_bfe_u32 v4, v4, 16, 1
	s_delay_alu instid0(VALU_DEP_2) | instskip(NEXT) | instid1(VALU_DEP_2)
	v_cmp_o_f32_e32 vcc_lo, v3, v3
	v_add3_u32 v4, v3, v4, 0x7fff
	s_delay_alu instid0(VALU_DEP_1) | instskip(NEXT) | instid1(VALU_DEP_1)
	v_lshrrev_b32_e32 v4, 16, v4
	v_cndmask_b32_e32 v4, 0x7fc0, v4, vcc_lo
.LBB166_2560:
	s_mov_b32 s8, 0
	s_mov_b32 s10, -1
.LBB166_2561:
	s_and_not1_b32 vcc_lo, exec_lo, s8
	s_mov_b32 s8, 0
	s_cbranch_vccnz .LBB166_2572
; %bb.2562:
	s_cmp_gt_i32 s4, 14
	s_cbranch_scc0 .LBB166_2565
; %bb.2563:
	s_cmp_eq_u32 s4, 15
	s_cbranch_scc0 .LBB166_2568
; %bb.2564:
	s_wait_loadcnt 0x0
	global_load_u16 v4, v[0:1], off
	s_mov_b32 s5, 0
	s_mov_b32 s10, -1
	s_branch .LBB166_2570
.LBB166_2565:
	s_mov_b32 s8, -1
	s_branch .LBB166_2569
.LBB166_2566:
	s_or_saveexec_b32 s10, s10
	v_mov_b32_e32 v4, 0x7f800001
	s_xor_b32 exec_lo, exec_lo, s10
	s_cbranch_execz .LBB166_2547
.LBB166_2567:
	v_cmp_ne_u16_e32 vcc_lo, 0, v3
	v_mov_b32_e32 v4, 0
	s_and_not1_b32 s8, s8, exec_lo
	s_and_b32 s15, vcc_lo, exec_lo
	s_delay_alu instid0(SALU_CYCLE_1)
	s_or_b32 s8, s8, s15
	s_or_b32 exec_lo, exec_lo, s10
	s_and_saveexec_b32 s10, s8
	s_cbranch_execnz .LBB166_2548
	s_branch .LBB166_2549
.LBB166_2568:
	s_mov_b32 s5, -1
.LBB166_2569:
                                        ; implicit-def: $vgpr4
.LBB166_2570:
	s_and_b32 vcc_lo, exec_lo, s8
	s_mov_b32 s8, 0
	s_cbranch_vccz .LBB166_2572
; %bb.2571:
	s_cmp_lg_u32 s4, 11
	s_mov_b32 s8, -1
	s_cselect_b32 s5, -1, 0
.LBB166_2572:
	s_delay_alu instid0(SALU_CYCLE_1)
	s_and_b32 vcc_lo, exec_lo, s5
	s_cbranch_vccnz .LBB166_2637
; %bb.2573:
	s_and_not1_b32 vcc_lo, exec_lo, s8
	s_cbranch_vccnz .LBB166_2575
.LBB166_2574:
	global_load_u8 v3, v[0:1], off
	s_mov_b32 s10, -1
	s_wait_loadcnt 0x0
	v_cmp_ne_u16_e32 vcc_lo, 0, v3
	v_cndmask_b32_e64 v3, 0, 1.0, vcc_lo
	s_wait_xcnt 0x1
	s_delay_alu instid0(VALU_DEP_1)
	v_lshrrev_b32_e32 v4, 16, v3
.LBB166_2575:
	s_mov_b32 s4, 0
.LBB166_2576:
	s_delay_alu instid0(SALU_CYCLE_1)
	s_and_b32 vcc_lo, exec_lo, s4
	s_cbranch_vccz .LBB166_2625
; %bb.2577:
	s_and_b32 s4, 0xffff, s13
	s_delay_alu instid0(SALU_CYCLE_1)
	s_cmp_lt_i32 s4, 5
	s_cbranch_scc1 .LBB166_2582
; %bb.2578:
	s_cmp_lt_i32 s4, 8
	s_cbranch_scc1 .LBB166_2583
; %bb.2579:
	;; [unrolled: 3-line block ×3, first 2 shown]
	s_cmp_gt_i32 s4, 9
	s_cbranch_scc0 .LBB166_2585
; %bb.2581:
	s_wait_loadcnt 0x0
	global_load_b64 v[4:5], v[0:1], off
	s_mov_b32 s5, 0
	s_wait_loadcnt 0x0
	v_cvt_f32_f64_e32 v3, v[4:5]
	s_delay_alu instid0(VALU_DEP_1) | instskip(SKIP_1) | instid1(VALU_DEP_2)
	v_bfe_u32 v4, v3, 16, 1
	v_cmp_o_f32_e32 vcc_lo, v3, v3
	v_add3_u32 v4, v3, v4, 0x7fff
	s_delay_alu instid0(VALU_DEP_1) | instskip(NEXT) | instid1(VALU_DEP_1)
	v_lshrrev_b32_e32 v4, 16, v4
	v_cndmask_b32_e32 v4, 0x7fc0, v4, vcc_lo
	s_branch .LBB166_2586
.LBB166_2582:
	s_mov_b32 s5, -1
                                        ; implicit-def: $vgpr4
	s_branch .LBB166_2604
.LBB166_2583:
	s_mov_b32 s5, -1
                                        ; implicit-def: $vgpr4
	s_branch .LBB166_2592
.LBB166_2584:
	s_mov_b32 s5, -1
                                        ; implicit-def: $vgpr4
	s_branch .LBB166_2589
.LBB166_2585:
	s_mov_b32 s5, -1
                                        ; implicit-def: $vgpr4
.LBB166_2586:
	s_delay_alu instid0(SALU_CYCLE_1)
	s_and_not1_b32 vcc_lo, exec_lo, s5
	s_cbranch_vccnz .LBB166_2588
; %bb.2587:
	global_load_b32 v3, v[0:1], off
	s_wait_loadcnt 0x0
	s_wait_xcnt 0x1
	v_bfe_u32 v4, v3, 16, 1
	v_cmp_o_f32_e32 vcc_lo, v3, v3
	s_delay_alu instid0(VALU_DEP_2) | instskip(NEXT) | instid1(VALU_DEP_1)
	v_add3_u32 v4, v3, v4, 0x7fff
	v_lshrrev_b32_e32 v4, 16, v4
	s_delay_alu instid0(VALU_DEP_1)
	v_cndmask_b32_e32 v4, 0x7fc0, v4, vcc_lo
.LBB166_2588:
	s_mov_b32 s5, 0
.LBB166_2589:
	s_delay_alu instid0(SALU_CYCLE_1)
	s_and_not1_b32 vcc_lo, exec_lo, s5
	s_cbranch_vccnz .LBB166_2591
; %bb.2590:
	global_load_b32 v3, v[0:1], off
	s_wait_loadcnt 0x0
	s_wait_xcnt 0x1
	v_cvt_f32_f16_e32 v4, v3
	v_cmp_o_f16_e32 vcc_lo, v3, v3
	s_delay_alu instid0(VALU_DEP_2) | instskip(NEXT) | instid1(VALU_DEP_1)
	v_bfe_u32 v5, v4, 16, 1
	v_add3_u32 v4, v4, v5, 0x7fff
	s_delay_alu instid0(VALU_DEP_1) | instskip(NEXT) | instid1(VALU_DEP_1)
	v_lshrrev_b32_e32 v4, 16, v4
	v_cndmask_b32_e32 v4, 0x7fc0, v4, vcc_lo
.LBB166_2591:
	s_mov_b32 s5, 0
.LBB166_2592:
	s_delay_alu instid0(SALU_CYCLE_1)
	s_and_not1_b32 vcc_lo, exec_lo, s5
	s_cbranch_vccnz .LBB166_2603
; %bb.2593:
	s_cmp_lt_i32 s4, 6
	s_cbranch_scc1 .LBB166_2596
; %bb.2594:
	s_cmp_gt_i32 s4, 6
	s_cbranch_scc0 .LBB166_2597
; %bb.2595:
	s_wait_loadcnt 0x0
	global_load_b64 v[4:5], v[0:1], off
	s_mov_b32 s5, 0
	s_wait_loadcnt 0x0
	v_cvt_f32_f64_e32 v3, v[4:5]
	s_delay_alu instid0(VALU_DEP_1) | instskip(SKIP_1) | instid1(VALU_DEP_2)
	v_bfe_u32 v4, v3, 16, 1
	v_cmp_o_f32_e32 vcc_lo, v3, v3
	v_add3_u32 v4, v3, v4, 0x7fff
	s_delay_alu instid0(VALU_DEP_1) | instskip(NEXT) | instid1(VALU_DEP_1)
	v_lshrrev_b32_e32 v4, 16, v4
	v_cndmask_b32_e32 v4, 0x7fc0, v4, vcc_lo
	s_branch .LBB166_2598
.LBB166_2596:
	s_mov_b32 s5, -1
                                        ; implicit-def: $vgpr4
	s_branch .LBB166_2601
.LBB166_2597:
	s_mov_b32 s5, -1
                                        ; implicit-def: $vgpr4
.LBB166_2598:
	s_delay_alu instid0(SALU_CYCLE_1)
	s_and_not1_b32 vcc_lo, exec_lo, s5
	s_cbranch_vccnz .LBB166_2600
; %bb.2599:
	global_load_b32 v3, v[0:1], off
	s_wait_loadcnt 0x0
	s_wait_xcnt 0x1
	v_bfe_u32 v4, v3, 16, 1
	v_cmp_o_f32_e32 vcc_lo, v3, v3
	s_delay_alu instid0(VALU_DEP_2) | instskip(NEXT) | instid1(VALU_DEP_1)
	v_add3_u32 v4, v3, v4, 0x7fff
	v_lshrrev_b32_e32 v4, 16, v4
	s_delay_alu instid0(VALU_DEP_1)
	v_cndmask_b32_e32 v4, 0x7fc0, v4, vcc_lo
.LBB166_2600:
	s_mov_b32 s5, 0
.LBB166_2601:
	s_delay_alu instid0(SALU_CYCLE_1)
	s_and_not1_b32 vcc_lo, exec_lo, s5
	s_cbranch_vccnz .LBB166_2603
; %bb.2602:
	global_load_u16 v3, v[0:1], off
	s_wait_loadcnt 0x0
	s_wait_xcnt 0x1
	v_cvt_f32_f16_e32 v4, v3
	v_cmp_o_f16_e32 vcc_lo, v3, v3
	s_delay_alu instid0(VALU_DEP_2) | instskip(NEXT) | instid1(VALU_DEP_1)
	v_bfe_u32 v5, v4, 16, 1
	v_add3_u32 v4, v4, v5, 0x7fff
	s_delay_alu instid0(VALU_DEP_1) | instskip(NEXT) | instid1(VALU_DEP_1)
	v_lshrrev_b32_e32 v4, 16, v4
	v_cndmask_b32_e32 v4, 0x7fc0, v4, vcc_lo
.LBB166_2603:
	s_mov_b32 s5, 0
.LBB166_2604:
	s_delay_alu instid0(SALU_CYCLE_1)
	s_and_not1_b32 vcc_lo, exec_lo, s5
	s_cbranch_vccnz .LBB166_2624
; %bb.2605:
	s_cmp_lt_i32 s4, 2
	s_cbranch_scc1 .LBB166_2609
; %bb.2606:
	s_cmp_lt_i32 s4, 3
	s_cbranch_scc1 .LBB166_2610
; %bb.2607:
	s_cmp_gt_i32 s4, 3
	s_cbranch_scc0 .LBB166_2611
; %bb.2608:
	s_wait_loadcnt 0x0
	global_load_b64 v[4:5], v[0:1], off
	s_mov_b32 s5, 0
	s_wait_loadcnt 0x0
	v_xor_b32_e32 v3, v4, v5
	v_cls_i32_e32 v13, v5
	s_delay_alu instid0(VALU_DEP_2) | instskip(NEXT) | instid1(VALU_DEP_1)
	v_ashrrev_i32_e32 v3, 31, v3
	v_add_nc_u32_e32 v3, 32, v3
	s_delay_alu instid0(VALU_DEP_1) | instskip(NEXT) | instid1(VALU_DEP_1)
	v_add_min_u32_e64 v3, v13, -1, v3
	v_lshlrev_b64_e32 v[4:5], v3, v[4:5]
	v_sub_nc_u32_e32 v3, 32, v3
	s_delay_alu instid0(VALU_DEP_2) | instskip(NEXT) | instid1(VALU_DEP_1)
	v_min_u32_e32 v4, 1, v4
	v_or_b32_e32 v4, v5, v4
	s_delay_alu instid0(VALU_DEP_1) | instskip(NEXT) | instid1(VALU_DEP_1)
	v_cvt_f32_i32_e32 v4, v4
	v_ldexp_f32 v3, v4, v3
	s_delay_alu instid0(VALU_DEP_1) | instskip(NEXT) | instid1(VALU_DEP_1)
	v_bfe_u32 v4, v3, 16, 1
	v_add3_u32 v3, v3, v4, 0x7fff
	s_delay_alu instid0(VALU_DEP_1)
	v_lshrrev_b32_e32 v4, 16, v3
	s_branch .LBB166_2612
.LBB166_2609:
	s_mov_b32 s5, -1
                                        ; implicit-def: $vgpr4
	s_branch .LBB166_2618
.LBB166_2610:
	s_mov_b32 s5, -1
                                        ; implicit-def: $vgpr4
	s_branch .LBB166_2615
.LBB166_2611:
	s_mov_b32 s5, -1
                                        ; implicit-def: $vgpr4
.LBB166_2612:
	s_delay_alu instid0(SALU_CYCLE_1)
	s_and_not1_b32 vcc_lo, exec_lo, s5
	s_cbranch_vccnz .LBB166_2614
; %bb.2613:
	global_load_b32 v3, v[0:1], off
	s_wait_loadcnt 0x0
	v_cvt_f32_i32_e32 v3, v3
	s_wait_xcnt 0x1
	s_delay_alu instid0(VALU_DEP_1) | instskip(NEXT) | instid1(VALU_DEP_1)
	v_bfe_u32 v4, v3, 16, 1
	v_add3_u32 v3, v3, v4, 0x7fff
	s_delay_alu instid0(VALU_DEP_1)
	v_lshrrev_b32_e32 v4, 16, v3
.LBB166_2614:
	s_mov_b32 s5, 0
.LBB166_2615:
	s_delay_alu instid0(SALU_CYCLE_1)
	s_and_not1_b32 vcc_lo, exec_lo, s5
	s_cbranch_vccnz .LBB166_2617
; %bb.2616:
	global_load_i16 v3, v[0:1], off
	s_wait_loadcnt 0x0
	v_cvt_f32_i32_e32 v3, v3
	s_wait_xcnt 0x1
	s_delay_alu instid0(VALU_DEP_1) | instskip(NEXT) | instid1(VALU_DEP_1)
	v_bfe_u32 v4, v3, 16, 1
	v_add3_u32 v3, v3, v4, 0x7fff
	s_delay_alu instid0(VALU_DEP_1)
	v_lshrrev_b32_e32 v4, 16, v3
.LBB166_2617:
	s_mov_b32 s5, 0
.LBB166_2618:
	s_delay_alu instid0(SALU_CYCLE_1)
	s_and_not1_b32 vcc_lo, exec_lo, s5
	s_cbranch_vccnz .LBB166_2624
; %bb.2619:
	s_cmp_gt_i32 s4, 0
	s_mov_b32 s4, 0
	s_cbranch_scc0 .LBB166_2621
; %bb.2620:
	global_load_i8 v3, v[0:1], off
	s_wait_loadcnt 0x0
	v_cvt_f32_i32_e32 v3, v3
	s_wait_xcnt 0x1
	s_delay_alu instid0(VALU_DEP_1) | instskip(NEXT) | instid1(VALU_DEP_1)
	v_bfe_u32 v4, v3, 16, 1
	v_add3_u32 v3, v3, v4, 0x7fff
	s_delay_alu instid0(VALU_DEP_1)
	v_lshrrev_b32_e32 v4, 16, v3
	s_branch .LBB166_2622
.LBB166_2621:
	s_mov_b32 s4, -1
                                        ; implicit-def: $vgpr4
.LBB166_2622:
	s_delay_alu instid0(SALU_CYCLE_1)
	s_and_not1_b32 vcc_lo, exec_lo, s4
	s_cbranch_vccnz .LBB166_2624
; %bb.2623:
	global_load_u8 v0, v[0:1], off
	s_wait_loadcnt 0x0
	v_cvt_f32_ubyte0_e32 v0, v0
	s_delay_alu instid0(VALU_DEP_1) | instskip(NEXT) | instid1(VALU_DEP_1)
	v_bfe_u32 v1, v0, 16, 1
	v_add3_u32 v0, v0, v1, 0x7fff
	s_delay_alu instid0(VALU_DEP_1)
	v_lshrrev_b32_e32 v4, 16, v0
.LBB166_2624:
	s_mov_b32 s10, -1
.LBB166_2625:
	s_delay_alu instid0(SALU_CYCLE_1)
	s_and_not1_b32 vcc_lo, exec_lo, s10
	s_cbranch_vccnz .LBB166_3190
; %bb.2626:
	s_wait_xcnt 0x0
	v_add_nc_u32_e32 v0, s9, v2
	s_cmp_lt_i32 s0, 11
	s_delay_alu instid0(VALU_DEP_1) | instskip(NEXT) | instid1(VALU_DEP_1)
	v_ashrrev_i32_e32 v1, 31, v0
	v_add_nc_u64_e32 v[0:1], s[6:7], v[0:1]
	s_cbranch_scc1 .LBB166_2633
; %bb.2627:
	s_cmp_gt_i32 s0, 25
	s_mov_b32 s5, 0
	s_cbranch_scc0 .LBB166_2634
; %bb.2628:
	s_cmp_gt_i32 s0, 28
	s_cbranch_scc0 .LBB166_2635
; %bb.2629:
	s_cmp_gt_i32 s0, 43
	;; [unrolled: 3-line block ×3, first 2 shown]
	s_cbranch_scc0 .LBB166_2638
; %bb.2631:
	s_cmp_eq_u32 s0, 46
	s_mov_b32 s7, 0
	s_cbranch_scc0 .LBB166_2639
; %bb.2632:
	global_load_b32 v5, v[0:1], off
	s_mov_b32 s4, 0
	s_mov_b32 s6, -1
	s_branch .LBB166_2641
.LBB166_2633:
	s_mov_b32 s4, -1
	s_mov_b32 s6, 0
                                        ; implicit-def: $vgpr5
	s_branch .LBB166_2707
.LBB166_2634:
	s_mov_b32 s7, -1
	s_mov_b32 s6, 0
	s_mov_b32 s4, 0
                                        ; implicit-def: $vgpr5
	s_branch .LBB166_2670
.LBB166_2635:
	s_mov_b32 s7, -1
	s_mov_b32 s6, 0
	s_mov_b32 s4, 0
                                        ; implicit-def: $vgpr5
	s_branch .LBB166_2651
.LBB166_2636:
	s_mov_b32 s7, -1
	s_mov_b32 s6, 0
	s_mov_b32 s4, 0
                                        ; implicit-def: $vgpr5
	s_branch .LBB166_2646
.LBB166_2637:
	s_or_b32 s14, s14, exec_lo
	s_trap 2
	s_cbranch_execz .LBB166_2574
	s_branch .LBB166_2575
.LBB166_2638:
	s_mov_b32 s7, -1
	s_mov_b32 s6, 0
	s_mov_b32 s4, 0
	s_branch .LBB166_2640
.LBB166_2639:
	s_mov_b32 s4, -1
	s_mov_b32 s6, 0
.LBB166_2640:
                                        ; implicit-def: $vgpr5
.LBB166_2641:
	s_and_b32 vcc_lo, exec_lo, s7
	s_cbranch_vccz .LBB166_2645
; %bb.2642:
	s_cmp_eq_u32 s0, 44
	s_cbranch_scc0 .LBB166_2644
; %bb.2643:
	global_load_u8 v2, v[0:1], off
	s_mov_b32 s4, 0
	s_mov_b32 s6, -1
	s_wait_loadcnt 0x0
	v_lshlrev_b32_e32 v3, 23, v2
	v_cmp_ne_u32_e32 vcc_lo, 0xff, v2
	s_delay_alu instid0(VALU_DEP_2) | instskip(SKIP_1) | instid1(VALU_DEP_2)
	v_cndmask_b32_e32 v3, 0x7f800001, v3, vcc_lo
	v_cmp_ne_u32_e32 vcc_lo, 0, v2
	v_cndmask_b32_e32 v2, 0x400000, v3, vcc_lo
	s_delay_alu instid0(VALU_DEP_1) | instskip(NEXT) | instid1(VALU_DEP_1)
	v_add_nc_u32_e32 v3, 0x7fff, v2
	v_lshrrev_b32_e32 v3, 16, v3
	v_cmp_o_f32_e32 vcc_lo, v2, v2
	s_delay_alu instid0(VALU_DEP_2)
	v_cndmask_b32_e32 v5, 0x7fc0, v3, vcc_lo
	s_branch .LBB166_2645
.LBB166_2644:
	s_mov_b32 s4, -1
                                        ; implicit-def: $vgpr5
.LBB166_2645:
	s_mov_b32 s7, 0
.LBB166_2646:
	s_delay_alu instid0(SALU_CYCLE_1)
	s_and_b32 vcc_lo, exec_lo, s7
	s_cbranch_vccz .LBB166_2650
; %bb.2647:
	s_cmp_eq_u32 s0, 29
	s_cbranch_scc0 .LBB166_2649
; %bb.2648:
	global_load_b64 v[2:3], v[0:1], off
	s_mov_b32 s4, 0
	s_mov_b32 s6, -1
	s_mov_b32 s7, 0
	s_wait_loadcnt 0x0
	v_clz_i32_u32_e32 v5, v3
	s_delay_alu instid0(VALU_DEP_1) | instskip(NEXT) | instid1(VALU_DEP_1)
	v_min_u32_e32 v5, 32, v5
	v_lshlrev_b64_e32 v[2:3], v5, v[2:3]
	s_delay_alu instid0(VALU_DEP_1) | instskip(NEXT) | instid1(VALU_DEP_1)
	v_min_u32_e32 v2, 1, v2
	v_dual_sub_nc_u32 v3, 32, v5 :: v_dual_bitop2_b32 v2, v3, v2 bitop3:0x54
	s_delay_alu instid0(VALU_DEP_1) | instskip(NEXT) | instid1(VALU_DEP_1)
	v_cvt_f32_u32_e32 v2, v2
	v_ldexp_f32 v2, v2, v3
	s_delay_alu instid0(VALU_DEP_1) | instskip(NEXT) | instid1(VALU_DEP_1)
	v_bfe_u32 v3, v2, 16, 1
	v_add3_u32 v2, v2, v3, 0x7fff
	s_delay_alu instid0(VALU_DEP_1)
	v_lshrrev_b32_e32 v5, 16, v2
	s_branch .LBB166_2651
.LBB166_2649:
	s_mov_b32 s4, -1
                                        ; implicit-def: $vgpr5
.LBB166_2650:
	s_mov_b32 s7, 0
.LBB166_2651:
	s_delay_alu instid0(SALU_CYCLE_1)
	s_and_b32 vcc_lo, exec_lo, s7
	s_cbranch_vccz .LBB166_2669
; %bb.2652:
	s_cmp_lt_i32 s0, 27
	s_cbranch_scc1 .LBB166_2655
; %bb.2653:
	s_cmp_gt_i32 s0, 27
	s_cbranch_scc0 .LBB166_2656
; %bb.2654:
	global_load_b32 v2, v[0:1], off
	s_mov_b32 s6, 0
	s_wait_loadcnt 0x0
	v_cvt_f32_u32_e32 v2, v2
	s_delay_alu instid0(VALU_DEP_1) | instskip(NEXT) | instid1(VALU_DEP_1)
	v_bfe_u32 v3, v2, 16, 1
	v_add3_u32 v2, v2, v3, 0x7fff
	s_delay_alu instid0(VALU_DEP_1)
	v_lshrrev_b32_e32 v5, 16, v2
	s_branch .LBB166_2657
.LBB166_2655:
	s_mov_b32 s6, -1
                                        ; implicit-def: $vgpr5
	s_branch .LBB166_2660
.LBB166_2656:
	s_mov_b32 s6, -1
                                        ; implicit-def: $vgpr5
.LBB166_2657:
	s_delay_alu instid0(SALU_CYCLE_1)
	s_and_not1_b32 vcc_lo, exec_lo, s6
	s_cbranch_vccnz .LBB166_2659
; %bb.2658:
	global_load_u16 v2, v[0:1], off
	s_wait_loadcnt 0x0
	v_cvt_f32_u32_e32 v2, v2
	s_delay_alu instid0(VALU_DEP_1) | instskip(NEXT) | instid1(VALU_DEP_1)
	v_bfe_u32 v3, v2, 16, 1
	v_add3_u32 v2, v2, v3, 0x7fff
	s_delay_alu instid0(VALU_DEP_1)
	v_lshrrev_b32_e32 v5, 16, v2
.LBB166_2659:
	s_mov_b32 s6, 0
.LBB166_2660:
	s_delay_alu instid0(SALU_CYCLE_1)
	s_and_not1_b32 vcc_lo, exec_lo, s6
	s_cbranch_vccnz .LBB166_2668
; %bb.2661:
	global_load_u8 v2, v[0:1], off
	s_mov_b32 s6, 0
	s_mov_b32 s7, exec_lo
	s_wait_loadcnt 0x0
	v_cmpx_lt_i16_e32 0x7f, v2
	s_xor_b32 s7, exec_lo, s7
	s_cbranch_execz .LBB166_2682
; %bb.2662:
	s_mov_b32 s6, -1
	s_mov_b32 s8, exec_lo
	v_cmpx_eq_u16_e32 0x80, v2
; %bb.2663:
	s_xor_b32 s6, exec_lo, -1
; %bb.2664:
	s_or_b32 exec_lo, exec_lo, s8
	s_delay_alu instid0(SALU_CYCLE_1)
	s_and_b32 s6, s6, exec_lo
	s_or_saveexec_b32 s7, s7
	v_mov_b32_e32 v3, 0x7f800001
	s_xor_b32 exec_lo, exec_lo, s7
	s_cbranch_execnz .LBB166_2683
.LBB166_2665:
	s_or_b32 exec_lo, exec_lo, s7
	s_and_saveexec_b32 s7, s6
	s_cbranch_execz .LBB166_2667
.LBB166_2666:
	v_and_b32_e32 v3, 0xffff, v2
	s_delay_alu instid0(VALU_DEP_1) | instskip(SKIP_1) | instid1(VALU_DEP_2)
	v_and_b32_e32 v5, 7, v3
	v_bfe_u32 v15, v3, 3, 4
	v_clz_i32_u32_e32 v13, v5
	s_delay_alu instid0(VALU_DEP_2) | instskip(NEXT) | instid1(VALU_DEP_2)
	v_cmp_eq_u32_e32 vcc_lo, 0, v15
	v_min_u32_e32 v13, 32, v13
	s_delay_alu instid0(VALU_DEP_1) | instskip(NEXT) | instid1(VALU_DEP_1)
	v_subrev_nc_u32_e32 v14, 28, v13
	v_dual_lshlrev_b32 v3, v14, v3 :: v_dual_sub_nc_u32 v13, 29, v13
	s_delay_alu instid0(VALU_DEP_1) | instskip(NEXT) | instid1(VALU_DEP_1)
	v_dual_lshlrev_b32 v2, 24, v2 :: v_dual_bitop2_b32 v3, 7, v3 bitop3:0x40
	v_dual_cndmask_b32 v13, v15, v13, vcc_lo :: v_dual_cndmask_b32 v3, v5, v3, vcc_lo
	s_delay_alu instid0(VALU_DEP_2) | instskip(NEXT) | instid1(VALU_DEP_2)
	v_and_b32_e32 v2, 0x80000000, v2
	v_lshl_add_u32 v5, v13, 23, 0x3b800000
	s_delay_alu instid0(VALU_DEP_3) | instskip(NEXT) | instid1(VALU_DEP_1)
	v_lshlrev_b32_e32 v3, 20, v3
	v_or3_b32 v3, v2, v5, v3
.LBB166_2667:
	s_or_b32 exec_lo, exec_lo, s7
	s_delay_alu instid0(VALU_DEP_1) | instskip(SKIP_1) | instid1(VALU_DEP_2)
	v_bfe_u32 v2, v3, 16, 1
	v_cmp_o_f32_e32 vcc_lo, v3, v3
	v_add3_u32 v2, v3, v2, 0x7fff
	s_delay_alu instid0(VALU_DEP_1) | instskip(NEXT) | instid1(VALU_DEP_1)
	v_lshrrev_b32_e32 v2, 16, v2
	v_cndmask_b32_e32 v5, 0x7fc0, v2, vcc_lo
.LBB166_2668:
	s_mov_b32 s6, -1
.LBB166_2669:
	s_mov_b32 s7, 0
.LBB166_2670:
	s_delay_alu instid0(SALU_CYCLE_1)
	s_and_b32 vcc_lo, exec_lo, s7
	s_cbranch_vccz .LBB166_2703
; %bb.2671:
	s_cmp_gt_i32 s0, 22
	s_cbranch_scc0 .LBB166_2681
; %bb.2672:
	s_cmp_lt_i32 s0, 24
	s_cbranch_scc1 .LBB166_2684
; %bb.2673:
	s_cmp_gt_i32 s0, 24
	s_cbranch_scc0 .LBB166_2685
; %bb.2674:
	global_load_u8 v2, v[0:1], off
	s_mov_b32 s6, exec_lo
	s_wait_loadcnt 0x0
	v_cmpx_lt_i16_e32 0x7f, v2
	s_xor_b32 s6, exec_lo, s6
	s_cbranch_execz .LBB166_2697
; %bb.2675:
	s_mov_b32 s5, -1
	s_mov_b32 s7, exec_lo
	v_cmpx_eq_u16_e32 0x80, v2
; %bb.2676:
	s_xor_b32 s5, exec_lo, -1
; %bb.2677:
	s_or_b32 exec_lo, exec_lo, s7
	s_delay_alu instid0(SALU_CYCLE_1)
	s_and_b32 s5, s5, exec_lo
	s_or_saveexec_b32 s6, s6
	v_mov_b32_e32 v3, 0x7f800001
	s_xor_b32 exec_lo, exec_lo, s6
	s_cbranch_execnz .LBB166_2698
.LBB166_2678:
	s_or_b32 exec_lo, exec_lo, s6
	s_and_saveexec_b32 s6, s5
	s_cbranch_execz .LBB166_2680
.LBB166_2679:
	v_and_b32_e32 v3, 0xffff, v2
	s_delay_alu instid0(VALU_DEP_1) | instskip(SKIP_1) | instid1(VALU_DEP_2)
	v_and_b32_e32 v5, 3, v3
	v_bfe_u32 v15, v3, 2, 5
	v_clz_i32_u32_e32 v13, v5
	s_delay_alu instid0(VALU_DEP_2) | instskip(NEXT) | instid1(VALU_DEP_2)
	v_cmp_eq_u32_e32 vcc_lo, 0, v15
	v_min_u32_e32 v13, 32, v13
	s_delay_alu instid0(VALU_DEP_1) | instskip(NEXT) | instid1(VALU_DEP_1)
	v_subrev_nc_u32_e32 v14, 29, v13
	v_dual_lshlrev_b32 v3, v14, v3 :: v_dual_sub_nc_u32 v13, 30, v13
	s_delay_alu instid0(VALU_DEP_1) | instskip(NEXT) | instid1(VALU_DEP_1)
	v_dual_lshlrev_b32 v2, 24, v2 :: v_dual_bitop2_b32 v3, 3, v3 bitop3:0x40
	v_dual_cndmask_b32 v13, v15, v13, vcc_lo :: v_dual_cndmask_b32 v3, v5, v3, vcc_lo
	s_delay_alu instid0(VALU_DEP_2) | instskip(NEXT) | instid1(VALU_DEP_2)
	v_and_b32_e32 v2, 0x80000000, v2
	v_lshl_add_u32 v5, v13, 23, 0x37800000
	s_delay_alu instid0(VALU_DEP_3) | instskip(NEXT) | instid1(VALU_DEP_1)
	v_lshlrev_b32_e32 v3, 21, v3
	v_or3_b32 v3, v2, v5, v3
.LBB166_2680:
	s_or_b32 exec_lo, exec_lo, s6
	s_delay_alu instid0(VALU_DEP_1) | instskip(SKIP_2) | instid1(VALU_DEP_2)
	v_bfe_u32 v2, v3, 16, 1
	v_cmp_o_f32_e32 vcc_lo, v3, v3
	s_mov_b32 s5, 0
	v_add3_u32 v2, v3, v2, 0x7fff
	s_delay_alu instid0(VALU_DEP_1) | instskip(NEXT) | instid1(VALU_DEP_1)
	v_lshrrev_b32_e32 v2, 16, v2
	v_cndmask_b32_e32 v5, 0x7fc0, v2, vcc_lo
	s_branch .LBB166_2686
.LBB166_2681:
	s_mov_b32 s5, -1
                                        ; implicit-def: $vgpr5
	s_branch .LBB166_2692
.LBB166_2682:
	s_or_saveexec_b32 s7, s7
	v_mov_b32_e32 v3, 0x7f800001
	s_xor_b32 exec_lo, exec_lo, s7
	s_cbranch_execz .LBB166_2665
.LBB166_2683:
	v_cmp_ne_u16_e32 vcc_lo, 0, v2
	v_mov_b32_e32 v3, 0
	s_and_not1_b32 s6, s6, exec_lo
	s_and_b32 s8, vcc_lo, exec_lo
	s_delay_alu instid0(SALU_CYCLE_1)
	s_or_b32 s6, s6, s8
	s_or_b32 exec_lo, exec_lo, s7
	s_and_saveexec_b32 s7, s6
	s_cbranch_execnz .LBB166_2666
	s_branch .LBB166_2667
.LBB166_2684:
	s_mov_b32 s5, -1
                                        ; implicit-def: $vgpr5
	s_branch .LBB166_2689
.LBB166_2685:
	s_mov_b32 s5, -1
                                        ; implicit-def: $vgpr5
.LBB166_2686:
	s_delay_alu instid0(SALU_CYCLE_1)
	s_and_b32 vcc_lo, exec_lo, s5
	s_cbranch_vccz .LBB166_2688
; %bb.2687:
	global_load_u8 v2, v[0:1], off
	s_wait_loadcnt 0x0
	v_lshlrev_b32_e32 v2, 24, v2
	s_delay_alu instid0(VALU_DEP_1) | instskip(NEXT) | instid1(VALU_DEP_1)
	v_and_b32_e32 v3, 0x7f000000, v2
	v_clz_i32_u32_e32 v5, v3
	v_cmp_ne_u32_e32 vcc_lo, 0, v3
	v_add_nc_u32_e32 v14, 0x1000000, v3
	s_delay_alu instid0(VALU_DEP_3) | instskip(NEXT) | instid1(VALU_DEP_1)
	v_min_u32_e32 v5, 32, v5
	v_sub_nc_u32_e64 v5, v5, 4 clamp
	s_delay_alu instid0(VALU_DEP_1) | instskip(NEXT) | instid1(VALU_DEP_1)
	v_dual_lshlrev_b32 v13, v5, v3 :: v_dual_lshlrev_b32 v5, 23, v5
	v_lshrrev_b32_e32 v13, 4, v13
	s_delay_alu instid0(VALU_DEP_1) | instskip(NEXT) | instid1(VALU_DEP_1)
	v_dual_sub_nc_u32 v5, v13, v5 :: v_dual_ashrrev_i32 v13, 8, v14
	v_add_nc_u32_e32 v5, 0x3c000000, v5
	s_delay_alu instid0(VALU_DEP_1) | instskip(NEXT) | instid1(VALU_DEP_1)
	v_and_or_b32 v5, 0x7f800000, v13, v5
	v_cndmask_b32_e32 v3, 0, v5, vcc_lo
	s_delay_alu instid0(VALU_DEP_1) | instskip(SKIP_1) | instid1(VALU_DEP_2)
	v_and_or_b32 v2, 0x80000000, v2, v3
	v_bfe_u32 v3, v3, 16, 1
	v_cmp_o_f32_e32 vcc_lo, v2, v2
	s_delay_alu instid0(VALU_DEP_2) | instskip(NEXT) | instid1(VALU_DEP_1)
	v_add3_u32 v3, v2, v3, 0x7fff
	v_lshrrev_b32_e32 v3, 16, v3
	s_delay_alu instid0(VALU_DEP_1)
	v_cndmask_b32_e32 v5, 0x7fc0, v3, vcc_lo
.LBB166_2688:
	s_mov_b32 s5, 0
.LBB166_2689:
	s_delay_alu instid0(SALU_CYCLE_1)
	s_and_not1_b32 vcc_lo, exec_lo, s5
	s_cbranch_vccnz .LBB166_2691
; %bb.2690:
	global_load_u8 v2, v[0:1], off
	s_wait_loadcnt 0x0
	v_lshlrev_b32_e32 v3, 25, v2
	v_lshlrev_b16 v2, 8, v2
	s_delay_alu instid0(VALU_DEP_1) | instskip(SKIP_1) | instid1(VALU_DEP_2)
	v_and_or_b32 v13, 0x7f00, v2, 0.5
	v_bfe_i32 v2, v2, 0, 16
	v_dual_add_f32 v13, -0.5, v13 :: v_dual_lshrrev_b32 v5, 4, v3
	v_cmp_gt_u32_e32 vcc_lo, 0x8000000, v3
	s_delay_alu instid0(VALU_DEP_2) | instskip(NEXT) | instid1(VALU_DEP_1)
	v_or_b32_e32 v5, 0x70000000, v5
	v_mul_f32_e32 v5, 0x7800000, v5
	s_delay_alu instid0(VALU_DEP_1) | instskip(NEXT) | instid1(VALU_DEP_1)
	v_cndmask_b32_e32 v3, v5, v13, vcc_lo
	v_and_or_b32 v2, 0x80000000, v2, v3
	v_bfe_u32 v3, v3, 16, 1
	s_delay_alu instid0(VALU_DEP_2) | instskip(NEXT) | instid1(VALU_DEP_2)
	v_cmp_o_f32_e32 vcc_lo, v2, v2
	v_add3_u32 v3, v2, v3, 0x7fff
	s_delay_alu instid0(VALU_DEP_1) | instskip(NEXT) | instid1(VALU_DEP_1)
	v_lshrrev_b32_e32 v3, 16, v3
	v_cndmask_b32_e32 v5, 0x7fc0, v3, vcc_lo
.LBB166_2691:
	s_mov_b32 s5, 0
	s_mov_b32 s6, -1
.LBB166_2692:
	s_and_not1_b32 vcc_lo, exec_lo, s5
	s_mov_b32 s5, 0
	s_cbranch_vccnz .LBB166_2703
; %bb.2693:
	s_cmp_gt_i32 s0, 14
	s_cbranch_scc0 .LBB166_2696
; %bb.2694:
	s_cmp_eq_u32 s0, 15
	s_cbranch_scc0 .LBB166_2699
; %bb.2695:
	s_wait_loadcnt 0x0
	global_load_u16 v5, v[0:1], off
	s_mov_b32 s4, 0
	s_mov_b32 s6, -1
	s_branch .LBB166_2701
.LBB166_2696:
	s_mov_b32 s5, -1
	s_branch .LBB166_2700
.LBB166_2697:
	s_or_saveexec_b32 s6, s6
	v_mov_b32_e32 v3, 0x7f800001
	s_xor_b32 exec_lo, exec_lo, s6
	s_cbranch_execz .LBB166_2678
.LBB166_2698:
	v_cmp_ne_u16_e32 vcc_lo, 0, v2
	v_mov_b32_e32 v3, 0
	s_and_not1_b32 s5, s5, exec_lo
	s_and_b32 s7, vcc_lo, exec_lo
	s_delay_alu instid0(SALU_CYCLE_1)
	s_or_b32 s5, s5, s7
	s_or_b32 exec_lo, exec_lo, s6
	s_and_saveexec_b32 s6, s5
	s_cbranch_execnz .LBB166_2679
	s_branch .LBB166_2680
.LBB166_2699:
	s_mov_b32 s4, -1
.LBB166_2700:
                                        ; implicit-def: $vgpr5
.LBB166_2701:
	s_and_b32 vcc_lo, exec_lo, s5
	s_mov_b32 s5, 0
	s_cbranch_vccz .LBB166_2703
; %bb.2702:
	s_cmp_lg_u32 s0, 11
	s_mov_b32 s5, -1
	s_cselect_b32 s4, -1, 0
.LBB166_2703:
	s_delay_alu instid0(SALU_CYCLE_1)
	s_and_b32 vcc_lo, exec_lo, s4
	s_cbranch_vccnz .LBB166_3236
; %bb.2704:
	s_and_not1_b32 vcc_lo, exec_lo, s5
	s_cbranch_vccnz .LBB166_2706
.LBB166_2705:
	global_load_u8 v2, v[0:1], off
	s_mov_b32 s6, -1
	s_wait_loadcnt 0x0
	v_cmp_ne_u16_e32 vcc_lo, 0, v2
	v_cndmask_b32_e64 v2, 0, 1.0, vcc_lo
	s_delay_alu instid0(VALU_DEP_1)
	v_lshrrev_b32_e32 v5, 16, v2
.LBB166_2706:
	s_mov_b32 s4, 0
.LBB166_2707:
	s_delay_alu instid0(SALU_CYCLE_1)
	s_and_b32 vcc_lo, exec_lo, s4
	s_cbranch_vccz .LBB166_2756
; %bb.2708:
	s_cmp_lt_i32 s0, 5
	s_cbranch_scc1 .LBB166_2713
; %bb.2709:
	s_cmp_lt_i32 s0, 8
	s_cbranch_scc1 .LBB166_2714
	;; [unrolled: 3-line block ×3, first 2 shown]
; %bb.2711:
	s_cmp_gt_i32 s0, 9
	s_cbranch_scc0 .LBB166_2716
; %bb.2712:
	global_load_b64 v[2:3], v[0:1], off
	s_mov_b32 s4, 0
	s_wait_loadcnt 0x0
	v_cvt_f32_f64_e32 v2, v[2:3]
	s_delay_alu instid0(VALU_DEP_1) | instskip(SKIP_1) | instid1(VALU_DEP_2)
	v_bfe_u32 v3, v2, 16, 1
	v_cmp_o_f32_e32 vcc_lo, v2, v2
	v_add3_u32 v3, v2, v3, 0x7fff
	s_delay_alu instid0(VALU_DEP_1) | instskip(NEXT) | instid1(VALU_DEP_1)
	v_lshrrev_b32_e32 v3, 16, v3
	v_cndmask_b32_e32 v5, 0x7fc0, v3, vcc_lo
	s_branch .LBB166_2717
.LBB166_2713:
	s_mov_b32 s4, -1
                                        ; implicit-def: $vgpr5
	s_branch .LBB166_2735
.LBB166_2714:
	s_mov_b32 s4, -1
                                        ; implicit-def: $vgpr5
	s_branch .LBB166_2723
.LBB166_2715:
	s_mov_b32 s4, -1
                                        ; implicit-def: $vgpr5
	s_branch .LBB166_2720
.LBB166_2716:
	s_mov_b32 s4, -1
                                        ; implicit-def: $vgpr5
.LBB166_2717:
	s_delay_alu instid0(SALU_CYCLE_1)
	s_and_not1_b32 vcc_lo, exec_lo, s4
	s_cbranch_vccnz .LBB166_2719
; %bb.2718:
	global_load_b32 v2, v[0:1], off
	s_wait_loadcnt 0x0
	v_bfe_u32 v3, v2, 16, 1
	v_cmp_o_f32_e32 vcc_lo, v2, v2
	s_delay_alu instid0(VALU_DEP_2) | instskip(NEXT) | instid1(VALU_DEP_1)
	v_add3_u32 v3, v2, v3, 0x7fff
	v_lshrrev_b32_e32 v3, 16, v3
	s_delay_alu instid0(VALU_DEP_1)
	v_cndmask_b32_e32 v5, 0x7fc0, v3, vcc_lo
.LBB166_2719:
	s_mov_b32 s4, 0
.LBB166_2720:
	s_delay_alu instid0(SALU_CYCLE_1)
	s_and_not1_b32 vcc_lo, exec_lo, s4
	s_cbranch_vccnz .LBB166_2722
; %bb.2721:
	global_load_b32 v2, v[0:1], off
	s_wait_loadcnt 0x0
	v_cvt_f32_f16_e32 v3, v2
	v_cmp_o_f16_e32 vcc_lo, v2, v2
	s_delay_alu instid0(VALU_DEP_2) | instskip(NEXT) | instid1(VALU_DEP_1)
	v_bfe_u32 v5, v3, 16, 1
	v_add3_u32 v3, v3, v5, 0x7fff
	s_delay_alu instid0(VALU_DEP_1) | instskip(NEXT) | instid1(VALU_DEP_1)
	v_lshrrev_b32_e32 v3, 16, v3
	v_cndmask_b32_e32 v5, 0x7fc0, v3, vcc_lo
.LBB166_2722:
	s_mov_b32 s4, 0
.LBB166_2723:
	s_delay_alu instid0(SALU_CYCLE_1)
	s_and_not1_b32 vcc_lo, exec_lo, s4
	s_cbranch_vccnz .LBB166_2734
; %bb.2724:
	s_cmp_lt_i32 s0, 6
	s_cbranch_scc1 .LBB166_2727
; %bb.2725:
	s_cmp_gt_i32 s0, 6
	s_cbranch_scc0 .LBB166_2728
; %bb.2726:
	global_load_b64 v[2:3], v[0:1], off
	s_mov_b32 s4, 0
	s_wait_loadcnt 0x0
	v_cvt_f32_f64_e32 v2, v[2:3]
	s_delay_alu instid0(VALU_DEP_1) | instskip(SKIP_1) | instid1(VALU_DEP_2)
	v_bfe_u32 v3, v2, 16, 1
	v_cmp_o_f32_e32 vcc_lo, v2, v2
	v_add3_u32 v3, v2, v3, 0x7fff
	s_delay_alu instid0(VALU_DEP_1) | instskip(NEXT) | instid1(VALU_DEP_1)
	v_lshrrev_b32_e32 v3, 16, v3
	v_cndmask_b32_e32 v5, 0x7fc0, v3, vcc_lo
	s_branch .LBB166_2729
.LBB166_2727:
	s_mov_b32 s4, -1
                                        ; implicit-def: $vgpr5
	s_branch .LBB166_2732
.LBB166_2728:
	s_mov_b32 s4, -1
                                        ; implicit-def: $vgpr5
.LBB166_2729:
	s_delay_alu instid0(SALU_CYCLE_1)
	s_and_not1_b32 vcc_lo, exec_lo, s4
	s_cbranch_vccnz .LBB166_2731
; %bb.2730:
	global_load_b32 v2, v[0:1], off
	s_wait_loadcnt 0x0
	v_bfe_u32 v3, v2, 16, 1
	v_cmp_o_f32_e32 vcc_lo, v2, v2
	s_delay_alu instid0(VALU_DEP_2) | instskip(NEXT) | instid1(VALU_DEP_1)
	v_add3_u32 v3, v2, v3, 0x7fff
	v_lshrrev_b32_e32 v3, 16, v3
	s_delay_alu instid0(VALU_DEP_1)
	v_cndmask_b32_e32 v5, 0x7fc0, v3, vcc_lo
.LBB166_2731:
	s_mov_b32 s4, 0
.LBB166_2732:
	s_delay_alu instid0(SALU_CYCLE_1)
	s_and_not1_b32 vcc_lo, exec_lo, s4
	s_cbranch_vccnz .LBB166_2734
; %bb.2733:
	global_load_u16 v2, v[0:1], off
	s_wait_loadcnt 0x0
	v_cvt_f32_f16_e32 v3, v2
	v_cmp_o_f16_e32 vcc_lo, v2, v2
	s_delay_alu instid0(VALU_DEP_2) | instskip(NEXT) | instid1(VALU_DEP_1)
	v_bfe_u32 v5, v3, 16, 1
	v_add3_u32 v3, v3, v5, 0x7fff
	s_delay_alu instid0(VALU_DEP_1) | instskip(NEXT) | instid1(VALU_DEP_1)
	v_lshrrev_b32_e32 v3, 16, v3
	v_cndmask_b32_e32 v5, 0x7fc0, v3, vcc_lo
.LBB166_2734:
	s_mov_b32 s4, 0
.LBB166_2735:
	s_delay_alu instid0(SALU_CYCLE_1)
	s_and_not1_b32 vcc_lo, exec_lo, s4
	s_cbranch_vccnz .LBB166_2755
; %bb.2736:
	s_cmp_lt_i32 s0, 2
	s_cbranch_scc1 .LBB166_2740
; %bb.2737:
	s_cmp_lt_i32 s0, 3
	s_cbranch_scc1 .LBB166_2741
; %bb.2738:
	s_cmp_gt_i32 s0, 3
	s_cbranch_scc0 .LBB166_2742
; %bb.2739:
	global_load_b64 v[2:3], v[0:1], off
	s_mov_b32 s4, 0
	s_wait_loadcnt 0x0
	v_xor_b32_e32 v5, v2, v3
	v_cls_i32_e32 v13, v3
	s_delay_alu instid0(VALU_DEP_2) | instskip(NEXT) | instid1(VALU_DEP_1)
	v_ashrrev_i32_e32 v5, 31, v5
	v_add_nc_u32_e32 v5, 32, v5
	s_delay_alu instid0(VALU_DEP_1) | instskip(NEXT) | instid1(VALU_DEP_1)
	v_add_min_u32_e64 v5, v13, -1, v5
	v_lshlrev_b64_e32 v[2:3], v5, v[2:3]
	s_delay_alu instid0(VALU_DEP_1) | instskip(NEXT) | instid1(VALU_DEP_1)
	v_min_u32_e32 v2, 1, v2
	v_dual_sub_nc_u32 v3, 32, v5 :: v_dual_bitop2_b32 v2, v3, v2 bitop3:0x54
	s_delay_alu instid0(VALU_DEP_1) | instskip(NEXT) | instid1(VALU_DEP_1)
	v_cvt_f32_i32_e32 v2, v2
	v_ldexp_f32 v2, v2, v3
	s_delay_alu instid0(VALU_DEP_1) | instskip(NEXT) | instid1(VALU_DEP_1)
	v_bfe_u32 v3, v2, 16, 1
	v_add3_u32 v2, v2, v3, 0x7fff
	s_delay_alu instid0(VALU_DEP_1)
	v_lshrrev_b32_e32 v5, 16, v2
	s_branch .LBB166_2743
.LBB166_2740:
	s_mov_b32 s4, -1
                                        ; implicit-def: $vgpr5
	s_branch .LBB166_2749
.LBB166_2741:
	s_mov_b32 s4, -1
                                        ; implicit-def: $vgpr5
	s_branch .LBB166_2746
.LBB166_2742:
	s_mov_b32 s4, -1
                                        ; implicit-def: $vgpr5
.LBB166_2743:
	s_delay_alu instid0(SALU_CYCLE_1)
	s_and_not1_b32 vcc_lo, exec_lo, s4
	s_cbranch_vccnz .LBB166_2745
; %bb.2744:
	global_load_b32 v2, v[0:1], off
	s_wait_loadcnt 0x0
	v_cvt_f32_i32_e32 v2, v2
	s_delay_alu instid0(VALU_DEP_1) | instskip(NEXT) | instid1(VALU_DEP_1)
	v_bfe_u32 v3, v2, 16, 1
	v_add3_u32 v2, v2, v3, 0x7fff
	s_delay_alu instid0(VALU_DEP_1)
	v_lshrrev_b32_e32 v5, 16, v2
.LBB166_2745:
	s_mov_b32 s4, 0
.LBB166_2746:
	s_delay_alu instid0(SALU_CYCLE_1)
	s_and_not1_b32 vcc_lo, exec_lo, s4
	s_cbranch_vccnz .LBB166_2748
; %bb.2747:
	global_load_i16 v2, v[0:1], off
	s_wait_loadcnt 0x0
	v_cvt_f32_i32_e32 v2, v2
	s_delay_alu instid0(VALU_DEP_1) | instskip(NEXT) | instid1(VALU_DEP_1)
	v_bfe_u32 v3, v2, 16, 1
	v_add3_u32 v2, v2, v3, 0x7fff
	s_delay_alu instid0(VALU_DEP_1)
	v_lshrrev_b32_e32 v5, 16, v2
.LBB166_2748:
	s_mov_b32 s4, 0
.LBB166_2749:
	s_delay_alu instid0(SALU_CYCLE_1)
	s_and_not1_b32 vcc_lo, exec_lo, s4
	s_cbranch_vccnz .LBB166_2755
; %bb.2750:
	s_cmp_gt_i32 s0, 0
	s_mov_b32 s0, 0
	s_cbranch_scc0 .LBB166_2752
; %bb.2751:
	global_load_i8 v2, v[0:1], off
	s_wait_loadcnt 0x0
	v_cvt_f32_i32_e32 v2, v2
	s_delay_alu instid0(VALU_DEP_1) | instskip(NEXT) | instid1(VALU_DEP_1)
	v_bfe_u32 v3, v2, 16, 1
	v_add3_u32 v2, v2, v3, 0x7fff
	s_delay_alu instid0(VALU_DEP_1)
	v_lshrrev_b32_e32 v5, 16, v2
	s_branch .LBB166_2753
.LBB166_2752:
	s_mov_b32 s0, -1
                                        ; implicit-def: $vgpr5
.LBB166_2753:
	s_delay_alu instid0(SALU_CYCLE_1)
	s_and_not1_b32 vcc_lo, exec_lo, s0
	s_cbranch_vccnz .LBB166_2755
; %bb.2754:
	global_load_u8 v0, v[0:1], off
	s_wait_loadcnt 0x0
	v_cvt_f32_ubyte0_e32 v0, v0
	s_delay_alu instid0(VALU_DEP_1) | instskip(NEXT) | instid1(VALU_DEP_1)
	v_bfe_u32 v1, v0, 16, 1
	v_add3_u32 v0, v0, v1, 0x7fff
	s_delay_alu instid0(VALU_DEP_1)
	v_lshrrev_b32_e32 v5, 16, v0
.LBB166_2755:
	s_mov_b32 s6, -1
.LBB166_2756:
	s_delay_alu instid0(SALU_CYCLE_1)
	s_and_not1_b32 vcc_lo, exec_lo, s6
	s_cbranch_vccnz .LBB166_3190
; %bb.2757:
	s_wait_loadcnt 0x0
	v_dual_lshlrev_b32 v0, 16, v7 :: v_dual_lshlrev_b32 v2, 16, v8
	s_lshl_b32 s0, s1, 16
	s_and_b32 s18, s12, 0xff
	s_delay_alu instid0(SALU_CYCLE_1) | instskip(NEXT) | instid1(VALU_DEP_1)
	s_cmp_lt_i32 s18, 11
	v_mul_f32_e32 v0, s0, v0
	s_delay_alu instid0(VALU_DEP_1) | instskip(SKIP_1) | instid1(VALU_DEP_2)
	v_bfe_u32 v1, v0, 16, 1
	v_cmp_o_f32_e32 vcc_lo, v0, v0
	v_add3_u32 v1, v0, v1, 0x7fff
	s_delay_alu instid0(VALU_DEP_1) | instskip(NEXT) | instid1(VALU_DEP_1)
	v_and_b32_e32 v1, 0xffff0000, v1
	v_cndmask_b32_e32 v0, 0x7fc00000, v1, vcc_lo
	s_delay_alu instid0(VALU_DEP_1) | instskip(SKIP_2) | instid1(VALU_DEP_3)
	v_mul_f32_e32 v7, v0, v2
	v_mul_lo_u32 v0, s11, v6
	v_mov_b32_e32 v6, s0
	v_bfe_u32 v1, v7, 16, 1
	s_delay_alu instid0(VALU_DEP_1) | instskip(NEXT) | instid1(VALU_DEP_4)
	v_add3_u32 v2, v7, v1, 0x7fff
	v_ashrrev_i32_e32 v1, 31, v0
	v_cmp_o_f32_e32 vcc_lo, v7, v7
	s_delay_alu instid0(VALU_DEP_3) | instskip(NEXT) | instid1(VALU_DEP_3)
	v_lshrrev_b32_e32 v8, 16, v2
	v_add_nc_u64_e32 v[2:3], s[2:3], v[0:1]
	s_delay_alu instid0(VALU_DEP_2)
	v_cndmask_b32_e32 v1, 0x7fc0, v8, vcc_lo
	s_cbranch_scc1 .LBB166_2835
; %bb.2758:
	s_and_b32 s1, 0xffff, s18
	s_mov_b32 s6, -1
	s_mov_b32 s4, 0
	s_cmp_gt_i32 s1, 25
	s_mov_b32 s5, 0
	s_mov_b32 s0, 0
	s_cbranch_scc0 .LBB166_2791
; %bb.2759:
	s_cmp_gt_i32 s1, 28
	s_cbranch_scc0 .LBB166_2774
; %bb.2760:
	s_cmp_gt_i32 s1, 43
	s_cbranch_scc0 .LBB166_2770
; %bb.2761:
	s_cmp_gt_i32 s1, 45
	s_cbranch_scc0 .LBB166_2764
; %bb.2762:
	s_mov_b32 s0, -1
	s_mov_b32 s6, 0
	s_cmp_eq_u32 s1, 46
	s_cbranch_scc0 .LBB166_2764
; %bb.2763:
	v_and_b32_e32 v7, 0xffff, v1
	s_mov_b32 s0, 0
	s_mov_b32 s5, -1
	global_store_b32 v[2:3], v7, off
.LBB166_2764:
	s_and_b32 vcc_lo, exec_lo, s6
	s_cbranch_vccz .LBB166_2769
; %bb.2765:
	s_cmp_eq_u32 s1, 44
	s_mov_b32 s0, -1
	s_cbranch_scc0 .LBB166_2769
; %bb.2766:
	s_wait_xcnt 0x0
	v_and_b32_e32 v7, 0xffff, v1
	v_mov_b32_e32 v8, 0xff
	s_mov_b32 s5, exec_lo
	s_delay_alu instid0(VALU_DEP_2) | instskip(NEXT) | instid1(VALU_DEP_1)
	v_bfe_u32 v13, v7, 7, 8
	v_cmpx_ne_u32_e32 0xff, v13
	s_cbranch_execz .LBB166_2768
; %bb.2767:
	v_dual_lshlrev_b32 v8, 16, v7 :: v_dual_bitop2_b32 v14, 64, v7 bitop3:0x40
	v_lshrrev_b32_e32 v7, 7, v7
	s_delay_alu instid0(VALU_DEP_2) | instskip(NEXT) | instid1(VALU_DEP_3)
	v_and_or_b32 v8, 0x3f0000, v8, v13
	v_cmp_ne_u32_e32 vcc_lo, 0, v14
	s_delay_alu instid0(VALU_DEP_2) | instskip(SKIP_1) | instid1(SALU_CYCLE_1)
	v_cmp_ne_u32_e64 s0, 0, v8
	s_and_b32 s0, vcc_lo, s0
	v_cndmask_b32_e64 v8, 0, 1, s0
	s_delay_alu instid0(VALU_DEP_1)
	v_add_nc_u32_e32 v8, v7, v8
.LBB166_2768:
	s_or_b32 exec_lo, exec_lo, s5
	s_mov_b32 s0, 0
	s_mov_b32 s5, -1
	global_store_b8 v[2:3], v8, off
.LBB166_2769:
	s_mov_b32 s6, 0
.LBB166_2770:
	s_delay_alu instid0(SALU_CYCLE_1)
	s_and_b32 vcc_lo, exec_lo, s6
	s_cbranch_vccz .LBB166_2773
; %bb.2771:
	s_cmp_eq_u32 s1, 29
	s_mov_b32 s0, -1
	s_cbranch_scc0 .LBB166_2773
; %bb.2772:
	s_wait_xcnt 0x0
	v_lshlrev_b32_e32 v7, 16, v1
	s_mov_b32 s0, 0
	s_mov_b32 s5, -1
	s_delay_alu instid0(VALU_DEP_1) | instskip(NEXT) | instid1(VALU_DEP_1)
	v_trunc_f32_e32 v7, v7
	v_mul_f32_e32 v8, 0x2f800000, v7
	s_delay_alu instid0(VALU_DEP_1) | instskip(NEXT) | instid1(VALU_DEP_1)
	v_floor_f32_e32 v8, v8
	v_fmamk_f32 v7, v8, 0xcf800000, v7
	v_cvt_u32_f32_e32 v15, v8
	s_delay_alu instid0(VALU_DEP_2)
	v_cvt_u32_f32_e32 v14, v7
	global_store_b64 v[2:3], v[14:15], off
.LBB166_2773:
	s_mov_b32 s6, 0
.LBB166_2774:
	s_delay_alu instid0(SALU_CYCLE_1)
	s_and_b32 vcc_lo, exec_lo, s6
	s_cbranch_vccz .LBB166_2790
; %bb.2775:
	s_cmp_lt_i32 s1, 27
	s_mov_b32 s5, -1
	s_cbranch_scc1 .LBB166_2781
; %bb.2776:
	s_cmp_gt_i32 s1, 27
	s_cbranch_scc0 .LBB166_2778
; %bb.2777:
	s_wait_xcnt 0x0
	v_lshlrev_b32_e32 v7, 16, v1
	s_mov_b32 s5, 0
	s_delay_alu instid0(VALU_DEP_1)
	v_cvt_u32_f32_e32 v7, v7
	global_store_b32 v[2:3], v7, off
.LBB166_2778:
	s_and_not1_b32 vcc_lo, exec_lo, s5
	s_cbranch_vccnz .LBB166_2780
; %bb.2779:
	s_wait_xcnt 0x0
	v_lshlrev_b32_e32 v7, 16, v1
	s_delay_alu instid0(VALU_DEP_1)
	v_cvt_u32_f32_e32 v7, v7
	global_store_b16 v[2:3], v7, off
.LBB166_2780:
	s_mov_b32 s5, 0
.LBB166_2781:
	s_delay_alu instid0(SALU_CYCLE_1)
	s_and_not1_b32 vcc_lo, exec_lo, s5
	s_cbranch_vccnz .LBB166_2789
; %bb.2782:
	s_wait_xcnt 0x0
	v_dual_mov_b32 v14, 0x80 :: v_dual_lshlrev_b32 v13, 16, v1
	s_mov_b32 s5, exec_lo
	s_delay_alu instid0(VALU_DEP_1) | instskip(NEXT) | instid1(VALU_DEP_1)
	v_and_b32_e32 v8, 0x7fffffff, v13
	v_cmpx_gt_u32_e32 0x43800000, v8
	s_cbranch_execz .LBB166_2788
; %bb.2783:
	v_and_b32_e32 v7, 0xffff, v1
	v_cmp_lt_u32_e32 vcc_lo, 0x3bffffff, v8
	s_mov_b32 s6, 0
                                        ; implicit-def: $vgpr8
	s_and_saveexec_b32 s7, vcc_lo
	s_delay_alu instid0(SALU_CYCLE_1)
	s_xor_b32 s7, exec_lo, s7
	s_cbranch_execz .LBB166_3237
; %bb.2784:
	v_bfe_u32 v8, v7, 4, 1
	s_mov_b32 s6, exec_lo
	s_delay_alu instid0(VALU_DEP_1) | instskip(NEXT) | instid1(VALU_DEP_1)
	v_add3_u32 v8, v13, v8, 0x487ffff
                                        ; implicit-def: $vgpr13
	v_lshrrev_b32_e32 v8, 20, v8
	s_and_not1_saveexec_b32 s7, s7
	s_cbranch_execnz .LBB166_3238
.LBB166_2785:
	s_or_b32 exec_lo, exec_lo, s7
	v_mov_b32_e32 v14, 0
	s_and_saveexec_b32 s7, s6
.LBB166_2786:
	v_lshrrev_b32_e32 v7, 8, v7
	s_delay_alu instid0(VALU_DEP_1)
	v_and_or_b32 v14, 0x80, v7, v8
.LBB166_2787:
	s_or_b32 exec_lo, exec_lo, s7
.LBB166_2788:
	s_delay_alu instid0(SALU_CYCLE_1)
	s_or_b32 exec_lo, exec_lo, s5
	global_store_b8 v[2:3], v14, off
.LBB166_2789:
	s_mov_b32 s5, -1
.LBB166_2790:
	s_mov_b32 s6, 0
.LBB166_2791:
	s_delay_alu instid0(SALU_CYCLE_1)
	s_and_b32 vcc_lo, exec_lo, s6
	s_cbranch_vccz .LBB166_2831
; %bb.2792:
	s_cmp_gt_i32 s1, 22
	s_mov_b32 s4, -1
	s_cbranch_scc0 .LBB166_2824
; %bb.2793:
	s_cmp_lt_i32 s1, 24
	s_cbranch_scc1 .LBB166_2813
; %bb.2794:
	s_cmp_gt_i32 s1, 24
	s_cbranch_scc0 .LBB166_2802
; %bb.2795:
	s_wait_xcnt 0x0
	v_dual_mov_b32 v14, 0x80 :: v_dual_lshlrev_b32 v13, 16, v1
	s_mov_b32 s4, exec_lo
	s_delay_alu instid0(VALU_DEP_1) | instskip(NEXT) | instid1(VALU_DEP_1)
	v_and_b32_e32 v8, 0x7fffffff, v13
	v_cmpx_gt_u32_e32 0x47800000, v8
	s_cbranch_execz .LBB166_2801
; %bb.2796:
	v_and_b32_e32 v7, 0xffff, v1
	v_cmp_lt_u32_e32 vcc_lo, 0x37ffffff, v8
	s_mov_b32 s5, 0
                                        ; implicit-def: $vgpr8
	s_and_saveexec_b32 s6, vcc_lo
	s_delay_alu instid0(SALU_CYCLE_1)
	s_xor_b32 s6, exec_lo, s6
	s_cbranch_execz .LBB166_3240
; %bb.2797:
	v_bfe_u32 v8, v7, 5, 1
	s_mov_b32 s5, exec_lo
	s_delay_alu instid0(VALU_DEP_1) | instskip(NEXT) | instid1(VALU_DEP_1)
	v_add3_u32 v8, v13, v8, 0x88fffff
                                        ; implicit-def: $vgpr13
	v_lshrrev_b32_e32 v8, 21, v8
	s_and_not1_saveexec_b32 s6, s6
	s_cbranch_execnz .LBB166_3241
.LBB166_2798:
	s_or_b32 exec_lo, exec_lo, s6
	v_mov_b32_e32 v14, 0
	s_and_saveexec_b32 s6, s5
.LBB166_2799:
	v_lshrrev_b32_e32 v7, 8, v7
	s_delay_alu instid0(VALU_DEP_1)
	v_and_or_b32 v14, 0x80, v7, v8
.LBB166_2800:
	s_or_b32 exec_lo, exec_lo, s6
.LBB166_2801:
	s_delay_alu instid0(SALU_CYCLE_1)
	s_or_b32 exec_lo, exec_lo, s4
	s_mov_b32 s4, 0
	global_store_b8 v[2:3], v14, off
.LBB166_2802:
	s_and_b32 vcc_lo, exec_lo, s4
	s_cbranch_vccz .LBB166_2812
; %bb.2803:
	v_lshlrev_b32_e32 v13, 16, v1
	s_wait_xcnt 0x0
	v_and_b32_e32 v7, 0xffff, v1
	s_mov_b32 s4, exec_lo
                                        ; implicit-def: $vgpr8
	s_delay_alu instid0(VALU_DEP_2) | instskip(NEXT) | instid1(VALU_DEP_1)
	v_and_b32_e32 v14, 0x7fffffff, v13
	v_cmpx_gt_u32_e32 0x43f00000, v14
	s_xor_b32 s4, exec_lo, s4
	s_cbranch_execz .LBB166_2809
; %bb.2804:
	s_mov_b32 s5, exec_lo
                                        ; implicit-def: $vgpr8
	v_cmpx_lt_u32_e32 0x3c7fffff, v14
	s_xor_b32 s5, exec_lo, s5
; %bb.2805:
	v_bfe_u32 v8, v7, 4, 1
	s_delay_alu instid0(VALU_DEP_1) | instskip(NEXT) | instid1(VALU_DEP_1)
	v_add3_u32 v8, v13, v8, 0x407ffff
	v_and_b32_e32 v13, 0xff00000, v8
	v_lshrrev_b32_e32 v8, 20, v8
	s_delay_alu instid0(VALU_DEP_2) | instskip(NEXT) | instid1(VALU_DEP_2)
	v_cmp_ne_u32_e32 vcc_lo, 0x7f00000, v13
                                        ; implicit-def: $vgpr13
	v_cndmask_b32_e32 v8, 0x7e, v8, vcc_lo
; %bb.2806:
	s_and_not1_saveexec_b32 s5, s5
; %bb.2807:
	v_add_f32_e64 v8, 0x46800000, |v13|
; %bb.2808:
	s_or_b32 exec_lo, exec_lo, s5
                                        ; implicit-def: $vgpr14
.LBB166_2809:
	s_and_not1_saveexec_b32 s4, s4
; %bb.2810:
	v_mov_b32_e32 v8, 0x7f
	v_cmp_lt_u32_e32 vcc_lo, 0x7f800000, v14
	s_delay_alu instid0(VALU_DEP_2)
	v_cndmask_b32_e32 v8, 0x7e, v8, vcc_lo
; %bb.2811:
	s_or_b32 exec_lo, exec_lo, s4
	v_lshrrev_b32_e32 v7, 8, v7
	s_delay_alu instid0(VALU_DEP_1)
	v_and_or_b32 v7, 0x80, v7, v8
	global_store_b8 v[2:3], v7, off
.LBB166_2812:
	s_mov_b32 s4, 0
.LBB166_2813:
	s_delay_alu instid0(SALU_CYCLE_1)
	s_and_not1_b32 vcc_lo, exec_lo, s4
	s_cbranch_vccnz .LBB166_2823
; %bb.2814:
	v_lshlrev_b32_e32 v13, 16, v1
	s_wait_xcnt 0x0
	v_and_b32_e32 v7, 0xffff, v1
	s_mov_b32 s4, exec_lo
                                        ; implicit-def: $vgpr8
	s_delay_alu instid0(VALU_DEP_2) | instskip(NEXT) | instid1(VALU_DEP_1)
	v_and_b32_e32 v14, 0x7fffffff, v13
	v_cmpx_gt_u32_e32 0x47800000, v14
	s_xor_b32 s4, exec_lo, s4
	s_cbranch_execz .LBB166_2820
; %bb.2815:
	s_mov_b32 s5, exec_lo
                                        ; implicit-def: $vgpr8
	v_cmpx_lt_u32_e32 0x387fffff, v14
	s_xor_b32 s5, exec_lo, s5
; %bb.2816:
	v_bfe_u32 v8, v7, 5, 1
	s_delay_alu instid0(VALU_DEP_1) | instskip(NEXT) | instid1(VALU_DEP_1)
	v_add3_u32 v8, v13, v8, 0x80fffff
                                        ; implicit-def: $vgpr13
	v_lshrrev_b32_e32 v8, 21, v8
; %bb.2817:
	s_and_not1_saveexec_b32 s5, s5
; %bb.2818:
	v_add_f32_e64 v8, 0x43000000, |v13|
; %bb.2819:
	s_or_b32 exec_lo, exec_lo, s5
                                        ; implicit-def: $vgpr14
.LBB166_2820:
	s_and_not1_saveexec_b32 s4, s4
; %bb.2821:
	v_mov_b32_e32 v8, 0x7f
	v_cmp_lt_u32_e32 vcc_lo, 0x7f800000, v14
	s_delay_alu instid0(VALU_DEP_2)
	v_cndmask_b32_e32 v8, 0x7c, v8, vcc_lo
; %bb.2822:
	s_or_b32 exec_lo, exec_lo, s4
	v_lshrrev_b32_e32 v7, 8, v7
	s_delay_alu instid0(VALU_DEP_1)
	v_and_or_b32 v7, 0x80, v7, v8
	global_store_b8 v[2:3], v7, off
.LBB166_2823:
	s_mov_b32 s4, 0
	s_mov_b32 s5, -1
.LBB166_2824:
	s_and_not1_b32 vcc_lo, exec_lo, s4
	s_mov_b32 s4, 0
	s_cbranch_vccnz .LBB166_2831
; %bb.2825:
	s_cmp_gt_i32 s1, 14
	s_mov_b32 s4, -1
	s_cbranch_scc0 .LBB166_2829
; %bb.2826:
	s_cmp_eq_u32 s1, 15
	s_mov_b32 s0, -1
	s_cbranch_scc0 .LBB166_2828
; %bb.2827:
	s_mov_b32 s0, 0
	s_mov_b32 s5, -1
	global_store_b16 v[2:3], v1, off
.LBB166_2828:
	s_mov_b32 s4, 0
.LBB166_2829:
	s_delay_alu instid0(SALU_CYCLE_1)
	s_and_b32 vcc_lo, exec_lo, s4
	s_mov_b32 s4, 0
	s_cbranch_vccz .LBB166_2831
; %bb.2830:
	s_cmp_lg_u32 s1, 11
	s_mov_b32 s4, -1
	s_cselect_b32 s0, -1, 0
.LBB166_2831:
	s_delay_alu instid0(SALU_CYCLE_1)
	s_and_b32 vcc_lo, exec_lo, s0
	s_cbranch_vccnz .LBB166_3239
; %bb.2832:
	s_and_not1_b32 vcc_lo, exec_lo, s4
	s_cbranch_vccnz .LBB166_2834
.LBB166_2833:
	s_wait_xcnt 0x0
	v_and_b32_e32 v7, 0x7fff, v1
	s_mov_b32 s5, -1
	s_delay_alu instid0(VALU_DEP_1)
	v_cmp_ne_u16_e32 vcc_lo, 0, v7
	v_cndmask_b32_e64 v7, 0, 1, vcc_lo
	global_store_b8 v[2:3], v7, off
.LBB166_2834:
	s_mov_b32 s0, 0
	s_branch .LBB166_2836
.LBB166_2835:
	s_mov_b32 s0, -1
	s_mov_b32 s5, 0
.LBB166_2836:
	s_and_b32 vcc_lo, exec_lo, s0
	s_cbranch_vccz .LBB166_2875
; %bb.2837:
	s_and_b32 s0, 0xffff, s18
	s_mov_b32 s1, -1
	s_cmp_lt_i32 s0, 5
	s_cbranch_scc1 .LBB166_2858
; %bb.2838:
	s_cmp_lt_i32 s0, 8
	s_cbranch_scc1 .LBB166_2848
; %bb.2839:
	;; [unrolled: 3-line block ×3, first 2 shown]
	s_cmp_gt_i32 s0, 9
	s_cbranch_scc0 .LBB166_2842
; %bb.2841:
	s_wait_xcnt 0x0
	v_dual_mov_b32 v16, 0 :: v_dual_lshlrev_b32 v7, 16, v1
	s_mov_b32 s1, 0
	s_delay_alu instid0(VALU_DEP_1) | instskip(NEXT) | instid1(VALU_DEP_2)
	v_cvt_f64_f32_e32 v[14:15], v7
	v_mov_b32_e32 v17, v16
	global_store_b128 v[2:3], v[14:17], off
.LBB166_2842:
	s_and_not1_b32 vcc_lo, exec_lo, s1
	s_cbranch_vccnz .LBB166_2844
; %bb.2843:
	s_wait_xcnt 0x0
	v_dual_mov_b32 v15, 0 :: v_dual_lshlrev_b32 v14, 16, v1
	global_store_b64 v[2:3], v[14:15], off
.LBB166_2844:
	s_mov_b32 s1, 0
.LBB166_2845:
	s_delay_alu instid0(SALU_CYCLE_1)
	s_and_not1_b32 vcc_lo, exec_lo, s1
	s_cbranch_vccnz .LBB166_2847
; %bb.2846:
	s_wait_xcnt 0x0
	v_lshlrev_b32_e32 v7, 16, v1
	s_delay_alu instid0(VALU_DEP_1) | instskip(NEXT) | instid1(VALU_DEP_1)
	v_cvt_f16_f32_e32 v7, v7
	v_and_b32_e32 v7, 0xffff, v7
	global_store_b32 v[2:3], v7, off
.LBB166_2847:
	s_mov_b32 s1, 0
.LBB166_2848:
	s_delay_alu instid0(SALU_CYCLE_1)
	s_and_not1_b32 vcc_lo, exec_lo, s1
	s_cbranch_vccnz .LBB166_2857
; %bb.2849:
	s_cmp_lt_i32 s0, 6
	s_mov_b32 s1, -1
	s_cbranch_scc1 .LBB166_2855
; %bb.2850:
	s_cmp_gt_i32 s0, 6
	s_cbranch_scc0 .LBB166_2852
; %bb.2851:
	s_wait_xcnt 0x0
	v_lshlrev_b32_e32 v7, 16, v1
	s_mov_b32 s1, 0
	s_delay_alu instid0(VALU_DEP_1)
	v_cvt_f64_f32_e32 v[14:15], v7
	global_store_b64 v[2:3], v[14:15], off
.LBB166_2852:
	s_and_not1_b32 vcc_lo, exec_lo, s1
	s_cbranch_vccnz .LBB166_2854
; %bb.2853:
	s_wait_xcnt 0x0
	v_lshlrev_b32_e32 v7, 16, v1
	global_store_b32 v[2:3], v7, off
.LBB166_2854:
	s_mov_b32 s1, 0
.LBB166_2855:
	s_delay_alu instid0(SALU_CYCLE_1)
	s_and_not1_b32 vcc_lo, exec_lo, s1
	s_cbranch_vccnz .LBB166_2857
; %bb.2856:
	s_wait_xcnt 0x0
	v_lshlrev_b32_e32 v7, 16, v1
	s_delay_alu instid0(VALU_DEP_1)
	v_cvt_f16_f32_e32 v7, v7
	global_store_b16 v[2:3], v7, off
.LBB166_2857:
	s_mov_b32 s1, 0
.LBB166_2858:
	s_delay_alu instid0(SALU_CYCLE_1)
	s_and_not1_b32 vcc_lo, exec_lo, s1
	s_cbranch_vccnz .LBB166_2874
; %bb.2859:
	s_cmp_lt_i32 s0, 2
	s_mov_b32 s1, -1
	s_cbranch_scc1 .LBB166_2869
; %bb.2860:
	s_cmp_lt_i32 s0, 3
	s_cbranch_scc1 .LBB166_2866
; %bb.2861:
	s_cmp_gt_i32 s0, 3
	s_cbranch_scc0 .LBB166_2863
; %bb.2862:
	s_wait_xcnt 0x0
	v_lshlrev_b32_e32 v7, 16, v1
	s_mov_b32 s1, 0
	s_delay_alu instid0(VALU_DEP_1) | instskip(NEXT) | instid1(VALU_DEP_1)
	v_trunc_f32_e32 v7, v7
	v_mul_f32_e64 v8, 0x2f800000, |v7|
	v_ashrrev_i32_e32 v14, 31, v7
	s_delay_alu instid0(VALU_DEP_2) | instskip(NEXT) | instid1(VALU_DEP_2)
	v_floor_f32_e32 v8, v8
	v_mov_b32_e32 v15, v14
	s_delay_alu instid0(VALU_DEP_2) | instskip(SKIP_1) | instid1(VALU_DEP_2)
	v_fma_f32 v13, 0xcf800000, v8, |v7|
	v_cvt_u32_f32_e32 v7, v8
	v_cvt_u32_f32_e32 v8, v13
	s_delay_alu instid0(VALU_DEP_2) | instskip(NEXT) | instid1(VALU_DEP_2)
	v_xor_b32_e32 v17, v7, v14
	v_xor_b32_e32 v16, v8, v14
	s_delay_alu instid0(VALU_DEP_1)
	v_sub_nc_u64_e32 v[14:15], v[16:17], v[14:15]
	global_store_b64 v[2:3], v[14:15], off
.LBB166_2863:
	s_and_not1_b32 vcc_lo, exec_lo, s1
	s_cbranch_vccnz .LBB166_2865
; %bb.2864:
	s_wait_xcnt 0x0
	v_lshlrev_b32_e32 v7, 16, v1
	s_delay_alu instid0(VALU_DEP_1)
	v_cvt_i32_f32_e32 v7, v7
	global_store_b32 v[2:3], v7, off
.LBB166_2865:
	s_mov_b32 s1, 0
.LBB166_2866:
	s_delay_alu instid0(SALU_CYCLE_1)
	s_and_not1_b32 vcc_lo, exec_lo, s1
	s_cbranch_vccnz .LBB166_2868
; %bb.2867:
	s_wait_xcnt 0x0
	v_lshlrev_b32_e32 v7, 16, v1
	s_delay_alu instid0(VALU_DEP_1)
	v_cvt_i32_f32_e32 v7, v7
	global_store_b16 v[2:3], v7, off
.LBB166_2868:
	s_mov_b32 s1, 0
.LBB166_2869:
	s_delay_alu instid0(SALU_CYCLE_1)
	s_and_not1_b32 vcc_lo, exec_lo, s1
	s_cbranch_vccnz .LBB166_2874
; %bb.2870:
	s_wait_xcnt 0x0
	v_lshlrev_b32_e32 v1, 16, v1
	s_cmp_gt_i32 s0, 0
	s_mov_b32 s0, -1
	s_cbranch_scc0 .LBB166_2872
; %bb.2871:
	s_delay_alu instid0(VALU_DEP_1)
	v_cvt_i32_f32_e32 v7, v1
	s_mov_b32 s0, 0
	global_store_b8 v[2:3], v7, off
.LBB166_2872:
	s_and_not1_b32 vcc_lo, exec_lo, s0
	s_cbranch_vccnz .LBB166_2874
; %bb.2873:
	v_trunc_f32_e32 v1, v1
	s_wait_xcnt 0x0
	s_delay_alu instid0(VALU_DEP_1) | instskip(NEXT) | instid1(VALU_DEP_1)
	v_mul_f32_e64 v7, 0x2f800000, |v1|
	v_floor_f32_e32 v7, v7
	s_delay_alu instid0(VALU_DEP_1) | instskip(SKIP_1) | instid1(VALU_DEP_2)
	v_fma_f32 v7, 0xcf800000, v7, |v1|
	v_ashrrev_i32_e32 v1, 31, v1
	v_cvt_u32_f32_e32 v7, v7
	s_delay_alu instid0(VALU_DEP_1) | instskip(NEXT) | instid1(VALU_DEP_1)
	v_xor_b32_e32 v7, v7, v1
	v_sub_nc_u32_e32 v1, v7, v1
	global_store_b8 v[2:3], v1, off
.LBB166_2874:
	s_mov_b32 s5, -1
.LBB166_2875:
	s_delay_alu instid0(SALU_CYCLE_1)
	s_and_not1_b32 vcc_lo, exec_lo, s5
	s_cbranch_vccnz .LBB166_3190
; %bb.2876:
	s_wait_xcnt 0x0
	v_lshlrev_b32_e32 v1, 16, v9
	s_lshl_b32 s1, s11, 7
	s_cmp_lt_i32 s18, 11
	s_delay_alu instid0(VALU_DEP_1) | instskip(NEXT) | instid1(VALU_DEP_1)
	v_dual_mul_f32 v1, v6, v1 :: v_dual_add_nc_u32 v0, s1, v0
	v_bfe_u32 v2, v1, 16, 1
	v_cmp_o_f32_e32 vcc_lo, v1, v1
	s_delay_alu instid0(VALU_DEP_2) | instskip(NEXT) | instid1(VALU_DEP_1)
	v_add3_u32 v2, v1, v2, 0x7fff
	v_and_b32_e32 v2, 0xffff0000, v2
	s_delay_alu instid0(VALU_DEP_1) | instskip(SKIP_1) | instid1(VALU_DEP_1)
	v_cndmask_b32_e32 v1, 0x7fc00000, v2, vcc_lo
	v_lshlrev_b32_e32 v2, 16, v10
	v_mul_f32_e32 v7, v1, v2
	s_delay_alu instid0(VALU_DEP_1) | instskip(NEXT) | instid1(VALU_DEP_1)
	v_bfe_u32 v1, v7, 16, 1
	v_add3_u32 v2, v7, v1, 0x7fff
	v_ashrrev_i32_e32 v1, 31, v0
	v_cmp_o_f32_e32 vcc_lo, v7, v7
	s_delay_alu instid0(VALU_DEP_3) | instskip(NEXT) | instid1(VALU_DEP_3)
	v_lshrrev_b32_e32 v8, 16, v2
	v_add_nc_u64_e32 v[2:3], s[2:3], v[0:1]
	s_delay_alu instid0(VALU_DEP_2)
	v_cndmask_b32_e32 v1, 0x7fc0, v8, vcc_lo
	s_cbranch_scc1 .LBB166_2954
; %bb.2877:
	s_and_b32 s4, 0xffff, s18
	s_mov_b32 s7, -1
	s_mov_b32 s5, 0
	s_cmp_gt_i32 s4, 25
	s_mov_b32 s6, 0
	s_mov_b32 s0, 0
	s_cbranch_scc0 .LBB166_2910
; %bb.2878:
	s_cmp_gt_i32 s4, 28
	s_cbranch_scc0 .LBB166_2893
; %bb.2879:
	s_cmp_gt_i32 s4, 43
	;; [unrolled: 3-line block ×3, first 2 shown]
	s_cbranch_scc0 .LBB166_2883
; %bb.2881:
	s_mov_b32 s0, -1
	s_mov_b32 s7, 0
	s_cmp_eq_u32 s4, 46
	s_cbranch_scc0 .LBB166_2883
; %bb.2882:
	v_and_b32_e32 v7, 0xffff, v1
	s_mov_b32 s0, 0
	s_mov_b32 s6, -1
	global_store_b32 v[2:3], v7, off
.LBB166_2883:
	s_and_b32 vcc_lo, exec_lo, s7
	s_cbranch_vccz .LBB166_2888
; %bb.2884:
	s_cmp_eq_u32 s4, 44
	s_mov_b32 s0, -1
	s_cbranch_scc0 .LBB166_2888
; %bb.2885:
	s_wait_xcnt 0x0
	v_and_b32_e32 v7, 0xffff, v1
	v_mov_b32_e32 v8, 0xff
	s_mov_b32 s6, exec_lo
	s_delay_alu instid0(VALU_DEP_2) | instskip(NEXT) | instid1(VALU_DEP_1)
	v_bfe_u32 v9, v7, 7, 8
	v_cmpx_ne_u32_e32 0xff, v9
	s_cbranch_execz .LBB166_2887
; %bb.2886:
	v_dual_lshlrev_b32 v8, 16, v7 :: v_dual_bitop2_b32 v10, 64, v7 bitop3:0x40
	v_lshrrev_b32_e32 v7, 7, v7
	s_delay_alu instid0(VALU_DEP_2) | instskip(NEXT) | instid1(VALU_DEP_3)
	v_and_or_b32 v8, 0x3f0000, v8, v9
	v_cmp_ne_u32_e32 vcc_lo, 0, v10
	s_delay_alu instid0(VALU_DEP_2) | instskip(SKIP_1) | instid1(SALU_CYCLE_1)
	v_cmp_ne_u32_e64 s0, 0, v8
	s_and_b32 s0, vcc_lo, s0
	v_cndmask_b32_e64 v8, 0, 1, s0
	s_delay_alu instid0(VALU_DEP_1)
	v_add_nc_u32_e32 v8, v7, v8
.LBB166_2887:
	s_or_b32 exec_lo, exec_lo, s6
	s_mov_b32 s0, 0
	s_mov_b32 s6, -1
	global_store_b8 v[2:3], v8, off
.LBB166_2888:
	s_mov_b32 s7, 0
.LBB166_2889:
	s_delay_alu instid0(SALU_CYCLE_1)
	s_and_b32 vcc_lo, exec_lo, s7
	s_cbranch_vccz .LBB166_2892
; %bb.2890:
	s_cmp_eq_u32 s4, 29
	s_mov_b32 s0, -1
	s_cbranch_scc0 .LBB166_2892
; %bb.2891:
	s_wait_xcnt 0x0
	v_lshlrev_b32_e32 v7, 16, v1
	s_mov_b32 s0, 0
	s_mov_b32 s6, -1
	s_delay_alu instid0(VALU_DEP_1) | instskip(NEXT) | instid1(VALU_DEP_1)
	v_trunc_f32_e32 v7, v7
	v_mul_f32_e32 v8, 0x2f800000, v7
	s_delay_alu instid0(VALU_DEP_1) | instskip(NEXT) | instid1(VALU_DEP_1)
	v_floor_f32_e32 v8, v8
	v_fmamk_f32 v7, v8, 0xcf800000, v7
	v_cvt_u32_f32_e32 v9, v8
	s_delay_alu instid0(VALU_DEP_2)
	v_cvt_u32_f32_e32 v8, v7
	global_store_b64 v[2:3], v[8:9], off
.LBB166_2892:
	s_mov_b32 s7, 0
.LBB166_2893:
	s_delay_alu instid0(SALU_CYCLE_1)
	s_and_b32 vcc_lo, exec_lo, s7
	s_cbranch_vccz .LBB166_2909
; %bb.2894:
	s_cmp_lt_i32 s4, 27
	s_mov_b32 s6, -1
	s_cbranch_scc1 .LBB166_2900
; %bb.2895:
	s_cmp_gt_i32 s4, 27
	s_cbranch_scc0 .LBB166_2897
; %bb.2896:
	s_wait_xcnt 0x0
	v_lshlrev_b32_e32 v7, 16, v1
	s_mov_b32 s6, 0
	s_delay_alu instid0(VALU_DEP_1)
	v_cvt_u32_f32_e32 v7, v7
	global_store_b32 v[2:3], v7, off
.LBB166_2897:
	s_and_not1_b32 vcc_lo, exec_lo, s6
	s_cbranch_vccnz .LBB166_2899
; %bb.2898:
	s_wait_xcnt 0x0
	v_lshlrev_b32_e32 v7, 16, v1
	s_delay_alu instid0(VALU_DEP_1)
	v_cvt_u32_f32_e32 v7, v7
	global_store_b16 v[2:3], v7, off
.LBB166_2899:
	s_mov_b32 s6, 0
.LBB166_2900:
	s_delay_alu instid0(SALU_CYCLE_1)
	s_and_not1_b32 vcc_lo, exec_lo, s6
	s_cbranch_vccnz .LBB166_2908
; %bb.2901:
	s_wait_xcnt 0x0
	v_dual_mov_b32 v10, 0x80 :: v_dual_lshlrev_b32 v9, 16, v1
	s_mov_b32 s6, exec_lo
	s_delay_alu instid0(VALU_DEP_1) | instskip(NEXT) | instid1(VALU_DEP_1)
	v_and_b32_e32 v8, 0x7fffffff, v9
	v_cmpx_gt_u32_e32 0x43800000, v8
	s_cbranch_execz .LBB166_2907
; %bb.2902:
	v_and_b32_e32 v7, 0xffff, v1
	v_cmp_lt_u32_e32 vcc_lo, 0x3bffffff, v8
	s_mov_b32 s7, 0
                                        ; implicit-def: $vgpr8
	s_and_saveexec_b32 s8, vcc_lo
	s_delay_alu instid0(SALU_CYCLE_1)
	s_xor_b32 s8, exec_lo, s8
	s_cbranch_execz .LBB166_3242
; %bb.2903:
	v_bfe_u32 v8, v7, 4, 1
	s_mov_b32 s7, exec_lo
	s_delay_alu instid0(VALU_DEP_1) | instskip(NEXT) | instid1(VALU_DEP_1)
	v_add3_u32 v8, v9, v8, 0x487ffff
                                        ; implicit-def: $vgpr9
	v_lshrrev_b32_e32 v8, 20, v8
	s_and_not1_saveexec_b32 s8, s8
	s_cbranch_execnz .LBB166_3243
.LBB166_2904:
	s_or_b32 exec_lo, exec_lo, s8
	v_mov_b32_e32 v10, 0
	s_and_saveexec_b32 s8, s7
.LBB166_2905:
	v_lshrrev_b32_e32 v7, 8, v7
	s_delay_alu instid0(VALU_DEP_1)
	v_and_or_b32 v10, 0x80, v7, v8
.LBB166_2906:
	s_or_b32 exec_lo, exec_lo, s8
.LBB166_2907:
	s_delay_alu instid0(SALU_CYCLE_1)
	s_or_b32 exec_lo, exec_lo, s6
	global_store_b8 v[2:3], v10, off
.LBB166_2908:
	s_mov_b32 s6, -1
.LBB166_2909:
	s_mov_b32 s7, 0
.LBB166_2910:
	s_delay_alu instid0(SALU_CYCLE_1)
	s_and_b32 vcc_lo, exec_lo, s7
	s_cbranch_vccz .LBB166_2950
; %bb.2911:
	s_cmp_gt_i32 s4, 22
	s_mov_b32 s5, -1
	s_cbranch_scc0 .LBB166_2943
; %bb.2912:
	s_cmp_lt_i32 s4, 24
	s_cbranch_scc1 .LBB166_2932
; %bb.2913:
	s_cmp_gt_i32 s4, 24
	s_cbranch_scc0 .LBB166_2921
; %bb.2914:
	s_wait_xcnt 0x0
	v_dual_mov_b32 v10, 0x80 :: v_dual_lshlrev_b32 v9, 16, v1
	s_mov_b32 s5, exec_lo
	s_delay_alu instid0(VALU_DEP_1) | instskip(NEXT) | instid1(VALU_DEP_1)
	v_and_b32_e32 v8, 0x7fffffff, v9
	v_cmpx_gt_u32_e32 0x47800000, v8
	s_cbranch_execz .LBB166_2920
; %bb.2915:
	v_and_b32_e32 v7, 0xffff, v1
	v_cmp_lt_u32_e32 vcc_lo, 0x37ffffff, v8
	s_mov_b32 s6, 0
                                        ; implicit-def: $vgpr8
	s_and_saveexec_b32 s7, vcc_lo
	s_delay_alu instid0(SALU_CYCLE_1)
	s_xor_b32 s7, exec_lo, s7
	s_cbranch_execz .LBB166_3245
; %bb.2916:
	v_bfe_u32 v8, v7, 5, 1
	s_mov_b32 s6, exec_lo
	s_delay_alu instid0(VALU_DEP_1) | instskip(NEXT) | instid1(VALU_DEP_1)
	v_add3_u32 v8, v9, v8, 0x88fffff
                                        ; implicit-def: $vgpr9
	v_lshrrev_b32_e32 v8, 21, v8
	s_and_not1_saveexec_b32 s7, s7
	s_cbranch_execnz .LBB166_3246
.LBB166_2917:
	s_or_b32 exec_lo, exec_lo, s7
	v_mov_b32_e32 v10, 0
	s_and_saveexec_b32 s7, s6
.LBB166_2918:
	v_lshrrev_b32_e32 v7, 8, v7
	s_delay_alu instid0(VALU_DEP_1)
	v_and_or_b32 v10, 0x80, v7, v8
.LBB166_2919:
	s_or_b32 exec_lo, exec_lo, s7
.LBB166_2920:
	s_delay_alu instid0(SALU_CYCLE_1)
	s_or_b32 exec_lo, exec_lo, s5
	s_mov_b32 s5, 0
	global_store_b8 v[2:3], v10, off
.LBB166_2921:
	s_and_b32 vcc_lo, exec_lo, s5
	s_cbranch_vccz .LBB166_2931
; %bb.2922:
	s_wait_xcnt 0x0
	v_lshlrev_b32_e32 v9, 16, v1
	v_and_b32_e32 v7, 0xffff, v1
	s_mov_b32 s5, exec_lo
                                        ; implicit-def: $vgpr8
	s_delay_alu instid0(VALU_DEP_2) | instskip(NEXT) | instid1(VALU_DEP_1)
	v_and_b32_e32 v10, 0x7fffffff, v9
	v_cmpx_gt_u32_e32 0x43f00000, v10
	s_xor_b32 s5, exec_lo, s5
	s_cbranch_execz .LBB166_2928
; %bb.2923:
	s_mov_b32 s6, exec_lo
                                        ; implicit-def: $vgpr8
	v_cmpx_lt_u32_e32 0x3c7fffff, v10
	s_xor_b32 s6, exec_lo, s6
; %bb.2924:
	v_bfe_u32 v8, v7, 4, 1
	s_delay_alu instid0(VALU_DEP_1) | instskip(NEXT) | instid1(VALU_DEP_1)
	v_add3_u32 v8, v9, v8, 0x407ffff
	v_and_b32_e32 v9, 0xff00000, v8
	v_lshrrev_b32_e32 v8, 20, v8
	s_delay_alu instid0(VALU_DEP_2) | instskip(NEXT) | instid1(VALU_DEP_2)
	v_cmp_ne_u32_e32 vcc_lo, 0x7f00000, v9
                                        ; implicit-def: $vgpr9
	v_cndmask_b32_e32 v8, 0x7e, v8, vcc_lo
; %bb.2925:
	s_and_not1_saveexec_b32 s6, s6
; %bb.2926:
	v_add_f32_e64 v8, 0x46800000, |v9|
; %bb.2927:
	s_or_b32 exec_lo, exec_lo, s6
                                        ; implicit-def: $vgpr10
.LBB166_2928:
	s_and_not1_saveexec_b32 s5, s5
; %bb.2929:
	v_mov_b32_e32 v8, 0x7f
	v_cmp_lt_u32_e32 vcc_lo, 0x7f800000, v10
	s_delay_alu instid0(VALU_DEP_2)
	v_cndmask_b32_e32 v8, 0x7e, v8, vcc_lo
; %bb.2930:
	s_or_b32 exec_lo, exec_lo, s5
	v_lshrrev_b32_e32 v7, 8, v7
	s_delay_alu instid0(VALU_DEP_1)
	v_and_or_b32 v7, 0x80, v7, v8
	global_store_b8 v[2:3], v7, off
.LBB166_2931:
	s_mov_b32 s5, 0
.LBB166_2932:
	s_delay_alu instid0(SALU_CYCLE_1)
	s_and_not1_b32 vcc_lo, exec_lo, s5
	s_cbranch_vccnz .LBB166_2942
; %bb.2933:
	s_wait_xcnt 0x0
	v_lshlrev_b32_e32 v9, 16, v1
	v_and_b32_e32 v7, 0xffff, v1
	s_mov_b32 s5, exec_lo
                                        ; implicit-def: $vgpr8
	s_delay_alu instid0(VALU_DEP_2) | instskip(NEXT) | instid1(VALU_DEP_1)
	v_and_b32_e32 v10, 0x7fffffff, v9
	v_cmpx_gt_u32_e32 0x47800000, v10
	s_xor_b32 s5, exec_lo, s5
	s_cbranch_execz .LBB166_2939
; %bb.2934:
	s_mov_b32 s6, exec_lo
                                        ; implicit-def: $vgpr8
	v_cmpx_lt_u32_e32 0x387fffff, v10
	s_xor_b32 s6, exec_lo, s6
; %bb.2935:
	v_bfe_u32 v8, v7, 5, 1
	s_delay_alu instid0(VALU_DEP_1) | instskip(NEXT) | instid1(VALU_DEP_1)
	v_add3_u32 v8, v9, v8, 0x80fffff
                                        ; implicit-def: $vgpr9
	v_lshrrev_b32_e32 v8, 21, v8
; %bb.2936:
	s_and_not1_saveexec_b32 s6, s6
; %bb.2937:
	v_add_f32_e64 v8, 0x43000000, |v9|
; %bb.2938:
	s_or_b32 exec_lo, exec_lo, s6
                                        ; implicit-def: $vgpr10
.LBB166_2939:
	s_and_not1_saveexec_b32 s5, s5
; %bb.2940:
	v_mov_b32_e32 v8, 0x7f
	v_cmp_lt_u32_e32 vcc_lo, 0x7f800000, v10
	s_delay_alu instid0(VALU_DEP_2)
	v_cndmask_b32_e32 v8, 0x7c, v8, vcc_lo
; %bb.2941:
	s_or_b32 exec_lo, exec_lo, s5
	v_lshrrev_b32_e32 v7, 8, v7
	s_delay_alu instid0(VALU_DEP_1)
	v_and_or_b32 v7, 0x80, v7, v8
	global_store_b8 v[2:3], v7, off
.LBB166_2942:
	s_mov_b32 s5, 0
	s_mov_b32 s6, -1
.LBB166_2943:
	s_and_not1_b32 vcc_lo, exec_lo, s5
	s_mov_b32 s5, 0
	s_cbranch_vccnz .LBB166_2950
; %bb.2944:
	s_cmp_gt_i32 s4, 14
	s_mov_b32 s5, -1
	s_cbranch_scc0 .LBB166_2948
; %bb.2945:
	s_cmp_eq_u32 s4, 15
	s_mov_b32 s0, -1
	s_cbranch_scc0 .LBB166_2947
; %bb.2946:
	s_mov_b32 s0, 0
	s_mov_b32 s6, -1
	global_store_b16 v[2:3], v1, off
.LBB166_2947:
	s_mov_b32 s5, 0
.LBB166_2948:
	s_delay_alu instid0(SALU_CYCLE_1)
	s_and_b32 vcc_lo, exec_lo, s5
	s_mov_b32 s5, 0
	s_cbranch_vccz .LBB166_2950
; %bb.2949:
	s_cmp_lg_u32 s4, 11
	s_mov_b32 s5, -1
	s_cselect_b32 s0, -1, 0
.LBB166_2950:
	s_delay_alu instid0(SALU_CYCLE_1)
	s_and_b32 vcc_lo, exec_lo, s0
	s_cbranch_vccnz .LBB166_3244
; %bb.2951:
	s_and_not1_b32 vcc_lo, exec_lo, s5
	s_cbranch_vccnz .LBB166_2953
.LBB166_2952:
	s_wait_xcnt 0x0
	v_and_b32_e32 v7, 0x7fff, v1
	s_mov_b32 s6, -1
	s_delay_alu instid0(VALU_DEP_1)
	v_cmp_ne_u16_e32 vcc_lo, 0, v7
	v_cndmask_b32_e64 v7, 0, 1, vcc_lo
	global_store_b8 v[2:3], v7, off
.LBB166_2953:
	s_mov_b32 s0, 0
	s_branch .LBB166_2955
.LBB166_2954:
	s_mov_b32 s0, -1
	s_mov_b32 s6, 0
.LBB166_2955:
	s_and_b32 vcc_lo, exec_lo, s0
	s_cbranch_vccz .LBB166_2994
; %bb.2956:
	s_and_b32 s0, 0xffff, s18
	s_mov_b32 s4, -1
	s_cmp_lt_i32 s0, 5
	s_cbranch_scc1 .LBB166_2977
; %bb.2957:
	s_cmp_lt_i32 s0, 8
	s_cbranch_scc1 .LBB166_2967
; %bb.2958:
	;; [unrolled: 3-line block ×3, first 2 shown]
	s_cmp_gt_i32 s0, 9
	s_cbranch_scc0 .LBB166_2961
; %bb.2960:
	s_wait_xcnt 0x0
	v_dual_mov_b32 v16, 0 :: v_dual_lshlrev_b32 v7, 16, v1
	s_mov_b32 s4, 0
	s_delay_alu instid0(VALU_DEP_1) | instskip(NEXT) | instid1(VALU_DEP_2)
	v_cvt_f64_f32_e32 v[14:15], v7
	v_mov_b32_e32 v17, v16
	global_store_b128 v[2:3], v[14:17], off
.LBB166_2961:
	s_and_not1_b32 vcc_lo, exec_lo, s4
	s_cbranch_vccnz .LBB166_2963
; %bb.2962:
	s_wait_xcnt 0x0
	v_dual_mov_b32 v9, 0 :: v_dual_lshlrev_b32 v8, 16, v1
	global_store_b64 v[2:3], v[8:9], off
.LBB166_2963:
	s_mov_b32 s4, 0
.LBB166_2964:
	s_delay_alu instid0(SALU_CYCLE_1)
	s_and_not1_b32 vcc_lo, exec_lo, s4
	s_cbranch_vccnz .LBB166_2966
; %bb.2965:
	s_wait_xcnt 0x0
	v_lshlrev_b32_e32 v7, 16, v1
	s_delay_alu instid0(VALU_DEP_1) | instskip(NEXT) | instid1(VALU_DEP_1)
	v_cvt_f16_f32_e32 v7, v7
	v_and_b32_e32 v7, 0xffff, v7
	global_store_b32 v[2:3], v7, off
.LBB166_2966:
	s_mov_b32 s4, 0
.LBB166_2967:
	s_delay_alu instid0(SALU_CYCLE_1)
	s_and_not1_b32 vcc_lo, exec_lo, s4
	s_cbranch_vccnz .LBB166_2976
; %bb.2968:
	s_cmp_lt_i32 s0, 6
	s_mov_b32 s4, -1
	s_cbranch_scc1 .LBB166_2974
; %bb.2969:
	s_cmp_gt_i32 s0, 6
	s_cbranch_scc0 .LBB166_2971
; %bb.2970:
	s_wait_xcnt 0x0
	v_lshlrev_b32_e32 v7, 16, v1
	s_mov_b32 s4, 0
	s_delay_alu instid0(VALU_DEP_1)
	v_cvt_f64_f32_e32 v[8:9], v7
	global_store_b64 v[2:3], v[8:9], off
.LBB166_2971:
	s_and_not1_b32 vcc_lo, exec_lo, s4
	s_cbranch_vccnz .LBB166_2973
; %bb.2972:
	s_wait_xcnt 0x0
	v_lshlrev_b32_e32 v7, 16, v1
	global_store_b32 v[2:3], v7, off
.LBB166_2973:
	s_mov_b32 s4, 0
.LBB166_2974:
	s_delay_alu instid0(SALU_CYCLE_1)
	s_and_not1_b32 vcc_lo, exec_lo, s4
	s_cbranch_vccnz .LBB166_2976
; %bb.2975:
	s_wait_xcnt 0x0
	v_lshlrev_b32_e32 v7, 16, v1
	s_delay_alu instid0(VALU_DEP_1)
	v_cvt_f16_f32_e32 v7, v7
	global_store_b16 v[2:3], v7, off
.LBB166_2976:
	s_mov_b32 s4, 0
.LBB166_2977:
	s_delay_alu instid0(SALU_CYCLE_1)
	s_and_not1_b32 vcc_lo, exec_lo, s4
	s_cbranch_vccnz .LBB166_2993
; %bb.2978:
	s_cmp_lt_i32 s0, 2
	s_mov_b32 s4, -1
	s_cbranch_scc1 .LBB166_2988
; %bb.2979:
	s_cmp_lt_i32 s0, 3
	s_cbranch_scc1 .LBB166_2985
; %bb.2980:
	s_cmp_gt_i32 s0, 3
	s_cbranch_scc0 .LBB166_2982
; %bb.2981:
	s_wait_xcnt 0x0
	v_lshlrev_b32_e32 v7, 16, v1
	s_mov_b32 s4, 0
	s_delay_alu instid0(VALU_DEP_1) | instskip(NEXT) | instid1(VALU_DEP_1)
	v_trunc_f32_e32 v7, v7
	v_mul_f32_e64 v8, 0x2f800000, |v7|
	s_delay_alu instid0(VALU_DEP_1) | instskip(SKIP_1) | instid1(VALU_DEP_2)
	v_floor_f32_e32 v9, v8
	v_ashrrev_i32_e32 v8, 31, v7
	v_fma_f32 v10, 0xcf800000, v9, |v7|
	v_cvt_u32_f32_e32 v7, v9
	s_delay_alu instid0(VALU_DEP_3) | instskip(NEXT) | instid1(VALU_DEP_3)
	v_mov_b32_e32 v9, v8
	v_cvt_u32_f32_e32 v10, v10
	s_delay_alu instid0(VALU_DEP_3) | instskip(NEXT) | instid1(VALU_DEP_2)
	v_xor_b32_e32 v15, v7, v8
	v_xor_b32_e32 v14, v10, v8
	s_delay_alu instid0(VALU_DEP_1)
	v_sub_nc_u64_e32 v[8:9], v[14:15], v[8:9]
	global_store_b64 v[2:3], v[8:9], off
.LBB166_2982:
	s_and_not1_b32 vcc_lo, exec_lo, s4
	s_cbranch_vccnz .LBB166_2984
; %bb.2983:
	s_wait_xcnt 0x0
	v_lshlrev_b32_e32 v7, 16, v1
	s_delay_alu instid0(VALU_DEP_1)
	v_cvt_i32_f32_e32 v7, v7
	global_store_b32 v[2:3], v7, off
.LBB166_2984:
	s_mov_b32 s4, 0
.LBB166_2985:
	s_delay_alu instid0(SALU_CYCLE_1)
	s_and_not1_b32 vcc_lo, exec_lo, s4
	s_cbranch_vccnz .LBB166_2987
; %bb.2986:
	s_wait_xcnt 0x0
	v_lshlrev_b32_e32 v7, 16, v1
	s_delay_alu instid0(VALU_DEP_1)
	v_cvt_i32_f32_e32 v7, v7
	global_store_b16 v[2:3], v7, off
.LBB166_2987:
	s_mov_b32 s4, 0
.LBB166_2988:
	s_delay_alu instid0(SALU_CYCLE_1)
	s_and_not1_b32 vcc_lo, exec_lo, s4
	s_cbranch_vccnz .LBB166_2993
; %bb.2989:
	s_wait_xcnt 0x0
	v_lshlrev_b32_e32 v1, 16, v1
	s_cmp_gt_i32 s0, 0
	s_mov_b32 s0, -1
	s_cbranch_scc0 .LBB166_2991
; %bb.2990:
	s_delay_alu instid0(VALU_DEP_1)
	v_cvt_i32_f32_e32 v7, v1
	s_mov_b32 s0, 0
	global_store_b8 v[2:3], v7, off
.LBB166_2991:
	s_and_not1_b32 vcc_lo, exec_lo, s0
	s_cbranch_vccnz .LBB166_2993
; %bb.2992:
	v_trunc_f32_e32 v1, v1
	s_wait_xcnt 0x0
	s_delay_alu instid0(VALU_DEP_1) | instskip(NEXT) | instid1(VALU_DEP_1)
	v_mul_f32_e64 v7, 0x2f800000, |v1|
	v_floor_f32_e32 v7, v7
	s_delay_alu instid0(VALU_DEP_1) | instskip(SKIP_1) | instid1(VALU_DEP_2)
	v_fma_f32 v7, 0xcf800000, v7, |v1|
	v_ashrrev_i32_e32 v1, 31, v1
	v_cvt_u32_f32_e32 v7, v7
	s_delay_alu instid0(VALU_DEP_1) | instskip(NEXT) | instid1(VALU_DEP_1)
	v_xor_b32_e32 v7, v7, v1
	v_sub_nc_u32_e32 v1, v7, v1
	global_store_b8 v[2:3], v1, off
.LBB166_2993:
	s_mov_b32 s6, -1
.LBB166_2994:
	s_delay_alu instid0(SALU_CYCLE_1)
	s_and_not1_b32 vcc_lo, exec_lo, s6
	s_cbranch_vccnz .LBB166_3190
; %bb.2995:
	s_wait_xcnt 0x0
	v_lshlrev_b32_e32 v1, 16, v11
	s_cmp_lt_i32 s18, 11
	s_delay_alu instid0(VALU_DEP_1) | instskip(NEXT) | instid1(VALU_DEP_1)
	v_dual_mul_f32 v1, v6, v1 :: v_dual_add_nc_u32 v0, s1, v0
	v_bfe_u32 v2, v1, 16, 1
	v_cmp_o_f32_e32 vcc_lo, v1, v1
	s_delay_alu instid0(VALU_DEP_2) | instskip(NEXT) | instid1(VALU_DEP_1)
	v_add3_u32 v2, v1, v2, 0x7fff
	v_and_b32_e32 v2, 0xffff0000, v2
	s_delay_alu instid0(VALU_DEP_1) | instskip(NEXT) | instid1(VALU_DEP_1)
	v_dual_cndmask_b32 v1, 0x7fc00000, v2 :: v_dual_lshlrev_b32 v2, 16, v12
	v_mul_f32_e32 v7, v1, v2
	s_delay_alu instid0(VALU_DEP_1) | instskip(NEXT) | instid1(VALU_DEP_1)
	v_bfe_u32 v1, v7, 16, 1
	v_add3_u32 v2, v7, v1, 0x7fff
	v_ashrrev_i32_e32 v1, 31, v0
	v_cmp_o_f32_e32 vcc_lo, v7, v7
	s_delay_alu instid0(VALU_DEP_3) | instskip(NEXT) | instid1(VALU_DEP_3)
	v_lshrrev_b32_e32 v8, 16, v2
	v_add_nc_u64_e32 v[2:3], s[2:3], v[0:1]
	s_delay_alu instid0(VALU_DEP_2)
	v_cndmask_b32_e32 v1, 0x7fc0, v8, vcc_lo
	s_cbranch_scc1 .LBB166_3073
; %bb.2996:
	s_and_b32 s4, 0xffff, s18
	s_mov_b32 s7, -1
	s_mov_b32 s5, 0
	s_cmp_gt_i32 s4, 25
	s_mov_b32 s6, 0
	s_mov_b32 s0, 0
	s_cbranch_scc0 .LBB166_3029
; %bb.2997:
	s_cmp_gt_i32 s4, 28
	s_cbranch_scc0 .LBB166_3012
; %bb.2998:
	s_cmp_gt_i32 s4, 43
	;; [unrolled: 3-line block ×3, first 2 shown]
	s_cbranch_scc0 .LBB166_3002
; %bb.3000:
	s_mov_b32 s0, -1
	s_mov_b32 s7, 0
	s_cmp_eq_u32 s4, 46
	s_cbranch_scc0 .LBB166_3002
; %bb.3001:
	v_and_b32_e32 v7, 0xffff, v1
	s_mov_b32 s0, 0
	s_mov_b32 s6, -1
	global_store_b32 v[2:3], v7, off
.LBB166_3002:
	s_and_b32 vcc_lo, exec_lo, s7
	s_cbranch_vccz .LBB166_3007
; %bb.3003:
	s_cmp_eq_u32 s4, 44
	s_mov_b32 s0, -1
	s_cbranch_scc0 .LBB166_3007
; %bb.3004:
	s_wait_xcnt 0x0
	v_and_b32_e32 v7, 0xffff, v1
	v_mov_b32_e32 v8, 0xff
	s_mov_b32 s6, exec_lo
	s_delay_alu instid0(VALU_DEP_2) | instskip(NEXT) | instid1(VALU_DEP_1)
	v_bfe_u32 v9, v7, 7, 8
	v_cmpx_ne_u32_e32 0xff, v9
	s_cbranch_execz .LBB166_3006
; %bb.3005:
	v_dual_lshlrev_b32 v8, 16, v7 :: v_dual_bitop2_b32 v10, 64, v7 bitop3:0x40
	v_lshrrev_b32_e32 v7, 7, v7
	s_delay_alu instid0(VALU_DEP_2) | instskip(NEXT) | instid1(VALU_DEP_3)
	v_and_or_b32 v8, 0x3f0000, v8, v9
	v_cmp_ne_u32_e32 vcc_lo, 0, v10
	s_delay_alu instid0(VALU_DEP_2) | instskip(SKIP_1) | instid1(SALU_CYCLE_1)
	v_cmp_ne_u32_e64 s0, 0, v8
	s_and_b32 s0, vcc_lo, s0
	v_cndmask_b32_e64 v8, 0, 1, s0
	s_delay_alu instid0(VALU_DEP_1)
	v_add_nc_u32_e32 v8, v7, v8
.LBB166_3006:
	s_or_b32 exec_lo, exec_lo, s6
	s_mov_b32 s0, 0
	s_mov_b32 s6, -1
	global_store_b8 v[2:3], v8, off
.LBB166_3007:
	s_mov_b32 s7, 0
.LBB166_3008:
	s_delay_alu instid0(SALU_CYCLE_1)
	s_and_b32 vcc_lo, exec_lo, s7
	s_cbranch_vccz .LBB166_3011
; %bb.3009:
	s_cmp_eq_u32 s4, 29
	s_mov_b32 s0, -1
	s_cbranch_scc0 .LBB166_3011
; %bb.3010:
	s_wait_xcnt 0x0
	v_lshlrev_b32_e32 v7, 16, v1
	s_mov_b32 s0, 0
	s_mov_b32 s6, -1
	s_delay_alu instid0(VALU_DEP_1) | instskip(NEXT) | instid1(VALU_DEP_1)
	v_trunc_f32_e32 v7, v7
	v_mul_f32_e32 v8, 0x2f800000, v7
	s_delay_alu instid0(VALU_DEP_1) | instskip(NEXT) | instid1(VALU_DEP_1)
	v_floor_f32_e32 v8, v8
	v_fmamk_f32 v7, v8, 0xcf800000, v7
	v_cvt_u32_f32_e32 v9, v8
	s_delay_alu instid0(VALU_DEP_2)
	v_cvt_u32_f32_e32 v8, v7
	global_store_b64 v[2:3], v[8:9], off
.LBB166_3011:
	s_mov_b32 s7, 0
.LBB166_3012:
	s_delay_alu instid0(SALU_CYCLE_1)
	s_and_b32 vcc_lo, exec_lo, s7
	s_cbranch_vccz .LBB166_3028
; %bb.3013:
	s_cmp_lt_i32 s4, 27
	s_mov_b32 s6, -1
	s_cbranch_scc1 .LBB166_3019
; %bb.3014:
	s_cmp_gt_i32 s4, 27
	s_cbranch_scc0 .LBB166_3016
; %bb.3015:
	s_wait_xcnt 0x0
	v_lshlrev_b32_e32 v7, 16, v1
	s_mov_b32 s6, 0
	s_delay_alu instid0(VALU_DEP_1)
	v_cvt_u32_f32_e32 v7, v7
	global_store_b32 v[2:3], v7, off
.LBB166_3016:
	s_and_not1_b32 vcc_lo, exec_lo, s6
	s_cbranch_vccnz .LBB166_3018
; %bb.3017:
	s_wait_xcnt 0x0
	v_lshlrev_b32_e32 v7, 16, v1
	s_delay_alu instid0(VALU_DEP_1)
	v_cvt_u32_f32_e32 v7, v7
	global_store_b16 v[2:3], v7, off
.LBB166_3018:
	s_mov_b32 s6, 0
.LBB166_3019:
	s_delay_alu instid0(SALU_CYCLE_1)
	s_and_not1_b32 vcc_lo, exec_lo, s6
	s_cbranch_vccnz .LBB166_3027
; %bb.3020:
	s_wait_xcnt 0x0
	v_dual_mov_b32 v10, 0x80 :: v_dual_lshlrev_b32 v9, 16, v1
	s_mov_b32 s6, exec_lo
	s_delay_alu instid0(VALU_DEP_1) | instskip(NEXT) | instid1(VALU_DEP_1)
	v_and_b32_e32 v8, 0x7fffffff, v9
	v_cmpx_gt_u32_e32 0x43800000, v8
	s_cbranch_execz .LBB166_3026
; %bb.3021:
	v_and_b32_e32 v7, 0xffff, v1
	v_cmp_lt_u32_e32 vcc_lo, 0x3bffffff, v8
	s_mov_b32 s7, 0
                                        ; implicit-def: $vgpr8
	s_and_saveexec_b32 s8, vcc_lo
	s_delay_alu instid0(SALU_CYCLE_1)
	s_xor_b32 s8, exec_lo, s8
	s_cbranch_execz .LBB166_3247
; %bb.3022:
	v_bfe_u32 v8, v7, 4, 1
	s_mov_b32 s7, exec_lo
	s_delay_alu instid0(VALU_DEP_1) | instskip(NEXT) | instid1(VALU_DEP_1)
	v_add3_u32 v8, v9, v8, 0x487ffff
                                        ; implicit-def: $vgpr9
	v_lshrrev_b32_e32 v8, 20, v8
	s_and_not1_saveexec_b32 s8, s8
	s_cbranch_execnz .LBB166_3248
.LBB166_3023:
	s_or_b32 exec_lo, exec_lo, s8
	v_mov_b32_e32 v10, 0
	s_and_saveexec_b32 s8, s7
.LBB166_3024:
	v_lshrrev_b32_e32 v7, 8, v7
	s_delay_alu instid0(VALU_DEP_1)
	v_and_or_b32 v10, 0x80, v7, v8
.LBB166_3025:
	s_or_b32 exec_lo, exec_lo, s8
.LBB166_3026:
	s_delay_alu instid0(SALU_CYCLE_1)
	s_or_b32 exec_lo, exec_lo, s6
	global_store_b8 v[2:3], v10, off
.LBB166_3027:
	s_mov_b32 s6, -1
.LBB166_3028:
	s_mov_b32 s7, 0
.LBB166_3029:
	s_delay_alu instid0(SALU_CYCLE_1)
	s_and_b32 vcc_lo, exec_lo, s7
	s_cbranch_vccz .LBB166_3069
; %bb.3030:
	s_cmp_gt_i32 s4, 22
	s_mov_b32 s5, -1
	s_cbranch_scc0 .LBB166_3062
; %bb.3031:
	s_cmp_lt_i32 s4, 24
	s_cbranch_scc1 .LBB166_3051
; %bb.3032:
	s_cmp_gt_i32 s4, 24
	s_cbranch_scc0 .LBB166_3040
; %bb.3033:
	s_wait_xcnt 0x0
	v_dual_mov_b32 v10, 0x80 :: v_dual_lshlrev_b32 v9, 16, v1
	s_mov_b32 s5, exec_lo
	s_delay_alu instid0(VALU_DEP_1) | instskip(NEXT) | instid1(VALU_DEP_1)
	v_and_b32_e32 v8, 0x7fffffff, v9
	v_cmpx_gt_u32_e32 0x47800000, v8
	s_cbranch_execz .LBB166_3039
; %bb.3034:
	v_and_b32_e32 v7, 0xffff, v1
	v_cmp_lt_u32_e32 vcc_lo, 0x37ffffff, v8
	s_mov_b32 s6, 0
                                        ; implicit-def: $vgpr8
	s_and_saveexec_b32 s7, vcc_lo
	s_delay_alu instid0(SALU_CYCLE_1)
	s_xor_b32 s7, exec_lo, s7
	s_cbranch_execz .LBB166_3250
; %bb.3035:
	v_bfe_u32 v8, v7, 5, 1
	s_mov_b32 s6, exec_lo
	s_delay_alu instid0(VALU_DEP_1) | instskip(NEXT) | instid1(VALU_DEP_1)
	v_add3_u32 v8, v9, v8, 0x88fffff
                                        ; implicit-def: $vgpr9
	v_lshrrev_b32_e32 v8, 21, v8
	s_and_not1_saveexec_b32 s7, s7
	s_cbranch_execnz .LBB166_3251
.LBB166_3036:
	s_or_b32 exec_lo, exec_lo, s7
	v_mov_b32_e32 v10, 0
	s_and_saveexec_b32 s7, s6
.LBB166_3037:
	v_lshrrev_b32_e32 v7, 8, v7
	s_delay_alu instid0(VALU_DEP_1)
	v_and_or_b32 v10, 0x80, v7, v8
.LBB166_3038:
	s_or_b32 exec_lo, exec_lo, s7
.LBB166_3039:
	s_delay_alu instid0(SALU_CYCLE_1)
	s_or_b32 exec_lo, exec_lo, s5
	s_mov_b32 s5, 0
	global_store_b8 v[2:3], v10, off
.LBB166_3040:
	s_and_b32 vcc_lo, exec_lo, s5
	s_cbranch_vccz .LBB166_3050
; %bb.3041:
	s_wait_xcnt 0x0
	v_lshlrev_b32_e32 v9, 16, v1
	v_and_b32_e32 v7, 0xffff, v1
	s_mov_b32 s5, exec_lo
                                        ; implicit-def: $vgpr8
	s_delay_alu instid0(VALU_DEP_2) | instskip(NEXT) | instid1(VALU_DEP_1)
	v_and_b32_e32 v10, 0x7fffffff, v9
	v_cmpx_gt_u32_e32 0x43f00000, v10
	s_xor_b32 s5, exec_lo, s5
	s_cbranch_execz .LBB166_3047
; %bb.3042:
	s_mov_b32 s6, exec_lo
                                        ; implicit-def: $vgpr8
	v_cmpx_lt_u32_e32 0x3c7fffff, v10
	s_xor_b32 s6, exec_lo, s6
; %bb.3043:
	v_bfe_u32 v8, v7, 4, 1
	s_delay_alu instid0(VALU_DEP_1) | instskip(NEXT) | instid1(VALU_DEP_1)
	v_add3_u32 v8, v9, v8, 0x407ffff
	v_and_b32_e32 v9, 0xff00000, v8
	v_lshrrev_b32_e32 v8, 20, v8
	s_delay_alu instid0(VALU_DEP_2) | instskip(NEXT) | instid1(VALU_DEP_2)
	v_cmp_ne_u32_e32 vcc_lo, 0x7f00000, v9
                                        ; implicit-def: $vgpr9
	v_cndmask_b32_e32 v8, 0x7e, v8, vcc_lo
; %bb.3044:
	s_and_not1_saveexec_b32 s6, s6
; %bb.3045:
	v_add_f32_e64 v8, 0x46800000, |v9|
; %bb.3046:
	s_or_b32 exec_lo, exec_lo, s6
                                        ; implicit-def: $vgpr10
.LBB166_3047:
	s_and_not1_saveexec_b32 s5, s5
; %bb.3048:
	v_mov_b32_e32 v8, 0x7f
	v_cmp_lt_u32_e32 vcc_lo, 0x7f800000, v10
	s_delay_alu instid0(VALU_DEP_2)
	v_cndmask_b32_e32 v8, 0x7e, v8, vcc_lo
; %bb.3049:
	s_or_b32 exec_lo, exec_lo, s5
	v_lshrrev_b32_e32 v7, 8, v7
	s_delay_alu instid0(VALU_DEP_1)
	v_and_or_b32 v7, 0x80, v7, v8
	global_store_b8 v[2:3], v7, off
.LBB166_3050:
	s_mov_b32 s5, 0
.LBB166_3051:
	s_delay_alu instid0(SALU_CYCLE_1)
	s_and_not1_b32 vcc_lo, exec_lo, s5
	s_cbranch_vccnz .LBB166_3061
; %bb.3052:
	s_wait_xcnt 0x0
	v_lshlrev_b32_e32 v9, 16, v1
	v_and_b32_e32 v7, 0xffff, v1
	s_mov_b32 s5, exec_lo
                                        ; implicit-def: $vgpr8
	s_delay_alu instid0(VALU_DEP_2) | instskip(NEXT) | instid1(VALU_DEP_1)
	v_and_b32_e32 v10, 0x7fffffff, v9
	v_cmpx_gt_u32_e32 0x47800000, v10
	s_xor_b32 s5, exec_lo, s5
	s_cbranch_execz .LBB166_3058
; %bb.3053:
	s_mov_b32 s6, exec_lo
                                        ; implicit-def: $vgpr8
	v_cmpx_lt_u32_e32 0x387fffff, v10
	s_xor_b32 s6, exec_lo, s6
; %bb.3054:
	v_bfe_u32 v8, v7, 5, 1
	s_delay_alu instid0(VALU_DEP_1) | instskip(NEXT) | instid1(VALU_DEP_1)
	v_add3_u32 v8, v9, v8, 0x80fffff
                                        ; implicit-def: $vgpr9
	v_lshrrev_b32_e32 v8, 21, v8
; %bb.3055:
	s_and_not1_saveexec_b32 s6, s6
; %bb.3056:
	v_add_f32_e64 v8, 0x43000000, |v9|
; %bb.3057:
	s_or_b32 exec_lo, exec_lo, s6
                                        ; implicit-def: $vgpr10
.LBB166_3058:
	s_and_not1_saveexec_b32 s5, s5
; %bb.3059:
	v_mov_b32_e32 v8, 0x7f
	v_cmp_lt_u32_e32 vcc_lo, 0x7f800000, v10
	s_delay_alu instid0(VALU_DEP_2)
	v_cndmask_b32_e32 v8, 0x7c, v8, vcc_lo
; %bb.3060:
	s_or_b32 exec_lo, exec_lo, s5
	v_lshrrev_b32_e32 v7, 8, v7
	s_delay_alu instid0(VALU_DEP_1)
	v_and_or_b32 v7, 0x80, v7, v8
	global_store_b8 v[2:3], v7, off
.LBB166_3061:
	s_mov_b32 s5, 0
	s_mov_b32 s6, -1
.LBB166_3062:
	s_and_not1_b32 vcc_lo, exec_lo, s5
	s_mov_b32 s5, 0
	s_cbranch_vccnz .LBB166_3069
; %bb.3063:
	s_cmp_gt_i32 s4, 14
	s_mov_b32 s5, -1
	s_cbranch_scc0 .LBB166_3067
; %bb.3064:
	s_cmp_eq_u32 s4, 15
	s_mov_b32 s0, -1
	s_cbranch_scc0 .LBB166_3066
; %bb.3065:
	s_mov_b32 s0, 0
	s_mov_b32 s6, -1
	global_store_b16 v[2:3], v1, off
.LBB166_3066:
	s_mov_b32 s5, 0
.LBB166_3067:
	s_delay_alu instid0(SALU_CYCLE_1)
	s_and_b32 vcc_lo, exec_lo, s5
	s_mov_b32 s5, 0
	s_cbranch_vccz .LBB166_3069
; %bb.3068:
	s_cmp_lg_u32 s4, 11
	s_mov_b32 s5, -1
	s_cselect_b32 s0, -1, 0
.LBB166_3069:
	s_delay_alu instid0(SALU_CYCLE_1)
	s_and_b32 vcc_lo, exec_lo, s0
	s_cbranch_vccnz .LBB166_3249
; %bb.3070:
	s_and_not1_b32 vcc_lo, exec_lo, s5
	s_cbranch_vccnz .LBB166_3072
.LBB166_3071:
	s_wait_xcnt 0x0
	v_and_b32_e32 v7, 0x7fff, v1
	s_mov_b32 s6, -1
	s_delay_alu instid0(VALU_DEP_1)
	v_cmp_ne_u16_e32 vcc_lo, 0, v7
	v_cndmask_b32_e64 v7, 0, 1, vcc_lo
	global_store_b8 v[2:3], v7, off
.LBB166_3072:
	s_mov_b32 s0, 0
	s_branch .LBB166_3074
.LBB166_3073:
	s_mov_b32 s0, -1
	s_mov_b32 s6, 0
.LBB166_3074:
	s_and_b32 vcc_lo, exec_lo, s0
	s_cbranch_vccz .LBB166_3113
; %bb.3075:
	s_and_b32 s0, 0xffff, s18
	s_mov_b32 s4, -1
	s_cmp_lt_i32 s0, 5
	s_cbranch_scc1 .LBB166_3096
; %bb.3076:
	s_cmp_lt_i32 s0, 8
	s_cbranch_scc1 .LBB166_3086
; %bb.3077:
	;; [unrolled: 3-line block ×3, first 2 shown]
	s_cmp_gt_i32 s0, 9
	s_cbranch_scc0 .LBB166_3080
; %bb.3079:
	s_wait_xcnt 0x0
	v_dual_mov_b32 v10, 0 :: v_dual_lshlrev_b32 v7, 16, v1
	s_mov_b32 s4, 0
	s_delay_alu instid0(VALU_DEP_1) | instskip(NEXT) | instid1(VALU_DEP_2)
	v_cvt_f64_f32_e32 v[8:9], v7
	v_mov_b32_e32 v11, v10
	global_store_b128 v[2:3], v[8:11], off
.LBB166_3080:
	s_and_not1_b32 vcc_lo, exec_lo, s4
	s_cbranch_vccnz .LBB166_3082
; %bb.3081:
	s_wait_xcnt 0x0
	v_dual_mov_b32 v9, 0 :: v_dual_lshlrev_b32 v8, 16, v1
	global_store_b64 v[2:3], v[8:9], off
.LBB166_3082:
	s_mov_b32 s4, 0
.LBB166_3083:
	s_delay_alu instid0(SALU_CYCLE_1)
	s_and_not1_b32 vcc_lo, exec_lo, s4
	s_cbranch_vccnz .LBB166_3085
; %bb.3084:
	s_wait_xcnt 0x0
	v_lshlrev_b32_e32 v7, 16, v1
	s_delay_alu instid0(VALU_DEP_1) | instskip(NEXT) | instid1(VALU_DEP_1)
	v_cvt_f16_f32_e32 v7, v7
	v_and_b32_e32 v7, 0xffff, v7
	global_store_b32 v[2:3], v7, off
.LBB166_3085:
	s_mov_b32 s4, 0
.LBB166_3086:
	s_delay_alu instid0(SALU_CYCLE_1)
	s_and_not1_b32 vcc_lo, exec_lo, s4
	s_cbranch_vccnz .LBB166_3095
; %bb.3087:
	s_cmp_lt_i32 s0, 6
	s_mov_b32 s4, -1
	s_cbranch_scc1 .LBB166_3093
; %bb.3088:
	s_cmp_gt_i32 s0, 6
	s_cbranch_scc0 .LBB166_3090
; %bb.3089:
	s_wait_xcnt 0x0
	v_lshlrev_b32_e32 v7, 16, v1
	s_mov_b32 s4, 0
	s_delay_alu instid0(VALU_DEP_1)
	v_cvt_f64_f32_e32 v[8:9], v7
	global_store_b64 v[2:3], v[8:9], off
.LBB166_3090:
	s_and_not1_b32 vcc_lo, exec_lo, s4
	s_cbranch_vccnz .LBB166_3092
; %bb.3091:
	s_wait_xcnt 0x0
	v_lshlrev_b32_e32 v7, 16, v1
	global_store_b32 v[2:3], v7, off
.LBB166_3092:
	s_mov_b32 s4, 0
.LBB166_3093:
	s_delay_alu instid0(SALU_CYCLE_1)
	s_and_not1_b32 vcc_lo, exec_lo, s4
	s_cbranch_vccnz .LBB166_3095
; %bb.3094:
	s_wait_xcnt 0x0
	v_lshlrev_b32_e32 v7, 16, v1
	s_delay_alu instid0(VALU_DEP_1)
	v_cvt_f16_f32_e32 v7, v7
	global_store_b16 v[2:3], v7, off
.LBB166_3095:
	s_mov_b32 s4, 0
.LBB166_3096:
	s_delay_alu instid0(SALU_CYCLE_1)
	s_and_not1_b32 vcc_lo, exec_lo, s4
	s_cbranch_vccnz .LBB166_3112
; %bb.3097:
	s_cmp_lt_i32 s0, 2
	s_mov_b32 s4, -1
	s_cbranch_scc1 .LBB166_3107
; %bb.3098:
	s_cmp_lt_i32 s0, 3
	s_cbranch_scc1 .LBB166_3104
; %bb.3099:
	s_cmp_gt_i32 s0, 3
	s_cbranch_scc0 .LBB166_3101
; %bb.3100:
	s_wait_xcnt 0x0
	v_lshlrev_b32_e32 v7, 16, v1
	s_mov_b32 s4, 0
	s_delay_alu instid0(VALU_DEP_1) | instskip(NEXT) | instid1(VALU_DEP_1)
	v_trunc_f32_e32 v7, v7
	v_mul_f32_e64 v8, 0x2f800000, |v7|
	s_delay_alu instid0(VALU_DEP_1) | instskip(SKIP_1) | instid1(VALU_DEP_2)
	v_floor_f32_e32 v9, v8
	v_ashrrev_i32_e32 v8, 31, v7
	v_fma_f32 v10, 0xcf800000, v9, |v7|
	v_cvt_u32_f32_e32 v7, v9
	s_delay_alu instid0(VALU_DEP_3) | instskip(NEXT) | instid1(VALU_DEP_3)
	v_mov_b32_e32 v9, v8
	v_cvt_u32_f32_e32 v10, v10
	s_delay_alu instid0(VALU_DEP_3) | instskip(NEXT) | instid1(VALU_DEP_2)
	v_xor_b32_e32 v11, v7, v8
	v_xor_b32_e32 v10, v10, v8
	s_delay_alu instid0(VALU_DEP_1)
	v_sub_nc_u64_e32 v[8:9], v[10:11], v[8:9]
	global_store_b64 v[2:3], v[8:9], off
.LBB166_3101:
	s_and_not1_b32 vcc_lo, exec_lo, s4
	s_cbranch_vccnz .LBB166_3103
; %bb.3102:
	s_wait_xcnt 0x0
	v_lshlrev_b32_e32 v7, 16, v1
	s_delay_alu instid0(VALU_DEP_1)
	v_cvt_i32_f32_e32 v7, v7
	global_store_b32 v[2:3], v7, off
.LBB166_3103:
	s_mov_b32 s4, 0
.LBB166_3104:
	s_delay_alu instid0(SALU_CYCLE_1)
	s_and_not1_b32 vcc_lo, exec_lo, s4
	s_cbranch_vccnz .LBB166_3106
; %bb.3105:
	s_wait_xcnt 0x0
	v_lshlrev_b32_e32 v7, 16, v1
	s_delay_alu instid0(VALU_DEP_1)
	v_cvt_i32_f32_e32 v7, v7
	global_store_b16 v[2:3], v7, off
.LBB166_3106:
	s_mov_b32 s4, 0
.LBB166_3107:
	s_delay_alu instid0(SALU_CYCLE_1)
	s_and_not1_b32 vcc_lo, exec_lo, s4
	s_cbranch_vccnz .LBB166_3112
; %bb.3108:
	s_wait_xcnt 0x0
	v_lshlrev_b32_e32 v1, 16, v1
	s_cmp_gt_i32 s0, 0
	s_mov_b32 s0, -1
	s_cbranch_scc0 .LBB166_3110
; %bb.3109:
	s_delay_alu instid0(VALU_DEP_1)
	v_cvt_i32_f32_e32 v7, v1
	s_mov_b32 s0, 0
	global_store_b8 v[2:3], v7, off
.LBB166_3110:
	s_and_not1_b32 vcc_lo, exec_lo, s0
	s_cbranch_vccnz .LBB166_3112
; %bb.3111:
	v_trunc_f32_e32 v1, v1
	s_wait_xcnt 0x0
	s_delay_alu instid0(VALU_DEP_1) | instskip(NEXT) | instid1(VALU_DEP_1)
	v_mul_f32_e64 v7, 0x2f800000, |v1|
	v_floor_f32_e32 v7, v7
	s_delay_alu instid0(VALU_DEP_1) | instskip(SKIP_1) | instid1(VALU_DEP_2)
	v_fma_f32 v7, 0xcf800000, v7, |v1|
	v_ashrrev_i32_e32 v1, 31, v1
	v_cvt_u32_f32_e32 v7, v7
	s_delay_alu instid0(VALU_DEP_1) | instskip(NEXT) | instid1(VALU_DEP_1)
	v_xor_b32_e32 v7, v7, v1
	v_sub_nc_u32_e32 v1, v7, v1
	global_store_b8 v[2:3], v1, off
.LBB166_3112:
	s_mov_b32 s6, -1
.LBB166_3113:
	s_delay_alu instid0(SALU_CYCLE_1)
	s_and_not1_b32 vcc_lo, exec_lo, s6
	s_cbranch_vccnz .LBB166_3190
; %bb.3114:
	s_wait_xcnt 0x0
	v_lshlrev_b32_e32 v1, 16, v4
	s_cmp_lt_i32 s18, 11
	s_delay_alu instid0(VALU_DEP_1) | instskip(NEXT) | instid1(VALU_DEP_1)
	v_dual_mul_f32 v1, v6, v1 :: v_dual_add_nc_u32 v0, s1, v0
	v_bfe_u32 v2, v1, 16, 1
	v_cmp_o_f32_e32 vcc_lo, v1, v1
	s_delay_alu instid0(VALU_DEP_2) | instskip(NEXT) | instid1(VALU_DEP_1)
	v_add3_u32 v2, v1, v2, 0x7fff
	v_and_b32_e32 v2, 0xffff0000, v2
	s_delay_alu instid0(VALU_DEP_1) | instskip(NEXT) | instid1(VALU_DEP_1)
	v_dual_cndmask_b32 v1, 0x7fc00000, v2 :: v_dual_lshlrev_b32 v2, 16, v5
	v_mul_f32_e32 v2, v1, v2
	s_delay_alu instid0(VALU_DEP_1) | instskip(NEXT) | instid1(VALU_DEP_1)
	v_bfe_u32 v1, v2, 16, 1
	v_add3_u32 v3, v2, v1, 0x7fff
	v_ashrrev_i32_e32 v1, 31, v0
	v_cmp_o_f32_e32 vcc_lo, v2, v2
	s_delay_alu instid0(VALU_DEP_3) | instskip(NEXT) | instid1(VALU_DEP_3)
	v_lshrrev_b32_e32 v3, 16, v3
	v_add_nc_u64_e32 v[0:1], s[2:3], v[0:1]
	s_delay_alu instid0(VALU_DEP_2)
	v_cndmask_b32_e32 v4, 0x7fc0, v3, vcc_lo
	s_cbranch_scc1 .LBB166_3235
; %bb.3115:
	s_and_b32 s2, 0xffff, s18
	s_mov_b32 s3, -1
	s_mov_b32 s1, 0
	s_cmp_gt_i32 s2, 25
	s_mov_b32 s0, 0
	s_cbranch_scc0 .LBB166_3148
; %bb.3116:
	s_cmp_gt_i32 s2, 28
	s_cbranch_scc0 .LBB166_3132
; %bb.3117:
	s_cmp_gt_i32 s2, 43
	;; [unrolled: 3-line block ×3, first 2 shown]
	s_cbranch_scc0 .LBB166_3122
; %bb.3119:
	s_cmp_eq_u32 s2, 46
	s_mov_b32 s0, -1
	s_cbranch_scc0 .LBB166_3121
; %bb.3120:
	v_and_b32_e32 v2, 0xffff, v4
	s_mov_b32 s0, 0
	global_store_b32 v[0:1], v2, off
.LBB166_3121:
	s_mov_b32 s3, 0
.LBB166_3122:
	s_delay_alu instid0(SALU_CYCLE_1)
	s_and_b32 vcc_lo, exec_lo, s3
	s_cbranch_vccz .LBB166_3127
; %bb.3123:
	s_cmp_eq_u32 s2, 44
	s_mov_b32 s0, -1
	s_cbranch_scc0 .LBB166_3127
; %bb.3124:
	s_wait_xcnt 0x0
	v_and_b32_e32 v2, 0xffff, v4
	v_mov_b32_e32 v3, 0xff
	s_mov_b32 s3, exec_lo
	s_delay_alu instid0(VALU_DEP_2) | instskip(NEXT) | instid1(VALU_DEP_1)
	v_bfe_u32 v5, v2, 7, 8
	v_cmpx_ne_u32_e32 0xff, v5
	s_cbranch_execz .LBB166_3126
; %bb.3125:
	v_dual_lshlrev_b32 v3, 16, v2 :: v_dual_bitop2_b32 v6, 64, v2 bitop3:0x40
	v_lshrrev_b32_e32 v2, 7, v2
	s_delay_alu instid0(VALU_DEP_2) | instskip(NEXT) | instid1(VALU_DEP_3)
	v_and_or_b32 v3, 0x3f0000, v3, v5
	v_cmp_ne_u32_e32 vcc_lo, 0, v6
	s_delay_alu instid0(VALU_DEP_2) | instskip(SKIP_1) | instid1(SALU_CYCLE_1)
	v_cmp_ne_u32_e64 s0, 0, v3
	s_and_b32 s0, vcc_lo, s0
	v_cndmask_b32_e64 v3, 0, 1, s0
	s_delay_alu instid0(VALU_DEP_1)
	v_add_nc_u32_e32 v3, v2, v3
.LBB166_3126:
	s_or_b32 exec_lo, exec_lo, s3
	s_mov_b32 s0, 0
	global_store_b8 v[0:1], v3, off
.LBB166_3127:
	s_mov_b32 s3, 0
.LBB166_3128:
	s_delay_alu instid0(SALU_CYCLE_1)
	s_and_b32 vcc_lo, exec_lo, s3
	s_cbranch_vccz .LBB166_3131
; %bb.3129:
	s_cmp_eq_u32 s2, 29
	s_mov_b32 s0, -1
	s_cbranch_scc0 .LBB166_3131
; %bb.3130:
	s_wait_xcnt 0x0
	v_lshlrev_b32_e32 v2, 16, v4
	s_mov_b32 s0, 0
	s_delay_alu instid0(VALU_DEP_1) | instskip(NEXT) | instid1(VALU_DEP_1)
	v_trunc_f32_e32 v2, v2
	v_mul_f32_e32 v3, 0x2f800000, v2
	s_delay_alu instid0(VALU_DEP_1) | instskip(NEXT) | instid1(VALU_DEP_1)
	v_floor_f32_e32 v3, v3
	v_fmamk_f32 v2, v3, 0xcf800000, v2
	v_cvt_u32_f32_e32 v3, v3
	s_delay_alu instid0(VALU_DEP_2)
	v_cvt_u32_f32_e32 v2, v2
	global_store_b64 v[0:1], v[2:3], off
.LBB166_3131:
	s_mov_b32 s3, 0
.LBB166_3132:
	s_delay_alu instid0(SALU_CYCLE_1)
	s_and_b32 vcc_lo, exec_lo, s3
	s_cbranch_vccz .LBB166_3147
; %bb.3133:
	s_cmp_lt_i32 s2, 27
	s_mov_b32 s3, -1
	s_cbranch_scc1 .LBB166_3139
; %bb.3134:
	s_cmp_gt_i32 s2, 27
	s_cbranch_scc0 .LBB166_3136
; %bb.3135:
	s_wait_xcnt 0x0
	v_lshlrev_b32_e32 v2, 16, v4
	s_mov_b32 s3, 0
	s_delay_alu instid0(VALU_DEP_1)
	v_cvt_u32_f32_e32 v2, v2
	global_store_b32 v[0:1], v2, off
.LBB166_3136:
	s_and_not1_b32 vcc_lo, exec_lo, s3
	s_cbranch_vccnz .LBB166_3138
; %bb.3137:
	s_wait_xcnt 0x0
	v_lshlrev_b32_e32 v2, 16, v4
	s_delay_alu instid0(VALU_DEP_1)
	v_cvt_u32_f32_e32 v2, v2
	global_store_b16 v[0:1], v2, off
.LBB166_3138:
	s_mov_b32 s3, 0
.LBB166_3139:
	s_delay_alu instid0(SALU_CYCLE_1)
	s_and_not1_b32 vcc_lo, exec_lo, s3
	s_cbranch_vccnz .LBB166_3147
; %bb.3140:
	v_dual_mov_b32 v6, 0x80 :: v_dual_lshlrev_b32 v5, 16, v4
	s_mov_b32 s3, exec_lo
	s_wait_xcnt 0x0
	s_delay_alu instid0(VALU_DEP_1) | instskip(NEXT) | instid1(VALU_DEP_1)
	v_and_b32_e32 v3, 0x7fffffff, v5
	v_cmpx_gt_u32_e32 0x43800000, v3
	s_cbranch_execz .LBB166_3146
; %bb.3141:
	v_and_b32_e32 v2, 0xffff, v4
	v_cmp_lt_u32_e32 vcc_lo, 0x3bffffff, v3
	s_mov_b32 s4, 0
                                        ; implicit-def: $vgpr3
	s_and_saveexec_b32 s5, vcc_lo
	s_delay_alu instid0(SALU_CYCLE_1)
	s_xor_b32 s5, exec_lo, s5
	s_cbranch_execz .LBB166_3252
; %bb.3142:
	v_bfe_u32 v3, v2, 4, 1
	s_mov_b32 s4, exec_lo
	s_delay_alu instid0(VALU_DEP_1) | instskip(NEXT) | instid1(VALU_DEP_1)
	v_add3_u32 v3, v5, v3, 0x487ffff
                                        ; implicit-def: $vgpr5
	v_lshrrev_b32_e32 v3, 20, v3
	s_and_not1_saveexec_b32 s5, s5
	s_cbranch_execnz .LBB166_3253
.LBB166_3143:
	s_or_b32 exec_lo, exec_lo, s5
	v_mov_b32_e32 v6, 0
	s_and_saveexec_b32 s5, s4
.LBB166_3144:
	v_lshrrev_b32_e32 v2, 8, v2
	s_delay_alu instid0(VALU_DEP_1)
	v_and_or_b32 v6, 0x80, v2, v3
.LBB166_3145:
	s_or_b32 exec_lo, exec_lo, s5
.LBB166_3146:
	s_delay_alu instid0(SALU_CYCLE_1)
	s_or_b32 exec_lo, exec_lo, s3
	global_store_b8 v[0:1], v6, off
.LBB166_3147:
	s_mov_b32 s3, 0
.LBB166_3148:
	s_delay_alu instid0(SALU_CYCLE_1)
	s_and_b32 vcc_lo, exec_lo, s3
	s_cbranch_vccz .LBB166_3188
; %bb.3149:
	s_cmp_gt_i32 s2, 22
	s_mov_b32 s1, -1
	s_cbranch_scc0 .LBB166_3181
; %bb.3150:
	s_cmp_lt_i32 s2, 24
	s_cbranch_scc1 .LBB166_3170
; %bb.3151:
	s_cmp_gt_i32 s2, 24
	s_cbranch_scc0 .LBB166_3159
; %bb.3152:
	s_wait_xcnt 0x0
	v_dual_mov_b32 v6, 0x80 :: v_dual_lshlrev_b32 v5, 16, v4
	s_mov_b32 s1, exec_lo
	s_delay_alu instid0(VALU_DEP_1) | instskip(NEXT) | instid1(VALU_DEP_1)
	v_and_b32_e32 v3, 0x7fffffff, v5
	v_cmpx_gt_u32_e32 0x47800000, v3
	s_cbranch_execz .LBB166_3158
; %bb.3153:
	v_and_b32_e32 v2, 0xffff, v4
	v_cmp_lt_u32_e32 vcc_lo, 0x37ffffff, v3
	s_mov_b32 s3, 0
                                        ; implicit-def: $vgpr3
	s_and_saveexec_b32 s4, vcc_lo
	s_delay_alu instid0(SALU_CYCLE_1)
	s_xor_b32 s4, exec_lo, s4
	s_cbranch_execz .LBB166_3255
; %bb.3154:
	v_bfe_u32 v3, v2, 5, 1
	s_mov_b32 s3, exec_lo
	s_delay_alu instid0(VALU_DEP_1) | instskip(NEXT) | instid1(VALU_DEP_1)
	v_add3_u32 v3, v5, v3, 0x88fffff
                                        ; implicit-def: $vgpr5
	v_lshrrev_b32_e32 v3, 21, v3
	s_and_not1_saveexec_b32 s4, s4
	s_cbranch_execnz .LBB166_3256
.LBB166_3155:
	s_or_b32 exec_lo, exec_lo, s4
	v_mov_b32_e32 v6, 0
	s_and_saveexec_b32 s4, s3
.LBB166_3156:
	v_lshrrev_b32_e32 v2, 8, v2
	s_delay_alu instid0(VALU_DEP_1)
	v_and_or_b32 v6, 0x80, v2, v3
.LBB166_3157:
	s_or_b32 exec_lo, exec_lo, s4
.LBB166_3158:
	s_delay_alu instid0(SALU_CYCLE_1)
	s_or_b32 exec_lo, exec_lo, s1
	s_mov_b32 s1, 0
	global_store_b8 v[0:1], v6, off
.LBB166_3159:
	s_and_b32 vcc_lo, exec_lo, s1
	s_cbranch_vccz .LBB166_3169
; %bb.3160:
	v_lshlrev_b32_e32 v5, 16, v4
	s_wait_xcnt 0x0
	v_and_b32_e32 v2, 0xffff, v4
	s_mov_b32 s1, exec_lo
                                        ; implicit-def: $vgpr3
	s_delay_alu instid0(VALU_DEP_2) | instskip(NEXT) | instid1(VALU_DEP_1)
	v_and_b32_e32 v6, 0x7fffffff, v5
	v_cmpx_gt_u32_e32 0x43f00000, v6
	s_xor_b32 s1, exec_lo, s1
	s_cbranch_execz .LBB166_3166
; %bb.3161:
	s_mov_b32 s3, exec_lo
                                        ; implicit-def: $vgpr3
	v_cmpx_lt_u32_e32 0x3c7fffff, v6
	s_xor_b32 s3, exec_lo, s3
; %bb.3162:
	v_bfe_u32 v3, v2, 4, 1
	s_delay_alu instid0(VALU_DEP_1) | instskip(NEXT) | instid1(VALU_DEP_1)
	v_add3_u32 v3, v5, v3, 0x407ffff
	v_and_b32_e32 v5, 0xff00000, v3
	v_lshrrev_b32_e32 v3, 20, v3
	s_delay_alu instid0(VALU_DEP_2) | instskip(NEXT) | instid1(VALU_DEP_2)
	v_cmp_ne_u32_e32 vcc_lo, 0x7f00000, v5
                                        ; implicit-def: $vgpr5
	v_cndmask_b32_e32 v3, 0x7e, v3, vcc_lo
; %bb.3163:
	s_and_not1_saveexec_b32 s3, s3
; %bb.3164:
	v_add_f32_e64 v3, 0x46800000, |v5|
; %bb.3165:
	s_or_b32 exec_lo, exec_lo, s3
                                        ; implicit-def: $vgpr6
.LBB166_3166:
	s_and_not1_saveexec_b32 s1, s1
; %bb.3167:
	v_mov_b32_e32 v3, 0x7f
	v_cmp_lt_u32_e32 vcc_lo, 0x7f800000, v6
	s_delay_alu instid0(VALU_DEP_2)
	v_cndmask_b32_e32 v3, 0x7e, v3, vcc_lo
; %bb.3168:
	s_or_b32 exec_lo, exec_lo, s1
	v_lshrrev_b32_e32 v2, 8, v2
	s_delay_alu instid0(VALU_DEP_1)
	v_and_or_b32 v2, 0x80, v2, v3
	global_store_b8 v[0:1], v2, off
.LBB166_3169:
	s_mov_b32 s1, 0
.LBB166_3170:
	s_delay_alu instid0(SALU_CYCLE_1)
	s_and_not1_b32 vcc_lo, exec_lo, s1
	s_cbranch_vccnz .LBB166_3180
; %bb.3171:
	v_lshlrev_b32_e32 v5, 16, v4
	s_wait_xcnt 0x0
	v_and_b32_e32 v2, 0xffff, v4
	s_mov_b32 s1, exec_lo
                                        ; implicit-def: $vgpr3
	s_delay_alu instid0(VALU_DEP_2) | instskip(NEXT) | instid1(VALU_DEP_1)
	v_and_b32_e32 v6, 0x7fffffff, v5
	v_cmpx_gt_u32_e32 0x47800000, v6
	s_xor_b32 s1, exec_lo, s1
	s_cbranch_execz .LBB166_3177
; %bb.3172:
	s_mov_b32 s3, exec_lo
                                        ; implicit-def: $vgpr3
	v_cmpx_lt_u32_e32 0x387fffff, v6
	s_xor_b32 s3, exec_lo, s3
; %bb.3173:
	v_bfe_u32 v3, v2, 5, 1
	s_delay_alu instid0(VALU_DEP_1) | instskip(NEXT) | instid1(VALU_DEP_1)
	v_add3_u32 v3, v5, v3, 0x80fffff
                                        ; implicit-def: $vgpr5
	v_lshrrev_b32_e32 v3, 21, v3
; %bb.3174:
	s_and_not1_saveexec_b32 s3, s3
; %bb.3175:
	v_add_f32_e64 v3, 0x43000000, |v5|
; %bb.3176:
	s_or_b32 exec_lo, exec_lo, s3
                                        ; implicit-def: $vgpr6
.LBB166_3177:
	s_and_not1_saveexec_b32 s1, s1
; %bb.3178:
	v_mov_b32_e32 v3, 0x7f
	v_cmp_lt_u32_e32 vcc_lo, 0x7f800000, v6
	s_delay_alu instid0(VALU_DEP_2)
	v_cndmask_b32_e32 v3, 0x7c, v3, vcc_lo
; %bb.3179:
	s_or_b32 exec_lo, exec_lo, s1
	v_lshrrev_b32_e32 v2, 8, v2
	s_delay_alu instid0(VALU_DEP_1)
	v_and_or_b32 v2, 0x80, v2, v3
	global_store_b8 v[0:1], v2, off
.LBB166_3180:
	s_mov_b32 s1, 0
.LBB166_3181:
	s_delay_alu instid0(SALU_CYCLE_1)
	s_and_not1_b32 vcc_lo, exec_lo, s1
	s_mov_b32 s1, 0
	s_cbranch_vccnz .LBB166_3188
; %bb.3182:
	s_cmp_gt_i32 s2, 14
	s_mov_b32 s1, -1
	s_cbranch_scc0 .LBB166_3186
; %bb.3183:
	s_cmp_eq_u32 s2, 15
	s_mov_b32 s0, -1
	s_cbranch_scc0 .LBB166_3185
; %bb.3184:
	s_mov_b32 s0, 0
	global_store_b16 v[0:1], v4, off
.LBB166_3185:
	s_mov_b32 s1, 0
.LBB166_3186:
	s_delay_alu instid0(SALU_CYCLE_1)
	s_and_b32 vcc_lo, exec_lo, s1
	s_mov_b32 s1, 0
	s_cbranch_vccz .LBB166_3188
; %bb.3187:
	s_cmp_lg_u32 s2, 11
	s_mov_b32 s1, -1
	s_cselect_b32 s0, -1, 0
.LBB166_3188:
	s_delay_alu instid0(SALU_CYCLE_1)
	s_and_b32 vcc_lo, exec_lo, s0
	s_cbranch_vccnz .LBB166_3254
.LBB166_3189:
	s_mov_b32 s0, 0
	s_branch .LBB166_3191
.LBB166_3190:
	s_mov_b32 s0, 0
	s_mov_b32 s1, 0
                                        ; implicit-def: $sgpr18
                                        ; implicit-def: $vgpr0_vgpr1
                                        ; implicit-def: $vgpr4
.LBB166_3191:
	s_and_not1_b32 s2, s17, exec_lo
	s_and_b32 s3, s14, exec_lo
	s_and_b32 s0, s0, exec_lo
	;; [unrolled: 1-line block ×3, first 2 shown]
	s_or_b32 s17, s2, s3
.LBB166_3192:
	s_wait_xcnt 0x0
	s_or_b32 exec_lo, exec_lo, s16
	s_and_saveexec_b32 s1, s17
	s_cbranch_execz .LBB166_3195
; %bb.3193:
	; divergent unreachable
	s_or_b32 exec_lo, exec_lo, s1
	s_and_saveexec_b32 s1, s14
	s_delay_alu instid0(SALU_CYCLE_1)
	s_xor_b32 s1, exec_lo, s1
	s_cbranch_execnz .LBB166_3196
.LBB166_3194:
	s_or_b32 exec_lo, exec_lo, s1
	s_and_saveexec_b32 s1, s0
	s_cbranch_execnz .LBB166_3197
	s_branch .LBB166_3234
.LBB166_3195:
	s_or_b32 exec_lo, exec_lo, s1
	s_and_saveexec_b32 s1, s14
	s_delay_alu instid0(SALU_CYCLE_1)
	s_xor_b32 s1, exec_lo, s1
	s_cbranch_execz .LBB166_3194
.LBB166_3196:
	s_wait_loadcnt 0x0
	v_and_b32_e32 v2, 0x7fff, v4
	s_delay_alu instid0(VALU_DEP_1)
	v_cmp_ne_u16_e32 vcc_lo, 0, v2
	v_cndmask_b32_e64 v2, 0, 1, vcc_lo
	global_store_b8 v[0:1], v2, off
	s_wait_xcnt 0x0
	s_or_b32 exec_lo, exec_lo, s1
	s_and_saveexec_b32 s1, s0
	s_cbranch_execz .LBB166_3234
.LBB166_3197:
	s_sext_i32_i16 s1, s18
	s_mov_b32 s0, -1
	s_cmp_lt_i32 s1, 5
	s_cbranch_scc1 .LBB166_3218
; %bb.3198:
	s_cmp_lt_i32 s1, 8
	s_cbranch_scc1 .LBB166_3208
; %bb.3199:
	;; [unrolled: 3-line block ×3, first 2 shown]
	s_wait_loadcnt 0x0
	v_lshlrev_b32_e32 v2, 16, v4
	s_cmp_gt_i32 s1, 9
	s_cbranch_scc0 .LBB166_3202
; %bb.3201:
	s_delay_alu instid0(VALU_DEP_1) | instskip(SKIP_2) | instid1(VALU_DEP_1)
	v_cvt_f64_f32_e32 v[6:7], v2
	v_mov_b32_e32 v8, 0
	s_mov_b32 s0, 0
	v_mov_b32_e32 v9, v8
	global_store_b128 v[0:1], v[6:9], off
.LBB166_3202:
	s_and_not1_b32 vcc_lo, exec_lo, s0
	s_cbranch_vccnz .LBB166_3204
; %bb.3203:
	v_mov_b32_e32 v3, 0
	global_store_b64 v[0:1], v[2:3], off
.LBB166_3204:
	s_mov_b32 s0, 0
.LBB166_3205:
	s_delay_alu instid0(SALU_CYCLE_1)
	s_and_not1_b32 vcc_lo, exec_lo, s0
	s_cbranch_vccnz .LBB166_3207
; %bb.3206:
	s_wait_loadcnt 0x0
	v_lshlrev_b32_e32 v2, 16, v4
	s_delay_alu instid0(VALU_DEP_1) | instskip(NEXT) | instid1(VALU_DEP_1)
	v_cvt_f16_f32_e32 v2, v2
	v_and_b32_e32 v2, 0xffff, v2
	global_store_b32 v[0:1], v2, off
.LBB166_3207:
	s_mov_b32 s0, 0
.LBB166_3208:
	s_delay_alu instid0(SALU_CYCLE_1)
	s_and_not1_b32 vcc_lo, exec_lo, s0
	s_cbranch_vccnz .LBB166_3217
; %bb.3209:
	s_sext_i32_i16 s1, s18
	s_mov_b32 s0, -1
	s_cmp_lt_i32 s1, 6
	s_cbranch_scc1 .LBB166_3215
; %bb.3210:
	s_wait_loadcnt 0x0
	v_lshlrev_b32_e32 v2, 16, v4
	s_cmp_gt_i32 s1, 6
	s_cbranch_scc0 .LBB166_3212
; %bb.3211:
	s_delay_alu instid0(VALU_DEP_1)
	v_cvt_f64_f32_e32 v[6:7], v2
	s_mov_b32 s0, 0
	global_store_b64 v[0:1], v[6:7], off
.LBB166_3212:
	s_and_not1_b32 vcc_lo, exec_lo, s0
	s_cbranch_vccnz .LBB166_3214
; %bb.3213:
	global_store_b32 v[0:1], v2, off
.LBB166_3214:
	s_mov_b32 s0, 0
.LBB166_3215:
	s_delay_alu instid0(SALU_CYCLE_1)
	s_and_not1_b32 vcc_lo, exec_lo, s0
	s_cbranch_vccnz .LBB166_3217
; %bb.3216:
	s_wait_loadcnt 0x0
	v_lshlrev_b32_e32 v2, 16, v4
	s_delay_alu instid0(VALU_DEP_1)
	v_cvt_f16_f32_e32 v2, v2
	global_store_b16 v[0:1], v2, off
.LBB166_3217:
	s_mov_b32 s0, 0
.LBB166_3218:
	s_delay_alu instid0(SALU_CYCLE_1)
	s_and_not1_b32 vcc_lo, exec_lo, s0
	s_cbranch_vccnz .LBB166_3234
; %bb.3219:
	s_sext_i32_i16 s1, s18
	s_mov_b32 s0, -1
	s_cmp_lt_i32 s1, 2
	s_cbranch_scc1 .LBB166_3229
; %bb.3220:
	s_cmp_lt_i32 s1, 3
	s_cbranch_scc1 .LBB166_3226
; %bb.3221:
	s_wait_loadcnt 0x0
	v_lshlrev_b32_e32 v2, 16, v4
	s_cmp_gt_i32 s1, 3
	s_cbranch_scc0 .LBB166_3223
; %bb.3222:
	s_delay_alu instid0(VALU_DEP_1) | instskip(SKIP_1) | instid1(VALU_DEP_1)
	v_trunc_f32_e32 v3, v2
	s_mov_b32 s0, 0
	v_mul_f32_e64 v5, 0x2f800000, |v3|
	v_ashrrev_i32_e32 v6, 31, v3
	s_delay_alu instid0(VALU_DEP_2) | instskip(NEXT) | instid1(VALU_DEP_1)
	v_floor_f32_e32 v5, v5
	v_fma_f32 v7, 0xcf800000, v5, |v3|
	v_cvt_u32_f32_e32 v3, v5
	s_delay_alu instid0(VALU_DEP_2) | instskip(NEXT) | instid1(VALU_DEP_2)
	v_cvt_u32_f32_e32 v5, v7
	v_dual_mov_b32 v7, v6 :: v_dual_bitop2_b32 v9, v3, v6 bitop3:0x14
	s_delay_alu instid0(VALU_DEP_2) | instskip(NEXT) | instid1(VALU_DEP_1)
	v_xor_b32_e32 v8, v5, v6
	v_sub_nc_u64_e32 v[6:7], v[8:9], v[6:7]
	global_store_b64 v[0:1], v[6:7], off
.LBB166_3223:
	s_and_not1_b32 vcc_lo, exec_lo, s0
	s_cbranch_vccnz .LBB166_3225
; %bb.3224:
	v_cvt_i32_f32_e32 v2, v2
	global_store_b32 v[0:1], v2, off
.LBB166_3225:
	s_mov_b32 s0, 0
.LBB166_3226:
	s_delay_alu instid0(SALU_CYCLE_1)
	s_and_not1_b32 vcc_lo, exec_lo, s0
	s_cbranch_vccnz .LBB166_3228
; %bb.3227:
	s_wait_loadcnt 0x0
	v_lshlrev_b32_e32 v2, 16, v4
	s_delay_alu instid0(VALU_DEP_1)
	v_cvt_i32_f32_e32 v2, v2
	global_store_b16 v[0:1], v2, off
.LBB166_3228:
	s_mov_b32 s0, 0
.LBB166_3229:
	s_delay_alu instid0(SALU_CYCLE_1)
	s_and_not1_b32 vcc_lo, exec_lo, s0
	s_cbranch_vccnz .LBB166_3234
; %bb.3230:
	s_wait_loadcnt 0x0
	v_lshlrev_b32_e32 v2, 16, v4
	s_sext_i32_i16 s0, s18
	s_delay_alu instid0(SALU_CYCLE_1)
	s_cmp_gt_i32 s0, 0
	s_mov_b32 s0, -1
	s_cbranch_scc0 .LBB166_3232
; %bb.3231:
	v_cvt_i32_f32_e32 v3, v2
	s_mov_b32 s0, 0
	global_store_b8 v[0:1], v3, off
.LBB166_3232:
	s_and_not1_b32 vcc_lo, exec_lo, s0
	s_cbranch_vccnz .LBB166_3234
; %bb.3233:
	v_trunc_f32_e32 v2, v2
	s_wait_xcnt 0x0
	s_delay_alu instid0(VALU_DEP_1) | instskip(NEXT) | instid1(VALU_DEP_1)
	v_mul_f32_e64 v3, 0x2f800000, |v2|
	v_floor_f32_e32 v3, v3
	s_delay_alu instid0(VALU_DEP_1) | instskip(SKIP_1) | instid1(VALU_DEP_2)
	v_fma_f32 v3, 0xcf800000, v3, |v2|
	v_ashrrev_i32_e32 v2, 31, v2
	v_cvt_u32_f32_e32 v3, v3
	s_delay_alu instid0(VALU_DEP_1) | instskip(NEXT) | instid1(VALU_DEP_1)
	v_xor_b32_e32 v3, v3, v2
	v_sub_nc_u32_e32 v2, v3, v2
	global_store_b8 v[0:1], v2, off
	s_endpgm
.LBB166_3234:
	s_endpgm
.LBB166_3235:
	s_mov_b32 s1, 0
	s_mov_b32 s0, -1
	s_branch .LBB166_3191
.LBB166_3236:
	s_or_b32 s14, s14, exec_lo
	s_trap 2
	s_cbranch_execz .LBB166_2705
	s_branch .LBB166_2706
.LBB166_3237:
	s_and_not1_saveexec_b32 s7, s7
	s_cbranch_execz .LBB166_2785
.LBB166_3238:
	v_add_f32_e64 v8, 0x46000000, |v13|
	s_and_not1_b32 s6, s6, exec_lo
	s_delay_alu instid0(VALU_DEP_1) | instskip(NEXT) | instid1(VALU_DEP_1)
	v_and_b32_e32 v8, 0xff, v8
	v_cmp_ne_u32_e32 vcc_lo, 0, v8
	s_and_b32 s8, vcc_lo, exec_lo
	s_delay_alu instid0(SALU_CYCLE_1)
	s_or_b32 s6, s6, s8
	s_or_b32 exec_lo, exec_lo, s7
	v_mov_b32_e32 v14, 0
	s_and_saveexec_b32 s7, s6
	s_cbranch_execnz .LBB166_2786
	s_branch .LBB166_2787
.LBB166_3239:
	s_or_b32 s14, s14, exec_lo
	s_trap 2
	s_cbranch_execz .LBB166_2833
	s_branch .LBB166_2834
.LBB166_3240:
	s_and_not1_saveexec_b32 s6, s6
	s_cbranch_execz .LBB166_2798
.LBB166_3241:
	v_add_f32_e64 v8, 0x42800000, |v13|
	s_and_not1_b32 s5, s5, exec_lo
	s_delay_alu instid0(VALU_DEP_1) | instskip(NEXT) | instid1(VALU_DEP_1)
	v_and_b32_e32 v8, 0xff, v8
	v_cmp_ne_u32_e32 vcc_lo, 0, v8
	s_and_b32 s7, vcc_lo, exec_lo
	s_delay_alu instid0(SALU_CYCLE_1)
	s_or_b32 s5, s5, s7
	s_or_b32 exec_lo, exec_lo, s6
	v_mov_b32_e32 v14, 0
	s_and_saveexec_b32 s6, s5
	s_cbranch_execnz .LBB166_2799
	s_branch .LBB166_2800
.LBB166_3242:
	s_and_not1_saveexec_b32 s8, s8
	s_cbranch_execz .LBB166_2904
.LBB166_3243:
	v_add_f32_e64 v8, 0x46000000, |v9|
	s_and_not1_b32 s7, s7, exec_lo
	s_delay_alu instid0(VALU_DEP_1) | instskip(NEXT) | instid1(VALU_DEP_1)
	v_and_b32_e32 v8, 0xff, v8
	v_cmp_ne_u32_e32 vcc_lo, 0, v8
	s_and_b32 s9, vcc_lo, exec_lo
	s_delay_alu instid0(SALU_CYCLE_1)
	s_or_b32 s7, s7, s9
	s_or_b32 exec_lo, exec_lo, s8
	v_mov_b32_e32 v10, 0
	s_and_saveexec_b32 s8, s7
	s_cbranch_execnz .LBB166_2905
	s_branch .LBB166_2906
.LBB166_3244:
	s_or_b32 s14, s14, exec_lo
	s_trap 2
	s_cbranch_execz .LBB166_2952
	s_branch .LBB166_2953
.LBB166_3245:
	s_and_not1_saveexec_b32 s7, s7
	s_cbranch_execz .LBB166_2917
.LBB166_3246:
	v_add_f32_e64 v8, 0x42800000, |v9|
	s_and_not1_b32 s6, s6, exec_lo
	s_delay_alu instid0(VALU_DEP_1) | instskip(NEXT) | instid1(VALU_DEP_1)
	v_and_b32_e32 v8, 0xff, v8
	v_cmp_ne_u32_e32 vcc_lo, 0, v8
	s_and_b32 s8, vcc_lo, exec_lo
	s_delay_alu instid0(SALU_CYCLE_1)
	s_or_b32 s6, s6, s8
	s_or_b32 exec_lo, exec_lo, s7
	v_mov_b32_e32 v10, 0
	s_and_saveexec_b32 s7, s6
	s_cbranch_execnz .LBB166_2918
	s_branch .LBB166_2919
.LBB166_3247:
	s_and_not1_saveexec_b32 s8, s8
	s_cbranch_execz .LBB166_3023
.LBB166_3248:
	v_add_f32_e64 v8, 0x46000000, |v9|
	s_and_not1_b32 s7, s7, exec_lo
	s_delay_alu instid0(VALU_DEP_1) | instskip(NEXT) | instid1(VALU_DEP_1)
	v_and_b32_e32 v8, 0xff, v8
	v_cmp_ne_u32_e32 vcc_lo, 0, v8
	s_and_b32 s9, vcc_lo, exec_lo
	s_delay_alu instid0(SALU_CYCLE_1)
	s_or_b32 s7, s7, s9
	s_or_b32 exec_lo, exec_lo, s8
	v_mov_b32_e32 v10, 0
	s_and_saveexec_b32 s8, s7
	s_cbranch_execnz .LBB166_3024
	s_branch .LBB166_3025
.LBB166_3249:
	s_or_b32 s14, s14, exec_lo
	s_trap 2
	s_cbranch_execz .LBB166_3071
	s_branch .LBB166_3072
.LBB166_3250:
	s_and_not1_saveexec_b32 s7, s7
	s_cbranch_execz .LBB166_3036
.LBB166_3251:
	v_add_f32_e64 v8, 0x42800000, |v9|
	s_and_not1_b32 s6, s6, exec_lo
	s_delay_alu instid0(VALU_DEP_1) | instskip(NEXT) | instid1(VALU_DEP_1)
	v_and_b32_e32 v8, 0xff, v8
	v_cmp_ne_u32_e32 vcc_lo, 0, v8
	s_and_b32 s8, vcc_lo, exec_lo
	s_delay_alu instid0(SALU_CYCLE_1)
	s_or_b32 s6, s6, s8
	s_or_b32 exec_lo, exec_lo, s7
	v_mov_b32_e32 v10, 0
	s_and_saveexec_b32 s7, s6
	s_cbranch_execnz .LBB166_3037
	s_branch .LBB166_3038
.LBB166_3252:
	s_and_not1_saveexec_b32 s5, s5
	s_cbranch_execz .LBB166_3143
.LBB166_3253:
	v_add_f32_e64 v3, 0x46000000, |v5|
	s_and_not1_b32 s4, s4, exec_lo
	s_delay_alu instid0(VALU_DEP_1) | instskip(NEXT) | instid1(VALU_DEP_1)
	v_and_b32_e32 v3, 0xff, v3
	v_cmp_ne_u32_e32 vcc_lo, 0, v3
	s_and_b32 s6, vcc_lo, exec_lo
	s_delay_alu instid0(SALU_CYCLE_1)
	s_or_b32 s4, s4, s6
	s_or_b32 exec_lo, exec_lo, s5
	v_mov_b32_e32 v6, 0
	s_and_saveexec_b32 s5, s4
	s_cbranch_execnz .LBB166_3144
	s_branch .LBB166_3145
.LBB166_3254:
	s_mov_b32 s1, 0
	s_or_b32 s14, s14, exec_lo
	s_trap 2
	s_branch .LBB166_3189
.LBB166_3255:
	s_and_not1_saveexec_b32 s4, s4
	s_cbranch_execz .LBB166_3155
.LBB166_3256:
	v_add_f32_e64 v3, 0x42800000, |v5|
	s_and_not1_b32 s3, s3, exec_lo
	s_delay_alu instid0(VALU_DEP_1) | instskip(NEXT) | instid1(VALU_DEP_1)
	v_and_b32_e32 v3, 0xff, v3
	v_cmp_ne_u32_e32 vcc_lo, 0, v3
	s_and_b32 s5, vcc_lo, exec_lo
	s_delay_alu instid0(SALU_CYCLE_1)
	s_or_b32 s3, s3, s5
	s_or_b32 exec_lo, exec_lo, s4
	v_mov_b32_e32 v6, 0
	s_and_saveexec_b32 s4, s3
	s_cbranch_execnz .LBB166_3156
	s_branch .LBB166_3157
	.section	.rodata,"a",@progbits
	.p2align	6, 0x0
	.amdhsa_kernel _ZN2at6native32elementwise_kernel_manual_unrollILi128ELi4EZNS0_15gpu_kernel_implIZZZNS0_12_GLOBAL__N_116addr_kernel_cudaERNS_14TensorIteratorERKN3c106ScalarES9_ENKUlvE_clEvENKUlvE8_clEvEUlNS6_8BFloat16ESC_SC_E_EEvRNS_18TensorIteratorBaseERKT_EUlibE_EEviT1_
		.amdhsa_group_segment_fixed_size 0
		.amdhsa_private_segment_fixed_size 0
		.amdhsa_kernarg_size 64
		.amdhsa_user_sgpr_count 2
		.amdhsa_user_sgpr_dispatch_ptr 0
		.amdhsa_user_sgpr_queue_ptr 0
		.amdhsa_user_sgpr_kernarg_segment_ptr 1
		.amdhsa_user_sgpr_dispatch_id 0
		.amdhsa_user_sgpr_kernarg_preload_length 0
		.amdhsa_user_sgpr_kernarg_preload_offset 0
		.amdhsa_user_sgpr_private_segment_size 0
		.amdhsa_wavefront_size32 1
		.amdhsa_uses_dynamic_stack 0
		.amdhsa_enable_private_segment 0
		.amdhsa_system_sgpr_workgroup_id_x 1
		.amdhsa_system_sgpr_workgroup_id_y 0
		.amdhsa_system_sgpr_workgroup_id_z 0
		.amdhsa_system_sgpr_workgroup_info 0
		.amdhsa_system_vgpr_workitem_id 0
		.amdhsa_next_free_vgpr 18
		.amdhsa_next_free_sgpr 40
		.amdhsa_named_barrier_count 0
		.amdhsa_reserve_vcc 1
		.amdhsa_float_round_mode_32 0
		.amdhsa_float_round_mode_16_64 0
		.amdhsa_float_denorm_mode_32 3
		.amdhsa_float_denorm_mode_16_64 3
		.amdhsa_fp16_overflow 0
		.amdhsa_memory_ordered 1
		.amdhsa_forward_progress 1
		.amdhsa_inst_pref_size 255
		.amdhsa_round_robin_scheduling 0
		.amdhsa_exception_fp_ieee_invalid_op 0
		.amdhsa_exception_fp_denorm_src 0
		.amdhsa_exception_fp_ieee_div_zero 0
		.amdhsa_exception_fp_ieee_overflow 0
		.amdhsa_exception_fp_ieee_underflow 0
		.amdhsa_exception_fp_ieee_inexact 0
		.amdhsa_exception_int_div_zero 0
	.end_amdhsa_kernel
	.section	.text._ZN2at6native32elementwise_kernel_manual_unrollILi128ELi4EZNS0_15gpu_kernel_implIZZZNS0_12_GLOBAL__N_116addr_kernel_cudaERNS_14TensorIteratorERKN3c106ScalarES9_ENKUlvE_clEvENKUlvE8_clEvEUlNS6_8BFloat16ESC_SC_E_EEvRNS_18TensorIteratorBaseERKT_EUlibE_EEviT1_,"axG",@progbits,_ZN2at6native32elementwise_kernel_manual_unrollILi128ELi4EZNS0_15gpu_kernel_implIZZZNS0_12_GLOBAL__N_116addr_kernel_cudaERNS_14TensorIteratorERKN3c106ScalarES9_ENKUlvE_clEvENKUlvE8_clEvEUlNS6_8BFloat16ESC_SC_E_EEvRNS_18TensorIteratorBaseERKT_EUlibE_EEviT1_,comdat
.Lfunc_end166:
	.size	_ZN2at6native32elementwise_kernel_manual_unrollILi128ELi4EZNS0_15gpu_kernel_implIZZZNS0_12_GLOBAL__N_116addr_kernel_cudaERNS_14TensorIteratorERKN3c106ScalarES9_ENKUlvE_clEvENKUlvE8_clEvEUlNS6_8BFloat16ESC_SC_E_EEvRNS_18TensorIteratorBaseERKT_EUlibE_EEviT1_, .Lfunc_end166-_ZN2at6native32elementwise_kernel_manual_unrollILi128ELi4EZNS0_15gpu_kernel_implIZZZNS0_12_GLOBAL__N_116addr_kernel_cudaERNS_14TensorIteratorERKN3c106ScalarES9_ENKUlvE_clEvENKUlvE8_clEvEUlNS6_8BFloat16ESC_SC_E_EEvRNS_18TensorIteratorBaseERKT_EUlibE_EEviT1_
                                        ; -- End function
	.set _ZN2at6native32elementwise_kernel_manual_unrollILi128ELi4EZNS0_15gpu_kernel_implIZZZNS0_12_GLOBAL__N_116addr_kernel_cudaERNS_14TensorIteratorERKN3c106ScalarES9_ENKUlvE_clEvENKUlvE8_clEvEUlNS6_8BFloat16ESC_SC_E_EEvRNS_18TensorIteratorBaseERKT_EUlibE_EEviT1_.num_vgpr, 18
	.set _ZN2at6native32elementwise_kernel_manual_unrollILi128ELi4EZNS0_15gpu_kernel_implIZZZNS0_12_GLOBAL__N_116addr_kernel_cudaERNS_14TensorIteratorERKN3c106ScalarES9_ENKUlvE_clEvENKUlvE8_clEvEUlNS6_8BFloat16ESC_SC_E_EEvRNS_18TensorIteratorBaseERKT_EUlibE_EEviT1_.num_agpr, 0
	.set _ZN2at6native32elementwise_kernel_manual_unrollILi128ELi4EZNS0_15gpu_kernel_implIZZZNS0_12_GLOBAL__N_116addr_kernel_cudaERNS_14TensorIteratorERKN3c106ScalarES9_ENKUlvE_clEvENKUlvE8_clEvEUlNS6_8BFloat16ESC_SC_E_EEvRNS_18TensorIteratorBaseERKT_EUlibE_EEviT1_.numbered_sgpr, 40
	.set _ZN2at6native32elementwise_kernel_manual_unrollILi128ELi4EZNS0_15gpu_kernel_implIZZZNS0_12_GLOBAL__N_116addr_kernel_cudaERNS_14TensorIteratorERKN3c106ScalarES9_ENKUlvE_clEvENKUlvE8_clEvEUlNS6_8BFloat16ESC_SC_E_EEvRNS_18TensorIteratorBaseERKT_EUlibE_EEviT1_.num_named_barrier, 0
	.set _ZN2at6native32elementwise_kernel_manual_unrollILi128ELi4EZNS0_15gpu_kernel_implIZZZNS0_12_GLOBAL__N_116addr_kernel_cudaERNS_14TensorIteratorERKN3c106ScalarES9_ENKUlvE_clEvENKUlvE8_clEvEUlNS6_8BFloat16ESC_SC_E_EEvRNS_18TensorIteratorBaseERKT_EUlibE_EEviT1_.private_seg_size, 0
	.set _ZN2at6native32elementwise_kernel_manual_unrollILi128ELi4EZNS0_15gpu_kernel_implIZZZNS0_12_GLOBAL__N_116addr_kernel_cudaERNS_14TensorIteratorERKN3c106ScalarES9_ENKUlvE_clEvENKUlvE8_clEvEUlNS6_8BFloat16ESC_SC_E_EEvRNS_18TensorIteratorBaseERKT_EUlibE_EEviT1_.uses_vcc, 1
	.set _ZN2at6native32elementwise_kernel_manual_unrollILi128ELi4EZNS0_15gpu_kernel_implIZZZNS0_12_GLOBAL__N_116addr_kernel_cudaERNS_14TensorIteratorERKN3c106ScalarES9_ENKUlvE_clEvENKUlvE8_clEvEUlNS6_8BFloat16ESC_SC_E_EEvRNS_18TensorIteratorBaseERKT_EUlibE_EEviT1_.uses_flat_scratch, 0
	.set _ZN2at6native32elementwise_kernel_manual_unrollILi128ELi4EZNS0_15gpu_kernel_implIZZZNS0_12_GLOBAL__N_116addr_kernel_cudaERNS_14TensorIteratorERKN3c106ScalarES9_ENKUlvE_clEvENKUlvE8_clEvEUlNS6_8BFloat16ESC_SC_E_EEvRNS_18TensorIteratorBaseERKT_EUlibE_EEviT1_.has_dyn_sized_stack, 0
	.set _ZN2at6native32elementwise_kernel_manual_unrollILi128ELi4EZNS0_15gpu_kernel_implIZZZNS0_12_GLOBAL__N_116addr_kernel_cudaERNS_14TensorIteratorERKN3c106ScalarES9_ENKUlvE_clEvENKUlvE8_clEvEUlNS6_8BFloat16ESC_SC_E_EEvRNS_18TensorIteratorBaseERKT_EUlibE_EEviT1_.has_recursion, 0
	.set _ZN2at6native32elementwise_kernel_manual_unrollILi128ELi4EZNS0_15gpu_kernel_implIZZZNS0_12_GLOBAL__N_116addr_kernel_cudaERNS_14TensorIteratorERKN3c106ScalarES9_ENKUlvE_clEvENKUlvE8_clEvEUlNS6_8BFloat16ESC_SC_E_EEvRNS_18TensorIteratorBaseERKT_EUlibE_EEviT1_.has_indirect_call, 0
	.section	.AMDGPU.csdata,"",@progbits
; Kernel info:
; codeLenInByte = 71736
; TotalNumSgprs: 42
; NumVgprs: 18
; ScratchSize: 0
; MemoryBound: 0
; FloatMode: 240
; IeeeMode: 1
; LDSByteSize: 0 bytes/workgroup (compile time only)
; SGPRBlocks: 0
; VGPRBlocks: 1
; NumSGPRsForWavesPerEU: 42
; NumVGPRsForWavesPerEU: 18
; NamedBarCnt: 0
; Occupancy: 16
; WaveLimiterHint : 0
; COMPUTE_PGM_RSRC2:SCRATCH_EN: 0
; COMPUTE_PGM_RSRC2:USER_SGPR: 2
; COMPUTE_PGM_RSRC2:TRAP_HANDLER: 0
; COMPUTE_PGM_RSRC2:TGID_X_EN: 1
; COMPUTE_PGM_RSRC2:TGID_Y_EN: 0
; COMPUTE_PGM_RSRC2:TGID_Z_EN: 0
; COMPUTE_PGM_RSRC2:TIDIG_COMP_CNT: 0
	.section	.text._ZN2at6native32elementwise_kernel_manual_unrollILi128ELi4EZNS0_15gpu_kernel_implIZZZNS0_12_GLOBAL__N_116addr_kernel_cudaERNS_14TensorIteratorERKN3c106ScalarES9_ENKUlvE_clEvENKUlvE8_clEvEUlNS6_8BFloat16ESC_SC_E_EEvRNS_18TensorIteratorBaseERKT_EUlibE0_EEviT1_,"axG",@progbits,_ZN2at6native32elementwise_kernel_manual_unrollILi128ELi4EZNS0_15gpu_kernel_implIZZZNS0_12_GLOBAL__N_116addr_kernel_cudaERNS_14TensorIteratorERKN3c106ScalarES9_ENKUlvE_clEvENKUlvE8_clEvEUlNS6_8BFloat16ESC_SC_E_EEvRNS_18TensorIteratorBaseERKT_EUlibE0_EEviT1_,comdat
	.globl	_ZN2at6native32elementwise_kernel_manual_unrollILi128ELi4EZNS0_15gpu_kernel_implIZZZNS0_12_GLOBAL__N_116addr_kernel_cudaERNS_14TensorIteratorERKN3c106ScalarES9_ENKUlvE_clEvENKUlvE8_clEvEUlNS6_8BFloat16ESC_SC_E_EEvRNS_18TensorIteratorBaseERKT_EUlibE0_EEviT1_ ; -- Begin function _ZN2at6native32elementwise_kernel_manual_unrollILi128ELi4EZNS0_15gpu_kernel_implIZZZNS0_12_GLOBAL__N_116addr_kernel_cudaERNS_14TensorIteratorERKN3c106ScalarES9_ENKUlvE_clEvENKUlvE8_clEvEUlNS6_8BFloat16ESC_SC_E_EEvRNS_18TensorIteratorBaseERKT_EUlibE0_EEviT1_
	.p2align	8
	.type	_ZN2at6native32elementwise_kernel_manual_unrollILi128ELi4EZNS0_15gpu_kernel_implIZZZNS0_12_GLOBAL__N_116addr_kernel_cudaERNS_14TensorIteratorERKN3c106ScalarES9_ENKUlvE_clEvENKUlvE8_clEvEUlNS6_8BFloat16ESC_SC_E_EEvRNS_18TensorIteratorBaseERKT_EUlibE0_EEviT1_,@function
_ZN2at6native32elementwise_kernel_manual_unrollILi128ELi4EZNS0_15gpu_kernel_implIZZZNS0_12_GLOBAL__N_116addr_kernel_cudaERNS_14TensorIteratorERKN3c106ScalarES9_ENKUlvE_clEvENKUlvE8_clEvEUlNS6_8BFloat16ESC_SC_E_EEvRNS_18TensorIteratorBaseERKT_EUlibE0_EEviT1_: ; @_ZN2at6native32elementwise_kernel_manual_unrollILi128ELi4EZNS0_15gpu_kernel_implIZZZNS0_12_GLOBAL__N_116addr_kernel_cudaERNS_14TensorIteratorERKN3c106ScalarES9_ENKUlvE_clEvENKUlvE8_clEvEUlNS6_8BFloat16ESC_SC_E_EEvRNS_18TensorIteratorBaseERKT_EUlibE0_EEviT1_
; %bb.0:
	s_clause 0x1
	s_load_b32 s15, s[0:1], 0x8
	s_load_b32 s40, s[0:1], 0x0
	s_bfe_u32 s2, ttmp6, 0x4000c
	s_and_b32 s3, ttmp6, 15
	s_add_co_i32 s2, s2, 1
	s_getreg_b32 s4, hwreg(HW_REG_IB_STS2, 6, 4)
	s_mul_i32 s2, ttmp9, s2
	s_mov_b32 s29, 0
	s_add_co_i32 s3, s3, s2
	s_cmp_eq_u32 s4, 0
	s_mov_b32 s24, -1
	s_cselect_b32 s2, ttmp9, s3
	s_mov_b32 s6, 0
	v_lshl_or_b32 v0, s2, 9, v0
	s_add_nc_u64 s[2:3], s[0:1], 8
	s_wait_xcnt 0x0
	s_mov_b32 s0, exec_lo
	s_delay_alu instid0(VALU_DEP_1) | instskip(SKIP_2) | instid1(SALU_CYCLE_1)
	v_or_b32_e32 v5, 0x180, v0
	s_wait_kmcnt 0x0
	s_add_co_i32 s28, s15, -1
	s_cmp_gt_u32 s28, 1
	s_cselect_b32 s30, -1, 0
	v_cmpx_le_i32_e64 s40, v5
	s_xor_b32 s31, exec_lo, s0
	s_cbranch_execz .LBB167_1670
; %bb.1:
	v_mov_b32_e32 v1, 0
	s_clause 0x7
	s_load_b128 s[8:11], s[2:3], 0x4
	s_load_b64 s[0:1], s[2:3], 0x14
	s_load_b32 s25, s[2:3], 0x1e8
	s_load_b128 s[4:7], s[2:3], 0x1d8
	s_load_b32 s37, s[2:3], 0xc4
	s_load_b96 s[12:14], s[2:3], 0xcc
	s_load_b64 s[20:21], s[2:3], 0xdc
	s_load_b64 s[16:17], s[2:3], 0x1c8
	s_cmp_lg_u32 s15, 0
	s_mov_b32 s19, 0
	global_load_b32 v1, v1, s[2:3] offset:490
	s_cselect_b32 s41, -1, 0
	s_min_u32 s39, s28, 15
	s_cmp_gt_u32 s15, 1
	s_mov_b32 s23, s19
	s_mov_b32 s45, s19
	s_mov_b32 s44, s19
	s_mov_b32 s43, s19
	s_cselect_b32 s38, -1, 0
	s_mov_b32 s42, s19
	s_mov_b32 s46, exec_lo
	s_wait_kmcnt 0x0
	s_mov_b32 s18, s9
	s_mov_b32 s22, s0
	s_lshl_b32 s9, s25, 16
	s_wait_loadcnt 0x0
	v_readfirstlane_b32 s33, v1
	s_lshr_b32 s35, s33, 16
	s_lshr_b32 s36, s33, 8
	s_lshr_b32 s34, s33, 24
	v_cmpx_gt_i32_e64 s40, v0
	s_cbranch_execz .LBB167_413
; %bb.2:
	s_and_not1_b32 vcc_lo, exec_lo, s30
	s_cbranch_vccnz .LBB167_8
; %bb.3:
	s_and_not1_b32 vcc_lo, exec_lo, s41
	s_cbranch_vccnz .LBB167_9
; %bb.4:
	v_dual_mov_b32 v2, 0 :: v_dual_mov_b32 v1, v0
	v_dual_mov_b32 v6, 0 :: v_dual_mov_b32 v4, 0
	s_add_co_i32 s0, s39, 1
	s_mov_b64 s[24:25], 0xffffffffffffffe0
	s_and_b32 s0, s0, 30
	s_add_nc_u64 s[24:25], s[2:3], s[24:25]
	s_mov_b64 s[26:27], s[2:3]
.LBB167_5:                              ; =>This Inner Loop Header: Depth=1
	s_clause 0x1
	s_load_b128 s[48:51], s[26:27], 0x4
	s_load_b64 s[42:43], s[26:27], 0x14
	s_load_b32 s44, s[24:25], 0xe4
	s_add_co_i32 s0, s0, -2
	s_wait_xcnt 0x0
	s_add_nc_u64 s[26:27], s[26:27], 24
	s_cmp_lg_u32 s0, 0
	s_wait_kmcnt 0x0
	v_mul_hi_u32 v3, s49, v1
	s_delay_alu instid0(VALU_DEP_1) | instskip(NEXT) | instid1(VALU_DEP_1)
	v_add_nc_u32_e32 v3, v1, v3
	v_lshrrev_b32_e32 v3, s50, v3
	s_delay_alu instid0(VALU_DEP_1) | instskip(SKIP_2) | instid1(VALU_DEP_1)
	v_mul_hi_u32 v5, s42, v3
	v_mul_lo_u32 v7, v3, s48
	s_load_b96 s[48:50], s[24:25], 0xec
	v_dual_add_nc_u32 v5, v3, v5 :: v_dual_sub_nc_u32 v7, v1, v7
	s_delay_alu instid0(VALU_DEP_1) | instskip(SKIP_1) | instid1(VALU_DEP_2)
	v_lshrrev_b32_e32 v1, s43, v5
	s_load_b64 s[42:43], s[24:25], 0xfc
	v_mad_u32 v2, v7, s44, v2
	s_wait_xcnt 0x0
	s_add_nc_u64 s[24:25], s[24:25], 32
	v_mul_lo_u32 v5, v1, s51
	s_wait_kmcnt 0x0
	v_mad_u32 v4, v7, s49, v4
	v_mad_u32 v6, v7, s48, v6
	s_delay_alu instid0(VALU_DEP_3) | instskip(NEXT) | instid1(VALU_DEP_1)
	v_sub_nc_u32_e32 v3, v3, v5
	v_mad_u32 v2, v3, s50, v2
	s_delay_alu instid0(VALU_DEP_4) | instskip(NEXT) | instid1(VALU_DEP_4)
	v_mad_u32 v4, v3, s43, v4
	v_mad_u32 v6, v3, s42, v6
	s_cbranch_scc1 .LBB167_5
; %bb.6:
	s_bitcmp1_b32 s39, 0
	s_cselect_b32 s0, -1, 0
	s_delay_alu instid0(SALU_CYCLE_1)
	s_and_b32 vcc_lo, exec_lo, s0
	s_cbranch_vccnz .LBB167_10
; %bb.7:
	s_load_b96 s[48:50], s[26:27], 0x4
	s_load_b32 s0, s[24:25], 0xe4
	s_wait_xcnt 0x0
	s_load_b64 s[26:27], s[24:25], 0xec
	s_wait_kmcnt 0x0
	v_mul_hi_u32 v3, s49, v1
	s_delay_alu instid0(VALU_DEP_1) | instskip(NEXT) | instid1(VALU_DEP_1)
	v_add_nc_u32_e32 v3, v1, v3
	v_lshrrev_b32_e32 v3, s50, v3
	s_delay_alu instid0(VALU_DEP_1) | instskip(NEXT) | instid1(VALU_DEP_1)
	v_mul_lo_u32 v3, v3, s48
	v_sub_nc_u32_e32 v1, v1, v3
	s_delay_alu instid0(VALU_DEP_1)
	v_mad_u32 v2, v1, s0, v2
	v_mad_u32 v6, v1, s26, v6
	;; [unrolled: 1-line block ×3, first 2 shown]
	s_cbranch_execz .LBB167_11
	s_branch .LBB167_13
.LBB167_8:
                                        ; implicit-def: $vgpr4
                                        ; implicit-def: $vgpr6
                                        ; implicit-def: $vgpr2
	s_branch .LBB167_11
.LBB167_9:
	v_dual_mov_b32 v4, 0 :: v_dual_mov_b32 v6, 0
	v_mov_b32_e32 v2, 0
.LBB167_10:
	s_cbranch_execnz .LBB167_13
.LBB167_11:
	v_mov_b32_e32 v1, 0
	s_and_not1_b32 vcc_lo, exec_lo, s38
	s_delay_alu instid0(VALU_DEP_1) | instskip(NEXT) | instid1(VALU_DEP_1)
	v_mul_u64_e32 v[2:3], s[18:19], v[0:1]
	v_add_nc_u32_e32 v2, v0, v3
	s_delay_alu instid0(VALU_DEP_1) | instskip(NEXT) | instid1(VALU_DEP_1)
	v_lshrrev_b32_e32 v8, s10, v2
	v_mul_lo_u32 v2, v8, s8
	s_delay_alu instid0(VALU_DEP_1) | instskip(NEXT) | instid1(VALU_DEP_1)
	v_sub_nc_u32_e32 v3, v0, v2
	v_mul_lo_u32 v2, v3, s37
	v_mul_lo_u32 v4, v3, s13
	v_mul_lo_u32 v6, v3, s12
	s_cbranch_vccnz .LBB167_13
; %bb.12:
	v_mov_b32_e32 v9, v1
	s_delay_alu instid0(VALU_DEP_1) | instskip(NEXT) | instid1(VALU_DEP_1)
	v_mul_u64_e32 v[10:11], s[22:23], v[8:9]
	v_add_nc_u32_e32 v1, v8, v11
	s_delay_alu instid0(VALU_DEP_1) | instskip(NEXT) | instid1(VALU_DEP_1)
	v_lshrrev_b32_e32 v1, s1, v1
	v_mul_lo_u32 v1, v1, s11
	s_delay_alu instid0(VALU_DEP_1) | instskip(NEXT) | instid1(VALU_DEP_1)
	v_sub_nc_u32_e32 v1, v8, v1
	v_mad_u32 v2, v1, s14, v2
	v_mad_u32 v6, v1, s20, v6
	;; [unrolled: 1-line block ×3, first 2 shown]
.LBB167_13:
	s_and_b32 s24, s36, 0xff
	s_delay_alu instid0(SALU_CYCLE_1)
	s_cmp_lt_i32 s24, 23
	s_cbranch_scc1 .LBB167_17
; %bb.14:
	s_and_b32 s26, 0xffff, s24
	s_delay_alu instid0(SALU_CYCLE_1)
	s_cmp_gt_i32 s26, 43
	s_cbranch_scc0 .LBB167_18
; %bb.15:
	s_cmp_gt_i32 s26, 45
	s_cbranch_scc0 .LBB167_19
; %bb.16:
	s_cmp_eq_u32 s26, 46
	s_mov_b32 s27, 0
	s_mov_b32 s25, -1
	s_cselect_b32 s0, -1, 0
	s_branch .LBB167_20
.LBB167_17:
	s_mov_b32 s25, 0
	s_mov_b32 s0, 0
	s_cbranch_execnz .LBB167_25
	s_branch .LBB167_29
.LBB167_18:
	s_mov_b32 s25, 0
	s_mov_b32 s0, 0
	s_cbranch_execnz .LBB167_23
	s_branch .LBB167_24
.LBB167_19:
	s_mov_b32 s27, -1
	s_mov_b32 s25, 0
	s_mov_b32 s0, 0
.LBB167_20:
	s_and_not1_b32 vcc_lo, exec_lo, s27
	s_cbranch_vccnz .LBB167_22
; %bb.21:
	s_cmp_eq_u32 s26, 44
	s_cselect_b32 s0, -1, 0
	s_cmp_lg_u32 s26, 44
	s_cselect_b32 s25, -1, 0
.LBB167_22:
	s_branch .LBB167_24
.LBB167_23:
	s_cmp_lt_i32 s26, 30
	s_cselect_b32 s0, -1, 0
	s_cmp_gt_i32 s26, 29
	s_cselect_b32 s25, -1, 0
.LBB167_24:
	s_branch .LBB167_29
.LBB167_25:
	s_and_b32 s24, 0xffff, s24
	s_mov_b32 s26, -1
	s_cmp_gt_i32 s24, 14
	s_cbranch_scc0 .LBB167_27
; %bb.26:
	s_cmp_eq_u32 s24, 15
	s_mov_b32 s26, 0
	s_cselect_b32 s0, -1, 0
	s_cmp_lg_u32 s24, 15
	s_cselect_b32 s25, -1, 0
.LBB167_27:
	s_and_not1_b32 vcc_lo, exec_lo, s26
	s_cbranch_vccnz .LBB167_29
; %bb.28:
	s_cmp_lt_i32 s24, 12
	s_cselect_b32 s0, -1, 0
	s_cmp_gt_i32 s24, 11
	s_cselect_b32 s25, -1, 0
.LBB167_29:
	s_and_b32 vcc_lo, exec_lo, s0
	s_cbranch_vccz .LBB167_37
; %bb.30:
	v_mov_b32_e32 v7, 0
	s_and_b32 s0, s35, 0xff
	s_delay_alu instid0(SALU_CYCLE_1) | instskip(NEXT) | instid1(VALU_DEP_1)
	s_cmp_lt_i32 s0, 11
	v_add_nc_u64_e32 v[6:7], s[4:5], v[6:7]
	s_cbranch_scc1 .LBB167_39
; %bb.31:
	s_and_b32 s25, 0xffff, s0
	s_delay_alu instid0(SALU_CYCLE_1)
	s_cmp_gt_i32 s25, 25
	s_cbranch_scc0 .LBB167_40
; %bb.32:
	s_cmp_gt_i32 s25, 28
	s_cbranch_scc0 .LBB167_41
; %bb.33:
	;; [unrolled: 3-line block ×4, first 2 shown]
	s_cmp_eq_u32 s25, 46
	s_mov_b32 s27, 0
	s_cbranch_scc0 .LBB167_44
; %bb.36:
	global_load_b32 v1, v[6:7], off
	s_mov_b32 s26, -1
	s_mov_b32 s24, 0
	s_branch .LBB167_46
.LBB167_37:
	s_mov_b32 s0, 0
	s_mov_b32 s26, 0
	;; [unrolled: 1-line block ×3, first 2 shown]
.LBB167_38:
	s_mov_b32 s27, 0
                                        ; implicit-def: $vgpr0
	s_branch .LBB167_412
.LBB167_39:
	s_mov_b32 s24, 0
	s_mov_b32 s26, 0
                                        ; implicit-def: $vgpr1
	s_cbranch_execnz .LBB167_111
	s_branch .LBB167_159
.LBB167_40:
	s_mov_b32 s27, -1
	s_mov_b32 s24, 0
	s_mov_b32 s26, 0
                                        ; implicit-def: $vgpr1
	s_branch .LBB167_75
.LBB167_41:
	s_mov_b32 s27, -1
	s_mov_b32 s24, 0
	s_mov_b32 s26, 0
                                        ; implicit-def: $vgpr1
	s_branch .LBB167_56
.LBB167_42:
	s_mov_b32 s27, -1
	s_mov_b32 s24, 0
	s_mov_b32 s26, 0
                                        ; implicit-def: $vgpr1
	s_branch .LBB167_51
.LBB167_43:
	s_mov_b32 s27, -1
	s_mov_b32 s24, 0
	s_branch .LBB167_45
.LBB167_44:
	s_mov_b32 s24, -1
.LBB167_45:
	s_mov_b32 s26, 0
                                        ; implicit-def: $vgpr1
.LBB167_46:
	s_and_b32 vcc_lo, exec_lo, s27
	s_cbranch_vccz .LBB167_50
; %bb.47:
	s_cmp_eq_u32 s25, 44
	s_cbranch_scc0 .LBB167_49
; %bb.48:
	s_wait_loadcnt 0x0
	global_load_u8 v1, v[6:7], off
	s_mov_b32 s24, 0
	s_mov_b32 s26, -1
	s_wait_loadcnt 0x0
	v_lshlrev_b32_e32 v3, 23, v1
	v_cmp_ne_u32_e32 vcc_lo, 0xff, v1
	s_delay_alu instid0(VALU_DEP_2) | instskip(SKIP_1) | instid1(VALU_DEP_2)
	v_cndmask_b32_e32 v3, 0x7f800001, v3, vcc_lo
	v_cmp_ne_u32_e32 vcc_lo, 0, v1
	v_cndmask_b32_e32 v1, 0x400000, v3, vcc_lo
	s_delay_alu instid0(VALU_DEP_1) | instskip(SKIP_1) | instid1(VALU_DEP_2)
	v_add_nc_u32_e32 v3, 0x7fff, v1
	v_cmp_o_f32_e32 vcc_lo, v1, v1
	v_lshrrev_b32_e32 v3, 16, v3
	s_delay_alu instid0(VALU_DEP_1)
	v_cndmask_b32_e32 v1, 0x7fc0, v3, vcc_lo
	s_branch .LBB167_50
.LBB167_49:
	s_mov_b32 s24, -1
                                        ; implicit-def: $vgpr1
.LBB167_50:
	s_mov_b32 s27, 0
.LBB167_51:
	s_delay_alu instid0(SALU_CYCLE_1)
	s_and_b32 vcc_lo, exec_lo, s27
	s_cbranch_vccz .LBB167_55
; %bb.52:
	s_cmp_eq_u32 s25, 29
	s_cbranch_scc0 .LBB167_54
; %bb.53:
	global_load_b64 v[8:9], v[6:7], off
	s_mov_b32 s26, -1
	s_mov_b32 s24, 0
	s_mov_b32 s27, 0
	s_wait_loadcnt 0x0
	v_clz_i32_u32_e32 v1, v9
	s_delay_alu instid0(VALU_DEP_1) | instskip(NEXT) | instid1(VALU_DEP_1)
	v_min_u32_e32 v1, 32, v1
	v_lshlrev_b64_e32 v[8:9], v1, v[8:9]
	v_sub_nc_u32_e32 v1, 32, v1
	s_delay_alu instid0(VALU_DEP_2) | instskip(NEXT) | instid1(VALU_DEP_1)
	v_min_u32_e32 v3, 1, v8
	v_or_b32_e32 v3, v9, v3
	s_delay_alu instid0(VALU_DEP_1) | instskip(NEXT) | instid1(VALU_DEP_1)
	v_cvt_f32_u32_e32 v3, v3
	v_ldexp_f32 v1, v3, v1
	s_delay_alu instid0(VALU_DEP_1) | instskip(NEXT) | instid1(VALU_DEP_1)
	v_bfe_u32 v3, v1, 16, 1
	v_add3_u32 v1, v1, v3, 0x7fff
	s_delay_alu instid0(VALU_DEP_1)
	v_lshrrev_b32_e32 v1, 16, v1
	s_branch .LBB167_56
.LBB167_54:
	s_mov_b32 s24, -1
                                        ; implicit-def: $vgpr1
.LBB167_55:
	s_mov_b32 s27, 0
.LBB167_56:
	s_delay_alu instid0(SALU_CYCLE_1)
	s_and_b32 vcc_lo, exec_lo, s27
	s_cbranch_vccz .LBB167_74
; %bb.57:
	s_cmp_lt_i32 s25, 27
	s_cbranch_scc1 .LBB167_60
; %bb.58:
	s_cmp_gt_i32 s25, 27
	s_cbranch_scc0 .LBB167_61
; %bb.59:
	s_wait_loadcnt 0x0
	global_load_b32 v1, v[6:7], off
	s_mov_b32 s26, 0
	s_wait_loadcnt 0x0
	v_cvt_f32_u32_e32 v1, v1
	s_delay_alu instid0(VALU_DEP_1) | instskip(NEXT) | instid1(VALU_DEP_1)
	v_bfe_u32 v3, v1, 16, 1
	v_add3_u32 v1, v1, v3, 0x7fff
	s_delay_alu instid0(VALU_DEP_1)
	v_lshrrev_b32_e32 v1, 16, v1
	s_branch .LBB167_62
.LBB167_60:
	s_mov_b32 s26, -1
                                        ; implicit-def: $vgpr1
	s_branch .LBB167_65
.LBB167_61:
	s_mov_b32 s26, -1
                                        ; implicit-def: $vgpr1
.LBB167_62:
	s_delay_alu instid0(SALU_CYCLE_1)
	s_and_not1_b32 vcc_lo, exec_lo, s26
	s_cbranch_vccnz .LBB167_64
; %bb.63:
	s_wait_loadcnt 0x0
	global_load_u16 v1, v[6:7], off
	s_wait_loadcnt 0x0
	v_cvt_f32_u32_e32 v1, v1
	s_delay_alu instid0(VALU_DEP_1) | instskip(NEXT) | instid1(VALU_DEP_1)
	v_bfe_u32 v3, v1, 16, 1
	v_add3_u32 v1, v1, v3, 0x7fff
	s_delay_alu instid0(VALU_DEP_1)
	v_lshrrev_b32_e32 v1, 16, v1
.LBB167_64:
	s_mov_b32 s26, 0
.LBB167_65:
	s_delay_alu instid0(SALU_CYCLE_1)
	s_and_not1_b32 vcc_lo, exec_lo, s26
	s_cbranch_vccnz .LBB167_73
; %bb.66:
	s_wait_loadcnt 0x0
	global_load_u8 v1, v[6:7], off
	s_mov_b32 s26, 0
	s_mov_b32 s27, exec_lo
	s_wait_loadcnt 0x0
	v_cmpx_lt_i16_e32 0x7f, v1
	s_xor_b32 s27, exec_lo, s27
	s_cbranch_execz .LBB167_87
; %bb.67:
	s_mov_b32 s26, -1
	s_mov_b32 s42, exec_lo
	v_cmpx_eq_u16_e32 0x80, v1
; %bb.68:
	s_xor_b32 s26, exec_lo, -1
; %bb.69:
	s_or_b32 exec_lo, exec_lo, s42
	s_delay_alu instid0(SALU_CYCLE_1)
	s_and_b32 s26, s26, exec_lo
	s_or_saveexec_b32 s27, s27
	v_mov_b32_e32 v3, 0x7f800001
	s_xor_b32 exec_lo, exec_lo, s27
	s_cbranch_execnz .LBB167_88
.LBB167_70:
	s_or_b32 exec_lo, exec_lo, s27
	s_and_saveexec_b32 s27, s26
	s_cbranch_execz .LBB167_72
.LBB167_71:
	v_and_b32_e32 v3, 0xffff, v1
	s_delay_alu instid0(VALU_DEP_1) | instskip(SKIP_1) | instid1(VALU_DEP_2)
	v_and_b32_e32 v5, 7, v3
	v_bfe_u32 v10, v3, 3, 4
	v_clz_i32_u32_e32 v8, v5
	s_delay_alu instid0(VALU_DEP_2) | instskip(NEXT) | instid1(VALU_DEP_2)
	v_cmp_eq_u32_e32 vcc_lo, 0, v10
	v_min_u32_e32 v8, 32, v8
	s_delay_alu instid0(VALU_DEP_1) | instskip(NEXT) | instid1(VALU_DEP_1)
	v_subrev_nc_u32_e32 v9, 28, v8
	v_dual_lshlrev_b32 v3, v9, v3 :: v_dual_sub_nc_u32 v8, 29, v8
	s_delay_alu instid0(VALU_DEP_1) | instskip(NEXT) | instid1(VALU_DEP_1)
	v_dual_lshlrev_b32 v1, 24, v1 :: v_dual_bitop2_b32 v3, 7, v3 bitop3:0x40
	v_dual_cndmask_b32 v8, v10, v8 :: v_dual_cndmask_b32 v3, v5, v3
	s_delay_alu instid0(VALU_DEP_2) | instskip(NEXT) | instid1(VALU_DEP_2)
	v_and_b32_e32 v1, 0x80000000, v1
	v_lshl_add_u32 v5, v8, 23, 0x3b800000
	s_delay_alu instid0(VALU_DEP_3) | instskip(NEXT) | instid1(VALU_DEP_1)
	v_lshlrev_b32_e32 v3, 20, v3
	v_or3_b32 v3, v1, v5, v3
.LBB167_72:
	s_or_b32 exec_lo, exec_lo, s27
	s_delay_alu instid0(VALU_DEP_1) | instskip(SKIP_1) | instid1(VALU_DEP_2)
	v_bfe_u32 v1, v3, 16, 1
	v_cmp_o_f32_e32 vcc_lo, v3, v3
	v_add3_u32 v1, v3, v1, 0x7fff
	s_delay_alu instid0(VALU_DEP_1) | instskip(NEXT) | instid1(VALU_DEP_1)
	v_lshrrev_b32_e32 v1, 16, v1
	v_cndmask_b32_e32 v1, 0x7fc0, v1, vcc_lo
.LBB167_73:
	s_mov_b32 s26, -1
.LBB167_74:
	s_mov_b32 s27, 0
.LBB167_75:
	s_delay_alu instid0(SALU_CYCLE_1)
	s_and_b32 vcc_lo, exec_lo, s27
	s_cbranch_vccz .LBB167_110
; %bb.76:
	s_cmp_gt_i32 s25, 22
	s_cbranch_scc0 .LBB167_86
; %bb.77:
	s_cmp_lt_i32 s25, 24
	s_cbranch_scc1 .LBB167_89
; %bb.78:
	s_cmp_gt_i32 s25, 24
	s_cbranch_scc0 .LBB167_90
; %bb.79:
	s_wait_loadcnt 0x0
	global_load_u8 v1, v[6:7], off
	s_mov_b32 s26, 0
	s_mov_b32 s27, exec_lo
	s_wait_loadcnt 0x0
	v_cmpx_lt_i16_e32 0x7f, v1
	s_xor_b32 s27, exec_lo, s27
	s_cbranch_execz .LBB167_102
; %bb.80:
	s_mov_b32 s26, -1
	s_mov_b32 s42, exec_lo
	v_cmpx_eq_u16_e32 0x80, v1
; %bb.81:
	s_xor_b32 s26, exec_lo, -1
; %bb.82:
	s_or_b32 exec_lo, exec_lo, s42
	s_delay_alu instid0(SALU_CYCLE_1)
	s_and_b32 s26, s26, exec_lo
	s_or_saveexec_b32 s27, s27
	v_mov_b32_e32 v3, 0x7f800001
	s_xor_b32 exec_lo, exec_lo, s27
	s_cbranch_execnz .LBB167_103
.LBB167_83:
	s_or_b32 exec_lo, exec_lo, s27
	s_and_saveexec_b32 s27, s26
	s_cbranch_execz .LBB167_85
.LBB167_84:
	v_and_b32_e32 v3, 0xffff, v1
	s_delay_alu instid0(VALU_DEP_1) | instskip(SKIP_1) | instid1(VALU_DEP_2)
	v_and_b32_e32 v5, 3, v3
	v_bfe_u32 v10, v3, 2, 5
	v_clz_i32_u32_e32 v8, v5
	s_delay_alu instid0(VALU_DEP_2) | instskip(NEXT) | instid1(VALU_DEP_2)
	v_cmp_eq_u32_e32 vcc_lo, 0, v10
	v_min_u32_e32 v8, 32, v8
	s_delay_alu instid0(VALU_DEP_1) | instskip(NEXT) | instid1(VALU_DEP_1)
	v_subrev_nc_u32_e32 v9, 29, v8
	v_dual_lshlrev_b32 v3, v9, v3 :: v_dual_sub_nc_u32 v8, 30, v8
	s_delay_alu instid0(VALU_DEP_1) | instskip(NEXT) | instid1(VALU_DEP_1)
	v_dual_lshlrev_b32 v1, 24, v1 :: v_dual_bitop2_b32 v3, 3, v3 bitop3:0x40
	v_dual_cndmask_b32 v8, v10, v8 :: v_dual_cndmask_b32 v3, v5, v3
	s_delay_alu instid0(VALU_DEP_2) | instskip(NEXT) | instid1(VALU_DEP_2)
	v_and_b32_e32 v1, 0x80000000, v1
	v_lshl_add_u32 v5, v8, 23, 0x37800000
	s_delay_alu instid0(VALU_DEP_3) | instskip(NEXT) | instid1(VALU_DEP_1)
	v_lshlrev_b32_e32 v3, 21, v3
	v_or3_b32 v3, v1, v5, v3
.LBB167_85:
	s_or_b32 exec_lo, exec_lo, s27
	s_delay_alu instid0(VALU_DEP_1) | instskip(SKIP_2) | instid1(VALU_DEP_2)
	v_bfe_u32 v1, v3, 16, 1
	v_cmp_o_f32_e32 vcc_lo, v3, v3
	s_mov_b32 s26, 0
	v_add3_u32 v1, v3, v1, 0x7fff
	s_delay_alu instid0(VALU_DEP_1) | instskip(NEXT) | instid1(VALU_DEP_1)
	v_lshrrev_b32_e32 v1, 16, v1
	v_cndmask_b32_e32 v1, 0x7fc0, v1, vcc_lo
	s_branch .LBB167_91
.LBB167_86:
	s_mov_b32 s27, -1
                                        ; implicit-def: $vgpr1
	s_branch .LBB167_97
.LBB167_87:
	s_or_saveexec_b32 s27, s27
	v_mov_b32_e32 v3, 0x7f800001
	s_xor_b32 exec_lo, exec_lo, s27
	s_cbranch_execz .LBB167_70
.LBB167_88:
	v_cmp_ne_u16_e32 vcc_lo, 0, v1
	v_mov_b32_e32 v3, 0
	s_and_not1_b32 s26, s26, exec_lo
	s_and_b32 s42, vcc_lo, exec_lo
	s_delay_alu instid0(SALU_CYCLE_1)
	s_or_b32 s26, s26, s42
	s_or_b32 exec_lo, exec_lo, s27
	s_and_saveexec_b32 s27, s26
	s_cbranch_execnz .LBB167_71
	s_branch .LBB167_72
.LBB167_89:
	s_mov_b32 s26, -1
                                        ; implicit-def: $vgpr1
	s_branch .LBB167_94
.LBB167_90:
	s_mov_b32 s26, -1
                                        ; implicit-def: $vgpr1
.LBB167_91:
	s_delay_alu instid0(SALU_CYCLE_1)
	s_and_b32 vcc_lo, exec_lo, s26
	s_cbranch_vccz .LBB167_93
; %bb.92:
	s_wait_loadcnt 0x0
	global_load_u8 v1, v[6:7], off
	s_wait_loadcnt 0x0
	v_lshlrev_b32_e32 v1, 24, v1
	s_delay_alu instid0(VALU_DEP_1) | instskip(NEXT) | instid1(VALU_DEP_1)
	v_and_b32_e32 v3, 0x7f000000, v1
	v_clz_i32_u32_e32 v5, v3
	v_add_nc_u32_e32 v9, 0x1000000, v3
	v_cmp_ne_u32_e32 vcc_lo, 0, v3
	s_delay_alu instid0(VALU_DEP_3) | instskip(NEXT) | instid1(VALU_DEP_1)
	v_min_u32_e32 v5, 32, v5
	v_sub_nc_u32_e64 v5, v5, 4 clamp
	s_delay_alu instid0(VALU_DEP_1) | instskip(NEXT) | instid1(VALU_DEP_1)
	v_dual_lshlrev_b32 v8, v5, v3 :: v_dual_lshlrev_b32 v5, 23, v5
	v_lshrrev_b32_e32 v8, 4, v8
	s_delay_alu instid0(VALU_DEP_1) | instskip(SKIP_1) | instid1(VALU_DEP_2)
	v_sub_nc_u32_e32 v5, v8, v5
	v_ashrrev_i32_e32 v8, 8, v9
	v_add_nc_u32_e32 v5, 0x3c000000, v5
	s_delay_alu instid0(VALU_DEP_1) | instskip(NEXT) | instid1(VALU_DEP_1)
	v_and_or_b32 v5, 0x7f800000, v8, v5
	v_cndmask_b32_e32 v3, 0, v5, vcc_lo
	s_delay_alu instid0(VALU_DEP_1) | instskip(SKIP_1) | instid1(VALU_DEP_2)
	v_and_or_b32 v1, 0x80000000, v1, v3
	v_bfe_u32 v3, v3, 16, 1
	v_cmp_o_f32_e32 vcc_lo, v1, v1
	s_delay_alu instid0(VALU_DEP_2) | instskip(NEXT) | instid1(VALU_DEP_1)
	v_add3_u32 v3, v1, v3, 0x7fff
	v_lshrrev_b32_e32 v3, 16, v3
	s_delay_alu instid0(VALU_DEP_1)
	v_cndmask_b32_e32 v1, 0x7fc0, v3, vcc_lo
.LBB167_93:
	s_mov_b32 s26, 0
.LBB167_94:
	s_delay_alu instid0(SALU_CYCLE_1)
	s_and_not1_b32 vcc_lo, exec_lo, s26
	s_cbranch_vccnz .LBB167_96
; %bb.95:
	s_wait_loadcnt 0x0
	global_load_u8 v1, v[6:7], off
	s_wait_loadcnt 0x0
	v_lshlrev_b32_e32 v3, 25, v1
	v_lshlrev_b16 v1, 8, v1
	s_delay_alu instid0(VALU_DEP_1) | instskip(SKIP_1) | instid1(VALU_DEP_2)
	v_and_or_b32 v8, 0x7f00, v1, 0.5
	v_bfe_i32 v1, v1, 0, 16
	v_dual_add_f32 v8, -0.5, v8 :: v_dual_lshrrev_b32 v5, 4, v3
	v_cmp_gt_u32_e32 vcc_lo, 0x8000000, v3
	s_delay_alu instid0(VALU_DEP_2) | instskip(NEXT) | instid1(VALU_DEP_1)
	v_or_b32_e32 v5, 0x70000000, v5
	v_mul_f32_e32 v5, 0x7800000, v5
	s_delay_alu instid0(VALU_DEP_1) | instskip(NEXT) | instid1(VALU_DEP_1)
	v_cndmask_b32_e32 v3, v5, v8, vcc_lo
	v_and_or_b32 v1, 0x80000000, v1, v3
	v_bfe_u32 v3, v3, 16, 1
	s_delay_alu instid0(VALU_DEP_2) | instskip(NEXT) | instid1(VALU_DEP_2)
	v_cmp_o_f32_e32 vcc_lo, v1, v1
	v_add3_u32 v3, v1, v3, 0x7fff
	s_delay_alu instid0(VALU_DEP_1) | instskip(NEXT) | instid1(VALU_DEP_1)
	v_lshrrev_b32_e32 v3, 16, v3
	v_cndmask_b32_e32 v1, 0x7fc0, v3, vcc_lo
.LBB167_96:
	s_mov_b32 s27, 0
	s_mov_b32 s26, -1
.LBB167_97:
	s_and_not1_b32 vcc_lo, exec_lo, s27
	s_cbranch_vccnz .LBB167_110
; %bb.98:
	s_cmp_gt_i32 s25, 14
	s_cbranch_scc0 .LBB167_101
; %bb.99:
	s_cmp_eq_u32 s25, 15
	s_cbranch_scc0 .LBB167_104
; %bb.100:
	s_wait_loadcnt 0x0
	global_load_u16 v1, v[6:7], off
	s_mov_b32 s26, -1
	s_mov_b32 s24, 0
	s_branch .LBB167_105
.LBB167_101:
	s_mov_b32 s27, -1
                                        ; implicit-def: $vgpr1
	s_branch .LBB167_106
.LBB167_102:
	s_or_saveexec_b32 s27, s27
	v_mov_b32_e32 v3, 0x7f800001
	s_xor_b32 exec_lo, exec_lo, s27
	s_cbranch_execz .LBB167_83
.LBB167_103:
	v_cmp_ne_u16_e32 vcc_lo, 0, v1
	v_mov_b32_e32 v3, 0
	s_and_not1_b32 s26, s26, exec_lo
	s_and_b32 s42, vcc_lo, exec_lo
	s_delay_alu instid0(SALU_CYCLE_1)
	s_or_b32 s26, s26, s42
	s_or_b32 exec_lo, exec_lo, s27
	s_and_saveexec_b32 s27, s26
	s_cbranch_execnz .LBB167_84
	s_branch .LBB167_85
.LBB167_104:
	s_mov_b32 s24, -1
                                        ; implicit-def: $vgpr1
.LBB167_105:
	s_mov_b32 s27, 0
.LBB167_106:
	s_delay_alu instid0(SALU_CYCLE_1)
	s_and_b32 vcc_lo, exec_lo, s27
	s_cbranch_vccz .LBB167_110
; %bb.107:
	s_cmp_eq_u32 s25, 11
	s_cbranch_scc0 .LBB167_109
; %bb.108:
	s_wait_loadcnt 0x0
	global_load_u8 v1, v[6:7], off
	s_mov_b32 s24, 0
	s_mov_b32 s26, -1
	s_wait_loadcnt 0x0
	v_cmp_ne_u16_e32 vcc_lo, 0, v1
	v_cndmask_b32_e64 v1, 0, 1.0, vcc_lo
	s_delay_alu instid0(VALU_DEP_1)
	v_lshrrev_b32_e32 v1, 16, v1
	s_branch .LBB167_110
.LBB167_109:
	s_mov_b32 s24, -1
                                        ; implicit-def: $vgpr1
.LBB167_110:
	s_branch .LBB167_159
.LBB167_111:
	s_and_b32 s0, 0xffff, s0
	s_delay_alu instid0(SALU_CYCLE_1)
	s_cmp_lt_i32 s0, 5
	s_cbranch_scc1 .LBB167_116
; %bb.112:
	s_cmp_lt_i32 s0, 8
	s_cbranch_scc1 .LBB167_117
; %bb.113:
	;; [unrolled: 3-line block ×3, first 2 shown]
	s_cmp_gt_i32 s0, 9
	s_cbranch_scc0 .LBB167_119
; %bb.115:
	global_load_b64 v[8:9], v[6:7], off
	s_mov_b32 s25, 0
	s_wait_loadcnt 0x0
	v_cvt_f32_f64_e32 v1, v[8:9]
	s_delay_alu instid0(VALU_DEP_1) | instskip(SKIP_1) | instid1(VALU_DEP_2)
	v_bfe_u32 v3, v1, 16, 1
	v_cmp_o_f32_e32 vcc_lo, v1, v1
	v_add3_u32 v3, v1, v3, 0x7fff
	s_delay_alu instid0(VALU_DEP_1) | instskip(NEXT) | instid1(VALU_DEP_1)
	v_lshrrev_b32_e32 v3, 16, v3
	v_cndmask_b32_e32 v1, 0x7fc0, v3, vcc_lo
	s_branch .LBB167_120
.LBB167_116:
	s_mov_b32 s25, -1
                                        ; implicit-def: $vgpr1
	s_branch .LBB167_138
.LBB167_117:
	s_mov_b32 s25, -1
                                        ; implicit-def: $vgpr1
	s_branch .LBB167_126
.LBB167_118:
	s_mov_b32 s25, -1
                                        ; implicit-def: $vgpr1
	s_branch .LBB167_123
.LBB167_119:
	s_mov_b32 s25, -1
                                        ; implicit-def: $vgpr1
.LBB167_120:
	s_delay_alu instid0(SALU_CYCLE_1)
	s_and_not1_b32 vcc_lo, exec_lo, s25
	s_cbranch_vccnz .LBB167_122
; %bb.121:
	s_wait_loadcnt 0x0
	global_load_b32 v1, v[6:7], off
	s_wait_loadcnt 0x0
	v_bfe_u32 v3, v1, 16, 1
	v_cmp_o_f32_e32 vcc_lo, v1, v1
	s_delay_alu instid0(VALU_DEP_2) | instskip(NEXT) | instid1(VALU_DEP_1)
	v_add3_u32 v3, v1, v3, 0x7fff
	v_lshrrev_b32_e32 v3, 16, v3
	s_delay_alu instid0(VALU_DEP_1)
	v_cndmask_b32_e32 v1, 0x7fc0, v3, vcc_lo
.LBB167_122:
	s_mov_b32 s25, 0
.LBB167_123:
	s_delay_alu instid0(SALU_CYCLE_1)
	s_and_not1_b32 vcc_lo, exec_lo, s25
	s_cbranch_vccnz .LBB167_125
; %bb.124:
	s_wait_loadcnt 0x0
	global_load_b32 v1, v[6:7], off
	s_wait_loadcnt 0x0
	v_cvt_f32_f16_e32 v3, v1
	v_cmp_o_f16_e32 vcc_lo, v1, v1
	s_delay_alu instid0(VALU_DEP_2) | instskip(NEXT) | instid1(VALU_DEP_1)
	v_bfe_u32 v5, v3, 16, 1
	v_add3_u32 v3, v3, v5, 0x7fff
	s_delay_alu instid0(VALU_DEP_1) | instskip(NEXT) | instid1(VALU_DEP_1)
	v_lshrrev_b32_e32 v3, 16, v3
	v_cndmask_b32_e32 v1, 0x7fc0, v3, vcc_lo
.LBB167_125:
	s_mov_b32 s25, 0
.LBB167_126:
	s_delay_alu instid0(SALU_CYCLE_1)
	s_and_not1_b32 vcc_lo, exec_lo, s25
	s_cbranch_vccnz .LBB167_137
; %bb.127:
	s_cmp_lt_i32 s0, 6
	s_cbranch_scc1 .LBB167_130
; %bb.128:
	s_cmp_gt_i32 s0, 6
	s_cbranch_scc0 .LBB167_131
; %bb.129:
	global_load_b64 v[8:9], v[6:7], off
	s_mov_b32 s25, 0
	s_wait_loadcnt 0x0
	v_cvt_f32_f64_e32 v1, v[8:9]
	s_delay_alu instid0(VALU_DEP_1) | instskip(SKIP_1) | instid1(VALU_DEP_2)
	v_bfe_u32 v3, v1, 16, 1
	v_cmp_o_f32_e32 vcc_lo, v1, v1
	v_add3_u32 v3, v1, v3, 0x7fff
	s_delay_alu instid0(VALU_DEP_1) | instskip(NEXT) | instid1(VALU_DEP_1)
	v_lshrrev_b32_e32 v3, 16, v3
	v_cndmask_b32_e32 v1, 0x7fc0, v3, vcc_lo
	s_branch .LBB167_132
.LBB167_130:
	s_mov_b32 s25, -1
                                        ; implicit-def: $vgpr1
	s_branch .LBB167_135
.LBB167_131:
	s_mov_b32 s25, -1
                                        ; implicit-def: $vgpr1
.LBB167_132:
	s_delay_alu instid0(SALU_CYCLE_1)
	s_and_not1_b32 vcc_lo, exec_lo, s25
	s_cbranch_vccnz .LBB167_134
; %bb.133:
	s_wait_loadcnt 0x0
	global_load_b32 v1, v[6:7], off
	s_wait_loadcnt 0x0
	v_bfe_u32 v3, v1, 16, 1
	v_cmp_o_f32_e32 vcc_lo, v1, v1
	s_delay_alu instid0(VALU_DEP_2) | instskip(NEXT) | instid1(VALU_DEP_1)
	v_add3_u32 v3, v1, v3, 0x7fff
	v_lshrrev_b32_e32 v3, 16, v3
	s_delay_alu instid0(VALU_DEP_1)
	v_cndmask_b32_e32 v1, 0x7fc0, v3, vcc_lo
.LBB167_134:
	s_mov_b32 s25, 0
.LBB167_135:
	s_delay_alu instid0(SALU_CYCLE_1)
	s_and_not1_b32 vcc_lo, exec_lo, s25
	s_cbranch_vccnz .LBB167_137
; %bb.136:
	s_wait_loadcnt 0x0
	global_load_u16 v1, v[6:7], off
	s_wait_loadcnt 0x0
	v_cvt_f32_f16_e32 v3, v1
	v_cmp_o_f16_e32 vcc_lo, v1, v1
	s_delay_alu instid0(VALU_DEP_2) | instskip(NEXT) | instid1(VALU_DEP_1)
	v_bfe_u32 v5, v3, 16, 1
	v_add3_u32 v3, v3, v5, 0x7fff
	s_delay_alu instid0(VALU_DEP_1) | instskip(NEXT) | instid1(VALU_DEP_1)
	v_lshrrev_b32_e32 v3, 16, v3
	v_cndmask_b32_e32 v1, 0x7fc0, v3, vcc_lo
.LBB167_137:
	s_mov_b32 s25, 0
.LBB167_138:
	s_delay_alu instid0(SALU_CYCLE_1)
	s_and_not1_b32 vcc_lo, exec_lo, s25
	s_cbranch_vccnz .LBB167_158
; %bb.139:
	s_cmp_lt_i32 s0, 2
	s_cbranch_scc1 .LBB167_143
; %bb.140:
	s_cmp_lt_i32 s0, 3
	s_cbranch_scc1 .LBB167_144
; %bb.141:
	s_cmp_gt_i32 s0, 3
	s_cbranch_scc0 .LBB167_145
; %bb.142:
	global_load_b64 v[8:9], v[6:7], off
	s_mov_b32 s25, 0
	s_wait_loadcnt 0x0
	v_xor_b32_e32 v1, v8, v9
	v_cls_i32_e32 v3, v9
	s_delay_alu instid0(VALU_DEP_2) | instskip(NEXT) | instid1(VALU_DEP_1)
	v_ashrrev_i32_e32 v1, 31, v1
	v_add_nc_u32_e32 v1, 32, v1
	s_delay_alu instid0(VALU_DEP_1) | instskip(NEXT) | instid1(VALU_DEP_1)
	v_add_min_u32_e64 v1, v3, -1, v1
	v_lshlrev_b64_e32 v[8:9], v1, v[8:9]
	v_sub_nc_u32_e32 v1, 32, v1
	s_delay_alu instid0(VALU_DEP_2) | instskip(NEXT) | instid1(VALU_DEP_1)
	v_min_u32_e32 v3, 1, v8
	v_or_b32_e32 v3, v9, v3
	s_delay_alu instid0(VALU_DEP_1) | instskip(NEXT) | instid1(VALU_DEP_1)
	v_cvt_f32_i32_e32 v3, v3
	v_ldexp_f32 v1, v3, v1
	s_delay_alu instid0(VALU_DEP_1) | instskip(NEXT) | instid1(VALU_DEP_1)
	v_bfe_u32 v3, v1, 16, 1
	v_add3_u32 v1, v1, v3, 0x7fff
	s_delay_alu instid0(VALU_DEP_1)
	v_lshrrev_b32_e32 v1, 16, v1
	s_branch .LBB167_146
.LBB167_143:
	s_mov_b32 s25, -1
                                        ; implicit-def: $vgpr1
	s_branch .LBB167_152
.LBB167_144:
	s_mov_b32 s25, -1
                                        ; implicit-def: $vgpr1
	s_branch .LBB167_149
.LBB167_145:
	s_mov_b32 s25, -1
                                        ; implicit-def: $vgpr1
.LBB167_146:
	s_delay_alu instid0(SALU_CYCLE_1)
	s_and_not1_b32 vcc_lo, exec_lo, s25
	s_cbranch_vccnz .LBB167_148
; %bb.147:
	s_wait_loadcnt 0x0
	global_load_b32 v1, v[6:7], off
	s_wait_loadcnt 0x0
	v_cvt_f32_i32_e32 v1, v1
	s_delay_alu instid0(VALU_DEP_1) | instskip(NEXT) | instid1(VALU_DEP_1)
	v_bfe_u32 v3, v1, 16, 1
	v_add3_u32 v1, v1, v3, 0x7fff
	s_delay_alu instid0(VALU_DEP_1)
	v_lshrrev_b32_e32 v1, 16, v1
.LBB167_148:
	s_mov_b32 s25, 0
.LBB167_149:
	s_delay_alu instid0(SALU_CYCLE_1)
	s_and_not1_b32 vcc_lo, exec_lo, s25
	s_cbranch_vccnz .LBB167_151
; %bb.150:
	s_wait_loadcnt 0x0
	global_load_i16 v1, v[6:7], off
	s_wait_loadcnt 0x0
	v_cvt_f32_i32_e32 v1, v1
	s_delay_alu instid0(VALU_DEP_1) | instskip(NEXT) | instid1(VALU_DEP_1)
	v_bfe_u32 v3, v1, 16, 1
	v_add3_u32 v1, v1, v3, 0x7fff
	s_delay_alu instid0(VALU_DEP_1)
	v_lshrrev_b32_e32 v1, 16, v1
.LBB167_151:
	s_mov_b32 s25, 0
.LBB167_152:
	s_delay_alu instid0(SALU_CYCLE_1)
	s_and_not1_b32 vcc_lo, exec_lo, s25
	s_cbranch_vccnz .LBB167_158
; %bb.153:
	s_cmp_gt_i32 s0, 0
	s_mov_b32 s0, 0
	s_cbranch_scc0 .LBB167_155
; %bb.154:
	s_wait_loadcnt 0x0
	global_load_i8 v1, v[6:7], off
	s_wait_loadcnt 0x0
	v_cvt_f32_i32_e32 v1, v1
	s_delay_alu instid0(VALU_DEP_1) | instskip(NEXT) | instid1(VALU_DEP_1)
	v_bfe_u32 v3, v1, 16, 1
	v_add3_u32 v1, v1, v3, 0x7fff
	s_delay_alu instid0(VALU_DEP_1)
	v_lshrrev_b32_e32 v1, 16, v1
	s_branch .LBB167_156
.LBB167_155:
	s_mov_b32 s0, -1
                                        ; implicit-def: $vgpr1
.LBB167_156:
	s_delay_alu instid0(SALU_CYCLE_1)
	s_and_not1_b32 vcc_lo, exec_lo, s0
	s_cbranch_vccnz .LBB167_158
; %bb.157:
	s_wait_loadcnt 0x0
	global_load_u8 v1, v[6:7], off
	s_wait_loadcnt 0x0
	v_cvt_f32_ubyte0_e32 v1, v1
	s_delay_alu instid0(VALU_DEP_1) | instskip(NEXT) | instid1(VALU_DEP_1)
	v_bfe_u32 v3, v1, 16, 1
	v_add3_u32 v1, v1, v3, 0x7fff
	s_delay_alu instid0(VALU_DEP_1)
	v_lshrrev_b32_e32 v1, 16, v1
.LBB167_158:
	s_mov_b32 s26, -1
.LBB167_159:
	s_mov_b32 s25, 0
	s_mov_b32 s0, 0
	s_and_not1_b32 vcc_lo, exec_lo, s26
	s_mov_b32 s26, 0
	s_mov_b32 s27, 0
	s_cbranch_vccnz .LBB167_412
; %bb.160:
	v_mov_b32_e32 v5, 0
	s_and_b32 s0, 0xffff, s34
	s_delay_alu instid0(SALU_CYCLE_1) | instskip(NEXT) | instid1(VALU_DEP_1)
	s_cmp_lt_i32 s0, 11
	v_add_nc_u64_e32 v[4:5], s[6:7], v[4:5]
	s_cbranch_scc1 .LBB167_167
; %bb.161:
	s_cmp_gt_i32 s0, 25
	s_cbranch_scc0 .LBB167_168
; %bb.162:
	s_cmp_gt_i32 s0, 28
	s_cbranch_scc0 .LBB167_169
; %bb.163:
	s_cmp_gt_i32 s0, 43
	s_cbranch_scc0 .LBB167_170
; %bb.164:
	s_cmp_gt_i32 s0, 45
	s_cbranch_scc0 .LBB167_171
; %bb.165:
	s_cmp_eq_u32 s0, 46
	s_mov_b32 s42, 0
	s_cbranch_scc0 .LBB167_172
; %bb.166:
	global_load_b32 v3, v[4:5], off
	s_mov_b32 s27, -1
	s_branch .LBB167_174
.LBB167_167:
	s_mov_b32 s42, -1
                                        ; implicit-def: $vgpr3
	s_branch .LBB167_239
.LBB167_168:
	s_mov_b32 s42, -1
                                        ; implicit-def: $vgpr3
	s_branch .LBB167_203
.LBB167_169:
	s_mov_b32 s42, -1
                                        ; implicit-def: $vgpr3
	s_branch .LBB167_184
.LBB167_170:
	s_mov_b32 s42, -1
                                        ; implicit-def: $vgpr3
	s_branch .LBB167_179
.LBB167_171:
	s_mov_b32 s42, -1
	s_branch .LBB167_173
.LBB167_172:
	s_mov_b32 s26, -1
.LBB167_173:
                                        ; implicit-def: $vgpr3
.LBB167_174:
	s_and_b32 vcc_lo, exec_lo, s42
	s_cbranch_vccz .LBB167_178
; %bb.175:
	s_cmp_eq_u32 s0, 44
	s_cbranch_scc0 .LBB167_177
; %bb.176:
	s_wait_loadcnt 0x0
	global_load_u8 v3, v[4:5], off
	s_mov_b32 s26, 0
	s_mov_b32 s27, -1
	s_wait_loadcnt 0x0
	v_lshlrev_b32_e32 v6, 23, v3
	v_cmp_ne_u32_e32 vcc_lo, 0xff, v3
	s_delay_alu instid0(VALU_DEP_2) | instskip(SKIP_1) | instid1(VALU_DEP_2)
	v_cndmask_b32_e32 v6, 0x7f800001, v6, vcc_lo
	v_cmp_ne_u32_e32 vcc_lo, 0, v3
	v_cndmask_b32_e32 v3, 0x400000, v6, vcc_lo
	s_delay_alu instid0(VALU_DEP_1) | instskip(NEXT) | instid1(VALU_DEP_1)
	v_add_nc_u32_e32 v6, 0x7fff, v3
	v_lshrrev_b32_e32 v6, 16, v6
	v_cmp_o_f32_e32 vcc_lo, v3, v3
	s_delay_alu instid0(VALU_DEP_2)
	v_cndmask_b32_e32 v3, 0x7fc0, v6, vcc_lo
	s_branch .LBB167_178
.LBB167_177:
	s_mov_b32 s26, -1
                                        ; implicit-def: $vgpr3
.LBB167_178:
	s_mov_b32 s42, 0
.LBB167_179:
	s_delay_alu instid0(SALU_CYCLE_1)
	s_and_b32 vcc_lo, exec_lo, s42
	s_cbranch_vccz .LBB167_183
; %bb.180:
	s_cmp_eq_u32 s0, 29
	s_cbranch_scc0 .LBB167_182
; %bb.181:
	global_load_b64 v[6:7], v[4:5], off
	s_mov_b32 s27, -1
	s_mov_b32 s26, 0
	s_mov_b32 s42, 0
	s_wait_loadcnt 0x0
	v_clz_i32_u32_e32 v3, v7
	s_delay_alu instid0(VALU_DEP_1) | instskip(NEXT) | instid1(VALU_DEP_1)
	v_min_u32_e32 v3, 32, v3
	v_lshlrev_b64_e32 v[6:7], v3, v[6:7]
	v_sub_nc_u32_e32 v3, 32, v3
	s_delay_alu instid0(VALU_DEP_2) | instskip(NEXT) | instid1(VALU_DEP_1)
	v_min_u32_e32 v6, 1, v6
	v_or_b32_e32 v6, v7, v6
	s_delay_alu instid0(VALU_DEP_1) | instskip(NEXT) | instid1(VALU_DEP_1)
	v_cvt_f32_u32_e32 v6, v6
	v_ldexp_f32 v3, v6, v3
	s_delay_alu instid0(VALU_DEP_1) | instskip(NEXT) | instid1(VALU_DEP_1)
	v_bfe_u32 v6, v3, 16, 1
	v_add3_u32 v3, v3, v6, 0x7fff
	s_delay_alu instid0(VALU_DEP_1)
	v_lshrrev_b32_e32 v3, 16, v3
	s_branch .LBB167_184
.LBB167_182:
	s_mov_b32 s26, -1
                                        ; implicit-def: $vgpr3
.LBB167_183:
	s_mov_b32 s42, 0
.LBB167_184:
	s_delay_alu instid0(SALU_CYCLE_1)
	s_and_b32 vcc_lo, exec_lo, s42
	s_cbranch_vccz .LBB167_202
; %bb.185:
	s_cmp_lt_i32 s0, 27
	s_cbranch_scc1 .LBB167_188
; %bb.186:
	s_cmp_gt_i32 s0, 27
	s_cbranch_scc0 .LBB167_189
; %bb.187:
	s_wait_loadcnt 0x0
	global_load_b32 v3, v[4:5], off
	s_mov_b32 s27, 0
	s_wait_loadcnt 0x0
	v_cvt_f32_u32_e32 v3, v3
	s_delay_alu instid0(VALU_DEP_1) | instskip(NEXT) | instid1(VALU_DEP_1)
	v_bfe_u32 v6, v3, 16, 1
	v_add3_u32 v3, v3, v6, 0x7fff
	s_delay_alu instid0(VALU_DEP_1)
	v_lshrrev_b32_e32 v3, 16, v3
	s_branch .LBB167_190
.LBB167_188:
	s_mov_b32 s27, -1
                                        ; implicit-def: $vgpr3
	s_branch .LBB167_193
.LBB167_189:
	s_mov_b32 s27, -1
                                        ; implicit-def: $vgpr3
.LBB167_190:
	s_delay_alu instid0(SALU_CYCLE_1)
	s_and_not1_b32 vcc_lo, exec_lo, s27
	s_cbranch_vccnz .LBB167_192
; %bb.191:
	s_wait_loadcnt 0x0
	global_load_u16 v3, v[4:5], off
	s_wait_loadcnt 0x0
	v_cvt_f32_u32_e32 v3, v3
	s_delay_alu instid0(VALU_DEP_1) | instskip(NEXT) | instid1(VALU_DEP_1)
	v_bfe_u32 v6, v3, 16, 1
	v_add3_u32 v3, v3, v6, 0x7fff
	s_delay_alu instid0(VALU_DEP_1)
	v_lshrrev_b32_e32 v3, 16, v3
.LBB167_192:
	s_mov_b32 s27, 0
.LBB167_193:
	s_delay_alu instid0(SALU_CYCLE_1)
	s_and_not1_b32 vcc_lo, exec_lo, s27
	s_cbranch_vccnz .LBB167_201
; %bb.194:
	s_wait_loadcnt 0x0
	global_load_u8 v3, v[4:5], off
	s_mov_b32 s27, 0
	s_mov_b32 s42, exec_lo
	s_wait_loadcnt 0x0
	v_cmpx_lt_i16_e32 0x7f, v3
	s_xor_b32 s42, exec_lo, s42
	s_cbranch_execz .LBB167_215
; %bb.195:
	s_mov_b32 s27, -1
	s_mov_b32 s43, exec_lo
	v_cmpx_eq_u16_e32 0x80, v3
; %bb.196:
	s_xor_b32 s27, exec_lo, -1
; %bb.197:
	s_or_b32 exec_lo, exec_lo, s43
	s_delay_alu instid0(SALU_CYCLE_1)
	s_and_b32 s27, s27, exec_lo
	s_or_saveexec_b32 s42, s42
	v_mov_b32_e32 v6, 0x7f800001
	s_xor_b32 exec_lo, exec_lo, s42
	s_cbranch_execnz .LBB167_216
.LBB167_198:
	s_or_b32 exec_lo, exec_lo, s42
	s_and_saveexec_b32 s42, s27
	s_cbranch_execz .LBB167_200
.LBB167_199:
	v_and_b32_e32 v6, 0xffff, v3
	s_delay_alu instid0(VALU_DEP_1) | instskip(SKIP_1) | instid1(VALU_DEP_2)
	v_and_b32_e32 v7, 7, v6
	v_bfe_u32 v10, v6, 3, 4
	v_clz_i32_u32_e32 v8, v7
	s_delay_alu instid0(VALU_DEP_2) | instskip(NEXT) | instid1(VALU_DEP_2)
	v_cmp_eq_u32_e32 vcc_lo, 0, v10
	v_min_u32_e32 v8, 32, v8
	s_delay_alu instid0(VALU_DEP_1) | instskip(NEXT) | instid1(VALU_DEP_1)
	v_subrev_nc_u32_e32 v9, 28, v8
	v_dual_lshlrev_b32 v6, v9, v6 :: v_dual_sub_nc_u32 v8, 29, v8
	s_delay_alu instid0(VALU_DEP_1) | instskip(NEXT) | instid1(VALU_DEP_1)
	v_dual_lshlrev_b32 v3, 24, v3 :: v_dual_bitop2_b32 v6, 7, v6 bitop3:0x40
	v_dual_cndmask_b32 v8, v10, v8, vcc_lo :: v_dual_cndmask_b32 v6, v7, v6, vcc_lo
	s_delay_alu instid0(VALU_DEP_2) | instskip(NEXT) | instid1(VALU_DEP_2)
	v_and_b32_e32 v3, 0x80000000, v3
	v_lshl_add_u32 v7, v8, 23, 0x3b800000
	s_delay_alu instid0(VALU_DEP_3) | instskip(NEXT) | instid1(VALU_DEP_1)
	v_lshlrev_b32_e32 v6, 20, v6
	v_or3_b32 v6, v3, v7, v6
.LBB167_200:
	s_or_b32 exec_lo, exec_lo, s42
	s_delay_alu instid0(VALU_DEP_1) | instskip(SKIP_1) | instid1(VALU_DEP_2)
	v_bfe_u32 v3, v6, 16, 1
	v_cmp_o_f32_e32 vcc_lo, v6, v6
	v_add3_u32 v3, v6, v3, 0x7fff
	s_delay_alu instid0(VALU_DEP_1) | instskip(NEXT) | instid1(VALU_DEP_1)
	v_lshrrev_b32_e32 v3, 16, v3
	v_cndmask_b32_e32 v3, 0x7fc0, v3, vcc_lo
.LBB167_201:
	s_mov_b32 s27, -1
.LBB167_202:
	s_mov_b32 s42, 0
.LBB167_203:
	s_delay_alu instid0(SALU_CYCLE_1)
	s_and_b32 vcc_lo, exec_lo, s42
	s_cbranch_vccz .LBB167_238
; %bb.204:
	s_cmp_gt_i32 s0, 22
	s_cbranch_scc0 .LBB167_214
; %bb.205:
	s_cmp_lt_i32 s0, 24
	s_cbranch_scc1 .LBB167_217
; %bb.206:
	s_cmp_gt_i32 s0, 24
	s_cbranch_scc0 .LBB167_218
; %bb.207:
	s_wait_loadcnt 0x0
	global_load_u8 v3, v[4:5], off
	s_mov_b32 s27, 0
	s_mov_b32 s42, exec_lo
	s_wait_loadcnt 0x0
	v_cmpx_lt_i16_e32 0x7f, v3
	s_xor_b32 s42, exec_lo, s42
	s_cbranch_execz .LBB167_230
; %bb.208:
	s_mov_b32 s27, -1
	s_mov_b32 s43, exec_lo
	v_cmpx_eq_u16_e32 0x80, v3
; %bb.209:
	s_xor_b32 s27, exec_lo, -1
; %bb.210:
	s_or_b32 exec_lo, exec_lo, s43
	s_delay_alu instid0(SALU_CYCLE_1)
	s_and_b32 s27, s27, exec_lo
	s_or_saveexec_b32 s42, s42
	v_mov_b32_e32 v6, 0x7f800001
	s_xor_b32 exec_lo, exec_lo, s42
	s_cbranch_execnz .LBB167_231
.LBB167_211:
	s_or_b32 exec_lo, exec_lo, s42
	s_and_saveexec_b32 s42, s27
	s_cbranch_execz .LBB167_213
.LBB167_212:
	v_and_b32_e32 v6, 0xffff, v3
	s_delay_alu instid0(VALU_DEP_1) | instskip(SKIP_1) | instid1(VALU_DEP_2)
	v_and_b32_e32 v7, 3, v6
	v_bfe_u32 v10, v6, 2, 5
	v_clz_i32_u32_e32 v8, v7
	s_delay_alu instid0(VALU_DEP_2) | instskip(NEXT) | instid1(VALU_DEP_2)
	v_cmp_eq_u32_e32 vcc_lo, 0, v10
	v_min_u32_e32 v8, 32, v8
	s_delay_alu instid0(VALU_DEP_1) | instskip(NEXT) | instid1(VALU_DEP_1)
	v_subrev_nc_u32_e32 v9, 29, v8
	v_dual_lshlrev_b32 v6, v9, v6 :: v_dual_sub_nc_u32 v8, 30, v8
	s_delay_alu instid0(VALU_DEP_1) | instskip(NEXT) | instid1(VALU_DEP_1)
	v_dual_lshlrev_b32 v3, 24, v3 :: v_dual_bitop2_b32 v6, 3, v6 bitop3:0x40
	v_dual_cndmask_b32 v8, v10, v8, vcc_lo :: v_dual_cndmask_b32 v6, v7, v6, vcc_lo
	s_delay_alu instid0(VALU_DEP_2) | instskip(NEXT) | instid1(VALU_DEP_2)
	v_and_b32_e32 v3, 0x80000000, v3
	v_lshl_add_u32 v7, v8, 23, 0x37800000
	s_delay_alu instid0(VALU_DEP_3) | instskip(NEXT) | instid1(VALU_DEP_1)
	v_lshlrev_b32_e32 v6, 21, v6
	v_or3_b32 v6, v3, v7, v6
.LBB167_213:
	s_or_b32 exec_lo, exec_lo, s42
	s_delay_alu instid0(VALU_DEP_1) | instskip(SKIP_2) | instid1(VALU_DEP_2)
	v_bfe_u32 v3, v6, 16, 1
	v_cmp_o_f32_e32 vcc_lo, v6, v6
	s_mov_b32 s27, 0
	v_add3_u32 v3, v6, v3, 0x7fff
	s_delay_alu instid0(VALU_DEP_1) | instskip(NEXT) | instid1(VALU_DEP_1)
	v_lshrrev_b32_e32 v3, 16, v3
	v_cndmask_b32_e32 v3, 0x7fc0, v3, vcc_lo
	s_branch .LBB167_219
.LBB167_214:
	s_mov_b32 s42, -1
                                        ; implicit-def: $vgpr3
	s_branch .LBB167_225
.LBB167_215:
	s_or_saveexec_b32 s42, s42
	v_mov_b32_e32 v6, 0x7f800001
	s_xor_b32 exec_lo, exec_lo, s42
	s_cbranch_execz .LBB167_198
.LBB167_216:
	v_cmp_ne_u16_e32 vcc_lo, 0, v3
	v_mov_b32_e32 v6, 0
	s_and_not1_b32 s27, s27, exec_lo
	s_and_b32 s43, vcc_lo, exec_lo
	s_delay_alu instid0(SALU_CYCLE_1)
	s_or_b32 s27, s27, s43
	s_or_b32 exec_lo, exec_lo, s42
	s_and_saveexec_b32 s42, s27
	s_cbranch_execnz .LBB167_199
	s_branch .LBB167_200
.LBB167_217:
	s_mov_b32 s27, -1
                                        ; implicit-def: $vgpr3
	s_branch .LBB167_222
.LBB167_218:
	s_mov_b32 s27, -1
                                        ; implicit-def: $vgpr3
.LBB167_219:
	s_delay_alu instid0(SALU_CYCLE_1)
	s_and_b32 vcc_lo, exec_lo, s27
	s_cbranch_vccz .LBB167_221
; %bb.220:
	s_wait_loadcnt 0x0
	global_load_u8 v3, v[4:5], off
	s_wait_loadcnt 0x0
	v_lshlrev_b32_e32 v3, 24, v3
	s_delay_alu instid0(VALU_DEP_1) | instskip(NEXT) | instid1(VALU_DEP_1)
	v_and_b32_e32 v6, 0x7f000000, v3
	v_clz_i32_u32_e32 v7, v6
	v_cmp_ne_u32_e32 vcc_lo, 0, v6
	v_add_nc_u32_e32 v9, 0x1000000, v6
	s_delay_alu instid0(VALU_DEP_3) | instskip(NEXT) | instid1(VALU_DEP_1)
	v_min_u32_e32 v7, 32, v7
	v_sub_nc_u32_e64 v7, v7, 4 clamp
	s_delay_alu instid0(VALU_DEP_1) | instskip(NEXT) | instid1(VALU_DEP_1)
	v_dual_lshlrev_b32 v8, v7, v6 :: v_dual_lshlrev_b32 v7, 23, v7
	v_lshrrev_b32_e32 v8, 4, v8
	s_delay_alu instid0(VALU_DEP_1) | instskip(NEXT) | instid1(VALU_DEP_1)
	v_dual_sub_nc_u32 v7, v8, v7 :: v_dual_ashrrev_i32 v8, 8, v9
	v_add_nc_u32_e32 v7, 0x3c000000, v7
	s_delay_alu instid0(VALU_DEP_1) | instskip(NEXT) | instid1(VALU_DEP_1)
	v_and_or_b32 v7, 0x7f800000, v8, v7
	v_cndmask_b32_e32 v6, 0, v7, vcc_lo
	s_delay_alu instid0(VALU_DEP_1) | instskip(SKIP_1) | instid1(VALU_DEP_2)
	v_and_or_b32 v3, 0x80000000, v3, v6
	v_bfe_u32 v6, v6, 16, 1
	v_cmp_o_f32_e32 vcc_lo, v3, v3
	s_delay_alu instid0(VALU_DEP_2) | instskip(NEXT) | instid1(VALU_DEP_1)
	v_add3_u32 v6, v3, v6, 0x7fff
	v_lshrrev_b32_e32 v6, 16, v6
	s_delay_alu instid0(VALU_DEP_1)
	v_cndmask_b32_e32 v3, 0x7fc0, v6, vcc_lo
.LBB167_221:
	s_mov_b32 s27, 0
.LBB167_222:
	s_delay_alu instid0(SALU_CYCLE_1)
	s_and_not1_b32 vcc_lo, exec_lo, s27
	s_cbranch_vccnz .LBB167_224
; %bb.223:
	s_wait_loadcnt 0x0
	global_load_u8 v3, v[4:5], off
	s_wait_loadcnt 0x0
	v_lshlrev_b32_e32 v6, 25, v3
	v_lshlrev_b16 v3, 8, v3
	s_delay_alu instid0(VALU_DEP_1) | instskip(SKIP_1) | instid1(VALU_DEP_2)
	v_and_or_b32 v8, 0x7f00, v3, 0.5
	v_bfe_i32 v3, v3, 0, 16
	v_dual_add_f32 v8, -0.5, v8 :: v_dual_lshrrev_b32 v7, 4, v6
	v_cmp_gt_u32_e32 vcc_lo, 0x8000000, v6
	s_delay_alu instid0(VALU_DEP_2) | instskip(NEXT) | instid1(VALU_DEP_1)
	v_or_b32_e32 v7, 0x70000000, v7
	v_mul_f32_e32 v7, 0x7800000, v7
	s_delay_alu instid0(VALU_DEP_1) | instskip(NEXT) | instid1(VALU_DEP_1)
	v_cndmask_b32_e32 v6, v7, v8, vcc_lo
	v_and_or_b32 v3, 0x80000000, v3, v6
	v_bfe_u32 v6, v6, 16, 1
	s_delay_alu instid0(VALU_DEP_2) | instskip(NEXT) | instid1(VALU_DEP_2)
	v_cmp_o_f32_e32 vcc_lo, v3, v3
	v_add3_u32 v6, v3, v6, 0x7fff
	s_delay_alu instid0(VALU_DEP_1) | instskip(NEXT) | instid1(VALU_DEP_1)
	v_lshrrev_b32_e32 v6, 16, v6
	v_cndmask_b32_e32 v3, 0x7fc0, v6, vcc_lo
.LBB167_224:
	s_mov_b32 s42, 0
	s_mov_b32 s27, -1
.LBB167_225:
	s_and_not1_b32 vcc_lo, exec_lo, s42
	s_cbranch_vccnz .LBB167_238
; %bb.226:
	s_cmp_gt_i32 s0, 14
	s_cbranch_scc0 .LBB167_229
; %bb.227:
	s_cmp_eq_u32 s0, 15
	s_cbranch_scc0 .LBB167_232
; %bb.228:
	s_wait_loadcnt 0x0
	global_load_u16 v3, v[4:5], off
	s_mov_b32 s27, -1
	s_mov_b32 s26, 0
	s_branch .LBB167_233
.LBB167_229:
	s_mov_b32 s42, -1
                                        ; implicit-def: $vgpr3
	s_branch .LBB167_234
.LBB167_230:
	s_or_saveexec_b32 s42, s42
	v_mov_b32_e32 v6, 0x7f800001
	s_xor_b32 exec_lo, exec_lo, s42
	s_cbranch_execz .LBB167_211
.LBB167_231:
	v_cmp_ne_u16_e32 vcc_lo, 0, v3
	v_mov_b32_e32 v6, 0
	s_and_not1_b32 s27, s27, exec_lo
	s_and_b32 s43, vcc_lo, exec_lo
	s_delay_alu instid0(SALU_CYCLE_1)
	s_or_b32 s27, s27, s43
	s_or_b32 exec_lo, exec_lo, s42
	s_and_saveexec_b32 s42, s27
	s_cbranch_execnz .LBB167_212
	s_branch .LBB167_213
.LBB167_232:
	s_mov_b32 s26, -1
                                        ; implicit-def: $vgpr3
.LBB167_233:
	s_mov_b32 s42, 0
.LBB167_234:
	s_delay_alu instid0(SALU_CYCLE_1)
	s_and_b32 vcc_lo, exec_lo, s42
	s_cbranch_vccz .LBB167_238
; %bb.235:
	s_cmp_eq_u32 s0, 11
	s_cbranch_scc0 .LBB167_237
; %bb.236:
	s_wait_loadcnt 0x0
	global_load_u8 v3, v[4:5], off
	s_mov_b32 s26, 0
	s_mov_b32 s27, -1
	s_wait_loadcnt 0x0
	v_cmp_ne_u16_e32 vcc_lo, 0, v3
	v_cndmask_b32_e64 v3, 0, 1.0, vcc_lo
	s_delay_alu instid0(VALU_DEP_1)
	v_lshrrev_b32_e32 v3, 16, v3
	s_branch .LBB167_238
.LBB167_237:
	s_mov_b32 s26, -1
                                        ; implicit-def: $vgpr3
.LBB167_238:
	s_mov_b32 s42, 0
.LBB167_239:
	s_delay_alu instid0(SALU_CYCLE_1)
	s_and_b32 vcc_lo, exec_lo, s42
	s_cbranch_vccz .LBB167_288
; %bb.240:
	s_cmp_lt_i32 s0, 5
	s_cbranch_scc1 .LBB167_245
; %bb.241:
	s_cmp_lt_i32 s0, 8
	s_cbranch_scc1 .LBB167_246
	;; [unrolled: 3-line block ×3, first 2 shown]
; %bb.243:
	s_cmp_gt_i32 s0, 9
	s_cbranch_scc0 .LBB167_248
; %bb.244:
	global_load_b64 v[6:7], v[4:5], off
	s_mov_b32 s27, 0
	s_wait_loadcnt 0x0
	v_cvt_f32_f64_e32 v3, v[6:7]
	s_delay_alu instid0(VALU_DEP_1) | instskip(SKIP_1) | instid1(VALU_DEP_2)
	v_bfe_u32 v6, v3, 16, 1
	v_cmp_o_f32_e32 vcc_lo, v3, v3
	v_add3_u32 v6, v3, v6, 0x7fff
	s_delay_alu instid0(VALU_DEP_1) | instskip(NEXT) | instid1(VALU_DEP_1)
	v_lshrrev_b32_e32 v6, 16, v6
	v_cndmask_b32_e32 v3, 0x7fc0, v6, vcc_lo
	s_branch .LBB167_249
.LBB167_245:
	s_mov_b32 s27, -1
                                        ; implicit-def: $vgpr3
	s_branch .LBB167_267
.LBB167_246:
	s_mov_b32 s27, -1
                                        ; implicit-def: $vgpr3
	s_branch .LBB167_255
.LBB167_247:
	s_mov_b32 s27, -1
                                        ; implicit-def: $vgpr3
	s_branch .LBB167_252
.LBB167_248:
	s_mov_b32 s27, -1
                                        ; implicit-def: $vgpr3
.LBB167_249:
	s_delay_alu instid0(SALU_CYCLE_1)
	s_and_not1_b32 vcc_lo, exec_lo, s27
	s_cbranch_vccnz .LBB167_251
; %bb.250:
	s_wait_loadcnt 0x0
	global_load_b32 v3, v[4:5], off
	s_wait_loadcnt 0x0
	v_bfe_u32 v6, v3, 16, 1
	v_cmp_o_f32_e32 vcc_lo, v3, v3
	s_delay_alu instid0(VALU_DEP_2) | instskip(NEXT) | instid1(VALU_DEP_1)
	v_add3_u32 v6, v3, v6, 0x7fff
	v_lshrrev_b32_e32 v6, 16, v6
	s_delay_alu instid0(VALU_DEP_1)
	v_cndmask_b32_e32 v3, 0x7fc0, v6, vcc_lo
.LBB167_251:
	s_mov_b32 s27, 0
.LBB167_252:
	s_delay_alu instid0(SALU_CYCLE_1)
	s_and_not1_b32 vcc_lo, exec_lo, s27
	s_cbranch_vccnz .LBB167_254
; %bb.253:
	s_wait_loadcnt 0x0
	global_load_b32 v3, v[4:5], off
	s_wait_loadcnt 0x0
	v_cvt_f32_f16_e32 v6, v3
	v_cmp_o_f16_e32 vcc_lo, v3, v3
	s_delay_alu instid0(VALU_DEP_2) | instskip(NEXT) | instid1(VALU_DEP_1)
	v_bfe_u32 v7, v6, 16, 1
	v_add3_u32 v6, v6, v7, 0x7fff
	s_delay_alu instid0(VALU_DEP_1) | instskip(NEXT) | instid1(VALU_DEP_1)
	v_lshrrev_b32_e32 v6, 16, v6
	v_cndmask_b32_e32 v3, 0x7fc0, v6, vcc_lo
.LBB167_254:
	s_mov_b32 s27, 0
.LBB167_255:
	s_delay_alu instid0(SALU_CYCLE_1)
	s_and_not1_b32 vcc_lo, exec_lo, s27
	s_cbranch_vccnz .LBB167_266
; %bb.256:
	s_cmp_lt_i32 s0, 6
	s_cbranch_scc1 .LBB167_259
; %bb.257:
	s_cmp_gt_i32 s0, 6
	s_cbranch_scc0 .LBB167_260
; %bb.258:
	global_load_b64 v[6:7], v[4:5], off
	s_mov_b32 s27, 0
	s_wait_loadcnt 0x0
	v_cvt_f32_f64_e32 v3, v[6:7]
	s_delay_alu instid0(VALU_DEP_1) | instskip(SKIP_1) | instid1(VALU_DEP_2)
	v_bfe_u32 v6, v3, 16, 1
	v_cmp_o_f32_e32 vcc_lo, v3, v3
	v_add3_u32 v6, v3, v6, 0x7fff
	s_delay_alu instid0(VALU_DEP_1) | instskip(NEXT) | instid1(VALU_DEP_1)
	v_lshrrev_b32_e32 v6, 16, v6
	v_cndmask_b32_e32 v3, 0x7fc0, v6, vcc_lo
	s_branch .LBB167_261
.LBB167_259:
	s_mov_b32 s27, -1
                                        ; implicit-def: $vgpr3
	s_branch .LBB167_264
.LBB167_260:
	s_mov_b32 s27, -1
                                        ; implicit-def: $vgpr3
.LBB167_261:
	s_delay_alu instid0(SALU_CYCLE_1)
	s_and_not1_b32 vcc_lo, exec_lo, s27
	s_cbranch_vccnz .LBB167_263
; %bb.262:
	s_wait_loadcnt 0x0
	global_load_b32 v3, v[4:5], off
	s_wait_loadcnt 0x0
	v_bfe_u32 v6, v3, 16, 1
	v_cmp_o_f32_e32 vcc_lo, v3, v3
	s_delay_alu instid0(VALU_DEP_2) | instskip(NEXT) | instid1(VALU_DEP_1)
	v_add3_u32 v6, v3, v6, 0x7fff
	v_lshrrev_b32_e32 v6, 16, v6
	s_delay_alu instid0(VALU_DEP_1)
	v_cndmask_b32_e32 v3, 0x7fc0, v6, vcc_lo
.LBB167_263:
	s_mov_b32 s27, 0
.LBB167_264:
	s_delay_alu instid0(SALU_CYCLE_1)
	s_and_not1_b32 vcc_lo, exec_lo, s27
	s_cbranch_vccnz .LBB167_266
; %bb.265:
	s_wait_loadcnt 0x0
	global_load_u16 v3, v[4:5], off
	s_wait_loadcnt 0x0
	v_cvt_f32_f16_e32 v6, v3
	v_cmp_o_f16_e32 vcc_lo, v3, v3
	s_delay_alu instid0(VALU_DEP_2) | instskip(NEXT) | instid1(VALU_DEP_1)
	v_bfe_u32 v7, v6, 16, 1
	v_add3_u32 v6, v6, v7, 0x7fff
	s_delay_alu instid0(VALU_DEP_1) | instskip(NEXT) | instid1(VALU_DEP_1)
	v_lshrrev_b32_e32 v6, 16, v6
	v_cndmask_b32_e32 v3, 0x7fc0, v6, vcc_lo
.LBB167_266:
	s_mov_b32 s27, 0
.LBB167_267:
	s_delay_alu instid0(SALU_CYCLE_1)
	s_and_not1_b32 vcc_lo, exec_lo, s27
	s_cbranch_vccnz .LBB167_287
; %bb.268:
	s_cmp_lt_i32 s0, 2
	s_cbranch_scc1 .LBB167_272
; %bb.269:
	s_cmp_lt_i32 s0, 3
	s_cbranch_scc1 .LBB167_273
; %bb.270:
	s_cmp_gt_i32 s0, 3
	s_cbranch_scc0 .LBB167_274
; %bb.271:
	global_load_b64 v[6:7], v[4:5], off
	s_mov_b32 s27, 0
	s_wait_loadcnt 0x0
	v_xor_b32_e32 v3, v6, v7
	v_cls_i32_e32 v8, v7
	s_delay_alu instid0(VALU_DEP_2) | instskip(NEXT) | instid1(VALU_DEP_1)
	v_ashrrev_i32_e32 v3, 31, v3
	v_add_nc_u32_e32 v3, 32, v3
	s_delay_alu instid0(VALU_DEP_1) | instskip(NEXT) | instid1(VALU_DEP_1)
	v_add_min_u32_e64 v3, v8, -1, v3
	v_lshlrev_b64_e32 v[6:7], v3, v[6:7]
	v_sub_nc_u32_e32 v3, 32, v3
	s_delay_alu instid0(VALU_DEP_2) | instskip(NEXT) | instid1(VALU_DEP_1)
	v_min_u32_e32 v6, 1, v6
	v_or_b32_e32 v6, v7, v6
	s_delay_alu instid0(VALU_DEP_1) | instskip(NEXT) | instid1(VALU_DEP_1)
	v_cvt_f32_i32_e32 v6, v6
	v_ldexp_f32 v3, v6, v3
	s_delay_alu instid0(VALU_DEP_1) | instskip(NEXT) | instid1(VALU_DEP_1)
	v_bfe_u32 v6, v3, 16, 1
	v_add3_u32 v3, v3, v6, 0x7fff
	s_delay_alu instid0(VALU_DEP_1)
	v_lshrrev_b32_e32 v3, 16, v3
	s_branch .LBB167_275
.LBB167_272:
	s_mov_b32 s27, -1
                                        ; implicit-def: $vgpr3
	s_branch .LBB167_281
.LBB167_273:
	s_mov_b32 s27, -1
                                        ; implicit-def: $vgpr3
	s_branch .LBB167_278
.LBB167_274:
	s_mov_b32 s27, -1
                                        ; implicit-def: $vgpr3
.LBB167_275:
	s_delay_alu instid0(SALU_CYCLE_1)
	s_and_not1_b32 vcc_lo, exec_lo, s27
	s_cbranch_vccnz .LBB167_277
; %bb.276:
	s_wait_loadcnt 0x0
	global_load_b32 v3, v[4:5], off
	s_wait_loadcnt 0x0
	v_cvt_f32_i32_e32 v3, v3
	s_delay_alu instid0(VALU_DEP_1) | instskip(NEXT) | instid1(VALU_DEP_1)
	v_bfe_u32 v6, v3, 16, 1
	v_add3_u32 v3, v3, v6, 0x7fff
	s_delay_alu instid0(VALU_DEP_1)
	v_lshrrev_b32_e32 v3, 16, v3
.LBB167_277:
	s_mov_b32 s27, 0
.LBB167_278:
	s_delay_alu instid0(SALU_CYCLE_1)
	s_and_not1_b32 vcc_lo, exec_lo, s27
	s_cbranch_vccnz .LBB167_280
; %bb.279:
	s_wait_loadcnt 0x0
	global_load_i16 v3, v[4:5], off
	s_wait_loadcnt 0x0
	v_cvt_f32_i32_e32 v3, v3
	s_delay_alu instid0(VALU_DEP_1) | instskip(NEXT) | instid1(VALU_DEP_1)
	v_bfe_u32 v6, v3, 16, 1
	v_add3_u32 v3, v3, v6, 0x7fff
	s_delay_alu instid0(VALU_DEP_1)
	v_lshrrev_b32_e32 v3, 16, v3
.LBB167_280:
	s_mov_b32 s27, 0
.LBB167_281:
	s_delay_alu instid0(SALU_CYCLE_1)
	s_and_not1_b32 vcc_lo, exec_lo, s27
	s_cbranch_vccnz .LBB167_287
; %bb.282:
	s_cmp_gt_i32 s0, 0
	s_mov_b32 s0, 0
	s_cbranch_scc0 .LBB167_284
; %bb.283:
	s_wait_loadcnt 0x0
	global_load_i8 v3, v[4:5], off
	s_wait_loadcnt 0x0
	v_cvt_f32_i32_e32 v3, v3
	s_delay_alu instid0(VALU_DEP_1) | instskip(NEXT) | instid1(VALU_DEP_1)
	v_bfe_u32 v6, v3, 16, 1
	v_add3_u32 v3, v3, v6, 0x7fff
	s_delay_alu instid0(VALU_DEP_1)
	v_lshrrev_b32_e32 v3, 16, v3
	s_branch .LBB167_285
.LBB167_284:
	s_mov_b32 s0, -1
                                        ; implicit-def: $vgpr3
.LBB167_285:
	s_delay_alu instid0(SALU_CYCLE_1)
	s_and_not1_b32 vcc_lo, exec_lo, s0
	s_cbranch_vccnz .LBB167_287
; %bb.286:
	s_wait_loadcnt 0x0
	global_load_u8 v3, v[4:5], off
	s_wait_loadcnt 0x0
	v_cvt_f32_ubyte0_e32 v3, v3
	s_delay_alu instid0(VALU_DEP_1) | instskip(NEXT) | instid1(VALU_DEP_1)
	v_bfe_u32 v4, v3, 16, 1
	v_add3_u32 v3, v3, v4, 0x7fff
	s_delay_alu instid0(VALU_DEP_1)
	v_lshrrev_b32_e32 v3, 16, v3
.LBB167_287:
	s_mov_b32 s27, -1
.LBB167_288:
	s_delay_alu instid0(SALU_CYCLE_1)
	s_and_not1_b32 vcc_lo, exec_lo, s27
	s_cbranch_vccnz .LBB167_296
; %bb.289:
	s_wait_loadcnt 0x0
	v_dual_lshlrev_b32 v1, 16, v1 :: v_dual_lshlrev_b32 v3, 16, v3
	s_and_b32 s27, s33, 0xff
	s_delay_alu instid0(SALU_CYCLE_1) | instskip(NEXT) | instid1(VALU_DEP_1)
	s_cmp_lt_i32 s27, 11
	v_mul_f32_e32 v1, s9, v1
	s_delay_alu instid0(VALU_DEP_1) | instskip(SKIP_1) | instid1(VALU_DEP_2)
	v_bfe_u32 v4, v1, 16, 1
	v_cmp_o_f32_e32 vcc_lo, v1, v1
	v_add3_u32 v4, v1, v4, 0x7fff
	s_delay_alu instid0(VALU_DEP_1) | instskip(NEXT) | instid1(VALU_DEP_1)
	v_and_b32_e32 v4, 0xffff0000, v4
	v_cndmask_b32_e32 v1, 0x7fc00000, v4, vcc_lo
	s_delay_alu instid0(VALU_DEP_1) | instskip(NEXT) | instid1(VALU_DEP_1)
	v_mul_f32_e32 v1, v1, v3
	v_bfe_u32 v3, v1, 16, 1
	v_cmp_o_f32_e32 vcc_lo, v1, v1
	s_delay_alu instid0(VALU_DEP_2) | instskip(NEXT) | instid1(VALU_DEP_1)
	v_add3_u32 v4, v1, v3, 0x7fff
	v_dual_mov_b32 v3, 0 :: v_dual_lshrrev_b32 v4, 16, v4
	s_delay_alu instid0(VALU_DEP_1) | instskip(NEXT) | instid1(VALU_DEP_2)
	v_add_nc_u64_e32 v[2:3], s[16:17], v[2:3]
	v_cndmask_b32_e32 v1, 0x7fc0, v4, vcc_lo
	s_cbranch_scc1 .LBB167_297
; %bb.290:
	s_and_b32 s42, 0xffff, s27
	s_delay_alu instid0(SALU_CYCLE_1)
	s_cmp_gt_i32 s42, 25
	s_cbranch_scc0 .LBB167_298
; %bb.291:
	s_cmp_gt_i32 s42, 28
	s_cbranch_scc0 .LBB167_299
; %bb.292:
	;; [unrolled: 3-line block ×4, first 2 shown]
	s_mov_b32 s44, 0
	s_mov_b32 s0, -1
	s_cmp_eq_u32 s42, 46
	s_mov_b32 s43, 0
	s_cbranch_scc0 .LBB167_302
; %bb.295:
	v_and_b32_e32 v4, 0xffff, v1
	s_mov_b32 s43, -1
	s_mov_b32 s0, 0
	global_store_b32 v[2:3], v4, off
	s_branch .LBB167_302
.LBB167_296:
	s_mov_b32 s0, 0
	s_branch .LBB167_38
.LBB167_297:
	s_mov_b32 s42, -1
	s_mov_b32 s0, 0
	s_mov_b32 s43, 0
	s_branch .LBB167_371
.LBB167_298:
	s_mov_b32 s44, -1
	s_mov_b32 s0, 0
	s_mov_b32 s43, 0
	s_branch .LBB167_329
.LBB167_299:
	s_mov_b32 s44, -1
	s_mov_b32 s0, 0
	s_mov_b32 s43, 0
	s_branch .LBB167_312
.LBB167_300:
	s_mov_b32 s44, -1
	s_mov_b32 s0, 0
	s_mov_b32 s43, 0
	s_branch .LBB167_308
.LBB167_301:
	s_mov_b32 s44, -1
	s_mov_b32 s0, 0
	s_mov_b32 s43, 0
.LBB167_302:
	s_and_b32 vcc_lo, exec_lo, s44
	s_cbranch_vccz .LBB167_307
; %bb.303:
	s_cmp_eq_u32 s42, 44
	s_mov_b32 s0, -1
	s_cbranch_scc0 .LBB167_307
; %bb.304:
	s_wait_xcnt 0x0
	v_and_b32_e32 v4, 0xffff, v1
	v_mov_b32_e32 v5, 0xff
	s_mov_b32 s43, exec_lo
	s_delay_alu instid0(VALU_DEP_2) | instskip(NEXT) | instid1(VALU_DEP_1)
	v_bfe_u32 v6, v4, 7, 8
	v_cmpx_ne_u32_e32 0xff, v6
	s_cbranch_execz .LBB167_306
; %bb.305:
	v_dual_lshlrev_b32 v5, 16, v4 :: v_dual_bitop2_b32 v7, 64, v4 bitop3:0x40
	v_lshrrev_b32_e32 v4, 7, v4
	s_delay_alu instid0(VALU_DEP_2) | instskip(NEXT) | instid1(VALU_DEP_3)
	v_and_or_b32 v5, 0x3f0000, v5, v6
	v_cmp_ne_u32_e32 vcc_lo, 0, v7
	s_delay_alu instid0(VALU_DEP_2) | instskip(SKIP_1) | instid1(SALU_CYCLE_1)
	v_cmp_ne_u32_e64 s0, 0, v5
	s_and_b32 s0, vcc_lo, s0
	v_cndmask_b32_e64 v5, 0, 1, s0
	s_delay_alu instid0(VALU_DEP_1)
	v_add_nc_u32_e32 v5, v4, v5
.LBB167_306:
	s_or_b32 exec_lo, exec_lo, s43
	s_mov_b32 s43, -1
	s_mov_b32 s0, 0
	global_store_b8 v[2:3], v5, off
.LBB167_307:
	s_mov_b32 s44, 0
.LBB167_308:
	s_delay_alu instid0(SALU_CYCLE_1)
	s_and_b32 vcc_lo, exec_lo, s44
	s_cbranch_vccz .LBB167_311
; %bb.309:
	s_cmp_eq_u32 s42, 29
	s_mov_b32 s0, -1
	s_cbranch_scc0 .LBB167_311
; %bb.310:
	s_wait_xcnt 0x0
	v_lshlrev_b32_e32 v4, 16, v1
	s_mov_b32 s43, -1
	s_mov_b32 s0, 0
	s_mov_b32 s44, 0
	s_delay_alu instid0(VALU_DEP_1) | instskip(NEXT) | instid1(VALU_DEP_1)
	v_trunc_f32_e32 v4, v4
	v_mul_f32_e32 v5, 0x2f800000, v4
	s_delay_alu instid0(VALU_DEP_1) | instskip(NEXT) | instid1(VALU_DEP_1)
	v_floor_f32_e32 v5, v5
	v_fmamk_f32 v4, v5, 0xcf800000, v4
	v_cvt_u32_f32_e32 v5, v5
	s_delay_alu instid0(VALU_DEP_2)
	v_cvt_u32_f32_e32 v4, v4
	global_store_b64 v[2:3], v[4:5], off
	s_branch .LBB167_312
.LBB167_311:
	s_mov_b32 s44, 0
.LBB167_312:
	s_delay_alu instid0(SALU_CYCLE_1)
	s_and_b32 vcc_lo, exec_lo, s44
	s_cbranch_vccz .LBB167_328
; %bb.313:
	s_cmp_lt_i32 s42, 27
	s_mov_b32 s43, -1
	s_cbranch_scc1 .LBB167_319
; %bb.314:
	s_cmp_gt_i32 s42, 27
	s_cbranch_scc0 .LBB167_316
; %bb.315:
	s_wait_xcnt 0x0
	v_lshlrev_b32_e32 v4, 16, v1
	s_mov_b32 s43, 0
	s_delay_alu instid0(VALU_DEP_1)
	v_cvt_u32_f32_e32 v4, v4
	global_store_b32 v[2:3], v4, off
.LBB167_316:
	s_and_not1_b32 vcc_lo, exec_lo, s43
	s_cbranch_vccnz .LBB167_318
; %bb.317:
	s_wait_xcnt 0x0
	v_lshlrev_b32_e32 v4, 16, v1
	s_delay_alu instid0(VALU_DEP_1)
	v_cvt_u32_f32_e32 v4, v4
	global_store_b16 v[2:3], v4, off
.LBB167_318:
	s_mov_b32 s43, 0
.LBB167_319:
	s_delay_alu instid0(SALU_CYCLE_1)
	s_and_not1_b32 vcc_lo, exec_lo, s43
	s_cbranch_vccnz .LBB167_327
; %bb.320:
	v_dual_mov_b32 v7, 0x80 :: v_dual_lshlrev_b32 v6, 16, v1
	s_mov_b32 s43, exec_lo
	s_wait_xcnt 0x0
	s_delay_alu instid0(VALU_DEP_1) | instskip(NEXT) | instid1(VALU_DEP_1)
	v_and_b32_e32 v5, 0x7fffffff, v6
	v_cmpx_gt_u32_e32 0x43800000, v5
	s_cbranch_execz .LBB167_326
; %bb.321:
	v_and_b32_e32 v4, 0xffff, v1
	v_cmp_lt_u32_e32 vcc_lo, 0x3bffffff, v5
	s_mov_b32 s44, 0
                                        ; implicit-def: $vgpr5
	s_and_saveexec_b32 s45, vcc_lo
	s_delay_alu instid0(SALU_CYCLE_1)
	s_xor_b32 s45, exec_lo, s45
	s_cbranch_execz .LBB167_458
; %bb.322:
	v_bfe_u32 v5, v4, 4, 1
	s_mov_b32 s44, exec_lo
	s_delay_alu instid0(VALU_DEP_1) | instskip(NEXT) | instid1(VALU_DEP_1)
	v_add3_u32 v5, v6, v5, 0x487ffff
                                        ; implicit-def: $vgpr6
	v_lshrrev_b32_e32 v5, 20, v5
	s_and_not1_saveexec_b32 s45, s45
	s_cbranch_execnz .LBB167_459
.LBB167_323:
	s_or_b32 exec_lo, exec_lo, s45
	v_mov_b32_e32 v7, 0
	s_and_saveexec_b32 s45, s44
.LBB167_324:
	v_lshrrev_b32_e32 v4, 8, v4
	s_delay_alu instid0(VALU_DEP_1)
	v_and_or_b32 v7, 0x80, v4, v5
.LBB167_325:
	s_or_b32 exec_lo, exec_lo, s45
.LBB167_326:
	s_delay_alu instid0(SALU_CYCLE_1)
	s_or_b32 exec_lo, exec_lo, s43
	global_store_b8 v[2:3], v7, off
.LBB167_327:
	s_mov_b32 s43, -1
.LBB167_328:
	s_mov_b32 s44, 0
.LBB167_329:
	s_delay_alu instid0(SALU_CYCLE_1)
	s_and_b32 vcc_lo, exec_lo, s44
	s_cbranch_vccz .LBB167_370
; %bb.330:
	s_cmp_gt_i32 s42, 22
	s_mov_b32 s44, -1
	s_cbranch_scc0 .LBB167_362
; %bb.331:
	s_cmp_lt_i32 s42, 24
	s_mov_b32 s43, -1
	s_cbranch_scc1 .LBB167_351
; %bb.332:
	s_cmp_gt_i32 s42, 24
	s_cbranch_scc0 .LBB167_340
; %bb.333:
	s_wait_xcnt 0x0
	v_dual_mov_b32 v7, 0x80 :: v_dual_lshlrev_b32 v6, 16, v1
	s_mov_b32 s43, exec_lo
	s_delay_alu instid0(VALU_DEP_1) | instskip(NEXT) | instid1(VALU_DEP_1)
	v_and_b32_e32 v5, 0x7fffffff, v6
	v_cmpx_gt_u32_e32 0x47800000, v5
	s_cbranch_execz .LBB167_339
; %bb.334:
	v_and_b32_e32 v4, 0xffff, v1
	v_cmp_lt_u32_e32 vcc_lo, 0x37ffffff, v5
	s_mov_b32 s44, 0
                                        ; implicit-def: $vgpr5
	s_and_saveexec_b32 s45, vcc_lo
	s_delay_alu instid0(SALU_CYCLE_1)
	s_xor_b32 s45, exec_lo, s45
	s_cbranch_execz .LBB167_589
; %bb.335:
	v_bfe_u32 v5, v4, 5, 1
	s_mov_b32 s44, exec_lo
	s_delay_alu instid0(VALU_DEP_1) | instskip(NEXT) | instid1(VALU_DEP_1)
	v_add3_u32 v5, v6, v5, 0x88fffff
                                        ; implicit-def: $vgpr6
	v_lshrrev_b32_e32 v5, 21, v5
	s_and_not1_saveexec_b32 s45, s45
	s_cbranch_execnz .LBB167_590
.LBB167_336:
	s_or_b32 exec_lo, exec_lo, s45
	v_mov_b32_e32 v7, 0
	s_and_saveexec_b32 s45, s44
.LBB167_337:
	v_lshrrev_b32_e32 v4, 8, v4
	s_delay_alu instid0(VALU_DEP_1)
	v_and_or_b32 v7, 0x80, v4, v5
.LBB167_338:
	s_or_b32 exec_lo, exec_lo, s45
.LBB167_339:
	s_delay_alu instid0(SALU_CYCLE_1)
	s_or_b32 exec_lo, exec_lo, s43
	s_mov_b32 s43, 0
	global_store_b8 v[2:3], v7, off
.LBB167_340:
	s_and_b32 vcc_lo, exec_lo, s43
	s_cbranch_vccz .LBB167_350
; %bb.341:
	v_lshlrev_b32_e32 v6, 16, v1
	s_wait_xcnt 0x0
	v_and_b32_e32 v4, 0xffff, v1
	s_mov_b32 s43, exec_lo
                                        ; implicit-def: $vgpr5
	s_delay_alu instid0(VALU_DEP_2) | instskip(NEXT) | instid1(VALU_DEP_1)
	v_and_b32_e32 v7, 0x7fffffff, v6
	v_cmpx_gt_u32_e32 0x43f00000, v7
	s_xor_b32 s43, exec_lo, s43
	s_cbranch_execz .LBB167_347
; %bb.342:
	s_mov_b32 s44, exec_lo
                                        ; implicit-def: $vgpr5
	v_cmpx_lt_u32_e32 0x3c7fffff, v7
	s_xor_b32 s44, exec_lo, s44
; %bb.343:
	v_bfe_u32 v5, v4, 4, 1
	s_delay_alu instid0(VALU_DEP_1) | instskip(NEXT) | instid1(VALU_DEP_1)
	v_add3_u32 v5, v6, v5, 0x407ffff
	v_and_b32_e32 v6, 0xff00000, v5
	v_lshrrev_b32_e32 v5, 20, v5
	s_delay_alu instid0(VALU_DEP_2) | instskip(NEXT) | instid1(VALU_DEP_2)
	v_cmp_ne_u32_e32 vcc_lo, 0x7f00000, v6
                                        ; implicit-def: $vgpr6
	v_cndmask_b32_e32 v5, 0x7e, v5, vcc_lo
; %bb.344:
	s_and_not1_saveexec_b32 s44, s44
; %bb.345:
	v_add_f32_e64 v5, 0x46800000, |v6|
; %bb.346:
	s_or_b32 exec_lo, exec_lo, s44
                                        ; implicit-def: $vgpr7
.LBB167_347:
	s_and_not1_saveexec_b32 s43, s43
; %bb.348:
	v_mov_b32_e32 v5, 0x7f
	v_cmp_lt_u32_e32 vcc_lo, 0x7f800000, v7
	s_delay_alu instid0(VALU_DEP_2)
	v_cndmask_b32_e32 v5, 0x7e, v5, vcc_lo
; %bb.349:
	s_or_b32 exec_lo, exec_lo, s43
	v_lshrrev_b32_e32 v4, 8, v4
	s_delay_alu instid0(VALU_DEP_1)
	v_and_or_b32 v4, 0x80, v4, v5
	global_store_b8 v[2:3], v4, off
.LBB167_350:
	s_mov_b32 s43, 0
.LBB167_351:
	s_delay_alu instid0(SALU_CYCLE_1)
	s_and_not1_b32 vcc_lo, exec_lo, s43
	s_cbranch_vccnz .LBB167_361
; %bb.352:
	v_lshlrev_b32_e32 v6, 16, v1
	s_wait_xcnt 0x0
	v_and_b32_e32 v4, 0xffff, v1
	s_mov_b32 s43, exec_lo
                                        ; implicit-def: $vgpr5
	s_delay_alu instid0(VALU_DEP_2) | instskip(NEXT) | instid1(VALU_DEP_1)
	v_and_b32_e32 v7, 0x7fffffff, v6
	v_cmpx_gt_u32_e32 0x47800000, v7
	s_xor_b32 s43, exec_lo, s43
	s_cbranch_execz .LBB167_358
; %bb.353:
	s_mov_b32 s44, exec_lo
                                        ; implicit-def: $vgpr5
	v_cmpx_lt_u32_e32 0x387fffff, v7
	s_xor_b32 s44, exec_lo, s44
; %bb.354:
	v_bfe_u32 v5, v4, 5, 1
	s_delay_alu instid0(VALU_DEP_1) | instskip(NEXT) | instid1(VALU_DEP_1)
	v_add3_u32 v5, v6, v5, 0x80fffff
                                        ; implicit-def: $vgpr6
	v_lshrrev_b32_e32 v5, 21, v5
; %bb.355:
	s_and_not1_saveexec_b32 s44, s44
; %bb.356:
	v_add_f32_e64 v5, 0x43000000, |v6|
; %bb.357:
	s_or_b32 exec_lo, exec_lo, s44
                                        ; implicit-def: $vgpr7
.LBB167_358:
	s_and_not1_saveexec_b32 s43, s43
; %bb.359:
	v_mov_b32_e32 v5, 0x7f
	v_cmp_lt_u32_e32 vcc_lo, 0x7f800000, v7
	s_delay_alu instid0(VALU_DEP_2)
	v_cndmask_b32_e32 v5, 0x7c, v5, vcc_lo
; %bb.360:
	s_or_b32 exec_lo, exec_lo, s43
	v_lshrrev_b32_e32 v4, 8, v4
	s_delay_alu instid0(VALU_DEP_1)
	v_and_or_b32 v4, 0x80, v4, v5
	global_store_b8 v[2:3], v4, off
.LBB167_361:
	s_mov_b32 s44, 0
	s_mov_b32 s43, -1
.LBB167_362:
	s_and_not1_b32 vcc_lo, exec_lo, s44
	s_cbranch_vccnz .LBB167_370
; %bb.363:
	s_cmp_gt_i32 s42, 14
	s_mov_b32 s44, -1
	s_cbranch_scc0 .LBB167_367
; %bb.364:
	s_cmp_eq_u32 s42, 15
	s_mov_b32 s0, -1
	s_cbranch_scc0 .LBB167_366
; %bb.365:
	s_mov_b32 s43, -1
	s_mov_b32 s0, 0
	global_store_b16 v[2:3], v1, off
.LBB167_366:
	s_mov_b32 s44, 0
.LBB167_367:
	s_delay_alu instid0(SALU_CYCLE_1)
	s_and_b32 vcc_lo, exec_lo, s44
	s_cbranch_vccz .LBB167_370
; %bb.368:
	s_cmp_eq_u32 s42, 11
	s_mov_b32 s0, -1
	s_cbranch_scc0 .LBB167_370
; %bb.369:
	s_wait_xcnt 0x0
	v_and_b32_e32 v4, 0x7fff, v1
	s_mov_b32 s0, 0
	s_mov_b32 s43, -1
	s_delay_alu instid0(VALU_DEP_1)
	v_cmp_ne_u16_e32 vcc_lo, 0, v4
	v_cndmask_b32_e64 v4, 0, 1, vcc_lo
	global_store_b8 v[2:3], v4, off
.LBB167_370:
	s_mov_b32 s42, 0
.LBB167_371:
	s_delay_alu instid0(SALU_CYCLE_1)
	s_and_b32 vcc_lo, exec_lo, s42
	s_cbranch_vccz .LBB167_410
; %bb.372:
	s_and_b32 s27, 0xffff, s27
	s_mov_b32 s42, -1
	s_cmp_lt_i32 s27, 5
	s_cbranch_scc1 .LBB167_393
; %bb.373:
	s_cmp_lt_i32 s27, 8
	s_cbranch_scc1 .LBB167_383
; %bb.374:
	;; [unrolled: 3-line block ×3, first 2 shown]
	s_cmp_gt_i32 s27, 9
	s_cbranch_scc0 .LBB167_377
; %bb.376:
	s_wait_xcnt 0x0
	v_dual_lshlrev_b32 v4, 16, v1 :: v_dual_mov_b32 v6, 0
	s_mov_b32 s42, 0
	s_delay_alu instid0(VALU_DEP_1) | instskip(NEXT) | instid1(VALU_DEP_2)
	v_cvt_f64_f32_e32 v[4:5], v4
	v_mov_b32_e32 v7, v6
	global_store_b128 v[2:3], v[4:7], off
.LBB167_377:
	s_and_not1_b32 vcc_lo, exec_lo, s42
	s_cbranch_vccnz .LBB167_379
; %bb.378:
	s_wait_xcnt 0x0
	v_dual_mov_b32 v5, 0 :: v_dual_lshlrev_b32 v4, 16, v1
	global_store_b64 v[2:3], v[4:5], off
.LBB167_379:
	s_mov_b32 s42, 0
.LBB167_380:
	s_delay_alu instid0(SALU_CYCLE_1)
	s_and_not1_b32 vcc_lo, exec_lo, s42
	s_cbranch_vccnz .LBB167_382
; %bb.381:
	s_wait_xcnt 0x0
	v_lshlrev_b32_e32 v4, 16, v1
	s_delay_alu instid0(VALU_DEP_1) | instskip(NEXT) | instid1(VALU_DEP_1)
	v_cvt_f16_f32_e32 v4, v4
	v_and_b32_e32 v4, 0xffff, v4
	global_store_b32 v[2:3], v4, off
.LBB167_382:
	s_mov_b32 s42, 0
.LBB167_383:
	s_delay_alu instid0(SALU_CYCLE_1)
	s_and_not1_b32 vcc_lo, exec_lo, s42
	s_cbranch_vccnz .LBB167_392
; %bb.384:
	s_cmp_lt_i32 s27, 6
	s_mov_b32 s42, -1
	s_cbranch_scc1 .LBB167_390
; %bb.385:
	s_cmp_gt_i32 s27, 6
	s_cbranch_scc0 .LBB167_387
; %bb.386:
	s_wait_xcnt 0x0
	v_lshlrev_b32_e32 v4, 16, v1
	s_mov_b32 s42, 0
	s_delay_alu instid0(VALU_DEP_1)
	v_cvt_f64_f32_e32 v[4:5], v4
	global_store_b64 v[2:3], v[4:5], off
.LBB167_387:
	s_and_not1_b32 vcc_lo, exec_lo, s42
	s_cbranch_vccnz .LBB167_389
; %bb.388:
	s_wait_xcnt 0x0
	v_lshlrev_b32_e32 v4, 16, v1
	global_store_b32 v[2:3], v4, off
.LBB167_389:
	s_mov_b32 s42, 0
.LBB167_390:
	s_delay_alu instid0(SALU_CYCLE_1)
	s_and_not1_b32 vcc_lo, exec_lo, s42
	s_cbranch_vccnz .LBB167_392
; %bb.391:
	s_wait_xcnt 0x0
	v_lshlrev_b32_e32 v4, 16, v1
	s_delay_alu instid0(VALU_DEP_1)
	v_cvt_f16_f32_e32 v4, v4
	global_store_b16 v[2:3], v4, off
.LBB167_392:
	s_mov_b32 s42, 0
.LBB167_393:
	s_delay_alu instid0(SALU_CYCLE_1)
	s_and_not1_b32 vcc_lo, exec_lo, s42
	s_cbranch_vccnz .LBB167_409
; %bb.394:
	s_cmp_lt_i32 s27, 2
	s_mov_b32 s42, -1
	s_cbranch_scc1 .LBB167_404
; %bb.395:
	s_cmp_lt_i32 s27, 3
	s_cbranch_scc1 .LBB167_401
; %bb.396:
	s_cmp_gt_i32 s27, 3
	s_cbranch_scc0 .LBB167_398
; %bb.397:
	s_wait_xcnt 0x0
	v_lshlrev_b32_e32 v4, 16, v1
	s_mov_b32 s42, 0
	s_delay_alu instid0(VALU_DEP_1) | instskip(NEXT) | instid1(VALU_DEP_1)
	v_trunc_f32_e32 v4, v4
	v_mul_f32_e64 v5, 0x2f800000, |v4|
	s_delay_alu instid0(VALU_DEP_1) | instskip(NEXT) | instid1(VALU_DEP_1)
	v_floor_f32_e32 v5, v5
	v_fma_f32 v6, 0xcf800000, v5, |v4|
	v_ashrrev_i32_e32 v4, 31, v4
	v_cvt_u32_f32_e32 v7, v5
	s_delay_alu instid0(VALU_DEP_3) | instskip(NEXT) | instid1(VALU_DEP_2)
	v_cvt_u32_f32_e32 v6, v6
	v_dual_mov_b32 v5, v4 :: v_dual_bitop2_b32 v7, v7, v4 bitop3:0x14
	s_delay_alu instid0(VALU_DEP_2) | instskip(NEXT) | instid1(VALU_DEP_1)
	v_xor_b32_e32 v6, v6, v4
	v_sub_nc_u64_e32 v[4:5], v[6:7], v[4:5]
	global_store_b64 v[2:3], v[4:5], off
.LBB167_398:
	s_and_not1_b32 vcc_lo, exec_lo, s42
	s_cbranch_vccnz .LBB167_400
; %bb.399:
	s_wait_xcnt 0x0
	v_lshlrev_b32_e32 v4, 16, v1
	s_delay_alu instid0(VALU_DEP_1)
	v_cvt_i32_f32_e32 v4, v4
	global_store_b32 v[2:3], v4, off
.LBB167_400:
	s_mov_b32 s42, 0
.LBB167_401:
	s_delay_alu instid0(SALU_CYCLE_1)
	s_and_not1_b32 vcc_lo, exec_lo, s42
	s_cbranch_vccnz .LBB167_403
; %bb.402:
	s_wait_xcnt 0x0
	v_lshlrev_b32_e32 v4, 16, v1
	s_delay_alu instid0(VALU_DEP_1)
	v_cvt_i32_f32_e32 v4, v4
	global_store_b16 v[2:3], v4, off
.LBB167_403:
	s_mov_b32 s42, 0
.LBB167_404:
	s_delay_alu instid0(SALU_CYCLE_1)
	s_and_not1_b32 vcc_lo, exec_lo, s42
	s_cbranch_vccnz .LBB167_409
; %bb.405:
	s_wait_xcnt 0x0
	v_lshlrev_b32_e32 v1, 16, v1
	s_cmp_gt_i32 s27, 0
	s_mov_b32 s27, -1
	s_cbranch_scc0 .LBB167_407
; %bb.406:
	s_delay_alu instid0(VALU_DEP_1)
	v_cvt_i32_f32_e32 v4, v1
	s_mov_b32 s27, 0
	global_store_b8 v[2:3], v4, off
.LBB167_407:
	s_and_not1_b32 vcc_lo, exec_lo, s27
	s_cbranch_vccnz .LBB167_409
; %bb.408:
	v_trunc_f32_e32 v1, v1
	s_wait_xcnt 0x0
	s_delay_alu instid0(VALU_DEP_1) | instskip(NEXT) | instid1(VALU_DEP_1)
	v_mul_f32_e64 v4, 0x2f800000, |v1|
	v_floor_f32_e32 v4, v4
	s_delay_alu instid0(VALU_DEP_1) | instskip(SKIP_1) | instid1(VALU_DEP_2)
	v_fma_f32 v4, 0xcf800000, v4, |v1|
	v_ashrrev_i32_e32 v1, 31, v1
	v_cvt_u32_f32_e32 v4, v4
	s_delay_alu instid0(VALU_DEP_1) | instskip(NEXT) | instid1(VALU_DEP_1)
	v_xor_b32_e32 v4, v4, v1
	v_sub_nc_u32_e32 v1, v4, v1
	global_store_b8 v[2:3], v1, off
.LBB167_409:
	s_mov_b32 s43, -1
.LBB167_410:
	s_delay_alu instid0(SALU_CYCLE_1)
	s_and_not1_b32 vcc_lo, exec_lo, s43
	s_cbranch_vccnz .LBB167_38
; %bb.411:
	v_add_nc_u32_e32 v0, 0x80, v0
	s_mov_b32 s27, -1
.LBB167_412:
	s_and_b32 s42, s0, exec_lo
	s_and_b32 s43, s26, exec_lo
	;; [unrolled: 1-line block ×4, first 2 shown]
	s_or_not1_b32 s24, s27, exec_lo
.LBB167_413:
	s_wait_xcnt 0x0
	s_or_b32 exec_lo, exec_lo, s46
                                        ; implicit-def: $vgpr4
                                        ; implicit-def: $vgpr6
                                        ; implicit-def: $vgpr2
	s_and_saveexec_b32 s46, s24
	s_cbranch_execz .LBB167_1291
; %bb.414:
	s_mov_b32 s24, -1
	s_mov_b32 s47, s45
	s_mov_b32 s50, s44
	;; [unrolled: 1-line block ×4, first 2 shown]
	s_mov_b32 s51, exec_lo
	v_cmpx_gt_i32_e64 s40, v0
	s_cbranch_execz .LBB167_832
; %bb.415:
	s_and_not1_b32 vcc_lo, exec_lo, s30
	s_cbranch_vccnz .LBB167_421
; %bb.416:
	s_and_not1_b32 vcc_lo, exec_lo, s41
	s_cbranch_vccnz .LBB167_422
; %bb.417:
	s_wait_loadcnt 0x0
	v_dual_mov_b32 v2, 0 :: v_dual_mov_b32 v1, v0
	v_dual_mov_b32 v6, 0 :: v_dual_mov_b32 v4, 0
	s_add_co_i32 s0, s39, 1
	s_mov_b64 s[24:25], 0xffffffffffffffe0
	s_and_b32 s0, s0, 30
	s_add_nc_u64 s[24:25], s[2:3], s[24:25]
	s_mov_b64 s[26:27], s[2:3]
.LBB167_418:                            ; =>This Inner Loop Header: Depth=1
	s_clause 0x1
	s_load_b128 s[52:55], s[26:27], 0x4
	s_load_b64 s[56:57], s[26:27], 0x14
	s_clause 0x1
	s_load_b32 s47, s[24:25], 0xe4
	s_load_b96 s[48:50], s[24:25], 0xec
	s_add_co_i32 s0, s0, -2
	s_wait_xcnt 0x0
	s_add_nc_u64 s[26:27], s[26:27], 24
	s_cmp_eq_u32 s0, 0
	s_wait_kmcnt 0x0
	v_mul_hi_u32 v3, s53, v1
	s_delay_alu instid0(VALU_DEP_1) | instskip(NEXT) | instid1(VALU_DEP_1)
	v_add_nc_u32_e32 v3, v1, v3
	v_lshrrev_b32_e32 v3, s54, v3
	s_delay_alu instid0(VALU_DEP_1) | instskip(SKIP_4) | instid1(VALU_DEP_1)
	v_mul_hi_u32 v5, s56, v3
	v_mul_lo_u32 v7, v3, s52
	s_load_b64 s[52:53], s[24:25], 0xfc
	s_wait_xcnt 0x0
	s_add_nc_u64 s[24:25], s[24:25], 32
	v_dual_add_nc_u32 v5, v3, v5 :: v_dual_sub_nc_u32 v7, v1, v7
	s_delay_alu instid0(VALU_DEP_1) | instskip(NEXT) | instid1(VALU_DEP_2)
	v_lshrrev_b32_e32 v1, s57, v5
	v_mad_u32 v2, v7, s47, v2
	v_mad_u32 v4, v7, s49, v4
	;; [unrolled: 1-line block ×3, first 2 shown]
	s_delay_alu instid0(VALU_DEP_4) | instskip(NEXT) | instid1(VALU_DEP_1)
	v_mul_lo_u32 v5, v1, s55
	v_sub_nc_u32_e32 v3, v3, v5
	s_delay_alu instid0(VALU_DEP_1)
	v_mad_u32 v2, v3, s50, v2
	s_wait_kmcnt 0x0
	v_mad_u32 v4, v3, s53, v4
	v_mad_u32 v6, v3, s52, v6
	s_cbranch_scc0 .LBB167_418
; %bb.419:
	s_bitcmp1_b32 s39, 0
	s_cselect_b32 s0, -1, 0
	s_delay_alu instid0(SALU_CYCLE_1)
	s_and_b32 vcc_lo, exec_lo, s0
	s_cbranch_vccnz .LBB167_423
; %bb.420:
	s_load_b96 s[48:50], s[26:27], 0x4
	s_load_b32 s0, s[24:25], 0xe4
	s_wait_xcnt 0x0
	s_load_b64 s[26:27], s[24:25], 0xec
	s_wait_kmcnt 0x0
	v_mul_hi_u32 v3, s49, v1
	s_delay_alu instid0(VALU_DEP_1) | instskip(NEXT) | instid1(VALU_DEP_1)
	v_add_nc_u32_e32 v3, v1, v3
	v_lshrrev_b32_e32 v3, s50, v3
	s_delay_alu instid0(VALU_DEP_1) | instskip(NEXT) | instid1(VALU_DEP_1)
	v_mul_lo_u32 v3, v3, s48
	v_sub_nc_u32_e32 v1, v1, v3
	s_delay_alu instid0(VALU_DEP_1)
	v_mad_u32 v2, v1, s0, v2
	v_mad_u32 v6, v1, s26, v6
	;; [unrolled: 1-line block ×3, first 2 shown]
	s_branch .LBB167_423
.LBB167_421:
                                        ; implicit-def: $vgpr4
                                        ; implicit-def: $vgpr6
                                        ; implicit-def: $vgpr2
	s_branch .LBB167_424
.LBB167_422:
	v_dual_mov_b32 v4, 0 :: v_dual_mov_b32 v6, 0
	v_mov_b32_e32 v2, 0
.LBB167_423:
	s_cbranch_execnz .LBB167_426
.LBB167_424:
	s_wait_loadcnt 0x0
	v_mov_b32_e32 v1, 0
	s_and_not1_b32 vcc_lo, exec_lo, s38
	s_delay_alu instid0(VALU_DEP_1) | instskip(NEXT) | instid1(VALU_DEP_1)
	v_mul_u64_e32 v[2:3], s[18:19], v[0:1]
	v_add_nc_u32_e32 v2, v0, v3
	s_delay_alu instid0(VALU_DEP_1) | instskip(NEXT) | instid1(VALU_DEP_1)
	v_lshrrev_b32_e32 v8, s10, v2
	v_mul_lo_u32 v2, v8, s8
	s_delay_alu instid0(VALU_DEP_1) | instskip(NEXT) | instid1(VALU_DEP_1)
	v_sub_nc_u32_e32 v3, v0, v2
	v_mul_lo_u32 v2, v3, s37
	v_mul_lo_u32 v4, v3, s13
	;; [unrolled: 1-line block ×3, first 2 shown]
	s_cbranch_vccnz .LBB167_426
; %bb.425:
	v_mov_b32_e32 v9, v1
	s_delay_alu instid0(VALU_DEP_1) | instskip(NEXT) | instid1(VALU_DEP_1)
	v_mul_u64_e32 v[10:11], s[22:23], v[8:9]
	v_add_nc_u32_e32 v1, v8, v11
	s_delay_alu instid0(VALU_DEP_1) | instskip(NEXT) | instid1(VALU_DEP_1)
	v_lshrrev_b32_e32 v1, s1, v1
	v_mul_lo_u32 v1, v1, s11
	s_delay_alu instid0(VALU_DEP_1) | instskip(NEXT) | instid1(VALU_DEP_1)
	v_sub_nc_u32_e32 v1, v8, v1
	v_mad_u32 v2, v1, s14, v2
	v_mad_u32 v6, v1, s20, v6
	;; [unrolled: 1-line block ×3, first 2 shown]
.LBB167_426:
	s_and_b32 s24, s36, 0xff
	s_delay_alu instid0(SALU_CYCLE_1)
	s_cmp_lt_i32 s24, 23
	s_cbranch_scc1 .LBB167_430
; %bb.427:
	s_and_b32 s26, 0xffff, s24
	s_delay_alu instid0(SALU_CYCLE_1)
	s_cmp_gt_i32 s26, 43
	s_cbranch_scc0 .LBB167_431
; %bb.428:
	s_cmp_gt_i32 s26, 45
	s_cbranch_scc0 .LBB167_432
; %bb.429:
	s_cmp_eq_u32 s26, 46
	s_mov_b32 s27, 0
	s_cselect_b32 s0, -1, 0
	s_or_b32 s25, s45, exec_lo
	s_branch .LBB167_433
.LBB167_430:
	s_mov_b32 s0, 0
	s_mov_b32 s25, s45
	s_cbranch_execnz .LBB167_439
	s_branch .LBB167_443
.LBB167_431:
	s_mov_b32 s27, -1
	s_mov_b32 s0, 0
	s_mov_b32 s25, s45
	s_branch .LBB167_436
.LBB167_432:
	s_mov_b32 s27, -1
	s_mov_b32 s0, 0
	s_mov_b32 s25, s45
.LBB167_433:
	s_and_not1_b32 vcc_lo, exec_lo, s27
	s_cbranch_vccnz .LBB167_435
; %bb.434:
	s_cmp_eq_u32 s26, 44
	s_cselect_b32 s0, -1, 0
	s_cmp_lg_u32 s26, 44
	s_cselect_b32 s27, -1, 0
	s_and_not1_b32 s25, s25, exec_lo
	s_and_b32 s27, s27, exec_lo
	s_delay_alu instid0(SALU_CYCLE_1)
	s_or_b32 s25, s25, s27
.LBB167_435:
	s_mov_b32 s27, 0
.LBB167_436:
	s_delay_alu instid0(SALU_CYCLE_1)
	s_and_b32 vcc_lo, exec_lo, s27
	s_cbranch_vccz .LBB167_438
; %bb.437:
	s_cmp_lt_i32 s26, 30
	s_cselect_b32 s0, -1, 0
	s_cmp_gt_i32 s26, 29
	s_cselect_b32 s26, -1, 0
	s_and_not1_b32 s25, s25, exec_lo
	s_and_b32 s26, s26, exec_lo
	s_delay_alu instid0(SALU_CYCLE_1)
	s_or_b32 s25, s25, s26
.LBB167_438:
	s_branch .LBB167_443
.LBB167_439:
	s_and_b32 s24, 0xffff, s24
	s_mov_b32 s26, -1
	s_cmp_gt_i32 s24, 14
	s_cbranch_scc0 .LBB167_441
; %bb.440:
	s_cmp_eq_u32 s24, 15
	s_cselect_b32 s0, -1, 0
	s_cmp_lg_u32 s24, 15
	s_cselect_b32 s26, -1, 0
	s_and_not1_b32 s25, s25, exec_lo
	s_and_b32 s27, s26, exec_lo
	s_mov_b32 s26, 0
	s_or_b32 s25, s25, s27
.LBB167_441:
	s_and_not1_b32 vcc_lo, exec_lo, s26
	s_cbranch_vccnz .LBB167_443
; %bb.442:
	s_cmp_lt_i32 s24, 12
	s_cselect_b32 s0, -1, 0
	s_cmp_gt_i32 s24, 11
	s_cselect_b32 s24, -1, 0
	s_and_not1_b32 s25, s25, exec_lo
	s_and_b32 s24, s24, exec_lo
	s_delay_alu instid0(SALU_CYCLE_1)
	s_or_b32 s25, s25, s24
.LBB167_443:
	s_and_b32 vcc_lo, exec_lo, s0
	s_cbranch_vccz .LBB167_451
; %bb.444:
	v_mov_b32_e32 v7, 0
	s_and_b32 s0, s35, 0xff
	s_delay_alu instid0(SALU_CYCLE_1) | instskip(NEXT) | instid1(VALU_DEP_1)
	s_cmp_lt_i32 s0, 11
	v_add_nc_u64_e32 v[6:7], s[4:5], v[6:7]
	s_cbranch_scc1 .LBB167_453
; %bb.445:
	s_and_b32 s25, 0xffff, s0
	s_delay_alu instid0(SALU_CYCLE_1)
	s_cmp_gt_i32 s25, 25
	s_cbranch_scc0 .LBB167_454
; %bb.446:
	s_cmp_gt_i32 s25, 28
	s_cbranch_scc0 .LBB167_455
; %bb.447:
	;; [unrolled: 3-line block ×4, first 2 shown]
	s_cmp_eq_u32 s25, 46
	s_mov_b32 s27, 0
	s_cbranch_scc0 .LBB167_460
; %bb.450:
	s_wait_loadcnt 0x0
	global_load_b32 v1, v[6:7], off
	s_mov_b32 s26, -1
	s_mov_b32 s24, 0
	s_branch .LBB167_462
.LBB167_451:
	s_mov_b32 s27, 0
	s_mov_b32 s0, s42
	;; [unrolled: 1-line block ×4, first 2 shown]
.LBB167_452:
                                        ; implicit-def: $vgpr0
	s_branch .LBB167_831
.LBB167_453:
	s_mov_b32 s25, -1
	s_mov_b32 s26, 0
	s_mov_b32 s24, s44
                                        ; implicit-def: $vgpr1
	s_branch .LBB167_527
.LBB167_454:
	s_mov_b32 s27, -1
	s_mov_b32 s26, 0
	s_mov_b32 s24, s44
                                        ; implicit-def: $vgpr1
	s_branch .LBB167_491
.LBB167_455:
	s_mov_b32 s27, -1
	s_mov_b32 s26, 0
	s_mov_b32 s24, s44
                                        ; implicit-def: $vgpr1
	s_branch .LBB167_472
.LBB167_456:
	s_mov_b32 s27, -1
	s_mov_b32 s26, 0
	s_mov_b32 s24, s44
                                        ; implicit-def: $vgpr1
	s_branch .LBB167_467
.LBB167_457:
	s_mov_b32 s27, -1
	s_mov_b32 s26, 0
	s_mov_b32 s24, s44
	s_branch .LBB167_461
.LBB167_458:
	s_and_not1_saveexec_b32 s45, s45
	s_cbranch_execz .LBB167_323
.LBB167_459:
	v_add_f32_e64 v5, 0x46000000, |v6|
	s_and_not1_b32 s44, s44, exec_lo
	s_delay_alu instid0(VALU_DEP_1) | instskip(NEXT) | instid1(VALU_DEP_1)
	v_and_b32_e32 v5, 0xff, v5
	v_cmp_ne_u32_e32 vcc_lo, 0, v5
	s_and_b32 s47, vcc_lo, exec_lo
	s_delay_alu instid0(SALU_CYCLE_1)
	s_or_b32 s44, s44, s47
	s_or_b32 exec_lo, exec_lo, s45
	v_mov_b32_e32 v7, 0
	s_and_saveexec_b32 s45, s44
	s_cbranch_execnz .LBB167_324
	s_branch .LBB167_325
.LBB167_460:
	s_mov_b32 s24, -1
	s_mov_b32 s26, 0
.LBB167_461:
                                        ; implicit-def: $vgpr1
.LBB167_462:
	s_and_b32 vcc_lo, exec_lo, s27
	s_cbranch_vccz .LBB167_466
; %bb.463:
	s_cmp_eq_u32 s25, 44
	s_cbranch_scc0 .LBB167_465
; %bb.464:
	s_wait_loadcnt 0x0
	global_load_u8 v1, v[6:7], off
	s_mov_b32 s24, 0
	s_mov_b32 s26, -1
	s_wait_loadcnt 0x0
	v_lshlrev_b32_e32 v3, 23, v1
	v_cmp_ne_u32_e32 vcc_lo, 0xff, v1
	s_delay_alu instid0(VALU_DEP_2) | instskip(SKIP_1) | instid1(VALU_DEP_2)
	v_cndmask_b32_e32 v3, 0x7f800001, v3, vcc_lo
	v_cmp_ne_u32_e32 vcc_lo, 0, v1
	v_cndmask_b32_e32 v1, 0x400000, v3, vcc_lo
	s_delay_alu instid0(VALU_DEP_1) | instskip(SKIP_1) | instid1(VALU_DEP_2)
	v_add_nc_u32_e32 v3, 0x7fff, v1
	v_cmp_o_f32_e32 vcc_lo, v1, v1
	v_lshrrev_b32_e32 v3, 16, v3
	s_delay_alu instid0(VALU_DEP_1)
	v_cndmask_b32_e32 v1, 0x7fc0, v3, vcc_lo
	s_branch .LBB167_466
.LBB167_465:
	s_mov_b32 s24, -1
                                        ; implicit-def: $vgpr1
.LBB167_466:
	s_mov_b32 s27, 0
.LBB167_467:
	s_delay_alu instid0(SALU_CYCLE_1)
	s_and_b32 vcc_lo, exec_lo, s27
	s_cbranch_vccz .LBB167_471
; %bb.468:
	s_cmp_eq_u32 s25, 29
	s_cbranch_scc0 .LBB167_470
; %bb.469:
	global_load_b64 v[8:9], v[6:7], off
	s_mov_b32 s26, -1
	s_mov_b32 s24, 0
	s_mov_b32 s27, 0
	s_wait_loadcnt 0x0
	v_clz_i32_u32_e32 v1, v9
	s_delay_alu instid0(VALU_DEP_1) | instskip(NEXT) | instid1(VALU_DEP_1)
	v_min_u32_e32 v1, 32, v1
	v_lshlrev_b64_e32 v[8:9], v1, v[8:9]
	v_sub_nc_u32_e32 v1, 32, v1
	s_delay_alu instid0(VALU_DEP_2) | instskip(NEXT) | instid1(VALU_DEP_1)
	v_min_u32_e32 v3, 1, v8
	v_or_b32_e32 v3, v9, v3
	s_delay_alu instid0(VALU_DEP_1) | instskip(NEXT) | instid1(VALU_DEP_1)
	v_cvt_f32_u32_e32 v3, v3
	v_ldexp_f32 v1, v3, v1
	s_delay_alu instid0(VALU_DEP_1) | instskip(NEXT) | instid1(VALU_DEP_1)
	v_bfe_u32 v3, v1, 16, 1
	v_add3_u32 v1, v1, v3, 0x7fff
	s_delay_alu instid0(VALU_DEP_1)
	v_lshrrev_b32_e32 v1, 16, v1
	s_branch .LBB167_472
.LBB167_470:
	s_mov_b32 s24, -1
                                        ; implicit-def: $vgpr1
.LBB167_471:
	s_mov_b32 s27, 0
.LBB167_472:
	s_delay_alu instid0(SALU_CYCLE_1)
	s_and_b32 vcc_lo, exec_lo, s27
	s_cbranch_vccz .LBB167_490
; %bb.473:
	s_cmp_lt_i32 s25, 27
	s_cbranch_scc1 .LBB167_476
; %bb.474:
	s_cmp_gt_i32 s25, 27
	s_cbranch_scc0 .LBB167_477
; %bb.475:
	s_wait_loadcnt 0x0
	global_load_b32 v1, v[6:7], off
	s_mov_b32 s26, 0
	s_wait_loadcnt 0x0
	v_cvt_f32_u32_e32 v1, v1
	s_delay_alu instid0(VALU_DEP_1) | instskip(NEXT) | instid1(VALU_DEP_1)
	v_bfe_u32 v3, v1, 16, 1
	v_add3_u32 v1, v1, v3, 0x7fff
	s_delay_alu instid0(VALU_DEP_1)
	v_lshrrev_b32_e32 v1, 16, v1
	s_branch .LBB167_478
.LBB167_476:
	s_mov_b32 s26, -1
                                        ; implicit-def: $vgpr1
	s_branch .LBB167_481
.LBB167_477:
	s_mov_b32 s26, -1
                                        ; implicit-def: $vgpr1
.LBB167_478:
	s_delay_alu instid0(SALU_CYCLE_1)
	s_and_not1_b32 vcc_lo, exec_lo, s26
	s_cbranch_vccnz .LBB167_480
; %bb.479:
	s_wait_loadcnt 0x0
	global_load_u16 v1, v[6:7], off
	s_wait_loadcnt 0x0
	v_cvt_f32_u32_e32 v1, v1
	s_delay_alu instid0(VALU_DEP_1) | instskip(NEXT) | instid1(VALU_DEP_1)
	v_bfe_u32 v3, v1, 16, 1
	v_add3_u32 v1, v1, v3, 0x7fff
	s_delay_alu instid0(VALU_DEP_1)
	v_lshrrev_b32_e32 v1, 16, v1
.LBB167_480:
	s_mov_b32 s26, 0
.LBB167_481:
	s_delay_alu instid0(SALU_CYCLE_1)
	s_and_not1_b32 vcc_lo, exec_lo, s26
	s_cbranch_vccnz .LBB167_489
; %bb.482:
	s_wait_loadcnt 0x0
	global_load_u8 v1, v[6:7], off
	s_mov_b32 s26, 0
	s_mov_b32 s27, exec_lo
	s_wait_loadcnt 0x0
	v_cmpx_lt_i16_e32 0x7f, v1
	s_xor_b32 s27, exec_lo, s27
	s_cbranch_execz .LBB167_503
; %bb.483:
	s_mov_b32 s26, -1
	s_mov_b32 s47, exec_lo
	v_cmpx_eq_u16_e32 0x80, v1
; %bb.484:
	s_xor_b32 s26, exec_lo, -1
; %bb.485:
	s_or_b32 exec_lo, exec_lo, s47
	s_delay_alu instid0(SALU_CYCLE_1)
	s_and_b32 s26, s26, exec_lo
	s_or_saveexec_b32 s27, s27
	v_mov_b32_e32 v3, 0x7f800001
	s_xor_b32 exec_lo, exec_lo, s27
	s_cbranch_execnz .LBB167_504
.LBB167_486:
	s_or_b32 exec_lo, exec_lo, s27
	s_and_saveexec_b32 s27, s26
	s_cbranch_execz .LBB167_488
.LBB167_487:
	v_and_b32_e32 v3, 0xffff, v1
	s_delay_alu instid0(VALU_DEP_1) | instskip(SKIP_1) | instid1(VALU_DEP_2)
	v_and_b32_e32 v5, 7, v3
	v_bfe_u32 v10, v3, 3, 4
	v_clz_i32_u32_e32 v8, v5
	s_delay_alu instid0(VALU_DEP_2) | instskip(NEXT) | instid1(VALU_DEP_2)
	v_cmp_eq_u32_e32 vcc_lo, 0, v10
	v_min_u32_e32 v8, 32, v8
	s_delay_alu instid0(VALU_DEP_1) | instskip(NEXT) | instid1(VALU_DEP_1)
	v_subrev_nc_u32_e32 v9, 28, v8
	v_dual_lshlrev_b32 v3, v9, v3 :: v_dual_sub_nc_u32 v8, 29, v8
	s_delay_alu instid0(VALU_DEP_1) | instskip(NEXT) | instid1(VALU_DEP_1)
	v_dual_lshlrev_b32 v1, 24, v1 :: v_dual_bitop2_b32 v3, 7, v3 bitop3:0x40
	v_dual_cndmask_b32 v8, v10, v8 :: v_dual_cndmask_b32 v3, v5, v3
	s_delay_alu instid0(VALU_DEP_2) | instskip(NEXT) | instid1(VALU_DEP_2)
	v_and_b32_e32 v1, 0x80000000, v1
	v_lshl_add_u32 v5, v8, 23, 0x3b800000
	s_delay_alu instid0(VALU_DEP_3) | instskip(NEXT) | instid1(VALU_DEP_1)
	v_lshlrev_b32_e32 v3, 20, v3
	v_or3_b32 v3, v1, v5, v3
.LBB167_488:
	s_or_b32 exec_lo, exec_lo, s27
	s_delay_alu instid0(VALU_DEP_1) | instskip(SKIP_1) | instid1(VALU_DEP_2)
	v_bfe_u32 v1, v3, 16, 1
	v_cmp_o_f32_e32 vcc_lo, v3, v3
	v_add3_u32 v1, v3, v1, 0x7fff
	s_delay_alu instid0(VALU_DEP_1) | instskip(NEXT) | instid1(VALU_DEP_1)
	v_lshrrev_b32_e32 v1, 16, v1
	v_cndmask_b32_e32 v1, 0x7fc0, v1, vcc_lo
.LBB167_489:
	s_mov_b32 s26, -1
.LBB167_490:
	s_mov_b32 s27, 0
.LBB167_491:
	s_delay_alu instid0(SALU_CYCLE_1)
	s_and_b32 vcc_lo, exec_lo, s27
	s_cbranch_vccz .LBB167_526
; %bb.492:
	s_cmp_gt_i32 s25, 22
	s_cbranch_scc0 .LBB167_502
; %bb.493:
	s_cmp_lt_i32 s25, 24
	s_cbranch_scc1 .LBB167_505
; %bb.494:
	s_cmp_gt_i32 s25, 24
	s_cbranch_scc0 .LBB167_506
; %bb.495:
	s_wait_loadcnt 0x0
	global_load_u8 v1, v[6:7], off
	s_mov_b32 s26, 0
	s_mov_b32 s27, exec_lo
	s_wait_loadcnt 0x0
	v_cmpx_lt_i16_e32 0x7f, v1
	s_xor_b32 s27, exec_lo, s27
	s_cbranch_execz .LBB167_518
; %bb.496:
	s_mov_b32 s26, -1
	s_mov_b32 s47, exec_lo
	v_cmpx_eq_u16_e32 0x80, v1
; %bb.497:
	s_xor_b32 s26, exec_lo, -1
; %bb.498:
	s_or_b32 exec_lo, exec_lo, s47
	s_delay_alu instid0(SALU_CYCLE_1)
	s_and_b32 s26, s26, exec_lo
	s_or_saveexec_b32 s27, s27
	v_mov_b32_e32 v3, 0x7f800001
	s_xor_b32 exec_lo, exec_lo, s27
	s_cbranch_execnz .LBB167_519
.LBB167_499:
	s_or_b32 exec_lo, exec_lo, s27
	s_and_saveexec_b32 s27, s26
	s_cbranch_execz .LBB167_501
.LBB167_500:
	v_and_b32_e32 v3, 0xffff, v1
	s_delay_alu instid0(VALU_DEP_1) | instskip(SKIP_1) | instid1(VALU_DEP_2)
	v_and_b32_e32 v5, 3, v3
	v_bfe_u32 v10, v3, 2, 5
	v_clz_i32_u32_e32 v8, v5
	s_delay_alu instid0(VALU_DEP_2) | instskip(NEXT) | instid1(VALU_DEP_2)
	v_cmp_eq_u32_e32 vcc_lo, 0, v10
	v_min_u32_e32 v8, 32, v8
	s_delay_alu instid0(VALU_DEP_1) | instskip(NEXT) | instid1(VALU_DEP_1)
	v_subrev_nc_u32_e32 v9, 29, v8
	v_dual_lshlrev_b32 v3, v9, v3 :: v_dual_sub_nc_u32 v8, 30, v8
	s_delay_alu instid0(VALU_DEP_1) | instskip(NEXT) | instid1(VALU_DEP_1)
	v_dual_lshlrev_b32 v1, 24, v1 :: v_dual_bitop2_b32 v3, 3, v3 bitop3:0x40
	v_dual_cndmask_b32 v8, v10, v8 :: v_dual_cndmask_b32 v3, v5, v3
	s_delay_alu instid0(VALU_DEP_2) | instskip(NEXT) | instid1(VALU_DEP_2)
	v_and_b32_e32 v1, 0x80000000, v1
	v_lshl_add_u32 v5, v8, 23, 0x37800000
	s_delay_alu instid0(VALU_DEP_3) | instskip(NEXT) | instid1(VALU_DEP_1)
	v_lshlrev_b32_e32 v3, 21, v3
	v_or3_b32 v3, v1, v5, v3
.LBB167_501:
	s_or_b32 exec_lo, exec_lo, s27
	s_delay_alu instid0(VALU_DEP_1) | instskip(SKIP_2) | instid1(VALU_DEP_2)
	v_bfe_u32 v1, v3, 16, 1
	v_cmp_o_f32_e32 vcc_lo, v3, v3
	s_mov_b32 s26, 0
	v_add3_u32 v1, v3, v1, 0x7fff
	s_delay_alu instid0(VALU_DEP_1) | instskip(NEXT) | instid1(VALU_DEP_1)
	v_lshrrev_b32_e32 v1, 16, v1
	v_cndmask_b32_e32 v1, 0x7fc0, v1, vcc_lo
	s_branch .LBB167_507
.LBB167_502:
	s_mov_b32 s27, -1
                                        ; implicit-def: $vgpr1
	s_branch .LBB167_513
.LBB167_503:
	s_or_saveexec_b32 s27, s27
	v_mov_b32_e32 v3, 0x7f800001
	s_xor_b32 exec_lo, exec_lo, s27
	s_cbranch_execz .LBB167_486
.LBB167_504:
	v_cmp_ne_u16_e32 vcc_lo, 0, v1
	v_mov_b32_e32 v3, 0
	s_and_not1_b32 s26, s26, exec_lo
	s_and_b32 s47, vcc_lo, exec_lo
	s_delay_alu instid0(SALU_CYCLE_1)
	s_or_b32 s26, s26, s47
	s_or_b32 exec_lo, exec_lo, s27
	s_and_saveexec_b32 s27, s26
	s_cbranch_execnz .LBB167_487
	s_branch .LBB167_488
.LBB167_505:
	s_mov_b32 s26, -1
                                        ; implicit-def: $vgpr1
	s_branch .LBB167_510
.LBB167_506:
	s_mov_b32 s26, -1
                                        ; implicit-def: $vgpr1
.LBB167_507:
	s_delay_alu instid0(SALU_CYCLE_1)
	s_and_b32 vcc_lo, exec_lo, s26
	s_cbranch_vccz .LBB167_509
; %bb.508:
	s_wait_loadcnt 0x0
	global_load_u8 v1, v[6:7], off
	s_wait_loadcnt 0x0
	v_lshlrev_b32_e32 v1, 24, v1
	s_delay_alu instid0(VALU_DEP_1) | instskip(NEXT) | instid1(VALU_DEP_1)
	v_and_b32_e32 v3, 0x7f000000, v1
	v_clz_i32_u32_e32 v5, v3
	v_add_nc_u32_e32 v9, 0x1000000, v3
	v_cmp_ne_u32_e32 vcc_lo, 0, v3
	s_delay_alu instid0(VALU_DEP_3) | instskip(NEXT) | instid1(VALU_DEP_1)
	v_min_u32_e32 v5, 32, v5
	v_sub_nc_u32_e64 v5, v5, 4 clamp
	s_delay_alu instid0(VALU_DEP_1) | instskip(NEXT) | instid1(VALU_DEP_1)
	v_dual_lshlrev_b32 v8, v5, v3 :: v_dual_lshlrev_b32 v5, 23, v5
	v_lshrrev_b32_e32 v8, 4, v8
	s_delay_alu instid0(VALU_DEP_1) | instskip(SKIP_1) | instid1(VALU_DEP_2)
	v_sub_nc_u32_e32 v5, v8, v5
	v_ashrrev_i32_e32 v8, 8, v9
	v_add_nc_u32_e32 v5, 0x3c000000, v5
	s_delay_alu instid0(VALU_DEP_1) | instskip(NEXT) | instid1(VALU_DEP_1)
	v_and_or_b32 v5, 0x7f800000, v8, v5
	v_cndmask_b32_e32 v3, 0, v5, vcc_lo
	s_delay_alu instid0(VALU_DEP_1) | instskip(SKIP_1) | instid1(VALU_DEP_2)
	v_and_or_b32 v1, 0x80000000, v1, v3
	v_bfe_u32 v3, v3, 16, 1
	v_cmp_o_f32_e32 vcc_lo, v1, v1
	s_delay_alu instid0(VALU_DEP_2) | instskip(NEXT) | instid1(VALU_DEP_1)
	v_add3_u32 v3, v1, v3, 0x7fff
	v_lshrrev_b32_e32 v3, 16, v3
	s_delay_alu instid0(VALU_DEP_1)
	v_cndmask_b32_e32 v1, 0x7fc0, v3, vcc_lo
.LBB167_509:
	s_mov_b32 s26, 0
.LBB167_510:
	s_delay_alu instid0(SALU_CYCLE_1)
	s_and_not1_b32 vcc_lo, exec_lo, s26
	s_cbranch_vccnz .LBB167_512
; %bb.511:
	s_wait_loadcnt 0x0
	global_load_u8 v1, v[6:7], off
	s_wait_loadcnt 0x0
	v_lshlrev_b32_e32 v3, 25, v1
	v_lshlrev_b16 v1, 8, v1
	s_delay_alu instid0(VALU_DEP_1) | instskip(SKIP_1) | instid1(VALU_DEP_2)
	v_and_or_b32 v8, 0x7f00, v1, 0.5
	v_bfe_i32 v1, v1, 0, 16
	v_dual_add_f32 v8, -0.5, v8 :: v_dual_lshrrev_b32 v5, 4, v3
	v_cmp_gt_u32_e32 vcc_lo, 0x8000000, v3
	s_delay_alu instid0(VALU_DEP_2) | instskip(NEXT) | instid1(VALU_DEP_1)
	v_or_b32_e32 v5, 0x70000000, v5
	v_mul_f32_e32 v5, 0x7800000, v5
	s_delay_alu instid0(VALU_DEP_1) | instskip(NEXT) | instid1(VALU_DEP_1)
	v_cndmask_b32_e32 v3, v5, v8, vcc_lo
	v_and_or_b32 v1, 0x80000000, v1, v3
	v_bfe_u32 v3, v3, 16, 1
	s_delay_alu instid0(VALU_DEP_2) | instskip(NEXT) | instid1(VALU_DEP_2)
	v_cmp_o_f32_e32 vcc_lo, v1, v1
	v_add3_u32 v3, v1, v3, 0x7fff
	s_delay_alu instid0(VALU_DEP_1) | instskip(NEXT) | instid1(VALU_DEP_1)
	v_lshrrev_b32_e32 v3, 16, v3
	v_cndmask_b32_e32 v1, 0x7fc0, v3, vcc_lo
.LBB167_512:
	s_mov_b32 s27, 0
	s_mov_b32 s26, -1
.LBB167_513:
	s_and_not1_b32 vcc_lo, exec_lo, s27
	s_cbranch_vccnz .LBB167_526
; %bb.514:
	s_cmp_gt_i32 s25, 14
	s_cbranch_scc0 .LBB167_517
; %bb.515:
	s_cmp_eq_u32 s25, 15
	s_cbranch_scc0 .LBB167_520
; %bb.516:
	s_wait_loadcnt 0x0
	global_load_u16 v1, v[6:7], off
	s_mov_b32 s26, -1
	s_mov_b32 s24, 0
	s_branch .LBB167_521
.LBB167_517:
	s_mov_b32 s27, -1
                                        ; implicit-def: $vgpr1
	s_branch .LBB167_522
.LBB167_518:
	s_or_saveexec_b32 s27, s27
	v_mov_b32_e32 v3, 0x7f800001
	s_xor_b32 exec_lo, exec_lo, s27
	s_cbranch_execz .LBB167_499
.LBB167_519:
	v_cmp_ne_u16_e32 vcc_lo, 0, v1
	v_mov_b32_e32 v3, 0
	s_and_not1_b32 s26, s26, exec_lo
	s_and_b32 s47, vcc_lo, exec_lo
	s_delay_alu instid0(SALU_CYCLE_1)
	s_or_b32 s26, s26, s47
	s_or_b32 exec_lo, exec_lo, s27
	s_and_saveexec_b32 s27, s26
	s_cbranch_execnz .LBB167_500
	s_branch .LBB167_501
.LBB167_520:
	s_mov_b32 s24, -1
                                        ; implicit-def: $vgpr1
.LBB167_521:
	s_mov_b32 s27, 0
.LBB167_522:
	s_delay_alu instid0(SALU_CYCLE_1)
	s_and_b32 vcc_lo, exec_lo, s27
	s_cbranch_vccz .LBB167_526
; %bb.523:
	s_cmp_eq_u32 s25, 11
	s_cbranch_scc0 .LBB167_525
; %bb.524:
	s_wait_loadcnt 0x0
	global_load_u8 v1, v[6:7], off
	s_mov_b32 s24, 0
	s_mov_b32 s26, -1
	s_wait_loadcnt 0x0
	v_cmp_ne_u16_e32 vcc_lo, 0, v1
	v_cndmask_b32_e64 v1, 0, 1.0, vcc_lo
	s_delay_alu instid0(VALU_DEP_1)
	v_lshrrev_b32_e32 v1, 16, v1
	s_branch .LBB167_526
.LBB167_525:
	s_mov_b32 s24, -1
                                        ; implicit-def: $vgpr1
.LBB167_526:
	s_mov_b32 s25, 0
.LBB167_527:
	s_delay_alu instid0(SALU_CYCLE_1)
	s_and_b32 vcc_lo, exec_lo, s25
	s_cbranch_vccz .LBB167_576
; %bb.528:
	s_and_b32 s0, 0xffff, s0
	s_delay_alu instid0(SALU_CYCLE_1)
	s_cmp_lt_i32 s0, 5
	s_cbranch_scc1 .LBB167_533
; %bb.529:
	s_cmp_lt_i32 s0, 8
	s_cbranch_scc1 .LBB167_534
; %bb.530:
	;; [unrolled: 3-line block ×3, first 2 shown]
	s_cmp_gt_i32 s0, 9
	s_cbranch_scc0 .LBB167_536
; %bb.532:
	global_load_b64 v[8:9], v[6:7], off
	s_mov_b32 s25, 0
	s_wait_loadcnt 0x0
	v_cvt_f32_f64_e32 v1, v[8:9]
	s_delay_alu instid0(VALU_DEP_1) | instskip(SKIP_1) | instid1(VALU_DEP_2)
	v_bfe_u32 v3, v1, 16, 1
	v_cmp_o_f32_e32 vcc_lo, v1, v1
	v_add3_u32 v3, v1, v3, 0x7fff
	s_delay_alu instid0(VALU_DEP_1) | instskip(NEXT) | instid1(VALU_DEP_1)
	v_lshrrev_b32_e32 v3, 16, v3
	v_cndmask_b32_e32 v1, 0x7fc0, v3, vcc_lo
	s_branch .LBB167_537
.LBB167_533:
	s_mov_b32 s25, -1
                                        ; implicit-def: $vgpr1
	s_branch .LBB167_555
.LBB167_534:
	s_mov_b32 s25, -1
                                        ; implicit-def: $vgpr1
	s_branch .LBB167_543
.LBB167_535:
	s_mov_b32 s25, -1
                                        ; implicit-def: $vgpr1
	s_branch .LBB167_540
.LBB167_536:
	s_mov_b32 s25, -1
                                        ; implicit-def: $vgpr1
.LBB167_537:
	s_delay_alu instid0(SALU_CYCLE_1)
	s_and_not1_b32 vcc_lo, exec_lo, s25
	s_cbranch_vccnz .LBB167_539
; %bb.538:
	s_wait_loadcnt 0x0
	global_load_b32 v1, v[6:7], off
	s_wait_loadcnt 0x0
	v_bfe_u32 v3, v1, 16, 1
	v_cmp_o_f32_e32 vcc_lo, v1, v1
	s_delay_alu instid0(VALU_DEP_2) | instskip(NEXT) | instid1(VALU_DEP_1)
	v_add3_u32 v3, v1, v3, 0x7fff
	v_lshrrev_b32_e32 v3, 16, v3
	s_delay_alu instid0(VALU_DEP_1)
	v_cndmask_b32_e32 v1, 0x7fc0, v3, vcc_lo
.LBB167_539:
	s_mov_b32 s25, 0
.LBB167_540:
	s_delay_alu instid0(SALU_CYCLE_1)
	s_and_not1_b32 vcc_lo, exec_lo, s25
	s_cbranch_vccnz .LBB167_542
; %bb.541:
	s_wait_loadcnt 0x0
	global_load_b32 v1, v[6:7], off
	s_wait_loadcnt 0x0
	v_cvt_f32_f16_e32 v3, v1
	v_cmp_o_f16_e32 vcc_lo, v1, v1
	s_delay_alu instid0(VALU_DEP_2) | instskip(NEXT) | instid1(VALU_DEP_1)
	v_bfe_u32 v5, v3, 16, 1
	v_add3_u32 v3, v3, v5, 0x7fff
	s_delay_alu instid0(VALU_DEP_1) | instskip(NEXT) | instid1(VALU_DEP_1)
	v_lshrrev_b32_e32 v3, 16, v3
	v_cndmask_b32_e32 v1, 0x7fc0, v3, vcc_lo
.LBB167_542:
	s_mov_b32 s25, 0
.LBB167_543:
	s_delay_alu instid0(SALU_CYCLE_1)
	s_and_not1_b32 vcc_lo, exec_lo, s25
	s_cbranch_vccnz .LBB167_554
; %bb.544:
	s_cmp_lt_i32 s0, 6
	s_cbranch_scc1 .LBB167_547
; %bb.545:
	s_cmp_gt_i32 s0, 6
	s_cbranch_scc0 .LBB167_548
; %bb.546:
	global_load_b64 v[8:9], v[6:7], off
	s_mov_b32 s25, 0
	s_wait_loadcnt 0x0
	v_cvt_f32_f64_e32 v1, v[8:9]
	s_delay_alu instid0(VALU_DEP_1) | instskip(SKIP_1) | instid1(VALU_DEP_2)
	v_bfe_u32 v3, v1, 16, 1
	v_cmp_o_f32_e32 vcc_lo, v1, v1
	v_add3_u32 v3, v1, v3, 0x7fff
	s_delay_alu instid0(VALU_DEP_1) | instskip(NEXT) | instid1(VALU_DEP_1)
	v_lshrrev_b32_e32 v3, 16, v3
	v_cndmask_b32_e32 v1, 0x7fc0, v3, vcc_lo
	s_branch .LBB167_549
.LBB167_547:
	s_mov_b32 s25, -1
                                        ; implicit-def: $vgpr1
	s_branch .LBB167_552
.LBB167_548:
	s_mov_b32 s25, -1
                                        ; implicit-def: $vgpr1
.LBB167_549:
	s_delay_alu instid0(SALU_CYCLE_1)
	s_and_not1_b32 vcc_lo, exec_lo, s25
	s_cbranch_vccnz .LBB167_551
; %bb.550:
	s_wait_loadcnt 0x0
	global_load_b32 v1, v[6:7], off
	s_wait_loadcnt 0x0
	v_bfe_u32 v3, v1, 16, 1
	v_cmp_o_f32_e32 vcc_lo, v1, v1
	s_delay_alu instid0(VALU_DEP_2) | instskip(NEXT) | instid1(VALU_DEP_1)
	v_add3_u32 v3, v1, v3, 0x7fff
	v_lshrrev_b32_e32 v3, 16, v3
	s_delay_alu instid0(VALU_DEP_1)
	v_cndmask_b32_e32 v1, 0x7fc0, v3, vcc_lo
.LBB167_551:
	s_mov_b32 s25, 0
.LBB167_552:
	s_delay_alu instid0(SALU_CYCLE_1)
	s_and_not1_b32 vcc_lo, exec_lo, s25
	s_cbranch_vccnz .LBB167_554
; %bb.553:
	s_wait_loadcnt 0x0
	global_load_u16 v1, v[6:7], off
	s_wait_loadcnt 0x0
	v_cvt_f32_f16_e32 v3, v1
	v_cmp_o_f16_e32 vcc_lo, v1, v1
	s_delay_alu instid0(VALU_DEP_2) | instskip(NEXT) | instid1(VALU_DEP_1)
	v_bfe_u32 v5, v3, 16, 1
	v_add3_u32 v3, v3, v5, 0x7fff
	s_delay_alu instid0(VALU_DEP_1) | instskip(NEXT) | instid1(VALU_DEP_1)
	v_lshrrev_b32_e32 v3, 16, v3
	v_cndmask_b32_e32 v1, 0x7fc0, v3, vcc_lo
.LBB167_554:
	s_mov_b32 s25, 0
.LBB167_555:
	s_delay_alu instid0(SALU_CYCLE_1)
	s_and_not1_b32 vcc_lo, exec_lo, s25
	s_cbranch_vccnz .LBB167_575
; %bb.556:
	s_cmp_lt_i32 s0, 2
	s_cbranch_scc1 .LBB167_560
; %bb.557:
	s_cmp_lt_i32 s0, 3
	s_cbranch_scc1 .LBB167_561
; %bb.558:
	s_cmp_gt_i32 s0, 3
	s_cbranch_scc0 .LBB167_562
; %bb.559:
	global_load_b64 v[8:9], v[6:7], off
	s_mov_b32 s25, 0
	s_wait_loadcnt 0x0
	v_xor_b32_e32 v1, v8, v9
	v_cls_i32_e32 v3, v9
	s_delay_alu instid0(VALU_DEP_2) | instskip(NEXT) | instid1(VALU_DEP_1)
	v_ashrrev_i32_e32 v1, 31, v1
	v_add_nc_u32_e32 v1, 32, v1
	s_delay_alu instid0(VALU_DEP_1) | instskip(NEXT) | instid1(VALU_DEP_1)
	v_add_min_u32_e64 v1, v3, -1, v1
	v_lshlrev_b64_e32 v[8:9], v1, v[8:9]
	v_sub_nc_u32_e32 v1, 32, v1
	s_delay_alu instid0(VALU_DEP_2) | instskip(NEXT) | instid1(VALU_DEP_1)
	v_min_u32_e32 v3, 1, v8
	v_or_b32_e32 v3, v9, v3
	s_delay_alu instid0(VALU_DEP_1) | instskip(NEXT) | instid1(VALU_DEP_1)
	v_cvt_f32_i32_e32 v3, v3
	v_ldexp_f32 v1, v3, v1
	s_delay_alu instid0(VALU_DEP_1) | instskip(NEXT) | instid1(VALU_DEP_1)
	v_bfe_u32 v3, v1, 16, 1
	v_add3_u32 v1, v1, v3, 0x7fff
	s_delay_alu instid0(VALU_DEP_1)
	v_lshrrev_b32_e32 v1, 16, v1
	s_branch .LBB167_563
.LBB167_560:
	s_mov_b32 s25, -1
                                        ; implicit-def: $vgpr1
	s_branch .LBB167_569
.LBB167_561:
	s_mov_b32 s25, -1
                                        ; implicit-def: $vgpr1
	s_branch .LBB167_566
.LBB167_562:
	s_mov_b32 s25, -1
                                        ; implicit-def: $vgpr1
.LBB167_563:
	s_delay_alu instid0(SALU_CYCLE_1)
	s_and_not1_b32 vcc_lo, exec_lo, s25
	s_cbranch_vccnz .LBB167_565
; %bb.564:
	s_wait_loadcnt 0x0
	global_load_b32 v1, v[6:7], off
	s_wait_loadcnt 0x0
	v_cvt_f32_i32_e32 v1, v1
	s_delay_alu instid0(VALU_DEP_1) | instskip(NEXT) | instid1(VALU_DEP_1)
	v_bfe_u32 v3, v1, 16, 1
	v_add3_u32 v1, v1, v3, 0x7fff
	s_delay_alu instid0(VALU_DEP_1)
	v_lshrrev_b32_e32 v1, 16, v1
.LBB167_565:
	s_mov_b32 s25, 0
.LBB167_566:
	s_delay_alu instid0(SALU_CYCLE_1)
	s_and_not1_b32 vcc_lo, exec_lo, s25
	s_cbranch_vccnz .LBB167_568
; %bb.567:
	s_wait_loadcnt 0x0
	global_load_i16 v1, v[6:7], off
	s_wait_loadcnt 0x0
	v_cvt_f32_i32_e32 v1, v1
	s_delay_alu instid0(VALU_DEP_1) | instskip(NEXT) | instid1(VALU_DEP_1)
	v_bfe_u32 v3, v1, 16, 1
	v_add3_u32 v1, v1, v3, 0x7fff
	s_delay_alu instid0(VALU_DEP_1)
	v_lshrrev_b32_e32 v1, 16, v1
.LBB167_568:
	s_mov_b32 s25, 0
.LBB167_569:
	s_delay_alu instid0(SALU_CYCLE_1)
	s_and_not1_b32 vcc_lo, exec_lo, s25
	s_cbranch_vccnz .LBB167_575
; %bb.570:
	s_cmp_gt_i32 s0, 0
	s_mov_b32 s0, 0
	s_cbranch_scc0 .LBB167_572
; %bb.571:
	s_wait_loadcnt 0x0
	global_load_i8 v1, v[6:7], off
	s_wait_loadcnt 0x0
	v_cvt_f32_i32_e32 v1, v1
	s_delay_alu instid0(VALU_DEP_1) | instskip(NEXT) | instid1(VALU_DEP_1)
	v_bfe_u32 v3, v1, 16, 1
	v_add3_u32 v1, v1, v3, 0x7fff
	s_delay_alu instid0(VALU_DEP_1)
	v_lshrrev_b32_e32 v1, 16, v1
	s_branch .LBB167_573
.LBB167_572:
	s_mov_b32 s0, -1
                                        ; implicit-def: $vgpr1
.LBB167_573:
	s_delay_alu instid0(SALU_CYCLE_1)
	s_and_not1_b32 vcc_lo, exec_lo, s0
	s_cbranch_vccnz .LBB167_575
; %bb.574:
	s_wait_loadcnt 0x0
	global_load_u8 v1, v[6:7], off
	s_wait_loadcnt 0x0
	v_cvt_f32_ubyte0_e32 v1, v1
	s_delay_alu instid0(VALU_DEP_1) | instskip(NEXT) | instid1(VALU_DEP_1)
	v_bfe_u32 v3, v1, 16, 1
	v_add3_u32 v1, v1, v3, 0x7fff
	s_delay_alu instid0(VALU_DEP_1)
	v_lshrrev_b32_e32 v1, 16, v1
.LBB167_575:
	s_mov_b32 s26, -1
.LBB167_576:
	s_mov_b32 s25, 0
	s_mov_b32 s0, s42
	s_and_not1_b32 vcc_lo, exec_lo, s26
	s_mov_b32 s26, s43
	s_mov_b32 s27, 0
	s_cbranch_vccnz .LBB167_831
; %bb.577:
	v_mov_b32_e32 v5, 0
	s_and_b32 s0, 0xffff, s34
	s_delay_alu instid0(SALU_CYCLE_1) | instskip(NEXT) | instid1(VALU_DEP_1)
	s_cmp_lt_i32 s0, 11
	v_add_nc_u64_e32 v[4:5], s[6:7], v[4:5]
	s_cbranch_scc1 .LBB167_584
; %bb.578:
	s_cmp_gt_i32 s0, 25
	s_cbranch_scc0 .LBB167_585
; %bb.579:
	s_cmp_gt_i32 s0, 28
	s_cbranch_scc0 .LBB167_586
	;; [unrolled: 3-line block ×4, first 2 shown]
; %bb.582:
	s_cmp_eq_u32 s0, 46
	s_mov_b32 s47, 0
	s_cbranch_scc0 .LBB167_591
; %bb.583:
	s_wait_loadcnt 0x0
	global_load_b32 v3, v[4:5], off
	s_mov_b32 s27, -1
	s_mov_b32 s26, 0
	s_branch .LBB167_593
.LBB167_584:
	s_mov_b32 s47, -1
	s_mov_b32 s26, s43
                                        ; implicit-def: $vgpr3
	s_branch .LBB167_658
.LBB167_585:
	s_mov_b32 s47, -1
	s_mov_b32 s26, s43
                                        ; implicit-def: $vgpr3
	s_branch .LBB167_622
.LBB167_586:
	s_mov_b32 s47, -1
	s_mov_b32 s26, s43
                                        ; implicit-def: $vgpr3
	s_branch .LBB167_603
.LBB167_587:
	s_mov_b32 s47, -1
	s_mov_b32 s26, s43
                                        ; implicit-def: $vgpr3
	s_branch .LBB167_598
.LBB167_588:
	s_mov_b32 s47, -1
	s_mov_b32 s26, s43
	s_branch .LBB167_592
.LBB167_589:
	s_and_not1_saveexec_b32 s45, s45
	s_cbranch_execz .LBB167_336
.LBB167_590:
	v_add_f32_e64 v5, 0x42800000, |v6|
	s_and_not1_b32 s44, s44, exec_lo
	s_delay_alu instid0(VALU_DEP_1) | instskip(NEXT) | instid1(VALU_DEP_1)
	v_and_b32_e32 v5, 0xff, v5
	v_cmp_ne_u32_e32 vcc_lo, 0, v5
	s_and_b32 s47, vcc_lo, exec_lo
	s_delay_alu instid0(SALU_CYCLE_1)
	s_or_b32 s44, s44, s47
	s_or_b32 exec_lo, exec_lo, s45
	v_mov_b32_e32 v7, 0
	s_and_saveexec_b32 s45, s44
	s_cbranch_execnz .LBB167_337
	s_branch .LBB167_338
.LBB167_591:
	s_mov_b32 s26, -1
.LBB167_592:
                                        ; implicit-def: $vgpr3
.LBB167_593:
	s_and_b32 vcc_lo, exec_lo, s47
	s_cbranch_vccz .LBB167_597
; %bb.594:
	s_cmp_eq_u32 s0, 44
	s_cbranch_scc0 .LBB167_596
; %bb.595:
	s_wait_loadcnt 0x0
	global_load_u8 v3, v[4:5], off
	s_mov_b32 s26, 0
	s_mov_b32 s27, -1
	s_wait_loadcnt 0x0
	s_wait_xcnt 0x1
	v_lshlrev_b32_e32 v6, 23, v3
	v_cmp_ne_u32_e32 vcc_lo, 0xff, v3
	s_delay_alu instid0(VALU_DEP_2) | instskip(SKIP_1) | instid1(VALU_DEP_2)
	v_cndmask_b32_e32 v6, 0x7f800001, v6, vcc_lo
	v_cmp_ne_u32_e32 vcc_lo, 0, v3
	v_cndmask_b32_e32 v3, 0x400000, v6, vcc_lo
	s_delay_alu instid0(VALU_DEP_1) | instskip(NEXT) | instid1(VALU_DEP_1)
	v_add_nc_u32_e32 v6, 0x7fff, v3
	v_lshrrev_b32_e32 v6, 16, v6
	v_cmp_o_f32_e32 vcc_lo, v3, v3
	s_delay_alu instid0(VALU_DEP_2)
	v_cndmask_b32_e32 v3, 0x7fc0, v6, vcc_lo
	s_branch .LBB167_597
.LBB167_596:
	s_mov_b32 s26, -1
                                        ; implicit-def: $vgpr3
.LBB167_597:
	s_mov_b32 s47, 0
.LBB167_598:
	s_delay_alu instid0(SALU_CYCLE_1)
	s_and_b32 vcc_lo, exec_lo, s47
	s_cbranch_vccz .LBB167_602
; %bb.599:
	s_cmp_eq_u32 s0, 29
	s_cbranch_scc0 .LBB167_601
; %bb.600:
	global_load_b64 v[6:7], v[4:5], off
	s_mov_b32 s27, -1
	s_mov_b32 s26, 0
	s_mov_b32 s47, 0
	s_wait_loadcnt 0x0
	v_clz_i32_u32_e32 v3, v7
	s_delay_alu instid0(VALU_DEP_1) | instskip(NEXT) | instid1(VALU_DEP_1)
	v_min_u32_e32 v3, 32, v3
	v_lshlrev_b64_e32 v[6:7], v3, v[6:7]
	v_sub_nc_u32_e32 v3, 32, v3
	s_delay_alu instid0(VALU_DEP_2) | instskip(NEXT) | instid1(VALU_DEP_1)
	v_min_u32_e32 v6, 1, v6
	v_or_b32_e32 v6, v7, v6
	s_delay_alu instid0(VALU_DEP_1) | instskip(NEXT) | instid1(VALU_DEP_1)
	v_cvt_f32_u32_e32 v6, v6
	v_ldexp_f32 v3, v6, v3
	s_delay_alu instid0(VALU_DEP_1) | instskip(NEXT) | instid1(VALU_DEP_1)
	v_bfe_u32 v6, v3, 16, 1
	v_add3_u32 v3, v3, v6, 0x7fff
	s_delay_alu instid0(VALU_DEP_1)
	v_lshrrev_b32_e32 v3, 16, v3
	s_branch .LBB167_603
.LBB167_601:
	s_mov_b32 s26, -1
                                        ; implicit-def: $vgpr3
.LBB167_602:
	s_mov_b32 s47, 0
.LBB167_603:
	s_delay_alu instid0(SALU_CYCLE_1)
	s_and_b32 vcc_lo, exec_lo, s47
	s_cbranch_vccz .LBB167_621
; %bb.604:
	s_cmp_lt_i32 s0, 27
	s_cbranch_scc1 .LBB167_607
; %bb.605:
	s_cmp_gt_i32 s0, 27
	s_cbranch_scc0 .LBB167_608
; %bb.606:
	s_wait_loadcnt 0x0
	global_load_b32 v3, v[4:5], off
	s_mov_b32 s27, 0
	s_wait_loadcnt 0x0
	v_cvt_f32_u32_e32 v3, v3
	s_wait_xcnt 0x1
	s_delay_alu instid0(VALU_DEP_1) | instskip(NEXT) | instid1(VALU_DEP_1)
	v_bfe_u32 v6, v3, 16, 1
	v_add3_u32 v3, v3, v6, 0x7fff
	s_delay_alu instid0(VALU_DEP_1)
	v_lshrrev_b32_e32 v3, 16, v3
	s_branch .LBB167_609
.LBB167_607:
	s_mov_b32 s27, -1
                                        ; implicit-def: $vgpr3
	s_branch .LBB167_612
.LBB167_608:
	s_mov_b32 s27, -1
                                        ; implicit-def: $vgpr3
.LBB167_609:
	s_delay_alu instid0(SALU_CYCLE_1)
	s_and_not1_b32 vcc_lo, exec_lo, s27
	s_cbranch_vccnz .LBB167_611
; %bb.610:
	s_wait_loadcnt 0x0
	global_load_u16 v3, v[4:5], off
	s_wait_loadcnt 0x0
	v_cvt_f32_u32_e32 v3, v3
	s_wait_xcnt 0x1
	s_delay_alu instid0(VALU_DEP_1) | instskip(NEXT) | instid1(VALU_DEP_1)
	v_bfe_u32 v6, v3, 16, 1
	v_add3_u32 v3, v3, v6, 0x7fff
	s_delay_alu instid0(VALU_DEP_1)
	v_lshrrev_b32_e32 v3, 16, v3
.LBB167_611:
	s_mov_b32 s27, 0
.LBB167_612:
	s_delay_alu instid0(SALU_CYCLE_1)
	s_and_not1_b32 vcc_lo, exec_lo, s27
	s_cbranch_vccnz .LBB167_620
; %bb.613:
	s_wait_loadcnt 0x0
	global_load_u8 v3, v[4:5], off
	s_mov_b32 s27, 0
	s_mov_b32 s47, exec_lo
	s_wait_loadcnt 0x0
	v_cmpx_lt_i16_e32 0x7f, v3
	s_xor_b32 s47, exec_lo, s47
	s_cbranch_execz .LBB167_634
; %bb.614:
	s_mov_b32 s27, -1
	s_mov_b32 s48, exec_lo
	v_cmpx_eq_u16_e32 0x80, v3
; %bb.615:
	s_xor_b32 s27, exec_lo, -1
; %bb.616:
	s_or_b32 exec_lo, exec_lo, s48
	s_delay_alu instid0(SALU_CYCLE_1)
	s_and_b32 s27, s27, exec_lo
	s_or_saveexec_b32 s47, s47
	v_mov_b32_e32 v6, 0x7f800001
	s_xor_b32 exec_lo, exec_lo, s47
	s_cbranch_execnz .LBB167_635
.LBB167_617:
	s_or_b32 exec_lo, exec_lo, s47
	s_and_saveexec_b32 s47, s27
	s_cbranch_execz .LBB167_619
.LBB167_618:
	v_and_b32_e32 v6, 0xffff, v3
	s_delay_alu instid0(VALU_DEP_1) | instskip(SKIP_1) | instid1(VALU_DEP_2)
	v_and_b32_e32 v7, 7, v6
	v_bfe_u32 v10, v6, 3, 4
	v_clz_i32_u32_e32 v8, v7
	s_delay_alu instid0(VALU_DEP_2) | instskip(NEXT) | instid1(VALU_DEP_2)
	v_cmp_eq_u32_e32 vcc_lo, 0, v10
	v_min_u32_e32 v8, 32, v8
	s_delay_alu instid0(VALU_DEP_1) | instskip(NEXT) | instid1(VALU_DEP_1)
	v_subrev_nc_u32_e32 v9, 28, v8
	v_dual_lshlrev_b32 v6, v9, v6 :: v_dual_sub_nc_u32 v8, 29, v8
	s_delay_alu instid0(VALU_DEP_1) | instskip(NEXT) | instid1(VALU_DEP_1)
	v_dual_lshlrev_b32 v3, 24, v3 :: v_dual_bitop2_b32 v6, 7, v6 bitop3:0x40
	v_dual_cndmask_b32 v8, v10, v8, vcc_lo :: v_dual_cndmask_b32 v6, v7, v6, vcc_lo
	s_delay_alu instid0(VALU_DEP_2) | instskip(NEXT) | instid1(VALU_DEP_2)
	v_and_b32_e32 v3, 0x80000000, v3
	v_lshl_add_u32 v7, v8, 23, 0x3b800000
	s_delay_alu instid0(VALU_DEP_3) | instskip(NEXT) | instid1(VALU_DEP_1)
	v_lshlrev_b32_e32 v6, 20, v6
	v_or3_b32 v6, v3, v7, v6
.LBB167_619:
	s_or_b32 exec_lo, exec_lo, s47
	s_delay_alu instid0(VALU_DEP_1) | instskip(SKIP_1) | instid1(VALU_DEP_2)
	v_bfe_u32 v3, v6, 16, 1
	v_cmp_o_f32_e32 vcc_lo, v6, v6
	v_add3_u32 v3, v6, v3, 0x7fff
	s_delay_alu instid0(VALU_DEP_1) | instskip(NEXT) | instid1(VALU_DEP_1)
	v_lshrrev_b32_e32 v3, 16, v3
	v_cndmask_b32_e32 v3, 0x7fc0, v3, vcc_lo
.LBB167_620:
	s_mov_b32 s27, -1
.LBB167_621:
	s_mov_b32 s47, 0
.LBB167_622:
	s_delay_alu instid0(SALU_CYCLE_1)
	s_and_b32 vcc_lo, exec_lo, s47
	s_cbranch_vccz .LBB167_657
; %bb.623:
	s_cmp_gt_i32 s0, 22
	s_cbranch_scc0 .LBB167_633
; %bb.624:
	s_cmp_lt_i32 s0, 24
	s_cbranch_scc1 .LBB167_636
; %bb.625:
	s_cmp_gt_i32 s0, 24
	s_cbranch_scc0 .LBB167_637
; %bb.626:
	s_wait_loadcnt 0x0
	global_load_u8 v3, v[4:5], off
	s_mov_b32 s27, 0
	s_mov_b32 s47, exec_lo
	s_wait_loadcnt 0x0
	v_cmpx_lt_i16_e32 0x7f, v3
	s_xor_b32 s47, exec_lo, s47
	s_cbranch_execz .LBB167_649
; %bb.627:
	s_mov_b32 s27, -1
	s_mov_b32 s48, exec_lo
	v_cmpx_eq_u16_e32 0x80, v3
; %bb.628:
	s_xor_b32 s27, exec_lo, -1
; %bb.629:
	s_or_b32 exec_lo, exec_lo, s48
	s_delay_alu instid0(SALU_CYCLE_1)
	s_and_b32 s27, s27, exec_lo
	s_or_saveexec_b32 s47, s47
	v_mov_b32_e32 v6, 0x7f800001
	s_xor_b32 exec_lo, exec_lo, s47
	s_cbranch_execnz .LBB167_650
.LBB167_630:
	s_or_b32 exec_lo, exec_lo, s47
	s_and_saveexec_b32 s47, s27
	s_cbranch_execz .LBB167_632
.LBB167_631:
	v_and_b32_e32 v6, 0xffff, v3
	s_delay_alu instid0(VALU_DEP_1) | instskip(SKIP_1) | instid1(VALU_DEP_2)
	v_and_b32_e32 v7, 3, v6
	v_bfe_u32 v10, v6, 2, 5
	v_clz_i32_u32_e32 v8, v7
	s_delay_alu instid0(VALU_DEP_2) | instskip(NEXT) | instid1(VALU_DEP_2)
	v_cmp_eq_u32_e32 vcc_lo, 0, v10
	v_min_u32_e32 v8, 32, v8
	s_delay_alu instid0(VALU_DEP_1) | instskip(NEXT) | instid1(VALU_DEP_1)
	v_subrev_nc_u32_e32 v9, 29, v8
	v_dual_lshlrev_b32 v6, v9, v6 :: v_dual_sub_nc_u32 v8, 30, v8
	s_delay_alu instid0(VALU_DEP_1) | instskip(NEXT) | instid1(VALU_DEP_1)
	v_dual_lshlrev_b32 v3, 24, v3 :: v_dual_bitop2_b32 v6, 3, v6 bitop3:0x40
	v_dual_cndmask_b32 v8, v10, v8, vcc_lo :: v_dual_cndmask_b32 v6, v7, v6, vcc_lo
	s_delay_alu instid0(VALU_DEP_2) | instskip(NEXT) | instid1(VALU_DEP_2)
	v_and_b32_e32 v3, 0x80000000, v3
	v_lshl_add_u32 v7, v8, 23, 0x37800000
	s_delay_alu instid0(VALU_DEP_3) | instskip(NEXT) | instid1(VALU_DEP_1)
	v_lshlrev_b32_e32 v6, 21, v6
	v_or3_b32 v6, v3, v7, v6
.LBB167_632:
	s_or_b32 exec_lo, exec_lo, s47
	s_delay_alu instid0(VALU_DEP_1) | instskip(SKIP_2) | instid1(VALU_DEP_2)
	v_bfe_u32 v3, v6, 16, 1
	v_cmp_o_f32_e32 vcc_lo, v6, v6
	s_mov_b32 s27, 0
	v_add3_u32 v3, v6, v3, 0x7fff
	s_delay_alu instid0(VALU_DEP_1) | instskip(NEXT) | instid1(VALU_DEP_1)
	v_lshrrev_b32_e32 v3, 16, v3
	v_cndmask_b32_e32 v3, 0x7fc0, v3, vcc_lo
	s_branch .LBB167_638
.LBB167_633:
	s_mov_b32 s47, -1
                                        ; implicit-def: $vgpr3
	s_branch .LBB167_644
.LBB167_634:
	s_or_saveexec_b32 s47, s47
	v_mov_b32_e32 v6, 0x7f800001
	s_xor_b32 exec_lo, exec_lo, s47
	s_cbranch_execz .LBB167_617
.LBB167_635:
	v_cmp_ne_u16_e32 vcc_lo, 0, v3
	v_mov_b32_e32 v6, 0
	s_and_not1_b32 s27, s27, exec_lo
	s_and_b32 s48, vcc_lo, exec_lo
	s_delay_alu instid0(SALU_CYCLE_1)
	s_or_b32 s27, s27, s48
	s_or_b32 exec_lo, exec_lo, s47
	s_and_saveexec_b32 s47, s27
	s_cbranch_execnz .LBB167_618
	s_branch .LBB167_619
.LBB167_636:
	s_mov_b32 s27, -1
                                        ; implicit-def: $vgpr3
	s_branch .LBB167_641
.LBB167_637:
	s_mov_b32 s27, -1
                                        ; implicit-def: $vgpr3
.LBB167_638:
	s_delay_alu instid0(SALU_CYCLE_1)
	s_and_b32 vcc_lo, exec_lo, s27
	s_cbranch_vccz .LBB167_640
; %bb.639:
	s_wait_loadcnt 0x0
	global_load_u8 v3, v[4:5], off
	s_wait_loadcnt 0x0
	v_lshlrev_b32_e32 v3, 24, v3
	s_wait_xcnt 0x1
	s_delay_alu instid0(VALU_DEP_1) | instskip(NEXT) | instid1(VALU_DEP_1)
	v_and_b32_e32 v6, 0x7f000000, v3
	v_clz_i32_u32_e32 v7, v6
	v_cmp_ne_u32_e32 vcc_lo, 0, v6
	v_add_nc_u32_e32 v9, 0x1000000, v6
	s_delay_alu instid0(VALU_DEP_3) | instskip(NEXT) | instid1(VALU_DEP_1)
	v_min_u32_e32 v7, 32, v7
	v_sub_nc_u32_e64 v7, v7, 4 clamp
	s_delay_alu instid0(VALU_DEP_1) | instskip(NEXT) | instid1(VALU_DEP_1)
	v_dual_lshlrev_b32 v8, v7, v6 :: v_dual_lshlrev_b32 v7, 23, v7
	v_lshrrev_b32_e32 v8, 4, v8
	s_delay_alu instid0(VALU_DEP_1) | instskip(NEXT) | instid1(VALU_DEP_1)
	v_dual_sub_nc_u32 v7, v8, v7 :: v_dual_ashrrev_i32 v8, 8, v9
	v_add_nc_u32_e32 v7, 0x3c000000, v7
	s_delay_alu instid0(VALU_DEP_1) | instskip(NEXT) | instid1(VALU_DEP_1)
	v_and_or_b32 v7, 0x7f800000, v8, v7
	v_cndmask_b32_e32 v6, 0, v7, vcc_lo
	s_delay_alu instid0(VALU_DEP_1) | instskip(SKIP_1) | instid1(VALU_DEP_2)
	v_and_or_b32 v3, 0x80000000, v3, v6
	v_bfe_u32 v6, v6, 16, 1
	v_cmp_o_f32_e32 vcc_lo, v3, v3
	s_delay_alu instid0(VALU_DEP_2) | instskip(NEXT) | instid1(VALU_DEP_1)
	v_add3_u32 v6, v3, v6, 0x7fff
	v_lshrrev_b32_e32 v6, 16, v6
	s_delay_alu instid0(VALU_DEP_1)
	v_cndmask_b32_e32 v3, 0x7fc0, v6, vcc_lo
.LBB167_640:
	s_mov_b32 s27, 0
.LBB167_641:
	s_delay_alu instid0(SALU_CYCLE_1)
	s_and_not1_b32 vcc_lo, exec_lo, s27
	s_cbranch_vccnz .LBB167_643
; %bb.642:
	s_wait_loadcnt 0x0
	global_load_u8 v3, v[4:5], off
	s_wait_loadcnt 0x0
	s_wait_xcnt 0x1
	v_lshlrev_b32_e32 v6, 25, v3
	v_lshlrev_b16 v3, 8, v3
	s_delay_alu instid0(VALU_DEP_1) | instskip(SKIP_1) | instid1(VALU_DEP_2)
	v_and_or_b32 v8, 0x7f00, v3, 0.5
	v_bfe_i32 v3, v3, 0, 16
	v_dual_add_f32 v8, -0.5, v8 :: v_dual_lshrrev_b32 v7, 4, v6
	v_cmp_gt_u32_e32 vcc_lo, 0x8000000, v6
	s_delay_alu instid0(VALU_DEP_2) | instskip(NEXT) | instid1(VALU_DEP_1)
	v_or_b32_e32 v7, 0x70000000, v7
	v_mul_f32_e32 v7, 0x7800000, v7
	s_delay_alu instid0(VALU_DEP_1) | instskip(NEXT) | instid1(VALU_DEP_1)
	v_cndmask_b32_e32 v6, v7, v8, vcc_lo
	v_and_or_b32 v3, 0x80000000, v3, v6
	v_bfe_u32 v6, v6, 16, 1
	s_delay_alu instid0(VALU_DEP_2) | instskip(NEXT) | instid1(VALU_DEP_2)
	v_cmp_o_f32_e32 vcc_lo, v3, v3
	v_add3_u32 v6, v3, v6, 0x7fff
	s_delay_alu instid0(VALU_DEP_1) | instskip(NEXT) | instid1(VALU_DEP_1)
	v_lshrrev_b32_e32 v6, 16, v6
	v_cndmask_b32_e32 v3, 0x7fc0, v6, vcc_lo
.LBB167_643:
	s_mov_b32 s47, 0
	s_mov_b32 s27, -1
.LBB167_644:
	s_and_not1_b32 vcc_lo, exec_lo, s47
	s_cbranch_vccnz .LBB167_657
; %bb.645:
	s_cmp_gt_i32 s0, 14
	s_cbranch_scc0 .LBB167_648
; %bb.646:
	s_cmp_eq_u32 s0, 15
	s_cbranch_scc0 .LBB167_651
; %bb.647:
	s_wait_loadcnt 0x0
	global_load_u16 v3, v[4:5], off
	s_mov_b32 s27, -1
	s_mov_b32 s26, 0
	s_branch .LBB167_652
.LBB167_648:
	s_mov_b32 s47, -1
                                        ; implicit-def: $vgpr3
	s_branch .LBB167_653
.LBB167_649:
	s_or_saveexec_b32 s47, s47
	v_mov_b32_e32 v6, 0x7f800001
	s_xor_b32 exec_lo, exec_lo, s47
	s_cbranch_execz .LBB167_630
.LBB167_650:
	v_cmp_ne_u16_e32 vcc_lo, 0, v3
	v_mov_b32_e32 v6, 0
	s_and_not1_b32 s27, s27, exec_lo
	s_and_b32 s48, vcc_lo, exec_lo
	s_delay_alu instid0(SALU_CYCLE_1)
	s_or_b32 s27, s27, s48
	s_or_b32 exec_lo, exec_lo, s47
	s_and_saveexec_b32 s47, s27
	s_cbranch_execnz .LBB167_631
	s_branch .LBB167_632
.LBB167_651:
	s_mov_b32 s26, -1
                                        ; implicit-def: $vgpr3
.LBB167_652:
	s_mov_b32 s47, 0
.LBB167_653:
	s_delay_alu instid0(SALU_CYCLE_1)
	s_and_b32 vcc_lo, exec_lo, s47
	s_cbranch_vccz .LBB167_657
; %bb.654:
	s_cmp_eq_u32 s0, 11
	s_cbranch_scc0 .LBB167_656
; %bb.655:
	s_wait_loadcnt 0x0
	global_load_u8 v3, v[4:5], off
	s_mov_b32 s26, 0
	s_mov_b32 s27, -1
	s_wait_loadcnt 0x0
	v_cmp_ne_u16_e32 vcc_lo, 0, v3
	v_cndmask_b32_e64 v3, 0, 1.0, vcc_lo
	s_delay_alu instid0(VALU_DEP_1)
	v_lshrrev_b32_e32 v3, 16, v3
	s_branch .LBB167_657
.LBB167_656:
	s_mov_b32 s26, -1
                                        ; implicit-def: $vgpr3
.LBB167_657:
	s_mov_b32 s47, 0
.LBB167_658:
	s_delay_alu instid0(SALU_CYCLE_1)
	s_and_b32 vcc_lo, exec_lo, s47
	s_cbranch_vccz .LBB167_707
; %bb.659:
	s_cmp_lt_i32 s0, 5
	s_cbranch_scc1 .LBB167_664
; %bb.660:
	s_cmp_lt_i32 s0, 8
	s_cbranch_scc1 .LBB167_665
	;; [unrolled: 3-line block ×3, first 2 shown]
; %bb.662:
	s_cmp_gt_i32 s0, 9
	s_cbranch_scc0 .LBB167_667
; %bb.663:
	global_load_b64 v[6:7], v[4:5], off
	s_mov_b32 s27, 0
	s_wait_loadcnt 0x0
	v_cvt_f32_f64_e32 v3, v[6:7]
	s_delay_alu instid0(VALU_DEP_1) | instskip(SKIP_1) | instid1(VALU_DEP_2)
	v_bfe_u32 v6, v3, 16, 1
	v_cmp_o_f32_e32 vcc_lo, v3, v3
	v_add3_u32 v6, v3, v6, 0x7fff
	s_delay_alu instid0(VALU_DEP_1) | instskip(NEXT) | instid1(VALU_DEP_1)
	v_lshrrev_b32_e32 v6, 16, v6
	v_cndmask_b32_e32 v3, 0x7fc0, v6, vcc_lo
	s_branch .LBB167_668
.LBB167_664:
	s_mov_b32 s27, -1
                                        ; implicit-def: $vgpr3
	s_branch .LBB167_686
.LBB167_665:
	s_mov_b32 s27, -1
                                        ; implicit-def: $vgpr3
	s_branch .LBB167_674
.LBB167_666:
	s_mov_b32 s27, -1
                                        ; implicit-def: $vgpr3
	s_branch .LBB167_671
.LBB167_667:
	s_mov_b32 s27, -1
                                        ; implicit-def: $vgpr3
.LBB167_668:
	s_delay_alu instid0(SALU_CYCLE_1)
	s_and_not1_b32 vcc_lo, exec_lo, s27
	s_cbranch_vccnz .LBB167_670
; %bb.669:
	s_wait_loadcnt 0x0
	global_load_b32 v3, v[4:5], off
	s_wait_loadcnt 0x0
	s_wait_xcnt 0x1
	v_bfe_u32 v6, v3, 16, 1
	v_cmp_o_f32_e32 vcc_lo, v3, v3
	s_delay_alu instid0(VALU_DEP_2) | instskip(NEXT) | instid1(VALU_DEP_1)
	v_add3_u32 v6, v3, v6, 0x7fff
	v_lshrrev_b32_e32 v6, 16, v6
	s_delay_alu instid0(VALU_DEP_1)
	v_cndmask_b32_e32 v3, 0x7fc0, v6, vcc_lo
.LBB167_670:
	s_mov_b32 s27, 0
.LBB167_671:
	s_delay_alu instid0(SALU_CYCLE_1)
	s_and_not1_b32 vcc_lo, exec_lo, s27
	s_cbranch_vccnz .LBB167_673
; %bb.672:
	s_wait_loadcnt 0x0
	global_load_b32 v3, v[4:5], off
	s_wait_loadcnt 0x0
	s_wait_xcnt 0x1
	v_cvt_f32_f16_e32 v6, v3
	v_cmp_o_f16_e32 vcc_lo, v3, v3
	s_delay_alu instid0(VALU_DEP_2) | instskip(NEXT) | instid1(VALU_DEP_1)
	v_bfe_u32 v7, v6, 16, 1
	v_add3_u32 v6, v6, v7, 0x7fff
	s_delay_alu instid0(VALU_DEP_1) | instskip(NEXT) | instid1(VALU_DEP_1)
	v_lshrrev_b32_e32 v6, 16, v6
	v_cndmask_b32_e32 v3, 0x7fc0, v6, vcc_lo
.LBB167_673:
	s_mov_b32 s27, 0
.LBB167_674:
	s_delay_alu instid0(SALU_CYCLE_1)
	s_and_not1_b32 vcc_lo, exec_lo, s27
	s_cbranch_vccnz .LBB167_685
; %bb.675:
	s_cmp_lt_i32 s0, 6
	s_cbranch_scc1 .LBB167_678
; %bb.676:
	s_cmp_gt_i32 s0, 6
	s_cbranch_scc0 .LBB167_679
; %bb.677:
	global_load_b64 v[6:7], v[4:5], off
	s_mov_b32 s27, 0
	s_wait_loadcnt 0x0
	v_cvt_f32_f64_e32 v3, v[6:7]
	s_delay_alu instid0(VALU_DEP_1) | instskip(SKIP_1) | instid1(VALU_DEP_2)
	v_bfe_u32 v6, v3, 16, 1
	v_cmp_o_f32_e32 vcc_lo, v3, v3
	v_add3_u32 v6, v3, v6, 0x7fff
	s_delay_alu instid0(VALU_DEP_1) | instskip(NEXT) | instid1(VALU_DEP_1)
	v_lshrrev_b32_e32 v6, 16, v6
	v_cndmask_b32_e32 v3, 0x7fc0, v6, vcc_lo
	s_branch .LBB167_680
.LBB167_678:
	s_mov_b32 s27, -1
                                        ; implicit-def: $vgpr3
	s_branch .LBB167_683
.LBB167_679:
	s_mov_b32 s27, -1
                                        ; implicit-def: $vgpr3
.LBB167_680:
	s_delay_alu instid0(SALU_CYCLE_1)
	s_and_not1_b32 vcc_lo, exec_lo, s27
	s_cbranch_vccnz .LBB167_682
; %bb.681:
	s_wait_loadcnt 0x0
	global_load_b32 v3, v[4:5], off
	s_wait_loadcnt 0x0
	s_wait_xcnt 0x1
	v_bfe_u32 v6, v3, 16, 1
	v_cmp_o_f32_e32 vcc_lo, v3, v3
	s_delay_alu instid0(VALU_DEP_2) | instskip(NEXT) | instid1(VALU_DEP_1)
	v_add3_u32 v6, v3, v6, 0x7fff
	v_lshrrev_b32_e32 v6, 16, v6
	s_delay_alu instid0(VALU_DEP_1)
	v_cndmask_b32_e32 v3, 0x7fc0, v6, vcc_lo
.LBB167_682:
	s_mov_b32 s27, 0
.LBB167_683:
	s_delay_alu instid0(SALU_CYCLE_1)
	s_and_not1_b32 vcc_lo, exec_lo, s27
	s_cbranch_vccnz .LBB167_685
; %bb.684:
	s_wait_loadcnt 0x0
	global_load_u16 v3, v[4:5], off
	s_wait_loadcnt 0x0
	s_wait_xcnt 0x1
	v_cvt_f32_f16_e32 v6, v3
	v_cmp_o_f16_e32 vcc_lo, v3, v3
	s_delay_alu instid0(VALU_DEP_2) | instskip(NEXT) | instid1(VALU_DEP_1)
	v_bfe_u32 v7, v6, 16, 1
	v_add3_u32 v6, v6, v7, 0x7fff
	s_delay_alu instid0(VALU_DEP_1) | instskip(NEXT) | instid1(VALU_DEP_1)
	v_lshrrev_b32_e32 v6, 16, v6
	v_cndmask_b32_e32 v3, 0x7fc0, v6, vcc_lo
.LBB167_685:
	s_mov_b32 s27, 0
.LBB167_686:
	s_delay_alu instid0(SALU_CYCLE_1)
	s_and_not1_b32 vcc_lo, exec_lo, s27
	s_cbranch_vccnz .LBB167_706
; %bb.687:
	s_cmp_lt_i32 s0, 2
	s_cbranch_scc1 .LBB167_691
; %bb.688:
	s_cmp_lt_i32 s0, 3
	s_cbranch_scc1 .LBB167_692
; %bb.689:
	s_cmp_gt_i32 s0, 3
	s_cbranch_scc0 .LBB167_693
; %bb.690:
	global_load_b64 v[6:7], v[4:5], off
	s_mov_b32 s27, 0
	s_wait_loadcnt 0x0
	v_xor_b32_e32 v3, v6, v7
	v_cls_i32_e32 v8, v7
	s_delay_alu instid0(VALU_DEP_2) | instskip(NEXT) | instid1(VALU_DEP_1)
	v_ashrrev_i32_e32 v3, 31, v3
	v_add_nc_u32_e32 v3, 32, v3
	s_delay_alu instid0(VALU_DEP_1) | instskip(NEXT) | instid1(VALU_DEP_1)
	v_add_min_u32_e64 v3, v8, -1, v3
	v_lshlrev_b64_e32 v[6:7], v3, v[6:7]
	v_sub_nc_u32_e32 v3, 32, v3
	s_delay_alu instid0(VALU_DEP_2) | instskip(NEXT) | instid1(VALU_DEP_1)
	v_min_u32_e32 v6, 1, v6
	v_or_b32_e32 v6, v7, v6
	s_delay_alu instid0(VALU_DEP_1) | instskip(NEXT) | instid1(VALU_DEP_1)
	v_cvt_f32_i32_e32 v6, v6
	v_ldexp_f32 v3, v6, v3
	s_delay_alu instid0(VALU_DEP_1) | instskip(NEXT) | instid1(VALU_DEP_1)
	v_bfe_u32 v6, v3, 16, 1
	v_add3_u32 v3, v3, v6, 0x7fff
	s_delay_alu instid0(VALU_DEP_1)
	v_lshrrev_b32_e32 v3, 16, v3
	s_branch .LBB167_694
.LBB167_691:
	s_mov_b32 s27, -1
                                        ; implicit-def: $vgpr3
	s_branch .LBB167_700
.LBB167_692:
	s_mov_b32 s27, -1
                                        ; implicit-def: $vgpr3
	s_branch .LBB167_697
.LBB167_693:
	s_mov_b32 s27, -1
                                        ; implicit-def: $vgpr3
.LBB167_694:
	s_delay_alu instid0(SALU_CYCLE_1)
	s_and_not1_b32 vcc_lo, exec_lo, s27
	s_cbranch_vccnz .LBB167_696
; %bb.695:
	s_wait_loadcnt 0x0
	global_load_b32 v3, v[4:5], off
	s_wait_loadcnt 0x0
	v_cvt_f32_i32_e32 v3, v3
	s_wait_xcnt 0x1
	s_delay_alu instid0(VALU_DEP_1) | instskip(NEXT) | instid1(VALU_DEP_1)
	v_bfe_u32 v6, v3, 16, 1
	v_add3_u32 v3, v3, v6, 0x7fff
	s_delay_alu instid0(VALU_DEP_1)
	v_lshrrev_b32_e32 v3, 16, v3
.LBB167_696:
	s_mov_b32 s27, 0
.LBB167_697:
	s_delay_alu instid0(SALU_CYCLE_1)
	s_and_not1_b32 vcc_lo, exec_lo, s27
	s_cbranch_vccnz .LBB167_699
; %bb.698:
	s_wait_loadcnt 0x0
	global_load_i16 v3, v[4:5], off
	s_wait_loadcnt 0x0
	v_cvt_f32_i32_e32 v3, v3
	s_wait_xcnt 0x1
	s_delay_alu instid0(VALU_DEP_1) | instskip(NEXT) | instid1(VALU_DEP_1)
	v_bfe_u32 v6, v3, 16, 1
	v_add3_u32 v3, v3, v6, 0x7fff
	s_delay_alu instid0(VALU_DEP_1)
	v_lshrrev_b32_e32 v3, 16, v3
.LBB167_699:
	s_mov_b32 s27, 0
.LBB167_700:
	s_delay_alu instid0(SALU_CYCLE_1)
	s_and_not1_b32 vcc_lo, exec_lo, s27
	s_cbranch_vccnz .LBB167_706
; %bb.701:
	s_cmp_gt_i32 s0, 0
	s_mov_b32 s0, 0
	s_cbranch_scc0 .LBB167_703
; %bb.702:
	s_wait_loadcnt 0x0
	global_load_i8 v3, v[4:5], off
	s_wait_loadcnt 0x0
	v_cvt_f32_i32_e32 v3, v3
	s_wait_xcnt 0x1
	s_delay_alu instid0(VALU_DEP_1) | instskip(NEXT) | instid1(VALU_DEP_1)
	v_bfe_u32 v6, v3, 16, 1
	v_add3_u32 v3, v3, v6, 0x7fff
	s_delay_alu instid0(VALU_DEP_1)
	v_lshrrev_b32_e32 v3, 16, v3
	s_branch .LBB167_704
.LBB167_703:
	s_mov_b32 s0, -1
                                        ; implicit-def: $vgpr3
.LBB167_704:
	s_delay_alu instid0(SALU_CYCLE_1)
	s_and_not1_b32 vcc_lo, exec_lo, s0
	s_cbranch_vccnz .LBB167_706
; %bb.705:
	s_wait_loadcnt 0x0
	global_load_u8 v3, v[4:5], off
	s_wait_loadcnt 0x0
	v_cvt_f32_ubyte0_e32 v3, v3
	s_wait_xcnt 0x0
	s_delay_alu instid0(VALU_DEP_1) | instskip(NEXT) | instid1(VALU_DEP_1)
	v_bfe_u32 v4, v3, 16, 1
	v_add3_u32 v3, v3, v4, 0x7fff
	s_delay_alu instid0(VALU_DEP_1)
	v_lshrrev_b32_e32 v3, 16, v3
.LBB167_706:
	s_mov_b32 s27, -1
.LBB167_707:
	s_delay_alu instid0(SALU_CYCLE_1)
	s_and_not1_b32 vcc_lo, exec_lo, s27
	s_cbranch_vccnz .LBB167_715
; %bb.708:
	s_wait_loadcnt 0x0
	v_dual_lshlrev_b32 v1, 16, v1 :: v_dual_lshlrev_b32 v3, 16, v3
	s_and_b32 s27, s33, 0xff
	s_delay_alu instid0(SALU_CYCLE_1) | instskip(NEXT) | instid1(VALU_DEP_1)
	s_cmp_lt_i32 s27, 11
	v_mul_f32_e32 v1, s9, v1
	s_wait_xcnt 0x0
	s_delay_alu instid0(VALU_DEP_1) | instskip(SKIP_1) | instid1(VALU_DEP_2)
	v_bfe_u32 v4, v1, 16, 1
	v_cmp_o_f32_e32 vcc_lo, v1, v1
	v_add3_u32 v4, v1, v4, 0x7fff
	s_delay_alu instid0(VALU_DEP_1) | instskip(NEXT) | instid1(VALU_DEP_1)
	v_and_b32_e32 v4, 0xffff0000, v4
	v_cndmask_b32_e32 v1, 0x7fc00000, v4, vcc_lo
	s_delay_alu instid0(VALU_DEP_1) | instskip(NEXT) | instid1(VALU_DEP_1)
	v_mul_f32_e32 v1, v1, v3
	v_bfe_u32 v3, v1, 16, 1
	v_cmp_o_f32_e32 vcc_lo, v1, v1
	s_delay_alu instid0(VALU_DEP_2) | instskip(NEXT) | instid1(VALU_DEP_1)
	v_add3_u32 v4, v1, v3, 0x7fff
	v_dual_mov_b32 v3, 0 :: v_dual_lshrrev_b32 v4, 16, v4
	s_delay_alu instid0(VALU_DEP_1) | instskip(NEXT) | instid1(VALU_DEP_2)
	v_add_nc_u64_e32 v[2:3], s[16:17], v[2:3]
	v_cndmask_b32_e32 v1, 0x7fc0, v4, vcc_lo
	s_cbranch_scc1 .LBB167_716
; %bb.709:
	s_and_b32 s47, 0xffff, s27
	s_delay_alu instid0(SALU_CYCLE_1)
	s_cmp_gt_i32 s47, 25
	s_cbranch_scc0 .LBB167_717
; %bb.710:
	s_cmp_gt_i32 s47, 28
	s_cbranch_scc0 .LBB167_718
; %bb.711:
	;; [unrolled: 3-line block ×4, first 2 shown]
	s_mov_b32 s49, 0
	s_mov_b32 s0, -1
	s_cmp_eq_u32 s47, 46
	s_mov_b32 s48, 0
	s_cbranch_scc0 .LBB167_721
; %bb.714:
	v_and_b32_e32 v4, 0xffff, v1
	s_mov_b32 s48, -1
	s_mov_b32 s0, 0
	global_store_b32 v[2:3], v4, off
	s_branch .LBB167_721
.LBB167_715:
	s_mov_b32 s27, 0
	s_mov_b32 s0, s42
	s_branch .LBB167_452
.LBB167_716:
	s_mov_b32 s47, -1
	s_mov_b32 s48, 0
	s_mov_b32 s0, s42
	s_branch .LBB167_790
.LBB167_717:
	s_mov_b32 s49, -1
	s_mov_b32 s48, 0
	s_mov_b32 s0, s42
	s_branch .LBB167_748
.LBB167_718:
	s_mov_b32 s49, -1
	s_mov_b32 s48, 0
	s_mov_b32 s0, s42
	s_branch .LBB167_731
.LBB167_719:
	s_mov_b32 s49, -1
	s_mov_b32 s48, 0
	s_mov_b32 s0, s42
	s_branch .LBB167_727
.LBB167_720:
	s_mov_b32 s49, -1
	s_mov_b32 s48, 0
	s_mov_b32 s0, s42
.LBB167_721:
	s_and_b32 vcc_lo, exec_lo, s49
	s_cbranch_vccz .LBB167_726
; %bb.722:
	s_cmp_eq_u32 s47, 44
	s_mov_b32 s0, -1
	s_cbranch_scc0 .LBB167_726
; %bb.723:
	s_wait_xcnt 0x0
	v_and_b32_e32 v4, 0xffff, v1
	v_mov_b32_e32 v5, 0xff
	s_mov_b32 s48, exec_lo
	s_delay_alu instid0(VALU_DEP_2) | instskip(NEXT) | instid1(VALU_DEP_1)
	v_bfe_u32 v6, v4, 7, 8
	v_cmpx_ne_u32_e32 0xff, v6
	s_cbranch_execz .LBB167_725
; %bb.724:
	v_dual_lshlrev_b32 v5, 16, v4 :: v_dual_bitop2_b32 v7, 64, v4 bitop3:0x40
	v_lshrrev_b32_e32 v4, 7, v4
	s_delay_alu instid0(VALU_DEP_2) | instskip(NEXT) | instid1(VALU_DEP_3)
	v_and_or_b32 v5, 0x3f0000, v5, v6
	v_cmp_ne_u32_e32 vcc_lo, 0, v7
	s_delay_alu instid0(VALU_DEP_2) | instskip(SKIP_1) | instid1(SALU_CYCLE_1)
	v_cmp_ne_u32_e64 s0, 0, v5
	s_and_b32 s0, vcc_lo, s0
	v_cndmask_b32_e64 v5, 0, 1, s0
	s_delay_alu instid0(VALU_DEP_1)
	v_add_nc_u32_e32 v5, v4, v5
.LBB167_725:
	s_or_b32 exec_lo, exec_lo, s48
	s_mov_b32 s48, -1
	s_mov_b32 s0, 0
	global_store_b8 v[2:3], v5, off
.LBB167_726:
	s_mov_b32 s49, 0
.LBB167_727:
	s_delay_alu instid0(SALU_CYCLE_1)
	s_and_b32 vcc_lo, exec_lo, s49
	s_cbranch_vccz .LBB167_730
; %bb.728:
	s_cmp_eq_u32 s47, 29
	s_mov_b32 s0, -1
	s_cbranch_scc0 .LBB167_730
; %bb.729:
	s_wait_xcnt 0x0
	v_lshlrev_b32_e32 v4, 16, v1
	s_mov_b32 s48, -1
	s_mov_b32 s0, 0
	s_mov_b32 s49, 0
	s_delay_alu instid0(VALU_DEP_1) | instskip(NEXT) | instid1(VALU_DEP_1)
	v_trunc_f32_e32 v4, v4
	v_mul_f32_e32 v5, 0x2f800000, v4
	s_delay_alu instid0(VALU_DEP_1) | instskip(NEXT) | instid1(VALU_DEP_1)
	v_floor_f32_e32 v5, v5
	v_fmamk_f32 v4, v5, 0xcf800000, v4
	v_cvt_u32_f32_e32 v5, v5
	s_delay_alu instid0(VALU_DEP_2)
	v_cvt_u32_f32_e32 v4, v4
	global_store_b64 v[2:3], v[4:5], off
	s_branch .LBB167_731
.LBB167_730:
	s_mov_b32 s49, 0
.LBB167_731:
	s_delay_alu instid0(SALU_CYCLE_1)
	s_and_b32 vcc_lo, exec_lo, s49
	s_cbranch_vccz .LBB167_747
; %bb.732:
	s_cmp_lt_i32 s47, 27
	s_mov_b32 s48, -1
	s_cbranch_scc1 .LBB167_738
; %bb.733:
	s_cmp_gt_i32 s47, 27
	s_cbranch_scc0 .LBB167_735
; %bb.734:
	s_wait_xcnt 0x0
	v_lshlrev_b32_e32 v4, 16, v1
	s_mov_b32 s48, 0
	s_delay_alu instid0(VALU_DEP_1)
	v_cvt_u32_f32_e32 v4, v4
	global_store_b32 v[2:3], v4, off
.LBB167_735:
	s_and_not1_b32 vcc_lo, exec_lo, s48
	s_cbranch_vccnz .LBB167_737
; %bb.736:
	s_wait_xcnt 0x0
	v_lshlrev_b32_e32 v4, 16, v1
	s_delay_alu instid0(VALU_DEP_1)
	v_cvt_u32_f32_e32 v4, v4
	global_store_b16 v[2:3], v4, off
.LBB167_737:
	s_mov_b32 s48, 0
.LBB167_738:
	s_delay_alu instid0(SALU_CYCLE_1)
	s_and_not1_b32 vcc_lo, exec_lo, s48
	s_cbranch_vccnz .LBB167_746
; %bb.739:
	v_dual_mov_b32 v7, 0x80 :: v_dual_lshlrev_b32 v6, 16, v1
	s_mov_b32 s48, exec_lo
	s_wait_xcnt 0x0
	s_delay_alu instid0(VALU_DEP_1) | instskip(NEXT) | instid1(VALU_DEP_1)
	v_and_b32_e32 v5, 0x7fffffff, v6
	v_cmpx_gt_u32_e32 0x43800000, v5
	s_cbranch_execz .LBB167_745
; %bb.740:
	v_and_b32_e32 v4, 0xffff, v1
	v_cmp_lt_u32_e32 vcc_lo, 0x3bffffff, v5
	s_mov_b32 s49, 0
                                        ; implicit-def: $vgpr5
	s_and_saveexec_b32 s50, vcc_lo
	s_delay_alu instid0(SALU_CYCLE_1)
	s_xor_b32 s50, exec_lo, s50
	s_cbranch_execz .LBB167_880
; %bb.741:
	v_bfe_u32 v5, v4, 4, 1
	s_mov_b32 s49, exec_lo
	s_delay_alu instid0(VALU_DEP_1) | instskip(NEXT) | instid1(VALU_DEP_1)
	v_add3_u32 v5, v6, v5, 0x487ffff
                                        ; implicit-def: $vgpr6
	v_lshrrev_b32_e32 v5, 20, v5
	s_and_not1_saveexec_b32 s50, s50
	s_cbranch_execnz .LBB167_881
.LBB167_742:
	s_or_b32 exec_lo, exec_lo, s50
	v_mov_b32_e32 v7, 0
	s_and_saveexec_b32 s50, s49
.LBB167_743:
	v_lshrrev_b32_e32 v4, 8, v4
	s_delay_alu instid0(VALU_DEP_1)
	v_and_or_b32 v7, 0x80, v4, v5
.LBB167_744:
	s_or_b32 exec_lo, exec_lo, s50
.LBB167_745:
	s_delay_alu instid0(SALU_CYCLE_1)
	s_or_b32 exec_lo, exec_lo, s48
	global_store_b8 v[2:3], v7, off
.LBB167_746:
	s_mov_b32 s48, -1
.LBB167_747:
	s_mov_b32 s49, 0
.LBB167_748:
	s_delay_alu instid0(SALU_CYCLE_1)
	s_and_b32 vcc_lo, exec_lo, s49
	s_cbranch_vccz .LBB167_789
; %bb.749:
	s_cmp_gt_i32 s47, 22
	s_mov_b32 s49, -1
	s_cbranch_scc0 .LBB167_781
; %bb.750:
	s_cmp_lt_i32 s47, 24
	s_mov_b32 s48, -1
	s_cbranch_scc1 .LBB167_770
; %bb.751:
	s_cmp_gt_i32 s47, 24
	s_cbranch_scc0 .LBB167_759
; %bb.752:
	s_wait_xcnt 0x0
	v_dual_mov_b32 v7, 0x80 :: v_dual_lshlrev_b32 v6, 16, v1
	s_mov_b32 s48, exec_lo
	s_delay_alu instid0(VALU_DEP_1) | instskip(NEXT) | instid1(VALU_DEP_1)
	v_and_b32_e32 v5, 0x7fffffff, v6
	v_cmpx_gt_u32_e32 0x47800000, v5
	s_cbranch_execz .LBB167_758
; %bb.753:
	v_and_b32_e32 v4, 0xffff, v1
	v_cmp_lt_u32_e32 vcc_lo, 0x37ffffff, v5
	s_mov_b32 s49, 0
                                        ; implicit-def: $vgpr5
	s_and_saveexec_b32 s50, vcc_lo
	s_delay_alu instid0(SALU_CYCLE_1)
	s_xor_b32 s50, exec_lo, s50
	s_cbranch_execz .LBB167_1011
; %bb.754:
	v_bfe_u32 v5, v4, 5, 1
	s_mov_b32 s49, exec_lo
	s_delay_alu instid0(VALU_DEP_1) | instskip(NEXT) | instid1(VALU_DEP_1)
	v_add3_u32 v5, v6, v5, 0x88fffff
                                        ; implicit-def: $vgpr6
	v_lshrrev_b32_e32 v5, 21, v5
	s_and_not1_saveexec_b32 s50, s50
	s_cbranch_execnz .LBB167_1012
.LBB167_755:
	s_or_b32 exec_lo, exec_lo, s50
	v_mov_b32_e32 v7, 0
	s_and_saveexec_b32 s50, s49
.LBB167_756:
	v_lshrrev_b32_e32 v4, 8, v4
	s_delay_alu instid0(VALU_DEP_1)
	v_and_or_b32 v7, 0x80, v4, v5
.LBB167_757:
	s_or_b32 exec_lo, exec_lo, s50
.LBB167_758:
	s_delay_alu instid0(SALU_CYCLE_1)
	s_or_b32 exec_lo, exec_lo, s48
	s_mov_b32 s48, 0
	global_store_b8 v[2:3], v7, off
.LBB167_759:
	s_and_b32 vcc_lo, exec_lo, s48
	s_cbranch_vccz .LBB167_769
; %bb.760:
	v_lshlrev_b32_e32 v6, 16, v1
	s_wait_xcnt 0x0
	v_and_b32_e32 v4, 0xffff, v1
	s_mov_b32 s48, exec_lo
                                        ; implicit-def: $vgpr5
	s_delay_alu instid0(VALU_DEP_2) | instskip(NEXT) | instid1(VALU_DEP_1)
	v_and_b32_e32 v7, 0x7fffffff, v6
	v_cmpx_gt_u32_e32 0x43f00000, v7
	s_xor_b32 s48, exec_lo, s48
	s_cbranch_execz .LBB167_766
; %bb.761:
	s_mov_b32 s49, exec_lo
                                        ; implicit-def: $vgpr5
	v_cmpx_lt_u32_e32 0x3c7fffff, v7
	s_xor_b32 s49, exec_lo, s49
; %bb.762:
	v_bfe_u32 v5, v4, 4, 1
	s_delay_alu instid0(VALU_DEP_1) | instskip(NEXT) | instid1(VALU_DEP_1)
	v_add3_u32 v5, v6, v5, 0x407ffff
	v_and_b32_e32 v6, 0xff00000, v5
	v_lshrrev_b32_e32 v5, 20, v5
	s_delay_alu instid0(VALU_DEP_2) | instskip(NEXT) | instid1(VALU_DEP_2)
	v_cmp_ne_u32_e32 vcc_lo, 0x7f00000, v6
                                        ; implicit-def: $vgpr6
	v_cndmask_b32_e32 v5, 0x7e, v5, vcc_lo
; %bb.763:
	s_and_not1_saveexec_b32 s49, s49
; %bb.764:
	v_add_f32_e64 v5, 0x46800000, |v6|
; %bb.765:
	s_or_b32 exec_lo, exec_lo, s49
                                        ; implicit-def: $vgpr7
.LBB167_766:
	s_and_not1_saveexec_b32 s48, s48
; %bb.767:
	v_mov_b32_e32 v5, 0x7f
	v_cmp_lt_u32_e32 vcc_lo, 0x7f800000, v7
	s_delay_alu instid0(VALU_DEP_2)
	v_cndmask_b32_e32 v5, 0x7e, v5, vcc_lo
; %bb.768:
	s_or_b32 exec_lo, exec_lo, s48
	v_lshrrev_b32_e32 v4, 8, v4
	s_delay_alu instid0(VALU_DEP_1)
	v_and_or_b32 v4, 0x80, v4, v5
	global_store_b8 v[2:3], v4, off
.LBB167_769:
	s_mov_b32 s48, 0
.LBB167_770:
	s_delay_alu instid0(SALU_CYCLE_1)
	s_and_not1_b32 vcc_lo, exec_lo, s48
	s_cbranch_vccnz .LBB167_780
; %bb.771:
	v_lshlrev_b32_e32 v6, 16, v1
	s_wait_xcnt 0x0
	v_and_b32_e32 v4, 0xffff, v1
	s_mov_b32 s48, exec_lo
                                        ; implicit-def: $vgpr5
	s_delay_alu instid0(VALU_DEP_2) | instskip(NEXT) | instid1(VALU_DEP_1)
	v_and_b32_e32 v7, 0x7fffffff, v6
	v_cmpx_gt_u32_e32 0x47800000, v7
	s_xor_b32 s48, exec_lo, s48
	s_cbranch_execz .LBB167_777
; %bb.772:
	s_mov_b32 s49, exec_lo
                                        ; implicit-def: $vgpr5
	v_cmpx_lt_u32_e32 0x387fffff, v7
	s_xor_b32 s49, exec_lo, s49
; %bb.773:
	v_bfe_u32 v5, v4, 5, 1
	s_delay_alu instid0(VALU_DEP_1) | instskip(NEXT) | instid1(VALU_DEP_1)
	v_add3_u32 v5, v6, v5, 0x80fffff
                                        ; implicit-def: $vgpr6
	v_lshrrev_b32_e32 v5, 21, v5
; %bb.774:
	s_and_not1_saveexec_b32 s49, s49
; %bb.775:
	v_add_f32_e64 v5, 0x43000000, |v6|
; %bb.776:
	s_or_b32 exec_lo, exec_lo, s49
                                        ; implicit-def: $vgpr7
.LBB167_777:
	s_and_not1_saveexec_b32 s48, s48
; %bb.778:
	v_mov_b32_e32 v5, 0x7f
	v_cmp_lt_u32_e32 vcc_lo, 0x7f800000, v7
	s_delay_alu instid0(VALU_DEP_2)
	v_cndmask_b32_e32 v5, 0x7c, v5, vcc_lo
; %bb.779:
	s_or_b32 exec_lo, exec_lo, s48
	v_lshrrev_b32_e32 v4, 8, v4
	s_delay_alu instid0(VALU_DEP_1)
	v_and_or_b32 v4, 0x80, v4, v5
	global_store_b8 v[2:3], v4, off
.LBB167_780:
	s_mov_b32 s49, 0
	s_mov_b32 s48, -1
.LBB167_781:
	s_and_not1_b32 vcc_lo, exec_lo, s49
	s_cbranch_vccnz .LBB167_789
; %bb.782:
	s_cmp_gt_i32 s47, 14
	s_mov_b32 s49, -1
	s_cbranch_scc0 .LBB167_786
; %bb.783:
	s_cmp_eq_u32 s47, 15
	s_mov_b32 s0, -1
	s_cbranch_scc0 .LBB167_785
; %bb.784:
	s_mov_b32 s48, -1
	s_mov_b32 s0, 0
	global_store_b16 v[2:3], v1, off
.LBB167_785:
	s_mov_b32 s49, 0
.LBB167_786:
	s_delay_alu instid0(SALU_CYCLE_1)
	s_and_b32 vcc_lo, exec_lo, s49
	s_cbranch_vccz .LBB167_789
; %bb.787:
	s_cmp_eq_u32 s47, 11
	s_mov_b32 s0, -1
	s_cbranch_scc0 .LBB167_789
; %bb.788:
	s_wait_xcnt 0x0
	v_and_b32_e32 v4, 0x7fff, v1
	s_mov_b32 s0, 0
	s_mov_b32 s48, -1
	s_delay_alu instid0(VALU_DEP_1)
	v_cmp_ne_u16_e32 vcc_lo, 0, v4
	v_cndmask_b32_e64 v4, 0, 1, vcc_lo
	global_store_b8 v[2:3], v4, off
.LBB167_789:
	s_mov_b32 s47, 0
.LBB167_790:
	s_delay_alu instid0(SALU_CYCLE_1)
	s_and_b32 vcc_lo, exec_lo, s47
	s_cbranch_vccz .LBB167_829
; %bb.791:
	s_and_b32 s27, 0xffff, s27
	s_mov_b32 s47, -1
	s_cmp_lt_i32 s27, 5
	s_cbranch_scc1 .LBB167_812
; %bb.792:
	s_cmp_lt_i32 s27, 8
	s_cbranch_scc1 .LBB167_802
; %bb.793:
	;; [unrolled: 3-line block ×3, first 2 shown]
	s_cmp_gt_i32 s27, 9
	s_cbranch_scc0 .LBB167_796
; %bb.795:
	s_wait_xcnt 0x0
	v_dual_lshlrev_b32 v4, 16, v1 :: v_dual_mov_b32 v6, 0
	s_mov_b32 s47, 0
	s_delay_alu instid0(VALU_DEP_1) | instskip(NEXT) | instid1(VALU_DEP_2)
	v_cvt_f64_f32_e32 v[4:5], v4
	v_mov_b32_e32 v7, v6
	global_store_b128 v[2:3], v[4:7], off
.LBB167_796:
	s_and_not1_b32 vcc_lo, exec_lo, s47
	s_cbranch_vccnz .LBB167_798
; %bb.797:
	s_wait_xcnt 0x0
	v_dual_mov_b32 v5, 0 :: v_dual_lshlrev_b32 v4, 16, v1
	global_store_b64 v[2:3], v[4:5], off
.LBB167_798:
	s_mov_b32 s47, 0
.LBB167_799:
	s_delay_alu instid0(SALU_CYCLE_1)
	s_and_not1_b32 vcc_lo, exec_lo, s47
	s_cbranch_vccnz .LBB167_801
; %bb.800:
	s_wait_xcnt 0x0
	v_lshlrev_b32_e32 v4, 16, v1
	s_delay_alu instid0(VALU_DEP_1) | instskip(NEXT) | instid1(VALU_DEP_1)
	v_cvt_f16_f32_e32 v4, v4
	v_and_b32_e32 v4, 0xffff, v4
	global_store_b32 v[2:3], v4, off
.LBB167_801:
	s_mov_b32 s47, 0
.LBB167_802:
	s_delay_alu instid0(SALU_CYCLE_1)
	s_and_not1_b32 vcc_lo, exec_lo, s47
	s_cbranch_vccnz .LBB167_811
; %bb.803:
	s_cmp_lt_i32 s27, 6
	s_mov_b32 s47, -1
	s_cbranch_scc1 .LBB167_809
; %bb.804:
	s_cmp_gt_i32 s27, 6
	s_cbranch_scc0 .LBB167_806
; %bb.805:
	s_wait_xcnt 0x0
	v_lshlrev_b32_e32 v4, 16, v1
	s_mov_b32 s47, 0
	s_delay_alu instid0(VALU_DEP_1)
	v_cvt_f64_f32_e32 v[4:5], v4
	global_store_b64 v[2:3], v[4:5], off
.LBB167_806:
	s_and_not1_b32 vcc_lo, exec_lo, s47
	s_cbranch_vccnz .LBB167_808
; %bb.807:
	s_wait_xcnt 0x0
	v_lshlrev_b32_e32 v4, 16, v1
	global_store_b32 v[2:3], v4, off
.LBB167_808:
	s_mov_b32 s47, 0
.LBB167_809:
	s_delay_alu instid0(SALU_CYCLE_1)
	s_and_not1_b32 vcc_lo, exec_lo, s47
	s_cbranch_vccnz .LBB167_811
; %bb.810:
	s_wait_xcnt 0x0
	v_lshlrev_b32_e32 v4, 16, v1
	s_delay_alu instid0(VALU_DEP_1)
	v_cvt_f16_f32_e32 v4, v4
	global_store_b16 v[2:3], v4, off
.LBB167_811:
	s_mov_b32 s47, 0
.LBB167_812:
	s_delay_alu instid0(SALU_CYCLE_1)
	s_and_not1_b32 vcc_lo, exec_lo, s47
	s_cbranch_vccnz .LBB167_828
; %bb.813:
	s_cmp_lt_i32 s27, 2
	s_mov_b32 s47, -1
	s_cbranch_scc1 .LBB167_823
; %bb.814:
	s_cmp_lt_i32 s27, 3
	s_cbranch_scc1 .LBB167_820
; %bb.815:
	s_cmp_gt_i32 s27, 3
	s_cbranch_scc0 .LBB167_817
; %bb.816:
	s_wait_xcnt 0x0
	v_lshlrev_b32_e32 v4, 16, v1
	s_mov_b32 s47, 0
	s_delay_alu instid0(VALU_DEP_1) | instskip(NEXT) | instid1(VALU_DEP_1)
	v_trunc_f32_e32 v4, v4
	v_mul_f32_e64 v5, 0x2f800000, |v4|
	s_delay_alu instid0(VALU_DEP_1) | instskip(NEXT) | instid1(VALU_DEP_1)
	v_floor_f32_e32 v5, v5
	v_fma_f32 v6, 0xcf800000, v5, |v4|
	v_ashrrev_i32_e32 v4, 31, v4
	v_cvt_u32_f32_e32 v7, v5
	s_delay_alu instid0(VALU_DEP_3) | instskip(NEXT) | instid1(VALU_DEP_2)
	v_cvt_u32_f32_e32 v6, v6
	v_dual_mov_b32 v5, v4 :: v_dual_bitop2_b32 v7, v7, v4 bitop3:0x14
	s_delay_alu instid0(VALU_DEP_2) | instskip(NEXT) | instid1(VALU_DEP_1)
	v_xor_b32_e32 v6, v6, v4
	v_sub_nc_u64_e32 v[4:5], v[6:7], v[4:5]
	global_store_b64 v[2:3], v[4:5], off
.LBB167_817:
	s_and_not1_b32 vcc_lo, exec_lo, s47
	s_cbranch_vccnz .LBB167_819
; %bb.818:
	s_wait_xcnt 0x0
	v_lshlrev_b32_e32 v4, 16, v1
	s_delay_alu instid0(VALU_DEP_1)
	v_cvt_i32_f32_e32 v4, v4
	global_store_b32 v[2:3], v4, off
.LBB167_819:
	s_mov_b32 s47, 0
.LBB167_820:
	s_delay_alu instid0(SALU_CYCLE_1)
	s_and_not1_b32 vcc_lo, exec_lo, s47
	s_cbranch_vccnz .LBB167_822
; %bb.821:
	s_wait_xcnt 0x0
	v_lshlrev_b32_e32 v4, 16, v1
	s_delay_alu instid0(VALU_DEP_1)
	v_cvt_i32_f32_e32 v4, v4
	global_store_b16 v[2:3], v4, off
.LBB167_822:
	s_mov_b32 s47, 0
.LBB167_823:
	s_delay_alu instid0(SALU_CYCLE_1)
	s_and_not1_b32 vcc_lo, exec_lo, s47
	s_cbranch_vccnz .LBB167_828
; %bb.824:
	s_wait_xcnt 0x0
	v_lshlrev_b32_e32 v1, 16, v1
	s_cmp_gt_i32 s27, 0
	s_mov_b32 s27, -1
	s_cbranch_scc0 .LBB167_826
; %bb.825:
	s_delay_alu instid0(VALU_DEP_1)
	v_cvt_i32_f32_e32 v4, v1
	s_mov_b32 s27, 0
	global_store_b8 v[2:3], v4, off
.LBB167_826:
	s_and_not1_b32 vcc_lo, exec_lo, s27
	s_cbranch_vccnz .LBB167_828
; %bb.827:
	v_trunc_f32_e32 v1, v1
	s_wait_xcnt 0x0
	s_delay_alu instid0(VALU_DEP_1) | instskip(NEXT) | instid1(VALU_DEP_1)
	v_mul_f32_e64 v4, 0x2f800000, |v1|
	v_floor_f32_e32 v4, v4
	s_delay_alu instid0(VALU_DEP_1) | instskip(SKIP_1) | instid1(VALU_DEP_2)
	v_fma_f32 v4, 0xcf800000, v4, |v1|
	v_ashrrev_i32_e32 v1, 31, v1
	v_cvt_u32_f32_e32 v4, v4
	s_delay_alu instid0(VALU_DEP_1) | instskip(NEXT) | instid1(VALU_DEP_1)
	v_xor_b32_e32 v4, v4, v1
	v_sub_nc_u32_e32 v1, v4, v1
	global_store_b8 v[2:3], v1, off
.LBB167_828:
	s_mov_b32 s48, -1
.LBB167_829:
	s_delay_alu instid0(SALU_CYCLE_1)
	s_and_not1_b32 vcc_lo, exec_lo, s48
	s_cbranch_vccnz .LBB167_852
; %bb.830:
	v_add_nc_u32_e32 v0, 0x80, v0
	s_mov_b32 s27, -1
.LBB167_831:
	s_and_not1_b32 s47, s42, exec_lo
	s_and_b32 s0, s0, exec_lo
	s_and_not1_b32 s49, s43, exec_lo
	s_and_b32 s26, s26, exec_lo
	s_or_b32 s48, s47, s0
	s_or_b32 s49, s49, s26
	s_and_not1_b32 s0, s44, exec_lo
	s_and_b32 s24, s24, exec_lo
	s_and_not1_b32 s26, s45, exec_lo
	s_and_b32 s25, s25, exec_lo
	s_or_b32 s50, s0, s24
	s_or_b32 s47, s26, s25
	s_or_not1_b32 s24, s27, exec_lo
.LBB167_832:
	s_wait_xcnt 0x0
	s_or_b32 exec_lo, exec_lo, s51
	s_mov_b32 s0, 0
                                        ; implicit-def: $vgpr4
                                        ; implicit-def: $vgpr6
                                        ; implicit-def: $vgpr2
	s_and_saveexec_b32 s51, s24
	s_cbranch_execz .LBB167_1290
; %bb.833:
	s_mov_b32 s25, -1
	s_mov_b32 s0, s47
	s_mov_b32 s54, s50
	;; [unrolled: 1-line block ×4, first 2 shown]
	s_mov_b32 s52, exec_lo
	v_cmpx_gt_i32_e64 s40, v0
	s_cbranch_execz .LBB167_1254
; %bb.834:
	s_and_not1_b32 vcc_lo, exec_lo, s30
	s_cbranch_vccnz .LBB167_840
; %bb.835:
	s_and_not1_b32 vcc_lo, exec_lo, s41
	s_cbranch_vccnz .LBB167_841
; %bb.836:
	s_wait_loadcnt 0x0
	v_dual_mov_b32 v2, 0 :: v_dual_mov_b32 v1, v0
	v_dual_mov_b32 v6, 0 :: v_dual_mov_b32 v4, 0
	s_add_co_i32 s0, s39, 1
	s_mov_b64 s[24:25], 0xffffffffffffffe0
	s_and_b32 s0, s0, 30
	s_add_nc_u64 s[24:25], s[2:3], s[24:25]
	s_mov_b64 s[26:27], s[2:3]
.LBB167_837:                            ; =>This Inner Loop Header: Depth=1
	s_clause 0x1
	s_load_b128 s[56:59], s[26:27], 0x4
	s_load_b64 s[54:55], s[26:27], 0x14
	s_load_b32 s53, s[24:25], 0xe4
	s_add_co_i32 s0, s0, -2
	s_wait_xcnt 0x0
	s_add_nc_u64 s[26:27], s[26:27], 24
	s_cmp_eq_u32 s0, 0
	s_wait_kmcnt 0x0
	v_mul_hi_u32 v3, s57, v1
	s_delay_alu instid0(VALU_DEP_1) | instskip(NEXT) | instid1(VALU_DEP_1)
	v_add_nc_u32_e32 v3, v1, v3
	v_lshrrev_b32_e32 v3, s58, v3
	s_delay_alu instid0(VALU_DEP_1) | instskip(SKIP_2) | instid1(VALU_DEP_1)
	v_mul_hi_u32 v5, s54, v3
	v_mul_lo_u32 v7, v3, s56
	s_load_b96 s[56:58], s[24:25], 0xec
	v_dual_add_nc_u32 v5, v3, v5 :: v_dual_sub_nc_u32 v7, v1, v7
	s_delay_alu instid0(VALU_DEP_1) | instskip(SKIP_1) | instid1(VALU_DEP_2)
	v_lshrrev_b32_e32 v1, s55, v5
	s_load_b64 s[54:55], s[24:25], 0xfc
	v_mad_u32 v2, v7, s53, v2
	s_wait_xcnt 0x0
	s_add_nc_u64 s[24:25], s[24:25], 32
	v_mul_lo_u32 v5, v1, s59
	s_wait_kmcnt 0x0
	v_mad_u32 v4, v7, s57, v4
	v_mad_u32 v6, v7, s56, v6
	s_delay_alu instid0(VALU_DEP_3) | instskip(NEXT) | instid1(VALU_DEP_1)
	v_sub_nc_u32_e32 v3, v3, v5
	v_mad_u32 v2, v3, s58, v2
	s_delay_alu instid0(VALU_DEP_4) | instskip(NEXT) | instid1(VALU_DEP_4)
	v_mad_u32 v4, v3, s55, v4
	v_mad_u32 v6, v3, s54, v6
	s_cbranch_scc0 .LBB167_837
; %bb.838:
	s_bitcmp1_b32 s39, 0
	s_cselect_b32 s0, -1, 0
	s_delay_alu instid0(SALU_CYCLE_1)
	s_and_b32 vcc_lo, exec_lo, s0
	s_cbranch_vccnz .LBB167_842
; %bb.839:
	s_load_b96 s[56:58], s[26:27], 0x4
	s_load_b32 s0, s[24:25], 0xe4
	s_wait_xcnt 0x0
	s_load_b64 s[26:27], s[24:25], 0xec
	s_wait_kmcnt 0x0
	v_mul_hi_u32 v3, s57, v1
	s_delay_alu instid0(VALU_DEP_1) | instskip(NEXT) | instid1(VALU_DEP_1)
	v_add_nc_u32_e32 v3, v1, v3
	v_lshrrev_b32_e32 v3, s58, v3
	s_delay_alu instid0(VALU_DEP_1) | instskip(NEXT) | instid1(VALU_DEP_1)
	v_mul_lo_u32 v3, v3, s56
	v_sub_nc_u32_e32 v1, v1, v3
	s_delay_alu instid0(VALU_DEP_1)
	v_mad_u32 v2, v1, s0, v2
	v_mad_u32 v6, v1, s26, v6
	v_mad_u32 v4, v1, s27, v4
	s_branch .LBB167_842
.LBB167_840:
	s_mov_b32 s0, -1
                                        ; implicit-def: $vgpr4
                                        ; implicit-def: $vgpr6
                                        ; implicit-def: $vgpr2
	s_branch .LBB167_843
.LBB167_841:
	v_dual_mov_b32 v4, 0 :: v_dual_mov_b32 v6, 0
	v_mov_b32_e32 v2, 0
.LBB167_842:
	s_mov_b32 s0, 0
.LBB167_843:
	s_delay_alu instid0(SALU_CYCLE_1)
	s_and_not1_b32 vcc_lo, exec_lo, s0
	s_cbranch_vccnz .LBB167_846
; %bb.844:
	s_wait_loadcnt 0x0
	v_mov_b32_e32 v1, 0
	s_and_not1_b32 vcc_lo, exec_lo, s38
	s_delay_alu instid0(VALU_DEP_1) | instskip(NEXT) | instid1(VALU_DEP_1)
	v_mul_u64_e32 v[2:3], s[18:19], v[0:1]
	v_add_nc_u32_e32 v2, v0, v3
	s_delay_alu instid0(VALU_DEP_1) | instskip(NEXT) | instid1(VALU_DEP_1)
	v_lshrrev_b32_e32 v8, s10, v2
	v_mul_lo_u32 v2, v8, s8
	s_delay_alu instid0(VALU_DEP_1) | instskip(NEXT) | instid1(VALU_DEP_1)
	v_sub_nc_u32_e32 v3, v0, v2
	v_mul_lo_u32 v2, v3, s37
	v_mul_lo_u32 v4, v3, s13
	;; [unrolled: 1-line block ×3, first 2 shown]
	s_cbranch_vccnz .LBB167_846
; %bb.845:
	v_mov_b32_e32 v9, v1
	s_delay_alu instid0(VALU_DEP_1) | instskip(NEXT) | instid1(VALU_DEP_1)
	v_mul_u64_e32 v[10:11], s[22:23], v[8:9]
	v_add_nc_u32_e32 v1, v8, v11
	s_delay_alu instid0(VALU_DEP_1) | instskip(NEXT) | instid1(VALU_DEP_1)
	v_lshrrev_b32_e32 v1, s1, v1
	v_mul_lo_u32 v1, v1, s11
	s_delay_alu instid0(VALU_DEP_1) | instskip(NEXT) | instid1(VALU_DEP_1)
	v_sub_nc_u32_e32 v1, v8, v1
	v_mad_u32 v2, v1, s14, v2
	v_mad_u32 v6, v1, s20, v6
	;; [unrolled: 1-line block ×3, first 2 shown]
.LBB167_846:
	s_and_b32 s24, s36, 0xff
	s_delay_alu instid0(SALU_CYCLE_1)
	s_cmp_lt_i32 s24, 23
	s_cbranch_scc1 .LBB167_850
; %bb.847:
	s_and_b32 s26, 0xffff, s24
	s_delay_alu instid0(SALU_CYCLE_1)
	s_cmp_gt_i32 s26, 43
	s_cbranch_scc0 .LBB167_851
; %bb.848:
	s_cmp_gt_i32 s26, 45
	s_cbranch_scc0 .LBB167_853
; %bb.849:
	s_cmp_eq_u32 s26, 46
	s_mov_b32 s27, 0
	s_cselect_b32 s0, -1, 0
	s_or_b32 s25, s47, exec_lo
	s_branch .LBB167_854
.LBB167_850:
	s_mov_b32 s26, -1
	s_mov_b32 s0, 0
	s_mov_b32 s25, s47
	s_branch .LBB167_860
.LBB167_851:
	s_mov_b32 s27, -1
	s_mov_b32 s0, 0
	s_mov_b32 s25, s47
	s_branch .LBB167_857
.LBB167_852:
	s_mov_b32 s27, 0
	s_branch .LBB167_452
.LBB167_853:
	s_mov_b32 s27, -1
	s_mov_b32 s0, 0
	s_mov_b32 s25, s47
.LBB167_854:
	s_and_not1_b32 vcc_lo, exec_lo, s27
	s_cbranch_vccnz .LBB167_856
; %bb.855:
	s_cmp_eq_u32 s26, 44
	s_cselect_b32 s0, -1, 0
	s_cmp_lg_u32 s26, 44
	s_cselect_b32 s27, -1, 0
	s_and_not1_b32 s25, s25, exec_lo
	s_and_b32 s27, s27, exec_lo
	s_delay_alu instid0(SALU_CYCLE_1)
	s_or_b32 s25, s25, s27
.LBB167_856:
	s_mov_b32 s27, 0
.LBB167_857:
	s_delay_alu instid0(SALU_CYCLE_1)
	s_and_b32 vcc_lo, exec_lo, s27
	s_cbranch_vccz .LBB167_859
; %bb.858:
	s_cmp_lt_i32 s26, 30
	s_cselect_b32 s0, -1, 0
	s_cmp_gt_i32 s26, 29
	s_cselect_b32 s26, -1, 0
	s_and_not1_b32 s25, s25, exec_lo
	s_and_b32 s26, s26, exec_lo
	s_delay_alu instid0(SALU_CYCLE_1)
	s_or_b32 s25, s25, s26
.LBB167_859:
	s_mov_b32 s26, 0
.LBB167_860:
	s_delay_alu instid0(SALU_CYCLE_1)
	s_and_b32 vcc_lo, exec_lo, s26
	s_cbranch_vccz .LBB167_865
; %bb.861:
	s_and_b32 s24, 0xffff, s24
	s_mov_b32 s26, -1
	s_cmp_gt_i32 s24, 14
	s_cbranch_scc0 .LBB167_863
; %bb.862:
	s_cmp_eq_u32 s24, 15
	s_cselect_b32 s0, -1, 0
	s_cmp_lg_u32 s24, 15
	s_cselect_b32 s26, -1, 0
	s_and_not1_b32 s25, s25, exec_lo
	s_and_b32 s27, s26, exec_lo
	s_mov_b32 s26, 0
	s_or_b32 s25, s25, s27
.LBB167_863:
	s_and_not1_b32 vcc_lo, exec_lo, s26
	s_cbranch_vccnz .LBB167_865
; %bb.864:
	s_cmp_lt_i32 s24, 12
	s_cselect_b32 s0, -1, 0
	s_cmp_gt_i32 s24, 11
	s_cselect_b32 s24, -1, 0
	s_and_not1_b32 s25, s25, exec_lo
	s_and_b32 s24, s24, exec_lo
	s_delay_alu instid0(SALU_CYCLE_1)
	s_or_b32 s25, s25, s24
.LBB167_865:
	s_and_b32 vcc_lo, exec_lo, s0
	s_cbranch_vccz .LBB167_873
; %bb.866:
	v_mov_b32_e32 v7, 0
	s_and_b32 s0, s35, 0xff
	s_delay_alu instid0(SALU_CYCLE_1) | instskip(NEXT) | instid1(VALU_DEP_1)
	s_cmp_lt_i32 s0, 11
	v_add_nc_u64_e32 v[6:7], s[4:5], v[6:7]
	s_cbranch_scc1 .LBB167_875
; %bb.867:
	s_and_b32 s25, 0xffff, s0
	s_delay_alu instid0(SALU_CYCLE_1)
	s_cmp_gt_i32 s25, 25
	s_cbranch_scc0 .LBB167_876
; %bb.868:
	s_cmp_gt_i32 s25, 28
	s_cbranch_scc0 .LBB167_877
; %bb.869:
	;; [unrolled: 3-line block ×4, first 2 shown]
	s_cmp_eq_u32 s25, 46
	s_mov_b32 s27, 0
	s_cbranch_scc0 .LBB167_882
; %bb.872:
	s_wait_loadcnt 0x0
	global_load_b32 v1, v[6:7], off
	s_mov_b32 s26, -1
	s_mov_b32 s24, 0
	s_branch .LBB167_884
.LBB167_873:
	s_mov_b32 s27, 0
	s_mov_b32 s0, s48
	s_mov_b32 s26, s49
	s_mov_b32 s24, s50
.LBB167_874:
                                        ; implicit-def: $vgpr0
	s_branch .LBB167_1253
.LBB167_875:
	s_mov_b32 s25, -1
	s_mov_b32 s26, 0
	s_mov_b32 s24, s50
                                        ; implicit-def: $vgpr1
	s_branch .LBB167_949
.LBB167_876:
	s_mov_b32 s27, -1
	s_mov_b32 s26, 0
	s_mov_b32 s24, s50
                                        ; implicit-def: $vgpr1
	s_branch .LBB167_913
.LBB167_877:
	s_mov_b32 s27, -1
	s_mov_b32 s26, 0
	s_mov_b32 s24, s50
                                        ; implicit-def: $vgpr1
	s_branch .LBB167_894
.LBB167_878:
	s_mov_b32 s27, -1
	s_mov_b32 s26, 0
	s_mov_b32 s24, s50
                                        ; implicit-def: $vgpr1
	s_branch .LBB167_889
.LBB167_879:
	s_mov_b32 s27, -1
	s_mov_b32 s26, 0
	s_mov_b32 s24, s50
	s_branch .LBB167_883
.LBB167_880:
	s_and_not1_saveexec_b32 s50, s50
	s_cbranch_execz .LBB167_742
.LBB167_881:
	v_add_f32_e64 v5, 0x46000000, |v6|
	s_and_not1_b32 s49, s49, exec_lo
	s_delay_alu instid0(VALU_DEP_1) | instskip(NEXT) | instid1(VALU_DEP_1)
	v_and_b32_e32 v5, 0xff, v5
	v_cmp_ne_u32_e32 vcc_lo, 0, v5
	s_and_b32 s52, vcc_lo, exec_lo
	s_delay_alu instid0(SALU_CYCLE_1)
	s_or_b32 s49, s49, s52
	s_or_b32 exec_lo, exec_lo, s50
	v_mov_b32_e32 v7, 0
	s_and_saveexec_b32 s50, s49
	s_cbranch_execnz .LBB167_743
	s_branch .LBB167_744
.LBB167_882:
	s_mov_b32 s24, -1
	s_mov_b32 s26, 0
.LBB167_883:
                                        ; implicit-def: $vgpr1
.LBB167_884:
	s_and_b32 vcc_lo, exec_lo, s27
	s_cbranch_vccz .LBB167_888
; %bb.885:
	s_cmp_eq_u32 s25, 44
	s_cbranch_scc0 .LBB167_887
; %bb.886:
	s_wait_loadcnt 0x0
	global_load_u8 v1, v[6:7], off
	s_mov_b32 s24, 0
	s_mov_b32 s26, -1
	s_wait_loadcnt 0x0
	v_lshlrev_b32_e32 v3, 23, v1
	v_cmp_ne_u32_e32 vcc_lo, 0xff, v1
	s_delay_alu instid0(VALU_DEP_2) | instskip(SKIP_1) | instid1(VALU_DEP_2)
	v_cndmask_b32_e32 v3, 0x7f800001, v3, vcc_lo
	v_cmp_ne_u32_e32 vcc_lo, 0, v1
	v_cndmask_b32_e32 v1, 0x400000, v3, vcc_lo
	s_delay_alu instid0(VALU_DEP_1) | instskip(SKIP_1) | instid1(VALU_DEP_2)
	v_add_nc_u32_e32 v3, 0x7fff, v1
	v_cmp_o_f32_e32 vcc_lo, v1, v1
	v_lshrrev_b32_e32 v3, 16, v3
	s_delay_alu instid0(VALU_DEP_1)
	v_cndmask_b32_e32 v1, 0x7fc0, v3, vcc_lo
	s_branch .LBB167_888
.LBB167_887:
	s_mov_b32 s24, -1
                                        ; implicit-def: $vgpr1
.LBB167_888:
	s_mov_b32 s27, 0
.LBB167_889:
	s_delay_alu instid0(SALU_CYCLE_1)
	s_and_b32 vcc_lo, exec_lo, s27
	s_cbranch_vccz .LBB167_893
; %bb.890:
	s_cmp_eq_u32 s25, 29
	s_cbranch_scc0 .LBB167_892
; %bb.891:
	global_load_b64 v[8:9], v[6:7], off
	s_mov_b32 s26, -1
	s_mov_b32 s24, 0
	s_mov_b32 s27, 0
	s_wait_loadcnt 0x0
	v_clz_i32_u32_e32 v1, v9
	s_delay_alu instid0(VALU_DEP_1) | instskip(NEXT) | instid1(VALU_DEP_1)
	v_min_u32_e32 v1, 32, v1
	v_lshlrev_b64_e32 v[8:9], v1, v[8:9]
	v_sub_nc_u32_e32 v1, 32, v1
	s_delay_alu instid0(VALU_DEP_2) | instskip(NEXT) | instid1(VALU_DEP_1)
	v_min_u32_e32 v3, 1, v8
	v_or_b32_e32 v3, v9, v3
	s_delay_alu instid0(VALU_DEP_1) | instskip(NEXT) | instid1(VALU_DEP_1)
	v_cvt_f32_u32_e32 v3, v3
	v_ldexp_f32 v1, v3, v1
	s_delay_alu instid0(VALU_DEP_1) | instskip(NEXT) | instid1(VALU_DEP_1)
	v_bfe_u32 v3, v1, 16, 1
	v_add3_u32 v1, v1, v3, 0x7fff
	s_delay_alu instid0(VALU_DEP_1)
	v_lshrrev_b32_e32 v1, 16, v1
	s_branch .LBB167_894
.LBB167_892:
	s_mov_b32 s24, -1
                                        ; implicit-def: $vgpr1
.LBB167_893:
	s_mov_b32 s27, 0
.LBB167_894:
	s_delay_alu instid0(SALU_CYCLE_1)
	s_and_b32 vcc_lo, exec_lo, s27
	s_cbranch_vccz .LBB167_912
; %bb.895:
	s_cmp_lt_i32 s25, 27
	s_cbranch_scc1 .LBB167_898
; %bb.896:
	s_cmp_gt_i32 s25, 27
	s_cbranch_scc0 .LBB167_899
; %bb.897:
	s_wait_loadcnt 0x0
	global_load_b32 v1, v[6:7], off
	s_mov_b32 s26, 0
	s_wait_loadcnt 0x0
	v_cvt_f32_u32_e32 v1, v1
	s_delay_alu instid0(VALU_DEP_1) | instskip(NEXT) | instid1(VALU_DEP_1)
	v_bfe_u32 v3, v1, 16, 1
	v_add3_u32 v1, v1, v3, 0x7fff
	s_delay_alu instid0(VALU_DEP_1)
	v_lshrrev_b32_e32 v1, 16, v1
	s_branch .LBB167_900
.LBB167_898:
	s_mov_b32 s26, -1
                                        ; implicit-def: $vgpr1
	s_branch .LBB167_903
.LBB167_899:
	s_mov_b32 s26, -1
                                        ; implicit-def: $vgpr1
.LBB167_900:
	s_delay_alu instid0(SALU_CYCLE_1)
	s_and_not1_b32 vcc_lo, exec_lo, s26
	s_cbranch_vccnz .LBB167_902
; %bb.901:
	s_wait_loadcnt 0x0
	global_load_u16 v1, v[6:7], off
	s_wait_loadcnt 0x0
	v_cvt_f32_u32_e32 v1, v1
	s_delay_alu instid0(VALU_DEP_1) | instskip(NEXT) | instid1(VALU_DEP_1)
	v_bfe_u32 v3, v1, 16, 1
	v_add3_u32 v1, v1, v3, 0x7fff
	s_delay_alu instid0(VALU_DEP_1)
	v_lshrrev_b32_e32 v1, 16, v1
.LBB167_902:
	s_mov_b32 s26, 0
.LBB167_903:
	s_delay_alu instid0(SALU_CYCLE_1)
	s_and_not1_b32 vcc_lo, exec_lo, s26
	s_cbranch_vccnz .LBB167_911
; %bb.904:
	s_wait_loadcnt 0x0
	global_load_u8 v1, v[6:7], off
	s_mov_b32 s26, 0
	s_mov_b32 s27, exec_lo
	s_wait_loadcnt 0x0
	v_cmpx_lt_i16_e32 0x7f, v1
	s_xor_b32 s27, exec_lo, s27
	s_cbranch_execz .LBB167_925
; %bb.905:
	s_mov_b32 s26, -1
	s_mov_b32 s53, exec_lo
	v_cmpx_eq_u16_e32 0x80, v1
; %bb.906:
	s_xor_b32 s26, exec_lo, -1
; %bb.907:
	s_or_b32 exec_lo, exec_lo, s53
	s_delay_alu instid0(SALU_CYCLE_1)
	s_and_b32 s26, s26, exec_lo
	s_or_saveexec_b32 s27, s27
	v_mov_b32_e32 v3, 0x7f800001
	s_xor_b32 exec_lo, exec_lo, s27
	s_cbranch_execnz .LBB167_926
.LBB167_908:
	s_or_b32 exec_lo, exec_lo, s27
	s_and_saveexec_b32 s27, s26
	s_cbranch_execz .LBB167_910
.LBB167_909:
	v_and_b32_e32 v3, 0xffff, v1
	s_delay_alu instid0(VALU_DEP_1) | instskip(SKIP_1) | instid1(VALU_DEP_2)
	v_and_b32_e32 v5, 7, v3
	v_bfe_u32 v10, v3, 3, 4
	v_clz_i32_u32_e32 v8, v5
	s_delay_alu instid0(VALU_DEP_2) | instskip(NEXT) | instid1(VALU_DEP_2)
	v_cmp_eq_u32_e32 vcc_lo, 0, v10
	v_min_u32_e32 v8, 32, v8
	s_delay_alu instid0(VALU_DEP_1) | instskip(NEXT) | instid1(VALU_DEP_1)
	v_subrev_nc_u32_e32 v9, 28, v8
	v_dual_lshlrev_b32 v3, v9, v3 :: v_dual_sub_nc_u32 v8, 29, v8
	s_delay_alu instid0(VALU_DEP_1) | instskip(NEXT) | instid1(VALU_DEP_1)
	v_dual_lshlrev_b32 v1, 24, v1 :: v_dual_bitop2_b32 v3, 7, v3 bitop3:0x40
	v_dual_cndmask_b32 v8, v10, v8 :: v_dual_cndmask_b32 v3, v5, v3
	s_delay_alu instid0(VALU_DEP_2) | instskip(NEXT) | instid1(VALU_DEP_2)
	v_and_b32_e32 v1, 0x80000000, v1
	v_lshl_add_u32 v5, v8, 23, 0x3b800000
	s_delay_alu instid0(VALU_DEP_3) | instskip(NEXT) | instid1(VALU_DEP_1)
	v_lshlrev_b32_e32 v3, 20, v3
	v_or3_b32 v3, v1, v5, v3
.LBB167_910:
	s_or_b32 exec_lo, exec_lo, s27
	s_delay_alu instid0(VALU_DEP_1) | instskip(SKIP_1) | instid1(VALU_DEP_2)
	v_bfe_u32 v1, v3, 16, 1
	v_cmp_o_f32_e32 vcc_lo, v3, v3
	v_add3_u32 v1, v3, v1, 0x7fff
	s_delay_alu instid0(VALU_DEP_1) | instskip(NEXT) | instid1(VALU_DEP_1)
	v_lshrrev_b32_e32 v1, 16, v1
	v_cndmask_b32_e32 v1, 0x7fc0, v1, vcc_lo
.LBB167_911:
	s_mov_b32 s26, -1
.LBB167_912:
	s_mov_b32 s27, 0
.LBB167_913:
	s_delay_alu instid0(SALU_CYCLE_1)
	s_and_b32 vcc_lo, exec_lo, s27
	s_cbranch_vccz .LBB167_948
; %bb.914:
	s_cmp_gt_i32 s25, 22
	s_cbranch_scc0 .LBB167_924
; %bb.915:
	s_cmp_lt_i32 s25, 24
	s_cbranch_scc1 .LBB167_927
; %bb.916:
	s_cmp_gt_i32 s25, 24
	s_cbranch_scc0 .LBB167_928
; %bb.917:
	s_wait_loadcnt 0x0
	global_load_u8 v1, v[6:7], off
	s_mov_b32 s26, 0
	s_mov_b32 s27, exec_lo
	s_wait_loadcnt 0x0
	v_cmpx_lt_i16_e32 0x7f, v1
	s_xor_b32 s27, exec_lo, s27
	s_cbranch_execz .LBB167_940
; %bb.918:
	s_mov_b32 s26, -1
	s_mov_b32 s53, exec_lo
	v_cmpx_eq_u16_e32 0x80, v1
; %bb.919:
	s_xor_b32 s26, exec_lo, -1
; %bb.920:
	s_or_b32 exec_lo, exec_lo, s53
	s_delay_alu instid0(SALU_CYCLE_1)
	s_and_b32 s26, s26, exec_lo
	s_or_saveexec_b32 s27, s27
	v_mov_b32_e32 v3, 0x7f800001
	s_xor_b32 exec_lo, exec_lo, s27
	s_cbranch_execnz .LBB167_941
.LBB167_921:
	s_or_b32 exec_lo, exec_lo, s27
	s_and_saveexec_b32 s27, s26
	s_cbranch_execz .LBB167_923
.LBB167_922:
	v_and_b32_e32 v3, 0xffff, v1
	s_delay_alu instid0(VALU_DEP_1) | instskip(SKIP_1) | instid1(VALU_DEP_2)
	v_and_b32_e32 v5, 3, v3
	v_bfe_u32 v10, v3, 2, 5
	v_clz_i32_u32_e32 v8, v5
	s_delay_alu instid0(VALU_DEP_2) | instskip(NEXT) | instid1(VALU_DEP_2)
	v_cmp_eq_u32_e32 vcc_lo, 0, v10
	v_min_u32_e32 v8, 32, v8
	s_delay_alu instid0(VALU_DEP_1) | instskip(NEXT) | instid1(VALU_DEP_1)
	v_subrev_nc_u32_e32 v9, 29, v8
	v_dual_lshlrev_b32 v3, v9, v3 :: v_dual_sub_nc_u32 v8, 30, v8
	s_delay_alu instid0(VALU_DEP_1) | instskip(NEXT) | instid1(VALU_DEP_1)
	v_dual_lshlrev_b32 v1, 24, v1 :: v_dual_bitop2_b32 v3, 3, v3 bitop3:0x40
	v_dual_cndmask_b32 v8, v10, v8 :: v_dual_cndmask_b32 v3, v5, v3
	s_delay_alu instid0(VALU_DEP_2) | instskip(NEXT) | instid1(VALU_DEP_2)
	v_and_b32_e32 v1, 0x80000000, v1
	v_lshl_add_u32 v5, v8, 23, 0x37800000
	s_delay_alu instid0(VALU_DEP_3) | instskip(NEXT) | instid1(VALU_DEP_1)
	v_lshlrev_b32_e32 v3, 21, v3
	v_or3_b32 v3, v1, v5, v3
.LBB167_923:
	s_or_b32 exec_lo, exec_lo, s27
	s_delay_alu instid0(VALU_DEP_1) | instskip(SKIP_2) | instid1(VALU_DEP_2)
	v_bfe_u32 v1, v3, 16, 1
	v_cmp_o_f32_e32 vcc_lo, v3, v3
	s_mov_b32 s26, 0
	v_add3_u32 v1, v3, v1, 0x7fff
	s_delay_alu instid0(VALU_DEP_1) | instskip(NEXT) | instid1(VALU_DEP_1)
	v_lshrrev_b32_e32 v1, 16, v1
	v_cndmask_b32_e32 v1, 0x7fc0, v1, vcc_lo
	s_branch .LBB167_929
.LBB167_924:
	s_mov_b32 s27, -1
                                        ; implicit-def: $vgpr1
	s_branch .LBB167_935
.LBB167_925:
	s_or_saveexec_b32 s27, s27
	v_mov_b32_e32 v3, 0x7f800001
	s_xor_b32 exec_lo, exec_lo, s27
	s_cbranch_execz .LBB167_908
.LBB167_926:
	v_cmp_ne_u16_e32 vcc_lo, 0, v1
	v_mov_b32_e32 v3, 0
	s_and_not1_b32 s26, s26, exec_lo
	s_and_b32 s53, vcc_lo, exec_lo
	s_delay_alu instid0(SALU_CYCLE_1)
	s_or_b32 s26, s26, s53
	s_or_b32 exec_lo, exec_lo, s27
	s_and_saveexec_b32 s27, s26
	s_cbranch_execnz .LBB167_909
	s_branch .LBB167_910
.LBB167_927:
	s_mov_b32 s26, -1
                                        ; implicit-def: $vgpr1
	s_branch .LBB167_932
.LBB167_928:
	s_mov_b32 s26, -1
                                        ; implicit-def: $vgpr1
.LBB167_929:
	s_delay_alu instid0(SALU_CYCLE_1)
	s_and_b32 vcc_lo, exec_lo, s26
	s_cbranch_vccz .LBB167_931
; %bb.930:
	s_wait_loadcnt 0x0
	global_load_u8 v1, v[6:7], off
	s_wait_loadcnt 0x0
	v_lshlrev_b32_e32 v1, 24, v1
	s_delay_alu instid0(VALU_DEP_1) | instskip(NEXT) | instid1(VALU_DEP_1)
	v_and_b32_e32 v3, 0x7f000000, v1
	v_clz_i32_u32_e32 v5, v3
	v_add_nc_u32_e32 v9, 0x1000000, v3
	v_cmp_ne_u32_e32 vcc_lo, 0, v3
	s_delay_alu instid0(VALU_DEP_3) | instskip(NEXT) | instid1(VALU_DEP_1)
	v_min_u32_e32 v5, 32, v5
	v_sub_nc_u32_e64 v5, v5, 4 clamp
	s_delay_alu instid0(VALU_DEP_1) | instskip(NEXT) | instid1(VALU_DEP_1)
	v_dual_lshlrev_b32 v8, v5, v3 :: v_dual_lshlrev_b32 v5, 23, v5
	v_lshrrev_b32_e32 v8, 4, v8
	s_delay_alu instid0(VALU_DEP_1) | instskip(SKIP_1) | instid1(VALU_DEP_2)
	v_sub_nc_u32_e32 v5, v8, v5
	v_ashrrev_i32_e32 v8, 8, v9
	v_add_nc_u32_e32 v5, 0x3c000000, v5
	s_delay_alu instid0(VALU_DEP_1) | instskip(NEXT) | instid1(VALU_DEP_1)
	v_and_or_b32 v5, 0x7f800000, v8, v5
	v_cndmask_b32_e32 v3, 0, v5, vcc_lo
	s_delay_alu instid0(VALU_DEP_1) | instskip(SKIP_1) | instid1(VALU_DEP_2)
	v_and_or_b32 v1, 0x80000000, v1, v3
	v_bfe_u32 v3, v3, 16, 1
	v_cmp_o_f32_e32 vcc_lo, v1, v1
	s_delay_alu instid0(VALU_DEP_2) | instskip(NEXT) | instid1(VALU_DEP_1)
	v_add3_u32 v3, v1, v3, 0x7fff
	v_lshrrev_b32_e32 v3, 16, v3
	s_delay_alu instid0(VALU_DEP_1)
	v_cndmask_b32_e32 v1, 0x7fc0, v3, vcc_lo
.LBB167_931:
	s_mov_b32 s26, 0
.LBB167_932:
	s_delay_alu instid0(SALU_CYCLE_1)
	s_and_not1_b32 vcc_lo, exec_lo, s26
	s_cbranch_vccnz .LBB167_934
; %bb.933:
	s_wait_loadcnt 0x0
	global_load_u8 v1, v[6:7], off
	s_wait_loadcnt 0x0
	v_lshlrev_b32_e32 v3, 25, v1
	v_lshlrev_b16 v1, 8, v1
	s_delay_alu instid0(VALU_DEP_1) | instskip(SKIP_1) | instid1(VALU_DEP_2)
	v_and_or_b32 v8, 0x7f00, v1, 0.5
	v_bfe_i32 v1, v1, 0, 16
	v_dual_add_f32 v8, -0.5, v8 :: v_dual_lshrrev_b32 v5, 4, v3
	v_cmp_gt_u32_e32 vcc_lo, 0x8000000, v3
	s_delay_alu instid0(VALU_DEP_2) | instskip(NEXT) | instid1(VALU_DEP_1)
	v_or_b32_e32 v5, 0x70000000, v5
	v_mul_f32_e32 v5, 0x7800000, v5
	s_delay_alu instid0(VALU_DEP_1) | instskip(NEXT) | instid1(VALU_DEP_1)
	v_cndmask_b32_e32 v3, v5, v8, vcc_lo
	v_and_or_b32 v1, 0x80000000, v1, v3
	v_bfe_u32 v3, v3, 16, 1
	s_delay_alu instid0(VALU_DEP_2) | instskip(NEXT) | instid1(VALU_DEP_2)
	v_cmp_o_f32_e32 vcc_lo, v1, v1
	v_add3_u32 v3, v1, v3, 0x7fff
	s_delay_alu instid0(VALU_DEP_1) | instskip(NEXT) | instid1(VALU_DEP_1)
	v_lshrrev_b32_e32 v3, 16, v3
	v_cndmask_b32_e32 v1, 0x7fc0, v3, vcc_lo
.LBB167_934:
	s_mov_b32 s27, 0
	s_mov_b32 s26, -1
.LBB167_935:
	s_and_not1_b32 vcc_lo, exec_lo, s27
	s_cbranch_vccnz .LBB167_948
; %bb.936:
	s_cmp_gt_i32 s25, 14
	s_cbranch_scc0 .LBB167_939
; %bb.937:
	s_cmp_eq_u32 s25, 15
	s_cbranch_scc0 .LBB167_942
; %bb.938:
	s_wait_loadcnt 0x0
	global_load_u16 v1, v[6:7], off
	s_mov_b32 s26, -1
	s_mov_b32 s24, 0
	s_branch .LBB167_943
.LBB167_939:
	s_mov_b32 s27, -1
                                        ; implicit-def: $vgpr1
	s_branch .LBB167_944
.LBB167_940:
	s_or_saveexec_b32 s27, s27
	v_mov_b32_e32 v3, 0x7f800001
	s_xor_b32 exec_lo, exec_lo, s27
	s_cbranch_execz .LBB167_921
.LBB167_941:
	v_cmp_ne_u16_e32 vcc_lo, 0, v1
	v_mov_b32_e32 v3, 0
	s_and_not1_b32 s26, s26, exec_lo
	s_and_b32 s53, vcc_lo, exec_lo
	s_delay_alu instid0(SALU_CYCLE_1)
	s_or_b32 s26, s26, s53
	s_or_b32 exec_lo, exec_lo, s27
	s_and_saveexec_b32 s27, s26
	s_cbranch_execnz .LBB167_922
	s_branch .LBB167_923
.LBB167_942:
	s_mov_b32 s24, -1
                                        ; implicit-def: $vgpr1
.LBB167_943:
	s_mov_b32 s27, 0
.LBB167_944:
	s_delay_alu instid0(SALU_CYCLE_1)
	s_and_b32 vcc_lo, exec_lo, s27
	s_cbranch_vccz .LBB167_948
; %bb.945:
	s_cmp_eq_u32 s25, 11
	s_cbranch_scc0 .LBB167_947
; %bb.946:
	s_wait_loadcnt 0x0
	global_load_u8 v1, v[6:7], off
	s_mov_b32 s24, 0
	s_mov_b32 s26, -1
	s_wait_loadcnt 0x0
	v_cmp_ne_u16_e32 vcc_lo, 0, v1
	v_cndmask_b32_e64 v1, 0, 1.0, vcc_lo
	s_delay_alu instid0(VALU_DEP_1)
	v_lshrrev_b32_e32 v1, 16, v1
	s_branch .LBB167_948
.LBB167_947:
	s_mov_b32 s24, -1
                                        ; implicit-def: $vgpr1
.LBB167_948:
	s_mov_b32 s25, 0
.LBB167_949:
	s_delay_alu instid0(SALU_CYCLE_1)
	s_and_b32 vcc_lo, exec_lo, s25
	s_cbranch_vccz .LBB167_998
; %bb.950:
	s_and_b32 s0, 0xffff, s0
	s_delay_alu instid0(SALU_CYCLE_1)
	s_cmp_lt_i32 s0, 5
	s_cbranch_scc1 .LBB167_955
; %bb.951:
	s_cmp_lt_i32 s0, 8
	s_cbranch_scc1 .LBB167_956
; %bb.952:
	;; [unrolled: 3-line block ×3, first 2 shown]
	s_cmp_gt_i32 s0, 9
	s_cbranch_scc0 .LBB167_958
; %bb.954:
	global_load_b64 v[8:9], v[6:7], off
	s_mov_b32 s25, 0
	s_wait_loadcnt 0x0
	v_cvt_f32_f64_e32 v1, v[8:9]
	s_delay_alu instid0(VALU_DEP_1) | instskip(SKIP_1) | instid1(VALU_DEP_2)
	v_bfe_u32 v3, v1, 16, 1
	v_cmp_o_f32_e32 vcc_lo, v1, v1
	v_add3_u32 v3, v1, v3, 0x7fff
	s_delay_alu instid0(VALU_DEP_1) | instskip(NEXT) | instid1(VALU_DEP_1)
	v_lshrrev_b32_e32 v3, 16, v3
	v_cndmask_b32_e32 v1, 0x7fc0, v3, vcc_lo
	s_branch .LBB167_959
.LBB167_955:
	s_mov_b32 s25, -1
                                        ; implicit-def: $vgpr1
	s_branch .LBB167_977
.LBB167_956:
	s_mov_b32 s25, -1
                                        ; implicit-def: $vgpr1
	s_branch .LBB167_965
.LBB167_957:
	s_mov_b32 s25, -1
                                        ; implicit-def: $vgpr1
	s_branch .LBB167_962
.LBB167_958:
	s_mov_b32 s25, -1
                                        ; implicit-def: $vgpr1
.LBB167_959:
	s_delay_alu instid0(SALU_CYCLE_1)
	s_and_not1_b32 vcc_lo, exec_lo, s25
	s_cbranch_vccnz .LBB167_961
; %bb.960:
	s_wait_loadcnt 0x0
	global_load_b32 v1, v[6:7], off
	s_wait_loadcnt 0x0
	v_bfe_u32 v3, v1, 16, 1
	v_cmp_o_f32_e32 vcc_lo, v1, v1
	s_delay_alu instid0(VALU_DEP_2) | instskip(NEXT) | instid1(VALU_DEP_1)
	v_add3_u32 v3, v1, v3, 0x7fff
	v_lshrrev_b32_e32 v3, 16, v3
	s_delay_alu instid0(VALU_DEP_1)
	v_cndmask_b32_e32 v1, 0x7fc0, v3, vcc_lo
.LBB167_961:
	s_mov_b32 s25, 0
.LBB167_962:
	s_delay_alu instid0(SALU_CYCLE_1)
	s_and_not1_b32 vcc_lo, exec_lo, s25
	s_cbranch_vccnz .LBB167_964
; %bb.963:
	s_wait_loadcnt 0x0
	global_load_b32 v1, v[6:7], off
	s_wait_loadcnt 0x0
	v_cvt_f32_f16_e32 v3, v1
	v_cmp_o_f16_e32 vcc_lo, v1, v1
	s_delay_alu instid0(VALU_DEP_2) | instskip(NEXT) | instid1(VALU_DEP_1)
	v_bfe_u32 v5, v3, 16, 1
	v_add3_u32 v3, v3, v5, 0x7fff
	s_delay_alu instid0(VALU_DEP_1) | instskip(NEXT) | instid1(VALU_DEP_1)
	v_lshrrev_b32_e32 v3, 16, v3
	v_cndmask_b32_e32 v1, 0x7fc0, v3, vcc_lo
.LBB167_964:
	s_mov_b32 s25, 0
.LBB167_965:
	s_delay_alu instid0(SALU_CYCLE_1)
	s_and_not1_b32 vcc_lo, exec_lo, s25
	s_cbranch_vccnz .LBB167_976
; %bb.966:
	s_cmp_lt_i32 s0, 6
	s_cbranch_scc1 .LBB167_969
; %bb.967:
	s_cmp_gt_i32 s0, 6
	s_cbranch_scc0 .LBB167_970
; %bb.968:
	global_load_b64 v[8:9], v[6:7], off
	s_mov_b32 s25, 0
	s_wait_loadcnt 0x0
	v_cvt_f32_f64_e32 v1, v[8:9]
	s_delay_alu instid0(VALU_DEP_1) | instskip(SKIP_1) | instid1(VALU_DEP_2)
	v_bfe_u32 v3, v1, 16, 1
	v_cmp_o_f32_e32 vcc_lo, v1, v1
	v_add3_u32 v3, v1, v3, 0x7fff
	s_delay_alu instid0(VALU_DEP_1) | instskip(NEXT) | instid1(VALU_DEP_1)
	v_lshrrev_b32_e32 v3, 16, v3
	v_cndmask_b32_e32 v1, 0x7fc0, v3, vcc_lo
	s_branch .LBB167_971
.LBB167_969:
	s_mov_b32 s25, -1
                                        ; implicit-def: $vgpr1
	s_branch .LBB167_974
.LBB167_970:
	s_mov_b32 s25, -1
                                        ; implicit-def: $vgpr1
.LBB167_971:
	s_delay_alu instid0(SALU_CYCLE_1)
	s_and_not1_b32 vcc_lo, exec_lo, s25
	s_cbranch_vccnz .LBB167_973
; %bb.972:
	s_wait_loadcnt 0x0
	global_load_b32 v1, v[6:7], off
	s_wait_loadcnt 0x0
	v_bfe_u32 v3, v1, 16, 1
	v_cmp_o_f32_e32 vcc_lo, v1, v1
	s_delay_alu instid0(VALU_DEP_2) | instskip(NEXT) | instid1(VALU_DEP_1)
	v_add3_u32 v3, v1, v3, 0x7fff
	v_lshrrev_b32_e32 v3, 16, v3
	s_delay_alu instid0(VALU_DEP_1)
	v_cndmask_b32_e32 v1, 0x7fc0, v3, vcc_lo
.LBB167_973:
	s_mov_b32 s25, 0
.LBB167_974:
	s_delay_alu instid0(SALU_CYCLE_1)
	s_and_not1_b32 vcc_lo, exec_lo, s25
	s_cbranch_vccnz .LBB167_976
; %bb.975:
	s_wait_loadcnt 0x0
	global_load_u16 v1, v[6:7], off
	s_wait_loadcnt 0x0
	v_cvt_f32_f16_e32 v3, v1
	v_cmp_o_f16_e32 vcc_lo, v1, v1
	s_delay_alu instid0(VALU_DEP_2) | instskip(NEXT) | instid1(VALU_DEP_1)
	v_bfe_u32 v5, v3, 16, 1
	v_add3_u32 v3, v3, v5, 0x7fff
	s_delay_alu instid0(VALU_DEP_1) | instskip(NEXT) | instid1(VALU_DEP_1)
	v_lshrrev_b32_e32 v3, 16, v3
	v_cndmask_b32_e32 v1, 0x7fc0, v3, vcc_lo
.LBB167_976:
	s_mov_b32 s25, 0
.LBB167_977:
	s_delay_alu instid0(SALU_CYCLE_1)
	s_and_not1_b32 vcc_lo, exec_lo, s25
	s_cbranch_vccnz .LBB167_997
; %bb.978:
	s_cmp_lt_i32 s0, 2
	s_cbranch_scc1 .LBB167_982
; %bb.979:
	s_cmp_lt_i32 s0, 3
	s_cbranch_scc1 .LBB167_983
; %bb.980:
	s_cmp_gt_i32 s0, 3
	s_cbranch_scc0 .LBB167_984
; %bb.981:
	global_load_b64 v[8:9], v[6:7], off
	s_mov_b32 s25, 0
	s_wait_loadcnt 0x0
	v_xor_b32_e32 v1, v8, v9
	v_cls_i32_e32 v3, v9
	s_delay_alu instid0(VALU_DEP_2) | instskip(NEXT) | instid1(VALU_DEP_1)
	v_ashrrev_i32_e32 v1, 31, v1
	v_add_nc_u32_e32 v1, 32, v1
	s_delay_alu instid0(VALU_DEP_1) | instskip(NEXT) | instid1(VALU_DEP_1)
	v_add_min_u32_e64 v1, v3, -1, v1
	v_lshlrev_b64_e32 v[8:9], v1, v[8:9]
	v_sub_nc_u32_e32 v1, 32, v1
	s_delay_alu instid0(VALU_DEP_2) | instskip(NEXT) | instid1(VALU_DEP_1)
	v_min_u32_e32 v3, 1, v8
	v_or_b32_e32 v3, v9, v3
	s_delay_alu instid0(VALU_DEP_1) | instskip(NEXT) | instid1(VALU_DEP_1)
	v_cvt_f32_i32_e32 v3, v3
	v_ldexp_f32 v1, v3, v1
	s_delay_alu instid0(VALU_DEP_1) | instskip(NEXT) | instid1(VALU_DEP_1)
	v_bfe_u32 v3, v1, 16, 1
	v_add3_u32 v1, v1, v3, 0x7fff
	s_delay_alu instid0(VALU_DEP_1)
	v_lshrrev_b32_e32 v1, 16, v1
	s_branch .LBB167_985
.LBB167_982:
	s_mov_b32 s25, -1
                                        ; implicit-def: $vgpr1
	s_branch .LBB167_991
.LBB167_983:
	s_mov_b32 s25, -1
                                        ; implicit-def: $vgpr1
	s_branch .LBB167_988
.LBB167_984:
	s_mov_b32 s25, -1
                                        ; implicit-def: $vgpr1
.LBB167_985:
	s_delay_alu instid0(SALU_CYCLE_1)
	s_and_not1_b32 vcc_lo, exec_lo, s25
	s_cbranch_vccnz .LBB167_987
; %bb.986:
	s_wait_loadcnt 0x0
	global_load_b32 v1, v[6:7], off
	s_wait_loadcnt 0x0
	v_cvt_f32_i32_e32 v1, v1
	s_delay_alu instid0(VALU_DEP_1) | instskip(NEXT) | instid1(VALU_DEP_1)
	v_bfe_u32 v3, v1, 16, 1
	v_add3_u32 v1, v1, v3, 0x7fff
	s_delay_alu instid0(VALU_DEP_1)
	v_lshrrev_b32_e32 v1, 16, v1
.LBB167_987:
	s_mov_b32 s25, 0
.LBB167_988:
	s_delay_alu instid0(SALU_CYCLE_1)
	s_and_not1_b32 vcc_lo, exec_lo, s25
	s_cbranch_vccnz .LBB167_990
; %bb.989:
	s_wait_loadcnt 0x0
	global_load_i16 v1, v[6:7], off
	s_wait_loadcnt 0x0
	v_cvt_f32_i32_e32 v1, v1
	s_delay_alu instid0(VALU_DEP_1) | instskip(NEXT) | instid1(VALU_DEP_1)
	v_bfe_u32 v3, v1, 16, 1
	v_add3_u32 v1, v1, v3, 0x7fff
	s_delay_alu instid0(VALU_DEP_1)
	v_lshrrev_b32_e32 v1, 16, v1
.LBB167_990:
	s_mov_b32 s25, 0
.LBB167_991:
	s_delay_alu instid0(SALU_CYCLE_1)
	s_and_not1_b32 vcc_lo, exec_lo, s25
	s_cbranch_vccnz .LBB167_997
; %bb.992:
	s_cmp_gt_i32 s0, 0
	s_mov_b32 s0, 0
	s_cbranch_scc0 .LBB167_994
; %bb.993:
	s_wait_loadcnt 0x0
	global_load_i8 v1, v[6:7], off
	s_wait_loadcnt 0x0
	v_cvt_f32_i32_e32 v1, v1
	s_delay_alu instid0(VALU_DEP_1) | instskip(NEXT) | instid1(VALU_DEP_1)
	v_bfe_u32 v3, v1, 16, 1
	v_add3_u32 v1, v1, v3, 0x7fff
	s_delay_alu instid0(VALU_DEP_1)
	v_lshrrev_b32_e32 v1, 16, v1
	s_branch .LBB167_995
.LBB167_994:
	s_mov_b32 s0, -1
                                        ; implicit-def: $vgpr1
.LBB167_995:
	s_delay_alu instid0(SALU_CYCLE_1)
	s_and_not1_b32 vcc_lo, exec_lo, s0
	s_cbranch_vccnz .LBB167_997
; %bb.996:
	s_wait_loadcnt 0x0
	global_load_u8 v1, v[6:7], off
	s_wait_loadcnt 0x0
	v_cvt_f32_ubyte0_e32 v1, v1
	s_delay_alu instid0(VALU_DEP_1) | instskip(NEXT) | instid1(VALU_DEP_1)
	v_bfe_u32 v3, v1, 16, 1
	v_add3_u32 v1, v1, v3, 0x7fff
	s_delay_alu instid0(VALU_DEP_1)
	v_lshrrev_b32_e32 v1, 16, v1
.LBB167_997:
	s_mov_b32 s26, -1
.LBB167_998:
	s_mov_b32 s25, 0
	s_mov_b32 s0, s48
	s_and_not1_b32 vcc_lo, exec_lo, s26
	s_mov_b32 s26, s49
	s_mov_b32 s27, 0
	s_cbranch_vccnz .LBB167_1253
; %bb.999:
	v_mov_b32_e32 v5, 0
	s_and_b32 s0, 0xffff, s34
	s_delay_alu instid0(SALU_CYCLE_1) | instskip(NEXT) | instid1(VALU_DEP_1)
	s_cmp_lt_i32 s0, 11
	v_add_nc_u64_e32 v[4:5], s[6:7], v[4:5]
	s_cbranch_scc1 .LBB167_1006
; %bb.1000:
	s_cmp_gt_i32 s0, 25
	s_cbranch_scc0 .LBB167_1007
; %bb.1001:
	s_cmp_gt_i32 s0, 28
	s_cbranch_scc0 .LBB167_1008
	;; [unrolled: 3-line block ×4, first 2 shown]
; %bb.1004:
	s_cmp_eq_u32 s0, 46
	s_mov_b32 s53, 0
	s_cbranch_scc0 .LBB167_1013
; %bb.1005:
	s_wait_loadcnt 0x0
	global_load_b32 v3, v[4:5], off
	s_mov_b32 s27, -1
	s_mov_b32 s26, 0
	s_branch .LBB167_1015
.LBB167_1006:
	s_mov_b32 s53, -1
	s_mov_b32 s26, s49
                                        ; implicit-def: $vgpr3
	s_branch .LBB167_1080
.LBB167_1007:
	s_mov_b32 s53, -1
	s_mov_b32 s26, s49
                                        ; implicit-def: $vgpr3
	s_branch .LBB167_1044
.LBB167_1008:
	s_mov_b32 s53, -1
	s_mov_b32 s26, s49
                                        ; implicit-def: $vgpr3
	s_branch .LBB167_1025
.LBB167_1009:
	s_mov_b32 s53, -1
	s_mov_b32 s26, s49
                                        ; implicit-def: $vgpr3
	s_branch .LBB167_1020
.LBB167_1010:
	s_mov_b32 s53, -1
	s_mov_b32 s26, s49
	s_branch .LBB167_1014
.LBB167_1011:
	s_and_not1_saveexec_b32 s50, s50
	s_cbranch_execz .LBB167_755
.LBB167_1012:
	v_add_f32_e64 v5, 0x42800000, |v6|
	s_and_not1_b32 s49, s49, exec_lo
	s_delay_alu instid0(VALU_DEP_1) | instskip(NEXT) | instid1(VALU_DEP_1)
	v_and_b32_e32 v5, 0xff, v5
	v_cmp_ne_u32_e32 vcc_lo, 0, v5
	s_and_b32 s52, vcc_lo, exec_lo
	s_delay_alu instid0(SALU_CYCLE_1)
	s_or_b32 s49, s49, s52
	s_or_b32 exec_lo, exec_lo, s50
	v_mov_b32_e32 v7, 0
	s_and_saveexec_b32 s50, s49
	s_cbranch_execnz .LBB167_756
	s_branch .LBB167_757
.LBB167_1013:
	s_mov_b32 s26, -1
.LBB167_1014:
                                        ; implicit-def: $vgpr3
.LBB167_1015:
	s_and_b32 vcc_lo, exec_lo, s53
	s_cbranch_vccz .LBB167_1019
; %bb.1016:
	s_cmp_eq_u32 s0, 44
	s_cbranch_scc0 .LBB167_1018
; %bb.1017:
	s_wait_loadcnt 0x0
	global_load_u8 v3, v[4:5], off
	s_mov_b32 s26, 0
	s_mov_b32 s27, -1
	s_wait_loadcnt 0x0
	s_wait_xcnt 0x1
	v_lshlrev_b32_e32 v6, 23, v3
	v_cmp_ne_u32_e32 vcc_lo, 0xff, v3
	s_delay_alu instid0(VALU_DEP_2) | instskip(SKIP_1) | instid1(VALU_DEP_2)
	v_cndmask_b32_e32 v6, 0x7f800001, v6, vcc_lo
	v_cmp_ne_u32_e32 vcc_lo, 0, v3
	v_cndmask_b32_e32 v3, 0x400000, v6, vcc_lo
	s_delay_alu instid0(VALU_DEP_1) | instskip(NEXT) | instid1(VALU_DEP_1)
	v_add_nc_u32_e32 v6, 0x7fff, v3
	v_lshrrev_b32_e32 v6, 16, v6
	v_cmp_o_f32_e32 vcc_lo, v3, v3
	s_delay_alu instid0(VALU_DEP_2)
	v_cndmask_b32_e32 v3, 0x7fc0, v6, vcc_lo
	s_branch .LBB167_1019
.LBB167_1018:
	s_mov_b32 s26, -1
                                        ; implicit-def: $vgpr3
.LBB167_1019:
	s_mov_b32 s53, 0
.LBB167_1020:
	s_delay_alu instid0(SALU_CYCLE_1)
	s_and_b32 vcc_lo, exec_lo, s53
	s_cbranch_vccz .LBB167_1024
; %bb.1021:
	s_cmp_eq_u32 s0, 29
	s_cbranch_scc0 .LBB167_1023
; %bb.1022:
	global_load_b64 v[6:7], v[4:5], off
	s_mov_b32 s27, -1
	s_mov_b32 s26, 0
	s_mov_b32 s53, 0
	s_wait_loadcnt 0x0
	v_clz_i32_u32_e32 v3, v7
	s_delay_alu instid0(VALU_DEP_1) | instskip(NEXT) | instid1(VALU_DEP_1)
	v_min_u32_e32 v3, 32, v3
	v_lshlrev_b64_e32 v[6:7], v3, v[6:7]
	v_sub_nc_u32_e32 v3, 32, v3
	s_delay_alu instid0(VALU_DEP_2) | instskip(NEXT) | instid1(VALU_DEP_1)
	v_min_u32_e32 v6, 1, v6
	v_or_b32_e32 v6, v7, v6
	s_delay_alu instid0(VALU_DEP_1) | instskip(NEXT) | instid1(VALU_DEP_1)
	v_cvt_f32_u32_e32 v6, v6
	v_ldexp_f32 v3, v6, v3
	s_delay_alu instid0(VALU_DEP_1) | instskip(NEXT) | instid1(VALU_DEP_1)
	v_bfe_u32 v6, v3, 16, 1
	v_add3_u32 v3, v3, v6, 0x7fff
	s_delay_alu instid0(VALU_DEP_1)
	v_lshrrev_b32_e32 v3, 16, v3
	s_branch .LBB167_1025
.LBB167_1023:
	s_mov_b32 s26, -1
                                        ; implicit-def: $vgpr3
.LBB167_1024:
	s_mov_b32 s53, 0
.LBB167_1025:
	s_delay_alu instid0(SALU_CYCLE_1)
	s_and_b32 vcc_lo, exec_lo, s53
	s_cbranch_vccz .LBB167_1043
; %bb.1026:
	s_cmp_lt_i32 s0, 27
	s_cbranch_scc1 .LBB167_1029
; %bb.1027:
	s_cmp_gt_i32 s0, 27
	s_cbranch_scc0 .LBB167_1030
; %bb.1028:
	s_wait_loadcnt 0x0
	global_load_b32 v3, v[4:5], off
	s_mov_b32 s27, 0
	s_wait_loadcnt 0x0
	v_cvt_f32_u32_e32 v3, v3
	s_wait_xcnt 0x1
	s_delay_alu instid0(VALU_DEP_1) | instskip(NEXT) | instid1(VALU_DEP_1)
	v_bfe_u32 v6, v3, 16, 1
	v_add3_u32 v3, v3, v6, 0x7fff
	s_delay_alu instid0(VALU_DEP_1)
	v_lshrrev_b32_e32 v3, 16, v3
	s_branch .LBB167_1031
.LBB167_1029:
	s_mov_b32 s27, -1
                                        ; implicit-def: $vgpr3
	s_branch .LBB167_1034
.LBB167_1030:
	s_mov_b32 s27, -1
                                        ; implicit-def: $vgpr3
.LBB167_1031:
	s_delay_alu instid0(SALU_CYCLE_1)
	s_and_not1_b32 vcc_lo, exec_lo, s27
	s_cbranch_vccnz .LBB167_1033
; %bb.1032:
	s_wait_loadcnt 0x0
	global_load_u16 v3, v[4:5], off
	s_wait_loadcnt 0x0
	v_cvt_f32_u32_e32 v3, v3
	s_wait_xcnt 0x1
	s_delay_alu instid0(VALU_DEP_1) | instskip(NEXT) | instid1(VALU_DEP_1)
	v_bfe_u32 v6, v3, 16, 1
	v_add3_u32 v3, v3, v6, 0x7fff
	s_delay_alu instid0(VALU_DEP_1)
	v_lshrrev_b32_e32 v3, 16, v3
.LBB167_1033:
	s_mov_b32 s27, 0
.LBB167_1034:
	s_delay_alu instid0(SALU_CYCLE_1)
	s_and_not1_b32 vcc_lo, exec_lo, s27
	s_cbranch_vccnz .LBB167_1042
; %bb.1035:
	s_wait_loadcnt 0x0
	global_load_u8 v3, v[4:5], off
	s_mov_b32 s27, 0
	s_mov_b32 s53, exec_lo
	s_wait_loadcnt 0x0
	v_cmpx_lt_i16_e32 0x7f, v3
	s_xor_b32 s53, exec_lo, s53
	s_cbranch_execz .LBB167_1056
; %bb.1036:
	s_mov_b32 s27, -1
	s_mov_b32 s54, exec_lo
	v_cmpx_eq_u16_e32 0x80, v3
; %bb.1037:
	s_xor_b32 s27, exec_lo, -1
; %bb.1038:
	s_or_b32 exec_lo, exec_lo, s54
	s_delay_alu instid0(SALU_CYCLE_1)
	s_and_b32 s27, s27, exec_lo
	s_or_saveexec_b32 s53, s53
	v_mov_b32_e32 v6, 0x7f800001
	s_xor_b32 exec_lo, exec_lo, s53
	s_cbranch_execnz .LBB167_1057
.LBB167_1039:
	s_or_b32 exec_lo, exec_lo, s53
	s_and_saveexec_b32 s53, s27
	s_cbranch_execz .LBB167_1041
.LBB167_1040:
	v_and_b32_e32 v6, 0xffff, v3
	s_delay_alu instid0(VALU_DEP_1) | instskip(SKIP_1) | instid1(VALU_DEP_2)
	v_and_b32_e32 v7, 7, v6
	v_bfe_u32 v10, v6, 3, 4
	v_clz_i32_u32_e32 v8, v7
	s_delay_alu instid0(VALU_DEP_2) | instskip(NEXT) | instid1(VALU_DEP_2)
	v_cmp_eq_u32_e32 vcc_lo, 0, v10
	v_min_u32_e32 v8, 32, v8
	s_delay_alu instid0(VALU_DEP_1) | instskip(NEXT) | instid1(VALU_DEP_1)
	v_subrev_nc_u32_e32 v9, 28, v8
	v_dual_lshlrev_b32 v6, v9, v6 :: v_dual_sub_nc_u32 v8, 29, v8
	s_delay_alu instid0(VALU_DEP_1) | instskip(NEXT) | instid1(VALU_DEP_1)
	v_dual_lshlrev_b32 v3, 24, v3 :: v_dual_bitop2_b32 v6, 7, v6 bitop3:0x40
	v_dual_cndmask_b32 v8, v10, v8, vcc_lo :: v_dual_cndmask_b32 v6, v7, v6, vcc_lo
	s_delay_alu instid0(VALU_DEP_2) | instskip(NEXT) | instid1(VALU_DEP_2)
	v_and_b32_e32 v3, 0x80000000, v3
	v_lshl_add_u32 v7, v8, 23, 0x3b800000
	s_delay_alu instid0(VALU_DEP_3) | instskip(NEXT) | instid1(VALU_DEP_1)
	v_lshlrev_b32_e32 v6, 20, v6
	v_or3_b32 v6, v3, v7, v6
.LBB167_1041:
	s_or_b32 exec_lo, exec_lo, s53
	s_delay_alu instid0(VALU_DEP_1) | instskip(SKIP_1) | instid1(VALU_DEP_2)
	v_bfe_u32 v3, v6, 16, 1
	v_cmp_o_f32_e32 vcc_lo, v6, v6
	v_add3_u32 v3, v6, v3, 0x7fff
	s_delay_alu instid0(VALU_DEP_1) | instskip(NEXT) | instid1(VALU_DEP_1)
	v_lshrrev_b32_e32 v3, 16, v3
	v_cndmask_b32_e32 v3, 0x7fc0, v3, vcc_lo
.LBB167_1042:
	s_mov_b32 s27, -1
.LBB167_1043:
	s_mov_b32 s53, 0
.LBB167_1044:
	s_delay_alu instid0(SALU_CYCLE_1)
	s_and_b32 vcc_lo, exec_lo, s53
	s_cbranch_vccz .LBB167_1079
; %bb.1045:
	s_cmp_gt_i32 s0, 22
	s_cbranch_scc0 .LBB167_1055
; %bb.1046:
	s_cmp_lt_i32 s0, 24
	s_cbranch_scc1 .LBB167_1058
; %bb.1047:
	s_cmp_gt_i32 s0, 24
	s_cbranch_scc0 .LBB167_1059
; %bb.1048:
	s_wait_loadcnt 0x0
	global_load_u8 v3, v[4:5], off
	s_mov_b32 s27, 0
	s_mov_b32 s53, exec_lo
	s_wait_loadcnt 0x0
	v_cmpx_lt_i16_e32 0x7f, v3
	s_xor_b32 s53, exec_lo, s53
	s_cbranch_execz .LBB167_1071
; %bb.1049:
	s_mov_b32 s27, -1
	s_mov_b32 s54, exec_lo
	v_cmpx_eq_u16_e32 0x80, v3
; %bb.1050:
	s_xor_b32 s27, exec_lo, -1
; %bb.1051:
	s_or_b32 exec_lo, exec_lo, s54
	s_delay_alu instid0(SALU_CYCLE_1)
	s_and_b32 s27, s27, exec_lo
	s_or_saveexec_b32 s53, s53
	v_mov_b32_e32 v6, 0x7f800001
	s_xor_b32 exec_lo, exec_lo, s53
	s_cbranch_execnz .LBB167_1072
.LBB167_1052:
	s_or_b32 exec_lo, exec_lo, s53
	s_and_saveexec_b32 s53, s27
	s_cbranch_execz .LBB167_1054
.LBB167_1053:
	v_and_b32_e32 v6, 0xffff, v3
	s_delay_alu instid0(VALU_DEP_1) | instskip(SKIP_1) | instid1(VALU_DEP_2)
	v_and_b32_e32 v7, 3, v6
	v_bfe_u32 v10, v6, 2, 5
	v_clz_i32_u32_e32 v8, v7
	s_delay_alu instid0(VALU_DEP_2) | instskip(NEXT) | instid1(VALU_DEP_2)
	v_cmp_eq_u32_e32 vcc_lo, 0, v10
	v_min_u32_e32 v8, 32, v8
	s_delay_alu instid0(VALU_DEP_1) | instskip(NEXT) | instid1(VALU_DEP_1)
	v_subrev_nc_u32_e32 v9, 29, v8
	v_dual_lshlrev_b32 v6, v9, v6 :: v_dual_sub_nc_u32 v8, 30, v8
	s_delay_alu instid0(VALU_DEP_1) | instskip(NEXT) | instid1(VALU_DEP_1)
	v_dual_lshlrev_b32 v3, 24, v3 :: v_dual_bitop2_b32 v6, 3, v6 bitop3:0x40
	v_dual_cndmask_b32 v8, v10, v8, vcc_lo :: v_dual_cndmask_b32 v6, v7, v6, vcc_lo
	s_delay_alu instid0(VALU_DEP_2) | instskip(NEXT) | instid1(VALU_DEP_2)
	v_and_b32_e32 v3, 0x80000000, v3
	v_lshl_add_u32 v7, v8, 23, 0x37800000
	s_delay_alu instid0(VALU_DEP_3) | instskip(NEXT) | instid1(VALU_DEP_1)
	v_lshlrev_b32_e32 v6, 21, v6
	v_or3_b32 v6, v3, v7, v6
.LBB167_1054:
	s_or_b32 exec_lo, exec_lo, s53
	s_delay_alu instid0(VALU_DEP_1) | instskip(SKIP_2) | instid1(VALU_DEP_2)
	v_bfe_u32 v3, v6, 16, 1
	v_cmp_o_f32_e32 vcc_lo, v6, v6
	s_mov_b32 s27, 0
	v_add3_u32 v3, v6, v3, 0x7fff
	s_delay_alu instid0(VALU_DEP_1) | instskip(NEXT) | instid1(VALU_DEP_1)
	v_lshrrev_b32_e32 v3, 16, v3
	v_cndmask_b32_e32 v3, 0x7fc0, v3, vcc_lo
	s_branch .LBB167_1060
.LBB167_1055:
	s_mov_b32 s53, -1
                                        ; implicit-def: $vgpr3
	s_branch .LBB167_1066
.LBB167_1056:
	s_or_saveexec_b32 s53, s53
	v_mov_b32_e32 v6, 0x7f800001
	s_xor_b32 exec_lo, exec_lo, s53
	s_cbranch_execz .LBB167_1039
.LBB167_1057:
	v_cmp_ne_u16_e32 vcc_lo, 0, v3
	v_mov_b32_e32 v6, 0
	s_and_not1_b32 s27, s27, exec_lo
	s_and_b32 s54, vcc_lo, exec_lo
	s_delay_alu instid0(SALU_CYCLE_1)
	s_or_b32 s27, s27, s54
	s_or_b32 exec_lo, exec_lo, s53
	s_and_saveexec_b32 s53, s27
	s_cbranch_execnz .LBB167_1040
	s_branch .LBB167_1041
.LBB167_1058:
	s_mov_b32 s27, -1
                                        ; implicit-def: $vgpr3
	s_branch .LBB167_1063
.LBB167_1059:
	s_mov_b32 s27, -1
                                        ; implicit-def: $vgpr3
.LBB167_1060:
	s_delay_alu instid0(SALU_CYCLE_1)
	s_and_b32 vcc_lo, exec_lo, s27
	s_cbranch_vccz .LBB167_1062
; %bb.1061:
	s_wait_loadcnt 0x0
	global_load_u8 v3, v[4:5], off
	s_wait_loadcnt 0x0
	v_lshlrev_b32_e32 v3, 24, v3
	s_wait_xcnt 0x1
	s_delay_alu instid0(VALU_DEP_1) | instskip(NEXT) | instid1(VALU_DEP_1)
	v_and_b32_e32 v6, 0x7f000000, v3
	v_clz_i32_u32_e32 v7, v6
	v_cmp_ne_u32_e32 vcc_lo, 0, v6
	v_add_nc_u32_e32 v9, 0x1000000, v6
	s_delay_alu instid0(VALU_DEP_3) | instskip(NEXT) | instid1(VALU_DEP_1)
	v_min_u32_e32 v7, 32, v7
	v_sub_nc_u32_e64 v7, v7, 4 clamp
	s_delay_alu instid0(VALU_DEP_1) | instskip(NEXT) | instid1(VALU_DEP_1)
	v_dual_lshlrev_b32 v8, v7, v6 :: v_dual_lshlrev_b32 v7, 23, v7
	v_lshrrev_b32_e32 v8, 4, v8
	s_delay_alu instid0(VALU_DEP_1) | instskip(NEXT) | instid1(VALU_DEP_1)
	v_dual_sub_nc_u32 v7, v8, v7 :: v_dual_ashrrev_i32 v8, 8, v9
	v_add_nc_u32_e32 v7, 0x3c000000, v7
	s_delay_alu instid0(VALU_DEP_1) | instskip(NEXT) | instid1(VALU_DEP_1)
	v_and_or_b32 v7, 0x7f800000, v8, v7
	v_cndmask_b32_e32 v6, 0, v7, vcc_lo
	s_delay_alu instid0(VALU_DEP_1) | instskip(SKIP_1) | instid1(VALU_DEP_2)
	v_and_or_b32 v3, 0x80000000, v3, v6
	v_bfe_u32 v6, v6, 16, 1
	v_cmp_o_f32_e32 vcc_lo, v3, v3
	s_delay_alu instid0(VALU_DEP_2) | instskip(NEXT) | instid1(VALU_DEP_1)
	v_add3_u32 v6, v3, v6, 0x7fff
	v_lshrrev_b32_e32 v6, 16, v6
	s_delay_alu instid0(VALU_DEP_1)
	v_cndmask_b32_e32 v3, 0x7fc0, v6, vcc_lo
.LBB167_1062:
	s_mov_b32 s27, 0
.LBB167_1063:
	s_delay_alu instid0(SALU_CYCLE_1)
	s_and_not1_b32 vcc_lo, exec_lo, s27
	s_cbranch_vccnz .LBB167_1065
; %bb.1064:
	s_wait_loadcnt 0x0
	global_load_u8 v3, v[4:5], off
	s_wait_loadcnt 0x0
	s_wait_xcnt 0x1
	v_lshlrev_b32_e32 v6, 25, v3
	v_lshlrev_b16 v3, 8, v3
	s_delay_alu instid0(VALU_DEP_1) | instskip(SKIP_1) | instid1(VALU_DEP_2)
	v_and_or_b32 v8, 0x7f00, v3, 0.5
	v_bfe_i32 v3, v3, 0, 16
	v_dual_add_f32 v8, -0.5, v8 :: v_dual_lshrrev_b32 v7, 4, v6
	v_cmp_gt_u32_e32 vcc_lo, 0x8000000, v6
	s_delay_alu instid0(VALU_DEP_2) | instskip(NEXT) | instid1(VALU_DEP_1)
	v_or_b32_e32 v7, 0x70000000, v7
	v_mul_f32_e32 v7, 0x7800000, v7
	s_delay_alu instid0(VALU_DEP_1) | instskip(NEXT) | instid1(VALU_DEP_1)
	v_cndmask_b32_e32 v6, v7, v8, vcc_lo
	v_and_or_b32 v3, 0x80000000, v3, v6
	v_bfe_u32 v6, v6, 16, 1
	s_delay_alu instid0(VALU_DEP_2) | instskip(NEXT) | instid1(VALU_DEP_2)
	v_cmp_o_f32_e32 vcc_lo, v3, v3
	v_add3_u32 v6, v3, v6, 0x7fff
	s_delay_alu instid0(VALU_DEP_1) | instskip(NEXT) | instid1(VALU_DEP_1)
	v_lshrrev_b32_e32 v6, 16, v6
	v_cndmask_b32_e32 v3, 0x7fc0, v6, vcc_lo
.LBB167_1065:
	s_mov_b32 s53, 0
	s_mov_b32 s27, -1
.LBB167_1066:
	s_and_not1_b32 vcc_lo, exec_lo, s53
	s_cbranch_vccnz .LBB167_1079
; %bb.1067:
	s_cmp_gt_i32 s0, 14
	s_cbranch_scc0 .LBB167_1070
; %bb.1068:
	s_cmp_eq_u32 s0, 15
	s_cbranch_scc0 .LBB167_1073
; %bb.1069:
	s_wait_loadcnt 0x0
	global_load_u16 v3, v[4:5], off
	s_mov_b32 s27, -1
	s_mov_b32 s26, 0
	s_branch .LBB167_1074
.LBB167_1070:
	s_mov_b32 s53, -1
                                        ; implicit-def: $vgpr3
	s_branch .LBB167_1075
.LBB167_1071:
	s_or_saveexec_b32 s53, s53
	v_mov_b32_e32 v6, 0x7f800001
	s_xor_b32 exec_lo, exec_lo, s53
	s_cbranch_execz .LBB167_1052
.LBB167_1072:
	v_cmp_ne_u16_e32 vcc_lo, 0, v3
	v_mov_b32_e32 v6, 0
	s_and_not1_b32 s27, s27, exec_lo
	s_and_b32 s54, vcc_lo, exec_lo
	s_delay_alu instid0(SALU_CYCLE_1)
	s_or_b32 s27, s27, s54
	s_or_b32 exec_lo, exec_lo, s53
	s_and_saveexec_b32 s53, s27
	s_cbranch_execnz .LBB167_1053
	s_branch .LBB167_1054
.LBB167_1073:
	s_mov_b32 s26, -1
                                        ; implicit-def: $vgpr3
.LBB167_1074:
	s_mov_b32 s53, 0
.LBB167_1075:
	s_delay_alu instid0(SALU_CYCLE_1)
	s_and_b32 vcc_lo, exec_lo, s53
	s_cbranch_vccz .LBB167_1079
; %bb.1076:
	s_cmp_eq_u32 s0, 11
	s_cbranch_scc0 .LBB167_1078
; %bb.1077:
	s_wait_loadcnt 0x0
	global_load_u8 v3, v[4:5], off
	s_mov_b32 s26, 0
	s_mov_b32 s27, -1
	s_wait_loadcnt 0x0
	v_cmp_ne_u16_e32 vcc_lo, 0, v3
	v_cndmask_b32_e64 v3, 0, 1.0, vcc_lo
	s_delay_alu instid0(VALU_DEP_1)
	v_lshrrev_b32_e32 v3, 16, v3
	s_branch .LBB167_1079
.LBB167_1078:
	s_mov_b32 s26, -1
                                        ; implicit-def: $vgpr3
.LBB167_1079:
	s_mov_b32 s53, 0
.LBB167_1080:
	s_delay_alu instid0(SALU_CYCLE_1)
	s_and_b32 vcc_lo, exec_lo, s53
	s_cbranch_vccz .LBB167_1129
; %bb.1081:
	s_cmp_lt_i32 s0, 5
	s_cbranch_scc1 .LBB167_1086
; %bb.1082:
	s_cmp_lt_i32 s0, 8
	s_cbranch_scc1 .LBB167_1087
	;; [unrolled: 3-line block ×3, first 2 shown]
; %bb.1084:
	s_cmp_gt_i32 s0, 9
	s_cbranch_scc0 .LBB167_1089
; %bb.1085:
	global_load_b64 v[6:7], v[4:5], off
	s_mov_b32 s27, 0
	s_wait_loadcnt 0x0
	v_cvt_f32_f64_e32 v3, v[6:7]
	s_delay_alu instid0(VALU_DEP_1) | instskip(SKIP_1) | instid1(VALU_DEP_2)
	v_bfe_u32 v6, v3, 16, 1
	v_cmp_o_f32_e32 vcc_lo, v3, v3
	v_add3_u32 v6, v3, v6, 0x7fff
	s_delay_alu instid0(VALU_DEP_1) | instskip(NEXT) | instid1(VALU_DEP_1)
	v_lshrrev_b32_e32 v6, 16, v6
	v_cndmask_b32_e32 v3, 0x7fc0, v6, vcc_lo
	s_branch .LBB167_1090
.LBB167_1086:
	s_mov_b32 s27, -1
                                        ; implicit-def: $vgpr3
	s_branch .LBB167_1108
.LBB167_1087:
	s_mov_b32 s27, -1
                                        ; implicit-def: $vgpr3
	s_branch .LBB167_1096
.LBB167_1088:
	s_mov_b32 s27, -1
                                        ; implicit-def: $vgpr3
	s_branch .LBB167_1093
.LBB167_1089:
	s_mov_b32 s27, -1
                                        ; implicit-def: $vgpr3
.LBB167_1090:
	s_delay_alu instid0(SALU_CYCLE_1)
	s_and_not1_b32 vcc_lo, exec_lo, s27
	s_cbranch_vccnz .LBB167_1092
; %bb.1091:
	s_wait_loadcnt 0x0
	global_load_b32 v3, v[4:5], off
	s_wait_loadcnt 0x0
	s_wait_xcnt 0x1
	v_bfe_u32 v6, v3, 16, 1
	v_cmp_o_f32_e32 vcc_lo, v3, v3
	s_delay_alu instid0(VALU_DEP_2) | instskip(NEXT) | instid1(VALU_DEP_1)
	v_add3_u32 v6, v3, v6, 0x7fff
	v_lshrrev_b32_e32 v6, 16, v6
	s_delay_alu instid0(VALU_DEP_1)
	v_cndmask_b32_e32 v3, 0x7fc0, v6, vcc_lo
.LBB167_1092:
	s_mov_b32 s27, 0
.LBB167_1093:
	s_delay_alu instid0(SALU_CYCLE_1)
	s_and_not1_b32 vcc_lo, exec_lo, s27
	s_cbranch_vccnz .LBB167_1095
; %bb.1094:
	s_wait_loadcnt 0x0
	global_load_b32 v3, v[4:5], off
	s_wait_loadcnt 0x0
	s_wait_xcnt 0x1
	v_cvt_f32_f16_e32 v6, v3
	v_cmp_o_f16_e32 vcc_lo, v3, v3
	s_delay_alu instid0(VALU_DEP_2) | instskip(NEXT) | instid1(VALU_DEP_1)
	v_bfe_u32 v7, v6, 16, 1
	v_add3_u32 v6, v6, v7, 0x7fff
	s_delay_alu instid0(VALU_DEP_1) | instskip(NEXT) | instid1(VALU_DEP_1)
	v_lshrrev_b32_e32 v6, 16, v6
	v_cndmask_b32_e32 v3, 0x7fc0, v6, vcc_lo
.LBB167_1095:
	s_mov_b32 s27, 0
.LBB167_1096:
	s_delay_alu instid0(SALU_CYCLE_1)
	s_and_not1_b32 vcc_lo, exec_lo, s27
	s_cbranch_vccnz .LBB167_1107
; %bb.1097:
	s_cmp_lt_i32 s0, 6
	s_cbranch_scc1 .LBB167_1100
; %bb.1098:
	s_cmp_gt_i32 s0, 6
	s_cbranch_scc0 .LBB167_1101
; %bb.1099:
	global_load_b64 v[6:7], v[4:5], off
	s_mov_b32 s27, 0
	s_wait_loadcnt 0x0
	v_cvt_f32_f64_e32 v3, v[6:7]
	s_delay_alu instid0(VALU_DEP_1) | instskip(SKIP_1) | instid1(VALU_DEP_2)
	v_bfe_u32 v6, v3, 16, 1
	v_cmp_o_f32_e32 vcc_lo, v3, v3
	v_add3_u32 v6, v3, v6, 0x7fff
	s_delay_alu instid0(VALU_DEP_1) | instskip(NEXT) | instid1(VALU_DEP_1)
	v_lshrrev_b32_e32 v6, 16, v6
	v_cndmask_b32_e32 v3, 0x7fc0, v6, vcc_lo
	s_branch .LBB167_1102
.LBB167_1100:
	s_mov_b32 s27, -1
                                        ; implicit-def: $vgpr3
	s_branch .LBB167_1105
.LBB167_1101:
	s_mov_b32 s27, -1
                                        ; implicit-def: $vgpr3
.LBB167_1102:
	s_delay_alu instid0(SALU_CYCLE_1)
	s_and_not1_b32 vcc_lo, exec_lo, s27
	s_cbranch_vccnz .LBB167_1104
; %bb.1103:
	s_wait_loadcnt 0x0
	global_load_b32 v3, v[4:5], off
	s_wait_loadcnt 0x0
	s_wait_xcnt 0x1
	v_bfe_u32 v6, v3, 16, 1
	v_cmp_o_f32_e32 vcc_lo, v3, v3
	s_delay_alu instid0(VALU_DEP_2) | instskip(NEXT) | instid1(VALU_DEP_1)
	v_add3_u32 v6, v3, v6, 0x7fff
	v_lshrrev_b32_e32 v6, 16, v6
	s_delay_alu instid0(VALU_DEP_1)
	v_cndmask_b32_e32 v3, 0x7fc0, v6, vcc_lo
.LBB167_1104:
	s_mov_b32 s27, 0
.LBB167_1105:
	s_delay_alu instid0(SALU_CYCLE_1)
	s_and_not1_b32 vcc_lo, exec_lo, s27
	s_cbranch_vccnz .LBB167_1107
; %bb.1106:
	s_wait_loadcnt 0x0
	global_load_u16 v3, v[4:5], off
	s_wait_loadcnt 0x0
	s_wait_xcnt 0x1
	v_cvt_f32_f16_e32 v6, v3
	v_cmp_o_f16_e32 vcc_lo, v3, v3
	s_delay_alu instid0(VALU_DEP_2) | instskip(NEXT) | instid1(VALU_DEP_1)
	v_bfe_u32 v7, v6, 16, 1
	v_add3_u32 v6, v6, v7, 0x7fff
	s_delay_alu instid0(VALU_DEP_1) | instskip(NEXT) | instid1(VALU_DEP_1)
	v_lshrrev_b32_e32 v6, 16, v6
	v_cndmask_b32_e32 v3, 0x7fc0, v6, vcc_lo
.LBB167_1107:
	s_mov_b32 s27, 0
.LBB167_1108:
	s_delay_alu instid0(SALU_CYCLE_1)
	s_and_not1_b32 vcc_lo, exec_lo, s27
	s_cbranch_vccnz .LBB167_1128
; %bb.1109:
	s_cmp_lt_i32 s0, 2
	s_cbranch_scc1 .LBB167_1113
; %bb.1110:
	s_cmp_lt_i32 s0, 3
	s_cbranch_scc1 .LBB167_1114
; %bb.1111:
	s_cmp_gt_i32 s0, 3
	s_cbranch_scc0 .LBB167_1115
; %bb.1112:
	global_load_b64 v[6:7], v[4:5], off
	s_mov_b32 s27, 0
	s_wait_loadcnt 0x0
	v_xor_b32_e32 v3, v6, v7
	v_cls_i32_e32 v8, v7
	s_delay_alu instid0(VALU_DEP_2) | instskip(NEXT) | instid1(VALU_DEP_1)
	v_ashrrev_i32_e32 v3, 31, v3
	v_add_nc_u32_e32 v3, 32, v3
	s_delay_alu instid0(VALU_DEP_1) | instskip(NEXT) | instid1(VALU_DEP_1)
	v_add_min_u32_e64 v3, v8, -1, v3
	v_lshlrev_b64_e32 v[6:7], v3, v[6:7]
	v_sub_nc_u32_e32 v3, 32, v3
	s_delay_alu instid0(VALU_DEP_2) | instskip(NEXT) | instid1(VALU_DEP_1)
	v_min_u32_e32 v6, 1, v6
	v_or_b32_e32 v6, v7, v6
	s_delay_alu instid0(VALU_DEP_1) | instskip(NEXT) | instid1(VALU_DEP_1)
	v_cvt_f32_i32_e32 v6, v6
	v_ldexp_f32 v3, v6, v3
	s_delay_alu instid0(VALU_DEP_1) | instskip(NEXT) | instid1(VALU_DEP_1)
	v_bfe_u32 v6, v3, 16, 1
	v_add3_u32 v3, v3, v6, 0x7fff
	s_delay_alu instid0(VALU_DEP_1)
	v_lshrrev_b32_e32 v3, 16, v3
	s_branch .LBB167_1116
.LBB167_1113:
	s_mov_b32 s27, -1
                                        ; implicit-def: $vgpr3
	s_branch .LBB167_1122
.LBB167_1114:
	s_mov_b32 s27, -1
                                        ; implicit-def: $vgpr3
	s_branch .LBB167_1119
.LBB167_1115:
	s_mov_b32 s27, -1
                                        ; implicit-def: $vgpr3
.LBB167_1116:
	s_delay_alu instid0(SALU_CYCLE_1)
	s_and_not1_b32 vcc_lo, exec_lo, s27
	s_cbranch_vccnz .LBB167_1118
; %bb.1117:
	s_wait_loadcnt 0x0
	global_load_b32 v3, v[4:5], off
	s_wait_loadcnt 0x0
	v_cvt_f32_i32_e32 v3, v3
	s_wait_xcnt 0x1
	s_delay_alu instid0(VALU_DEP_1) | instskip(NEXT) | instid1(VALU_DEP_1)
	v_bfe_u32 v6, v3, 16, 1
	v_add3_u32 v3, v3, v6, 0x7fff
	s_delay_alu instid0(VALU_DEP_1)
	v_lshrrev_b32_e32 v3, 16, v3
.LBB167_1118:
	s_mov_b32 s27, 0
.LBB167_1119:
	s_delay_alu instid0(SALU_CYCLE_1)
	s_and_not1_b32 vcc_lo, exec_lo, s27
	s_cbranch_vccnz .LBB167_1121
; %bb.1120:
	s_wait_loadcnt 0x0
	global_load_i16 v3, v[4:5], off
	s_wait_loadcnt 0x0
	v_cvt_f32_i32_e32 v3, v3
	s_wait_xcnt 0x1
	s_delay_alu instid0(VALU_DEP_1) | instskip(NEXT) | instid1(VALU_DEP_1)
	v_bfe_u32 v6, v3, 16, 1
	v_add3_u32 v3, v3, v6, 0x7fff
	s_delay_alu instid0(VALU_DEP_1)
	v_lshrrev_b32_e32 v3, 16, v3
.LBB167_1121:
	s_mov_b32 s27, 0
.LBB167_1122:
	s_delay_alu instid0(SALU_CYCLE_1)
	s_and_not1_b32 vcc_lo, exec_lo, s27
	s_cbranch_vccnz .LBB167_1128
; %bb.1123:
	s_cmp_gt_i32 s0, 0
	s_mov_b32 s0, 0
	s_cbranch_scc0 .LBB167_1125
; %bb.1124:
	s_wait_loadcnt 0x0
	global_load_i8 v3, v[4:5], off
	s_wait_loadcnt 0x0
	v_cvt_f32_i32_e32 v3, v3
	s_wait_xcnt 0x1
	s_delay_alu instid0(VALU_DEP_1) | instskip(NEXT) | instid1(VALU_DEP_1)
	v_bfe_u32 v6, v3, 16, 1
	v_add3_u32 v3, v3, v6, 0x7fff
	s_delay_alu instid0(VALU_DEP_1)
	v_lshrrev_b32_e32 v3, 16, v3
	s_branch .LBB167_1126
.LBB167_1125:
	s_mov_b32 s0, -1
                                        ; implicit-def: $vgpr3
.LBB167_1126:
	s_delay_alu instid0(SALU_CYCLE_1)
	s_and_not1_b32 vcc_lo, exec_lo, s0
	s_cbranch_vccnz .LBB167_1128
; %bb.1127:
	s_wait_loadcnt 0x0
	global_load_u8 v3, v[4:5], off
	s_wait_loadcnt 0x0
	v_cvt_f32_ubyte0_e32 v3, v3
	s_wait_xcnt 0x0
	s_delay_alu instid0(VALU_DEP_1) | instskip(NEXT) | instid1(VALU_DEP_1)
	v_bfe_u32 v4, v3, 16, 1
	v_add3_u32 v3, v3, v4, 0x7fff
	s_delay_alu instid0(VALU_DEP_1)
	v_lshrrev_b32_e32 v3, 16, v3
.LBB167_1128:
	s_mov_b32 s27, -1
.LBB167_1129:
	s_delay_alu instid0(SALU_CYCLE_1)
	s_and_not1_b32 vcc_lo, exec_lo, s27
	s_cbranch_vccnz .LBB167_1137
; %bb.1130:
	s_wait_loadcnt 0x0
	v_dual_lshlrev_b32 v1, 16, v1 :: v_dual_lshlrev_b32 v3, 16, v3
	s_and_b32 s27, s33, 0xff
	s_delay_alu instid0(SALU_CYCLE_1) | instskip(NEXT) | instid1(VALU_DEP_1)
	s_cmp_lt_i32 s27, 11
	v_mul_f32_e32 v1, s9, v1
	s_wait_xcnt 0x0
	s_delay_alu instid0(VALU_DEP_1) | instskip(SKIP_1) | instid1(VALU_DEP_2)
	v_bfe_u32 v4, v1, 16, 1
	v_cmp_o_f32_e32 vcc_lo, v1, v1
	v_add3_u32 v4, v1, v4, 0x7fff
	s_delay_alu instid0(VALU_DEP_1) | instskip(NEXT) | instid1(VALU_DEP_1)
	v_and_b32_e32 v4, 0xffff0000, v4
	v_cndmask_b32_e32 v1, 0x7fc00000, v4, vcc_lo
	s_delay_alu instid0(VALU_DEP_1) | instskip(NEXT) | instid1(VALU_DEP_1)
	v_mul_f32_e32 v1, v1, v3
	v_bfe_u32 v3, v1, 16, 1
	v_cmp_o_f32_e32 vcc_lo, v1, v1
	s_delay_alu instid0(VALU_DEP_2) | instskip(NEXT) | instid1(VALU_DEP_1)
	v_add3_u32 v4, v1, v3, 0x7fff
	v_dual_mov_b32 v3, 0 :: v_dual_lshrrev_b32 v4, 16, v4
	s_delay_alu instid0(VALU_DEP_1) | instskip(NEXT) | instid1(VALU_DEP_2)
	v_add_nc_u64_e32 v[2:3], s[16:17], v[2:3]
	v_cndmask_b32_e32 v1, 0x7fc0, v4, vcc_lo
	s_cbranch_scc1 .LBB167_1138
; %bb.1131:
	s_and_b32 s53, 0xffff, s27
	s_delay_alu instid0(SALU_CYCLE_1)
	s_cmp_gt_i32 s53, 25
	s_cbranch_scc0 .LBB167_1139
; %bb.1132:
	s_cmp_gt_i32 s53, 28
	s_cbranch_scc0 .LBB167_1140
; %bb.1133:
	;; [unrolled: 3-line block ×4, first 2 shown]
	s_mov_b32 s55, 0
	s_mov_b32 s0, -1
	s_cmp_eq_u32 s53, 46
	s_mov_b32 s54, 0
	s_cbranch_scc0 .LBB167_1143
; %bb.1136:
	v_and_b32_e32 v4, 0xffff, v1
	s_mov_b32 s54, -1
	s_mov_b32 s0, 0
	global_store_b32 v[2:3], v4, off
	s_branch .LBB167_1143
.LBB167_1137:
	s_mov_b32 s27, 0
	s_mov_b32 s0, s48
	s_branch .LBB167_874
.LBB167_1138:
	s_mov_b32 s53, -1
	s_mov_b32 s54, 0
	s_mov_b32 s0, s48
	s_branch .LBB167_1212
.LBB167_1139:
	s_mov_b32 s55, -1
	s_mov_b32 s54, 0
	s_mov_b32 s0, s48
	s_branch .LBB167_1170
.LBB167_1140:
	s_mov_b32 s55, -1
	s_mov_b32 s54, 0
	s_mov_b32 s0, s48
	s_branch .LBB167_1153
.LBB167_1141:
	s_mov_b32 s55, -1
	s_mov_b32 s54, 0
	s_mov_b32 s0, s48
	s_branch .LBB167_1149
.LBB167_1142:
	s_mov_b32 s55, -1
	s_mov_b32 s54, 0
	s_mov_b32 s0, s48
.LBB167_1143:
	s_and_b32 vcc_lo, exec_lo, s55
	s_cbranch_vccz .LBB167_1148
; %bb.1144:
	s_cmp_eq_u32 s53, 44
	s_mov_b32 s0, -1
	s_cbranch_scc0 .LBB167_1148
; %bb.1145:
	s_wait_xcnt 0x0
	v_and_b32_e32 v4, 0xffff, v1
	v_mov_b32_e32 v5, 0xff
	s_mov_b32 s54, exec_lo
	s_delay_alu instid0(VALU_DEP_2) | instskip(NEXT) | instid1(VALU_DEP_1)
	v_bfe_u32 v6, v4, 7, 8
	v_cmpx_ne_u32_e32 0xff, v6
	s_cbranch_execz .LBB167_1147
; %bb.1146:
	v_dual_lshlrev_b32 v5, 16, v4 :: v_dual_bitop2_b32 v7, 64, v4 bitop3:0x40
	v_lshrrev_b32_e32 v4, 7, v4
	s_delay_alu instid0(VALU_DEP_2) | instskip(NEXT) | instid1(VALU_DEP_3)
	v_and_or_b32 v5, 0x3f0000, v5, v6
	v_cmp_ne_u32_e32 vcc_lo, 0, v7
	s_delay_alu instid0(VALU_DEP_2) | instskip(SKIP_1) | instid1(SALU_CYCLE_1)
	v_cmp_ne_u32_e64 s0, 0, v5
	s_and_b32 s0, vcc_lo, s0
	v_cndmask_b32_e64 v5, 0, 1, s0
	s_delay_alu instid0(VALU_DEP_1)
	v_add_nc_u32_e32 v5, v4, v5
.LBB167_1147:
	s_or_b32 exec_lo, exec_lo, s54
	s_mov_b32 s54, -1
	s_mov_b32 s0, 0
	global_store_b8 v[2:3], v5, off
.LBB167_1148:
	s_mov_b32 s55, 0
.LBB167_1149:
	s_delay_alu instid0(SALU_CYCLE_1)
	s_and_b32 vcc_lo, exec_lo, s55
	s_cbranch_vccz .LBB167_1152
; %bb.1150:
	s_cmp_eq_u32 s53, 29
	s_mov_b32 s0, -1
	s_cbranch_scc0 .LBB167_1152
; %bb.1151:
	s_wait_xcnt 0x0
	v_lshlrev_b32_e32 v4, 16, v1
	s_mov_b32 s54, -1
	s_mov_b32 s0, 0
	s_mov_b32 s55, 0
	s_delay_alu instid0(VALU_DEP_1) | instskip(NEXT) | instid1(VALU_DEP_1)
	v_trunc_f32_e32 v4, v4
	v_mul_f32_e32 v5, 0x2f800000, v4
	s_delay_alu instid0(VALU_DEP_1) | instskip(NEXT) | instid1(VALU_DEP_1)
	v_floor_f32_e32 v5, v5
	v_fmamk_f32 v4, v5, 0xcf800000, v4
	v_cvt_u32_f32_e32 v5, v5
	s_delay_alu instid0(VALU_DEP_2)
	v_cvt_u32_f32_e32 v4, v4
	global_store_b64 v[2:3], v[4:5], off
	s_branch .LBB167_1153
.LBB167_1152:
	s_mov_b32 s55, 0
.LBB167_1153:
	s_delay_alu instid0(SALU_CYCLE_1)
	s_and_b32 vcc_lo, exec_lo, s55
	s_cbranch_vccz .LBB167_1169
; %bb.1154:
	s_cmp_lt_i32 s53, 27
	s_mov_b32 s54, -1
	s_cbranch_scc1 .LBB167_1160
; %bb.1155:
	s_cmp_gt_i32 s53, 27
	s_cbranch_scc0 .LBB167_1157
; %bb.1156:
	s_wait_xcnt 0x0
	v_lshlrev_b32_e32 v4, 16, v1
	s_mov_b32 s54, 0
	s_delay_alu instid0(VALU_DEP_1)
	v_cvt_u32_f32_e32 v4, v4
	global_store_b32 v[2:3], v4, off
.LBB167_1157:
	s_and_not1_b32 vcc_lo, exec_lo, s54
	s_cbranch_vccnz .LBB167_1159
; %bb.1158:
	s_wait_xcnt 0x0
	v_lshlrev_b32_e32 v4, 16, v1
	s_delay_alu instid0(VALU_DEP_1)
	v_cvt_u32_f32_e32 v4, v4
	global_store_b16 v[2:3], v4, off
.LBB167_1159:
	s_mov_b32 s54, 0
.LBB167_1160:
	s_delay_alu instid0(SALU_CYCLE_1)
	s_and_not1_b32 vcc_lo, exec_lo, s54
	s_cbranch_vccnz .LBB167_1168
; %bb.1161:
	v_dual_mov_b32 v7, 0x80 :: v_dual_lshlrev_b32 v6, 16, v1
	s_mov_b32 s54, exec_lo
	s_wait_xcnt 0x0
	s_delay_alu instid0(VALU_DEP_1) | instskip(NEXT) | instid1(VALU_DEP_1)
	v_and_b32_e32 v5, 0x7fffffff, v6
	v_cmpx_gt_u32_e32 0x43800000, v5
	s_cbranch_execz .LBB167_1167
; %bb.1162:
	v_and_b32_e32 v4, 0xffff, v1
	v_cmp_lt_u32_e32 vcc_lo, 0x3bffffff, v5
	s_mov_b32 s55, 0
                                        ; implicit-def: $vgpr5
	s_and_saveexec_b32 s56, vcc_lo
	s_delay_alu instid0(SALU_CYCLE_1)
	s_xor_b32 s56, exec_lo, s56
	s_cbranch_execz .LBB167_2159
; %bb.1163:
	v_bfe_u32 v5, v4, 4, 1
	s_mov_b32 s55, exec_lo
	s_delay_alu instid0(VALU_DEP_1) | instskip(NEXT) | instid1(VALU_DEP_1)
	v_add3_u32 v5, v6, v5, 0x487ffff
                                        ; implicit-def: $vgpr6
	v_lshrrev_b32_e32 v5, 20, v5
	s_and_not1_saveexec_b32 s56, s56
	s_cbranch_execnz .LBB167_2160
.LBB167_1164:
	s_or_b32 exec_lo, exec_lo, s56
	v_mov_b32_e32 v7, 0
	s_and_saveexec_b32 s56, s55
.LBB167_1165:
	v_lshrrev_b32_e32 v4, 8, v4
	s_delay_alu instid0(VALU_DEP_1)
	v_and_or_b32 v7, 0x80, v4, v5
.LBB167_1166:
	s_or_b32 exec_lo, exec_lo, s56
.LBB167_1167:
	s_delay_alu instid0(SALU_CYCLE_1)
	s_or_b32 exec_lo, exec_lo, s54
	global_store_b8 v[2:3], v7, off
.LBB167_1168:
	s_mov_b32 s54, -1
.LBB167_1169:
	s_mov_b32 s55, 0
.LBB167_1170:
	s_delay_alu instid0(SALU_CYCLE_1)
	s_and_b32 vcc_lo, exec_lo, s55
	s_cbranch_vccz .LBB167_1211
; %bb.1171:
	s_cmp_gt_i32 s53, 22
	s_mov_b32 s55, -1
	s_cbranch_scc0 .LBB167_1203
; %bb.1172:
	s_cmp_lt_i32 s53, 24
	s_mov_b32 s54, -1
	s_cbranch_scc1 .LBB167_1192
; %bb.1173:
	s_cmp_gt_i32 s53, 24
	s_cbranch_scc0 .LBB167_1181
; %bb.1174:
	s_wait_xcnt 0x0
	v_dual_mov_b32 v7, 0x80 :: v_dual_lshlrev_b32 v6, 16, v1
	s_mov_b32 s54, exec_lo
	s_delay_alu instid0(VALU_DEP_1) | instskip(NEXT) | instid1(VALU_DEP_1)
	v_and_b32_e32 v5, 0x7fffffff, v6
	v_cmpx_gt_u32_e32 0x47800000, v5
	s_cbranch_execz .LBB167_1180
; %bb.1175:
	v_and_b32_e32 v4, 0xffff, v1
	v_cmp_lt_u32_e32 vcc_lo, 0x37ffffff, v5
	s_mov_b32 s55, 0
                                        ; implicit-def: $vgpr5
	s_and_saveexec_b32 s56, vcc_lo
	s_delay_alu instid0(SALU_CYCLE_1)
	s_xor_b32 s56, exec_lo, s56
	s_cbranch_execz .LBB167_2312
; %bb.1176:
	v_bfe_u32 v5, v4, 5, 1
	s_mov_b32 s55, exec_lo
	s_delay_alu instid0(VALU_DEP_1) | instskip(NEXT) | instid1(VALU_DEP_1)
	v_add3_u32 v5, v6, v5, 0x88fffff
                                        ; implicit-def: $vgpr6
	v_lshrrev_b32_e32 v5, 21, v5
	s_and_not1_saveexec_b32 s56, s56
	s_cbranch_execnz .LBB167_2313
.LBB167_1177:
	s_or_b32 exec_lo, exec_lo, s56
	v_mov_b32_e32 v7, 0
	s_and_saveexec_b32 s56, s55
.LBB167_1178:
	v_lshrrev_b32_e32 v4, 8, v4
	s_delay_alu instid0(VALU_DEP_1)
	v_and_or_b32 v7, 0x80, v4, v5
.LBB167_1179:
	s_or_b32 exec_lo, exec_lo, s56
.LBB167_1180:
	s_delay_alu instid0(SALU_CYCLE_1)
	s_or_b32 exec_lo, exec_lo, s54
	s_mov_b32 s54, 0
	global_store_b8 v[2:3], v7, off
.LBB167_1181:
	s_and_b32 vcc_lo, exec_lo, s54
	s_cbranch_vccz .LBB167_1191
; %bb.1182:
	v_lshlrev_b32_e32 v6, 16, v1
	s_wait_xcnt 0x0
	v_and_b32_e32 v4, 0xffff, v1
	s_mov_b32 s54, exec_lo
                                        ; implicit-def: $vgpr5
	s_delay_alu instid0(VALU_DEP_2) | instskip(NEXT) | instid1(VALU_DEP_1)
	v_and_b32_e32 v7, 0x7fffffff, v6
	v_cmpx_gt_u32_e32 0x43f00000, v7
	s_xor_b32 s54, exec_lo, s54
	s_cbranch_execz .LBB167_1188
; %bb.1183:
	s_mov_b32 s55, exec_lo
                                        ; implicit-def: $vgpr5
	v_cmpx_lt_u32_e32 0x3c7fffff, v7
	s_xor_b32 s55, exec_lo, s55
; %bb.1184:
	v_bfe_u32 v5, v4, 4, 1
	s_delay_alu instid0(VALU_DEP_1) | instskip(NEXT) | instid1(VALU_DEP_1)
	v_add3_u32 v5, v6, v5, 0x407ffff
	v_and_b32_e32 v6, 0xff00000, v5
	v_lshrrev_b32_e32 v5, 20, v5
	s_delay_alu instid0(VALU_DEP_2) | instskip(NEXT) | instid1(VALU_DEP_2)
	v_cmp_ne_u32_e32 vcc_lo, 0x7f00000, v6
                                        ; implicit-def: $vgpr6
	v_cndmask_b32_e32 v5, 0x7e, v5, vcc_lo
; %bb.1185:
	s_and_not1_saveexec_b32 s55, s55
; %bb.1186:
	v_add_f32_e64 v5, 0x46800000, |v6|
; %bb.1187:
	s_or_b32 exec_lo, exec_lo, s55
                                        ; implicit-def: $vgpr7
.LBB167_1188:
	s_and_not1_saveexec_b32 s54, s54
; %bb.1189:
	v_mov_b32_e32 v5, 0x7f
	v_cmp_lt_u32_e32 vcc_lo, 0x7f800000, v7
	s_delay_alu instid0(VALU_DEP_2)
	v_cndmask_b32_e32 v5, 0x7e, v5, vcc_lo
; %bb.1190:
	s_or_b32 exec_lo, exec_lo, s54
	v_lshrrev_b32_e32 v4, 8, v4
	s_delay_alu instid0(VALU_DEP_1)
	v_and_or_b32 v4, 0x80, v4, v5
	global_store_b8 v[2:3], v4, off
.LBB167_1191:
	s_mov_b32 s54, 0
.LBB167_1192:
	s_delay_alu instid0(SALU_CYCLE_1)
	s_and_not1_b32 vcc_lo, exec_lo, s54
	s_cbranch_vccnz .LBB167_1202
; %bb.1193:
	v_lshlrev_b32_e32 v6, 16, v1
	s_wait_xcnt 0x0
	v_and_b32_e32 v4, 0xffff, v1
	s_mov_b32 s54, exec_lo
                                        ; implicit-def: $vgpr5
	s_delay_alu instid0(VALU_DEP_2) | instskip(NEXT) | instid1(VALU_DEP_1)
	v_and_b32_e32 v7, 0x7fffffff, v6
	v_cmpx_gt_u32_e32 0x47800000, v7
	s_xor_b32 s54, exec_lo, s54
	s_cbranch_execz .LBB167_1199
; %bb.1194:
	s_mov_b32 s55, exec_lo
                                        ; implicit-def: $vgpr5
	v_cmpx_lt_u32_e32 0x387fffff, v7
	s_xor_b32 s55, exec_lo, s55
; %bb.1195:
	v_bfe_u32 v5, v4, 5, 1
	s_delay_alu instid0(VALU_DEP_1) | instskip(NEXT) | instid1(VALU_DEP_1)
	v_add3_u32 v5, v6, v5, 0x80fffff
                                        ; implicit-def: $vgpr6
	v_lshrrev_b32_e32 v5, 21, v5
; %bb.1196:
	s_and_not1_saveexec_b32 s55, s55
; %bb.1197:
	v_add_f32_e64 v5, 0x43000000, |v6|
; %bb.1198:
	s_or_b32 exec_lo, exec_lo, s55
                                        ; implicit-def: $vgpr7
.LBB167_1199:
	s_and_not1_saveexec_b32 s54, s54
; %bb.1200:
	v_mov_b32_e32 v5, 0x7f
	v_cmp_lt_u32_e32 vcc_lo, 0x7f800000, v7
	s_delay_alu instid0(VALU_DEP_2)
	v_cndmask_b32_e32 v5, 0x7c, v5, vcc_lo
; %bb.1201:
	s_or_b32 exec_lo, exec_lo, s54
	v_lshrrev_b32_e32 v4, 8, v4
	s_delay_alu instid0(VALU_DEP_1)
	v_and_or_b32 v4, 0x80, v4, v5
	global_store_b8 v[2:3], v4, off
.LBB167_1202:
	s_mov_b32 s55, 0
	s_mov_b32 s54, -1
.LBB167_1203:
	s_and_not1_b32 vcc_lo, exec_lo, s55
	s_cbranch_vccnz .LBB167_1211
; %bb.1204:
	s_cmp_gt_i32 s53, 14
	s_mov_b32 s55, -1
	s_cbranch_scc0 .LBB167_1208
; %bb.1205:
	s_cmp_eq_u32 s53, 15
	s_mov_b32 s0, -1
	s_cbranch_scc0 .LBB167_1207
; %bb.1206:
	s_mov_b32 s54, -1
	s_mov_b32 s0, 0
	global_store_b16 v[2:3], v1, off
.LBB167_1207:
	s_mov_b32 s55, 0
.LBB167_1208:
	s_delay_alu instid0(SALU_CYCLE_1)
	s_and_b32 vcc_lo, exec_lo, s55
	s_cbranch_vccz .LBB167_1211
; %bb.1209:
	s_cmp_eq_u32 s53, 11
	s_mov_b32 s0, -1
	s_cbranch_scc0 .LBB167_1211
; %bb.1210:
	s_wait_xcnt 0x0
	v_and_b32_e32 v4, 0x7fff, v1
	s_mov_b32 s0, 0
	s_mov_b32 s54, -1
	s_delay_alu instid0(VALU_DEP_1)
	v_cmp_ne_u16_e32 vcc_lo, 0, v4
	v_cndmask_b32_e64 v4, 0, 1, vcc_lo
	global_store_b8 v[2:3], v4, off
.LBB167_1211:
	s_mov_b32 s53, 0
.LBB167_1212:
	s_delay_alu instid0(SALU_CYCLE_1)
	s_and_b32 vcc_lo, exec_lo, s53
	s_cbranch_vccz .LBB167_1251
; %bb.1213:
	s_and_b32 s27, 0xffff, s27
	s_mov_b32 s53, -1
	s_cmp_lt_i32 s27, 5
	s_cbranch_scc1 .LBB167_1234
; %bb.1214:
	s_cmp_lt_i32 s27, 8
	s_cbranch_scc1 .LBB167_1224
; %bb.1215:
	s_cmp_lt_i32 s27, 9
	s_cbranch_scc1 .LBB167_1221
; %bb.1216:
	s_cmp_gt_i32 s27, 9
	s_cbranch_scc0 .LBB167_1218
; %bb.1217:
	s_wait_xcnt 0x0
	v_dual_lshlrev_b32 v4, 16, v1 :: v_dual_mov_b32 v6, 0
	s_mov_b32 s53, 0
	s_delay_alu instid0(VALU_DEP_1) | instskip(NEXT) | instid1(VALU_DEP_2)
	v_cvt_f64_f32_e32 v[4:5], v4
	v_mov_b32_e32 v7, v6
	global_store_b128 v[2:3], v[4:7], off
.LBB167_1218:
	s_and_not1_b32 vcc_lo, exec_lo, s53
	s_cbranch_vccnz .LBB167_1220
; %bb.1219:
	s_wait_xcnt 0x0
	v_dual_mov_b32 v5, 0 :: v_dual_lshlrev_b32 v4, 16, v1
	global_store_b64 v[2:3], v[4:5], off
.LBB167_1220:
	s_mov_b32 s53, 0
.LBB167_1221:
	s_delay_alu instid0(SALU_CYCLE_1)
	s_and_not1_b32 vcc_lo, exec_lo, s53
	s_cbranch_vccnz .LBB167_1223
; %bb.1222:
	s_wait_xcnt 0x0
	v_lshlrev_b32_e32 v4, 16, v1
	s_delay_alu instid0(VALU_DEP_1) | instskip(NEXT) | instid1(VALU_DEP_1)
	v_cvt_f16_f32_e32 v4, v4
	v_and_b32_e32 v4, 0xffff, v4
	global_store_b32 v[2:3], v4, off
.LBB167_1223:
	s_mov_b32 s53, 0
.LBB167_1224:
	s_delay_alu instid0(SALU_CYCLE_1)
	s_and_not1_b32 vcc_lo, exec_lo, s53
	s_cbranch_vccnz .LBB167_1233
; %bb.1225:
	s_cmp_lt_i32 s27, 6
	s_mov_b32 s53, -1
	s_cbranch_scc1 .LBB167_1231
; %bb.1226:
	s_cmp_gt_i32 s27, 6
	s_cbranch_scc0 .LBB167_1228
; %bb.1227:
	s_wait_xcnt 0x0
	v_lshlrev_b32_e32 v4, 16, v1
	s_mov_b32 s53, 0
	s_delay_alu instid0(VALU_DEP_1)
	v_cvt_f64_f32_e32 v[4:5], v4
	global_store_b64 v[2:3], v[4:5], off
.LBB167_1228:
	s_and_not1_b32 vcc_lo, exec_lo, s53
	s_cbranch_vccnz .LBB167_1230
; %bb.1229:
	s_wait_xcnt 0x0
	v_lshlrev_b32_e32 v4, 16, v1
	global_store_b32 v[2:3], v4, off
.LBB167_1230:
	s_mov_b32 s53, 0
.LBB167_1231:
	s_delay_alu instid0(SALU_CYCLE_1)
	s_and_not1_b32 vcc_lo, exec_lo, s53
	s_cbranch_vccnz .LBB167_1233
; %bb.1232:
	s_wait_xcnt 0x0
	v_lshlrev_b32_e32 v4, 16, v1
	s_delay_alu instid0(VALU_DEP_1)
	v_cvt_f16_f32_e32 v4, v4
	global_store_b16 v[2:3], v4, off
.LBB167_1233:
	s_mov_b32 s53, 0
.LBB167_1234:
	s_delay_alu instid0(SALU_CYCLE_1)
	s_and_not1_b32 vcc_lo, exec_lo, s53
	s_cbranch_vccnz .LBB167_1250
; %bb.1235:
	s_cmp_lt_i32 s27, 2
	s_mov_b32 s53, -1
	s_cbranch_scc1 .LBB167_1245
; %bb.1236:
	s_cmp_lt_i32 s27, 3
	s_cbranch_scc1 .LBB167_1242
; %bb.1237:
	s_cmp_gt_i32 s27, 3
	s_cbranch_scc0 .LBB167_1239
; %bb.1238:
	s_wait_xcnt 0x0
	v_lshlrev_b32_e32 v4, 16, v1
	s_mov_b32 s53, 0
	s_delay_alu instid0(VALU_DEP_1) | instskip(NEXT) | instid1(VALU_DEP_1)
	v_trunc_f32_e32 v4, v4
	v_mul_f32_e64 v5, 0x2f800000, |v4|
	s_delay_alu instid0(VALU_DEP_1) | instskip(NEXT) | instid1(VALU_DEP_1)
	v_floor_f32_e32 v5, v5
	v_fma_f32 v6, 0xcf800000, v5, |v4|
	v_ashrrev_i32_e32 v4, 31, v4
	v_cvt_u32_f32_e32 v7, v5
	s_delay_alu instid0(VALU_DEP_3) | instskip(NEXT) | instid1(VALU_DEP_2)
	v_cvt_u32_f32_e32 v6, v6
	v_dual_mov_b32 v5, v4 :: v_dual_bitop2_b32 v7, v7, v4 bitop3:0x14
	s_delay_alu instid0(VALU_DEP_2) | instskip(NEXT) | instid1(VALU_DEP_1)
	v_xor_b32_e32 v6, v6, v4
	v_sub_nc_u64_e32 v[4:5], v[6:7], v[4:5]
	global_store_b64 v[2:3], v[4:5], off
.LBB167_1239:
	s_and_not1_b32 vcc_lo, exec_lo, s53
	s_cbranch_vccnz .LBB167_1241
; %bb.1240:
	s_wait_xcnt 0x0
	v_lshlrev_b32_e32 v4, 16, v1
	s_delay_alu instid0(VALU_DEP_1)
	v_cvt_i32_f32_e32 v4, v4
	global_store_b32 v[2:3], v4, off
.LBB167_1241:
	s_mov_b32 s53, 0
.LBB167_1242:
	s_delay_alu instid0(SALU_CYCLE_1)
	s_and_not1_b32 vcc_lo, exec_lo, s53
	s_cbranch_vccnz .LBB167_1244
; %bb.1243:
	s_wait_xcnt 0x0
	v_lshlrev_b32_e32 v4, 16, v1
	s_delay_alu instid0(VALU_DEP_1)
	v_cvt_i32_f32_e32 v4, v4
	global_store_b16 v[2:3], v4, off
.LBB167_1244:
	s_mov_b32 s53, 0
.LBB167_1245:
	s_delay_alu instid0(SALU_CYCLE_1)
	s_and_not1_b32 vcc_lo, exec_lo, s53
	s_cbranch_vccnz .LBB167_1250
; %bb.1246:
	s_cmp_gt_i32 s27, 0
	s_mov_b32 s27, -1
	s_cbranch_scc0 .LBB167_1248
; %bb.1247:
	s_wait_xcnt 0x0
	v_lshlrev_b32_e32 v4, 16, v1
	s_mov_b32 s27, 0
	s_delay_alu instid0(VALU_DEP_1)
	v_cvt_i32_f32_e32 v4, v4
	global_store_b8 v[2:3], v4, off
.LBB167_1248:
	s_and_not1_b32 vcc_lo, exec_lo, s27
	s_cbranch_vccnz .LBB167_1250
; %bb.1249:
	s_wait_xcnt 0x0
	v_lshlrev_b32_e32 v1, 16, v1
	s_delay_alu instid0(VALU_DEP_1) | instskip(NEXT) | instid1(VALU_DEP_1)
	v_trunc_f32_e32 v1, v1
	v_mul_f32_e64 v4, 0x2f800000, |v1|
	s_delay_alu instid0(VALU_DEP_1) | instskip(NEXT) | instid1(VALU_DEP_1)
	v_floor_f32_e32 v4, v4
	v_fma_f32 v4, 0xcf800000, v4, |v1|
	v_ashrrev_i32_e32 v1, 31, v1
	s_delay_alu instid0(VALU_DEP_2) | instskip(NEXT) | instid1(VALU_DEP_1)
	v_cvt_u32_f32_e32 v4, v4
	v_xor_b32_e32 v4, v4, v1
	s_delay_alu instid0(VALU_DEP_1)
	v_sub_nc_u32_e32 v1, v4, v1
	global_store_b8 v[2:3], v1, off
.LBB167_1250:
	s_mov_b32 s54, -1
.LBB167_1251:
	s_delay_alu instid0(SALU_CYCLE_1)
	s_and_not1_b32 vcc_lo, exec_lo, s54
	s_cbranch_vccnz .LBB167_1274
; %bb.1252:
	v_add_nc_u32_e32 v0, 0x80, v0
	s_mov_b32 s27, -1
.LBB167_1253:
	s_and_not1_b32 s53, s48, exec_lo
	s_and_b32 s0, s0, exec_lo
	s_and_not1_b32 s54, s49, exec_lo
	s_and_b32 s26, s26, exec_lo
	s_or_b32 s55, s53, s0
	s_or_b32 s53, s54, s26
	s_and_not1_b32 s0, s50, exec_lo
	s_and_b32 s24, s24, exec_lo
	s_and_not1_b32 s26, s47, exec_lo
	s_and_b32 s25, s25, exec_lo
	s_or_b32 s54, s0, s24
	s_or_b32 s0, s26, s25
	s_or_not1_b32 s25, s27, exec_lo
.LBB167_1254:
	s_wait_xcnt 0x0
	s_or_b32 exec_lo, exec_lo, s52
	s_mov_b32 s24, 0
                                        ; implicit-def: $vgpr4
                                        ; implicit-def: $vgpr6
                                        ; implicit-def: $vgpr2
	s_and_saveexec_b32 s52, s25
	s_cbranch_execz .LBB167_1289
; %bb.1255:
	v_cmp_gt_i32_e32 vcc_lo, s40, v0
	s_mov_b32 s25, s0
                                        ; implicit-def: $vgpr4
                                        ; implicit-def: $vgpr6
                                        ; implicit-def: $vgpr2
	s_and_saveexec_b32 s40, vcc_lo
	s_cbranch_execz .LBB167_1288
; %bb.1256:
	s_and_not1_b32 vcc_lo, exec_lo, s30
	s_cbranch_vccnz .LBB167_1262
; %bb.1257:
	s_and_not1_b32 vcc_lo, exec_lo, s41
	s_cbranch_vccnz .LBB167_1263
; %bb.1258:
	s_wait_loadcnt 0x0
	v_dual_mov_b32 v2, 0 :: v_dual_mov_b32 v1, v0
	v_dual_mov_b32 v6, 0 :: v_dual_mov_b32 v4, 0
	s_add_co_i32 s26, s39, 1
	s_mov_b64 s[24:25], 0xffffffffffffffe0
	s_and_b32 s41, s26, 30
	s_add_nc_u64 s[24:25], s[2:3], s[24:25]
	s_mov_b64 s[26:27], s[2:3]
.LBB167_1259:                           ; =>This Inner Loop Header: Depth=1
	s_clause 0x1
	s_load_b128 s[56:59], s[26:27], 0x4
	s_load_b64 s[60:61], s[26:27], 0x14
	s_load_b32 s62, s[24:25], 0xe4
	s_add_co_i32 s41, s41, -2
	s_wait_xcnt 0x0
	s_add_nc_u64 s[26:27], s[26:27], 24
	s_cmp_eq_u32 s41, 0
	s_wait_kmcnt 0x0
	v_mul_hi_u32 v3, s57, v1
	s_delay_alu instid0(VALU_DEP_1) | instskip(NEXT) | instid1(VALU_DEP_1)
	v_add_nc_u32_e32 v3, v1, v3
	v_lshrrev_b32_e32 v3, s58, v3
	s_delay_alu instid0(VALU_DEP_1) | instskip(SKIP_2) | instid1(VALU_DEP_1)
	v_mul_hi_u32 v5, s60, v3
	v_mul_lo_u32 v7, v3, s56
	s_load_b96 s[56:58], s[24:25], 0xec
	v_dual_add_nc_u32 v5, v3, v5 :: v_dual_sub_nc_u32 v7, v1, v7
	s_delay_alu instid0(VALU_DEP_1) | instskip(SKIP_1) | instid1(VALU_DEP_2)
	v_lshrrev_b32_e32 v1, s61, v5
	s_load_b64 s[60:61], s[24:25], 0xfc
	v_mad_u32 v2, v7, s62, v2
	s_wait_xcnt 0x0
	s_add_nc_u64 s[24:25], s[24:25], 32
	v_mul_lo_u32 v5, v1, s59
	s_wait_kmcnt 0x0
	v_mad_u32 v4, v7, s57, v4
	v_mad_u32 v6, v7, s56, v6
	s_delay_alu instid0(VALU_DEP_3) | instskip(NEXT) | instid1(VALU_DEP_1)
	v_sub_nc_u32_e32 v3, v3, v5
	v_mad_u32 v2, v3, s58, v2
	s_delay_alu instid0(VALU_DEP_4) | instskip(NEXT) | instid1(VALU_DEP_4)
	v_mad_u32 v4, v3, s61, v4
	v_mad_u32 v6, v3, s60, v6
	s_cbranch_scc0 .LBB167_1259
; %bb.1260:
	s_bitcmp1_b32 s39, 0
	s_cselect_b32 s39, -1, 0
	s_delay_alu instid0(SALU_CYCLE_1)
	s_and_b32 vcc_lo, exec_lo, s39
	s_cbranch_vccnz .LBB167_1264
; %bb.1261:
	s_load_b96 s[56:58], s[26:27], 0x4
	s_load_b32 s39, s[24:25], 0xe4
	s_wait_xcnt 0x0
	s_load_b64 s[26:27], s[24:25], 0xec
	s_wait_kmcnt 0x0
	v_mul_hi_u32 v3, s57, v1
	s_delay_alu instid0(VALU_DEP_1) | instskip(NEXT) | instid1(VALU_DEP_1)
	v_add_nc_u32_e32 v3, v1, v3
	v_lshrrev_b32_e32 v3, s58, v3
	s_delay_alu instid0(VALU_DEP_1) | instskip(NEXT) | instid1(VALU_DEP_1)
	v_mul_lo_u32 v3, v3, s56
	v_sub_nc_u32_e32 v1, v1, v3
	s_delay_alu instid0(VALU_DEP_1)
	v_mad_u32 v2, v1, s39, v2
	v_mad_u32 v6, v1, s26, v6
	;; [unrolled: 1-line block ×3, first 2 shown]
	s_branch .LBB167_1264
.LBB167_1262:
	s_mov_b32 s24, -1
                                        ; implicit-def: $vgpr4
                                        ; implicit-def: $vgpr6
                                        ; implicit-def: $vgpr2
	s_branch .LBB167_1265
.LBB167_1263:
	v_dual_mov_b32 v4, 0 :: v_dual_mov_b32 v6, 0
	v_mov_b32_e32 v2, 0
.LBB167_1264:
	s_mov_b32 s24, 0
.LBB167_1265:
	s_delay_alu instid0(SALU_CYCLE_1)
	s_and_not1_b32 vcc_lo, exec_lo, s24
	s_cbranch_vccnz .LBB167_1268
; %bb.1266:
	s_wait_loadcnt 0x0
	v_mov_b32_e32 v1, 0
	s_and_not1_b32 vcc_lo, exec_lo, s38
	s_delay_alu instid0(VALU_DEP_1) | instskip(NEXT) | instid1(VALU_DEP_1)
	v_mul_u64_e32 v[2:3], s[18:19], v[0:1]
	v_add_nc_u32_e32 v2, v0, v3
	s_delay_alu instid0(VALU_DEP_1) | instskip(NEXT) | instid1(VALU_DEP_1)
	v_lshrrev_b32_e32 v8, s10, v2
	v_mul_lo_u32 v2, v8, s8
	s_delay_alu instid0(VALU_DEP_1) | instskip(NEXT) | instid1(VALU_DEP_1)
	v_sub_nc_u32_e32 v0, v0, v2
	v_mul_lo_u32 v2, v0, s37
	v_mul_lo_u32 v4, v0, s13
	;; [unrolled: 1-line block ×3, first 2 shown]
	s_cbranch_vccnz .LBB167_1268
; %bb.1267:
	v_mov_b32_e32 v9, v1
	s_delay_alu instid0(VALU_DEP_1) | instskip(NEXT) | instid1(VALU_DEP_1)
	v_mul_u64_e32 v[0:1], s[22:23], v[8:9]
	v_add_nc_u32_e32 v0, v8, v1
	s_delay_alu instid0(VALU_DEP_1) | instskip(NEXT) | instid1(VALU_DEP_1)
	v_lshrrev_b32_e32 v0, s1, v0
	v_mul_lo_u32 v0, v0, s11
	s_delay_alu instid0(VALU_DEP_1) | instskip(NEXT) | instid1(VALU_DEP_1)
	v_sub_nc_u32_e32 v0, v8, v0
	v_mad_u32 v2, v0, s14, v2
	v_mad_u32 v6, v0, s20, v6
	;; [unrolled: 1-line block ×3, first 2 shown]
.LBB167_1268:
	s_and_b32 s10, s36, 0xff
	s_delay_alu instid0(SALU_CYCLE_1)
	s_cmp_lt_i32 s10, 23
	s_cbranch_scc1 .LBB167_1272
; %bb.1269:
	s_and_b32 s11, 0xffff, s10
	s_delay_alu instid0(SALU_CYCLE_1)
	s_cmp_gt_i32 s11, 43
	s_cbranch_scc0 .LBB167_1273
; %bb.1270:
	s_cmp_gt_i32 s11, 45
	s_cbranch_scc0 .LBB167_1275
; %bb.1271:
	s_cmp_lg_u32 s11, 46
	s_mov_b32 s12, 0
	s_cselect_b32 s1, -1, 0
	s_and_not1_b32 s8, s0, exec_lo
	s_and_b32 s13, s1, exec_lo
	s_mov_b32 s1, -1
	s_or_b32 s8, s8, s13
	s_branch .LBB167_1276
.LBB167_1272:
	s_mov_b32 s11, -1
	s_mov_b32 s1, 0
	s_mov_b32 s8, s0
	s_branch .LBB167_1282
.LBB167_1273:
	s_mov_b32 s12, -1
	s_mov_b32 s1, 0
	s_mov_b32 s8, s0
	s_branch .LBB167_1279
.LBB167_1274:
	s_mov_b32 s27, 0
	s_branch .LBB167_874
.LBB167_1275:
	s_mov_b32 s12, -1
	s_mov_b32 s1, 0
	s_mov_b32 s8, s0
.LBB167_1276:
	s_and_not1_b32 vcc_lo, exec_lo, s12
	s_cbranch_vccnz .LBB167_1278
; %bb.1277:
	s_cmp_eq_u32 s11, 44
	s_cselect_b32 s1, -1, 0
	s_cmp_lg_u32 s11, 44
	s_cselect_b32 s12, -1, 0
	s_and_not1_b32 s8, s8, exec_lo
	s_and_b32 s12, s12, exec_lo
	s_delay_alu instid0(SALU_CYCLE_1)
	s_or_b32 s8, s8, s12
.LBB167_1278:
	s_mov_b32 s12, 0
.LBB167_1279:
	s_delay_alu instid0(SALU_CYCLE_1)
	s_and_b32 vcc_lo, exec_lo, s12
	s_cbranch_vccz .LBB167_1281
; %bb.1280:
	s_cmp_lt_i32 s11, 30
	s_cselect_b32 s1, -1, 0
	s_cmp_gt_i32 s11, 29
	s_cselect_b32 s11, -1, 0
	s_and_not1_b32 s8, s8, exec_lo
	s_and_b32 s11, s11, exec_lo
	s_delay_alu instid0(SALU_CYCLE_1)
	s_or_b32 s8, s8, s11
.LBB167_1281:
	s_mov_b32 s11, 0
.LBB167_1282:
	s_delay_alu instid0(SALU_CYCLE_1)
	s_and_b32 vcc_lo, exec_lo, s11
	s_cbranch_vccz .LBB167_1287
; %bb.1283:
	s_and_b32 s10, 0xffff, s10
	s_mov_b32 s11, -1
	s_cmp_gt_i32 s10, 14
	s_cbranch_scc0 .LBB167_1285
; %bb.1284:
	s_cmp_eq_u32 s10, 15
	s_cselect_b32 s1, -1, 0
	s_cmp_lg_u32 s10, 15
	s_cselect_b32 s11, -1, 0
	s_and_not1_b32 s8, s8, exec_lo
	s_and_b32 s12, s11, exec_lo
	s_mov_b32 s11, 0
	s_or_b32 s8, s8, s12
.LBB167_1285:
	s_and_not1_b32 vcc_lo, exec_lo, s11
	s_cbranch_vccnz .LBB167_1287
; %bb.1286:
	s_cmp_lt_i32 s10, 12
	s_cselect_b32 s1, -1, 0
	s_cmp_gt_i32 s10, 11
	s_cselect_b32 s10, -1, 0
	s_and_not1_b32 s8, s8, exec_lo
	s_and_b32 s10, s10, exec_lo
	s_delay_alu instid0(SALU_CYCLE_1)
	s_or_b32 s8, s8, s10
.LBB167_1287:
	s_and_not1_b32 s10, s0, exec_lo
	s_and_b32 s8, s8, exec_lo
	s_and_b32 s24, s1, exec_lo
	s_or_b32 s25, s10, s8
.LBB167_1288:
	s_or_b32 exec_lo, exec_lo, s40
	s_delay_alu instid0(SALU_CYCLE_1)
	s_and_not1_b32 s0, s0, exec_lo
	s_and_b32 s1, s25, exec_lo
	s_and_b32 s24, s24, exec_lo
	s_or_b32 s0, s0, s1
.LBB167_1289:
	s_or_b32 exec_lo, exec_lo, s52
	s_delay_alu instid0(SALU_CYCLE_1)
	s_and_not1_b32 s1, s48, exec_lo
	s_and_b32 s8, s55, exec_lo
	s_and_not1_b32 s10, s50, exec_lo
	s_or_b32 s48, s1, s8
	s_and_not1_b32 s1, s49, exec_lo
	s_and_b32 s8, s53, exec_lo
	s_and_b32 s11, s54, exec_lo
	s_or_b32 s49, s1, s8
	s_and_not1_b32 s1, s47, exec_lo
	s_and_b32 s8, s0, exec_lo
	s_or_b32 s50, s10, s11
	s_and_b32 s0, s24, exec_lo
	s_or_b32 s47, s1, s8
.LBB167_1290:
	s_or_b32 exec_lo, exec_lo, s51
	s_delay_alu instid0(SALU_CYCLE_1)
	s_and_not1_b32 s1, s42, exec_lo
	s_and_b32 s8, s48, exec_lo
	s_and_not1_b32 s10, s44, exec_lo
	s_or_b32 s42, s1, s8
	s_and_not1_b32 s1, s43, exec_lo
	s_and_b32 s8, s49, exec_lo
	s_and_b32 s11, s50, exec_lo
	s_or_b32 s43, s1, s8
	s_and_not1_b32 s1, s45, exec_lo
	s_and_b32 s8, s47, exec_lo
	s_or_b32 s44, s10, s11
	s_and_b32 s19, s0, exec_lo
	s_or_b32 s45, s1, s8
.LBB167_1291:
	s_or_b32 exec_lo, exec_lo, s46
	s_mov_b32 s11, 0
	s_mov_b32 s1, 0
	s_and_saveexec_b32 s0, s45
	s_cbranch_execnz .LBB167_1306
.LBB167_1292:
	s_or_b32 exec_lo, exec_lo, s0
	s_mov_b32 s12, 0
	s_mov_b32 s10, 0
                                        ; implicit-def: $sgpr0
                                        ; implicit-def: $vgpr0_vgpr1
                                        ; implicit-def: $vgpr3
	s_and_saveexec_b32 s8, s19
	s_cbranch_execz .LBB167_1300
; %bb.1293:
	v_mov_b32_e32 v7, 0
	s_and_b32 s0, s35, 0xff
	s_delay_alu instid0(SALU_CYCLE_1) | instskip(SKIP_1) | instid1(VALU_DEP_1)
	s_cmp_lt_i32 s0, 11
	s_wait_loadcnt 0x0
	v_add_nc_u64_e32 v[0:1], s[4:5], v[6:7]
	s_cbranch_scc1 .LBB167_1303
; %bb.1294:
	s_and_b32 s4, 0xffff, s0
	s_delay_alu instid0(SALU_CYCLE_1)
	s_cmp_gt_i32 s4, 25
	s_cbranch_scc0 .LBB167_1304
; %bb.1295:
	s_cmp_gt_i32 s4, 28
	s_cbranch_scc0 .LBB167_1305
; %bb.1296:
	;; [unrolled: 3-line block ×4, first 2 shown]
	s_cmp_eq_u32 s4, 46
	s_cbranch_scc0 .LBB167_1309
; %bb.1299:
	global_load_b32 v3, v[0:1], off
	s_mov_b32 s5, 0
	s_mov_b32 s10, -1
	s_branch .LBB167_1311
.LBB167_1300:
	s_or_b32 exec_lo, exec_lo, s8
	s_and_saveexec_b32 s4, s44
	s_cbranch_execnz .LBB167_1374
.LBB167_1301:
	s_or_b32 exec_lo, exec_lo, s4
	s_and_saveexec_b32 s4, s11
	s_delay_alu instid0(SALU_CYCLE_1)
	s_xor_b32 s4, exec_lo, s4
	s_cbranch_execz .LBB167_1375
.LBB167_1302:
	s_wait_loadcnt 0x0
	global_load_u8 v3, v[0:1], off
	s_or_b32 s10, s10, exec_lo
	s_wait_loadcnt 0x0
	v_cmp_ne_u16_e32 vcc_lo, 0, v3
	v_cndmask_b32_e64 v3, 0, 1.0, vcc_lo
	s_delay_alu instid0(VALU_DEP_1)
	v_lshrrev_b32_e32 v3, 16, v3
	s_wait_xcnt 0x0
	s_or_b32 exec_lo, exec_lo, s4
	s_and_saveexec_b32 s4, s12
	s_cbranch_execz .LBB167_1421
	s_branch .LBB167_1376
.LBB167_1303:
	s_mov_b32 s4, -1
	s_mov_b32 s5, s44
                                        ; implicit-def: $vgpr3
	s_branch .LBB167_1373
.LBB167_1304:
	s_mov_b32 s5, s44
                                        ; implicit-def: $vgpr3
	s_cbranch_execnz .LBB167_1340
	s_branch .LBB167_1372
.LBB167_1305:
	s_mov_b32 s12, -1
	s_mov_b32 s5, s44
                                        ; implicit-def: $vgpr3
	s_branch .LBB167_1321
.LBB167_1306:
	s_mov_b32 s1, exec_lo
	s_and_not1_b32 s19, s19, exec_lo
	s_trap 2
	s_branch .LBB167_1292
.LBB167_1307:
	s_mov_b32 s12, -1
	s_mov_b32 s5, s44
                                        ; implicit-def: $vgpr3
	s_branch .LBB167_1316
.LBB167_1308:
	s_mov_b32 s12, -1
	s_mov_b32 s5, s44
	s_branch .LBB167_1310
.LBB167_1309:
	s_mov_b32 s5, -1
.LBB167_1310:
                                        ; implicit-def: $vgpr3
.LBB167_1311:
	s_and_b32 vcc_lo, exec_lo, s12
	s_cbranch_vccz .LBB167_1315
; %bb.1312:
	s_cmp_eq_u32 s4, 44
	s_cbranch_scc0 .LBB167_1314
; %bb.1313:
	s_wait_loadcnt 0x0
	global_load_u8 v3, v[0:1], off
	s_mov_b32 s5, 0
	s_mov_b32 s10, -1
	s_wait_loadcnt 0x0
	v_lshlrev_b32_e32 v5, 23, v3
	v_cmp_ne_u32_e32 vcc_lo, 0xff, v3
	s_delay_alu instid0(VALU_DEP_2) | instskip(SKIP_1) | instid1(VALU_DEP_2)
	v_cndmask_b32_e32 v5, 0x7f800001, v5, vcc_lo
	v_cmp_ne_u32_e32 vcc_lo, 0, v3
	v_cndmask_b32_e32 v3, 0x400000, v5, vcc_lo
	s_delay_alu instid0(VALU_DEP_1) | instskip(SKIP_1) | instid1(VALU_DEP_2)
	v_add_nc_u32_e32 v5, 0x7fff, v3
	v_cmp_o_f32_e32 vcc_lo, v3, v3
	v_lshrrev_b32_e32 v5, 16, v5
	s_delay_alu instid0(VALU_DEP_1)
	v_cndmask_b32_e32 v3, 0x7fc0, v5, vcc_lo
	s_branch .LBB167_1315
.LBB167_1314:
	s_mov_b32 s5, -1
                                        ; implicit-def: $vgpr3
.LBB167_1315:
	s_mov_b32 s12, 0
.LBB167_1316:
	s_delay_alu instid0(SALU_CYCLE_1)
	s_and_b32 vcc_lo, exec_lo, s12
	s_cbranch_vccz .LBB167_1320
; %bb.1317:
	s_cmp_eq_u32 s4, 29
	s_cbranch_scc0 .LBB167_1319
; %bb.1318:
	global_load_b64 v[6:7], v[0:1], off
	s_mov_b32 s5, 0
	s_mov_b32 s10, -1
	s_mov_b32 s12, 0
	s_wait_loadcnt 0x0
	v_clz_i32_u32_e32 v3, v7
	s_delay_alu instid0(VALU_DEP_1) | instskip(NEXT) | instid1(VALU_DEP_1)
	v_min_u32_e32 v3, 32, v3
	v_lshlrev_b64_e32 v[6:7], v3, v[6:7]
	v_sub_nc_u32_e32 v3, 32, v3
	s_delay_alu instid0(VALU_DEP_2) | instskip(NEXT) | instid1(VALU_DEP_1)
	v_min_u32_e32 v5, 1, v6
	v_or_b32_e32 v5, v7, v5
	s_delay_alu instid0(VALU_DEP_1) | instskip(NEXT) | instid1(VALU_DEP_1)
	v_cvt_f32_u32_e32 v5, v5
	v_ldexp_f32 v3, v5, v3
	s_delay_alu instid0(VALU_DEP_1) | instskip(NEXT) | instid1(VALU_DEP_1)
	v_bfe_u32 v5, v3, 16, 1
	v_add3_u32 v3, v3, v5, 0x7fff
	s_delay_alu instid0(VALU_DEP_1)
	v_lshrrev_b32_e32 v3, 16, v3
	s_branch .LBB167_1321
.LBB167_1319:
	s_mov_b32 s5, -1
                                        ; implicit-def: $vgpr3
.LBB167_1320:
	s_mov_b32 s12, 0
.LBB167_1321:
	s_delay_alu instid0(SALU_CYCLE_1)
	s_and_b32 vcc_lo, exec_lo, s12
	s_cbranch_vccz .LBB167_1339
; %bb.1322:
	s_cmp_lt_i32 s4, 27
	s_cbranch_scc1 .LBB167_1325
; %bb.1323:
	s_cmp_gt_i32 s4, 27
	s_cbranch_scc0 .LBB167_1326
; %bb.1324:
	s_wait_loadcnt 0x0
	global_load_b32 v3, v[0:1], off
	s_mov_b32 s10, 0
	s_wait_loadcnt 0x0
	v_cvt_f32_u32_e32 v3, v3
	s_delay_alu instid0(VALU_DEP_1) | instskip(NEXT) | instid1(VALU_DEP_1)
	v_bfe_u32 v5, v3, 16, 1
	v_add3_u32 v3, v3, v5, 0x7fff
	s_delay_alu instid0(VALU_DEP_1)
	v_lshrrev_b32_e32 v3, 16, v3
	s_branch .LBB167_1327
.LBB167_1325:
	s_mov_b32 s10, -1
                                        ; implicit-def: $vgpr3
	s_branch .LBB167_1330
.LBB167_1326:
	s_mov_b32 s10, -1
                                        ; implicit-def: $vgpr3
.LBB167_1327:
	s_delay_alu instid0(SALU_CYCLE_1)
	s_and_not1_b32 vcc_lo, exec_lo, s10
	s_cbranch_vccnz .LBB167_1329
; %bb.1328:
	s_wait_loadcnt 0x0
	global_load_u16 v3, v[0:1], off
	s_wait_loadcnt 0x0
	v_cvt_f32_u32_e32 v3, v3
	s_delay_alu instid0(VALU_DEP_1) | instskip(NEXT) | instid1(VALU_DEP_1)
	v_bfe_u32 v5, v3, 16, 1
	v_add3_u32 v3, v3, v5, 0x7fff
	s_delay_alu instid0(VALU_DEP_1)
	v_lshrrev_b32_e32 v3, 16, v3
.LBB167_1329:
	s_mov_b32 s10, 0
.LBB167_1330:
	s_delay_alu instid0(SALU_CYCLE_1)
	s_and_not1_b32 vcc_lo, exec_lo, s10
	s_cbranch_vccnz .LBB167_1338
; %bb.1331:
	s_wait_loadcnt 0x0
	global_load_u8 v3, v[0:1], off
	s_mov_b32 s10, 0
	s_mov_b32 s12, exec_lo
	s_wait_loadcnt 0x0
	v_cmpx_lt_i16_e32 0x7f, v3
	s_xor_b32 s12, exec_lo, s12
	s_cbranch_execz .LBB167_1351
; %bb.1332:
	s_mov_b32 s10, -1
	s_mov_b32 s13, exec_lo
	v_cmpx_eq_u16_e32 0x80, v3
; %bb.1333:
	s_xor_b32 s10, exec_lo, -1
; %bb.1334:
	s_or_b32 exec_lo, exec_lo, s13
	s_delay_alu instid0(SALU_CYCLE_1)
	s_and_b32 s10, s10, exec_lo
	s_or_saveexec_b32 s12, s12
	v_mov_b32_e32 v5, 0x7f800001
	s_xor_b32 exec_lo, exec_lo, s12
	s_cbranch_execnz .LBB167_1352
.LBB167_1335:
	s_or_b32 exec_lo, exec_lo, s12
	s_and_saveexec_b32 s12, s10
	s_cbranch_execz .LBB167_1337
.LBB167_1336:
	v_and_b32_e32 v5, 0xffff, v3
	s_delay_alu instid0(VALU_DEP_1) | instskip(SKIP_1) | instid1(VALU_DEP_2)
	v_and_b32_e32 v6, 7, v5
	v_bfe_u32 v9, v5, 3, 4
	v_clz_i32_u32_e32 v7, v6
	s_delay_alu instid0(VALU_DEP_2) | instskip(NEXT) | instid1(VALU_DEP_2)
	v_cmp_eq_u32_e32 vcc_lo, 0, v9
	v_min_u32_e32 v7, 32, v7
	s_delay_alu instid0(VALU_DEP_1) | instskip(NEXT) | instid1(VALU_DEP_1)
	v_subrev_nc_u32_e32 v8, 28, v7
	v_dual_lshlrev_b32 v5, v8, v5 :: v_dual_sub_nc_u32 v7, 29, v7
	s_delay_alu instid0(VALU_DEP_1) | instskip(NEXT) | instid1(VALU_DEP_1)
	v_dual_lshlrev_b32 v3, 24, v3 :: v_dual_bitop2_b32 v5, 7, v5 bitop3:0x40
	v_dual_cndmask_b32 v5, v6, v5, vcc_lo :: v_dual_cndmask_b32 v7, v9, v7, vcc_lo
	s_delay_alu instid0(VALU_DEP_2) | instskip(NEXT) | instid1(VALU_DEP_2)
	v_and_b32_e32 v3, 0x80000000, v3
	v_lshlrev_b32_e32 v5, 20, v5
	s_delay_alu instid0(VALU_DEP_3) | instskip(NEXT) | instid1(VALU_DEP_1)
	v_lshl_add_u32 v6, v7, 23, 0x3b800000
	v_or3_b32 v5, v3, v6, v5
.LBB167_1337:
	s_or_b32 exec_lo, exec_lo, s12
	s_delay_alu instid0(VALU_DEP_1) | instskip(SKIP_1) | instid1(VALU_DEP_2)
	v_bfe_u32 v3, v5, 16, 1
	v_cmp_o_f32_e32 vcc_lo, v5, v5
	v_add3_u32 v3, v5, v3, 0x7fff
	s_delay_alu instid0(VALU_DEP_1) | instskip(NEXT) | instid1(VALU_DEP_1)
	v_lshrrev_b32_e32 v3, 16, v3
	v_cndmask_b32_e32 v3, 0x7fc0, v3, vcc_lo
.LBB167_1338:
	s_mov_b32 s10, -1
.LBB167_1339:
	s_branch .LBB167_1372
.LBB167_1340:
	s_cmp_gt_i32 s4, 22
	s_cbranch_scc0 .LBB167_1350
; %bb.1341:
	s_cmp_lt_i32 s4, 24
	s_cbranch_scc1 .LBB167_1353
; %bb.1342:
	s_cmp_gt_i32 s4, 24
	s_cbranch_scc0 .LBB167_1354
; %bb.1343:
	s_wait_loadcnt 0x0
	global_load_u8 v3, v[0:1], off
	s_mov_b32 s10, 0
	s_mov_b32 s11, exec_lo
	s_wait_loadcnt 0x0
	v_cmpx_lt_i16_e32 0x7f, v3
	s_xor_b32 s11, exec_lo, s11
	s_cbranch_execz .LBB167_1366
; %bb.1344:
	s_mov_b32 s10, -1
	s_mov_b32 s12, exec_lo
	v_cmpx_eq_u16_e32 0x80, v3
; %bb.1345:
	s_xor_b32 s10, exec_lo, -1
; %bb.1346:
	s_or_b32 exec_lo, exec_lo, s12
	s_delay_alu instid0(SALU_CYCLE_1)
	s_and_b32 s10, s10, exec_lo
	s_or_saveexec_b32 s11, s11
	v_mov_b32_e32 v5, 0x7f800001
	s_xor_b32 exec_lo, exec_lo, s11
	s_cbranch_execnz .LBB167_1367
.LBB167_1347:
	s_or_b32 exec_lo, exec_lo, s11
	s_and_saveexec_b32 s11, s10
	s_cbranch_execz .LBB167_1349
.LBB167_1348:
	v_and_b32_e32 v5, 0xffff, v3
	s_delay_alu instid0(VALU_DEP_1) | instskip(SKIP_1) | instid1(VALU_DEP_2)
	v_and_b32_e32 v6, 3, v5
	v_bfe_u32 v9, v5, 2, 5
	v_clz_i32_u32_e32 v7, v6
	s_delay_alu instid0(VALU_DEP_2) | instskip(NEXT) | instid1(VALU_DEP_2)
	v_cmp_eq_u32_e32 vcc_lo, 0, v9
	v_min_u32_e32 v7, 32, v7
	s_delay_alu instid0(VALU_DEP_1) | instskip(NEXT) | instid1(VALU_DEP_1)
	v_subrev_nc_u32_e32 v8, 29, v7
	v_dual_lshlrev_b32 v5, v8, v5 :: v_dual_sub_nc_u32 v7, 30, v7
	s_delay_alu instid0(VALU_DEP_1) | instskip(NEXT) | instid1(VALU_DEP_1)
	v_dual_lshlrev_b32 v3, 24, v3 :: v_dual_bitop2_b32 v5, 3, v5 bitop3:0x40
	v_dual_cndmask_b32 v5, v6, v5, vcc_lo :: v_dual_cndmask_b32 v7, v9, v7, vcc_lo
	s_delay_alu instid0(VALU_DEP_2) | instskip(NEXT) | instid1(VALU_DEP_2)
	v_and_b32_e32 v3, 0x80000000, v3
	v_lshlrev_b32_e32 v5, 21, v5
	s_delay_alu instid0(VALU_DEP_3) | instskip(NEXT) | instid1(VALU_DEP_1)
	v_lshl_add_u32 v6, v7, 23, 0x37800000
	v_or3_b32 v5, v3, v6, v5
.LBB167_1349:
	s_or_b32 exec_lo, exec_lo, s11
	s_delay_alu instid0(VALU_DEP_1) | instskip(SKIP_2) | instid1(VALU_DEP_2)
	v_bfe_u32 v3, v5, 16, 1
	v_cmp_o_f32_e32 vcc_lo, v5, v5
	s_mov_b32 s10, 0
	v_add3_u32 v3, v5, v3, 0x7fff
	s_delay_alu instid0(VALU_DEP_1) | instskip(NEXT) | instid1(VALU_DEP_1)
	v_lshrrev_b32_e32 v3, 16, v3
	v_cndmask_b32_e32 v3, 0x7fc0, v3, vcc_lo
	s_branch .LBB167_1355
.LBB167_1350:
	s_mov_b32 s11, -1
                                        ; implicit-def: $vgpr3
	s_branch .LBB167_1361
.LBB167_1351:
	s_or_saveexec_b32 s12, s12
	v_mov_b32_e32 v5, 0x7f800001
	s_xor_b32 exec_lo, exec_lo, s12
	s_cbranch_execz .LBB167_1335
.LBB167_1352:
	v_cmp_ne_u16_e32 vcc_lo, 0, v3
	v_mov_b32_e32 v5, 0
	s_and_not1_b32 s10, s10, exec_lo
	s_and_b32 s13, vcc_lo, exec_lo
	s_delay_alu instid0(SALU_CYCLE_1)
	s_or_b32 s10, s10, s13
	s_or_b32 exec_lo, exec_lo, s12
	s_and_saveexec_b32 s12, s10
	s_cbranch_execnz .LBB167_1336
	s_branch .LBB167_1337
.LBB167_1353:
	s_mov_b32 s10, -1
                                        ; implicit-def: $vgpr3
	s_branch .LBB167_1358
.LBB167_1354:
	s_mov_b32 s10, -1
                                        ; implicit-def: $vgpr3
.LBB167_1355:
	s_delay_alu instid0(SALU_CYCLE_1)
	s_and_b32 vcc_lo, exec_lo, s10
	s_cbranch_vccz .LBB167_1357
; %bb.1356:
	s_wait_loadcnt 0x0
	global_load_u8 v3, v[0:1], off
	s_wait_loadcnt 0x0
	v_lshlrev_b32_e32 v3, 24, v3
	s_delay_alu instid0(VALU_DEP_1) | instskip(NEXT) | instid1(VALU_DEP_1)
	v_and_b32_e32 v5, 0x7f000000, v3
	v_clz_i32_u32_e32 v6, v5
	v_cmp_ne_u32_e32 vcc_lo, 0, v5
	v_add_nc_u32_e32 v8, 0x1000000, v5
	s_delay_alu instid0(VALU_DEP_3) | instskip(NEXT) | instid1(VALU_DEP_1)
	v_min_u32_e32 v6, 32, v6
	v_sub_nc_u32_e64 v6, v6, 4 clamp
	s_delay_alu instid0(VALU_DEP_1) | instskip(NEXT) | instid1(VALU_DEP_1)
	v_dual_lshlrev_b32 v7, v6, v5 :: v_dual_lshlrev_b32 v6, 23, v6
	v_lshrrev_b32_e32 v7, 4, v7
	s_delay_alu instid0(VALU_DEP_1) | instskip(NEXT) | instid1(VALU_DEP_1)
	v_dual_sub_nc_u32 v6, v7, v6 :: v_dual_ashrrev_i32 v7, 8, v8
	v_add_nc_u32_e32 v6, 0x3c000000, v6
	s_delay_alu instid0(VALU_DEP_1) | instskip(NEXT) | instid1(VALU_DEP_1)
	v_and_or_b32 v6, 0x7f800000, v7, v6
	v_cndmask_b32_e32 v5, 0, v6, vcc_lo
	s_delay_alu instid0(VALU_DEP_1) | instskip(SKIP_1) | instid1(VALU_DEP_2)
	v_and_or_b32 v3, 0x80000000, v3, v5
	v_bfe_u32 v5, v5, 16, 1
	v_cmp_o_f32_e32 vcc_lo, v3, v3
	s_delay_alu instid0(VALU_DEP_2) | instskip(NEXT) | instid1(VALU_DEP_1)
	v_add3_u32 v5, v3, v5, 0x7fff
	v_lshrrev_b32_e32 v5, 16, v5
	s_delay_alu instid0(VALU_DEP_1)
	v_cndmask_b32_e32 v3, 0x7fc0, v5, vcc_lo
.LBB167_1357:
	s_mov_b32 s10, 0
.LBB167_1358:
	s_delay_alu instid0(SALU_CYCLE_1)
	s_and_not1_b32 vcc_lo, exec_lo, s10
	s_cbranch_vccnz .LBB167_1360
; %bb.1359:
	s_wait_loadcnt 0x0
	global_load_u8 v3, v[0:1], off
	s_wait_loadcnt 0x0
	v_lshlrev_b32_e32 v5, 25, v3
	v_lshlrev_b16 v3, 8, v3
	s_delay_alu instid0(VALU_DEP_1) | instskip(NEXT) | instid1(VALU_DEP_3)
	v_and_or_b32 v7, 0x7f00, v3, 0.5
	v_lshrrev_b32_e32 v6, 4, v5
	v_bfe_i32 v3, v3, 0, 16
	s_delay_alu instid0(VALU_DEP_3) | instskip(NEXT) | instid1(VALU_DEP_3)
	v_add_f32_e32 v7, -0.5, v7
	v_or_b32_e32 v6, 0x70000000, v6
	s_delay_alu instid0(VALU_DEP_1) | instskip(SKIP_1) | instid1(VALU_DEP_2)
	v_mul_f32_e32 v6, 0x7800000, v6
	v_cmp_gt_u32_e32 vcc_lo, 0x8000000, v5
	v_cndmask_b32_e32 v5, v6, v7, vcc_lo
	s_delay_alu instid0(VALU_DEP_1) | instskip(SKIP_1) | instid1(VALU_DEP_2)
	v_and_or_b32 v3, 0x80000000, v3, v5
	v_bfe_u32 v5, v5, 16, 1
	v_cmp_o_f32_e32 vcc_lo, v3, v3
	s_delay_alu instid0(VALU_DEP_2) | instskip(NEXT) | instid1(VALU_DEP_1)
	v_add3_u32 v5, v3, v5, 0x7fff
	v_lshrrev_b32_e32 v5, 16, v5
	s_delay_alu instid0(VALU_DEP_1)
	v_cndmask_b32_e32 v3, 0x7fc0, v5, vcc_lo
.LBB167_1360:
	s_mov_b32 s11, 0
	s_mov_b32 s10, -1
.LBB167_1361:
	s_and_not1_b32 vcc_lo, exec_lo, s11
	s_mov_b32 s11, 0
	s_cbranch_vccnz .LBB167_1372
; %bb.1362:
	s_cmp_gt_i32 s4, 14
	s_cbranch_scc0 .LBB167_1365
; %bb.1363:
	s_cmp_eq_u32 s4, 15
	s_cbranch_scc0 .LBB167_1368
; %bb.1364:
	s_wait_loadcnt 0x0
	global_load_u16 v3, v[0:1], off
	s_mov_b32 s5, 0
	s_mov_b32 s10, -1
	s_branch .LBB167_1370
.LBB167_1365:
	s_mov_b32 s11, -1
	s_branch .LBB167_1369
.LBB167_1366:
	s_or_saveexec_b32 s11, s11
	v_mov_b32_e32 v5, 0x7f800001
	s_xor_b32 exec_lo, exec_lo, s11
	s_cbranch_execz .LBB167_1347
.LBB167_1367:
	v_cmp_ne_u16_e32 vcc_lo, 0, v3
	v_mov_b32_e32 v5, 0
	s_and_not1_b32 s10, s10, exec_lo
	s_and_b32 s12, vcc_lo, exec_lo
	s_delay_alu instid0(SALU_CYCLE_1)
	s_or_b32 s10, s10, s12
	s_or_b32 exec_lo, exec_lo, s11
	s_and_saveexec_b32 s11, s10
	s_cbranch_execnz .LBB167_1348
	s_branch .LBB167_1349
.LBB167_1368:
	s_mov_b32 s5, -1
.LBB167_1369:
                                        ; implicit-def: $vgpr3
.LBB167_1370:
	s_and_b32 vcc_lo, exec_lo, s11
	s_mov_b32 s11, 0
	s_cbranch_vccz .LBB167_1372
; %bb.1371:
	s_cmp_lg_u32 s4, 11
	s_mov_b32 s11, -1
	s_cselect_b32 s4, -1, 0
	s_and_not1_b32 s5, s5, exec_lo
	s_and_b32 s4, s4, exec_lo
	s_delay_alu instid0(SALU_CYCLE_1)
	s_or_b32 s5, s5, s4
.LBB167_1372:
	s_mov_b32 s4, 0
.LBB167_1373:
	s_delay_alu instid0(SALU_CYCLE_1)
	s_and_b32 s12, s4, exec_lo
	s_and_not1_b32 s4, s44, exec_lo
	s_and_b32 s5, s5, exec_lo
	s_and_b32 s10, s10, exec_lo
	s_and_b32 s11, s11, exec_lo
	s_or_b32 s44, s4, s5
	s_wait_xcnt 0x0
	s_or_b32 exec_lo, exec_lo, s8
	s_and_saveexec_b32 s4, s44
	s_cbranch_execz .LBB167_1301
.LBB167_1374:
	s_or_b32 s1, s1, exec_lo
	s_and_not1_b32 s11, s11, exec_lo
	s_trap 2
	s_or_b32 exec_lo, exec_lo, s4
	s_and_saveexec_b32 s4, s11
	s_delay_alu instid0(SALU_CYCLE_1)
	s_xor_b32 s4, exec_lo, s4
	s_cbranch_execnz .LBB167_1302
.LBB167_1375:
	s_or_b32 exec_lo, exec_lo, s4
	s_and_saveexec_b32 s4, s12
	s_cbranch_execz .LBB167_1421
.LBB167_1376:
	s_sext_i32_i16 s5, s0
	s_delay_alu instid0(SALU_CYCLE_1)
	s_cmp_lt_i32 s5, 5
	s_cbranch_scc1 .LBB167_1381
; %bb.1377:
	s_cmp_lt_i32 s5, 8
	s_cbranch_scc1 .LBB167_1382
; %bb.1378:
	;; [unrolled: 3-line block ×3, first 2 shown]
	s_cmp_gt_i32 s5, 9
	s_cbranch_scc0 .LBB167_1384
; %bb.1380:
	s_wait_loadcnt 0x0
	global_load_b64 v[6:7], v[0:1], off
	s_mov_b32 s5, 0
	s_wait_loadcnt 0x0
	v_cvt_f32_f64_e32 v3, v[6:7]
	s_delay_alu instid0(VALU_DEP_1) | instskip(SKIP_1) | instid1(VALU_DEP_2)
	v_bfe_u32 v5, v3, 16, 1
	v_cmp_o_f32_e32 vcc_lo, v3, v3
	v_add3_u32 v5, v3, v5, 0x7fff
	s_delay_alu instid0(VALU_DEP_1) | instskip(NEXT) | instid1(VALU_DEP_1)
	v_lshrrev_b32_e32 v5, 16, v5
	v_cndmask_b32_e32 v3, 0x7fc0, v5, vcc_lo
	s_branch .LBB167_1385
.LBB167_1381:
                                        ; implicit-def: $vgpr3
	s_branch .LBB167_1402
.LBB167_1382:
                                        ; implicit-def: $vgpr3
	s_branch .LBB167_1391
.LBB167_1383:
	s_mov_b32 s5, -1
                                        ; implicit-def: $vgpr3
	s_branch .LBB167_1388
.LBB167_1384:
	s_mov_b32 s5, -1
                                        ; implicit-def: $vgpr3
.LBB167_1385:
	s_delay_alu instid0(SALU_CYCLE_1)
	s_and_not1_b32 vcc_lo, exec_lo, s5
	s_cbranch_vccnz .LBB167_1387
; %bb.1386:
	s_wait_loadcnt 0x0
	global_load_b32 v3, v[0:1], off
	s_wait_loadcnt 0x0
	v_bfe_u32 v5, v3, 16, 1
	v_cmp_o_f32_e32 vcc_lo, v3, v3
	s_delay_alu instid0(VALU_DEP_2) | instskip(NEXT) | instid1(VALU_DEP_1)
	v_add3_u32 v5, v3, v5, 0x7fff
	v_lshrrev_b32_e32 v5, 16, v5
	s_delay_alu instid0(VALU_DEP_1)
	v_cndmask_b32_e32 v3, 0x7fc0, v5, vcc_lo
.LBB167_1387:
	s_mov_b32 s5, 0
.LBB167_1388:
	s_delay_alu instid0(SALU_CYCLE_1)
	s_and_not1_b32 vcc_lo, exec_lo, s5
	s_cbranch_vccnz .LBB167_1390
; %bb.1389:
	s_wait_loadcnt 0x0
	global_load_b32 v3, v[0:1], off
	s_wait_loadcnt 0x0
	v_cvt_f32_f16_e32 v5, v3
	v_cmp_o_f16_e32 vcc_lo, v3, v3
	s_delay_alu instid0(VALU_DEP_2) | instskip(NEXT) | instid1(VALU_DEP_1)
	v_bfe_u32 v6, v5, 16, 1
	v_add3_u32 v5, v5, v6, 0x7fff
	s_delay_alu instid0(VALU_DEP_1) | instskip(NEXT) | instid1(VALU_DEP_1)
	v_lshrrev_b32_e32 v5, 16, v5
	v_cndmask_b32_e32 v3, 0x7fc0, v5, vcc_lo
.LBB167_1390:
	s_cbranch_execnz .LBB167_1401
.LBB167_1391:
	s_sext_i32_i16 s5, s0
	s_delay_alu instid0(SALU_CYCLE_1)
	s_cmp_lt_i32 s5, 6
	s_cbranch_scc1 .LBB167_1394
; %bb.1392:
	s_cmp_gt_i32 s5, 6
	s_cbranch_scc0 .LBB167_1395
; %bb.1393:
	s_wait_loadcnt 0x0
	global_load_b64 v[6:7], v[0:1], off
	s_mov_b32 s5, 0
	s_wait_loadcnt 0x0
	v_cvt_f32_f64_e32 v3, v[6:7]
	s_delay_alu instid0(VALU_DEP_1) | instskip(SKIP_1) | instid1(VALU_DEP_2)
	v_bfe_u32 v5, v3, 16, 1
	v_cmp_o_f32_e32 vcc_lo, v3, v3
	v_add3_u32 v5, v3, v5, 0x7fff
	s_delay_alu instid0(VALU_DEP_1) | instskip(NEXT) | instid1(VALU_DEP_1)
	v_lshrrev_b32_e32 v5, 16, v5
	v_cndmask_b32_e32 v3, 0x7fc0, v5, vcc_lo
	s_branch .LBB167_1396
.LBB167_1394:
	s_mov_b32 s5, -1
                                        ; implicit-def: $vgpr3
	s_branch .LBB167_1399
.LBB167_1395:
	s_mov_b32 s5, -1
                                        ; implicit-def: $vgpr3
.LBB167_1396:
	s_delay_alu instid0(SALU_CYCLE_1)
	s_and_not1_b32 vcc_lo, exec_lo, s5
	s_cbranch_vccnz .LBB167_1398
; %bb.1397:
	s_wait_loadcnt 0x0
	global_load_b32 v3, v[0:1], off
	s_wait_loadcnt 0x0
	v_bfe_u32 v5, v3, 16, 1
	v_cmp_o_f32_e32 vcc_lo, v3, v3
	s_delay_alu instid0(VALU_DEP_2) | instskip(NEXT) | instid1(VALU_DEP_1)
	v_add3_u32 v5, v3, v5, 0x7fff
	v_lshrrev_b32_e32 v5, 16, v5
	s_delay_alu instid0(VALU_DEP_1)
	v_cndmask_b32_e32 v3, 0x7fc0, v5, vcc_lo
.LBB167_1398:
	s_mov_b32 s5, 0
.LBB167_1399:
	s_delay_alu instid0(SALU_CYCLE_1)
	s_and_not1_b32 vcc_lo, exec_lo, s5
	s_cbranch_vccnz .LBB167_1401
; %bb.1400:
	s_wait_loadcnt 0x0
	global_load_u16 v3, v[0:1], off
	s_wait_loadcnt 0x0
	v_cvt_f32_f16_e32 v5, v3
	v_cmp_o_f16_e32 vcc_lo, v3, v3
	s_delay_alu instid0(VALU_DEP_2) | instskip(NEXT) | instid1(VALU_DEP_1)
	v_bfe_u32 v6, v5, 16, 1
	v_add3_u32 v5, v5, v6, 0x7fff
	s_delay_alu instid0(VALU_DEP_1) | instskip(NEXT) | instid1(VALU_DEP_1)
	v_lshrrev_b32_e32 v5, 16, v5
	v_cndmask_b32_e32 v3, 0x7fc0, v5, vcc_lo
.LBB167_1401:
	s_cbranch_execnz .LBB167_1420
.LBB167_1402:
	s_sext_i32_i16 s5, s0
	s_delay_alu instid0(SALU_CYCLE_1)
	s_cmp_lt_i32 s5, 2
	s_cbranch_scc1 .LBB167_1406
; %bb.1403:
	s_cmp_lt_i32 s5, 3
	s_cbranch_scc1 .LBB167_1407
; %bb.1404:
	s_cmp_gt_i32 s5, 3
	s_cbranch_scc0 .LBB167_1408
; %bb.1405:
	s_wait_loadcnt 0x0
	global_load_b64 v[6:7], v[0:1], off
	s_mov_b32 s5, 0
	s_wait_loadcnt 0x0
	v_xor_b32_e32 v3, v6, v7
	v_cls_i32_e32 v5, v7
	s_delay_alu instid0(VALU_DEP_2) | instskip(NEXT) | instid1(VALU_DEP_1)
	v_ashrrev_i32_e32 v3, 31, v3
	v_add_nc_u32_e32 v3, 32, v3
	s_delay_alu instid0(VALU_DEP_1) | instskip(NEXT) | instid1(VALU_DEP_1)
	v_add_min_u32_e64 v3, v5, -1, v3
	v_lshlrev_b64_e32 v[6:7], v3, v[6:7]
	v_sub_nc_u32_e32 v3, 32, v3
	s_delay_alu instid0(VALU_DEP_2) | instskip(NEXT) | instid1(VALU_DEP_1)
	v_min_u32_e32 v5, 1, v6
	v_or_b32_e32 v5, v7, v5
	s_delay_alu instid0(VALU_DEP_1) | instskip(NEXT) | instid1(VALU_DEP_1)
	v_cvt_f32_i32_e32 v5, v5
	v_ldexp_f32 v3, v5, v3
	s_delay_alu instid0(VALU_DEP_1) | instskip(NEXT) | instid1(VALU_DEP_1)
	v_bfe_u32 v5, v3, 16, 1
	v_add3_u32 v3, v3, v5, 0x7fff
	s_delay_alu instid0(VALU_DEP_1)
	v_lshrrev_b32_e32 v3, 16, v3
	s_branch .LBB167_1409
.LBB167_1406:
                                        ; implicit-def: $vgpr3
	s_branch .LBB167_1415
.LBB167_1407:
	s_mov_b32 s5, -1
                                        ; implicit-def: $vgpr3
	s_branch .LBB167_1412
.LBB167_1408:
	s_mov_b32 s5, -1
                                        ; implicit-def: $vgpr3
.LBB167_1409:
	s_delay_alu instid0(SALU_CYCLE_1)
	s_and_not1_b32 vcc_lo, exec_lo, s5
	s_cbranch_vccnz .LBB167_1411
; %bb.1410:
	s_wait_loadcnt 0x0
	global_load_b32 v3, v[0:1], off
	s_wait_loadcnt 0x0
	v_cvt_f32_i32_e32 v3, v3
	s_delay_alu instid0(VALU_DEP_1) | instskip(NEXT) | instid1(VALU_DEP_1)
	v_bfe_u32 v5, v3, 16, 1
	v_add3_u32 v3, v3, v5, 0x7fff
	s_delay_alu instid0(VALU_DEP_1)
	v_lshrrev_b32_e32 v3, 16, v3
.LBB167_1411:
	s_mov_b32 s5, 0
.LBB167_1412:
	s_delay_alu instid0(SALU_CYCLE_1)
	s_and_not1_b32 vcc_lo, exec_lo, s5
	s_cbranch_vccnz .LBB167_1414
; %bb.1413:
	s_wait_loadcnt 0x0
	global_load_i16 v3, v[0:1], off
	s_wait_loadcnt 0x0
	v_cvt_f32_i32_e32 v3, v3
	s_delay_alu instid0(VALU_DEP_1) | instskip(NEXT) | instid1(VALU_DEP_1)
	v_bfe_u32 v5, v3, 16, 1
	v_add3_u32 v3, v3, v5, 0x7fff
	s_delay_alu instid0(VALU_DEP_1)
	v_lshrrev_b32_e32 v3, 16, v3
.LBB167_1414:
	s_cbranch_execnz .LBB167_1420
.LBB167_1415:
	s_sext_i32_i16 s0, s0
	s_delay_alu instid0(SALU_CYCLE_1)
	s_cmp_gt_i32 s0, 0
	s_mov_b32 s0, 0
	s_cbranch_scc0 .LBB167_1417
; %bb.1416:
	s_wait_loadcnt 0x0
	global_load_i8 v3, v[0:1], off
	s_wait_loadcnt 0x0
	v_cvt_f32_i32_e32 v3, v3
	s_delay_alu instid0(VALU_DEP_1) | instskip(NEXT) | instid1(VALU_DEP_1)
	v_bfe_u32 v5, v3, 16, 1
	v_add3_u32 v3, v3, v5, 0x7fff
	s_delay_alu instid0(VALU_DEP_1)
	v_lshrrev_b32_e32 v3, 16, v3
	s_branch .LBB167_1418
.LBB167_1417:
	s_mov_b32 s0, -1
                                        ; implicit-def: $vgpr3
.LBB167_1418:
	s_delay_alu instid0(SALU_CYCLE_1)
	s_and_not1_b32 vcc_lo, exec_lo, s0
	s_cbranch_vccnz .LBB167_1420
; %bb.1419:
	s_wait_loadcnt 0x0
	global_load_u8 v0, v[0:1], off
	s_wait_loadcnt 0x0
	v_cvt_f32_ubyte0_e32 v0, v0
	s_delay_alu instid0(VALU_DEP_1) | instskip(NEXT) | instid1(VALU_DEP_1)
	v_bfe_u32 v1, v0, 16, 1
	v_add3_u32 v0, v0, v1, 0x7fff
	s_delay_alu instid0(VALU_DEP_1)
	v_lshrrev_b32_e32 v3, 16, v0
.LBB167_1420:
	s_or_b32 s10, s10, exec_lo
.LBB167_1421:
	s_wait_xcnt 0x0
	s_or_b32 exec_lo, exec_lo, s4
	s_mov_b32 s5, 0
	s_mov_b32 s4, 0
	;; [unrolled: 1-line block ×3, first 2 shown]
                                        ; implicit-def: $vgpr0_vgpr1
                                        ; implicit-def: $vgpr5
	s_and_saveexec_b32 s0, s10
	s_cbranch_execz .LBB167_1429
; %bb.1422:
	v_mov_b32_e32 v5, 0
	s_and_b32 s4, 0xffff, s34
	s_delay_alu instid0(SALU_CYCLE_1) | instskip(SKIP_1) | instid1(VALU_DEP_1)
	s_cmp_lt_i32 s4, 11
	s_wait_loadcnt 0x0
	v_add_nc_u64_e32 v[0:1], s[6:7], v[4:5]
	s_cbranch_scc1 .LBB167_1432
; %bb.1423:
	s_cmp_gt_i32 s4, 25
	s_mov_b32 s6, 0
	s_cbranch_scc0 .LBB167_1433
; %bb.1424:
	s_cmp_gt_i32 s4, 28
	s_cbranch_scc0 .LBB167_1434
; %bb.1425:
	s_cmp_gt_i32 s4, 43
	;; [unrolled: 3-line block ×3, first 2 shown]
	s_cbranch_scc0 .LBB167_1436
; %bb.1427:
	s_cmp_eq_u32 s4, 46
	s_cbranch_scc0 .LBB167_1437
; %bb.1428:
	global_load_b32 v5, v[0:1], off
	s_mov_b32 s7, -1
	s_branch .LBB167_1439
.LBB167_1429:
	s_or_b32 exec_lo, exec_lo, s0
	s_and_saveexec_b32 s0, s43
	s_cbranch_execnz .LBB167_1502
.LBB167_1430:
	s_or_b32 exec_lo, exec_lo, s0
	s_and_saveexec_b32 s0, s5
	s_delay_alu instid0(SALU_CYCLE_1)
	s_xor_b32 s0, exec_lo, s0
	s_cbranch_execz .LBB167_1503
.LBB167_1431:
	s_wait_loadcnt 0x0
	global_load_u8 v4, v[0:1], off
	s_or_b32 s8, s8, exec_lo
	s_wait_loadcnt 0x0
	v_cmp_ne_u16_e32 vcc_lo, 0, v4
	v_cndmask_b32_e64 v4, 0, 1.0, vcc_lo
	s_delay_alu instid0(VALU_DEP_1)
	v_lshrrev_b32_e32 v5, 16, v4
	s_wait_xcnt 0x0
	s_or_b32 exec_lo, exec_lo, s0
	s_and_saveexec_b32 s0, s4
	s_cbranch_execz .LBB167_1549
	s_branch .LBB167_1504
.LBB167_1432:
	s_mov_b32 s4, -1
	s_mov_b32 s7, 0
	s_mov_b32 s6, 0
	;; [unrolled: 1-line block ×3, first 2 shown]
                                        ; implicit-def: $vgpr5
	s_branch .LBB167_1501
.LBB167_1433:
	s_mov_b32 s7, 0
	s_mov_b32 s5, s43
                                        ; implicit-def: $vgpr5
	s_cbranch_execnz .LBB167_1468
	s_branch .LBB167_1500
.LBB167_1434:
	s_mov_b32 s8, -1
	s_mov_b32 s7, 0
	s_mov_b32 s5, s43
                                        ; implicit-def: $vgpr5
	s_branch .LBB167_1449
.LBB167_1435:
	s_mov_b32 s8, -1
	s_mov_b32 s7, 0
	s_mov_b32 s5, s43
                                        ; implicit-def: $vgpr5
	s_branch .LBB167_1444
.LBB167_1436:
	s_mov_b32 s8, -1
	s_mov_b32 s7, 0
	s_mov_b32 s5, s43
	s_branch .LBB167_1438
.LBB167_1437:
	s_mov_b32 s5, -1
	s_mov_b32 s7, 0
.LBB167_1438:
                                        ; implicit-def: $vgpr5
.LBB167_1439:
	s_and_b32 vcc_lo, exec_lo, s8
	s_cbranch_vccz .LBB167_1443
; %bb.1440:
	s_cmp_eq_u32 s4, 44
	s_cbranch_scc0 .LBB167_1442
; %bb.1441:
	global_load_u8 v4, v[0:1], off
	s_mov_b32 s5, 0
	s_mov_b32 s7, -1
	s_wait_loadcnt 0x0
	v_lshlrev_b32_e32 v5, 23, v4
	v_cmp_ne_u32_e32 vcc_lo, 0xff, v4
	s_delay_alu instid0(VALU_DEP_2) | instskip(SKIP_1) | instid1(VALU_DEP_2)
	v_cndmask_b32_e32 v5, 0x7f800001, v5, vcc_lo
	v_cmp_ne_u32_e32 vcc_lo, 0, v4
	v_cndmask_b32_e32 v4, 0x400000, v5, vcc_lo
	s_delay_alu instid0(VALU_DEP_1) | instskip(NEXT) | instid1(VALU_DEP_1)
	v_add_nc_u32_e32 v5, 0x7fff, v4
	v_lshrrev_b32_e32 v5, 16, v5
	v_cmp_o_f32_e32 vcc_lo, v4, v4
	s_delay_alu instid0(VALU_DEP_2)
	v_cndmask_b32_e32 v5, 0x7fc0, v5, vcc_lo
	s_branch .LBB167_1443
.LBB167_1442:
	s_mov_b32 s5, -1
                                        ; implicit-def: $vgpr5
.LBB167_1443:
	s_mov_b32 s8, 0
.LBB167_1444:
	s_delay_alu instid0(SALU_CYCLE_1)
	s_and_b32 vcc_lo, exec_lo, s8
	s_cbranch_vccz .LBB167_1448
; %bb.1445:
	s_cmp_eq_u32 s4, 29
	s_cbranch_scc0 .LBB167_1447
; %bb.1446:
	s_wait_loadcnt 0x0
	global_load_b64 v[4:5], v[0:1], off
	s_mov_b32 s5, 0
	s_mov_b32 s7, -1
	s_mov_b32 s8, 0
	s_wait_loadcnt 0x0
	v_clz_i32_u32_e32 v6, v5
	s_delay_alu instid0(VALU_DEP_1) | instskip(NEXT) | instid1(VALU_DEP_1)
	v_min_u32_e32 v6, 32, v6
	v_lshlrev_b64_e32 v[4:5], v6, v[4:5]
	s_delay_alu instid0(VALU_DEP_1) | instskip(NEXT) | instid1(VALU_DEP_1)
	v_min_u32_e32 v4, 1, v4
	v_dual_sub_nc_u32 v5, 32, v6 :: v_dual_bitop2_b32 v4, v5, v4 bitop3:0x54
	s_delay_alu instid0(VALU_DEP_1) | instskip(NEXT) | instid1(VALU_DEP_1)
	v_cvt_f32_u32_e32 v4, v4
	v_ldexp_f32 v4, v4, v5
	s_delay_alu instid0(VALU_DEP_1) | instskip(NEXT) | instid1(VALU_DEP_1)
	v_bfe_u32 v5, v4, 16, 1
	v_add3_u32 v4, v4, v5, 0x7fff
	s_delay_alu instid0(VALU_DEP_1)
	v_lshrrev_b32_e32 v5, 16, v4
	s_branch .LBB167_1449
.LBB167_1447:
	s_mov_b32 s5, -1
                                        ; implicit-def: $vgpr5
.LBB167_1448:
	s_mov_b32 s8, 0
.LBB167_1449:
	s_delay_alu instid0(SALU_CYCLE_1)
	s_and_b32 vcc_lo, exec_lo, s8
	s_cbranch_vccz .LBB167_1467
; %bb.1450:
	s_cmp_lt_i32 s4, 27
	s_cbranch_scc1 .LBB167_1453
; %bb.1451:
	s_cmp_gt_i32 s4, 27
	s_cbranch_scc0 .LBB167_1454
; %bb.1452:
	global_load_b32 v4, v[0:1], off
	s_mov_b32 s7, 0
	s_wait_loadcnt 0x0
	v_cvt_f32_u32_e32 v4, v4
	s_delay_alu instid0(VALU_DEP_1) | instskip(NEXT) | instid1(VALU_DEP_1)
	v_bfe_u32 v5, v4, 16, 1
	v_add3_u32 v4, v4, v5, 0x7fff
	s_delay_alu instid0(VALU_DEP_1)
	v_lshrrev_b32_e32 v5, 16, v4
	s_branch .LBB167_1455
.LBB167_1453:
	s_mov_b32 s7, -1
                                        ; implicit-def: $vgpr5
	s_branch .LBB167_1458
.LBB167_1454:
	s_mov_b32 s7, -1
                                        ; implicit-def: $vgpr5
.LBB167_1455:
	s_delay_alu instid0(SALU_CYCLE_1)
	s_and_not1_b32 vcc_lo, exec_lo, s7
	s_cbranch_vccnz .LBB167_1457
; %bb.1456:
	global_load_u16 v4, v[0:1], off
	s_wait_loadcnt 0x0
	v_cvt_f32_u32_e32 v4, v4
	s_delay_alu instid0(VALU_DEP_1) | instskip(NEXT) | instid1(VALU_DEP_1)
	v_bfe_u32 v5, v4, 16, 1
	v_add3_u32 v4, v4, v5, 0x7fff
	s_delay_alu instid0(VALU_DEP_1)
	v_lshrrev_b32_e32 v5, 16, v4
.LBB167_1457:
	s_mov_b32 s7, 0
.LBB167_1458:
	s_delay_alu instid0(SALU_CYCLE_1)
	s_and_not1_b32 vcc_lo, exec_lo, s7
	s_cbranch_vccnz .LBB167_1466
; %bb.1459:
	global_load_u8 v4, v[0:1], off
	s_mov_b32 s7, 0
	s_mov_b32 s8, exec_lo
	s_wait_loadcnt 0x0
	v_cmpx_lt_i16_e32 0x7f, v4
	s_xor_b32 s8, exec_lo, s8
	s_cbranch_execz .LBB167_1479
; %bb.1460:
	s_mov_b32 s7, -1
	s_mov_b32 s10, exec_lo
	v_cmpx_eq_u16_e32 0x80, v4
; %bb.1461:
	s_xor_b32 s7, exec_lo, -1
; %bb.1462:
	s_or_b32 exec_lo, exec_lo, s10
	s_delay_alu instid0(SALU_CYCLE_1)
	s_and_b32 s7, s7, exec_lo
	s_or_saveexec_b32 s8, s8
	v_mov_b32_e32 v5, 0x7f800001
	s_xor_b32 exec_lo, exec_lo, s8
	s_cbranch_execnz .LBB167_1480
.LBB167_1463:
	s_or_b32 exec_lo, exec_lo, s8
	s_and_saveexec_b32 s8, s7
	s_cbranch_execz .LBB167_1465
.LBB167_1464:
	v_and_b32_e32 v5, 0xffff, v4
	s_delay_alu instid0(VALU_DEP_1) | instskip(SKIP_1) | instid1(VALU_DEP_2)
	v_and_b32_e32 v6, 7, v5
	v_bfe_u32 v9, v5, 3, 4
	v_clz_i32_u32_e32 v7, v6
	s_delay_alu instid0(VALU_DEP_2) | instskip(NEXT) | instid1(VALU_DEP_2)
	v_cmp_eq_u32_e32 vcc_lo, 0, v9
	v_min_u32_e32 v7, 32, v7
	s_delay_alu instid0(VALU_DEP_1) | instskip(NEXT) | instid1(VALU_DEP_1)
	v_subrev_nc_u32_e32 v8, 28, v7
	v_dual_lshlrev_b32 v5, v8, v5 :: v_dual_sub_nc_u32 v7, 29, v7
	s_delay_alu instid0(VALU_DEP_1) | instskip(NEXT) | instid1(VALU_DEP_1)
	v_dual_lshlrev_b32 v4, 24, v4 :: v_dual_bitop2_b32 v5, 7, v5 bitop3:0x40
	v_dual_cndmask_b32 v7, v9, v7, vcc_lo :: v_dual_cndmask_b32 v5, v6, v5, vcc_lo
	s_delay_alu instid0(VALU_DEP_2) | instskip(NEXT) | instid1(VALU_DEP_2)
	v_and_b32_e32 v4, 0x80000000, v4
	v_lshl_add_u32 v6, v7, 23, 0x3b800000
	s_delay_alu instid0(VALU_DEP_3) | instskip(NEXT) | instid1(VALU_DEP_1)
	v_lshlrev_b32_e32 v5, 20, v5
	v_or3_b32 v5, v4, v6, v5
.LBB167_1465:
	s_or_b32 exec_lo, exec_lo, s8
	s_delay_alu instid0(VALU_DEP_1) | instskip(SKIP_1) | instid1(VALU_DEP_2)
	v_bfe_u32 v4, v5, 16, 1
	v_cmp_o_f32_e32 vcc_lo, v5, v5
	v_add3_u32 v4, v5, v4, 0x7fff
	s_delay_alu instid0(VALU_DEP_1) | instskip(NEXT) | instid1(VALU_DEP_1)
	v_lshrrev_b32_e32 v4, 16, v4
	v_cndmask_b32_e32 v5, 0x7fc0, v4, vcc_lo
.LBB167_1466:
	s_mov_b32 s7, -1
.LBB167_1467:
	s_branch .LBB167_1500
.LBB167_1468:
	s_cmp_gt_i32 s4, 22
	s_cbranch_scc0 .LBB167_1478
; %bb.1469:
	s_cmp_lt_i32 s4, 24
	s_cbranch_scc1 .LBB167_1481
; %bb.1470:
	s_cmp_gt_i32 s4, 24
	s_cbranch_scc0 .LBB167_1482
; %bb.1471:
	global_load_u8 v4, v[0:1], off
	s_mov_b32 s7, exec_lo
	s_wait_loadcnt 0x0
	v_cmpx_lt_i16_e32 0x7f, v4
	s_xor_b32 s7, exec_lo, s7
	s_cbranch_execz .LBB167_1494
; %bb.1472:
	s_mov_b32 s6, -1
	s_mov_b32 s8, exec_lo
	v_cmpx_eq_u16_e32 0x80, v4
; %bb.1473:
	s_xor_b32 s6, exec_lo, -1
; %bb.1474:
	s_or_b32 exec_lo, exec_lo, s8
	s_delay_alu instid0(SALU_CYCLE_1)
	s_and_b32 s6, s6, exec_lo
	s_or_saveexec_b32 s7, s7
	v_mov_b32_e32 v5, 0x7f800001
	s_xor_b32 exec_lo, exec_lo, s7
	s_cbranch_execnz .LBB167_1495
.LBB167_1475:
	s_or_b32 exec_lo, exec_lo, s7
	s_and_saveexec_b32 s7, s6
	s_cbranch_execz .LBB167_1477
.LBB167_1476:
	v_and_b32_e32 v5, 0xffff, v4
	s_delay_alu instid0(VALU_DEP_1) | instskip(SKIP_1) | instid1(VALU_DEP_2)
	v_and_b32_e32 v6, 3, v5
	v_bfe_u32 v9, v5, 2, 5
	v_clz_i32_u32_e32 v7, v6
	s_delay_alu instid0(VALU_DEP_2) | instskip(NEXT) | instid1(VALU_DEP_2)
	v_cmp_eq_u32_e32 vcc_lo, 0, v9
	v_min_u32_e32 v7, 32, v7
	s_delay_alu instid0(VALU_DEP_1) | instskip(NEXT) | instid1(VALU_DEP_1)
	v_subrev_nc_u32_e32 v8, 29, v7
	v_dual_lshlrev_b32 v5, v8, v5 :: v_dual_sub_nc_u32 v7, 30, v7
	s_delay_alu instid0(VALU_DEP_1) | instskip(NEXT) | instid1(VALU_DEP_1)
	v_dual_lshlrev_b32 v4, 24, v4 :: v_dual_bitop2_b32 v5, 3, v5 bitop3:0x40
	v_dual_cndmask_b32 v7, v9, v7, vcc_lo :: v_dual_cndmask_b32 v5, v6, v5, vcc_lo
	s_delay_alu instid0(VALU_DEP_2) | instskip(NEXT) | instid1(VALU_DEP_2)
	v_and_b32_e32 v4, 0x80000000, v4
	v_lshl_add_u32 v6, v7, 23, 0x37800000
	s_delay_alu instid0(VALU_DEP_3) | instskip(NEXT) | instid1(VALU_DEP_1)
	v_lshlrev_b32_e32 v5, 21, v5
	v_or3_b32 v5, v4, v6, v5
.LBB167_1477:
	s_or_b32 exec_lo, exec_lo, s7
	s_delay_alu instid0(VALU_DEP_1) | instskip(SKIP_2) | instid1(VALU_DEP_2)
	v_bfe_u32 v4, v5, 16, 1
	v_cmp_o_f32_e32 vcc_lo, v5, v5
	s_mov_b32 s6, 0
	v_add3_u32 v4, v5, v4, 0x7fff
	s_delay_alu instid0(VALU_DEP_1) | instskip(NEXT) | instid1(VALU_DEP_1)
	v_lshrrev_b32_e32 v4, 16, v4
	v_cndmask_b32_e32 v5, 0x7fc0, v4, vcc_lo
	s_branch .LBB167_1483
.LBB167_1478:
	s_mov_b32 s6, -1
                                        ; implicit-def: $vgpr5
	s_branch .LBB167_1489
.LBB167_1479:
	s_or_saveexec_b32 s8, s8
	v_mov_b32_e32 v5, 0x7f800001
	s_xor_b32 exec_lo, exec_lo, s8
	s_cbranch_execz .LBB167_1463
.LBB167_1480:
	v_cmp_ne_u16_e32 vcc_lo, 0, v4
	v_mov_b32_e32 v5, 0
	s_and_not1_b32 s7, s7, exec_lo
	s_and_b32 s10, vcc_lo, exec_lo
	s_delay_alu instid0(SALU_CYCLE_1)
	s_or_b32 s7, s7, s10
	s_or_b32 exec_lo, exec_lo, s8
	s_and_saveexec_b32 s8, s7
	s_cbranch_execnz .LBB167_1464
	s_branch .LBB167_1465
.LBB167_1481:
	s_mov_b32 s6, -1
                                        ; implicit-def: $vgpr5
	s_branch .LBB167_1486
.LBB167_1482:
	s_mov_b32 s6, -1
                                        ; implicit-def: $vgpr5
.LBB167_1483:
	s_delay_alu instid0(SALU_CYCLE_1)
	s_and_b32 vcc_lo, exec_lo, s6
	s_cbranch_vccz .LBB167_1485
; %bb.1484:
	global_load_u8 v4, v[0:1], off
	s_wait_loadcnt 0x0
	v_lshlrev_b32_e32 v4, 24, v4
	s_delay_alu instid0(VALU_DEP_1) | instskip(NEXT) | instid1(VALU_DEP_1)
	v_and_b32_e32 v5, 0x7f000000, v4
	v_clz_i32_u32_e32 v6, v5
	v_cmp_ne_u32_e32 vcc_lo, 0, v5
	v_add_nc_u32_e32 v8, 0x1000000, v5
	s_delay_alu instid0(VALU_DEP_3) | instskip(NEXT) | instid1(VALU_DEP_1)
	v_min_u32_e32 v6, 32, v6
	v_sub_nc_u32_e64 v6, v6, 4 clamp
	s_delay_alu instid0(VALU_DEP_1) | instskip(NEXT) | instid1(VALU_DEP_1)
	v_dual_lshlrev_b32 v7, v6, v5 :: v_dual_lshlrev_b32 v6, 23, v6
	v_lshrrev_b32_e32 v7, 4, v7
	s_delay_alu instid0(VALU_DEP_1) | instskip(NEXT) | instid1(VALU_DEP_1)
	v_dual_sub_nc_u32 v6, v7, v6 :: v_dual_ashrrev_i32 v7, 8, v8
	v_add_nc_u32_e32 v6, 0x3c000000, v6
	s_delay_alu instid0(VALU_DEP_1) | instskip(NEXT) | instid1(VALU_DEP_1)
	v_and_or_b32 v6, 0x7f800000, v7, v6
	v_cndmask_b32_e32 v5, 0, v6, vcc_lo
	s_delay_alu instid0(VALU_DEP_1) | instskip(SKIP_1) | instid1(VALU_DEP_2)
	v_and_or_b32 v4, 0x80000000, v4, v5
	v_bfe_u32 v5, v5, 16, 1
	v_cmp_o_f32_e32 vcc_lo, v4, v4
	s_delay_alu instid0(VALU_DEP_2) | instskip(NEXT) | instid1(VALU_DEP_1)
	v_add3_u32 v5, v4, v5, 0x7fff
	v_lshrrev_b32_e32 v5, 16, v5
	s_delay_alu instid0(VALU_DEP_1)
	v_cndmask_b32_e32 v5, 0x7fc0, v5, vcc_lo
.LBB167_1485:
	s_mov_b32 s6, 0
.LBB167_1486:
	s_delay_alu instid0(SALU_CYCLE_1)
	s_and_not1_b32 vcc_lo, exec_lo, s6
	s_cbranch_vccnz .LBB167_1488
; %bb.1487:
	global_load_u8 v4, v[0:1], off
	s_wait_loadcnt 0x0
	v_lshlrev_b32_e32 v5, 25, v4
	v_lshlrev_b16 v4, 8, v4
	s_delay_alu instid0(VALU_DEP_1) | instskip(SKIP_1) | instid1(VALU_DEP_2)
	v_and_or_b32 v7, 0x7f00, v4, 0.5
	v_bfe_i32 v4, v4, 0, 16
	v_dual_add_f32 v7, -0.5, v7 :: v_dual_lshrrev_b32 v6, 4, v5
	v_cmp_gt_u32_e32 vcc_lo, 0x8000000, v5
	s_delay_alu instid0(VALU_DEP_2) | instskip(NEXT) | instid1(VALU_DEP_1)
	v_or_b32_e32 v6, 0x70000000, v6
	v_mul_f32_e32 v6, 0x7800000, v6
	s_delay_alu instid0(VALU_DEP_1) | instskip(NEXT) | instid1(VALU_DEP_1)
	v_cndmask_b32_e32 v5, v6, v7, vcc_lo
	v_and_or_b32 v4, 0x80000000, v4, v5
	v_bfe_u32 v5, v5, 16, 1
	s_delay_alu instid0(VALU_DEP_2) | instskip(NEXT) | instid1(VALU_DEP_2)
	v_cmp_o_f32_e32 vcc_lo, v4, v4
	v_add3_u32 v5, v4, v5, 0x7fff
	s_delay_alu instid0(VALU_DEP_1) | instskip(NEXT) | instid1(VALU_DEP_1)
	v_lshrrev_b32_e32 v5, 16, v5
	v_cndmask_b32_e32 v5, 0x7fc0, v5, vcc_lo
.LBB167_1488:
	s_mov_b32 s6, 0
	s_mov_b32 s7, -1
.LBB167_1489:
	s_and_not1_b32 vcc_lo, exec_lo, s6
	s_mov_b32 s6, 0
	s_cbranch_vccnz .LBB167_1500
; %bb.1490:
	s_cmp_gt_i32 s4, 14
	s_cbranch_scc0 .LBB167_1493
; %bb.1491:
	s_cmp_eq_u32 s4, 15
	s_cbranch_scc0 .LBB167_1496
; %bb.1492:
	s_wait_loadcnt 0x0
	global_load_u16 v5, v[0:1], off
	s_mov_b32 s5, 0
	s_mov_b32 s7, -1
	s_branch .LBB167_1498
.LBB167_1493:
	s_mov_b32 s6, -1
	s_branch .LBB167_1497
.LBB167_1494:
	s_or_saveexec_b32 s7, s7
	v_mov_b32_e32 v5, 0x7f800001
	s_xor_b32 exec_lo, exec_lo, s7
	s_cbranch_execz .LBB167_1475
.LBB167_1495:
	v_cmp_ne_u16_e32 vcc_lo, 0, v4
	v_mov_b32_e32 v5, 0
	s_and_not1_b32 s6, s6, exec_lo
	s_and_b32 s8, vcc_lo, exec_lo
	s_delay_alu instid0(SALU_CYCLE_1)
	s_or_b32 s6, s6, s8
	s_or_b32 exec_lo, exec_lo, s7
	s_and_saveexec_b32 s7, s6
	s_cbranch_execnz .LBB167_1476
	s_branch .LBB167_1477
.LBB167_1496:
	s_mov_b32 s5, -1
.LBB167_1497:
                                        ; implicit-def: $vgpr5
.LBB167_1498:
	s_and_b32 vcc_lo, exec_lo, s6
	s_mov_b32 s6, 0
	s_cbranch_vccz .LBB167_1500
; %bb.1499:
	s_cmp_lg_u32 s4, 11
	s_mov_b32 s6, -1
	s_cselect_b32 s4, -1, 0
	s_and_not1_b32 s5, s5, exec_lo
	s_and_b32 s4, s4, exec_lo
	s_delay_alu instid0(SALU_CYCLE_1)
	s_or_b32 s5, s5, s4
.LBB167_1500:
	s_mov_b32 s4, 0
.LBB167_1501:
	s_and_b32 s8, s7, exec_lo
	s_and_not1_b32 s7, s43, exec_lo
	s_and_b32 s10, s5, exec_lo
	s_and_b32 s4, s4, exec_lo
	;; [unrolled: 1-line block ×3, first 2 shown]
	s_or_b32 s43, s7, s10
	s_wait_xcnt 0x0
	s_or_b32 exec_lo, exec_lo, s0
	s_and_saveexec_b32 s0, s43
	s_cbranch_execz .LBB167_1430
.LBB167_1502:
	s_or_b32 s1, s1, exec_lo
	s_and_not1_b32 s5, s5, exec_lo
	s_trap 2
	s_or_b32 exec_lo, exec_lo, s0
	s_and_saveexec_b32 s0, s5
	s_delay_alu instid0(SALU_CYCLE_1)
	s_xor_b32 s0, exec_lo, s0
	s_cbranch_execnz .LBB167_1431
.LBB167_1503:
	s_or_b32 exec_lo, exec_lo, s0
	s_and_saveexec_b32 s0, s4
	s_cbranch_execz .LBB167_1549
.LBB167_1504:
	s_sext_i32_i16 s4, s34
	s_delay_alu instid0(SALU_CYCLE_1)
	s_cmp_lt_i32 s4, 5
	s_cbranch_scc1 .LBB167_1509
; %bb.1505:
	s_cmp_lt_i32 s4, 8
	s_cbranch_scc1 .LBB167_1510
; %bb.1506:
	;; [unrolled: 3-line block ×3, first 2 shown]
	s_cmp_gt_i32 s4, 9
	s_cbranch_scc0 .LBB167_1512
; %bb.1508:
	s_wait_loadcnt 0x0
	global_load_b64 v[4:5], v[0:1], off
	s_mov_b32 s4, 0
	s_wait_loadcnt 0x0
	v_cvt_f32_f64_e32 v4, v[4:5]
	s_delay_alu instid0(VALU_DEP_1) | instskip(SKIP_1) | instid1(VALU_DEP_2)
	v_bfe_u32 v5, v4, 16, 1
	v_cmp_o_f32_e32 vcc_lo, v4, v4
	v_add3_u32 v5, v4, v5, 0x7fff
	s_delay_alu instid0(VALU_DEP_1) | instskip(NEXT) | instid1(VALU_DEP_1)
	v_lshrrev_b32_e32 v5, 16, v5
	v_cndmask_b32_e32 v5, 0x7fc0, v5, vcc_lo
	s_branch .LBB167_1513
.LBB167_1509:
                                        ; implicit-def: $vgpr5
	s_branch .LBB167_1530
.LBB167_1510:
                                        ; implicit-def: $vgpr5
	s_branch .LBB167_1519
.LBB167_1511:
	s_mov_b32 s4, -1
                                        ; implicit-def: $vgpr5
	s_branch .LBB167_1516
.LBB167_1512:
	s_mov_b32 s4, -1
                                        ; implicit-def: $vgpr5
.LBB167_1513:
	s_delay_alu instid0(SALU_CYCLE_1)
	s_and_not1_b32 vcc_lo, exec_lo, s4
	s_cbranch_vccnz .LBB167_1515
; %bb.1514:
	s_wait_loadcnt 0x0
	global_load_b32 v4, v[0:1], off
	s_wait_loadcnt 0x0
	v_bfe_u32 v5, v4, 16, 1
	v_cmp_o_f32_e32 vcc_lo, v4, v4
	s_delay_alu instid0(VALU_DEP_2) | instskip(NEXT) | instid1(VALU_DEP_1)
	v_add3_u32 v5, v4, v5, 0x7fff
	v_lshrrev_b32_e32 v5, 16, v5
	s_delay_alu instid0(VALU_DEP_1)
	v_cndmask_b32_e32 v5, 0x7fc0, v5, vcc_lo
.LBB167_1515:
	s_mov_b32 s4, 0
.LBB167_1516:
	s_delay_alu instid0(SALU_CYCLE_1)
	s_and_not1_b32 vcc_lo, exec_lo, s4
	s_cbranch_vccnz .LBB167_1518
; %bb.1517:
	s_wait_loadcnt 0x0
	global_load_b32 v4, v[0:1], off
	s_wait_loadcnt 0x0
	v_cvt_f32_f16_e32 v5, v4
	v_cmp_o_f16_e32 vcc_lo, v4, v4
	s_delay_alu instid0(VALU_DEP_2) | instskip(NEXT) | instid1(VALU_DEP_1)
	v_bfe_u32 v6, v5, 16, 1
	v_add3_u32 v5, v5, v6, 0x7fff
	s_delay_alu instid0(VALU_DEP_1) | instskip(NEXT) | instid1(VALU_DEP_1)
	v_lshrrev_b32_e32 v5, 16, v5
	v_cndmask_b32_e32 v5, 0x7fc0, v5, vcc_lo
.LBB167_1518:
	s_cbranch_execnz .LBB167_1529
.LBB167_1519:
	s_sext_i32_i16 s4, s34
	s_delay_alu instid0(SALU_CYCLE_1)
	s_cmp_lt_i32 s4, 6
	s_cbranch_scc1 .LBB167_1522
; %bb.1520:
	s_cmp_gt_i32 s4, 6
	s_cbranch_scc0 .LBB167_1523
; %bb.1521:
	s_wait_loadcnt 0x0
	global_load_b64 v[4:5], v[0:1], off
	s_mov_b32 s4, 0
	s_wait_loadcnt 0x0
	v_cvt_f32_f64_e32 v4, v[4:5]
	s_delay_alu instid0(VALU_DEP_1) | instskip(SKIP_1) | instid1(VALU_DEP_2)
	v_bfe_u32 v5, v4, 16, 1
	v_cmp_o_f32_e32 vcc_lo, v4, v4
	v_add3_u32 v5, v4, v5, 0x7fff
	s_delay_alu instid0(VALU_DEP_1) | instskip(NEXT) | instid1(VALU_DEP_1)
	v_lshrrev_b32_e32 v5, 16, v5
	v_cndmask_b32_e32 v5, 0x7fc0, v5, vcc_lo
	s_branch .LBB167_1524
.LBB167_1522:
	s_mov_b32 s4, -1
                                        ; implicit-def: $vgpr5
	s_branch .LBB167_1527
.LBB167_1523:
	s_mov_b32 s4, -1
                                        ; implicit-def: $vgpr5
.LBB167_1524:
	s_delay_alu instid0(SALU_CYCLE_1)
	s_and_not1_b32 vcc_lo, exec_lo, s4
	s_cbranch_vccnz .LBB167_1526
; %bb.1525:
	s_wait_loadcnt 0x0
	global_load_b32 v4, v[0:1], off
	s_wait_loadcnt 0x0
	v_bfe_u32 v5, v4, 16, 1
	v_cmp_o_f32_e32 vcc_lo, v4, v4
	s_delay_alu instid0(VALU_DEP_2) | instskip(NEXT) | instid1(VALU_DEP_1)
	v_add3_u32 v5, v4, v5, 0x7fff
	v_lshrrev_b32_e32 v5, 16, v5
	s_delay_alu instid0(VALU_DEP_1)
	v_cndmask_b32_e32 v5, 0x7fc0, v5, vcc_lo
.LBB167_1526:
	s_mov_b32 s4, 0
.LBB167_1527:
	s_delay_alu instid0(SALU_CYCLE_1)
	s_and_not1_b32 vcc_lo, exec_lo, s4
	s_cbranch_vccnz .LBB167_1529
; %bb.1528:
	s_wait_loadcnt 0x0
	global_load_u16 v4, v[0:1], off
	s_wait_loadcnt 0x0
	v_cvt_f32_f16_e32 v5, v4
	v_cmp_o_f16_e32 vcc_lo, v4, v4
	s_delay_alu instid0(VALU_DEP_2) | instskip(NEXT) | instid1(VALU_DEP_1)
	v_bfe_u32 v6, v5, 16, 1
	v_add3_u32 v5, v5, v6, 0x7fff
	s_delay_alu instid0(VALU_DEP_1) | instskip(NEXT) | instid1(VALU_DEP_1)
	v_lshrrev_b32_e32 v5, 16, v5
	v_cndmask_b32_e32 v5, 0x7fc0, v5, vcc_lo
.LBB167_1529:
	s_cbranch_execnz .LBB167_1548
.LBB167_1530:
	s_sext_i32_i16 s4, s34
	s_delay_alu instid0(SALU_CYCLE_1)
	s_cmp_lt_i32 s4, 2
	s_cbranch_scc1 .LBB167_1534
; %bb.1531:
	s_cmp_lt_i32 s4, 3
	s_cbranch_scc1 .LBB167_1535
; %bb.1532:
	s_cmp_gt_i32 s4, 3
	s_cbranch_scc0 .LBB167_1536
; %bb.1533:
	s_wait_loadcnt 0x0
	global_load_b64 v[4:5], v[0:1], off
	s_mov_b32 s4, 0
	s_wait_loadcnt 0x0
	v_xor_b32_e32 v6, v4, v5
	v_cls_i32_e32 v7, v5
	s_delay_alu instid0(VALU_DEP_2) | instskip(NEXT) | instid1(VALU_DEP_1)
	v_ashrrev_i32_e32 v6, 31, v6
	v_add_nc_u32_e32 v6, 32, v6
	s_delay_alu instid0(VALU_DEP_1) | instskip(NEXT) | instid1(VALU_DEP_1)
	v_add_min_u32_e64 v6, v7, -1, v6
	v_lshlrev_b64_e32 v[4:5], v6, v[4:5]
	s_delay_alu instid0(VALU_DEP_1) | instskip(NEXT) | instid1(VALU_DEP_1)
	v_min_u32_e32 v4, 1, v4
	v_dual_sub_nc_u32 v5, 32, v6 :: v_dual_bitop2_b32 v4, v5, v4 bitop3:0x54
	s_delay_alu instid0(VALU_DEP_1) | instskip(NEXT) | instid1(VALU_DEP_1)
	v_cvt_f32_i32_e32 v4, v4
	v_ldexp_f32 v4, v4, v5
	s_delay_alu instid0(VALU_DEP_1) | instskip(NEXT) | instid1(VALU_DEP_1)
	v_bfe_u32 v5, v4, 16, 1
	v_add3_u32 v4, v4, v5, 0x7fff
	s_delay_alu instid0(VALU_DEP_1)
	v_lshrrev_b32_e32 v5, 16, v4
	s_branch .LBB167_1537
.LBB167_1534:
                                        ; implicit-def: $vgpr5
	s_branch .LBB167_1543
.LBB167_1535:
	s_mov_b32 s4, -1
                                        ; implicit-def: $vgpr5
	s_branch .LBB167_1540
.LBB167_1536:
	s_mov_b32 s4, -1
                                        ; implicit-def: $vgpr5
.LBB167_1537:
	s_delay_alu instid0(SALU_CYCLE_1)
	s_and_not1_b32 vcc_lo, exec_lo, s4
	s_cbranch_vccnz .LBB167_1539
; %bb.1538:
	s_wait_loadcnt 0x0
	global_load_b32 v4, v[0:1], off
	s_wait_loadcnt 0x0
	v_cvt_f32_i32_e32 v4, v4
	s_delay_alu instid0(VALU_DEP_1) | instskip(NEXT) | instid1(VALU_DEP_1)
	v_bfe_u32 v5, v4, 16, 1
	v_add3_u32 v4, v4, v5, 0x7fff
	s_delay_alu instid0(VALU_DEP_1)
	v_lshrrev_b32_e32 v5, 16, v4
.LBB167_1539:
	s_mov_b32 s4, 0
.LBB167_1540:
	s_delay_alu instid0(SALU_CYCLE_1)
	s_and_not1_b32 vcc_lo, exec_lo, s4
	s_cbranch_vccnz .LBB167_1542
; %bb.1541:
	s_wait_loadcnt 0x0
	global_load_i16 v4, v[0:1], off
	s_wait_loadcnt 0x0
	v_cvt_f32_i32_e32 v4, v4
	s_delay_alu instid0(VALU_DEP_1) | instskip(NEXT) | instid1(VALU_DEP_1)
	v_bfe_u32 v5, v4, 16, 1
	v_add3_u32 v4, v4, v5, 0x7fff
	s_delay_alu instid0(VALU_DEP_1)
	v_lshrrev_b32_e32 v5, 16, v4
.LBB167_1542:
	s_cbranch_execnz .LBB167_1548
.LBB167_1543:
	s_sext_i32_i16 s4, s34
	s_delay_alu instid0(SALU_CYCLE_1)
	s_cmp_gt_i32 s4, 0
	s_mov_b32 s4, 0
	s_cbranch_scc0 .LBB167_1545
; %bb.1544:
	s_wait_loadcnt 0x0
	global_load_i8 v4, v[0:1], off
	s_wait_loadcnt 0x0
	v_cvt_f32_i32_e32 v4, v4
	s_delay_alu instid0(VALU_DEP_1) | instskip(NEXT) | instid1(VALU_DEP_1)
	v_bfe_u32 v5, v4, 16, 1
	v_add3_u32 v4, v4, v5, 0x7fff
	s_delay_alu instid0(VALU_DEP_1)
	v_lshrrev_b32_e32 v5, 16, v4
	s_branch .LBB167_1546
.LBB167_1545:
	s_mov_b32 s4, -1
                                        ; implicit-def: $vgpr5
.LBB167_1546:
	s_delay_alu instid0(SALU_CYCLE_1)
	s_and_not1_b32 vcc_lo, exec_lo, s4
	s_cbranch_vccnz .LBB167_1548
; %bb.1547:
	s_wait_loadcnt 0x0
	global_load_u8 v0, v[0:1], off
	s_wait_loadcnt 0x0
	v_cvt_f32_ubyte0_e32 v0, v0
	s_delay_alu instid0(VALU_DEP_1) | instskip(NEXT) | instid1(VALU_DEP_1)
	v_bfe_u32 v1, v0, 16, 1
	v_add3_u32 v0, v0, v1, 0x7fff
	s_delay_alu instid0(VALU_DEP_1)
	v_lshrrev_b32_e32 v5, 16, v0
.LBB167_1548:
	s_or_b32 s8, s8, exec_lo
.LBB167_1549:
	s_wait_xcnt 0x0
	s_or_b32 exec_lo, exec_lo, s0
	s_mov_b32 s0, 0
	s_mov_b32 s6, 0
                                        ; implicit-def: $sgpr4
                                        ; implicit-def: $vgpr0_vgpr1
                                        ; implicit-def: $vgpr4
	s_and_saveexec_b32 s5, s8
	s_cbranch_execz .LBB167_1557
; %bb.1550:
	s_wait_loadcnt 0x0
	v_dual_lshlrev_b32 v0, 16, v3 :: v_dual_lshlrev_b32 v3, 16, v5
	s_and_b32 s4, s33, 0xff
	s_delay_alu instid0(SALU_CYCLE_1) | instskip(NEXT) | instid1(VALU_DEP_1)
	s_cmp_lt_i32 s4, 11
	v_mul_f32_e32 v0, s9, v0
	s_delay_alu instid0(VALU_DEP_1) | instskip(SKIP_1) | instid1(VALU_DEP_2)
	v_bfe_u32 v1, v0, 16, 1
	v_cmp_o_f32_e32 vcc_lo, v0, v0
	v_add3_u32 v1, v0, v1, 0x7fff
	s_delay_alu instid0(VALU_DEP_1) | instskip(NEXT) | instid1(VALU_DEP_1)
	v_and_b32_e32 v1, 0xffff0000, v1
	v_cndmask_b32_e32 v0, 0x7fc00000, v1, vcc_lo
	s_delay_alu instid0(VALU_DEP_1) | instskip(NEXT) | instid1(VALU_DEP_1)
	v_dual_mul_f32 v4, v0, v3 :: v_dual_mov_b32 v3, 0
	v_bfe_u32 v0, v4, 16, 1
	s_delay_alu instid0(VALU_DEP_1) | instskip(NEXT) | instid1(VALU_DEP_1)
	v_add3_u32 v0, v4, v0, 0x7fff
	v_lshrrev_b32_e32 v5, 16, v0
	v_cmp_o_f32_e32 vcc_lo, v4, v4
	v_add_nc_u64_e32 v[0:1], s[16:17], v[2:3]
	s_delay_alu instid0(VALU_DEP_3)
	v_cndmask_b32_e32 v4, 0x7fc0, v5, vcc_lo
	s_cbranch_scc1 .LBB167_1560
; %bb.1551:
	s_and_b32 s6, 0xffff, s4
	s_mov_b32 s7, -1
	s_cmp_gt_i32 s6, 25
	s_mov_b32 s0, s42
	s_cbranch_scc0 .LBB167_1588
; %bb.1552:
	s_cmp_gt_i32 s6, 28
	s_mov_b32 s0, s42
	s_cbranch_scc0 .LBB167_1572
; %bb.1553:
	;; [unrolled: 4-line block ×4, first 2 shown]
	s_cmp_eq_u32 s6, 46
	s_mov_b32 s0, -1
	s_cbranch_scc0 .LBB167_1561
; %bb.1556:
	v_and_b32_e32 v2, 0xffff, v4
	s_mov_b32 s0, 0
	s_mov_b32 s7, 0
	global_store_b32 v[0:1], v2, off
	s_branch .LBB167_1562
.LBB167_1557:
	s_or_b32 exec_lo, exec_lo, s5
	s_and_saveexec_b32 s5, s42
	s_cbranch_execnz .LBB167_1630
.LBB167_1558:
	s_or_b32 exec_lo, exec_lo, s5
	s_and_saveexec_b32 s5, s0
	s_delay_alu instid0(SALU_CYCLE_1)
	s_xor_b32 s0, exec_lo, s5
	s_cbranch_execz .LBB167_1631
.LBB167_1559:
	v_and_b32_e32 v2, 0x7fff, v4
	s_delay_alu instid0(VALU_DEP_1)
	v_cmp_ne_u16_e32 vcc_lo, 0, v2
	v_cndmask_b32_e64 v2, 0, 1, vcc_lo
	s_wait_loadcnt 0x0
	global_store_b8 v[0:1], v2, off
	s_wait_xcnt 0x0
	s_or_b32 exec_lo, exec_lo, s0
	s_and_saveexec_b32 s0, s6
	s_delay_alu instid0(SALU_CYCLE_1)
	s_xor_b32 s0, exec_lo, s0
	s_cbranch_execz .LBB167_1669
	s_branch .LBB167_1632
.LBB167_1560:
	s_mov_b32 s8, 0
	s_mov_b32 s7, -1
	s_mov_b32 s0, s42
	s_branch .LBB167_1629
.LBB167_1561:
	s_mov_b32 s7, 0
.LBB167_1562:
	s_delay_alu instid0(SALU_CYCLE_1)
	s_and_b32 vcc_lo, exec_lo, s7
	s_cbranch_vccz .LBB167_1567
; %bb.1563:
	s_cmp_eq_u32 s6, 44
	s_mov_b32 s0, -1
	s_cbranch_scc0 .LBB167_1567
; %bb.1564:
	s_wait_xcnt 0x0
	v_and_b32_e32 v2, 0xffff, v4
	v_mov_b32_e32 v3, 0xff
	s_mov_b32 s7, exec_lo
	s_delay_alu instid0(VALU_DEP_2) | instskip(NEXT) | instid1(VALU_DEP_1)
	v_bfe_u32 v5, v2, 7, 8
	v_cmpx_ne_u32_e32 0xff, v5
	s_cbranch_execz .LBB167_1566
; %bb.1565:
	v_dual_lshlrev_b32 v3, 16, v2 :: v_dual_bitop2_b32 v6, 64, v2 bitop3:0x40
	v_lshrrev_b32_e32 v2, 7, v2
	s_delay_alu instid0(VALU_DEP_2) | instskip(NEXT) | instid1(VALU_DEP_3)
	v_and_or_b32 v3, 0x3f0000, v3, v5
	v_cmp_ne_u32_e32 vcc_lo, 0, v6
	s_delay_alu instid0(VALU_DEP_2) | instskip(SKIP_1) | instid1(SALU_CYCLE_1)
	v_cmp_ne_u32_e64 s0, 0, v3
	s_and_b32 s0, vcc_lo, s0
	v_cndmask_b32_e64 v3, 0, 1, s0
	s_delay_alu instid0(VALU_DEP_1)
	v_add_nc_u32_e32 v3, v2, v3
.LBB167_1566:
	s_or_b32 exec_lo, exec_lo, s7
	s_mov_b32 s0, 0
	global_store_b8 v[0:1], v3, off
.LBB167_1567:
	s_mov_b32 s7, 0
.LBB167_1568:
	s_delay_alu instid0(SALU_CYCLE_1)
	s_and_b32 vcc_lo, exec_lo, s7
	s_cbranch_vccz .LBB167_1571
; %bb.1569:
	s_cmp_eq_u32 s6, 29
	s_mov_b32 s0, -1
	s_cbranch_scc0 .LBB167_1571
; %bb.1570:
	s_wait_xcnt 0x0
	v_lshlrev_b32_e32 v2, 16, v4
	s_mov_b32 s0, 0
	s_mov_b32 s7, 0
	s_delay_alu instid0(VALU_DEP_1) | instskip(NEXT) | instid1(VALU_DEP_1)
	v_trunc_f32_e32 v2, v2
	v_mul_f32_e32 v3, 0x2f800000, v2
	s_delay_alu instid0(VALU_DEP_1) | instskip(NEXT) | instid1(VALU_DEP_1)
	v_floor_f32_e32 v3, v3
	v_fmamk_f32 v2, v3, 0xcf800000, v2
	v_cvt_u32_f32_e32 v3, v3
	s_delay_alu instid0(VALU_DEP_2)
	v_cvt_u32_f32_e32 v2, v2
	global_store_b64 v[0:1], v[2:3], off
	s_branch .LBB167_1572
.LBB167_1571:
	s_mov_b32 s7, 0
.LBB167_1572:
	s_delay_alu instid0(SALU_CYCLE_1)
	s_and_b32 vcc_lo, exec_lo, s7
	s_cbranch_vccz .LBB167_1587
; %bb.1573:
	s_cmp_lt_i32 s6, 27
	s_mov_b32 s7, -1
	s_cbranch_scc1 .LBB167_1579
; %bb.1574:
	s_cmp_gt_i32 s6, 27
	s_cbranch_scc0 .LBB167_1576
; %bb.1575:
	s_wait_xcnt 0x0
	v_lshlrev_b32_e32 v2, 16, v4
	s_mov_b32 s7, 0
	s_delay_alu instid0(VALU_DEP_1)
	v_cvt_u32_f32_e32 v2, v2
	global_store_b32 v[0:1], v2, off
.LBB167_1576:
	s_and_not1_b32 vcc_lo, exec_lo, s7
	s_cbranch_vccnz .LBB167_1578
; %bb.1577:
	s_wait_xcnt 0x0
	v_lshlrev_b32_e32 v2, 16, v4
	s_delay_alu instid0(VALU_DEP_1)
	v_cvt_u32_f32_e32 v2, v2
	global_store_b16 v[0:1], v2, off
.LBB167_1578:
	s_mov_b32 s7, 0
.LBB167_1579:
	s_delay_alu instid0(SALU_CYCLE_1)
	s_and_not1_b32 vcc_lo, exec_lo, s7
	s_cbranch_vccnz .LBB167_1587
; %bb.1580:
	v_dual_mov_b32 v6, 0x80 :: v_dual_lshlrev_b32 v5, 16, v4
	s_mov_b32 s7, exec_lo
	s_wait_xcnt 0x0
	s_delay_alu instid0(VALU_DEP_1) | instskip(NEXT) | instid1(VALU_DEP_1)
	v_and_b32_e32 v3, 0x7fffffff, v5
	v_cmpx_gt_u32_e32 0x43800000, v3
	s_cbranch_execz .LBB167_1586
; %bb.1581:
	v_and_b32_e32 v2, 0xffff, v4
	v_cmp_lt_u32_e32 vcc_lo, 0x3bffffff, v3
	s_mov_b32 s8, 0
                                        ; implicit-def: $vgpr3
	s_and_saveexec_b32 s9, vcc_lo
	s_delay_alu instid0(SALU_CYCLE_1)
	s_xor_b32 s9, exec_lo, s9
	s_cbranch_execz .LBB167_1745
; %bb.1582:
	v_bfe_u32 v3, v2, 4, 1
	s_mov_b32 s8, exec_lo
	s_delay_alu instid0(VALU_DEP_1) | instskip(NEXT) | instid1(VALU_DEP_1)
	v_add3_u32 v3, v5, v3, 0x487ffff
                                        ; implicit-def: $vgpr5
	v_lshrrev_b32_e32 v3, 20, v3
	s_and_not1_saveexec_b32 s9, s9
	s_cbranch_execnz .LBB167_1746
.LBB167_1583:
	s_or_b32 exec_lo, exec_lo, s9
	v_mov_b32_e32 v6, 0
	s_and_saveexec_b32 s9, s8
.LBB167_1584:
	v_lshrrev_b32_e32 v2, 8, v2
	s_delay_alu instid0(VALU_DEP_1)
	v_and_or_b32 v6, 0x80, v2, v3
.LBB167_1585:
	s_or_b32 exec_lo, exec_lo, s9
.LBB167_1586:
	s_delay_alu instid0(SALU_CYCLE_1)
	s_or_b32 exec_lo, exec_lo, s7
	global_store_b8 v[0:1], v6, off
.LBB167_1587:
	s_mov_b32 s7, 0
.LBB167_1588:
	s_delay_alu instid0(SALU_CYCLE_1)
	s_and_b32 vcc_lo, exec_lo, s7
	s_mov_b32 s7, 0
	s_cbranch_vccz .LBB167_1628
; %bb.1589:
	s_cmp_gt_i32 s6, 22
	s_mov_b32 s8, -1
	s_cbranch_scc0 .LBB167_1621
; %bb.1590:
	s_cmp_lt_i32 s6, 24
	s_cbranch_scc1 .LBB167_1610
; %bb.1591:
	s_cmp_gt_i32 s6, 24
	s_cbranch_scc0 .LBB167_1599
; %bb.1592:
	s_wait_xcnt 0x0
	v_dual_mov_b32 v6, 0x80 :: v_dual_lshlrev_b32 v5, 16, v4
	s_mov_b32 s8, exec_lo
	s_delay_alu instid0(VALU_DEP_1) | instskip(NEXT) | instid1(VALU_DEP_1)
	v_and_b32_e32 v3, 0x7fffffff, v5
	v_cmpx_gt_u32_e32 0x47800000, v3
	s_cbranch_execz .LBB167_1598
; %bb.1593:
	v_and_b32_e32 v2, 0xffff, v4
	v_cmp_lt_u32_e32 vcc_lo, 0x37ffffff, v3
	s_mov_b32 s9, 0
                                        ; implicit-def: $vgpr3
	s_and_saveexec_b32 s10, vcc_lo
	s_delay_alu instid0(SALU_CYCLE_1)
	s_xor_b32 s10, exec_lo, s10
	s_cbranch_execz .LBB167_1748
; %bb.1594:
	v_bfe_u32 v3, v2, 5, 1
	s_mov_b32 s9, exec_lo
	s_delay_alu instid0(VALU_DEP_1) | instskip(NEXT) | instid1(VALU_DEP_1)
	v_add3_u32 v3, v5, v3, 0x88fffff
                                        ; implicit-def: $vgpr5
	v_lshrrev_b32_e32 v3, 21, v3
	s_and_not1_saveexec_b32 s10, s10
	s_cbranch_execnz .LBB167_1749
.LBB167_1595:
	s_or_b32 exec_lo, exec_lo, s10
	v_mov_b32_e32 v6, 0
	s_and_saveexec_b32 s10, s9
.LBB167_1596:
	v_lshrrev_b32_e32 v2, 8, v2
	s_delay_alu instid0(VALU_DEP_1)
	v_and_or_b32 v6, 0x80, v2, v3
.LBB167_1597:
	s_or_b32 exec_lo, exec_lo, s10
.LBB167_1598:
	s_delay_alu instid0(SALU_CYCLE_1)
	s_or_b32 exec_lo, exec_lo, s8
	s_mov_b32 s8, 0
	global_store_b8 v[0:1], v6, off
.LBB167_1599:
	s_and_b32 vcc_lo, exec_lo, s8
	s_cbranch_vccz .LBB167_1609
; %bb.1600:
	v_lshlrev_b32_e32 v5, 16, v4
	s_wait_xcnt 0x0
	v_and_b32_e32 v2, 0xffff, v4
	s_mov_b32 s8, exec_lo
                                        ; implicit-def: $vgpr3
	s_delay_alu instid0(VALU_DEP_2) | instskip(NEXT) | instid1(VALU_DEP_1)
	v_and_b32_e32 v6, 0x7fffffff, v5
	v_cmpx_gt_u32_e32 0x43f00000, v6
	s_xor_b32 s8, exec_lo, s8
	s_cbranch_execz .LBB167_1606
; %bb.1601:
	s_mov_b32 s9, exec_lo
                                        ; implicit-def: $vgpr3
	v_cmpx_lt_u32_e32 0x3c7fffff, v6
	s_xor_b32 s9, exec_lo, s9
; %bb.1602:
	v_bfe_u32 v3, v2, 4, 1
	s_delay_alu instid0(VALU_DEP_1) | instskip(NEXT) | instid1(VALU_DEP_1)
	v_add3_u32 v3, v5, v3, 0x407ffff
	v_and_b32_e32 v5, 0xff00000, v3
	v_lshrrev_b32_e32 v3, 20, v3
	s_delay_alu instid0(VALU_DEP_2) | instskip(NEXT) | instid1(VALU_DEP_2)
	v_cmp_ne_u32_e32 vcc_lo, 0x7f00000, v5
                                        ; implicit-def: $vgpr5
	v_cndmask_b32_e32 v3, 0x7e, v3, vcc_lo
; %bb.1603:
	s_and_not1_saveexec_b32 s9, s9
; %bb.1604:
	v_add_f32_e64 v3, 0x46800000, |v5|
; %bb.1605:
	s_or_b32 exec_lo, exec_lo, s9
                                        ; implicit-def: $vgpr6
.LBB167_1606:
	s_and_not1_saveexec_b32 s8, s8
; %bb.1607:
	v_mov_b32_e32 v3, 0x7f
	v_cmp_lt_u32_e32 vcc_lo, 0x7f800000, v6
	s_delay_alu instid0(VALU_DEP_2)
	v_cndmask_b32_e32 v3, 0x7e, v3, vcc_lo
; %bb.1608:
	s_or_b32 exec_lo, exec_lo, s8
	v_lshrrev_b32_e32 v2, 8, v2
	s_delay_alu instid0(VALU_DEP_1)
	v_and_or_b32 v2, 0x80, v2, v3
	global_store_b8 v[0:1], v2, off
.LBB167_1609:
	s_mov_b32 s8, 0
.LBB167_1610:
	s_delay_alu instid0(SALU_CYCLE_1)
	s_and_not1_b32 vcc_lo, exec_lo, s8
	s_cbranch_vccnz .LBB167_1620
; %bb.1611:
	v_lshlrev_b32_e32 v5, 16, v4
	s_wait_xcnt 0x0
	v_and_b32_e32 v2, 0xffff, v4
	s_mov_b32 s8, exec_lo
                                        ; implicit-def: $vgpr3
	s_delay_alu instid0(VALU_DEP_2) | instskip(NEXT) | instid1(VALU_DEP_1)
	v_and_b32_e32 v6, 0x7fffffff, v5
	v_cmpx_gt_u32_e32 0x47800000, v6
	s_xor_b32 s8, exec_lo, s8
	s_cbranch_execz .LBB167_1617
; %bb.1612:
	s_mov_b32 s9, exec_lo
                                        ; implicit-def: $vgpr3
	v_cmpx_lt_u32_e32 0x387fffff, v6
	s_xor_b32 s9, exec_lo, s9
; %bb.1613:
	v_bfe_u32 v3, v2, 5, 1
	s_delay_alu instid0(VALU_DEP_1) | instskip(NEXT) | instid1(VALU_DEP_1)
	v_add3_u32 v3, v5, v3, 0x80fffff
                                        ; implicit-def: $vgpr5
	v_lshrrev_b32_e32 v3, 21, v3
; %bb.1614:
	s_and_not1_saveexec_b32 s9, s9
; %bb.1615:
	v_add_f32_e64 v3, 0x43000000, |v5|
; %bb.1616:
	s_or_b32 exec_lo, exec_lo, s9
                                        ; implicit-def: $vgpr6
.LBB167_1617:
	s_and_not1_saveexec_b32 s8, s8
; %bb.1618:
	v_mov_b32_e32 v3, 0x7f
	v_cmp_lt_u32_e32 vcc_lo, 0x7f800000, v6
	s_delay_alu instid0(VALU_DEP_2)
	v_cndmask_b32_e32 v3, 0x7c, v3, vcc_lo
; %bb.1619:
	s_or_b32 exec_lo, exec_lo, s8
	v_lshrrev_b32_e32 v2, 8, v2
	s_delay_alu instid0(VALU_DEP_1)
	v_and_or_b32 v2, 0x80, v2, v3
	global_store_b8 v[0:1], v2, off
.LBB167_1620:
	s_mov_b32 s8, 0
.LBB167_1621:
	s_delay_alu instid0(SALU_CYCLE_1)
	s_and_not1_b32 vcc_lo, exec_lo, s8
	s_mov_b32 s8, 0
	s_cbranch_vccnz .LBB167_1629
; %bb.1622:
	s_cmp_gt_i32 s6, 14
	s_mov_b32 s8, -1
	s_cbranch_scc0 .LBB167_1626
; %bb.1623:
	s_cmp_eq_u32 s6, 15
	s_mov_b32 s0, -1
	s_cbranch_scc0 .LBB167_1625
; %bb.1624:
	s_mov_b32 s0, 0
	global_store_b16 v[0:1], v4, off
.LBB167_1625:
	s_mov_b32 s8, 0
.LBB167_1626:
	s_delay_alu instid0(SALU_CYCLE_1)
	s_and_b32 vcc_lo, exec_lo, s8
	s_mov_b32 s8, 0
	s_cbranch_vccz .LBB167_1629
; %bb.1627:
	s_cmp_lg_u32 s6, 11
	s_mov_b32 s8, -1
	s_cselect_b32 s6, -1, 0
	s_and_not1_b32 s0, s0, exec_lo
	s_and_b32 s6, s6, exec_lo
	s_delay_alu instid0(SALU_CYCLE_1)
	s_or_b32 s0, s0, s6
	s_branch .LBB167_1629
.LBB167_1628:
	s_mov_b32 s8, 0
.LBB167_1629:
	s_and_b32 s6, s7, exec_lo
	s_and_not1_b32 s7, s42, exec_lo
	s_and_b32 s9, s0, exec_lo
	s_and_b32 s0, s8, exec_lo
	s_or_b32 s42, s7, s9
	s_wait_xcnt 0x0
	s_or_b32 exec_lo, exec_lo, s5
	s_and_saveexec_b32 s5, s42
	s_cbranch_execz .LBB167_1558
.LBB167_1630:
	s_or_b32 s1, s1, exec_lo
	s_and_not1_b32 s0, s0, exec_lo
	s_trap 2
	s_or_b32 exec_lo, exec_lo, s5
	s_and_saveexec_b32 s5, s0
	s_delay_alu instid0(SALU_CYCLE_1)
	s_xor_b32 s0, exec_lo, s5
	s_cbranch_execnz .LBB167_1559
.LBB167_1631:
	s_or_b32 exec_lo, exec_lo, s0
	s_and_saveexec_b32 s0, s6
	s_delay_alu instid0(SALU_CYCLE_1)
	s_xor_b32 s0, exec_lo, s0
	s_cbranch_execz .LBB167_1669
.LBB167_1632:
	s_sext_i32_i16 s6, s4
	s_mov_b32 s5, -1
	s_cmp_lt_i32 s6, 5
	s_cbranch_scc1 .LBB167_1653
; %bb.1633:
	s_cmp_lt_i32 s6, 8
	s_cbranch_scc1 .LBB167_1643
; %bb.1634:
	;; [unrolled: 3-line block ×3, first 2 shown]
	s_cmp_gt_i32 s6, 9
	s_cbranch_scc0 .LBB167_1637
; %bb.1636:
	v_dual_lshlrev_b32 v2, 16, v4 :: v_dual_mov_b32 v8, 0
	s_mov_b32 s5, 0
	s_delay_alu instid0(VALU_DEP_1) | instskip(NEXT) | instid1(VALU_DEP_2)
	v_cvt_f64_f32_e32 v[6:7], v2
	v_mov_b32_e32 v9, v8
	s_wait_loadcnt 0x0
	global_store_b128 v[0:1], v[6:9], off
.LBB167_1637:
	s_and_not1_b32 vcc_lo, exec_lo, s5
	s_cbranch_vccnz .LBB167_1639
; %bb.1638:
	s_wait_loadcnt 0x0
	v_dual_mov_b32 v3, 0 :: v_dual_lshlrev_b32 v2, 16, v4
	global_store_b64 v[0:1], v[2:3], off
.LBB167_1639:
	s_mov_b32 s5, 0
.LBB167_1640:
	s_delay_alu instid0(SALU_CYCLE_1)
	s_and_not1_b32 vcc_lo, exec_lo, s5
	s_cbranch_vccnz .LBB167_1642
; %bb.1641:
	s_wait_xcnt 0x0
	v_lshlrev_b32_e32 v2, 16, v4
	s_delay_alu instid0(VALU_DEP_1) | instskip(NEXT) | instid1(VALU_DEP_1)
	v_cvt_f16_f32_e32 v2, v2
	v_and_b32_e32 v2, 0xffff, v2
	s_wait_loadcnt 0x0
	global_store_b32 v[0:1], v2, off
.LBB167_1642:
	s_mov_b32 s5, 0
.LBB167_1643:
	s_delay_alu instid0(SALU_CYCLE_1)
	s_and_not1_b32 vcc_lo, exec_lo, s5
	s_cbranch_vccnz .LBB167_1652
; %bb.1644:
	s_sext_i32_i16 s6, s4
	s_mov_b32 s5, -1
	s_cmp_lt_i32 s6, 6
	s_cbranch_scc1 .LBB167_1650
; %bb.1645:
	s_cmp_gt_i32 s6, 6
	s_cbranch_scc0 .LBB167_1647
; %bb.1646:
	s_wait_xcnt 0x0
	v_lshlrev_b32_e32 v2, 16, v4
	s_mov_b32 s5, 0
	s_wait_loadcnt 0x0
	s_delay_alu instid0(VALU_DEP_1)
	v_cvt_f64_f32_e32 v[2:3], v2
	global_store_b64 v[0:1], v[2:3], off
.LBB167_1647:
	s_and_not1_b32 vcc_lo, exec_lo, s5
	s_cbranch_vccnz .LBB167_1649
; %bb.1648:
	s_wait_xcnt 0x0
	v_lshlrev_b32_e32 v2, 16, v4
	s_wait_loadcnt 0x0
	global_store_b32 v[0:1], v2, off
.LBB167_1649:
	s_mov_b32 s5, 0
.LBB167_1650:
	s_delay_alu instid0(SALU_CYCLE_1)
	s_and_not1_b32 vcc_lo, exec_lo, s5
	s_cbranch_vccnz .LBB167_1652
; %bb.1651:
	s_wait_xcnt 0x0
	v_lshlrev_b32_e32 v2, 16, v4
	s_delay_alu instid0(VALU_DEP_1)
	v_cvt_f16_f32_e32 v2, v2
	s_wait_loadcnt 0x0
	global_store_b16 v[0:1], v2, off
.LBB167_1652:
	s_mov_b32 s5, 0
.LBB167_1653:
	s_delay_alu instid0(SALU_CYCLE_1)
	s_and_not1_b32 vcc_lo, exec_lo, s5
	s_cbranch_vccnz .LBB167_1669
; %bb.1654:
	s_sext_i32_i16 s6, s4
	s_mov_b32 s5, -1
	s_cmp_lt_i32 s6, 2
	s_cbranch_scc1 .LBB167_1664
; %bb.1655:
	s_cmp_lt_i32 s6, 3
	s_cbranch_scc1 .LBB167_1661
; %bb.1656:
	s_cmp_gt_i32 s6, 3
	s_cbranch_scc0 .LBB167_1658
; %bb.1657:
	s_wait_xcnt 0x0
	v_lshlrev_b32_e32 v2, 16, v4
	s_mov_b32 s5, 0
	s_delay_alu instid0(VALU_DEP_1) | instskip(SKIP_1) | instid1(VALU_DEP_1)
	v_trunc_f32_e32 v2, v2
	s_wait_loadcnt 0x0
	v_mul_f32_e64 v3, 0x2f800000, |v2|
	s_delay_alu instid0(VALU_DEP_1) | instskip(NEXT) | instid1(VALU_DEP_1)
	v_floor_f32_e32 v3, v3
	v_fma_f32 v5, 0xcf800000, v3, |v2|
	v_ashrrev_i32_e32 v2, 31, v2
	v_cvt_u32_f32_e32 v6, v3
	s_delay_alu instid0(VALU_DEP_3) | instskip(NEXT) | instid1(VALU_DEP_3)
	v_cvt_u32_f32_e32 v5, v5
	v_mov_b32_e32 v3, v2
	s_delay_alu instid0(VALU_DEP_3) | instskip(NEXT) | instid1(VALU_DEP_3)
	v_xor_b32_e32 v7, v6, v2
	v_xor_b32_e32 v6, v5, v2
	s_delay_alu instid0(VALU_DEP_1)
	v_sub_nc_u64_e32 v[2:3], v[6:7], v[2:3]
	global_store_b64 v[0:1], v[2:3], off
.LBB167_1658:
	s_and_not1_b32 vcc_lo, exec_lo, s5
	s_cbranch_vccnz .LBB167_1660
; %bb.1659:
	s_wait_xcnt 0x0
	v_lshlrev_b32_e32 v2, 16, v4
	s_delay_alu instid0(VALU_DEP_1)
	v_cvt_i32_f32_e32 v2, v2
	s_wait_loadcnt 0x0
	global_store_b32 v[0:1], v2, off
.LBB167_1660:
	s_mov_b32 s5, 0
.LBB167_1661:
	s_delay_alu instid0(SALU_CYCLE_1)
	s_and_not1_b32 vcc_lo, exec_lo, s5
	s_cbranch_vccnz .LBB167_1663
; %bb.1662:
	s_wait_xcnt 0x0
	v_lshlrev_b32_e32 v2, 16, v4
	s_delay_alu instid0(VALU_DEP_1)
	v_cvt_i32_f32_e32 v2, v2
	s_wait_loadcnt 0x0
	global_store_b16 v[0:1], v2, off
.LBB167_1663:
	s_mov_b32 s5, 0
.LBB167_1664:
	s_delay_alu instid0(SALU_CYCLE_1)
	s_and_not1_b32 vcc_lo, exec_lo, s5
	s_cbranch_vccnz .LBB167_1669
; %bb.1665:
	s_wait_xcnt 0x0
	v_lshlrev_b32_e32 v2, 16, v4
	s_sext_i32_i16 s4, s4
	s_delay_alu instid0(SALU_CYCLE_1)
	s_cmp_gt_i32 s4, 0
	s_mov_b32 s4, -1
	s_cbranch_scc0 .LBB167_1667
; %bb.1666:
	s_wait_loadcnt 0x0
	v_cvt_i32_f32_e32 v3, v2
	s_mov_b32 s4, 0
	global_store_b8 v[0:1], v3, off
.LBB167_1667:
	s_and_not1_b32 vcc_lo, exec_lo, s4
	s_cbranch_vccnz .LBB167_1669
; %bb.1668:
	v_trunc_f32_e32 v2, v2
	s_wait_loadcnt 0x0
	s_delay_alu instid0(VALU_DEP_1) | instskip(NEXT) | instid1(VALU_DEP_1)
	v_mul_f32_e64 v3, 0x2f800000, |v2|
	v_floor_f32_e32 v3, v3
	s_delay_alu instid0(VALU_DEP_1) | instskip(SKIP_1) | instid1(VALU_DEP_2)
	v_fma_f32 v3, 0xcf800000, v3, |v2|
	v_ashrrev_i32_e32 v2, 31, v2
	v_cvt_u32_f32_e32 v3, v3
	s_delay_alu instid0(VALU_DEP_1) | instskip(NEXT) | instid1(VALU_DEP_1)
	v_xor_b32_e32 v3, v3, v2
	v_sub_nc_u32_e32 v2, v3, v2
	global_store_b8 v[0:1], v2, off
.LBB167_1669:
	s_wait_xcnt 0x0
	s_or_b32 exec_lo, exec_lo, s0
	s_delay_alu instid0(SALU_CYCLE_1)
	s_and_b32 s6, s1, exec_lo
                                        ; implicit-def: $vgpr5
                                        ; implicit-def: $vgpr0
.LBB167_1670:
	s_or_saveexec_b32 s7, s31
	s_mov_b32 s0, 0
                                        ; implicit-def: $vgpr2_vgpr3
                                        ; implicit-def: $sgpr1
                                        ; implicit-def: $vgpr1
	s_xor_b32 exec_lo, exec_lo, s7
	s_cbranch_execz .LBB167_3282
; %bb.1671:
	s_wait_loadcnt 0x0
	v_cndmask_b32_e64 v1, 0, 1, s30
	s_and_not1_b32 vcc_lo, exec_lo, s30
	s_cbranch_vccnz .LBB167_1677
; %bb.1672:
	s_cmp_lg_u32 s15, 0
	s_mov_b32 s8, 0
	s_cbranch_scc0 .LBB167_1681
; %bb.1673:
	s_min_u32 s9, s28, 15
	v_dual_mov_b32 v6, 0 :: v_dual_mov_b32 v2, v0
	v_dual_mov_b32 v22, 0 :: v_dual_mov_b32 v20, 0
	s_add_co_i32 s4, s9, 1
	s_mov_b64 s[0:1], 0xffffffffffffffe0
	s_and_b32 s10, s4, 30
	s_add_nc_u64 s[0:1], s[2:3], s[0:1]
	s_mov_b64 s[4:5], s[2:3]
.LBB167_1674:                           ; =>This Inner Loop Header: Depth=1
	s_clause 0x1
	s_load_b128 s[16:19], s[4:5], 0x4
	s_load_b64 s[20:21], s[4:5], 0x14
	s_clause 0x1
	s_load_b32 s11, s[0:1], 0xe4
	s_load_b96 s[12:14], s[0:1], 0xec
	s_add_co_i32 s10, s10, -2
	s_wait_xcnt 0x0
	s_add_nc_u64 s[4:5], s[4:5], 24
	s_cmp_lg_u32 s10, 0
	s_wait_kmcnt 0x0
	v_mul_hi_u32 v3, s17, v2
	s_delay_alu instid0(VALU_DEP_1) | instskip(NEXT) | instid1(VALU_DEP_1)
	v_add_nc_u32_e32 v3, v2, v3
	v_lshrrev_b32_e32 v3, s18, v3
	s_delay_alu instid0(VALU_DEP_1) | instskip(SKIP_4) | instid1(VALU_DEP_1)
	v_mul_hi_u32 v4, s20, v3
	v_mul_lo_u32 v7, v3, s16
	s_load_b64 s[16:17], s[0:1], 0xfc
	s_wait_xcnt 0x0
	s_add_nc_u64 s[0:1], s[0:1], 32
	v_dual_add_nc_u32 v4, v3, v4 :: v_dual_sub_nc_u32 v7, v2, v7
	s_delay_alu instid0(VALU_DEP_1) | instskip(NEXT) | instid1(VALU_DEP_2)
	v_lshrrev_b32_e32 v2, s21, v4
	v_mad_u32 v6, v7, s11, v6
	v_mad_u32 v8, v7, s13, v20
	;; [unrolled: 1-line block ×3, first 2 shown]
	s_delay_alu instid0(VALU_DEP_4) | instskip(NEXT) | instid1(VALU_DEP_1)
	v_mul_lo_u32 v4, v2, s19
	v_sub_nc_u32_e32 v3, v3, v4
	s_delay_alu instid0(VALU_DEP_1)
	v_mad_u32 v6, v3, s14, v6
	s_wait_kmcnt 0x0
	v_mad_u32 v20, v3, s17, v8
	v_mad_u32 v22, v3, s16, v7
	s_cbranch_scc1 .LBB167_1674
; %bb.1675:
	s_bitcmp1_b32 s9, 0
	s_cselect_b32 s9, -1, 0
	s_delay_alu instid0(SALU_CYCLE_1)
	s_and_b32 vcc_lo, exec_lo, s9
	s_cbranch_vccnz .LBB167_1678
; %bb.1676:
	s_load_b96 s[12:14], s[4:5], 0x4
	s_load_b32 s9, s[0:1], 0xe4
	s_wait_xcnt 0x0
	s_load_b64 s[4:5], s[0:1], 0xec
	s_wait_kmcnt 0x0
	v_mul_hi_u32 v3, s13, v2
	s_delay_alu instid0(VALU_DEP_1) | instskip(NEXT) | instid1(VALU_DEP_1)
	v_add_nc_u32_e32 v3, v2, v3
	v_lshrrev_b32_e32 v3, s14, v3
	s_delay_alu instid0(VALU_DEP_1) | instskip(NEXT) | instid1(VALU_DEP_1)
	v_mul_lo_u32 v3, v3, s12
	v_sub_nc_u32_e32 v2, v2, v3
	s_delay_alu instid0(VALU_DEP_1)
	v_mad_u32 v6, v2, s9, v6
	v_mad_u32 v22, v2, s4, v22
	v_mad_u32 v20, v2, s5, v20
	s_and_not1_b32 vcc_lo, exec_lo, s8
	s_cbranch_vccz .LBB167_1679
	s_branch .LBB167_1682
.LBB167_1677:
	s_mov_b32 s8, -1
                                        ; implicit-def: $vgpr20
                                        ; implicit-def: $vgpr22
                                        ; implicit-def: $vgpr6
.LBB167_1678:
	s_delay_alu instid0(SALU_CYCLE_1)
	s_and_not1_b32 vcc_lo, exec_lo, s8
	s_cbranch_vccnz .LBB167_1682
.LBB167_1679:
	s_clause 0x2
	s_load_b96 s[8:10], s[2:3], 0x4
	s_load_b32 s4, s[2:3], 0xc4
	s_load_b64 s[0:1], s[2:3], 0xcc
	s_cmp_lt_u32 s15, 2
	s_wait_kmcnt 0x0
	v_mul_hi_u32 v2, s9, v0
	s_delay_alu instid0(VALU_DEP_1) | instskip(NEXT) | instid1(VALU_DEP_1)
	v_add_nc_u32_e32 v2, v0, v2
	v_lshrrev_b32_e32 v2, s10, v2
	s_delay_alu instid0(VALU_DEP_1) | instskip(NEXT) | instid1(VALU_DEP_1)
	v_mul_lo_u32 v3, v2, s8
	v_sub_nc_u32_e32 v3, v0, v3
	s_delay_alu instid0(VALU_DEP_1)
	v_mul_lo_u32 v6, v3, s4
	v_mul_lo_u32 v20, v3, s1
	;; [unrolled: 1-line block ×3, first 2 shown]
	s_cbranch_scc1 .LBB167_1682
; %bb.1680:
	s_clause 0x2
	s_load_b96 s[8:10], s[2:3], 0x10
	s_load_b32 s4, s[2:3], 0xd4
	s_load_b64 s[0:1], s[2:3], 0xdc
	s_wait_kmcnt 0x0
	v_mul_hi_u32 v3, s9, v2
	s_delay_alu instid0(VALU_DEP_1) | instskip(NEXT) | instid1(VALU_DEP_1)
	v_add_nc_u32_e32 v3, v2, v3
	v_lshrrev_b32_e32 v3, s10, v3
	s_delay_alu instid0(VALU_DEP_1) | instskip(NEXT) | instid1(VALU_DEP_1)
	v_mul_lo_u32 v3, v3, s8
	v_sub_nc_u32_e32 v2, v2, v3
	s_delay_alu instid0(VALU_DEP_1)
	v_mad_u32 v6, v2, s4, v6
	v_mad_u32 v22, v2, s0, v22
	;; [unrolled: 1-line block ×3, first 2 shown]
	s_branch .LBB167_1682
.LBB167_1681:
	v_dual_mov_b32 v20, 0 :: v_dual_mov_b32 v22, 0
	v_mov_b32_e32 v6, 0
	s_and_not1_b32 vcc_lo, exec_lo, s8
	s_cbranch_vccz .LBB167_1679
.LBB167_1682:
	v_cmp_ne_u32_e32 vcc_lo, 1, v1
	v_add_nc_u32_e32 v2, 0x80, v0
	s_cbranch_vccnz .LBB167_1688
; %bb.1683:
	s_cmp_lg_u32 s15, 0
	s_mov_b32 s8, 0
	s_cbranch_scc0 .LBB167_1692
; %bb.1684:
	s_min_u32 s9, s28, 15
	v_dual_mov_b32 v4, 0 :: v_dual_mov_b32 v3, v2
	v_dual_mov_b32 v18, 0 :: v_dual_mov_b32 v16, 0
	s_add_co_i32 s4, s9, 1
	s_mov_b64 s[0:1], 0xffffffffffffffe0
	s_and_b32 s10, s4, 30
	s_add_nc_u64 s[0:1], s[2:3], s[0:1]
	s_mov_b64 s[4:5], s[2:3]
.LBB167_1685:                           ; =>This Inner Loop Header: Depth=1
	s_clause 0x1
	s_load_b128 s[16:19], s[4:5], 0x4
	s_load_b64 s[20:21], s[4:5], 0x14
	s_clause 0x1
	s_load_b32 s11, s[0:1], 0xe4
	s_load_b96 s[12:14], s[0:1], 0xec
	s_add_co_i32 s10, s10, -2
	s_wait_xcnt 0x0
	s_add_nc_u64 s[4:5], s[4:5], 24
	s_cmp_lg_u32 s10, 0
	s_wait_kmcnt 0x0
	v_mul_hi_u32 v7, s17, v3
	s_delay_alu instid0(VALU_DEP_1) | instskip(NEXT) | instid1(VALU_DEP_1)
	v_add_nc_u32_e32 v7, v3, v7
	v_lshrrev_b32_e32 v7, s18, v7
	s_delay_alu instid0(VALU_DEP_1) | instskip(SKIP_4) | instid1(VALU_DEP_2)
	v_mul_hi_u32 v8, s20, v7
	v_mul_lo_u32 v9, v7, s16
	s_load_b64 s[16:17], s[0:1], 0xfc
	s_wait_xcnt 0x0
	s_add_nc_u64 s[0:1], s[0:1], 32
	v_add_nc_u32_e32 v8, v7, v8
	s_delay_alu instid0(VALU_DEP_1) | instskip(NEXT) | instid1(VALU_DEP_1)
	v_dual_sub_nc_u32 v9, v3, v9 :: v_dual_lshrrev_b32 v3, s21, v8
	v_mad_u32 v4, v9, s11, v4
	v_mad_u32 v10, v9, s13, v16
	;; [unrolled: 1-line block ×3, first 2 shown]
	s_delay_alu instid0(VALU_DEP_4) | instskip(NEXT) | instid1(VALU_DEP_1)
	v_mul_lo_u32 v8, v3, s19
	v_sub_nc_u32_e32 v7, v7, v8
	s_delay_alu instid0(VALU_DEP_1)
	v_mad_u32 v4, v7, s14, v4
	s_wait_kmcnt 0x0
	v_mad_u32 v16, v7, s17, v10
	v_mad_u32 v18, v7, s16, v9
	s_cbranch_scc1 .LBB167_1685
; %bb.1686:
	s_bitcmp1_b32 s9, 0
	s_cselect_b32 s9, -1, 0
	s_delay_alu instid0(SALU_CYCLE_1)
	s_and_b32 vcc_lo, exec_lo, s9
	s_cbranch_vccnz .LBB167_1689
; %bb.1687:
	s_load_b96 s[12:14], s[4:5], 0x4
	s_load_b32 s9, s[0:1], 0xe4
	s_wait_xcnt 0x0
	s_load_b64 s[4:5], s[0:1], 0xec
	s_wait_kmcnt 0x0
	v_mul_hi_u32 v7, s13, v3
	s_delay_alu instid0(VALU_DEP_1) | instskip(NEXT) | instid1(VALU_DEP_1)
	v_add_nc_u32_e32 v7, v3, v7
	v_lshrrev_b32_e32 v7, s14, v7
	s_delay_alu instid0(VALU_DEP_1) | instskip(NEXT) | instid1(VALU_DEP_1)
	v_mul_lo_u32 v7, v7, s12
	v_sub_nc_u32_e32 v3, v3, v7
	s_delay_alu instid0(VALU_DEP_1)
	v_mad_u32 v4, v3, s9, v4
	v_mad_u32 v18, v3, s4, v18
	v_mad_u32 v16, v3, s5, v16
	s_and_not1_b32 vcc_lo, exec_lo, s8
	s_cbranch_vccz .LBB167_1690
	s_branch .LBB167_1693
.LBB167_1688:
	s_mov_b32 s8, -1
                                        ; implicit-def: $vgpr16
                                        ; implicit-def: $vgpr18
                                        ; implicit-def: $vgpr4
.LBB167_1689:
	s_delay_alu instid0(SALU_CYCLE_1)
	s_and_not1_b32 vcc_lo, exec_lo, s8
	s_cbranch_vccnz .LBB167_1693
.LBB167_1690:
	s_clause 0x2
	s_load_b96 s[8:10], s[2:3], 0x4
	s_load_b32 s4, s[2:3], 0xc4
	s_load_b64 s[0:1], s[2:3], 0xcc
	s_cmp_lt_u32 s15, 2
	s_wait_kmcnt 0x0
	v_mul_hi_u32 v3, s9, v2
	s_delay_alu instid0(VALU_DEP_1) | instskip(NEXT) | instid1(VALU_DEP_1)
	v_add_nc_u32_e32 v3, v2, v3
	v_lshrrev_b32_e32 v3, s10, v3
	s_delay_alu instid0(VALU_DEP_1) | instskip(NEXT) | instid1(VALU_DEP_1)
	v_mul_lo_u32 v4, v3, s8
	v_sub_nc_u32_e32 v2, v2, v4
	s_delay_alu instid0(VALU_DEP_1)
	v_mul_lo_u32 v4, v2, s4
	v_mul_lo_u32 v16, v2, s1
	;; [unrolled: 1-line block ×3, first 2 shown]
	s_cbranch_scc1 .LBB167_1693
; %bb.1691:
	s_clause 0x2
	s_load_b96 s[8:10], s[2:3], 0x10
	s_load_b32 s4, s[2:3], 0xd4
	s_load_b64 s[0:1], s[2:3], 0xdc
	s_wait_kmcnt 0x0
	v_mul_hi_u32 v2, s9, v3
	s_delay_alu instid0(VALU_DEP_1) | instskip(NEXT) | instid1(VALU_DEP_1)
	v_add_nc_u32_e32 v2, v3, v2
	v_lshrrev_b32_e32 v2, s10, v2
	s_delay_alu instid0(VALU_DEP_1) | instskip(NEXT) | instid1(VALU_DEP_1)
	v_mul_lo_u32 v2, v2, s8
	v_sub_nc_u32_e32 v2, v3, v2
	s_delay_alu instid0(VALU_DEP_1)
	v_mad_u32 v4, v2, s4, v4
	v_mad_u32 v18, v2, s0, v18
	;; [unrolled: 1-line block ×3, first 2 shown]
	s_branch .LBB167_1693
.LBB167_1692:
	v_dual_mov_b32 v16, 0 :: v_dual_mov_b32 v18, 0
	v_mov_b32_e32 v4, 0
	s_and_not1_b32 vcc_lo, exec_lo, s8
	s_cbranch_vccz .LBB167_1690
.LBB167_1693:
	v_cmp_ne_u32_e32 vcc_lo, 1, v1
	v_add_nc_u32_e32 v0, 0x100, v0
	s_cbranch_vccnz .LBB167_1699
; %bb.1694:
	s_cmp_lg_u32 s15, 0
	s_mov_b32 s8, 0
	s_cbranch_scc0 .LBB167_1703
; %bb.1695:
	s_min_u32 s9, s28, 15
	v_dual_mov_b32 v2, 0 :: v_dual_mov_b32 v3, v0
	v_dual_mov_b32 v14, 0 :: v_dual_mov_b32 v12, 0
	s_add_co_i32 s4, s9, 1
	s_mov_b64 s[0:1], 0xffffffffffffffe0
	s_and_b32 s10, s4, 30
	s_add_nc_u64 s[0:1], s[2:3], s[0:1]
	s_mov_b64 s[4:5], s[2:3]
.LBB167_1696:                           ; =>This Inner Loop Header: Depth=1
	s_clause 0x1
	s_load_b128 s[16:19], s[4:5], 0x4
	s_load_b64 s[20:21], s[4:5], 0x14
	s_clause 0x1
	s_load_b32 s11, s[0:1], 0xe4
	s_load_b96 s[12:14], s[0:1], 0xec
	s_add_co_i32 s10, s10, -2
	s_wait_xcnt 0x0
	s_add_nc_u64 s[4:5], s[4:5], 24
	s_cmp_lg_u32 s10, 0
	s_wait_kmcnt 0x0
	v_mul_hi_u32 v7, s17, v3
	s_delay_alu instid0(VALU_DEP_1) | instskip(NEXT) | instid1(VALU_DEP_1)
	v_add_nc_u32_e32 v7, v3, v7
	v_lshrrev_b32_e32 v7, s18, v7
	s_delay_alu instid0(VALU_DEP_1) | instskip(SKIP_4) | instid1(VALU_DEP_2)
	v_mul_hi_u32 v8, s20, v7
	v_mul_lo_u32 v9, v7, s16
	s_load_b64 s[16:17], s[0:1], 0xfc
	s_wait_xcnt 0x0
	s_add_nc_u64 s[0:1], s[0:1], 32
	v_add_nc_u32_e32 v8, v7, v8
	s_delay_alu instid0(VALU_DEP_1) | instskip(NEXT) | instid1(VALU_DEP_1)
	v_dual_sub_nc_u32 v9, v3, v9 :: v_dual_lshrrev_b32 v3, s21, v8
	v_mad_u32 v2, v9, s11, v2
	v_mad_u32 v10, v9, s13, v12
	;; [unrolled: 1-line block ×3, first 2 shown]
	s_delay_alu instid0(VALU_DEP_4) | instskip(NEXT) | instid1(VALU_DEP_1)
	v_mul_lo_u32 v8, v3, s19
	v_sub_nc_u32_e32 v7, v7, v8
	s_delay_alu instid0(VALU_DEP_1)
	v_mad_u32 v2, v7, s14, v2
	s_wait_kmcnt 0x0
	v_mad_u32 v12, v7, s17, v10
	v_mad_u32 v14, v7, s16, v9
	s_cbranch_scc1 .LBB167_1696
; %bb.1697:
	s_bitcmp1_b32 s9, 0
	s_cselect_b32 s9, -1, 0
	s_delay_alu instid0(SALU_CYCLE_1)
	s_and_b32 vcc_lo, exec_lo, s9
	s_cbranch_vccnz .LBB167_1700
; %bb.1698:
	s_load_b96 s[12:14], s[4:5], 0x4
	s_load_b32 s9, s[0:1], 0xe4
	s_wait_xcnt 0x0
	s_load_b64 s[4:5], s[0:1], 0xec
	s_wait_kmcnt 0x0
	v_mul_hi_u32 v7, s13, v3
	s_delay_alu instid0(VALU_DEP_1) | instskip(NEXT) | instid1(VALU_DEP_1)
	v_add_nc_u32_e32 v7, v3, v7
	v_lshrrev_b32_e32 v7, s14, v7
	s_delay_alu instid0(VALU_DEP_1) | instskip(NEXT) | instid1(VALU_DEP_1)
	v_mul_lo_u32 v7, v7, s12
	v_sub_nc_u32_e32 v3, v3, v7
	s_delay_alu instid0(VALU_DEP_1)
	v_mad_u32 v2, v3, s9, v2
	v_mad_u32 v14, v3, s4, v14
	;; [unrolled: 1-line block ×3, first 2 shown]
	s_and_not1_b32 vcc_lo, exec_lo, s8
	s_cbranch_vccz .LBB167_1701
	s_branch .LBB167_1704
.LBB167_1699:
	s_mov_b32 s8, -1
                                        ; implicit-def: $vgpr12
                                        ; implicit-def: $vgpr14
                                        ; implicit-def: $vgpr2
.LBB167_1700:
	s_delay_alu instid0(SALU_CYCLE_1)
	s_and_not1_b32 vcc_lo, exec_lo, s8
	s_cbranch_vccnz .LBB167_1704
.LBB167_1701:
	s_clause 0x2
	s_load_b96 s[8:10], s[2:3], 0x4
	s_load_b32 s4, s[2:3], 0xc4
	s_load_b64 s[0:1], s[2:3], 0xcc
	s_cmp_lt_u32 s15, 2
	s_wait_kmcnt 0x0
	v_mul_hi_u32 v2, s9, v0
	s_delay_alu instid0(VALU_DEP_1) | instskip(NEXT) | instid1(VALU_DEP_1)
	v_add_nc_u32_e32 v2, v0, v2
	v_lshrrev_b32_e32 v3, s10, v2
	s_delay_alu instid0(VALU_DEP_1) | instskip(NEXT) | instid1(VALU_DEP_1)
	v_mul_lo_u32 v2, v3, s8
	v_sub_nc_u32_e32 v0, v0, v2
	s_delay_alu instid0(VALU_DEP_1)
	v_mul_lo_u32 v2, v0, s4
	v_mul_lo_u32 v12, v0, s1
	;; [unrolled: 1-line block ×3, first 2 shown]
	s_cbranch_scc1 .LBB167_1704
; %bb.1702:
	s_clause 0x2
	s_load_b96 s[8:10], s[2:3], 0x10
	s_load_b32 s4, s[2:3], 0xd4
	s_load_b64 s[0:1], s[2:3], 0xdc
	s_wait_kmcnt 0x0
	v_mul_hi_u32 v0, s9, v3
	s_delay_alu instid0(VALU_DEP_1) | instskip(NEXT) | instid1(VALU_DEP_1)
	v_add_nc_u32_e32 v0, v3, v0
	v_lshrrev_b32_e32 v0, s10, v0
	s_delay_alu instid0(VALU_DEP_1) | instskip(NEXT) | instid1(VALU_DEP_1)
	v_mul_lo_u32 v0, v0, s8
	v_sub_nc_u32_e32 v0, v3, v0
	s_delay_alu instid0(VALU_DEP_1)
	v_mad_u32 v2, v0, s4, v2
	v_mad_u32 v14, v0, s0, v14
	;; [unrolled: 1-line block ×3, first 2 shown]
	s_branch .LBB167_1704
.LBB167_1703:
	v_dual_mov_b32 v12, 0 :: v_dual_mov_b32 v14, 0
	v_mov_b32_e32 v2, 0
	s_and_not1_b32 vcc_lo, exec_lo, s8
	s_cbranch_vccz .LBB167_1701
.LBB167_1704:
	v_cmp_ne_u32_e32 vcc_lo, 1, v1
	s_cbranch_vccnz .LBB167_1710
; %bb.1705:
	s_cmp_lg_u32 s15, 0
	s_mov_b32 s8, 0
	s_cbranch_scc0 .LBB167_1714
; %bb.1706:
	s_min_u32 s9, s28, 15
	v_dual_mov_b32 v0, 0 :: v_dual_mov_b32 v1, v5
	v_dual_mov_b32 v10, 0 :: v_dual_mov_b32 v8, 0
	s_add_co_i32 s4, s9, 1
	s_mov_b64 s[0:1], 0xffffffffffffffe0
	s_and_b32 s10, s4, 30
	s_add_nc_u64 s[0:1], s[2:3], s[0:1]
	s_mov_b64 s[4:5], s[2:3]
.LBB167_1707:                           ; =>This Inner Loop Header: Depth=1
	s_clause 0x1
	s_load_b128 s[16:19], s[4:5], 0x4
	s_load_b64 s[20:21], s[4:5], 0x14
	s_clause 0x1
	s_load_b32 s11, s[0:1], 0xe4
	s_load_b96 s[12:14], s[0:1], 0xec
	s_add_co_i32 s10, s10, -2
	s_wait_xcnt 0x0
	s_add_nc_u64 s[4:5], s[4:5], 24
	s_cmp_lg_u32 s10, 0
	s_wait_kmcnt 0x0
	v_mul_hi_u32 v3, s17, v1
	s_delay_alu instid0(VALU_DEP_1) | instskip(NEXT) | instid1(VALU_DEP_1)
	v_add_nc_u32_e32 v3, v1, v3
	v_lshrrev_b32_e32 v3, s18, v3
	s_delay_alu instid0(VALU_DEP_1) | instskip(SKIP_4) | instid1(VALU_DEP_1)
	v_mul_hi_u32 v7, s20, v3
	v_mul_lo_u32 v9, v3, s16
	s_load_b64 s[16:17], s[0:1], 0xfc
	s_wait_xcnt 0x0
	s_add_nc_u64 s[0:1], s[0:1], 32
	v_dual_add_nc_u32 v7, v3, v7 :: v_dual_sub_nc_u32 v9, v1, v9
	s_delay_alu instid0(VALU_DEP_1) | instskip(NEXT) | instid1(VALU_DEP_2)
	v_lshrrev_b32_e32 v1, s21, v7
	v_mad_u32 v0, v9, s11, v0
	v_mad_u32 v8, v9, s13, v8
	;; [unrolled: 1-line block ×3, first 2 shown]
	s_delay_alu instid0(VALU_DEP_4) | instskip(NEXT) | instid1(VALU_DEP_1)
	v_mul_lo_u32 v7, v1, s19
	v_sub_nc_u32_e32 v3, v3, v7
	s_delay_alu instid0(VALU_DEP_1)
	v_mad_u32 v0, v3, s14, v0
	s_wait_kmcnt 0x0
	v_mad_u32 v8, v3, s17, v8
	v_mad_u32 v10, v3, s16, v9
	s_cbranch_scc1 .LBB167_1707
; %bb.1708:
	s_bitcmp1_b32 s9, 0
	s_cselect_b32 s9, -1, 0
	s_delay_alu instid0(SALU_CYCLE_1)
	s_and_b32 vcc_lo, exec_lo, s9
	s_cbranch_vccnz .LBB167_1711
; %bb.1709:
	s_load_b96 s[12:14], s[4:5], 0x4
	s_load_b32 s9, s[0:1], 0xe4
	s_wait_xcnt 0x0
	s_load_b64 s[4:5], s[0:1], 0xec
	s_wait_kmcnt 0x0
	v_mul_hi_u32 v3, s13, v1
	s_delay_alu instid0(VALU_DEP_1) | instskip(NEXT) | instid1(VALU_DEP_1)
	v_add_nc_u32_e32 v3, v1, v3
	v_lshrrev_b32_e32 v3, s14, v3
	s_delay_alu instid0(VALU_DEP_1) | instskip(NEXT) | instid1(VALU_DEP_1)
	v_mul_lo_u32 v3, v3, s12
	v_sub_nc_u32_e32 v1, v1, v3
	s_delay_alu instid0(VALU_DEP_1)
	v_mad_u32 v0, v1, s9, v0
	v_mad_u32 v10, v1, s4, v10
	;; [unrolled: 1-line block ×3, first 2 shown]
	s_and_not1_b32 vcc_lo, exec_lo, s8
	s_cbranch_vccz .LBB167_1712
	s_branch .LBB167_1715
.LBB167_1710:
	s_mov_b32 s8, -1
                                        ; implicit-def: $vgpr8
                                        ; implicit-def: $vgpr10
                                        ; implicit-def: $vgpr0
.LBB167_1711:
	s_delay_alu instid0(SALU_CYCLE_1)
	s_and_not1_b32 vcc_lo, exec_lo, s8
	s_cbranch_vccnz .LBB167_1715
.LBB167_1712:
	s_clause 0x2
	s_load_b96 s[8:10], s[2:3], 0x4
	s_load_b32 s4, s[2:3], 0xc4
	s_load_b64 s[0:1], s[2:3], 0xcc
	s_cmp_lt_u32 s15, 2
	s_wait_kmcnt 0x0
	v_mul_hi_u32 v0, s9, v5
	s_delay_alu instid0(VALU_DEP_1) | instskip(NEXT) | instid1(VALU_DEP_1)
	v_add_nc_u32_e32 v0, v5, v0
	v_lshrrev_b32_e32 v1, s10, v0
	s_delay_alu instid0(VALU_DEP_1) | instskip(NEXT) | instid1(VALU_DEP_1)
	v_mul_lo_u32 v0, v1, s8
	v_sub_nc_u32_e32 v3, v5, v0
	s_delay_alu instid0(VALU_DEP_1)
	v_mul_lo_u32 v0, v3, s4
	v_mul_lo_u32 v8, v3, s1
	;; [unrolled: 1-line block ×3, first 2 shown]
	s_cbranch_scc1 .LBB167_1715
; %bb.1713:
	s_clause 0x2
	s_load_b96 s[8:10], s[2:3], 0x10
	s_load_b32 s4, s[2:3], 0xd4
	s_load_b64 s[0:1], s[2:3], 0xdc
	s_wait_kmcnt 0x0
	v_mul_hi_u32 v3, s9, v1
	s_delay_alu instid0(VALU_DEP_1) | instskip(NEXT) | instid1(VALU_DEP_1)
	v_add_nc_u32_e32 v3, v1, v3
	v_lshrrev_b32_e32 v3, s10, v3
	s_delay_alu instid0(VALU_DEP_1) | instskip(NEXT) | instid1(VALU_DEP_1)
	v_mul_lo_u32 v3, v3, s8
	v_sub_nc_u32_e32 v1, v1, v3
	s_delay_alu instid0(VALU_DEP_1)
	v_mad_u32 v0, v1, s4, v0
	v_mad_u32 v10, v1, s0, v10
	;; [unrolled: 1-line block ×3, first 2 shown]
	s_branch .LBB167_1715
.LBB167_1714:
	v_dual_mov_b32 v8, 0 :: v_dual_mov_b32 v10, 0
	v_mov_b32_e32 v0, 0
	s_and_not1_b32 vcc_lo, exec_lo, s8
	s_cbranch_vccz .LBB167_1712
.LBB167_1715:
	s_load_b32 s9, s[2:3], 0x1e8
	s_wait_kmcnt 0x0
	s_lshr_b32 s10, s9, 24
	s_delay_alu instid0(SALU_CYCLE_1)
	s_cmp_lt_i32 s10, 23
	s_cbranch_scc1 .LBB167_1719
; %bb.1716:
	s_and_b32 s4, 0xffff, s10
	s_delay_alu instid0(SALU_CYCLE_1)
	s_cmp_gt_i32 s4, 43
	s_cbranch_scc0 .LBB167_1720
; %bb.1717:
	s_cmp_gt_i32 s4, 45
	s_cbranch_scc0 .LBB167_1721
; %bb.1718:
	s_cmp_lg_u32 s4, 46
	s_mov_b32 s0, -1
	s_cselect_b32 s1, -1, 0
	s_cbranch_execz .LBB167_1722
	s_branch .LBB167_1723
.LBB167_1719:
	s_mov_b32 s0, 0
	s_mov_b32 s1, 0
	s_cbranch_execnz .LBB167_1726
	s_branch .LBB167_1730
.LBB167_1720:
	s_mov_b32 s0, 0
	s_mov_b32 s1, 0
	s_cbranch_execnz .LBB167_1724
	s_branch .LBB167_1725
.LBB167_1721:
	s_mov_b32 s0, 0
	s_mov_b32 s1, 0
.LBB167_1722:
	s_cmp_eq_u32 s4, 44
	s_cselect_b32 s0, -1, 0
	s_cmp_lg_u32 s4, 44
	s_cselect_b32 s1, -1, 0
.LBB167_1723:
	s_branch .LBB167_1725
.LBB167_1724:
	s_cmp_lt_i32 s4, 30
	s_cselect_b32 s0, -1, 0
	s_cmp_gt_i32 s4, 29
	s_cselect_b32 s1, -1, 0
.LBB167_1725:
	s_branch .LBB167_1730
.LBB167_1726:
	s_and_b32 s4, 0xffff, s10
	s_mov_b32 s5, -1
	s_cmp_gt_i32 s4, 14
	s_cbranch_scc0 .LBB167_1728
; %bb.1727:
	s_cmp_eq_u32 s4, 15
	s_mov_b32 s5, 0
	s_cselect_b32 s0, -1, 0
	s_cmp_lg_u32 s4, 15
	s_cselect_b32 s1, -1, 0
.LBB167_1728:
	s_and_not1_b32 vcc_lo, exec_lo, s5
	s_cbranch_vccnz .LBB167_1730
; %bb.1729:
	s_cmp_lt_i32 s4, 12
	s_cselect_b32 s0, -1, 0
	s_cmp_gt_i32 s4, 11
	s_cselect_b32 s1, -1, 0
.LBB167_1730:
	s_delay_alu instid0(SALU_CYCLE_1)
	s_and_b32 vcc_lo, exec_lo, s1
	s_mov_b32 s8, s6
	s_cbranch_vccnz .LBB167_1743
; %bb.1731:
	s_and_not1_b32 vcc_lo, exec_lo, s0
	s_cbranch_vccnz .LBB167_3280
.LBB167_1732:
	s_clause 0x1
	s_load_b64 s[0:1], s[2:3], 0x1d8
	s_load_b32 s4, s[2:3], 0x1ec
	v_mov_b32_e32 v23, 0
	s_wait_kmcnt 0x0
	s_delay_alu instid0(VALU_DEP_1) | instskip(SKIP_1) | instid1(SALU_CYCLE_1)
	v_add_nc_u64_e32 v[22:23], s[0:1], v[22:23]
	s_and_b32 s11, s4, 0xff
	s_cmp_lt_i32 s11, 11
	s_cbranch_scc1 .LBB167_1739
; %bb.1733:
	s_and_b32 s4, 0xffff, s11
	s_mov_b32 s12, 0
	s_cmp_gt_i32 s4, 25
	s_cbranch_scc0 .LBB167_1741
; %bb.1734:
	s_cmp_gt_i32 s4, 28
	s_cbranch_scc0 .LBB167_1742
; %bb.1735:
	s_cmp_gt_i32 s4, 43
	s_cbranch_scc0 .LBB167_1744
; %bb.1736:
	s_cmp_gt_i32 s4, 45
	s_cbranch_scc0 .LBB167_1747
; %bb.1737:
	s_cmp_eq_u32 s4, 46
	s_mov_b32 s14, 0
	s_cbranch_scc0 .LBB167_1750
; %bb.1738:
	global_load_b32 v1, v[22:23], off
	s_mov_b32 s5, 0
	s_mov_b32 s13, -1
	s_branch .LBB167_1752
.LBB167_1739:
	s_mov_b32 s13, 0
                                        ; implicit-def: $vgpr1
	s_cbranch_execnz .LBB167_1817
.LBB167_1740:
	s_and_not1_b32 vcc_lo, exec_lo, s13
	s_cbranch_vccz .LBB167_1864
	s_branch .LBB167_3280
.LBB167_1741:
	s_mov_b32 s13, 0
	s_mov_b32 s5, 0
                                        ; implicit-def: $vgpr1
	s_cbranch_execnz .LBB167_1781
	s_branch .LBB167_1813
.LBB167_1742:
	s_mov_b32 s14, -1
	s_mov_b32 s13, 0
	s_mov_b32 s5, 0
                                        ; implicit-def: $vgpr1
	s_branch .LBB167_1762
.LBB167_1743:
	s_or_b32 s8, s6, exec_lo
	s_trap 2
	s_cbranch_execz .LBB167_1732
	s_branch .LBB167_3280
.LBB167_1744:
	s_mov_b32 s14, -1
	s_mov_b32 s13, 0
	s_mov_b32 s5, 0
                                        ; implicit-def: $vgpr1
	s_branch .LBB167_1757
.LBB167_1745:
	s_and_not1_saveexec_b32 s9, s9
	s_cbranch_execz .LBB167_1583
.LBB167_1746:
	v_add_f32_e64 v3, 0x46000000, |v5|
	s_and_not1_b32 s8, s8, exec_lo
	s_delay_alu instid0(VALU_DEP_1) | instskip(NEXT) | instid1(VALU_DEP_1)
	v_and_b32_e32 v3, 0xff, v3
	v_cmp_ne_u32_e32 vcc_lo, 0, v3
	s_and_b32 s10, vcc_lo, exec_lo
	s_delay_alu instid0(SALU_CYCLE_1)
	s_or_b32 s8, s8, s10
	s_or_b32 exec_lo, exec_lo, s9
	v_mov_b32_e32 v6, 0
	s_and_saveexec_b32 s9, s8
	s_cbranch_execnz .LBB167_1584
	s_branch .LBB167_1585
.LBB167_1747:
	s_mov_b32 s14, -1
	s_mov_b32 s13, 0
	s_mov_b32 s5, 0
	s_branch .LBB167_1751
.LBB167_1748:
	s_and_not1_saveexec_b32 s10, s10
	s_cbranch_execz .LBB167_1595
.LBB167_1749:
	v_add_f32_e64 v3, 0x42800000, |v5|
	s_and_not1_b32 s9, s9, exec_lo
	s_delay_alu instid0(VALU_DEP_1) | instskip(NEXT) | instid1(VALU_DEP_1)
	v_and_b32_e32 v3, 0xff, v3
	v_cmp_ne_u32_e32 vcc_lo, 0, v3
	s_and_b32 s11, vcc_lo, exec_lo
	s_delay_alu instid0(SALU_CYCLE_1)
	s_or_b32 s9, s9, s11
	s_or_b32 exec_lo, exec_lo, s10
	v_mov_b32_e32 v6, 0
	s_and_saveexec_b32 s10, s9
	s_cbranch_execnz .LBB167_1596
	s_branch .LBB167_1597
.LBB167_1750:
	s_mov_b32 s5, -1
	s_mov_b32 s13, 0
.LBB167_1751:
                                        ; implicit-def: $vgpr1
.LBB167_1752:
	s_and_b32 vcc_lo, exec_lo, s14
	s_cbranch_vccz .LBB167_1756
; %bb.1753:
	s_cmp_eq_u32 s4, 44
	s_cbranch_scc0 .LBB167_1755
; %bb.1754:
	s_wait_loadcnt 0x0
	global_load_u8 v1, v[22:23], off
	s_mov_b32 s5, 0
	s_mov_b32 s13, -1
	s_wait_loadcnt 0x0
	v_lshlrev_b32_e32 v3, 23, v1
	v_cmp_ne_u32_e32 vcc_lo, 0xff, v1
	s_delay_alu instid0(VALU_DEP_2) | instskip(SKIP_1) | instid1(VALU_DEP_2)
	v_cndmask_b32_e32 v3, 0x7f800001, v3, vcc_lo
	v_cmp_ne_u32_e32 vcc_lo, 0, v1
	v_cndmask_b32_e32 v1, 0x400000, v3, vcc_lo
	s_delay_alu instid0(VALU_DEP_1) | instskip(SKIP_1) | instid1(VALU_DEP_2)
	v_add_nc_u32_e32 v3, 0x7fff, v1
	v_cmp_o_f32_e32 vcc_lo, v1, v1
	v_lshrrev_b32_e32 v3, 16, v3
	s_delay_alu instid0(VALU_DEP_1)
	v_cndmask_b32_e32 v1, 0x7fc0, v3, vcc_lo
	s_branch .LBB167_1756
.LBB167_1755:
	s_mov_b32 s5, -1
                                        ; implicit-def: $vgpr1
.LBB167_1756:
	s_mov_b32 s14, 0
.LBB167_1757:
	s_delay_alu instid0(SALU_CYCLE_1)
	s_and_b32 vcc_lo, exec_lo, s14
	s_cbranch_vccz .LBB167_1761
; %bb.1758:
	s_cmp_eq_u32 s4, 29
	s_cbranch_scc0 .LBB167_1760
; %bb.1759:
	global_load_b64 v[24:25], v[22:23], off
	s_mov_b32 s5, 0
	s_mov_b32 s13, -1
	s_mov_b32 s14, 0
	s_wait_loadcnt 0x0
	v_clz_i32_u32_e32 v1, v25
	s_delay_alu instid0(VALU_DEP_1) | instskip(NEXT) | instid1(VALU_DEP_1)
	v_min_u32_e32 v1, 32, v1
	v_lshlrev_b64_e32 v[24:25], v1, v[24:25]
	v_sub_nc_u32_e32 v1, 32, v1
	s_delay_alu instid0(VALU_DEP_2) | instskip(NEXT) | instid1(VALU_DEP_1)
	v_min_u32_e32 v3, 1, v24
	v_or_b32_e32 v3, v25, v3
	s_delay_alu instid0(VALU_DEP_1) | instskip(NEXT) | instid1(VALU_DEP_1)
	v_cvt_f32_u32_e32 v3, v3
	v_ldexp_f32 v1, v3, v1
	s_delay_alu instid0(VALU_DEP_1) | instskip(NEXT) | instid1(VALU_DEP_1)
	v_bfe_u32 v3, v1, 16, 1
	v_add3_u32 v1, v1, v3, 0x7fff
	s_delay_alu instid0(VALU_DEP_1)
	v_lshrrev_b32_e32 v1, 16, v1
	s_branch .LBB167_1762
.LBB167_1760:
	s_mov_b32 s5, -1
                                        ; implicit-def: $vgpr1
.LBB167_1761:
	s_mov_b32 s14, 0
.LBB167_1762:
	s_delay_alu instid0(SALU_CYCLE_1)
	s_and_b32 vcc_lo, exec_lo, s14
	s_cbranch_vccz .LBB167_1780
; %bb.1763:
	s_cmp_lt_i32 s4, 27
	s_cbranch_scc1 .LBB167_1766
; %bb.1764:
	s_cmp_gt_i32 s4, 27
	s_cbranch_scc0 .LBB167_1767
; %bb.1765:
	s_wait_loadcnt 0x0
	global_load_b32 v1, v[22:23], off
	s_mov_b32 s13, 0
	s_wait_loadcnt 0x0
	v_cvt_f32_u32_e32 v1, v1
	s_delay_alu instid0(VALU_DEP_1) | instskip(NEXT) | instid1(VALU_DEP_1)
	v_bfe_u32 v3, v1, 16, 1
	v_add3_u32 v1, v1, v3, 0x7fff
	s_delay_alu instid0(VALU_DEP_1)
	v_lshrrev_b32_e32 v1, 16, v1
	s_branch .LBB167_1768
.LBB167_1766:
	s_mov_b32 s13, -1
                                        ; implicit-def: $vgpr1
	s_branch .LBB167_1771
.LBB167_1767:
	s_mov_b32 s13, -1
                                        ; implicit-def: $vgpr1
.LBB167_1768:
	s_delay_alu instid0(SALU_CYCLE_1)
	s_and_not1_b32 vcc_lo, exec_lo, s13
	s_cbranch_vccnz .LBB167_1770
; %bb.1769:
	s_wait_loadcnt 0x0
	global_load_u16 v1, v[22:23], off
	s_wait_loadcnt 0x0
	v_cvt_f32_u32_e32 v1, v1
	s_delay_alu instid0(VALU_DEP_1) | instskip(NEXT) | instid1(VALU_DEP_1)
	v_bfe_u32 v3, v1, 16, 1
	v_add3_u32 v1, v1, v3, 0x7fff
	s_delay_alu instid0(VALU_DEP_1)
	v_lshrrev_b32_e32 v1, 16, v1
.LBB167_1770:
	s_mov_b32 s13, 0
.LBB167_1771:
	s_delay_alu instid0(SALU_CYCLE_1)
	s_and_not1_b32 vcc_lo, exec_lo, s13
	s_cbranch_vccnz .LBB167_1779
; %bb.1772:
	s_wait_loadcnt 0x0
	global_load_u8 v1, v[22:23], off
	s_mov_b32 s13, 0
	s_mov_b32 s14, exec_lo
	s_wait_loadcnt 0x0
	v_cmpx_lt_i16_e32 0x7f, v1
	s_xor_b32 s14, exec_lo, s14
	s_cbranch_execz .LBB167_1792
; %bb.1773:
	s_mov_b32 s13, -1
	s_mov_b32 s15, exec_lo
	v_cmpx_eq_u16_e32 0x80, v1
; %bb.1774:
	s_xor_b32 s13, exec_lo, -1
; %bb.1775:
	s_or_b32 exec_lo, exec_lo, s15
	s_delay_alu instid0(SALU_CYCLE_1)
	s_and_b32 s13, s13, exec_lo
	s_or_saveexec_b32 s14, s14
	v_mov_b32_e32 v3, 0x7f800001
	s_xor_b32 exec_lo, exec_lo, s14
	s_cbranch_execnz .LBB167_1793
.LBB167_1776:
	s_or_b32 exec_lo, exec_lo, s14
	s_and_saveexec_b32 s14, s13
	s_cbranch_execz .LBB167_1778
.LBB167_1777:
	v_and_b32_e32 v3, 0xffff, v1
	s_delay_alu instid0(VALU_DEP_1) | instskip(SKIP_1) | instid1(VALU_DEP_2)
	v_dual_lshlrev_b32 v1, 24, v1 :: v_dual_bitop2_b32 v5, 7, v3 bitop3:0x40
	v_bfe_u32 v11, v3, 3, 4
	v_and_b32_e32 v1, 0x80000000, v1
	s_delay_alu instid0(VALU_DEP_3) | instskip(NEXT) | instid1(VALU_DEP_3)
	v_clz_i32_u32_e32 v7, v5
	v_cmp_eq_u32_e32 vcc_lo, 0, v11
	s_delay_alu instid0(VALU_DEP_2) | instskip(NEXT) | instid1(VALU_DEP_1)
	v_min_u32_e32 v7, 32, v7
	v_subrev_nc_u32_e32 v9, 28, v7
	v_sub_nc_u32_e32 v7, 29, v7
	s_delay_alu instid0(VALU_DEP_2) | instskip(NEXT) | instid1(VALU_DEP_2)
	v_lshlrev_b32_e32 v3, v9, v3
	v_cndmask_b32_e32 v7, v11, v7, vcc_lo
	s_delay_alu instid0(VALU_DEP_2) | instskip(NEXT) | instid1(VALU_DEP_1)
	v_and_b32_e32 v3, 7, v3
	v_cndmask_b32_e32 v3, v5, v3, vcc_lo
	s_delay_alu instid0(VALU_DEP_3) | instskip(NEXT) | instid1(VALU_DEP_2)
	v_lshl_add_u32 v5, v7, 23, 0x3b800000
	v_lshlrev_b32_e32 v3, 20, v3
	s_delay_alu instid0(VALU_DEP_1)
	v_or3_b32 v3, v1, v5, v3
.LBB167_1778:
	s_or_b32 exec_lo, exec_lo, s14
	s_delay_alu instid0(VALU_DEP_1) | instskip(SKIP_1) | instid1(VALU_DEP_2)
	v_bfe_u32 v1, v3, 16, 1
	v_cmp_o_f32_e32 vcc_lo, v3, v3
	v_add3_u32 v1, v3, v1, 0x7fff
	s_delay_alu instid0(VALU_DEP_1) | instskip(NEXT) | instid1(VALU_DEP_1)
	v_lshrrev_b32_e32 v1, 16, v1
	v_cndmask_b32_e32 v1, 0x7fc0, v1, vcc_lo
.LBB167_1779:
	s_mov_b32 s13, -1
.LBB167_1780:
	s_branch .LBB167_1813
.LBB167_1781:
	s_cmp_gt_i32 s4, 22
	s_cbranch_scc0 .LBB167_1791
; %bb.1782:
	s_cmp_lt_i32 s4, 24
	s_cbranch_scc1 .LBB167_1794
; %bb.1783:
	s_cmp_gt_i32 s4, 24
	s_cbranch_scc0 .LBB167_1795
; %bb.1784:
	s_wait_loadcnt 0x0
	global_load_u8 v1, v[22:23], off
	s_mov_b32 s13, exec_lo
	s_wait_loadcnt 0x0
	v_cmpx_lt_i16_e32 0x7f, v1
	s_xor_b32 s13, exec_lo, s13
	s_cbranch_execz .LBB167_1807
; %bb.1785:
	s_mov_b32 s12, -1
	s_mov_b32 s14, exec_lo
	v_cmpx_eq_u16_e32 0x80, v1
; %bb.1786:
	s_xor_b32 s12, exec_lo, -1
; %bb.1787:
	s_or_b32 exec_lo, exec_lo, s14
	s_delay_alu instid0(SALU_CYCLE_1)
	s_and_b32 s12, s12, exec_lo
	s_or_saveexec_b32 s13, s13
	v_mov_b32_e32 v3, 0x7f800001
	s_xor_b32 exec_lo, exec_lo, s13
	s_cbranch_execnz .LBB167_1808
.LBB167_1788:
	s_or_b32 exec_lo, exec_lo, s13
	s_and_saveexec_b32 s13, s12
	s_cbranch_execz .LBB167_1790
.LBB167_1789:
	v_and_b32_e32 v3, 0xffff, v1
	s_delay_alu instid0(VALU_DEP_1) | instskip(SKIP_1) | instid1(VALU_DEP_2)
	v_dual_lshlrev_b32 v1, 24, v1 :: v_dual_bitop2_b32 v5, 3, v3 bitop3:0x40
	v_bfe_u32 v11, v3, 2, 5
	v_and_b32_e32 v1, 0x80000000, v1
	s_delay_alu instid0(VALU_DEP_3) | instskip(NEXT) | instid1(VALU_DEP_3)
	v_clz_i32_u32_e32 v7, v5
	v_cmp_eq_u32_e32 vcc_lo, 0, v11
	s_delay_alu instid0(VALU_DEP_2) | instskip(NEXT) | instid1(VALU_DEP_1)
	v_min_u32_e32 v7, 32, v7
	v_subrev_nc_u32_e32 v9, 29, v7
	v_sub_nc_u32_e32 v7, 30, v7
	s_delay_alu instid0(VALU_DEP_2) | instskip(NEXT) | instid1(VALU_DEP_2)
	v_lshlrev_b32_e32 v3, v9, v3
	v_cndmask_b32_e32 v7, v11, v7, vcc_lo
	s_delay_alu instid0(VALU_DEP_2) | instskip(NEXT) | instid1(VALU_DEP_1)
	v_and_b32_e32 v3, 3, v3
	v_cndmask_b32_e32 v3, v5, v3, vcc_lo
	s_delay_alu instid0(VALU_DEP_3) | instskip(NEXT) | instid1(VALU_DEP_2)
	v_lshl_add_u32 v5, v7, 23, 0x37800000
	v_lshlrev_b32_e32 v3, 21, v3
	s_delay_alu instid0(VALU_DEP_1)
	v_or3_b32 v3, v1, v5, v3
.LBB167_1790:
	s_or_b32 exec_lo, exec_lo, s13
	s_delay_alu instid0(VALU_DEP_1) | instskip(SKIP_2) | instid1(VALU_DEP_2)
	v_bfe_u32 v1, v3, 16, 1
	v_cmp_o_f32_e32 vcc_lo, v3, v3
	s_mov_b32 s12, 0
	v_add3_u32 v1, v3, v1, 0x7fff
	s_delay_alu instid0(VALU_DEP_1) | instskip(NEXT) | instid1(VALU_DEP_1)
	v_lshrrev_b32_e32 v1, 16, v1
	v_cndmask_b32_e32 v1, 0x7fc0, v1, vcc_lo
	s_branch .LBB167_1796
.LBB167_1791:
	s_mov_b32 s12, -1
                                        ; implicit-def: $vgpr1
	s_branch .LBB167_1802
.LBB167_1792:
	s_or_saveexec_b32 s14, s14
	v_mov_b32_e32 v3, 0x7f800001
	s_xor_b32 exec_lo, exec_lo, s14
	s_cbranch_execz .LBB167_1776
.LBB167_1793:
	v_cmp_ne_u16_e32 vcc_lo, 0, v1
	v_mov_b32_e32 v3, 0
	s_and_not1_b32 s13, s13, exec_lo
	s_and_b32 s15, vcc_lo, exec_lo
	s_delay_alu instid0(SALU_CYCLE_1)
	s_or_b32 s13, s13, s15
	s_or_b32 exec_lo, exec_lo, s14
	s_and_saveexec_b32 s14, s13
	s_cbranch_execnz .LBB167_1777
	s_branch .LBB167_1778
.LBB167_1794:
	s_mov_b32 s12, -1
                                        ; implicit-def: $vgpr1
	s_branch .LBB167_1799
.LBB167_1795:
	s_mov_b32 s12, -1
                                        ; implicit-def: $vgpr1
.LBB167_1796:
	s_delay_alu instid0(SALU_CYCLE_1)
	s_and_b32 vcc_lo, exec_lo, s12
	s_cbranch_vccz .LBB167_1798
; %bb.1797:
	s_wait_loadcnt 0x0
	global_load_u8 v1, v[22:23], off
	s_wait_loadcnt 0x0
	v_lshlrev_b32_e32 v1, 24, v1
	s_delay_alu instid0(VALU_DEP_1) | instskip(NEXT) | instid1(VALU_DEP_1)
	v_and_b32_e32 v3, 0x7f000000, v1
	v_clz_i32_u32_e32 v5, v3
	v_add_nc_u32_e32 v9, 0x1000000, v3
	v_cmp_ne_u32_e32 vcc_lo, 0, v3
	s_delay_alu instid0(VALU_DEP_3) | instskip(NEXT) | instid1(VALU_DEP_1)
	v_min_u32_e32 v5, 32, v5
	v_sub_nc_u32_e64 v5, v5, 4 clamp
	s_delay_alu instid0(VALU_DEP_1) | instskip(NEXT) | instid1(VALU_DEP_1)
	v_dual_lshlrev_b32 v7, v5, v3 :: v_dual_lshlrev_b32 v5, 23, v5
	v_lshrrev_b32_e32 v7, 4, v7
	s_delay_alu instid0(VALU_DEP_1) | instskip(SKIP_1) | instid1(VALU_DEP_2)
	v_sub_nc_u32_e32 v5, v7, v5
	v_ashrrev_i32_e32 v7, 8, v9
	v_add_nc_u32_e32 v5, 0x3c000000, v5
	s_delay_alu instid0(VALU_DEP_1) | instskip(NEXT) | instid1(VALU_DEP_1)
	v_and_or_b32 v5, 0x7f800000, v7, v5
	v_cndmask_b32_e32 v3, 0, v5, vcc_lo
	s_delay_alu instid0(VALU_DEP_1) | instskip(SKIP_1) | instid1(VALU_DEP_2)
	v_and_or_b32 v1, 0x80000000, v1, v3
	v_bfe_u32 v3, v3, 16, 1
	v_cmp_o_f32_e32 vcc_lo, v1, v1
	s_delay_alu instid0(VALU_DEP_2) | instskip(NEXT) | instid1(VALU_DEP_1)
	v_add3_u32 v3, v1, v3, 0x7fff
	v_lshrrev_b32_e32 v3, 16, v3
	s_delay_alu instid0(VALU_DEP_1)
	v_cndmask_b32_e32 v1, 0x7fc0, v3, vcc_lo
.LBB167_1798:
	s_mov_b32 s12, 0
.LBB167_1799:
	s_delay_alu instid0(SALU_CYCLE_1)
	s_and_not1_b32 vcc_lo, exec_lo, s12
	s_cbranch_vccnz .LBB167_1801
; %bb.1800:
	s_wait_loadcnt 0x0
	global_load_u8 v1, v[22:23], off
	s_wait_loadcnt 0x0
	v_lshlrev_b32_e32 v3, 25, v1
	v_lshlrev_b16 v1, 8, v1
	s_delay_alu instid0(VALU_DEP_1) | instskip(SKIP_1) | instid1(VALU_DEP_2)
	v_and_or_b32 v7, 0x7f00, v1, 0.5
	v_bfe_i32 v1, v1, 0, 16
	v_add_f32_e32 v7, -0.5, v7
	v_lshrrev_b32_e32 v5, 4, v3
	v_cmp_gt_u32_e32 vcc_lo, 0x8000000, v3
	s_delay_alu instid0(VALU_DEP_2) | instskip(NEXT) | instid1(VALU_DEP_1)
	v_or_b32_e32 v5, 0x70000000, v5
	v_mul_f32_e32 v5, 0x7800000, v5
	s_delay_alu instid0(VALU_DEP_1) | instskip(NEXT) | instid1(VALU_DEP_1)
	v_cndmask_b32_e32 v3, v5, v7, vcc_lo
	v_and_or_b32 v1, 0x80000000, v1, v3
	v_bfe_u32 v3, v3, 16, 1
	s_delay_alu instid0(VALU_DEP_2) | instskip(NEXT) | instid1(VALU_DEP_2)
	v_cmp_o_f32_e32 vcc_lo, v1, v1
	v_add3_u32 v3, v1, v3, 0x7fff
	s_delay_alu instid0(VALU_DEP_1) | instskip(NEXT) | instid1(VALU_DEP_1)
	v_lshrrev_b32_e32 v3, 16, v3
	v_cndmask_b32_e32 v1, 0x7fc0, v3, vcc_lo
.LBB167_1801:
	s_mov_b32 s12, 0
	s_mov_b32 s13, -1
.LBB167_1802:
	s_and_not1_b32 vcc_lo, exec_lo, s12
	s_mov_b32 s12, 0
	s_cbranch_vccnz .LBB167_1813
; %bb.1803:
	s_cmp_gt_i32 s4, 14
	s_cbranch_scc0 .LBB167_1806
; %bb.1804:
	s_cmp_eq_u32 s4, 15
	s_cbranch_scc0 .LBB167_1809
; %bb.1805:
	s_wait_loadcnt 0x0
	global_load_u16 v1, v[22:23], off
	s_mov_b32 s5, 0
	s_mov_b32 s13, -1
	s_branch .LBB167_1811
.LBB167_1806:
	s_mov_b32 s12, -1
	s_branch .LBB167_1810
.LBB167_1807:
	s_or_saveexec_b32 s13, s13
	v_mov_b32_e32 v3, 0x7f800001
	s_xor_b32 exec_lo, exec_lo, s13
	s_cbranch_execz .LBB167_1788
.LBB167_1808:
	v_cmp_ne_u16_e32 vcc_lo, 0, v1
	v_mov_b32_e32 v3, 0
	s_and_not1_b32 s12, s12, exec_lo
	s_and_b32 s14, vcc_lo, exec_lo
	s_delay_alu instid0(SALU_CYCLE_1)
	s_or_b32 s12, s12, s14
	s_or_b32 exec_lo, exec_lo, s13
	s_and_saveexec_b32 s13, s12
	s_cbranch_execnz .LBB167_1789
	s_branch .LBB167_1790
.LBB167_1809:
	s_mov_b32 s5, -1
.LBB167_1810:
                                        ; implicit-def: $vgpr1
.LBB167_1811:
	s_and_b32 vcc_lo, exec_lo, s12
	s_mov_b32 s12, 0
	s_cbranch_vccz .LBB167_1813
; %bb.1812:
	s_cmp_lg_u32 s4, 11
	s_mov_b32 s12, -1
	s_cselect_b32 s5, -1, 0
.LBB167_1813:
	s_delay_alu instid0(SALU_CYCLE_1)
	s_and_b32 vcc_lo, exec_lo, s5
	s_cbranch_vccnz .LBB167_1876
; %bb.1814:
	s_and_not1_b32 vcc_lo, exec_lo, s12
	s_cbranch_vccnz .LBB167_1816
.LBB167_1815:
	s_wait_loadcnt 0x0
	global_load_u8 v1, v[22:23], off
	s_mov_b32 s13, -1
	s_wait_loadcnt 0x0
	v_cmp_ne_u16_e32 vcc_lo, 0, v1
	v_cndmask_b32_e64 v1, 0, 1.0, vcc_lo
	s_delay_alu instid0(VALU_DEP_1)
	v_lshrrev_b32_e32 v1, 16, v1
.LBB167_1816:
	s_branch .LBB167_1740
.LBB167_1817:
	s_and_b32 s4, 0xffff, s11
	s_delay_alu instid0(SALU_CYCLE_1)
	s_cmp_lt_i32 s4, 5
	s_cbranch_scc1 .LBB167_1822
; %bb.1818:
	s_cmp_lt_i32 s4, 8
	s_cbranch_scc1 .LBB167_1823
; %bb.1819:
	;; [unrolled: 3-line block ×3, first 2 shown]
	s_cmp_gt_i32 s4, 9
	s_cbranch_scc0 .LBB167_1825
; %bb.1821:
	global_load_b64 v[24:25], v[22:23], off
	s_mov_b32 s5, 0
	s_wait_loadcnt 0x0
	v_cvt_f32_f64_e32 v1, v[24:25]
	s_delay_alu instid0(VALU_DEP_1) | instskip(SKIP_1) | instid1(VALU_DEP_2)
	v_bfe_u32 v3, v1, 16, 1
	v_cmp_o_f32_e32 vcc_lo, v1, v1
	v_add3_u32 v3, v1, v3, 0x7fff
	s_delay_alu instid0(VALU_DEP_1) | instskip(NEXT) | instid1(VALU_DEP_1)
	v_lshrrev_b32_e32 v3, 16, v3
	v_cndmask_b32_e32 v1, 0x7fc0, v3, vcc_lo
	s_branch .LBB167_1826
.LBB167_1822:
                                        ; implicit-def: $vgpr1
	s_branch .LBB167_1844
.LBB167_1823:
	s_mov_b32 s5, -1
                                        ; implicit-def: $vgpr1
	s_branch .LBB167_1832
.LBB167_1824:
	s_mov_b32 s5, -1
                                        ; implicit-def: $vgpr1
	s_branch .LBB167_1829
.LBB167_1825:
	s_mov_b32 s5, -1
                                        ; implicit-def: $vgpr1
.LBB167_1826:
	s_delay_alu instid0(SALU_CYCLE_1)
	s_and_not1_b32 vcc_lo, exec_lo, s5
	s_cbranch_vccnz .LBB167_1828
; %bb.1827:
	s_wait_loadcnt 0x0
	global_load_b32 v1, v[22:23], off
	s_wait_loadcnt 0x0
	v_bfe_u32 v3, v1, 16, 1
	v_cmp_o_f32_e32 vcc_lo, v1, v1
	s_delay_alu instid0(VALU_DEP_2) | instskip(NEXT) | instid1(VALU_DEP_1)
	v_add3_u32 v3, v1, v3, 0x7fff
	v_lshrrev_b32_e32 v3, 16, v3
	s_delay_alu instid0(VALU_DEP_1)
	v_cndmask_b32_e32 v1, 0x7fc0, v3, vcc_lo
.LBB167_1828:
	s_mov_b32 s5, 0
.LBB167_1829:
	s_delay_alu instid0(SALU_CYCLE_1)
	s_and_not1_b32 vcc_lo, exec_lo, s5
	s_cbranch_vccnz .LBB167_1831
; %bb.1830:
	s_wait_loadcnt 0x0
	global_load_b32 v1, v[22:23], off
	s_wait_loadcnt 0x0
	v_cvt_f32_f16_e32 v3, v1
	v_cmp_o_f16_e32 vcc_lo, v1, v1
	s_delay_alu instid0(VALU_DEP_2) | instskip(NEXT) | instid1(VALU_DEP_1)
	v_bfe_u32 v5, v3, 16, 1
	v_add3_u32 v3, v3, v5, 0x7fff
	s_delay_alu instid0(VALU_DEP_1) | instskip(NEXT) | instid1(VALU_DEP_1)
	v_lshrrev_b32_e32 v3, 16, v3
	v_cndmask_b32_e32 v1, 0x7fc0, v3, vcc_lo
.LBB167_1831:
	s_mov_b32 s5, 0
.LBB167_1832:
	s_delay_alu instid0(SALU_CYCLE_1)
	s_and_not1_b32 vcc_lo, exec_lo, s5
	s_cbranch_vccnz .LBB167_1843
; %bb.1833:
	s_cmp_lt_i32 s4, 6
	s_cbranch_scc1 .LBB167_1836
; %bb.1834:
	s_cmp_gt_i32 s4, 6
	s_cbranch_scc0 .LBB167_1837
; %bb.1835:
	global_load_b64 v[24:25], v[22:23], off
	s_mov_b32 s5, 0
	s_wait_loadcnt 0x0
	v_cvt_f32_f64_e32 v1, v[24:25]
	s_delay_alu instid0(VALU_DEP_1) | instskip(SKIP_1) | instid1(VALU_DEP_2)
	v_bfe_u32 v3, v1, 16, 1
	v_cmp_o_f32_e32 vcc_lo, v1, v1
	v_add3_u32 v3, v1, v3, 0x7fff
	s_delay_alu instid0(VALU_DEP_1) | instskip(NEXT) | instid1(VALU_DEP_1)
	v_lshrrev_b32_e32 v3, 16, v3
	v_cndmask_b32_e32 v1, 0x7fc0, v3, vcc_lo
	s_branch .LBB167_1838
.LBB167_1836:
	s_mov_b32 s5, -1
                                        ; implicit-def: $vgpr1
	s_branch .LBB167_1841
.LBB167_1837:
	s_mov_b32 s5, -1
                                        ; implicit-def: $vgpr1
.LBB167_1838:
	s_delay_alu instid0(SALU_CYCLE_1)
	s_and_not1_b32 vcc_lo, exec_lo, s5
	s_cbranch_vccnz .LBB167_1840
; %bb.1839:
	s_wait_loadcnt 0x0
	global_load_b32 v1, v[22:23], off
	s_wait_loadcnt 0x0
	v_bfe_u32 v3, v1, 16, 1
	v_cmp_o_f32_e32 vcc_lo, v1, v1
	s_delay_alu instid0(VALU_DEP_2) | instskip(NEXT) | instid1(VALU_DEP_1)
	v_add3_u32 v3, v1, v3, 0x7fff
	v_lshrrev_b32_e32 v3, 16, v3
	s_delay_alu instid0(VALU_DEP_1)
	v_cndmask_b32_e32 v1, 0x7fc0, v3, vcc_lo
.LBB167_1840:
	s_mov_b32 s5, 0
.LBB167_1841:
	s_delay_alu instid0(SALU_CYCLE_1)
	s_and_not1_b32 vcc_lo, exec_lo, s5
	s_cbranch_vccnz .LBB167_1843
; %bb.1842:
	s_wait_loadcnt 0x0
	global_load_u16 v1, v[22:23], off
	s_wait_loadcnt 0x0
	v_cvt_f32_f16_e32 v3, v1
	v_cmp_o_f16_e32 vcc_lo, v1, v1
	s_delay_alu instid0(VALU_DEP_2) | instskip(NEXT) | instid1(VALU_DEP_1)
	v_bfe_u32 v5, v3, 16, 1
	v_add3_u32 v3, v3, v5, 0x7fff
	s_delay_alu instid0(VALU_DEP_1) | instskip(NEXT) | instid1(VALU_DEP_1)
	v_lshrrev_b32_e32 v3, 16, v3
	v_cndmask_b32_e32 v1, 0x7fc0, v3, vcc_lo
.LBB167_1843:
	s_cbranch_execnz .LBB167_1863
.LBB167_1844:
	s_cmp_lt_i32 s4, 2
	s_cbranch_scc1 .LBB167_1848
; %bb.1845:
	s_cmp_lt_i32 s4, 3
	s_cbranch_scc1 .LBB167_1849
; %bb.1846:
	s_cmp_gt_i32 s4, 3
	s_cbranch_scc0 .LBB167_1850
; %bb.1847:
	global_load_b64 v[24:25], v[22:23], off
	s_mov_b32 s5, 0
	s_wait_loadcnt 0x0
	v_xor_b32_e32 v1, v24, v25
	v_cls_i32_e32 v3, v25
	s_delay_alu instid0(VALU_DEP_2) | instskip(NEXT) | instid1(VALU_DEP_1)
	v_ashrrev_i32_e32 v1, 31, v1
	v_add_nc_u32_e32 v1, 32, v1
	s_delay_alu instid0(VALU_DEP_1) | instskip(NEXT) | instid1(VALU_DEP_1)
	v_add_min_u32_e64 v1, v3, -1, v1
	v_lshlrev_b64_e32 v[24:25], v1, v[24:25]
	v_sub_nc_u32_e32 v1, 32, v1
	s_delay_alu instid0(VALU_DEP_2) | instskip(NEXT) | instid1(VALU_DEP_1)
	v_min_u32_e32 v3, 1, v24
	v_or_b32_e32 v3, v25, v3
	s_delay_alu instid0(VALU_DEP_1) | instskip(NEXT) | instid1(VALU_DEP_1)
	v_cvt_f32_i32_e32 v3, v3
	v_ldexp_f32 v1, v3, v1
	s_delay_alu instid0(VALU_DEP_1) | instskip(NEXT) | instid1(VALU_DEP_1)
	v_bfe_u32 v3, v1, 16, 1
	v_add3_u32 v1, v1, v3, 0x7fff
	s_delay_alu instid0(VALU_DEP_1)
	v_lshrrev_b32_e32 v1, 16, v1
	s_branch .LBB167_1851
.LBB167_1848:
	s_mov_b32 s5, -1
                                        ; implicit-def: $vgpr1
	s_branch .LBB167_1857
.LBB167_1849:
	s_mov_b32 s5, -1
                                        ; implicit-def: $vgpr1
	s_branch .LBB167_1854
.LBB167_1850:
	s_mov_b32 s5, -1
                                        ; implicit-def: $vgpr1
.LBB167_1851:
	s_delay_alu instid0(SALU_CYCLE_1)
	s_and_not1_b32 vcc_lo, exec_lo, s5
	s_cbranch_vccnz .LBB167_1853
; %bb.1852:
	s_wait_loadcnt 0x0
	global_load_b32 v1, v[22:23], off
	s_wait_loadcnt 0x0
	v_cvt_f32_i32_e32 v1, v1
	s_delay_alu instid0(VALU_DEP_1) | instskip(NEXT) | instid1(VALU_DEP_1)
	v_bfe_u32 v3, v1, 16, 1
	v_add3_u32 v1, v1, v3, 0x7fff
	s_delay_alu instid0(VALU_DEP_1)
	v_lshrrev_b32_e32 v1, 16, v1
.LBB167_1853:
	s_mov_b32 s5, 0
.LBB167_1854:
	s_delay_alu instid0(SALU_CYCLE_1)
	s_and_not1_b32 vcc_lo, exec_lo, s5
	s_cbranch_vccnz .LBB167_1856
; %bb.1855:
	s_wait_loadcnt 0x0
	global_load_i16 v1, v[22:23], off
	s_wait_loadcnt 0x0
	v_cvt_f32_i32_e32 v1, v1
	s_delay_alu instid0(VALU_DEP_1) | instskip(NEXT) | instid1(VALU_DEP_1)
	v_bfe_u32 v3, v1, 16, 1
	v_add3_u32 v1, v1, v3, 0x7fff
	s_delay_alu instid0(VALU_DEP_1)
	v_lshrrev_b32_e32 v1, 16, v1
.LBB167_1856:
	s_mov_b32 s5, 0
.LBB167_1857:
	s_delay_alu instid0(SALU_CYCLE_1)
	s_and_not1_b32 vcc_lo, exec_lo, s5
	s_cbranch_vccnz .LBB167_1863
; %bb.1858:
	s_cmp_gt_i32 s4, 0
	s_mov_b32 s4, 0
	s_cbranch_scc0 .LBB167_1860
; %bb.1859:
	s_wait_loadcnt 0x0
	global_load_i8 v1, v[22:23], off
	s_wait_loadcnt 0x0
	v_cvt_f32_i32_e32 v1, v1
	s_delay_alu instid0(VALU_DEP_1) | instskip(NEXT) | instid1(VALU_DEP_1)
	v_bfe_u32 v3, v1, 16, 1
	v_add3_u32 v1, v1, v3, 0x7fff
	s_delay_alu instid0(VALU_DEP_1)
	v_lshrrev_b32_e32 v1, 16, v1
	s_branch .LBB167_1861
.LBB167_1860:
	s_mov_b32 s4, -1
                                        ; implicit-def: $vgpr1
.LBB167_1861:
	s_delay_alu instid0(SALU_CYCLE_1)
	s_and_not1_b32 vcc_lo, exec_lo, s4
	s_cbranch_vccnz .LBB167_1863
; %bb.1862:
	s_wait_loadcnt 0x0
	global_load_u8 v1, v[22:23], off
	s_wait_loadcnt 0x0
	v_cvt_f32_ubyte0_e32 v1, v1
	s_delay_alu instid0(VALU_DEP_1) | instskip(NEXT) | instid1(VALU_DEP_1)
	v_bfe_u32 v3, v1, 16, 1
	v_add3_u32 v1, v1, v3, 0x7fff
	s_delay_alu instid0(VALU_DEP_1)
	v_lshrrev_b32_e32 v1, 16, v1
.LBB167_1863:
.LBB167_1864:
	v_mov_b32_e32 v21, 0
	s_load_b64 s[4:5], s[2:3], 0x1e0
	global_load_u8 v3, v21, s[2:3] offset:493
	s_wait_kmcnt 0x0
	v_add_nc_u64_e32 v[20:21], s[4:5], v[20:21]
	s_wait_loadcnt 0x0
	v_and_b32_e32 v5, 0xffff, v3
	v_readfirstlane_b32 s13, v3
	s_delay_alu instid0(VALU_DEP_2)
	v_cmp_gt_i32_e32 vcc_lo, 11, v5
	s_cbranch_vccnz .LBB167_1871
; %bb.1865:
	s_and_b32 s12, 0xffff, s13
	s_mov_b32 s15, 0
	s_cmp_gt_i32 s12, 25
	s_cbranch_scc0 .LBB167_1873
; %bb.1866:
	s_cmp_gt_i32 s12, 28
	s_cbranch_scc0 .LBB167_1874
; %bb.1867:
	;; [unrolled: 3-line block ×4, first 2 shown]
	s_cmp_eq_u32 s12, 46
	s_mov_b32 s17, 0
	s_cbranch_scc0 .LBB167_1878
; %bb.1870:
	global_load_b32 v3, v[20:21], off
	s_mov_b32 s14, 0
	s_mov_b32 s16, -1
	s_branch .LBB167_1880
.LBB167_1871:
	s_mov_b32 s16, 0
                                        ; implicit-def: $vgpr3
	s_cbranch_execnz .LBB167_1946
.LBB167_1872:
	s_and_not1_b32 vcc_lo, exec_lo, s16
	s_cbranch_vccz .LBB167_1994
	s_branch .LBB167_3280
.LBB167_1873:
	s_mov_b32 s17, -1
	s_mov_b32 s16, 0
	s_mov_b32 s14, 0
                                        ; implicit-def: $vgpr3
	s_branch .LBB167_1909
.LBB167_1874:
	s_mov_b32 s17, -1
	s_mov_b32 s16, 0
	s_mov_b32 s14, 0
                                        ; implicit-def: $vgpr3
	s_branch .LBB167_1890
.LBB167_1875:
	s_mov_b32 s17, -1
	s_mov_b32 s16, 0
	s_mov_b32 s14, 0
                                        ; implicit-def: $vgpr3
	s_branch .LBB167_1885
.LBB167_1876:
	s_or_b32 s8, s8, exec_lo
	s_trap 2
	s_cbranch_execz .LBB167_1815
	s_branch .LBB167_1816
.LBB167_1877:
	s_mov_b32 s17, -1
	s_mov_b32 s16, 0
	s_mov_b32 s14, 0
	s_branch .LBB167_1879
.LBB167_1878:
	s_mov_b32 s14, -1
	s_mov_b32 s16, 0
.LBB167_1879:
                                        ; implicit-def: $vgpr3
.LBB167_1880:
	s_and_b32 vcc_lo, exec_lo, s17
	s_cbranch_vccz .LBB167_1884
; %bb.1881:
	s_cmp_eq_u32 s12, 44
	s_cbranch_scc0 .LBB167_1883
; %bb.1882:
	s_wait_loadcnt 0x0
	global_load_u8 v3, v[20:21], off
	s_mov_b32 s14, 0
	s_mov_b32 s16, -1
	s_wait_loadcnt 0x0
	v_lshlrev_b32_e32 v5, 23, v3
	v_cmp_ne_u32_e32 vcc_lo, 0xff, v3
	s_delay_alu instid0(VALU_DEP_2) | instskip(SKIP_1) | instid1(VALU_DEP_2)
	v_cndmask_b32_e32 v5, 0x7f800001, v5, vcc_lo
	v_cmp_ne_u32_e32 vcc_lo, 0, v3
	v_cndmask_b32_e32 v3, 0x400000, v5, vcc_lo
	s_delay_alu instid0(VALU_DEP_1) | instskip(SKIP_1) | instid1(VALU_DEP_2)
	v_add_nc_u32_e32 v5, 0x7fff, v3
	v_cmp_o_f32_e32 vcc_lo, v3, v3
	v_lshrrev_b32_e32 v5, 16, v5
	s_delay_alu instid0(VALU_DEP_1)
	v_cndmask_b32_e32 v3, 0x7fc0, v5, vcc_lo
	s_branch .LBB167_1884
.LBB167_1883:
	s_mov_b32 s14, -1
                                        ; implicit-def: $vgpr3
.LBB167_1884:
	s_mov_b32 s17, 0
.LBB167_1885:
	s_delay_alu instid0(SALU_CYCLE_1)
	s_and_b32 vcc_lo, exec_lo, s17
	s_cbranch_vccz .LBB167_1889
; %bb.1886:
	s_cmp_eq_u32 s12, 29
	s_cbranch_scc0 .LBB167_1888
; %bb.1887:
	global_load_b64 v[22:23], v[20:21], off
	s_mov_b32 s14, 0
	s_mov_b32 s16, -1
	s_mov_b32 s17, 0
	s_wait_loadcnt 0x0
	v_clz_i32_u32_e32 v3, v23
	s_delay_alu instid0(VALU_DEP_1) | instskip(NEXT) | instid1(VALU_DEP_1)
	v_min_u32_e32 v3, 32, v3
	v_lshlrev_b64_e32 v[22:23], v3, v[22:23]
	v_sub_nc_u32_e32 v3, 32, v3
	s_delay_alu instid0(VALU_DEP_2) | instskip(NEXT) | instid1(VALU_DEP_1)
	v_min_u32_e32 v5, 1, v22
	v_or_b32_e32 v5, v23, v5
	s_delay_alu instid0(VALU_DEP_1) | instskip(NEXT) | instid1(VALU_DEP_1)
	v_cvt_f32_u32_e32 v5, v5
	v_ldexp_f32 v3, v5, v3
	s_delay_alu instid0(VALU_DEP_1) | instskip(NEXT) | instid1(VALU_DEP_1)
	v_bfe_u32 v5, v3, 16, 1
	v_add3_u32 v3, v3, v5, 0x7fff
	s_delay_alu instid0(VALU_DEP_1)
	v_lshrrev_b32_e32 v3, 16, v3
	s_branch .LBB167_1890
.LBB167_1888:
	s_mov_b32 s14, -1
                                        ; implicit-def: $vgpr3
.LBB167_1889:
	s_mov_b32 s17, 0
.LBB167_1890:
	s_delay_alu instid0(SALU_CYCLE_1)
	s_and_b32 vcc_lo, exec_lo, s17
	s_cbranch_vccz .LBB167_1908
; %bb.1891:
	s_cmp_lt_i32 s12, 27
	s_cbranch_scc1 .LBB167_1894
; %bb.1892:
	s_cmp_gt_i32 s12, 27
	s_cbranch_scc0 .LBB167_1895
; %bb.1893:
	s_wait_loadcnt 0x0
	global_load_b32 v3, v[20:21], off
	s_mov_b32 s16, 0
	s_wait_loadcnt 0x0
	v_cvt_f32_u32_e32 v3, v3
	s_delay_alu instid0(VALU_DEP_1) | instskip(NEXT) | instid1(VALU_DEP_1)
	v_bfe_u32 v5, v3, 16, 1
	v_add3_u32 v3, v3, v5, 0x7fff
	s_delay_alu instid0(VALU_DEP_1)
	v_lshrrev_b32_e32 v3, 16, v3
	s_branch .LBB167_1896
.LBB167_1894:
	s_mov_b32 s16, -1
                                        ; implicit-def: $vgpr3
	s_branch .LBB167_1899
.LBB167_1895:
	s_mov_b32 s16, -1
                                        ; implicit-def: $vgpr3
.LBB167_1896:
	s_delay_alu instid0(SALU_CYCLE_1)
	s_and_not1_b32 vcc_lo, exec_lo, s16
	s_cbranch_vccnz .LBB167_1898
; %bb.1897:
	s_wait_loadcnt 0x0
	global_load_u16 v3, v[20:21], off
	s_wait_loadcnt 0x0
	v_cvt_f32_u32_e32 v3, v3
	s_delay_alu instid0(VALU_DEP_1) | instskip(NEXT) | instid1(VALU_DEP_1)
	v_bfe_u32 v5, v3, 16, 1
	v_add3_u32 v3, v3, v5, 0x7fff
	s_delay_alu instid0(VALU_DEP_1)
	v_lshrrev_b32_e32 v3, 16, v3
.LBB167_1898:
	s_mov_b32 s16, 0
.LBB167_1899:
	s_delay_alu instid0(SALU_CYCLE_1)
	s_and_not1_b32 vcc_lo, exec_lo, s16
	s_cbranch_vccnz .LBB167_1907
; %bb.1900:
	s_wait_loadcnt 0x0
	global_load_u8 v3, v[20:21], off
	s_mov_b32 s16, 0
	s_mov_b32 s17, exec_lo
	s_wait_loadcnt 0x0
	v_cmpx_lt_i16_e32 0x7f, v3
	s_xor_b32 s17, exec_lo, s17
	s_cbranch_execz .LBB167_1921
; %bb.1901:
	s_mov_b32 s16, -1
	s_mov_b32 s18, exec_lo
	v_cmpx_eq_u16_e32 0x80, v3
; %bb.1902:
	s_xor_b32 s16, exec_lo, -1
; %bb.1903:
	s_or_b32 exec_lo, exec_lo, s18
	s_delay_alu instid0(SALU_CYCLE_1)
	s_and_b32 s16, s16, exec_lo
	s_or_saveexec_b32 s17, s17
	v_mov_b32_e32 v5, 0x7f800001
	s_xor_b32 exec_lo, exec_lo, s17
	s_cbranch_execnz .LBB167_1922
.LBB167_1904:
	s_or_b32 exec_lo, exec_lo, s17
	s_and_saveexec_b32 s17, s16
	s_cbranch_execz .LBB167_1906
.LBB167_1905:
	v_and_b32_e32 v5, 0xffff, v3
	s_delay_alu instid0(VALU_DEP_1) | instskip(SKIP_1) | instid1(VALU_DEP_2)
	v_dual_lshlrev_b32 v3, 24, v3 :: v_dual_bitop2_b32 v7, 7, v5 bitop3:0x40
	v_bfe_u32 v13, v5, 3, 4
	v_and_b32_e32 v3, 0x80000000, v3
	s_delay_alu instid0(VALU_DEP_3) | instskip(NEXT) | instid1(VALU_DEP_3)
	v_clz_i32_u32_e32 v9, v7
	v_cmp_eq_u32_e32 vcc_lo, 0, v13
	s_delay_alu instid0(VALU_DEP_2) | instskip(NEXT) | instid1(VALU_DEP_1)
	v_min_u32_e32 v9, 32, v9
	v_subrev_nc_u32_e32 v11, 28, v9
	v_sub_nc_u32_e32 v9, 29, v9
	s_delay_alu instid0(VALU_DEP_2) | instskip(NEXT) | instid1(VALU_DEP_2)
	v_lshlrev_b32_e32 v5, v11, v5
	v_cndmask_b32_e32 v9, v13, v9, vcc_lo
	s_delay_alu instid0(VALU_DEP_2) | instskip(NEXT) | instid1(VALU_DEP_1)
	v_and_b32_e32 v5, 7, v5
	v_cndmask_b32_e32 v5, v7, v5, vcc_lo
	s_delay_alu instid0(VALU_DEP_3) | instskip(NEXT) | instid1(VALU_DEP_2)
	v_lshl_add_u32 v7, v9, 23, 0x3b800000
	v_lshlrev_b32_e32 v5, 20, v5
	s_delay_alu instid0(VALU_DEP_1)
	v_or3_b32 v5, v3, v7, v5
.LBB167_1906:
	s_or_b32 exec_lo, exec_lo, s17
	s_delay_alu instid0(VALU_DEP_1) | instskip(SKIP_1) | instid1(VALU_DEP_2)
	v_bfe_u32 v3, v5, 16, 1
	v_cmp_o_f32_e32 vcc_lo, v5, v5
	v_add3_u32 v3, v5, v3, 0x7fff
	s_delay_alu instid0(VALU_DEP_1) | instskip(NEXT) | instid1(VALU_DEP_1)
	v_lshrrev_b32_e32 v3, 16, v3
	v_cndmask_b32_e32 v3, 0x7fc0, v3, vcc_lo
.LBB167_1907:
	s_mov_b32 s16, -1
.LBB167_1908:
	s_mov_b32 s17, 0
.LBB167_1909:
	s_delay_alu instid0(SALU_CYCLE_1)
	s_and_b32 vcc_lo, exec_lo, s17
	s_cbranch_vccz .LBB167_1942
; %bb.1910:
	s_cmp_gt_i32 s12, 22
	s_cbranch_scc0 .LBB167_1920
; %bb.1911:
	s_cmp_lt_i32 s12, 24
	s_cbranch_scc1 .LBB167_1923
; %bb.1912:
	s_cmp_gt_i32 s12, 24
	s_cbranch_scc0 .LBB167_1924
; %bb.1913:
	s_wait_loadcnt 0x0
	global_load_u8 v3, v[20:21], off
	s_mov_b32 s16, exec_lo
	s_wait_loadcnt 0x0
	v_cmpx_lt_i16_e32 0x7f, v3
	s_xor_b32 s16, exec_lo, s16
	s_cbranch_execz .LBB167_1936
; %bb.1914:
	s_mov_b32 s15, -1
	s_mov_b32 s17, exec_lo
	v_cmpx_eq_u16_e32 0x80, v3
; %bb.1915:
	s_xor_b32 s15, exec_lo, -1
; %bb.1916:
	s_or_b32 exec_lo, exec_lo, s17
	s_delay_alu instid0(SALU_CYCLE_1)
	s_and_b32 s15, s15, exec_lo
	s_or_saveexec_b32 s16, s16
	v_mov_b32_e32 v5, 0x7f800001
	s_xor_b32 exec_lo, exec_lo, s16
	s_cbranch_execnz .LBB167_1937
.LBB167_1917:
	s_or_b32 exec_lo, exec_lo, s16
	s_and_saveexec_b32 s16, s15
	s_cbranch_execz .LBB167_1919
.LBB167_1918:
	v_and_b32_e32 v5, 0xffff, v3
	s_delay_alu instid0(VALU_DEP_1) | instskip(SKIP_1) | instid1(VALU_DEP_2)
	v_dual_lshlrev_b32 v3, 24, v3 :: v_dual_bitop2_b32 v7, 3, v5 bitop3:0x40
	v_bfe_u32 v13, v5, 2, 5
	v_and_b32_e32 v3, 0x80000000, v3
	s_delay_alu instid0(VALU_DEP_3) | instskip(NEXT) | instid1(VALU_DEP_3)
	v_clz_i32_u32_e32 v9, v7
	v_cmp_eq_u32_e32 vcc_lo, 0, v13
	s_delay_alu instid0(VALU_DEP_2) | instskip(NEXT) | instid1(VALU_DEP_1)
	v_min_u32_e32 v9, 32, v9
	v_subrev_nc_u32_e32 v11, 29, v9
	v_sub_nc_u32_e32 v9, 30, v9
	s_delay_alu instid0(VALU_DEP_2) | instskip(NEXT) | instid1(VALU_DEP_2)
	v_lshlrev_b32_e32 v5, v11, v5
	v_cndmask_b32_e32 v9, v13, v9, vcc_lo
	s_delay_alu instid0(VALU_DEP_2) | instskip(NEXT) | instid1(VALU_DEP_1)
	v_and_b32_e32 v5, 3, v5
	v_cndmask_b32_e32 v5, v7, v5, vcc_lo
	s_delay_alu instid0(VALU_DEP_3) | instskip(NEXT) | instid1(VALU_DEP_2)
	v_lshl_add_u32 v7, v9, 23, 0x37800000
	v_lshlrev_b32_e32 v5, 21, v5
	s_delay_alu instid0(VALU_DEP_1)
	v_or3_b32 v5, v3, v7, v5
.LBB167_1919:
	s_or_b32 exec_lo, exec_lo, s16
	s_delay_alu instid0(VALU_DEP_1) | instskip(SKIP_2) | instid1(VALU_DEP_2)
	v_bfe_u32 v3, v5, 16, 1
	v_cmp_o_f32_e32 vcc_lo, v5, v5
	s_mov_b32 s15, 0
	v_add3_u32 v3, v5, v3, 0x7fff
	s_delay_alu instid0(VALU_DEP_1) | instskip(NEXT) | instid1(VALU_DEP_1)
	v_lshrrev_b32_e32 v3, 16, v3
	v_cndmask_b32_e32 v3, 0x7fc0, v3, vcc_lo
	s_branch .LBB167_1925
.LBB167_1920:
	s_mov_b32 s15, -1
                                        ; implicit-def: $vgpr3
	s_branch .LBB167_1931
.LBB167_1921:
	s_or_saveexec_b32 s17, s17
	v_mov_b32_e32 v5, 0x7f800001
	s_xor_b32 exec_lo, exec_lo, s17
	s_cbranch_execz .LBB167_1904
.LBB167_1922:
	v_cmp_ne_u16_e32 vcc_lo, 0, v3
	v_mov_b32_e32 v5, 0
	s_and_not1_b32 s16, s16, exec_lo
	s_and_b32 s18, vcc_lo, exec_lo
	s_delay_alu instid0(SALU_CYCLE_1)
	s_or_b32 s16, s16, s18
	s_or_b32 exec_lo, exec_lo, s17
	s_and_saveexec_b32 s17, s16
	s_cbranch_execnz .LBB167_1905
	s_branch .LBB167_1906
.LBB167_1923:
	s_mov_b32 s15, -1
                                        ; implicit-def: $vgpr3
	s_branch .LBB167_1928
.LBB167_1924:
	s_mov_b32 s15, -1
                                        ; implicit-def: $vgpr3
.LBB167_1925:
	s_delay_alu instid0(SALU_CYCLE_1)
	s_and_b32 vcc_lo, exec_lo, s15
	s_cbranch_vccz .LBB167_1927
; %bb.1926:
	s_wait_loadcnt 0x0
	global_load_u8 v3, v[20:21], off
	s_wait_loadcnt 0x0
	v_lshlrev_b32_e32 v3, 24, v3
	s_delay_alu instid0(VALU_DEP_1) | instskip(NEXT) | instid1(VALU_DEP_1)
	v_and_b32_e32 v5, 0x7f000000, v3
	v_clz_i32_u32_e32 v7, v5
	v_add_nc_u32_e32 v11, 0x1000000, v5
	v_cmp_ne_u32_e32 vcc_lo, 0, v5
	s_delay_alu instid0(VALU_DEP_3) | instskip(NEXT) | instid1(VALU_DEP_1)
	v_min_u32_e32 v7, 32, v7
	v_sub_nc_u32_e64 v7, v7, 4 clamp
	s_delay_alu instid0(VALU_DEP_1) | instskip(NEXT) | instid1(VALU_DEP_1)
	v_dual_lshlrev_b32 v9, v7, v5 :: v_dual_lshlrev_b32 v7, 23, v7
	v_lshrrev_b32_e32 v9, 4, v9
	s_delay_alu instid0(VALU_DEP_1) | instskip(SKIP_1) | instid1(VALU_DEP_2)
	v_sub_nc_u32_e32 v7, v9, v7
	v_ashrrev_i32_e32 v9, 8, v11
	v_add_nc_u32_e32 v7, 0x3c000000, v7
	s_delay_alu instid0(VALU_DEP_1) | instskip(NEXT) | instid1(VALU_DEP_1)
	v_and_or_b32 v7, 0x7f800000, v9, v7
	v_cndmask_b32_e32 v5, 0, v7, vcc_lo
	s_delay_alu instid0(VALU_DEP_1) | instskip(SKIP_1) | instid1(VALU_DEP_2)
	v_and_or_b32 v3, 0x80000000, v3, v5
	v_bfe_u32 v5, v5, 16, 1
	v_cmp_o_f32_e32 vcc_lo, v3, v3
	s_delay_alu instid0(VALU_DEP_2) | instskip(NEXT) | instid1(VALU_DEP_1)
	v_add3_u32 v5, v3, v5, 0x7fff
	v_lshrrev_b32_e32 v5, 16, v5
	s_delay_alu instid0(VALU_DEP_1)
	v_cndmask_b32_e32 v3, 0x7fc0, v5, vcc_lo
.LBB167_1927:
	s_mov_b32 s15, 0
.LBB167_1928:
	s_delay_alu instid0(SALU_CYCLE_1)
	s_and_not1_b32 vcc_lo, exec_lo, s15
	s_cbranch_vccnz .LBB167_1930
; %bb.1929:
	s_wait_loadcnt 0x0
	global_load_u8 v3, v[20:21], off
	s_wait_loadcnt 0x0
	v_lshlrev_b32_e32 v5, 25, v3
	v_lshlrev_b16 v3, 8, v3
	s_delay_alu instid0(VALU_DEP_1) | instskip(SKIP_1) | instid1(VALU_DEP_2)
	v_and_or_b32 v9, 0x7f00, v3, 0.5
	v_bfe_i32 v3, v3, 0, 16
	v_add_f32_e32 v9, -0.5, v9
	v_lshrrev_b32_e32 v7, 4, v5
	v_cmp_gt_u32_e32 vcc_lo, 0x8000000, v5
	s_delay_alu instid0(VALU_DEP_2) | instskip(NEXT) | instid1(VALU_DEP_1)
	v_or_b32_e32 v7, 0x70000000, v7
	v_mul_f32_e32 v7, 0x7800000, v7
	s_delay_alu instid0(VALU_DEP_1) | instskip(NEXT) | instid1(VALU_DEP_1)
	v_cndmask_b32_e32 v5, v7, v9, vcc_lo
	v_and_or_b32 v3, 0x80000000, v3, v5
	v_bfe_u32 v5, v5, 16, 1
	s_delay_alu instid0(VALU_DEP_2) | instskip(NEXT) | instid1(VALU_DEP_2)
	v_cmp_o_f32_e32 vcc_lo, v3, v3
	v_add3_u32 v5, v3, v5, 0x7fff
	s_delay_alu instid0(VALU_DEP_1) | instskip(NEXT) | instid1(VALU_DEP_1)
	v_lshrrev_b32_e32 v5, 16, v5
	v_cndmask_b32_e32 v3, 0x7fc0, v5, vcc_lo
.LBB167_1930:
	s_mov_b32 s15, 0
	s_mov_b32 s16, -1
.LBB167_1931:
	s_and_not1_b32 vcc_lo, exec_lo, s15
	s_mov_b32 s15, 0
	s_cbranch_vccnz .LBB167_1942
; %bb.1932:
	s_cmp_gt_i32 s12, 14
	s_cbranch_scc0 .LBB167_1935
; %bb.1933:
	s_cmp_eq_u32 s12, 15
	s_cbranch_scc0 .LBB167_1938
; %bb.1934:
	s_wait_loadcnt 0x0
	global_load_u16 v3, v[20:21], off
	s_mov_b32 s14, 0
	s_mov_b32 s16, -1
	s_branch .LBB167_1940
.LBB167_1935:
	s_mov_b32 s15, -1
	s_branch .LBB167_1939
.LBB167_1936:
	s_or_saveexec_b32 s16, s16
	v_mov_b32_e32 v5, 0x7f800001
	s_xor_b32 exec_lo, exec_lo, s16
	s_cbranch_execz .LBB167_1917
.LBB167_1937:
	v_cmp_ne_u16_e32 vcc_lo, 0, v3
	v_mov_b32_e32 v5, 0
	s_and_not1_b32 s15, s15, exec_lo
	s_and_b32 s17, vcc_lo, exec_lo
	s_delay_alu instid0(SALU_CYCLE_1)
	s_or_b32 s15, s15, s17
	s_or_b32 exec_lo, exec_lo, s16
	s_and_saveexec_b32 s16, s15
	s_cbranch_execnz .LBB167_1918
	s_branch .LBB167_1919
.LBB167_1938:
	s_mov_b32 s14, -1
.LBB167_1939:
                                        ; implicit-def: $vgpr3
.LBB167_1940:
	s_and_b32 vcc_lo, exec_lo, s15
	s_mov_b32 s15, 0
	s_cbranch_vccz .LBB167_1942
; %bb.1941:
	s_cmp_lg_u32 s12, 11
	s_mov_b32 s15, -1
	s_cselect_b32 s14, -1, 0
.LBB167_1942:
	s_delay_alu instid0(SALU_CYCLE_1)
	s_and_b32 vcc_lo, exec_lo, s14
	s_cbranch_vccnz .LBB167_2024
; %bb.1943:
	s_and_not1_b32 vcc_lo, exec_lo, s15
	s_cbranch_vccnz .LBB167_1945
.LBB167_1944:
	s_wait_loadcnt 0x0
	global_load_u8 v3, v[20:21], off
	s_mov_b32 s16, -1
	s_wait_loadcnt 0x0
	v_cmp_ne_u16_e32 vcc_lo, 0, v3
	v_cndmask_b32_e64 v3, 0, 1.0, vcc_lo
	s_delay_alu instid0(VALU_DEP_1)
	v_lshrrev_b32_e32 v3, 16, v3
.LBB167_1945:
	s_branch .LBB167_1872
.LBB167_1946:
	s_and_b32 s12, 0xffff, s13
	s_delay_alu instid0(SALU_CYCLE_1)
	s_cmp_lt_i32 s12, 5
	s_cbranch_scc1 .LBB167_1951
; %bb.1947:
	s_cmp_lt_i32 s12, 8
	s_cbranch_scc1 .LBB167_1952
; %bb.1948:
	;; [unrolled: 3-line block ×3, first 2 shown]
	s_cmp_gt_i32 s12, 9
	s_cbranch_scc0 .LBB167_1954
; %bb.1950:
	global_load_b64 v[22:23], v[20:21], off
	s_mov_b32 s14, 0
	s_wait_loadcnt 0x0
	v_cvt_f32_f64_e32 v3, v[22:23]
	s_delay_alu instid0(VALU_DEP_1) | instskip(SKIP_1) | instid1(VALU_DEP_2)
	v_bfe_u32 v5, v3, 16, 1
	v_cmp_o_f32_e32 vcc_lo, v3, v3
	v_add3_u32 v5, v3, v5, 0x7fff
	s_delay_alu instid0(VALU_DEP_1) | instskip(NEXT) | instid1(VALU_DEP_1)
	v_lshrrev_b32_e32 v5, 16, v5
	v_cndmask_b32_e32 v3, 0x7fc0, v5, vcc_lo
	s_branch .LBB167_1955
.LBB167_1951:
	s_mov_b32 s14, -1
                                        ; implicit-def: $vgpr3
	s_branch .LBB167_1973
.LBB167_1952:
	s_mov_b32 s14, -1
                                        ; implicit-def: $vgpr3
	s_branch .LBB167_1961
.LBB167_1953:
	s_mov_b32 s14, -1
                                        ; implicit-def: $vgpr3
	s_branch .LBB167_1958
.LBB167_1954:
	s_mov_b32 s14, -1
                                        ; implicit-def: $vgpr3
.LBB167_1955:
	s_delay_alu instid0(SALU_CYCLE_1)
	s_and_not1_b32 vcc_lo, exec_lo, s14
	s_cbranch_vccnz .LBB167_1957
; %bb.1956:
	s_wait_loadcnt 0x0
	global_load_b32 v3, v[20:21], off
	s_wait_loadcnt 0x0
	v_bfe_u32 v5, v3, 16, 1
	v_cmp_o_f32_e32 vcc_lo, v3, v3
	s_delay_alu instid0(VALU_DEP_2) | instskip(NEXT) | instid1(VALU_DEP_1)
	v_add3_u32 v5, v3, v5, 0x7fff
	v_lshrrev_b32_e32 v5, 16, v5
	s_delay_alu instid0(VALU_DEP_1)
	v_cndmask_b32_e32 v3, 0x7fc0, v5, vcc_lo
.LBB167_1957:
	s_mov_b32 s14, 0
.LBB167_1958:
	s_delay_alu instid0(SALU_CYCLE_1)
	s_and_not1_b32 vcc_lo, exec_lo, s14
	s_cbranch_vccnz .LBB167_1960
; %bb.1959:
	s_wait_loadcnt 0x0
	global_load_b32 v3, v[20:21], off
	s_wait_loadcnt 0x0
	v_cvt_f32_f16_e32 v5, v3
	v_cmp_o_f16_e32 vcc_lo, v3, v3
	s_delay_alu instid0(VALU_DEP_2) | instskip(NEXT) | instid1(VALU_DEP_1)
	v_bfe_u32 v7, v5, 16, 1
	v_add3_u32 v5, v5, v7, 0x7fff
	s_delay_alu instid0(VALU_DEP_1) | instskip(NEXT) | instid1(VALU_DEP_1)
	v_lshrrev_b32_e32 v5, 16, v5
	v_cndmask_b32_e32 v3, 0x7fc0, v5, vcc_lo
.LBB167_1960:
	s_mov_b32 s14, 0
.LBB167_1961:
	s_delay_alu instid0(SALU_CYCLE_1)
	s_and_not1_b32 vcc_lo, exec_lo, s14
	s_cbranch_vccnz .LBB167_1972
; %bb.1962:
	s_cmp_lt_i32 s12, 6
	s_cbranch_scc1 .LBB167_1965
; %bb.1963:
	s_cmp_gt_i32 s12, 6
	s_cbranch_scc0 .LBB167_1966
; %bb.1964:
	global_load_b64 v[22:23], v[20:21], off
	s_mov_b32 s14, 0
	s_wait_loadcnt 0x0
	v_cvt_f32_f64_e32 v3, v[22:23]
	s_delay_alu instid0(VALU_DEP_1) | instskip(SKIP_1) | instid1(VALU_DEP_2)
	v_bfe_u32 v5, v3, 16, 1
	v_cmp_o_f32_e32 vcc_lo, v3, v3
	v_add3_u32 v5, v3, v5, 0x7fff
	s_delay_alu instid0(VALU_DEP_1) | instskip(NEXT) | instid1(VALU_DEP_1)
	v_lshrrev_b32_e32 v5, 16, v5
	v_cndmask_b32_e32 v3, 0x7fc0, v5, vcc_lo
	s_branch .LBB167_1967
.LBB167_1965:
	s_mov_b32 s14, -1
                                        ; implicit-def: $vgpr3
	s_branch .LBB167_1970
.LBB167_1966:
	s_mov_b32 s14, -1
                                        ; implicit-def: $vgpr3
.LBB167_1967:
	s_delay_alu instid0(SALU_CYCLE_1)
	s_and_not1_b32 vcc_lo, exec_lo, s14
	s_cbranch_vccnz .LBB167_1969
; %bb.1968:
	s_wait_loadcnt 0x0
	global_load_b32 v3, v[20:21], off
	s_wait_loadcnt 0x0
	v_bfe_u32 v5, v3, 16, 1
	v_cmp_o_f32_e32 vcc_lo, v3, v3
	s_delay_alu instid0(VALU_DEP_2) | instskip(NEXT) | instid1(VALU_DEP_1)
	v_add3_u32 v5, v3, v5, 0x7fff
	v_lshrrev_b32_e32 v5, 16, v5
	s_delay_alu instid0(VALU_DEP_1)
	v_cndmask_b32_e32 v3, 0x7fc0, v5, vcc_lo
.LBB167_1969:
	s_mov_b32 s14, 0
.LBB167_1970:
	s_delay_alu instid0(SALU_CYCLE_1)
	s_and_not1_b32 vcc_lo, exec_lo, s14
	s_cbranch_vccnz .LBB167_1972
; %bb.1971:
	s_wait_loadcnt 0x0
	global_load_u16 v3, v[20:21], off
	s_wait_loadcnt 0x0
	v_cvt_f32_f16_e32 v5, v3
	v_cmp_o_f16_e32 vcc_lo, v3, v3
	s_delay_alu instid0(VALU_DEP_2) | instskip(NEXT) | instid1(VALU_DEP_1)
	v_bfe_u32 v7, v5, 16, 1
	v_add3_u32 v5, v5, v7, 0x7fff
	s_delay_alu instid0(VALU_DEP_1) | instskip(NEXT) | instid1(VALU_DEP_1)
	v_lshrrev_b32_e32 v5, 16, v5
	v_cndmask_b32_e32 v3, 0x7fc0, v5, vcc_lo
.LBB167_1972:
	s_mov_b32 s14, 0
.LBB167_1973:
	s_delay_alu instid0(SALU_CYCLE_1)
	s_and_not1_b32 vcc_lo, exec_lo, s14
	s_cbranch_vccnz .LBB167_1993
; %bb.1974:
	s_cmp_lt_i32 s12, 2
	s_cbranch_scc1 .LBB167_1978
; %bb.1975:
	s_cmp_lt_i32 s12, 3
	s_cbranch_scc1 .LBB167_1979
; %bb.1976:
	s_cmp_gt_i32 s12, 3
	s_cbranch_scc0 .LBB167_1980
; %bb.1977:
	global_load_b64 v[22:23], v[20:21], off
	s_mov_b32 s14, 0
	s_wait_loadcnt 0x0
	v_xor_b32_e32 v3, v22, v23
	v_cls_i32_e32 v5, v23
	s_delay_alu instid0(VALU_DEP_2) | instskip(NEXT) | instid1(VALU_DEP_1)
	v_ashrrev_i32_e32 v3, 31, v3
	v_add_nc_u32_e32 v3, 32, v3
	s_delay_alu instid0(VALU_DEP_1) | instskip(NEXT) | instid1(VALU_DEP_1)
	v_add_min_u32_e64 v3, v5, -1, v3
	v_lshlrev_b64_e32 v[22:23], v3, v[22:23]
	v_sub_nc_u32_e32 v3, 32, v3
	s_delay_alu instid0(VALU_DEP_2) | instskip(NEXT) | instid1(VALU_DEP_1)
	v_min_u32_e32 v5, 1, v22
	v_or_b32_e32 v5, v23, v5
	s_delay_alu instid0(VALU_DEP_1) | instskip(NEXT) | instid1(VALU_DEP_1)
	v_cvt_f32_i32_e32 v5, v5
	v_ldexp_f32 v3, v5, v3
	s_delay_alu instid0(VALU_DEP_1) | instskip(NEXT) | instid1(VALU_DEP_1)
	v_bfe_u32 v5, v3, 16, 1
	v_add3_u32 v3, v3, v5, 0x7fff
	s_delay_alu instid0(VALU_DEP_1)
	v_lshrrev_b32_e32 v3, 16, v3
	s_branch .LBB167_1981
.LBB167_1978:
	s_mov_b32 s14, -1
                                        ; implicit-def: $vgpr3
	s_branch .LBB167_1987
.LBB167_1979:
	s_mov_b32 s14, -1
                                        ; implicit-def: $vgpr3
	s_branch .LBB167_1984
.LBB167_1980:
	s_mov_b32 s14, -1
                                        ; implicit-def: $vgpr3
.LBB167_1981:
	s_delay_alu instid0(SALU_CYCLE_1)
	s_and_not1_b32 vcc_lo, exec_lo, s14
	s_cbranch_vccnz .LBB167_1983
; %bb.1982:
	s_wait_loadcnt 0x0
	global_load_b32 v3, v[20:21], off
	s_wait_loadcnt 0x0
	v_cvt_f32_i32_e32 v3, v3
	s_delay_alu instid0(VALU_DEP_1) | instskip(NEXT) | instid1(VALU_DEP_1)
	v_bfe_u32 v5, v3, 16, 1
	v_add3_u32 v3, v3, v5, 0x7fff
	s_delay_alu instid0(VALU_DEP_1)
	v_lshrrev_b32_e32 v3, 16, v3
.LBB167_1983:
	s_mov_b32 s14, 0
.LBB167_1984:
	s_delay_alu instid0(SALU_CYCLE_1)
	s_and_not1_b32 vcc_lo, exec_lo, s14
	s_cbranch_vccnz .LBB167_1986
; %bb.1985:
	s_wait_loadcnt 0x0
	global_load_i16 v3, v[20:21], off
	s_wait_loadcnt 0x0
	v_cvt_f32_i32_e32 v3, v3
	s_delay_alu instid0(VALU_DEP_1) | instskip(NEXT) | instid1(VALU_DEP_1)
	v_bfe_u32 v5, v3, 16, 1
	v_add3_u32 v3, v3, v5, 0x7fff
	s_delay_alu instid0(VALU_DEP_1)
	v_lshrrev_b32_e32 v3, 16, v3
.LBB167_1986:
	s_mov_b32 s14, 0
.LBB167_1987:
	s_delay_alu instid0(SALU_CYCLE_1)
	s_and_not1_b32 vcc_lo, exec_lo, s14
	s_cbranch_vccnz .LBB167_1993
; %bb.1988:
	s_cmp_gt_i32 s12, 0
	s_mov_b32 s12, 0
	s_cbranch_scc0 .LBB167_1990
; %bb.1989:
	s_wait_loadcnt 0x0
	global_load_i8 v3, v[20:21], off
	s_wait_loadcnt 0x0
	v_cvt_f32_i32_e32 v3, v3
	s_delay_alu instid0(VALU_DEP_1) | instskip(NEXT) | instid1(VALU_DEP_1)
	v_bfe_u32 v5, v3, 16, 1
	v_add3_u32 v3, v3, v5, 0x7fff
	s_delay_alu instid0(VALU_DEP_1)
	v_lshrrev_b32_e32 v3, 16, v3
	s_branch .LBB167_1991
.LBB167_1990:
	s_mov_b32 s12, -1
                                        ; implicit-def: $vgpr3
.LBB167_1991:
	s_delay_alu instid0(SALU_CYCLE_1)
	s_and_not1_b32 vcc_lo, exec_lo, s12
	s_cbranch_vccnz .LBB167_1993
; %bb.1992:
	s_wait_loadcnt 0x0
	global_load_u8 v3, v[20:21], off
	s_wait_loadcnt 0x0
	v_cvt_f32_ubyte0_e32 v3, v3
	s_delay_alu instid0(VALU_DEP_1) | instskip(NEXT) | instid1(VALU_DEP_1)
	v_bfe_u32 v5, v3, 16, 1
	v_add3_u32 v3, v3, v5, 0x7fff
	s_delay_alu instid0(VALU_DEP_1)
	v_lshrrev_b32_e32 v3, 16, v3
.LBB167_1993:
.LBB167_1994:
	s_and_b32 s12, 0xffff, s10
	s_delay_alu instid0(SALU_CYCLE_1)
	s_cmp_lt_i32 s12, 23
	s_cbranch_scc1 .LBB167_1998
; %bb.1995:
	s_cmp_gt_i32 s12, 43
	s_cbranch_scc0 .LBB167_1999
; %bb.1996:
	s_cmp_gt_i32 s12, 45
	s_cbranch_scc0 .LBB167_2000
; %bb.1997:
	s_cmp_lg_u32 s12, 46
	s_mov_b32 s15, 0
	s_mov_b32 s10, -1
	s_cselect_b32 s14, -1, 0
	s_branch .LBB167_2001
.LBB167_1998:
	s_mov_b32 s15, -1
	s_mov_b32 s10, 0
	s_mov_b32 s14, 0
	s_branch .LBB167_2007
.LBB167_1999:
	s_mov_b32 s15, -1
	s_mov_b32 s10, 0
	s_mov_b32 s14, 0
	s_branch .LBB167_2004
.LBB167_2000:
	s_mov_b32 s15, -1
	s_mov_b32 s10, 0
	s_mov_b32 s14, 0
.LBB167_2001:
	s_and_not1_b32 vcc_lo, exec_lo, s15
	s_cbranch_vccnz .LBB167_2003
; %bb.2002:
	s_cmp_eq_u32 s12, 44
	s_cselect_b32 s10, -1, 0
	s_cmp_lg_u32 s12, 44
	s_cselect_b32 s14, -1, 0
.LBB167_2003:
	s_mov_b32 s15, 0
.LBB167_2004:
	s_delay_alu instid0(SALU_CYCLE_1)
	s_and_b32 vcc_lo, exec_lo, s15
	s_cbranch_vccz .LBB167_2006
; %bb.2005:
	s_cmp_lt_i32 s12, 30
	s_cselect_b32 s10, -1, 0
	s_cmp_gt_i32 s12, 29
	s_cselect_b32 s14, -1, 0
.LBB167_2006:
	s_mov_b32 s15, 0
.LBB167_2007:
	s_delay_alu instid0(SALU_CYCLE_1)
	s_and_b32 vcc_lo, exec_lo, s15
	s_cbranch_vccz .LBB167_2012
; %bb.2008:
	s_cmp_gt_i32 s12, 14
	s_mov_b32 s15, -1
	s_cbranch_scc0 .LBB167_2010
; %bb.2009:
	s_cmp_eq_u32 s12, 15
	s_mov_b32 s15, 0
	s_cselect_b32 s10, -1, 0
	s_cmp_lg_u32 s12, 15
	s_cselect_b32 s14, -1, 0
.LBB167_2010:
	s_and_not1_b32 vcc_lo, exec_lo, s15
	s_cbranch_vccnz .LBB167_2012
; %bb.2011:
	s_cmp_lt_i32 s12, 12
	s_cselect_b32 s10, -1, 0
	s_cmp_gt_i32 s12, 11
	s_cselect_b32 s14, -1, 0
.LBB167_2012:
	s_delay_alu instid0(SALU_CYCLE_1)
	s_and_b32 vcc_lo, exec_lo, s14
	s_cbranch_vccnz .LBB167_2025
; %bb.2013:
	s_and_not1_b32 vcc_lo, exec_lo, s10
	s_cbranch_vccnz .LBB167_3280
.LBB167_2014:
	v_mov_b32_e32 v19, 0
	s_and_b32 s10, 0xffff, s11
	s_delay_alu instid0(SALU_CYCLE_1) | instskip(NEXT) | instid1(VALU_DEP_1)
	s_cmp_lt_i32 s10, 11
	v_add_nc_u64_e32 v[18:19], s[0:1], v[18:19]
	s_cbranch_scc1 .LBB167_2021
; %bb.2015:
	s_cmp_gt_i32 s10, 25
	s_mov_b32 s14, 0
	s_cbranch_scc0 .LBB167_2022
; %bb.2016:
	s_cmp_gt_i32 s10, 28
	s_cbranch_scc0 .LBB167_2023
; %bb.2017:
	s_cmp_gt_i32 s10, 43
	;; [unrolled: 3-line block ×3, first 2 shown]
	s_cbranch_scc0 .LBB167_2027
; %bb.2019:
	s_cmp_eq_u32 s10, 46
	s_mov_b32 s16, 0
	s_cbranch_scc0 .LBB167_2028
; %bb.2020:
	global_load_b32 v5, v[18:19], off
	s_mov_b32 s11, 0
	s_mov_b32 s15, -1
	s_branch .LBB167_2030
.LBB167_2021:
	s_mov_b32 s11, -1
	s_mov_b32 s15, 0
                                        ; implicit-def: $vgpr5
	s_branch .LBB167_2096
.LBB167_2022:
	s_mov_b32 s16, -1
	s_mov_b32 s15, 0
	s_mov_b32 s11, 0
                                        ; implicit-def: $vgpr5
	s_branch .LBB167_2059
.LBB167_2023:
	s_mov_b32 s16, -1
	s_mov_b32 s15, 0
	s_mov_b32 s11, 0
                                        ; implicit-def: $vgpr5
	s_branch .LBB167_2040
.LBB167_2024:
	s_or_b32 s8, s8, exec_lo
	s_trap 2
	s_cbranch_execz .LBB167_1944
	s_branch .LBB167_1945
.LBB167_2025:
	s_or_b32 s8, s8, exec_lo
	s_trap 2
	s_cbranch_execz .LBB167_2014
	s_branch .LBB167_3280
.LBB167_2026:
	s_mov_b32 s16, -1
	s_mov_b32 s15, 0
	s_mov_b32 s11, 0
                                        ; implicit-def: $vgpr5
	s_branch .LBB167_2035
.LBB167_2027:
	s_mov_b32 s16, -1
	s_mov_b32 s15, 0
	s_mov_b32 s11, 0
	s_branch .LBB167_2029
.LBB167_2028:
	s_mov_b32 s11, -1
	s_mov_b32 s15, 0
.LBB167_2029:
                                        ; implicit-def: $vgpr5
.LBB167_2030:
	s_and_b32 vcc_lo, exec_lo, s16
	s_cbranch_vccz .LBB167_2034
; %bb.2031:
	s_cmp_eq_u32 s10, 44
	s_cbranch_scc0 .LBB167_2033
; %bb.2032:
	s_wait_loadcnt 0x0
	global_load_u8 v5, v[18:19], off
	s_mov_b32 s11, 0
	s_mov_b32 s15, -1
	s_wait_loadcnt 0x0
	v_lshlrev_b32_e32 v7, 23, v5
	v_cmp_ne_u32_e32 vcc_lo, 0xff, v5
	s_delay_alu instid0(VALU_DEP_2) | instskip(SKIP_1) | instid1(VALU_DEP_2)
	v_cndmask_b32_e32 v7, 0x7f800001, v7, vcc_lo
	v_cmp_ne_u32_e32 vcc_lo, 0, v5
	v_cndmask_b32_e32 v5, 0x400000, v7, vcc_lo
	s_delay_alu instid0(VALU_DEP_1) | instskip(SKIP_1) | instid1(VALU_DEP_2)
	v_add_nc_u32_e32 v7, 0x7fff, v5
	v_cmp_o_f32_e32 vcc_lo, v5, v5
	v_lshrrev_b32_e32 v7, 16, v7
	s_delay_alu instid0(VALU_DEP_1)
	v_cndmask_b32_e32 v5, 0x7fc0, v7, vcc_lo
	s_branch .LBB167_2034
.LBB167_2033:
	s_mov_b32 s11, -1
                                        ; implicit-def: $vgpr5
.LBB167_2034:
	s_mov_b32 s16, 0
.LBB167_2035:
	s_delay_alu instid0(SALU_CYCLE_1)
	s_and_b32 vcc_lo, exec_lo, s16
	s_cbranch_vccz .LBB167_2039
; %bb.2036:
	s_cmp_eq_u32 s10, 29
	s_cbranch_scc0 .LBB167_2038
; %bb.2037:
	global_load_b64 v[20:21], v[18:19], off
	s_mov_b32 s11, 0
	s_mov_b32 s15, -1
	s_mov_b32 s16, 0
	s_wait_loadcnt 0x0
	v_clz_i32_u32_e32 v5, v21
	s_delay_alu instid0(VALU_DEP_1) | instskip(NEXT) | instid1(VALU_DEP_1)
	v_min_u32_e32 v5, 32, v5
	v_lshlrev_b64_e32 v[20:21], v5, v[20:21]
	v_sub_nc_u32_e32 v5, 32, v5
	s_delay_alu instid0(VALU_DEP_2) | instskip(NEXT) | instid1(VALU_DEP_1)
	v_min_u32_e32 v7, 1, v20
	v_or_b32_e32 v7, v21, v7
	s_delay_alu instid0(VALU_DEP_1) | instskip(NEXT) | instid1(VALU_DEP_1)
	v_cvt_f32_u32_e32 v7, v7
	v_ldexp_f32 v5, v7, v5
	s_delay_alu instid0(VALU_DEP_1) | instskip(NEXT) | instid1(VALU_DEP_1)
	v_bfe_u32 v7, v5, 16, 1
	v_add3_u32 v5, v5, v7, 0x7fff
	s_delay_alu instid0(VALU_DEP_1)
	v_lshrrev_b32_e32 v5, 16, v5
	s_branch .LBB167_2040
.LBB167_2038:
	s_mov_b32 s11, -1
                                        ; implicit-def: $vgpr5
.LBB167_2039:
	s_mov_b32 s16, 0
.LBB167_2040:
	s_delay_alu instid0(SALU_CYCLE_1)
	s_and_b32 vcc_lo, exec_lo, s16
	s_cbranch_vccz .LBB167_2058
; %bb.2041:
	s_cmp_lt_i32 s10, 27
	s_cbranch_scc1 .LBB167_2044
; %bb.2042:
	s_cmp_gt_i32 s10, 27
	s_cbranch_scc0 .LBB167_2045
; %bb.2043:
	s_wait_loadcnt 0x0
	global_load_b32 v5, v[18:19], off
	s_mov_b32 s15, 0
	s_wait_loadcnt 0x0
	v_cvt_f32_u32_e32 v5, v5
	s_delay_alu instid0(VALU_DEP_1) | instskip(NEXT) | instid1(VALU_DEP_1)
	v_bfe_u32 v7, v5, 16, 1
	v_add3_u32 v5, v5, v7, 0x7fff
	s_delay_alu instid0(VALU_DEP_1)
	v_lshrrev_b32_e32 v5, 16, v5
	s_branch .LBB167_2046
.LBB167_2044:
	s_mov_b32 s15, -1
                                        ; implicit-def: $vgpr5
	s_branch .LBB167_2049
.LBB167_2045:
	s_mov_b32 s15, -1
                                        ; implicit-def: $vgpr5
.LBB167_2046:
	s_delay_alu instid0(SALU_CYCLE_1)
	s_and_not1_b32 vcc_lo, exec_lo, s15
	s_cbranch_vccnz .LBB167_2048
; %bb.2047:
	s_wait_loadcnt 0x0
	global_load_u16 v5, v[18:19], off
	s_wait_loadcnt 0x0
	v_cvt_f32_u32_e32 v5, v5
	s_delay_alu instid0(VALU_DEP_1) | instskip(NEXT) | instid1(VALU_DEP_1)
	v_bfe_u32 v7, v5, 16, 1
	v_add3_u32 v5, v5, v7, 0x7fff
	s_delay_alu instid0(VALU_DEP_1)
	v_lshrrev_b32_e32 v5, 16, v5
.LBB167_2048:
	s_mov_b32 s15, 0
.LBB167_2049:
	s_delay_alu instid0(SALU_CYCLE_1)
	s_and_not1_b32 vcc_lo, exec_lo, s15
	s_cbranch_vccnz .LBB167_2057
; %bb.2050:
	s_wait_loadcnt 0x0
	global_load_u8 v5, v[18:19], off
	s_mov_b32 s15, 0
	s_mov_b32 s16, exec_lo
	s_wait_loadcnt 0x0
	v_cmpx_lt_i16_e32 0x7f, v5
	s_xor_b32 s16, exec_lo, s16
	s_cbranch_execz .LBB167_2071
; %bb.2051:
	s_mov_b32 s15, -1
	s_mov_b32 s17, exec_lo
	v_cmpx_eq_u16_e32 0x80, v5
; %bb.2052:
	s_xor_b32 s15, exec_lo, -1
; %bb.2053:
	s_or_b32 exec_lo, exec_lo, s17
	s_delay_alu instid0(SALU_CYCLE_1)
	s_and_b32 s15, s15, exec_lo
	s_or_saveexec_b32 s16, s16
	v_mov_b32_e32 v7, 0x7f800001
	s_xor_b32 exec_lo, exec_lo, s16
	s_cbranch_execnz .LBB167_2072
.LBB167_2054:
	s_or_b32 exec_lo, exec_lo, s16
	s_and_saveexec_b32 s16, s15
	s_cbranch_execz .LBB167_2056
.LBB167_2055:
	v_and_b32_e32 v7, 0xffff, v5
	s_delay_alu instid0(VALU_DEP_1) | instskip(SKIP_1) | instid1(VALU_DEP_2)
	v_dual_lshlrev_b32 v5, 24, v5 :: v_dual_bitop2_b32 v9, 7, v7 bitop3:0x40
	v_bfe_u32 v15, v7, 3, 4
	v_and_b32_e32 v5, 0x80000000, v5
	s_delay_alu instid0(VALU_DEP_3) | instskip(NEXT) | instid1(VALU_DEP_3)
	v_clz_i32_u32_e32 v11, v9
	v_cmp_eq_u32_e32 vcc_lo, 0, v15
	s_delay_alu instid0(VALU_DEP_2) | instskip(NEXT) | instid1(VALU_DEP_1)
	v_min_u32_e32 v11, 32, v11
	v_subrev_nc_u32_e32 v13, 28, v11
	v_sub_nc_u32_e32 v11, 29, v11
	s_delay_alu instid0(VALU_DEP_2) | instskip(NEXT) | instid1(VALU_DEP_2)
	v_lshlrev_b32_e32 v7, v13, v7
	v_cndmask_b32_e32 v11, v15, v11, vcc_lo
	s_delay_alu instid0(VALU_DEP_2) | instskip(NEXT) | instid1(VALU_DEP_1)
	v_and_b32_e32 v7, 7, v7
	v_cndmask_b32_e32 v7, v9, v7, vcc_lo
	s_delay_alu instid0(VALU_DEP_3) | instskip(NEXT) | instid1(VALU_DEP_2)
	v_lshl_add_u32 v9, v11, 23, 0x3b800000
	v_lshlrev_b32_e32 v7, 20, v7
	s_delay_alu instid0(VALU_DEP_1)
	v_or3_b32 v7, v5, v9, v7
.LBB167_2056:
	s_or_b32 exec_lo, exec_lo, s16
	s_delay_alu instid0(VALU_DEP_1) | instskip(SKIP_1) | instid1(VALU_DEP_2)
	v_bfe_u32 v5, v7, 16, 1
	v_cmp_o_f32_e32 vcc_lo, v7, v7
	v_add3_u32 v5, v7, v5, 0x7fff
	s_delay_alu instid0(VALU_DEP_1) | instskip(NEXT) | instid1(VALU_DEP_1)
	v_lshrrev_b32_e32 v5, 16, v5
	v_cndmask_b32_e32 v5, 0x7fc0, v5, vcc_lo
.LBB167_2057:
	s_mov_b32 s15, -1
.LBB167_2058:
	s_mov_b32 s16, 0
.LBB167_2059:
	s_delay_alu instid0(SALU_CYCLE_1)
	s_and_b32 vcc_lo, exec_lo, s16
	s_cbranch_vccz .LBB167_2092
; %bb.2060:
	s_cmp_gt_i32 s10, 22
	s_cbranch_scc0 .LBB167_2070
; %bb.2061:
	s_cmp_lt_i32 s10, 24
	s_cbranch_scc1 .LBB167_2073
; %bb.2062:
	s_cmp_gt_i32 s10, 24
	s_cbranch_scc0 .LBB167_2074
; %bb.2063:
	s_wait_loadcnt 0x0
	global_load_u8 v5, v[18:19], off
	s_mov_b32 s15, exec_lo
	s_wait_loadcnt 0x0
	v_cmpx_lt_i16_e32 0x7f, v5
	s_xor_b32 s15, exec_lo, s15
	s_cbranch_execz .LBB167_2086
; %bb.2064:
	s_mov_b32 s14, -1
	s_mov_b32 s16, exec_lo
	v_cmpx_eq_u16_e32 0x80, v5
; %bb.2065:
	s_xor_b32 s14, exec_lo, -1
; %bb.2066:
	s_or_b32 exec_lo, exec_lo, s16
	s_delay_alu instid0(SALU_CYCLE_1)
	s_and_b32 s14, s14, exec_lo
	s_or_saveexec_b32 s15, s15
	v_mov_b32_e32 v7, 0x7f800001
	s_xor_b32 exec_lo, exec_lo, s15
	s_cbranch_execnz .LBB167_2087
.LBB167_2067:
	s_or_b32 exec_lo, exec_lo, s15
	s_and_saveexec_b32 s15, s14
	s_cbranch_execz .LBB167_2069
.LBB167_2068:
	v_and_b32_e32 v7, 0xffff, v5
	s_delay_alu instid0(VALU_DEP_1) | instskip(SKIP_1) | instid1(VALU_DEP_2)
	v_dual_lshlrev_b32 v5, 24, v5 :: v_dual_bitop2_b32 v9, 3, v7 bitop3:0x40
	v_bfe_u32 v15, v7, 2, 5
	v_and_b32_e32 v5, 0x80000000, v5
	s_delay_alu instid0(VALU_DEP_3) | instskip(NEXT) | instid1(VALU_DEP_3)
	v_clz_i32_u32_e32 v11, v9
	v_cmp_eq_u32_e32 vcc_lo, 0, v15
	s_delay_alu instid0(VALU_DEP_2) | instskip(NEXT) | instid1(VALU_DEP_1)
	v_min_u32_e32 v11, 32, v11
	v_subrev_nc_u32_e32 v13, 29, v11
	v_sub_nc_u32_e32 v11, 30, v11
	s_delay_alu instid0(VALU_DEP_2) | instskip(NEXT) | instid1(VALU_DEP_2)
	v_lshlrev_b32_e32 v7, v13, v7
	v_cndmask_b32_e32 v11, v15, v11, vcc_lo
	s_delay_alu instid0(VALU_DEP_2) | instskip(NEXT) | instid1(VALU_DEP_1)
	v_and_b32_e32 v7, 3, v7
	v_cndmask_b32_e32 v7, v9, v7, vcc_lo
	s_delay_alu instid0(VALU_DEP_3) | instskip(NEXT) | instid1(VALU_DEP_2)
	v_lshl_add_u32 v9, v11, 23, 0x37800000
	v_lshlrev_b32_e32 v7, 21, v7
	s_delay_alu instid0(VALU_DEP_1)
	v_or3_b32 v7, v5, v9, v7
.LBB167_2069:
	s_or_b32 exec_lo, exec_lo, s15
	s_delay_alu instid0(VALU_DEP_1) | instskip(SKIP_2) | instid1(VALU_DEP_2)
	v_bfe_u32 v5, v7, 16, 1
	v_cmp_o_f32_e32 vcc_lo, v7, v7
	s_mov_b32 s14, 0
	v_add3_u32 v5, v7, v5, 0x7fff
	s_delay_alu instid0(VALU_DEP_1) | instskip(NEXT) | instid1(VALU_DEP_1)
	v_lshrrev_b32_e32 v5, 16, v5
	v_cndmask_b32_e32 v5, 0x7fc0, v5, vcc_lo
	s_branch .LBB167_2075
.LBB167_2070:
	s_mov_b32 s14, -1
                                        ; implicit-def: $vgpr5
	s_branch .LBB167_2081
.LBB167_2071:
	s_or_saveexec_b32 s16, s16
	v_mov_b32_e32 v7, 0x7f800001
	s_xor_b32 exec_lo, exec_lo, s16
	s_cbranch_execz .LBB167_2054
.LBB167_2072:
	v_cmp_ne_u16_e32 vcc_lo, 0, v5
	v_mov_b32_e32 v7, 0
	s_and_not1_b32 s15, s15, exec_lo
	s_and_b32 s17, vcc_lo, exec_lo
	s_delay_alu instid0(SALU_CYCLE_1)
	s_or_b32 s15, s15, s17
	s_or_b32 exec_lo, exec_lo, s16
	s_and_saveexec_b32 s16, s15
	s_cbranch_execnz .LBB167_2055
	s_branch .LBB167_2056
.LBB167_2073:
	s_mov_b32 s14, -1
                                        ; implicit-def: $vgpr5
	s_branch .LBB167_2078
.LBB167_2074:
	s_mov_b32 s14, -1
                                        ; implicit-def: $vgpr5
.LBB167_2075:
	s_delay_alu instid0(SALU_CYCLE_1)
	s_and_b32 vcc_lo, exec_lo, s14
	s_cbranch_vccz .LBB167_2077
; %bb.2076:
	s_wait_loadcnt 0x0
	global_load_u8 v5, v[18:19], off
	s_wait_loadcnt 0x0
	v_lshlrev_b32_e32 v5, 24, v5
	s_delay_alu instid0(VALU_DEP_1) | instskip(NEXT) | instid1(VALU_DEP_1)
	v_and_b32_e32 v7, 0x7f000000, v5
	v_clz_i32_u32_e32 v9, v7
	v_add_nc_u32_e32 v13, 0x1000000, v7
	v_cmp_ne_u32_e32 vcc_lo, 0, v7
	s_delay_alu instid0(VALU_DEP_3) | instskip(NEXT) | instid1(VALU_DEP_1)
	v_min_u32_e32 v9, 32, v9
	v_sub_nc_u32_e64 v9, v9, 4 clamp
	s_delay_alu instid0(VALU_DEP_1) | instskip(NEXT) | instid1(VALU_DEP_1)
	v_dual_lshlrev_b32 v11, v9, v7 :: v_dual_lshlrev_b32 v9, 23, v9
	v_lshrrev_b32_e32 v11, 4, v11
	s_delay_alu instid0(VALU_DEP_1) | instskip(SKIP_1) | instid1(VALU_DEP_2)
	v_sub_nc_u32_e32 v9, v11, v9
	v_ashrrev_i32_e32 v11, 8, v13
	v_add_nc_u32_e32 v9, 0x3c000000, v9
	s_delay_alu instid0(VALU_DEP_1) | instskip(NEXT) | instid1(VALU_DEP_1)
	v_and_or_b32 v9, 0x7f800000, v11, v9
	v_cndmask_b32_e32 v7, 0, v9, vcc_lo
	s_delay_alu instid0(VALU_DEP_1) | instskip(SKIP_1) | instid1(VALU_DEP_2)
	v_and_or_b32 v5, 0x80000000, v5, v7
	v_bfe_u32 v7, v7, 16, 1
	v_cmp_o_f32_e32 vcc_lo, v5, v5
	s_delay_alu instid0(VALU_DEP_2) | instskip(NEXT) | instid1(VALU_DEP_1)
	v_add3_u32 v7, v5, v7, 0x7fff
	v_lshrrev_b32_e32 v7, 16, v7
	s_delay_alu instid0(VALU_DEP_1)
	v_cndmask_b32_e32 v5, 0x7fc0, v7, vcc_lo
.LBB167_2077:
	s_mov_b32 s14, 0
.LBB167_2078:
	s_delay_alu instid0(SALU_CYCLE_1)
	s_and_not1_b32 vcc_lo, exec_lo, s14
	s_cbranch_vccnz .LBB167_2080
; %bb.2079:
	s_wait_loadcnt 0x0
	global_load_u8 v5, v[18:19], off
	s_wait_loadcnt 0x0
	v_lshlrev_b32_e32 v7, 25, v5
	v_lshlrev_b16 v5, 8, v5
	s_delay_alu instid0(VALU_DEP_1) | instskip(SKIP_1) | instid1(VALU_DEP_2)
	v_and_or_b32 v11, 0x7f00, v5, 0.5
	v_bfe_i32 v5, v5, 0, 16
	v_add_f32_e32 v11, -0.5, v11
	v_lshrrev_b32_e32 v9, 4, v7
	v_cmp_gt_u32_e32 vcc_lo, 0x8000000, v7
	s_delay_alu instid0(VALU_DEP_2) | instskip(NEXT) | instid1(VALU_DEP_1)
	v_or_b32_e32 v9, 0x70000000, v9
	v_mul_f32_e32 v9, 0x7800000, v9
	s_delay_alu instid0(VALU_DEP_1) | instskip(NEXT) | instid1(VALU_DEP_1)
	v_cndmask_b32_e32 v7, v9, v11, vcc_lo
	v_and_or_b32 v5, 0x80000000, v5, v7
	v_bfe_u32 v7, v7, 16, 1
	s_delay_alu instid0(VALU_DEP_2) | instskip(NEXT) | instid1(VALU_DEP_2)
	v_cmp_o_f32_e32 vcc_lo, v5, v5
	v_add3_u32 v7, v5, v7, 0x7fff
	s_delay_alu instid0(VALU_DEP_1) | instskip(NEXT) | instid1(VALU_DEP_1)
	v_lshrrev_b32_e32 v7, 16, v7
	v_cndmask_b32_e32 v5, 0x7fc0, v7, vcc_lo
.LBB167_2080:
	s_mov_b32 s14, 0
	s_mov_b32 s15, -1
.LBB167_2081:
	s_and_not1_b32 vcc_lo, exec_lo, s14
	s_mov_b32 s14, 0
	s_cbranch_vccnz .LBB167_2092
; %bb.2082:
	s_cmp_gt_i32 s10, 14
	s_cbranch_scc0 .LBB167_2085
; %bb.2083:
	s_cmp_eq_u32 s10, 15
	s_cbranch_scc0 .LBB167_2088
; %bb.2084:
	s_wait_loadcnt 0x0
	global_load_u16 v5, v[18:19], off
	s_mov_b32 s11, 0
	s_mov_b32 s15, -1
	s_branch .LBB167_2090
.LBB167_2085:
	s_mov_b32 s14, -1
	s_branch .LBB167_2089
.LBB167_2086:
	s_or_saveexec_b32 s15, s15
	v_mov_b32_e32 v7, 0x7f800001
	s_xor_b32 exec_lo, exec_lo, s15
	s_cbranch_execz .LBB167_2067
.LBB167_2087:
	v_cmp_ne_u16_e32 vcc_lo, 0, v5
	v_mov_b32_e32 v7, 0
	s_and_not1_b32 s14, s14, exec_lo
	s_and_b32 s16, vcc_lo, exec_lo
	s_delay_alu instid0(SALU_CYCLE_1)
	s_or_b32 s14, s14, s16
	s_or_b32 exec_lo, exec_lo, s15
	s_and_saveexec_b32 s15, s14
	s_cbranch_execnz .LBB167_2068
	s_branch .LBB167_2069
.LBB167_2088:
	s_mov_b32 s11, -1
.LBB167_2089:
                                        ; implicit-def: $vgpr5
.LBB167_2090:
	s_and_b32 vcc_lo, exec_lo, s14
	s_mov_b32 s14, 0
	s_cbranch_vccz .LBB167_2092
; %bb.2091:
	s_cmp_lg_u32 s10, 11
	s_mov_b32 s14, -1
	s_cselect_b32 s11, -1, 0
.LBB167_2092:
	s_delay_alu instid0(SALU_CYCLE_1)
	s_and_b32 vcc_lo, exec_lo, s11
	s_cbranch_vccnz .LBB167_2157
; %bb.2093:
	s_and_not1_b32 vcc_lo, exec_lo, s14
	s_cbranch_vccnz .LBB167_2095
.LBB167_2094:
	s_wait_loadcnt 0x0
	global_load_u8 v5, v[18:19], off
	s_mov_b32 s15, -1
	s_wait_loadcnt 0x0
	v_cmp_ne_u16_e32 vcc_lo, 0, v5
	v_cndmask_b32_e64 v5, 0, 1.0, vcc_lo
	s_delay_alu instid0(VALU_DEP_1)
	v_lshrrev_b32_e32 v5, 16, v5
.LBB167_2095:
	s_mov_b32 s11, 0
.LBB167_2096:
	s_delay_alu instid0(SALU_CYCLE_1)
	s_and_b32 vcc_lo, exec_lo, s11
	s_cbranch_vccz .LBB167_2145
; %bb.2097:
	s_cmp_lt_i32 s10, 5
	s_cbranch_scc1 .LBB167_2102
; %bb.2098:
	s_cmp_lt_i32 s10, 8
	s_cbranch_scc1 .LBB167_2103
	;; [unrolled: 3-line block ×3, first 2 shown]
; %bb.2100:
	s_cmp_gt_i32 s10, 9
	s_cbranch_scc0 .LBB167_2105
; %bb.2101:
	global_load_b64 v[20:21], v[18:19], off
	s_mov_b32 s11, 0
	s_wait_loadcnt 0x0
	v_cvt_f32_f64_e32 v5, v[20:21]
	s_delay_alu instid0(VALU_DEP_1) | instskip(SKIP_1) | instid1(VALU_DEP_2)
	v_bfe_u32 v7, v5, 16, 1
	v_cmp_o_f32_e32 vcc_lo, v5, v5
	v_add3_u32 v7, v5, v7, 0x7fff
	s_delay_alu instid0(VALU_DEP_1) | instskip(NEXT) | instid1(VALU_DEP_1)
	v_lshrrev_b32_e32 v7, 16, v7
	v_cndmask_b32_e32 v5, 0x7fc0, v7, vcc_lo
	s_branch .LBB167_2106
.LBB167_2102:
	s_mov_b32 s11, -1
                                        ; implicit-def: $vgpr5
	s_branch .LBB167_2124
.LBB167_2103:
	s_mov_b32 s11, -1
                                        ; implicit-def: $vgpr5
	s_branch .LBB167_2112
.LBB167_2104:
	s_mov_b32 s11, -1
                                        ; implicit-def: $vgpr5
	s_branch .LBB167_2109
.LBB167_2105:
	s_mov_b32 s11, -1
                                        ; implicit-def: $vgpr5
.LBB167_2106:
	s_delay_alu instid0(SALU_CYCLE_1)
	s_and_not1_b32 vcc_lo, exec_lo, s11
	s_cbranch_vccnz .LBB167_2108
; %bb.2107:
	s_wait_loadcnt 0x0
	global_load_b32 v5, v[18:19], off
	s_wait_loadcnt 0x0
	v_bfe_u32 v7, v5, 16, 1
	v_cmp_o_f32_e32 vcc_lo, v5, v5
	s_delay_alu instid0(VALU_DEP_2) | instskip(NEXT) | instid1(VALU_DEP_1)
	v_add3_u32 v7, v5, v7, 0x7fff
	v_lshrrev_b32_e32 v7, 16, v7
	s_delay_alu instid0(VALU_DEP_1)
	v_cndmask_b32_e32 v5, 0x7fc0, v7, vcc_lo
.LBB167_2108:
	s_mov_b32 s11, 0
.LBB167_2109:
	s_delay_alu instid0(SALU_CYCLE_1)
	s_and_not1_b32 vcc_lo, exec_lo, s11
	s_cbranch_vccnz .LBB167_2111
; %bb.2110:
	s_wait_loadcnt 0x0
	global_load_b32 v5, v[18:19], off
	s_wait_loadcnt 0x0
	v_cvt_f32_f16_e32 v7, v5
	v_cmp_o_f16_e32 vcc_lo, v5, v5
	s_delay_alu instid0(VALU_DEP_2) | instskip(NEXT) | instid1(VALU_DEP_1)
	v_bfe_u32 v9, v7, 16, 1
	v_add3_u32 v7, v7, v9, 0x7fff
	s_delay_alu instid0(VALU_DEP_1) | instskip(NEXT) | instid1(VALU_DEP_1)
	v_lshrrev_b32_e32 v7, 16, v7
	v_cndmask_b32_e32 v5, 0x7fc0, v7, vcc_lo
.LBB167_2111:
	s_mov_b32 s11, 0
.LBB167_2112:
	s_delay_alu instid0(SALU_CYCLE_1)
	s_and_not1_b32 vcc_lo, exec_lo, s11
	s_cbranch_vccnz .LBB167_2123
; %bb.2113:
	s_cmp_lt_i32 s10, 6
	s_cbranch_scc1 .LBB167_2116
; %bb.2114:
	s_cmp_gt_i32 s10, 6
	s_cbranch_scc0 .LBB167_2117
; %bb.2115:
	global_load_b64 v[20:21], v[18:19], off
	s_mov_b32 s11, 0
	s_wait_loadcnt 0x0
	v_cvt_f32_f64_e32 v5, v[20:21]
	s_delay_alu instid0(VALU_DEP_1) | instskip(SKIP_1) | instid1(VALU_DEP_2)
	v_bfe_u32 v7, v5, 16, 1
	v_cmp_o_f32_e32 vcc_lo, v5, v5
	v_add3_u32 v7, v5, v7, 0x7fff
	s_delay_alu instid0(VALU_DEP_1) | instskip(NEXT) | instid1(VALU_DEP_1)
	v_lshrrev_b32_e32 v7, 16, v7
	v_cndmask_b32_e32 v5, 0x7fc0, v7, vcc_lo
	s_branch .LBB167_2118
.LBB167_2116:
	s_mov_b32 s11, -1
                                        ; implicit-def: $vgpr5
	s_branch .LBB167_2121
.LBB167_2117:
	s_mov_b32 s11, -1
                                        ; implicit-def: $vgpr5
.LBB167_2118:
	s_delay_alu instid0(SALU_CYCLE_1)
	s_and_not1_b32 vcc_lo, exec_lo, s11
	s_cbranch_vccnz .LBB167_2120
; %bb.2119:
	s_wait_loadcnt 0x0
	global_load_b32 v5, v[18:19], off
	s_wait_loadcnt 0x0
	v_bfe_u32 v7, v5, 16, 1
	v_cmp_o_f32_e32 vcc_lo, v5, v5
	s_delay_alu instid0(VALU_DEP_2) | instskip(NEXT) | instid1(VALU_DEP_1)
	v_add3_u32 v7, v5, v7, 0x7fff
	v_lshrrev_b32_e32 v7, 16, v7
	s_delay_alu instid0(VALU_DEP_1)
	v_cndmask_b32_e32 v5, 0x7fc0, v7, vcc_lo
.LBB167_2120:
	s_mov_b32 s11, 0
.LBB167_2121:
	s_delay_alu instid0(SALU_CYCLE_1)
	s_and_not1_b32 vcc_lo, exec_lo, s11
	s_cbranch_vccnz .LBB167_2123
; %bb.2122:
	s_wait_loadcnt 0x0
	global_load_u16 v5, v[18:19], off
	s_wait_loadcnt 0x0
	v_cvt_f32_f16_e32 v7, v5
	v_cmp_o_f16_e32 vcc_lo, v5, v5
	s_delay_alu instid0(VALU_DEP_2) | instskip(NEXT) | instid1(VALU_DEP_1)
	v_bfe_u32 v9, v7, 16, 1
	v_add3_u32 v7, v7, v9, 0x7fff
	s_delay_alu instid0(VALU_DEP_1) | instskip(NEXT) | instid1(VALU_DEP_1)
	v_lshrrev_b32_e32 v7, 16, v7
	v_cndmask_b32_e32 v5, 0x7fc0, v7, vcc_lo
.LBB167_2123:
	s_mov_b32 s11, 0
.LBB167_2124:
	s_delay_alu instid0(SALU_CYCLE_1)
	s_and_not1_b32 vcc_lo, exec_lo, s11
	s_cbranch_vccnz .LBB167_2144
; %bb.2125:
	s_cmp_lt_i32 s10, 2
	s_cbranch_scc1 .LBB167_2129
; %bb.2126:
	s_cmp_lt_i32 s10, 3
	s_cbranch_scc1 .LBB167_2130
; %bb.2127:
	s_cmp_gt_i32 s10, 3
	s_cbranch_scc0 .LBB167_2131
; %bb.2128:
	global_load_b64 v[20:21], v[18:19], off
	s_mov_b32 s11, 0
	s_wait_loadcnt 0x0
	v_xor_b32_e32 v5, v20, v21
	v_cls_i32_e32 v7, v21
	s_delay_alu instid0(VALU_DEP_2) | instskip(NEXT) | instid1(VALU_DEP_1)
	v_ashrrev_i32_e32 v5, 31, v5
	v_add_nc_u32_e32 v5, 32, v5
	s_delay_alu instid0(VALU_DEP_1) | instskip(NEXT) | instid1(VALU_DEP_1)
	v_add_min_u32_e64 v5, v7, -1, v5
	v_lshlrev_b64_e32 v[20:21], v5, v[20:21]
	v_sub_nc_u32_e32 v5, 32, v5
	s_delay_alu instid0(VALU_DEP_2) | instskip(NEXT) | instid1(VALU_DEP_1)
	v_min_u32_e32 v7, 1, v20
	v_or_b32_e32 v7, v21, v7
	s_delay_alu instid0(VALU_DEP_1) | instskip(NEXT) | instid1(VALU_DEP_1)
	v_cvt_f32_i32_e32 v7, v7
	v_ldexp_f32 v5, v7, v5
	s_delay_alu instid0(VALU_DEP_1) | instskip(NEXT) | instid1(VALU_DEP_1)
	v_bfe_u32 v7, v5, 16, 1
	v_add3_u32 v5, v5, v7, 0x7fff
	s_delay_alu instid0(VALU_DEP_1)
	v_lshrrev_b32_e32 v5, 16, v5
	s_branch .LBB167_2132
.LBB167_2129:
	s_mov_b32 s11, -1
                                        ; implicit-def: $vgpr5
	s_branch .LBB167_2138
.LBB167_2130:
	s_mov_b32 s11, -1
                                        ; implicit-def: $vgpr5
	s_branch .LBB167_2135
.LBB167_2131:
	s_mov_b32 s11, -1
                                        ; implicit-def: $vgpr5
.LBB167_2132:
	s_delay_alu instid0(SALU_CYCLE_1)
	s_and_not1_b32 vcc_lo, exec_lo, s11
	s_cbranch_vccnz .LBB167_2134
; %bb.2133:
	s_wait_loadcnt 0x0
	global_load_b32 v5, v[18:19], off
	s_wait_loadcnt 0x0
	v_cvt_f32_i32_e32 v5, v5
	s_delay_alu instid0(VALU_DEP_1) | instskip(NEXT) | instid1(VALU_DEP_1)
	v_bfe_u32 v7, v5, 16, 1
	v_add3_u32 v5, v5, v7, 0x7fff
	s_delay_alu instid0(VALU_DEP_1)
	v_lshrrev_b32_e32 v5, 16, v5
.LBB167_2134:
	s_mov_b32 s11, 0
.LBB167_2135:
	s_delay_alu instid0(SALU_CYCLE_1)
	s_and_not1_b32 vcc_lo, exec_lo, s11
	s_cbranch_vccnz .LBB167_2137
; %bb.2136:
	s_wait_loadcnt 0x0
	global_load_i16 v5, v[18:19], off
	s_wait_loadcnt 0x0
	v_cvt_f32_i32_e32 v5, v5
	s_delay_alu instid0(VALU_DEP_1) | instskip(NEXT) | instid1(VALU_DEP_1)
	v_bfe_u32 v7, v5, 16, 1
	v_add3_u32 v5, v5, v7, 0x7fff
	s_delay_alu instid0(VALU_DEP_1)
	v_lshrrev_b32_e32 v5, 16, v5
.LBB167_2137:
	s_mov_b32 s11, 0
.LBB167_2138:
	s_delay_alu instid0(SALU_CYCLE_1)
	s_and_not1_b32 vcc_lo, exec_lo, s11
	s_cbranch_vccnz .LBB167_2144
; %bb.2139:
	s_cmp_gt_i32 s10, 0
	s_mov_b32 s11, 0
	s_cbranch_scc0 .LBB167_2141
; %bb.2140:
	s_wait_loadcnt 0x0
	global_load_i8 v5, v[18:19], off
	s_wait_loadcnt 0x0
	v_cvt_f32_i32_e32 v5, v5
	s_delay_alu instid0(VALU_DEP_1) | instskip(NEXT) | instid1(VALU_DEP_1)
	v_bfe_u32 v7, v5, 16, 1
	v_add3_u32 v5, v5, v7, 0x7fff
	s_delay_alu instid0(VALU_DEP_1)
	v_lshrrev_b32_e32 v5, 16, v5
	s_branch .LBB167_2142
.LBB167_2141:
	s_mov_b32 s11, -1
                                        ; implicit-def: $vgpr5
.LBB167_2142:
	s_delay_alu instid0(SALU_CYCLE_1)
	s_and_not1_b32 vcc_lo, exec_lo, s11
	s_cbranch_vccnz .LBB167_2144
; %bb.2143:
	s_wait_loadcnt 0x0
	global_load_u8 v5, v[18:19], off
	s_wait_loadcnt 0x0
	v_cvt_f32_ubyte0_e32 v5, v5
	s_delay_alu instid0(VALU_DEP_1) | instskip(NEXT) | instid1(VALU_DEP_1)
	v_bfe_u32 v7, v5, 16, 1
	v_add3_u32 v5, v5, v7, 0x7fff
	s_delay_alu instid0(VALU_DEP_1)
	v_lshrrev_b32_e32 v5, 16, v5
.LBB167_2144:
	s_mov_b32 s15, -1
.LBB167_2145:
	s_delay_alu instid0(SALU_CYCLE_1)
	s_and_not1_b32 vcc_lo, exec_lo, s15
	s_cbranch_vccnz .LBB167_3280
; %bb.2146:
	v_mov_b32_e32 v17, 0
	s_and_b32 s11, 0xffff, s13
	s_delay_alu instid0(SALU_CYCLE_1) | instskip(NEXT) | instid1(VALU_DEP_1)
	s_cmp_lt_i32 s11, 11
	v_add_nc_u64_e32 v[16:17], s[4:5], v[16:17]
	s_cbranch_scc1 .LBB167_2153
; %bb.2147:
	s_cmp_gt_i32 s11, 25
	s_mov_b32 s14, 0
	s_cbranch_scc0 .LBB167_2154
; %bb.2148:
	s_cmp_gt_i32 s11, 28
	s_cbranch_scc0 .LBB167_2155
; %bb.2149:
	s_cmp_gt_i32 s11, 43
	;; [unrolled: 3-line block ×3, first 2 shown]
	s_cbranch_scc0 .LBB167_2158
; %bb.2151:
	s_cmp_eq_u32 s11, 46
	s_mov_b32 s16, 0
	s_cbranch_scc0 .LBB167_2161
; %bb.2152:
	global_load_b32 v18, v[16:17], off
	s_mov_b32 s13, 0
	s_mov_b32 s15, -1
	s_branch .LBB167_2163
.LBB167_2153:
	s_mov_b32 s13, -1
	s_mov_b32 s15, 0
                                        ; implicit-def: $vgpr18
	s_branch .LBB167_2229
.LBB167_2154:
	s_mov_b32 s16, -1
	s_mov_b32 s15, 0
	s_mov_b32 s13, 0
                                        ; implicit-def: $vgpr18
	s_branch .LBB167_2192
.LBB167_2155:
	s_mov_b32 s16, -1
	s_mov_b32 s15, 0
	s_mov_b32 s13, 0
                                        ; implicit-def: $vgpr18
	s_branch .LBB167_2173
.LBB167_2156:
	s_mov_b32 s16, -1
	s_mov_b32 s15, 0
	s_mov_b32 s13, 0
                                        ; implicit-def: $vgpr18
	s_branch .LBB167_2168
.LBB167_2157:
	s_or_b32 s8, s8, exec_lo
	s_trap 2
	s_cbranch_execz .LBB167_2094
	s_branch .LBB167_2095
.LBB167_2158:
	s_mov_b32 s16, -1
	s_mov_b32 s15, 0
	s_mov_b32 s13, 0
	s_branch .LBB167_2162
.LBB167_2159:
	s_and_not1_saveexec_b32 s56, s56
	s_cbranch_execz .LBB167_1164
.LBB167_2160:
	v_add_f32_e64 v5, 0x46000000, |v6|
	s_and_not1_b32 s55, s55, exec_lo
	s_delay_alu instid0(VALU_DEP_1) | instskip(NEXT) | instid1(VALU_DEP_1)
	v_and_b32_e32 v5, 0xff, v5
	v_cmp_ne_u32_e32 vcc_lo, 0, v5
	s_and_b32 s57, vcc_lo, exec_lo
	s_delay_alu instid0(SALU_CYCLE_1)
	s_or_b32 s55, s55, s57
	s_or_b32 exec_lo, exec_lo, s56
	v_mov_b32_e32 v7, 0
	s_and_saveexec_b32 s56, s55
	s_cbranch_execnz .LBB167_1165
	s_branch .LBB167_1166
.LBB167_2161:
	s_mov_b32 s13, -1
	s_mov_b32 s15, 0
.LBB167_2162:
                                        ; implicit-def: $vgpr18
.LBB167_2163:
	s_and_b32 vcc_lo, exec_lo, s16
	s_cbranch_vccz .LBB167_2167
; %bb.2164:
	s_cmp_eq_u32 s11, 44
	s_cbranch_scc0 .LBB167_2166
; %bb.2165:
	global_load_u8 v7, v[16:17], off
	s_mov_b32 s13, 0
	s_mov_b32 s15, -1
	s_wait_loadcnt 0x0
	v_lshlrev_b32_e32 v9, 23, v7
	v_cmp_ne_u32_e32 vcc_lo, 0xff, v7
	s_delay_alu instid0(VALU_DEP_2) | instskip(SKIP_1) | instid1(VALU_DEP_2)
	v_cndmask_b32_e32 v9, 0x7f800001, v9, vcc_lo
	v_cmp_ne_u32_e32 vcc_lo, 0, v7
	v_cndmask_b32_e32 v7, 0x400000, v9, vcc_lo
	s_delay_alu instid0(VALU_DEP_1) | instskip(SKIP_1) | instid1(VALU_DEP_2)
	v_add_nc_u32_e32 v9, 0x7fff, v7
	v_cmp_o_f32_e32 vcc_lo, v7, v7
	v_lshrrev_b32_e32 v9, 16, v9
	s_wait_xcnt 0x1
	s_delay_alu instid0(VALU_DEP_1)
	v_cndmask_b32_e32 v18, 0x7fc0, v9, vcc_lo
	s_branch .LBB167_2167
.LBB167_2166:
	s_mov_b32 s13, -1
                                        ; implicit-def: $vgpr18
.LBB167_2167:
	s_mov_b32 s16, 0
.LBB167_2168:
	s_delay_alu instid0(SALU_CYCLE_1)
	s_and_b32 vcc_lo, exec_lo, s16
	s_cbranch_vccz .LBB167_2172
; %bb.2169:
	s_cmp_eq_u32 s11, 29
	s_cbranch_scc0 .LBB167_2171
; %bb.2170:
	s_wait_loadcnt 0x0
	global_load_b64 v[18:19], v[16:17], off
	s_mov_b32 s13, 0
	s_mov_b32 s15, -1
	s_mov_b32 s16, 0
	s_wait_loadcnt 0x0
	v_clz_i32_u32_e32 v7, v19
	s_delay_alu instid0(VALU_DEP_1) | instskip(NEXT) | instid1(VALU_DEP_1)
	v_min_u32_e32 v7, 32, v7
	v_lshlrev_b64_e32 v[18:19], v7, v[18:19]
	v_sub_nc_u32_e32 v7, 32, v7
	s_delay_alu instid0(VALU_DEP_2) | instskip(NEXT) | instid1(VALU_DEP_1)
	v_min_u32_e32 v9, 1, v18
	v_or_b32_e32 v9, v19, v9
	s_delay_alu instid0(VALU_DEP_1) | instskip(NEXT) | instid1(VALU_DEP_1)
	v_cvt_f32_u32_e32 v9, v9
	v_ldexp_f32 v7, v9, v7
	s_delay_alu instid0(VALU_DEP_1) | instskip(NEXT) | instid1(VALU_DEP_1)
	v_bfe_u32 v9, v7, 16, 1
	v_add3_u32 v7, v7, v9, 0x7fff
	s_delay_alu instid0(VALU_DEP_1)
	v_lshrrev_b32_e32 v18, 16, v7
	s_branch .LBB167_2173
.LBB167_2171:
	s_mov_b32 s13, -1
                                        ; implicit-def: $vgpr18
.LBB167_2172:
	s_mov_b32 s16, 0
.LBB167_2173:
	s_delay_alu instid0(SALU_CYCLE_1)
	s_and_b32 vcc_lo, exec_lo, s16
	s_cbranch_vccz .LBB167_2191
; %bb.2174:
	s_cmp_lt_i32 s11, 27
	s_cbranch_scc1 .LBB167_2177
; %bb.2175:
	s_cmp_gt_i32 s11, 27
	s_cbranch_scc0 .LBB167_2178
; %bb.2176:
	global_load_b32 v7, v[16:17], off
	s_mov_b32 s15, 0
	s_wait_loadcnt 0x0
	v_cvt_f32_u32_e32 v7, v7
	s_delay_alu instid0(VALU_DEP_1) | instskip(NEXT) | instid1(VALU_DEP_1)
	v_bfe_u32 v9, v7, 16, 1
	v_add3_u32 v7, v7, v9, 0x7fff
	s_wait_xcnt 0x1
	s_delay_alu instid0(VALU_DEP_1)
	v_lshrrev_b32_e32 v18, 16, v7
	s_branch .LBB167_2179
.LBB167_2177:
	s_mov_b32 s15, -1
                                        ; implicit-def: $vgpr18
	s_branch .LBB167_2182
.LBB167_2178:
	s_mov_b32 s15, -1
                                        ; implicit-def: $vgpr18
.LBB167_2179:
	s_delay_alu instid0(SALU_CYCLE_1)
	s_and_not1_b32 vcc_lo, exec_lo, s15
	s_cbranch_vccnz .LBB167_2181
; %bb.2180:
	global_load_u16 v7, v[16:17], off
	s_wait_loadcnt 0x0
	v_cvt_f32_u32_e32 v7, v7
	s_delay_alu instid0(VALU_DEP_1) | instskip(NEXT) | instid1(VALU_DEP_1)
	v_bfe_u32 v9, v7, 16, 1
	v_add3_u32 v7, v7, v9, 0x7fff
	s_wait_xcnt 0x1
	s_delay_alu instid0(VALU_DEP_1)
	v_lshrrev_b32_e32 v18, 16, v7
.LBB167_2181:
	s_mov_b32 s15, 0
.LBB167_2182:
	s_delay_alu instid0(SALU_CYCLE_1)
	s_and_not1_b32 vcc_lo, exec_lo, s15
	s_cbranch_vccnz .LBB167_2190
; %bb.2183:
	global_load_u8 v7, v[16:17], off
	s_mov_b32 s15, 0
	s_mov_b32 s16, exec_lo
	s_wait_loadcnt 0x0
	v_cmpx_lt_i16_e32 0x7f, v7
	s_xor_b32 s16, exec_lo, s16
	s_cbranch_execz .LBB167_2204
; %bb.2184:
	s_mov_b32 s15, -1
	s_mov_b32 s17, exec_lo
	v_cmpx_eq_u16_e32 0x80, v7
; %bb.2185:
	s_xor_b32 s15, exec_lo, -1
; %bb.2186:
	s_or_b32 exec_lo, exec_lo, s17
	s_delay_alu instid0(SALU_CYCLE_1)
	s_and_b32 s15, s15, exec_lo
	s_or_saveexec_b32 s16, s16
	v_mov_b32_e32 v9, 0x7f800001
	s_xor_b32 exec_lo, exec_lo, s16
	s_cbranch_execnz .LBB167_2205
.LBB167_2187:
	s_or_b32 exec_lo, exec_lo, s16
	s_and_saveexec_b32 s16, s15
	s_cbranch_execz .LBB167_2189
.LBB167_2188:
	v_and_b32_e32 v9, 0xffff, v7
	s_delay_alu instid0(VALU_DEP_1) | instskip(SKIP_1) | instid1(VALU_DEP_2)
	v_dual_lshlrev_b32 v7, 24, v7 :: v_dual_bitop2_b32 v11, 7, v9 bitop3:0x40
	v_bfe_u32 v18, v9, 3, 4
	v_and_b32_e32 v7, 0x80000000, v7
	s_delay_alu instid0(VALU_DEP_3) | instskip(NEXT) | instid1(VALU_DEP_3)
	v_clz_i32_u32_e32 v13, v11
	v_cmp_eq_u32_e32 vcc_lo, 0, v18
	s_delay_alu instid0(VALU_DEP_2) | instskip(NEXT) | instid1(VALU_DEP_1)
	v_min_u32_e32 v13, 32, v13
	v_subrev_nc_u32_e32 v15, 28, v13
	v_sub_nc_u32_e32 v13, 29, v13
	s_delay_alu instid0(VALU_DEP_2) | instskip(NEXT) | instid1(VALU_DEP_2)
	v_lshlrev_b32_e32 v9, v15, v9
	v_cndmask_b32_e32 v13, v18, v13, vcc_lo
	s_delay_alu instid0(VALU_DEP_2) | instskip(NEXT) | instid1(VALU_DEP_1)
	v_and_b32_e32 v9, 7, v9
	v_cndmask_b32_e32 v9, v11, v9, vcc_lo
	s_delay_alu instid0(VALU_DEP_3) | instskip(NEXT) | instid1(VALU_DEP_2)
	v_lshl_add_u32 v11, v13, 23, 0x3b800000
	v_lshlrev_b32_e32 v9, 20, v9
	s_delay_alu instid0(VALU_DEP_1)
	v_or3_b32 v9, v7, v11, v9
.LBB167_2189:
	s_or_b32 exec_lo, exec_lo, s16
	s_delay_alu instid0(VALU_DEP_1) | instskip(SKIP_1) | instid1(VALU_DEP_2)
	v_bfe_u32 v7, v9, 16, 1
	v_cmp_o_f32_e32 vcc_lo, v9, v9
	v_add3_u32 v7, v9, v7, 0x7fff
	s_delay_alu instid0(VALU_DEP_1) | instskip(NEXT) | instid1(VALU_DEP_1)
	v_lshrrev_b32_e32 v7, 16, v7
	v_cndmask_b32_e32 v18, 0x7fc0, v7, vcc_lo
.LBB167_2190:
	s_mov_b32 s15, -1
.LBB167_2191:
	s_mov_b32 s16, 0
.LBB167_2192:
	s_delay_alu instid0(SALU_CYCLE_1)
	s_and_b32 vcc_lo, exec_lo, s16
	s_cbranch_vccz .LBB167_2225
; %bb.2193:
	s_cmp_gt_i32 s11, 22
	s_cbranch_scc0 .LBB167_2203
; %bb.2194:
	s_cmp_lt_i32 s11, 24
	s_cbranch_scc1 .LBB167_2206
; %bb.2195:
	s_cmp_gt_i32 s11, 24
	s_cbranch_scc0 .LBB167_2207
; %bb.2196:
	global_load_u8 v7, v[16:17], off
	s_mov_b32 s15, exec_lo
	s_wait_loadcnt 0x0
	v_cmpx_lt_i16_e32 0x7f, v7
	s_xor_b32 s15, exec_lo, s15
	s_cbranch_execz .LBB167_2219
; %bb.2197:
	s_mov_b32 s14, -1
	s_mov_b32 s16, exec_lo
	v_cmpx_eq_u16_e32 0x80, v7
; %bb.2198:
	s_xor_b32 s14, exec_lo, -1
; %bb.2199:
	s_or_b32 exec_lo, exec_lo, s16
	s_delay_alu instid0(SALU_CYCLE_1)
	s_and_b32 s14, s14, exec_lo
	s_or_saveexec_b32 s15, s15
	v_mov_b32_e32 v9, 0x7f800001
	s_xor_b32 exec_lo, exec_lo, s15
	s_cbranch_execnz .LBB167_2220
.LBB167_2200:
	s_or_b32 exec_lo, exec_lo, s15
	s_and_saveexec_b32 s15, s14
	s_cbranch_execz .LBB167_2202
.LBB167_2201:
	v_and_b32_e32 v9, 0xffff, v7
	s_delay_alu instid0(VALU_DEP_1) | instskip(SKIP_1) | instid1(VALU_DEP_2)
	v_dual_lshlrev_b32 v7, 24, v7 :: v_dual_bitop2_b32 v11, 3, v9 bitop3:0x40
	v_bfe_u32 v18, v9, 2, 5
	v_and_b32_e32 v7, 0x80000000, v7
	s_delay_alu instid0(VALU_DEP_3) | instskip(NEXT) | instid1(VALU_DEP_3)
	v_clz_i32_u32_e32 v13, v11
	v_cmp_eq_u32_e32 vcc_lo, 0, v18
	s_delay_alu instid0(VALU_DEP_2) | instskip(NEXT) | instid1(VALU_DEP_1)
	v_min_u32_e32 v13, 32, v13
	v_subrev_nc_u32_e32 v15, 29, v13
	v_sub_nc_u32_e32 v13, 30, v13
	s_delay_alu instid0(VALU_DEP_2) | instskip(NEXT) | instid1(VALU_DEP_2)
	v_lshlrev_b32_e32 v9, v15, v9
	v_cndmask_b32_e32 v13, v18, v13, vcc_lo
	s_delay_alu instid0(VALU_DEP_2) | instskip(NEXT) | instid1(VALU_DEP_1)
	v_and_b32_e32 v9, 3, v9
	v_cndmask_b32_e32 v9, v11, v9, vcc_lo
	s_delay_alu instid0(VALU_DEP_3) | instskip(NEXT) | instid1(VALU_DEP_2)
	v_lshl_add_u32 v11, v13, 23, 0x37800000
	v_lshlrev_b32_e32 v9, 21, v9
	s_delay_alu instid0(VALU_DEP_1)
	v_or3_b32 v9, v7, v11, v9
.LBB167_2202:
	s_or_b32 exec_lo, exec_lo, s15
	s_delay_alu instid0(VALU_DEP_1) | instskip(SKIP_2) | instid1(VALU_DEP_2)
	v_bfe_u32 v7, v9, 16, 1
	v_cmp_o_f32_e32 vcc_lo, v9, v9
	s_mov_b32 s14, 0
	v_add3_u32 v7, v9, v7, 0x7fff
	s_delay_alu instid0(VALU_DEP_1) | instskip(NEXT) | instid1(VALU_DEP_1)
	v_lshrrev_b32_e32 v7, 16, v7
	v_cndmask_b32_e32 v18, 0x7fc0, v7, vcc_lo
	s_branch .LBB167_2208
.LBB167_2203:
	s_mov_b32 s14, -1
                                        ; implicit-def: $vgpr18
	s_branch .LBB167_2214
.LBB167_2204:
	s_or_saveexec_b32 s16, s16
	v_mov_b32_e32 v9, 0x7f800001
	s_xor_b32 exec_lo, exec_lo, s16
	s_cbranch_execz .LBB167_2187
.LBB167_2205:
	v_cmp_ne_u16_e32 vcc_lo, 0, v7
	v_mov_b32_e32 v9, 0
	s_and_not1_b32 s15, s15, exec_lo
	s_and_b32 s17, vcc_lo, exec_lo
	s_delay_alu instid0(SALU_CYCLE_1)
	s_or_b32 s15, s15, s17
	s_or_b32 exec_lo, exec_lo, s16
	s_and_saveexec_b32 s16, s15
	s_cbranch_execnz .LBB167_2188
	s_branch .LBB167_2189
.LBB167_2206:
	s_mov_b32 s14, -1
                                        ; implicit-def: $vgpr18
	s_branch .LBB167_2211
.LBB167_2207:
	s_mov_b32 s14, -1
                                        ; implicit-def: $vgpr18
.LBB167_2208:
	s_delay_alu instid0(SALU_CYCLE_1)
	s_and_b32 vcc_lo, exec_lo, s14
	s_cbranch_vccz .LBB167_2210
; %bb.2209:
	global_load_u8 v7, v[16:17], off
	s_wait_loadcnt 0x0
	v_lshlrev_b32_e32 v7, 24, v7
	s_delay_alu instid0(VALU_DEP_1) | instskip(NEXT) | instid1(VALU_DEP_1)
	v_and_b32_e32 v9, 0x7f000000, v7
	v_clz_i32_u32_e32 v11, v9
	v_add_nc_u32_e32 v15, 0x1000000, v9
	v_cmp_ne_u32_e32 vcc_lo, 0, v9
	s_delay_alu instid0(VALU_DEP_3) | instskip(NEXT) | instid1(VALU_DEP_1)
	v_min_u32_e32 v11, 32, v11
	v_sub_nc_u32_e64 v11, v11, 4 clamp
	s_delay_alu instid0(VALU_DEP_1) | instskip(NEXT) | instid1(VALU_DEP_1)
	v_dual_lshlrev_b32 v13, v11, v9 :: v_dual_lshlrev_b32 v11, 23, v11
	v_lshrrev_b32_e32 v13, 4, v13
	s_delay_alu instid0(VALU_DEP_1) | instskip(SKIP_1) | instid1(VALU_DEP_2)
	v_sub_nc_u32_e32 v11, v13, v11
	v_ashrrev_i32_e32 v13, 8, v15
	v_add_nc_u32_e32 v11, 0x3c000000, v11
	s_delay_alu instid0(VALU_DEP_1) | instskip(NEXT) | instid1(VALU_DEP_1)
	v_and_or_b32 v11, 0x7f800000, v13, v11
	v_cndmask_b32_e32 v9, 0, v11, vcc_lo
	s_delay_alu instid0(VALU_DEP_1) | instskip(SKIP_1) | instid1(VALU_DEP_2)
	v_and_or_b32 v7, 0x80000000, v7, v9
	v_bfe_u32 v9, v9, 16, 1
	v_cmp_o_f32_e32 vcc_lo, v7, v7
	s_delay_alu instid0(VALU_DEP_2) | instskip(NEXT) | instid1(VALU_DEP_1)
	v_add3_u32 v9, v7, v9, 0x7fff
	v_lshrrev_b32_e32 v9, 16, v9
	s_wait_xcnt 0x1
	s_delay_alu instid0(VALU_DEP_1)
	v_cndmask_b32_e32 v18, 0x7fc0, v9, vcc_lo
.LBB167_2210:
	s_mov_b32 s14, 0
.LBB167_2211:
	s_delay_alu instid0(SALU_CYCLE_1)
	s_and_not1_b32 vcc_lo, exec_lo, s14
	s_cbranch_vccnz .LBB167_2213
; %bb.2212:
	global_load_u8 v7, v[16:17], off
	s_wait_loadcnt 0x0
	v_lshlrev_b32_e32 v9, 25, v7
	v_lshlrev_b16 v7, 8, v7
	s_delay_alu instid0(VALU_DEP_1) | instskip(SKIP_1) | instid1(VALU_DEP_2)
	v_and_or_b32 v13, 0x7f00, v7, 0.5
	v_bfe_i32 v7, v7, 0, 16
	v_add_f32_e32 v13, -0.5, v13
	v_lshrrev_b32_e32 v11, 4, v9
	v_cmp_gt_u32_e32 vcc_lo, 0x8000000, v9
	s_delay_alu instid0(VALU_DEP_2) | instskip(NEXT) | instid1(VALU_DEP_1)
	v_or_b32_e32 v11, 0x70000000, v11
	v_mul_f32_e32 v11, 0x7800000, v11
	s_delay_alu instid0(VALU_DEP_1) | instskip(NEXT) | instid1(VALU_DEP_1)
	v_cndmask_b32_e32 v9, v11, v13, vcc_lo
	v_and_or_b32 v7, 0x80000000, v7, v9
	v_bfe_u32 v9, v9, 16, 1
	s_delay_alu instid0(VALU_DEP_2) | instskip(NEXT) | instid1(VALU_DEP_2)
	v_cmp_o_f32_e32 vcc_lo, v7, v7
	v_add3_u32 v9, v7, v9, 0x7fff
	s_delay_alu instid0(VALU_DEP_1) | instskip(SKIP_1) | instid1(VALU_DEP_1)
	v_lshrrev_b32_e32 v9, 16, v9
	s_wait_xcnt 0x1
	v_cndmask_b32_e32 v18, 0x7fc0, v9, vcc_lo
.LBB167_2213:
	s_mov_b32 s14, 0
	s_mov_b32 s15, -1
.LBB167_2214:
	s_and_not1_b32 vcc_lo, exec_lo, s14
	s_mov_b32 s14, 0
	s_cbranch_vccnz .LBB167_2225
; %bb.2215:
	s_cmp_gt_i32 s11, 14
	s_cbranch_scc0 .LBB167_2218
; %bb.2216:
	s_cmp_eq_u32 s11, 15
	s_cbranch_scc0 .LBB167_2221
; %bb.2217:
	s_wait_loadcnt 0x0
	global_load_u16 v18, v[16:17], off
	s_mov_b32 s13, 0
	s_mov_b32 s15, -1
	s_branch .LBB167_2223
.LBB167_2218:
	s_mov_b32 s14, -1
	s_branch .LBB167_2222
.LBB167_2219:
	s_or_saveexec_b32 s15, s15
	v_mov_b32_e32 v9, 0x7f800001
	s_xor_b32 exec_lo, exec_lo, s15
	s_cbranch_execz .LBB167_2200
.LBB167_2220:
	v_cmp_ne_u16_e32 vcc_lo, 0, v7
	v_mov_b32_e32 v9, 0
	s_and_not1_b32 s14, s14, exec_lo
	s_and_b32 s16, vcc_lo, exec_lo
	s_delay_alu instid0(SALU_CYCLE_1)
	s_or_b32 s14, s14, s16
	s_or_b32 exec_lo, exec_lo, s15
	s_and_saveexec_b32 s15, s14
	s_cbranch_execnz .LBB167_2201
	s_branch .LBB167_2202
.LBB167_2221:
	s_mov_b32 s13, -1
.LBB167_2222:
                                        ; implicit-def: $vgpr18
.LBB167_2223:
	s_and_b32 vcc_lo, exec_lo, s14
	s_mov_b32 s14, 0
	s_cbranch_vccz .LBB167_2225
; %bb.2224:
	s_cmp_lg_u32 s11, 11
	s_mov_b32 s14, -1
	s_cselect_b32 s13, -1, 0
.LBB167_2225:
	s_delay_alu instid0(SALU_CYCLE_1)
	s_and_b32 vcc_lo, exec_lo, s13
	s_cbranch_vccnz .LBB167_2309
; %bb.2226:
	s_and_not1_b32 vcc_lo, exec_lo, s14
	s_cbranch_vccnz .LBB167_2228
.LBB167_2227:
	global_load_u8 v7, v[16:17], off
	s_mov_b32 s15, -1
	s_wait_loadcnt 0x0
	v_cmp_ne_u16_e32 vcc_lo, 0, v7
	v_cndmask_b32_e64 v7, 0, 1.0, vcc_lo
	s_wait_xcnt 0x1
	s_delay_alu instid0(VALU_DEP_1)
	v_lshrrev_b32_e32 v18, 16, v7
.LBB167_2228:
	s_mov_b32 s13, 0
.LBB167_2229:
	s_delay_alu instid0(SALU_CYCLE_1)
	s_and_b32 vcc_lo, exec_lo, s13
	s_cbranch_vccz .LBB167_2278
; %bb.2230:
	s_cmp_lt_i32 s11, 5
	s_cbranch_scc1 .LBB167_2235
; %bb.2231:
	s_cmp_lt_i32 s11, 8
	s_cbranch_scc1 .LBB167_2236
	;; [unrolled: 3-line block ×3, first 2 shown]
; %bb.2233:
	s_cmp_gt_i32 s11, 9
	s_cbranch_scc0 .LBB167_2238
; %bb.2234:
	s_wait_loadcnt 0x0
	global_load_b64 v[18:19], v[16:17], off
	s_mov_b32 s13, 0
	s_wait_loadcnt 0x0
	v_cvt_f32_f64_e32 v7, v[18:19]
	s_delay_alu instid0(VALU_DEP_1) | instskip(SKIP_1) | instid1(VALU_DEP_2)
	v_bfe_u32 v9, v7, 16, 1
	v_cmp_o_f32_e32 vcc_lo, v7, v7
	v_add3_u32 v9, v7, v9, 0x7fff
	s_delay_alu instid0(VALU_DEP_1) | instskip(NEXT) | instid1(VALU_DEP_1)
	v_lshrrev_b32_e32 v9, 16, v9
	v_cndmask_b32_e32 v18, 0x7fc0, v9, vcc_lo
	s_branch .LBB167_2239
.LBB167_2235:
	s_mov_b32 s13, -1
                                        ; implicit-def: $vgpr18
	s_branch .LBB167_2257
.LBB167_2236:
	s_mov_b32 s13, -1
                                        ; implicit-def: $vgpr18
	s_branch .LBB167_2245
.LBB167_2237:
	s_mov_b32 s13, -1
                                        ; implicit-def: $vgpr18
	s_branch .LBB167_2242
.LBB167_2238:
	s_mov_b32 s13, -1
                                        ; implicit-def: $vgpr18
.LBB167_2239:
	s_delay_alu instid0(SALU_CYCLE_1)
	s_and_not1_b32 vcc_lo, exec_lo, s13
	s_cbranch_vccnz .LBB167_2241
; %bb.2240:
	global_load_b32 v7, v[16:17], off
	s_wait_loadcnt 0x0
	v_bfe_u32 v9, v7, 16, 1
	v_cmp_o_f32_e32 vcc_lo, v7, v7
	s_delay_alu instid0(VALU_DEP_2) | instskip(NEXT) | instid1(VALU_DEP_1)
	v_add3_u32 v9, v7, v9, 0x7fff
	v_lshrrev_b32_e32 v9, 16, v9
	s_wait_xcnt 0x1
	s_delay_alu instid0(VALU_DEP_1)
	v_cndmask_b32_e32 v18, 0x7fc0, v9, vcc_lo
.LBB167_2241:
	s_mov_b32 s13, 0
.LBB167_2242:
	s_delay_alu instid0(SALU_CYCLE_1)
	s_and_not1_b32 vcc_lo, exec_lo, s13
	s_cbranch_vccnz .LBB167_2244
; %bb.2243:
	global_load_b32 v7, v[16:17], off
	s_wait_loadcnt 0x0
	v_cvt_f32_f16_e32 v9, v7
	v_cmp_o_f16_e32 vcc_lo, v7, v7
	s_delay_alu instid0(VALU_DEP_2) | instskip(NEXT) | instid1(VALU_DEP_1)
	v_bfe_u32 v11, v9, 16, 1
	v_add3_u32 v9, v9, v11, 0x7fff
	s_delay_alu instid0(VALU_DEP_1) | instskip(SKIP_1) | instid1(VALU_DEP_1)
	v_lshrrev_b32_e32 v9, 16, v9
	s_wait_xcnt 0x1
	v_cndmask_b32_e32 v18, 0x7fc0, v9, vcc_lo
.LBB167_2244:
	s_mov_b32 s13, 0
.LBB167_2245:
	s_delay_alu instid0(SALU_CYCLE_1)
	s_and_not1_b32 vcc_lo, exec_lo, s13
	s_cbranch_vccnz .LBB167_2256
; %bb.2246:
	s_cmp_lt_i32 s11, 6
	s_cbranch_scc1 .LBB167_2249
; %bb.2247:
	s_cmp_gt_i32 s11, 6
	s_cbranch_scc0 .LBB167_2250
; %bb.2248:
	s_wait_loadcnt 0x0
	global_load_b64 v[18:19], v[16:17], off
	s_mov_b32 s13, 0
	s_wait_loadcnt 0x0
	v_cvt_f32_f64_e32 v7, v[18:19]
	s_delay_alu instid0(VALU_DEP_1) | instskip(SKIP_1) | instid1(VALU_DEP_2)
	v_bfe_u32 v9, v7, 16, 1
	v_cmp_o_f32_e32 vcc_lo, v7, v7
	v_add3_u32 v9, v7, v9, 0x7fff
	s_delay_alu instid0(VALU_DEP_1) | instskip(NEXT) | instid1(VALU_DEP_1)
	v_lshrrev_b32_e32 v9, 16, v9
	v_cndmask_b32_e32 v18, 0x7fc0, v9, vcc_lo
	s_branch .LBB167_2251
.LBB167_2249:
	s_mov_b32 s13, -1
                                        ; implicit-def: $vgpr18
	s_branch .LBB167_2254
.LBB167_2250:
	s_mov_b32 s13, -1
                                        ; implicit-def: $vgpr18
.LBB167_2251:
	s_delay_alu instid0(SALU_CYCLE_1)
	s_and_not1_b32 vcc_lo, exec_lo, s13
	s_cbranch_vccnz .LBB167_2253
; %bb.2252:
	global_load_b32 v7, v[16:17], off
	s_wait_loadcnt 0x0
	v_bfe_u32 v9, v7, 16, 1
	v_cmp_o_f32_e32 vcc_lo, v7, v7
	s_delay_alu instid0(VALU_DEP_2) | instskip(NEXT) | instid1(VALU_DEP_1)
	v_add3_u32 v9, v7, v9, 0x7fff
	v_lshrrev_b32_e32 v9, 16, v9
	s_wait_xcnt 0x1
	s_delay_alu instid0(VALU_DEP_1)
	v_cndmask_b32_e32 v18, 0x7fc0, v9, vcc_lo
.LBB167_2253:
	s_mov_b32 s13, 0
.LBB167_2254:
	s_delay_alu instid0(SALU_CYCLE_1)
	s_and_not1_b32 vcc_lo, exec_lo, s13
	s_cbranch_vccnz .LBB167_2256
; %bb.2255:
	global_load_u16 v7, v[16:17], off
	s_wait_loadcnt 0x0
	v_cvt_f32_f16_e32 v9, v7
	v_cmp_o_f16_e32 vcc_lo, v7, v7
	s_delay_alu instid0(VALU_DEP_2) | instskip(NEXT) | instid1(VALU_DEP_1)
	v_bfe_u32 v11, v9, 16, 1
	v_add3_u32 v9, v9, v11, 0x7fff
	s_delay_alu instid0(VALU_DEP_1) | instskip(SKIP_1) | instid1(VALU_DEP_1)
	v_lshrrev_b32_e32 v9, 16, v9
	s_wait_xcnt 0x1
	v_cndmask_b32_e32 v18, 0x7fc0, v9, vcc_lo
.LBB167_2256:
	s_mov_b32 s13, 0
.LBB167_2257:
	s_delay_alu instid0(SALU_CYCLE_1)
	s_and_not1_b32 vcc_lo, exec_lo, s13
	s_cbranch_vccnz .LBB167_2277
; %bb.2258:
	s_cmp_lt_i32 s11, 2
	s_cbranch_scc1 .LBB167_2262
; %bb.2259:
	s_cmp_lt_i32 s11, 3
	s_cbranch_scc1 .LBB167_2263
; %bb.2260:
	s_cmp_gt_i32 s11, 3
	s_cbranch_scc0 .LBB167_2264
; %bb.2261:
	s_wait_loadcnt 0x0
	global_load_b64 v[18:19], v[16:17], off
	s_mov_b32 s13, 0
	s_wait_loadcnt 0x0
	v_xor_b32_e32 v7, v18, v19
	v_cls_i32_e32 v9, v19
	s_delay_alu instid0(VALU_DEP_2) | instskip(NEXT) | instid1(VALU_DEP_1)
	v_ashrrev_i32_e32 v7, 31, v7
	v_add_nc_u32_e32 v7, 32, v7
	s_delay_alu instid0(VALU_DEP_1) | instskip(NEXT) | instid1(VALU_DEP_1)
	v_add_min_u32_e64 v7, v9, -1, v7
	v_lshlrev_b64_e32 v[18:19], v7, v[18:19]
	v_sub_nc_u32_e32 v7, 32, v7
	s_delay_alu instid0(VALU_DEP_2) | instskip(NEXT) | instid1(VALU_DEP_1)
	v_min_u32_e32 v9, 1, v18
	v_or_b32_e32 v9, v19, v9
	s_delay_alu instid0(VALU_DEP_1) | instskip(NEXT) | instid1(VALU_DEP_1)
	v_cvt_f32_i32_e32 v9, v9
	v_ldexp_f32 v7, v9, v7
	s_delay_alu instid0(VALU_DEP_1) | instskip(NEXT) | instid1(VALU_DEP_1)
	v_bfe_u32 v9, v7, 16, 1
	v_add3_u32 v7, v7, v9, 0x7fff
	s_delay_alu instid0(VALU_DEP_1)
	v_lshrrev_b32_e32 v18, 16, v7
	s_branch .LBB167_2265
.LBB167_2262:
	s_mov_b32 s13, -1
                                        ; implicit-def: $vgpr18
	s_branch .LBB167_2271
.LBB167_2263:
	s_mov_b32 s13, -1
                                        ; implicit-def: $vgpr18
	s_branch .LBB167_2268
.LBB167_2264:
	s_mov_b32 s13, -1
                                        ; implicit-def: $vgpr18
.LBB167_2265:
	s_delay_alu instid0(SALU_CYCLE_1)
	s_and_not1_b32 vcc_lo, exec_lo, s13
	s_cbranch_vccnz .LBB167_2267
; %bb.2266:
	global_load_b32 v7, v[16:17], off
	s_wait_loadcnt 0x0
	v_cvt_f32_i32_e32 v7, v7
	s_delay_alu instid0(VALU_DEP_1) | instskip(NEXT) | instid1(VALU_DEP_1)
	v_bfe_u32 v9, v7, 16, 1
	v_add3_u32 v7, v7, v9, 0x7fff
	s_wait_xcnt 0x1
	s_delay_alu instid0(VALU_DEP_1)
	v_lshrrev_b32_e32 v18, 16, v7
.LBB167_2267:
	s_mov_b32 s13, 0
.LBB167_2268:
	s_delay_alu instid0(SALU_CYCLE_1)
	s_and_not1_b32 vcc_lo, exec_lo, s13
	s_cbranch_vccnz .LBB167_2270
; %bb.2269:
	global_load_i16 v7, v[16:17], off
	s_wait_loadcnt 0x0
	v_cvt_f32_i32_e32 v7, v7
	s_delay_alu instid0(VALU_DEP_1) | instskip(NEXT) | instid1(VALU_DEP_1)
	v_bfe_u32 v9, v7, 16, 1
	v_add3_u32 v7, v7, v9, 0x7fff
	s_wait_xcnt 0x1
	s_delay_alu instid0(VALU_DEP_1)
	v_lshrrev_b32_e32 v18, 16, v7
.LBB167_2270:
	s_mov_b32 s13, 0
.LBB167_2271:
	s_delay_alu instid0(SALU_CYCLE_1)
	s_and_not1_b32 vcc_lo, exec_lo, s13
	s_cbranch_vccnz .LBB167_2277
; %bb.2272:
	s_cmp_gt_i32 s11, 0
	s_mov_b32 s13, 0
	s_cbranch_scc0 .LBB167_2274
; %bb.2273:
	global_load_i8 v7, v[16:17], off
	s_wait_loadcnt 0x0
	v_cvt_f32_i32_e32 v7, v7
	s_delay_alu instid0(VALU_DEP_1) | instskip(NEXT) | instid1(VALU_DEP_1)
	v_bfe_u32 v9, v7, 16, 1
	v_add3_u32 v7, v7, v9, 0x7fff
	s_wait_xcnt 0x1
	s_delay_alu instid0(VALU_DEP_1)
	v_lshrrev_b32_e32 v18, 16, v7
	s_branch .LBB167_2275
.LBB167_2274:
	s_mov_b32 s13, -1
                                        ; implicit-def: $vgpr18
.LBB167_2275:
	s_delay_alu instid0(SALU_CYCLE_1)
	s_and_not1_b32 vcc_lo, exec_lo, s13
	s_cbranch_vccnz .LBB167_2277
; %bb.2276:
	global_load_u8 v7, v[16:17], off
	s_wait_loadcnt 0x0
	v_cvt_f32_ubyte0_e32 v7, v7
	s_delay_alu instid0(VALU_DEP_1) | instskip(NEXT) | instid1(VALU_DEP_1)
	v_bfe_u32 v9, v7, 16, 1
	v_add3_u32 v7, v7, v9, 0x7fff
	s_wait_xcnt 0x1
	s_delay_alu instid0(VALU_DEP_1)
	v_lshrrev_b32_e32 v18, 16, v7
.LBB167_2277:
	s_mov_b32 s15, -1
.LBB167_2278:
	s_delay_alu instid0(SALU_CYCLE_1)
	s_and_not1_b32 vcc_lo, exec_lo, s15
	s_cbranch_vccnz .LBB167_3280
; %bb.2279:
	s_cmp_lt_i32 s12, 23
	s_cbranch_scc1 .LBB167_2283
; %bb.2280:
	s_cmp_gt_i32 s12, 43
	s_cbranch_scc0 .LBB167_2284
; %bb.2281:
	s_cmp_gt_i32 s12, 45
	s_cbranch_scc0 .LBB167_2285
; %bb.2282:
	s_cmp_lg_u32 s12, 46
	s_mov_b32 s15, 0
	s_mov_b32 s13, -1
	s_cselect_b32 s14, -1, 0
	s_branch .LBB167_2286
.LBB167_2283:
	s_mov_b32 s15, -1
	s_mov_b32 s13, 0
	s_mov_b32 s14, 0
	s_branch .LBB167_2292
.LBB167_2284:
	s_mov_b32 s15, -1
	s_mov_b32 s13, 0
	s_mov_b32 s14, 0
	s_branch .LBB167_2289
.LBB167_2285:
	s_mov_b32 s15, -1
	s_mov_b32 s13, 0
	s_mov_b32 s14, 0
.LBB167_2286:
	s_and_not1_b32 vcc_lo, exec_lo, s15
	s_cbranch_vccnz .LBB167_2288
; %bb.2287:
	s_cmp_eq_u32 s12, 44
	s_cselect_b32 s13, -1, 0
	s_cmp_lg_u32 s12, 44
	s_cselect_b32 s14, -1, 0
.LBB167_2288:
	s_mov_b32 s15, 0
.LBB167_2289:
	s_delay_alu instid0(SALU_CYCLE_1)
	s_and_b32 vcc_lo, exec_lo, s15
	s_cbranch_vccz .LBB167_2291
; %bb.2290:
	s_cmp_lt_i32 s12, 30
	s_cselect_b32 s13, -1, 0
	s_cmp_gt_i32 s12, 29
	s_cselect_b32 s14, -1, 0
.LBB167_2291:
	s_mov_b32 s15, 0
.LBB167_2292:
	s_delay_alu instid0(SALU_CYCLE_1)
	s_and_b32 vcc_lo, exec_lo, s15
	s_cbranch_vccz .LBB167_2297
; %bb.2293:
	s_cmp_gt_i32 s12, 14
	s_mov_b32 s15, -1
	s_cbranch_scc0 .LBB167_2295
; %bb.2294:
	s_cmp_eq_u32 s12, 15
	s_mov_b32 s15, 0
	s_cselect_b32 s13, -1, 0
	s_cmp_lg_u32 s12, 15
	s_cselect_b32 s14, -1, 0
.LBB167_2295:
	s_and_not1_b32 vcc_lo, exec_lo, s15
	s_cbranch_vccnz .LBB167_2297
; %bb.2296:
	s_cmp_lt_i32 s12, 12
	s_cselect_b32 s13, -1, 0
	s_cmp_gt_i32 s12, 11
	s_cselect_b32 s14, -1, 0
.LBB167_2297:
	s_delay_alu instid0(SALU_CYCLE_1)
	s_and_b32 vcc_lo, exec_lo, s14
	s_cbranch_vccnz .LBB167_2310
; %bb.2298:
	s_and_not1_b32 vcc_lo, exec_lo, s13
	s_cbranch_vccnz .LBB167_3280
.LBB167_2299:
	v_mov_b32_e32 v15, 0
	s_cmp_lt_i32 s10, 11
	s_delay_alu instid0(VALU_DEP_1)
	v_add_nc_u64_e32 v[14:15], s[0:1], v[14:15]
	s_cbranch_scc1 .LBB167_2306
; %bb.2300:
	s_cmp_gt_i32 s10, 25
	s_mov_b32 s14, 0
	s_cbranch_scc0 .LBB167_2307
; %bb.2301:
	s_cmp_gt_i32 s10, 28
	s_cbranch_scc0 .LBB167_2308
; %bb.2302:
	s_cmp_gt_i32 s10, 43
	;; [unrolled: 3-line block ×3, first 2 shown]
	s_cbranch_scc0 .LBB167_2314
; %bb.2304:
	s_cmp_eq_u32 s10, 46
	s_mov_b32 s16, 0
	s_cbranch_scc0 .LBB167_2315
; %bb.2305:
	global_load_b32 v16, v[14:15], off
	s_mov_b32 s13, 0
	s_mov_b32 s15, -1
	s_branch .LBB167_2317
.LBB167_2306:
	s_mov_b32 s13, -1
	s_mov_b32 s15, 0
                                        ; implicit-def: $vgpr16
	s_branch .LBB167_2383
.LBB167_2307:
	s_mov_b32 s16, -1
	s_mov_b32 s15, 0
	s_mov_b32 s13, 0
                                        ; implicit-def: $vgpr16
	s_branch .LBB167_2346
.LBB167_2308:
	s_mov_b32 s16, -1
	s_mov_b32 s15, 0
	s_mov_b32 s13, 0
                                        ; implicit-def: $vgpr16
	s_branch .LBB167_2327
.LBB167_2309:
	s_or_b32 s8, s8, exec_lo
	s_trap 2
	s_cbranch_execz .LBB167_2227
	s_branch .LBB167_2228
.LBB167_2310:
	s_or_b32 s8, s8, exec_lo
	s_trap 2
	s_cbranch_execz .LBB167_2299
	s_branch .LBB167_3280
.LBB167_2311:
	s_mov_b32 s16, -1
	s_mov_b32 s15, 0
	s_mov_b32 s13, 0
                                        ; implicit-def: $vgpr16
	s_branch .LBB167_2322
.LBB167_2312:
	s_and_not1_saveexec_b32 s56, s56
	s_cbranch_execz .LBB167_1177
.LBB167_2313:
	v_add_f32_e64 v5, 0x42800000, |v6|
	s_and_not1_b32 s55, s55, exec_lo
	s_delay_alu instid0(VALU_DEP_1) | instskip(NEXT) | instid1(VALU_DEP_1)
	v_and_b32_e32 v5, 0xff, v5
	v_cmp_ne_u32_e32 vcc_lo, 0, v5
	s_and_b32 s57, vcc_lo, exec_lo
	s_delay_alu instid0(SALU_CYCLE_1)
	s_or_b32 s55, s55, s57
	s_or_b32 exec_lo, exec_lo, s56
	v_mov_b32_e32 v7, 0
	s_and_saveexec_b32 s56, s55
	s_cbranch_execnz .LBB167_1178
	s_branch .LBB167_1179
.LBB167_2314:
	s_mov_b32 s16, -1
	s_mov_b32 s15, 0
	s_mov_b32 s13, 0
	s_branch .LBB167_2316
.LBB167_2315:
	s_mov_b32 s13, -1
	s_mov_b32 s15, 0
.LBB167_2316:
                                        ; implicit-def: $vgpr16
.LBB167_2317:
	s_and_b32 vcc_lo, exec_lo, s16
	s_cbranch_vccz .LBB167_2321
; %bb.2318:
	s_cmp_eq_u32 s10, 44
	s_cbranch_scc0 .LBB167_2320
; %bb.2319:
	global_load_u8 v7, v[14:15], off
	s_mov_b32 s13, 0
	s_mov_b32 s15, -1
	s_wait_loadcnt 0x0
	v_lshlrev_b32_e32 v9, 23, v7
	v_cmp_ne_u32_e32 vcc_lo, 0xff, v7
	s_delay_alu instid0(VALU_DEP_2) | instskip(SKIP_1) | instid1(VALU_DEP_2)
	v_cndmask_b32_e32 v9, 0x7f800001, v9, vcc_lo
	v_cmp_ne_u32_e32 vcc_lo, 0, v7
	v_cndmask_b32_e32 v7, 0x400000, v9, vcc_lo
	s_delay_alu instid0(VALU_DEP_1) | instskip(SKIP_1) | instid1(VALU_DEP_2)
	v_add_nc_u32_e32 v9, 0x7fff, v7
	v_cmp_o_f32_e32 vcc_lo, v7, v7
	v_lshrrev_b32_e32 v9, 16, v9
	s_wait_xcnt 0x1
	s_delay_alu instid0(VALU_DEP_1)
	v_cndmask_b32_e32 v16, 0x7fc0, v9, vcc_lo
	s_branch .LBB167_2321
.LBB167_2320:
	s_mov_b32 s13, -1
                                        ; implicit-def: $vgpr16
.LBB167_2321:
	s_mov_b32 s16, 0
.LBB167_2322:
	s_delay_alu instid0(SALU_CYCLE_1)
	s_and_b32 vcc_lo, exec_lo, s16
	s_cbranch_vccz .LBB167_2326
; %bb.2323:
	s_cmp_eq_u32 s10, 29
	s_cbranch_scc0 .LBB167_2325
; %bb.2324:
	s_wait_loadcnt 0x0
	global_load_b64 v[16:17], v[14:15], off
	s_mov_b32 s13, 0
	s_mov_b32 s15, -1
	s_mov_b32 s16, 0
	s_wait_loadcnt 0x0
	v_clz_i32_u32_e32 v7, v17
	s_delay_alu instid0(VALU_DEP_1) | instskip(NEXT) | instid1(VALU_DEP_1)
	v_min_u32_e32 v7, 32, v7
	v_lshlrev_b64_e32 v[16:17], v7, v[16:17]
	v_sub_nc_u32_e32 v7, 32, v7
	s_delay_alu instid0(VALU_DEP_2) | instskip(NEXT) | instid1(VALU_DEP_1)
	v_min_u32_e32 v9, 1, v16
	v_or_b32_e32 v9, v17, v9
	s_delay_alu instid0(VALU_DEP_1) | instskip(NEXT) | instid1(VALU_DEP_1)
	v_cvt_f32_u32_e32 v9, v9
	v_ldexp_f32 v7, v9, v7
	s_delay_alu instid0(VALU_DEP_1) | instskip(NEXT) | instid1(VALU_DEP_1)
	v_bfe_u32 v9, v7, 16, 1
	v_add3_u32 v7, v7, v9, 0x7fff
	s_delay_alu instid0(VALU_DEP_1)
	v_lshrrev_b32_e32 v16, 16, v7
	s_branch .LBB167_2327
.LBB167_2325:
	s_mov_b32 s13, -1
                                        ; implicit-def: $vgpr16
.LBB167_2326:
	s_mov_b32 s16, 0
.LBB167_2327:
	s_delay_alu instid0(SALU_CYCLE_1)
	s_and_b32 vcc_lo, exec_lo, s16
	s_cbranch_vccz .LBB167_2345
; %bb.2328:
	s_cmp_lt_i32 s10, 27
	s_cbranch_scc1 .LBB167_2331
; %bb.2329:
	s_cmp_gt_i32 s10, 27
	s_cbranch_scc0 .LBB167_2332
; %bb.2330:
	global_load_b32 v7, v[14:15], off
	s_mov_b32 s15, 0
	s_wait_loadcnt 0x0
	v_cvt_f32_u32_e32 v7, v7
	s_delay_alu instid0(VALU_DEP_1) | instskip(NEXT) | instid1(VALU_DEP_1)
	v_bfe_u32 v9, v7, 16, 1
	v_add3_u32 v7, v7, v9, 0x7fff
	s_wait_xcnt 0x1
	s_delay_alu instid0(VALU_DEP_1)
	v_lshrrev_b32_e32 v16, 16, v7
	s_branch .LBB167_2333
.LBB167_2331:
	s_mov_b32 s15, -1
                                        ; implicit-def: $vgpr16
	s_branch .LBB167_2336
.LBB167_2332:
	s_mov_b32 s15, -1
                                        ; implicit-def: $vgpr16
.LBB167_2333:
	s_delay_alu instid0(SALU_CYCLE_1)
	s_and_not1_b32 vcc_lo, exec_lo, s15
	s_cbranch_vccnz .LBB167_2335
; %bb.2334:
	global_load_u16 v7, v[14:15], off
	s_wait_loadcnt 0x0
	v_cvt_f32_u32_e32 v7, v7
	s_delay_alu instid0(VALU_DEP_1) | instskip(NEXT) | instid1(VALU_DEP_1)
	v_bfe_u32 v9, v7, 16, 1
	v_add3_u32 v7, v7, v9, 0x7fff
	s_wait_xcnt 0x1
	s_delay_alu instid0(VALU_DEP_1)
	v_lshrrev_b32_e32 v16, 16, v7
.LBB167_2335:
	s_mov_b32 s15, 0
.LBB167_2336:
	s_delay_alu instid0(SALU_CYCLE_1)
	s_and_not1_b32 vcc_lo, exec_lo, s15
	s_cbranch_vccnz .LBB167_2344
; %bb.2337:
	global_load_u8 v7, v[14:15], off
	s_mov_b32 s15, 0
	s_mov_b32 s16, exec_lo
	s_wait_loadcnt 0x0
	v_cmpx_lt_i16_e32 0x7f, v7
	s_xor_b32 s16, exec_lo, s16
	s_cbranch_execz .LBB167_2358
; %bb.2338:
	s_mov_b32 s15, -1
	s_mov_b32 s17, exec_lo
	v_cmpx_eq_u16_e32 0x80, v7
; %bb.2339:
	s_xor_b32 s15, exec_lo, -1
; %bb.2340:
	s_or_b32 exec_lo, exec_lo, s17
	s_delay_alu instid0(SALU_CYCLE_1)
	s_and_b32 s15, s15, exec_lo
	s_or_saveexec_b32 s16, s16
	v_mov_b32_e32 v9, 0x7f800001
	s_xor_b32 exec_lo, exec_lo, s16
	s_cbranch_execnz .LBB167_2359
.LBB167_2341:
	s_or_b32 exec_lo, exec_lo, s16
	s_and_saveexec_b32 s16, s15
	s_cbranch_execz .LBB167_2343
.LBB167_2342:
	v_and_b32_e32 v9, 0xffff, v7
	s_delay_alu instid0(VALU_DEP_1) | instskip(SKIP_1) | instid1(VALU_DEP_2)
	v_dual_lshlrev_b32 v7, 24, v7 :: v_dual_bitop2_b32 v11, 7, v9 bitop3:0x40
	v_bfe_u32 v17, v9, 3, 4
	v_and_b32_e32 v7, 0x80000000, v7
	s_delay_alu instid0(VALU_DEP_3) | instskip(NEXT) | instid1(VALU_DEP_3)
	v_clz_i32_u32_e32 v13, v11
	v_cmp_eq_u32_e32 vcc_lo, 0, v17
	s_delay_alu instid0(VALU_DEP_2) | instskip(NEXT) | instid1(VALU_DEP_1)
	v_min_u32_e32 v13, 32, v13
	v_subrev_nc_u32_e32 v16, 28, v13
	v_sub_nc_u32_e32 v13, 29, v13
	s_delay_alu instid0(VALU_DEP_2) | instskip(NEXT) | instid1(VALU_DEP_2)
	v_lshlrev_b32_e32 v9, v16, v9
	v_cndmask_b32_e32 v13, v17, v13, vcc_lo
	s_delay_alu instid0(VALU_DEP_2) | instskip(NEXT) | instid1(VALU_DEP_1)
	v_and_b32_e32 v9, 7, v9
	v_cndmask_b32_e32 v9, v11, v9, vcc_lo
	s_delay_alu instid0(VALU_DEP_3) | instskip(NEXT) | instid1(VALU_DEP_2)
	v_lshl_add_u32 v11, v13, 23, 0x3b800000
	v_lshlrev_b32_e32 v9, 20, v9
	s_delay_alu instid0(VALU_DEP_1)
	v_or3_b32 v9, v7, v11, v9
.LBB167_2343:
	s_or_b32 exec_lo, exec_lo, s16
	s_delay_alu instid0(VALU_DEP_1) | instskip(SKIP_1) | instid1(VALU_DEP_2)
	v_bfe_u32 v7, v9, 16, 1
	v_cmp_o_f32_e32 vcc_lo, v9, v9
	v_add3_u32 v7, v9, v7, 0x7fff
	s_delay_alu instid0(VALU_DEP_1) | instskip(NEXT) | instid1(VALU_DEP_1)
	v_lshrrev_b32_e32 v7, 16, v7
	v_cndmask_b32_e32 v16, 0x7fc0, v7, vcc_lo
.LBB167_2344:
	s_mov_b32 s15, -1
.LBB167_2345:
	s_mov_b32 s16, 0
.LBB167_2346:
	s_delay_alu instid0(SALU_CYCLE_1)
	s_and_b32 vcc_lo, exec_lo, s16
	s_cbranch_vccz .LBB167_2379
; %bb.2347:
	s_cmp_gt_i32 s10, 22
	s_cbranch_scc0 .LBB167_2357
; %bb.2348:
	s_cmp_lt_i32 s10, 24
	s_cbranch_scc1 .LBB167_2360
; %bb.2349:
	s_cmp_gt_i32 s10, 24
	s_cbranch_scc0 .LBB167_2361
; %bb.2350:
	global_load_u8 v7, v[14:15], off
	s_mov_b32 s15, exec_lo
	s_wait_loadcnt 0x0
	v_cmpx_lt_i16_e32 0x7f, v7
	s_xor_b32 s15, exec_lo, s15
	s_cbranch_execz .LBB167_2373
; %bb.2351:
	s_mov_b32 s14, -1
	s_mov_b32 s16, exec_lo
	v_cmpx_eq_u16_e32 0x80, v7
; %bb.2352:
	s_xor_b32 s14, exec_lo, -1
; %bb.2353:
	s_or_b32 exec_lo, exec_lo, s16
	s_delay_alu instid0(SALU_CYCLE_1)
	s_and_b32 s14, s14, exec_lo
	s_or_saveexec_b32 s15, s15
	v_mov_b32_e32 v9, 0x7f800001
	s_xor_b32 exec_lo, exec_lo, s15
	s_cbranch_execnz .LBB167_2374
.LBB167_2354:
	s_or_b32 exec_lo, exec_lo, s15
	s_and_saveexec_b32 s15, s14
	s_cbranch_execz .LBB167_2356
.LBB167_2355:
	v_and_b32_e32 v9, 0xffff, v7
	s_delay_alu instid0(VALU_DEP_1) | instskip(SKIP_1) | instid1(VALU_DEP_2)
	v_dual_lshlrev_b32 v7, 24, v7 :: v_dual_bitop2_b32 v11, 3, v9 bitop3:0x40
	v_bfe_u32 v17, v9, 2, 5
	v_and_b32_e32 v7, 0x80000000, v7
	s_delay_alu instid0(VALU_DEP_3) | instskip(NEXT) | instid1(VALU_DEP_3)
	v_clz_i32_u32_e32 v13, v11
	v_cmp_eq_u32_e32 vcc_lo, 0, v17
	s_delay_alu instid0(VALU_DEP_2) | instskip(NEXT) | instid1(VALU_DEP_1)
	v_min_u32_e32 v13, 32, v13
	v_subrev_nc_u32_e32 v16, 29, v13
	v_sub_nc_u32_e32 v13, 30, v13
	s_delay_alu instid0(VALU_DEP_2) | instskip(NEXT) | instid1(VALU_DEP_2)
	v_lshlrev_b32_e32 v9, v16, v9
	v_cndmask_b32_e32 v13, v17, v13, vcc_lo
	s_delay_alu instid0(VALU_DEP_2) | instskip(NEXT) | instid1(VALU_DEP_1)
	v_and_b32_e32 v9, 3, v9
	v_cndmask_b32_e32 v9, v11, v9, vcc_lo
	s_delay_alu instid0(VALU_DEP_3) | instskip(NEXT) | instid1(VALU_DEP_2)
	v_lshl_add_u32 v11, v13, 23, 0x37800000
	v_lshlrev_b32_e32 v9, 21, v9
	s_delay_alu instid0(VALU_DEP_1)
	v_or3_b32 v9, v7, v11, v9
.LBB167_2356:
	s_or_b32 exec_lo, exec_lo, s15
	s_delay_alu instid0(VALU_DEP_1) | instskip(SKIP_2) | instid1(VALU_DEP_2)
	v_bfe_u32 v7, v9, 16, 1
	v_cmp_o_f32_e32 vcc_lo, v9, v9
	s_mov_b32 s14, 0
	v_add3_u32 v7, v9, v7, 0x7fff
	s_delay_alu instid0(VALU_DEP_1) | instskip(NEXT) | instid1(VALU_DEP_1)
	v_lshrrev_b32_e32 v7, 16, v7
	v_cndmask_b32_e32 v16, 0x7fc0, v7, vcc_lo
	s_branch .LBB167_2362
.LBB167_2357:
	s_mov_b32 s14, -1
                                        ; implicit-def: $vgpr16
	s_branch .LBB167_2368
.LBB167_2358:
	s_or_saveexec_b32 s16, s16
	v_mov_b32_e32 v9, 0x7f800001
	s_xor_b32 exec_lo, exec_lo, s16
	s_cbranch_execz .LBB167_2341
.LBB167_2359:
	v_cmp_ne_u16_e32 vcc_lo, 0, v7
	v_mov_b32_e32 v9, 0
	s_and_not1_b32 s15, s15, exec_lo
	s_and_b32 s17, vcc_lo, exec_lo
	s_delay_alu instid0(SALU_CYCLE_1)
	s_or_b32 s15, s15, s17
	s_or_b32 exec_lo, exec_lo, s16
	s_and_saveexec_b32 s16, s15
	s_cbranch_execnz .LBB167_2342
	s_branch .LBB167_2343
.LBB167_2360:
	s_mov_b32 s14, -1
                                        ; implicit-def: $vgpr16
	s_branch .LBB167_2365
.LBB167_2361:
	s_mov_b32 s14, -1
                                        ; implicit-def: $vgpr16
.LBB167_2362:
	s_delay_alu instid0(SALU_CYCLE_1)
	s_and_b32 vcc_lo, exec_lo, s14
	s_cbranch_vccz .LBB167_2364
; %bb.2363:
	global_load_u8 v7, v[14:15], off
	s_wait_loadcnt 0x0
	v_lshlrev_b32_e32 v7, 24, v7
	s_delay_alu instid0(VALU_DEP_1) | instskip(NEXT) | instid1(VALU_DEP_1)
	v_and_b32_e32 v9, 0x7f000000, v7
	v_clz_i32_u32_e32 v11, v9
	v_cmp_ne_u32_e32 vcc_lo, 0, v9
	s_wait_xcnt 0x1
	v_add_nc_u32_e32 v16, 0x1000000, v9
	s_delay_alu instid0(VALU_DEP_3) | instskip(NEXT) | instid1(VALU_DEP_1)
	v_min_u32_e32 v11, 32, v11
	v_sub_nc_u32_e64 v11, v11, 4 clamp
	s_delay_alu instid0(VALU_DEP_1) | instskip(NEXT) | instid1(VALU_DEP_1)
	v_dual_lshlrev_b32 v13, v11, v9 :: v_dual_lshlrev_b32 v11, 23, v11
	v_lshrrev_b32_e32 v13, 4, v13
	s_delay_alu instid0(VALU_DEP_1) | instskip(NEXT) | instid1(VALU_DEP_1)
	v_dual_sub_nc_u32 v11, v13, v11 :: v_dual_ashrrev_i32 v13, 8, v16
	v_add_nc_u32_e32 v11, 0x3c000000, v11
	s_delay_alu instid0(VALU_DEP_1) | instskip(NEXT) | instid1(VALU_DEP_1)
	v_and_or_b32 v11, 0x7f800000, v13, v11
	v_cndmask_b32_e32 v9, 0, v11, vcc_lo
	s_delay_alu instid0(VALU_DEP_1) | instskip(SKIP_1) | instid1(VALU_DEP_2)
	v_and_or_b32 v7, 0x80000000, v7, v9
	v_bfe_u32 v9, v9, 16, 1
	v_cmp_o_f32_e32 vcc_lo, v7, v7
	s_delay_alu instid0(VALU_DEP_2) | instskip(NEXT) | instid1(VALU_DEP_1)
	v_add3_u32 v9, v7, v9, 0x7fff
	v_lshrrev_b32_e32 v9, 16, v9
	s_delay_alu instid0(VALU_DEP_1)
	v_cndmask_b32_e32 v16, 0x7fc0, v9, vcc_lo
.LBB167_2364:
	s_mov_b32 s14, 0
.LBB167_2365:
	s_delay_alu instid0(SALU_CYCLE_1)
	s_and_not1_b32 vcc_lo, exec_lo, s14
	s_cbranch_vccnz .LBB167_2367
; %bb.2366:
	global_load_u8 v7, v[14:15], off
	s_wait_loadcnt 0x0
	v_lshlrev_b32_e32 v9, 25, v7
	v_lshlrev_b16 v7, 8, v7
	s_delay_alu instid0(VALU_DEP_1) | instskip(SKIP_1) | instid1(VALU_DEP_2)
	v_and_or_b32 v13, 0x7f00, v7, 0.5
	v_bfe_i32 v7, v7, 0, 16
	v_add_f32_e32 v13, -0.5, v13
	v_lshrrev_b32_e32 v11, 4, v9
	v_cmp_gt_u32_e32 vcc_lo, 0x8000000, v9
	s_delay_alu instid0(VALU_DEP_2) | instskip(NEXT) | instid1(VALU_DEP_1)
	v_or_b32_e32 v11, 0x70000000, v11
	v_mul_f32_e32 v11, 0x7800000, v11
	s_delay_alu instid0(VALU_DEP_1) | instskip(NEXT) | instid1(VALU_DEP_1)
	v_cndmask_b32_e32 v9, v11, v13, vcc_lo
	v_and_or_b32 v7, 0x80000000, v7, v9
	v_bfe_u32 v9, v9, 16, 1
	s_delay_alu instid0(VALU_DEP_2) | instskip(NEXT) | instid1(VALU_DEP_2)
	v_cmp_o_f32_e32 vcc_lo, v7, v7
	v_add3_u32 v9, v7, v9, 0x7fff
	s_delay_alu instid0(VALU_DEP_1) | instskip(SKIP_1) | instid1(VALU_DEP_1)
	v_lshrrev_b32_e32 v9, 16, v9
	s_wait_xcnt 0x1
	v_cndmask_b32_e32 v16, 0x7fc0, v9, vcc_lo
.LBB167_2367:
	s_mov_b32 s14, 0
	s_mov_b32 s15, -1
.LBB167_2368:
	s_and_not1_b32 vcc_lo, exec_lo, s14
	s_mov_b32 s14, 0
	s_cbranch_vccnz .LBB167_2379
; %bb.2369:
	s_cmp_gt_i32 s10, 14
	s_cbranch_scc0 .LBB167_2372
; %bb.2370:
	s_cmp_eq_u32 s10, 15
	s_cbranch_scc0 .LBB167_2375
; %bb.2371:
	s_wait_loadcnt 0x0
	global_load_u16 v16, v[14:15], off
	s_mov_b32 s13, 0
	s_mov_b32 s15, -1
	s_branch .LBB167_2377
.LBB167_2372:
	s_mov_b32 s14, -1
	s_branch .LBB167_2376
.LBB167_2373:
	s_or_saveexec_b32 s15, s15
	v_mov_b32_e32 v9, 0x7f800001
	s_xor_b32 exec_lo, exec_lo, s15
	s_cbranch_execz .LBB167_2354
.LBB167_2374:
	v_cmp_ne_u16_e32 vcc_lo, 0, v7
	v_mov_b32_e32 v9, 0
	s_and_not1_b32 s14, s14, exec_lo
	s_and_b32 s16, vcc_lo, exec_lo
	s_delay_alu instid0(SALU_CYCLE_1)
	s_or_b32 s14, s14, s16
	s_or_b32 exec_lo, exec_lo, s15
	s_and_saveexec_b32 s15, s14
	s_cbranch_execnz .LBB167_2355
	s_branch .LBB167_2356
.LBB167_2375:
	s_mov_b32 s13, -1
.LBB167_2376:
                                        ; implicit-def: $vgpr16
.LBB167_2377:
	s_and_b32 vcc_lo, exec_lo, s14
	s_mov_b32 s14, 0
	s_cbranch_vccz .LBB167_2379
; %bb.2378:
	s_cmp_lg_u32 s10, 11
	s_mov_b32 s14, -1
	s_cselect_b32 s13, -1, 0
.LBB167_2379:
	s_delay_alu instid0(SALU_CYCLE_1)
	s_and_b32 vcc_lo, exec_lo, s13
	s_cbranch_vccnz .LBB167_2444
; %bb.2380:
	s_and_not1_b32 vcc_lo, exec_lo, s14
	s_cbranch_vccnz .LBB167_2382
.LBB167_2381:
	global_load_u8 v7, v[14:15], off
	s_mov_b32 s15, -1
	s_wait_loadcnt 0x0
	v_cmp_ne_u16_e32 vcc_lo, 0, v7
	v_cndmask_b32_e64 v7, 0, 1.0, vcc_lo
	s_wait_xcnt 0x1
	s_delay_alu instid0(VALU_DEP_1)
	v_lshrrev_b32_e32 v16, 16, v7
.LBB167_2382:
	s_mov_b32 s13, 0
.LBB167_2383:
	s_delay_alu instid0(SALU_CYCLE_1)
	s_and_b32 vcc_lo, exec_lo, s13
	s_cbranch_vccz .LBB167_2432
; %bb.2384:
	s_cmp_lt_i32 s10, 5
	s_cbranch_scc1 .LBB167_2389
; %bb.2385:
	s_cmp_lt_i32 s10, 8
	s_cbranch_scc1 .LBB167_2390
; %bb.2386:
	s_cmp_lt_i32 s10, 9
	s_cbranch_scc1 .LBB167_2391
; %bb.2387:
	s_cmp_gt_i32 s10, 9
	s_cbranch_scc0 .LBB167_2392
; %bb.2388:
	s_wait_loadcnt 0x0
	global_load_b64 v[16:17], v[14:15], off
	s_mov_b32 s13, 0
	s_wait_loadcnt 0x0
	v_cvt_f32_f64_e32 v7, v[16:17]
	s_delay_alu instid0(VALU_DEP_1) | instskip(SKIP_1) | instid1(VALU_DEP_2)
	v_bfe_u32 v9, v7, 16, 1
	v_cmp_o_f32_e32 vcc_lo, v7, v7
	v_add3_u32 v9, v7, v9, 0x7fff
	s_delay_alu instid0(VALU_DEP_1) | instskip(NEXT) | instid1(VALU_DEP_1)
	v_lshrrev_b32_e32 v9, 16, v9
	v_cndmask_b32_e32 v16, 0x7fc0, v9, vcc_lo
	s_branch .LBB167_2393
.LBB167_2389:
	s_mov_b32 s13, -1
                                        ; implicit-def: $vgpr16
	s_branch .LBB167_2411
.LBB167_2390:
	s_mov_b32 s13, -1
                                        ; implicit-def: $vgpr16
	s_branch .LBB167_2399
.LBB167_2391:
	s_mov_b32 s13, -1
                                        ; implicit-def: $vgpr16
	s_branch .LBB167_2396
.LBB167_2392:
	s_mov_b32 s13, -1
                                        ; implicit-def: $vgpr16
.LBB167_2393:
	s_delay_alu instid0(SALU_CYCLE_1)
	s_and_not1_b32 vcc_lo, exec_lo, s13
	s_cbranch_vccnz .LBB167_2395
; %bb.2394:
	global_load_b32 v7, v[14:15], off
	s_wait_loadcnt 0x0
	v_bfe_u32 v9, v7, 16, 1
	v_cmp_o_f32_e32 vcc_lo, v7, v7
	s_delay_alu instid0(VALU_DEP_2) | instskip(NEXT) | instid1(VALU_DEP_1)
	v_add3_u32 v9, v7, v9, 0x7fff
	v_lshrrev_b32_e32 v9, 16, v9
	s_wait_xcnt 0x1
	s_delay_alu instid0(VALU_DEP_1)
	v_cndmask_b32_e32 v16, 0x7fc0, v9, vcc_lo
.LBB167_2395:
	s_mov_b32 s13, 0
.LBB167_2396:
	s_delay_alu instid0(SALU_CYCLE_1)
	s_and_not1_b32 vcc_lo, exec_lo, s13
	s_cbranch_vccnz .LBB167_2398
; %bb.2397:
	global_load_b32 v7, v[14:15], off
	s_wait_loadcnt 0x0
	v_cvt_f32_f16_e32 v9, v7
	v_cmp_o_f16_e32 vcc_lo, v7, v7
	s_delay_alu instid0(VALU_DEP_2) | instskip(NEXT) | instid1(VALU_DEP_1)
	v_bfe_u32 v11, v9, 16, 1
	v_add3_u32 v9, v9, v11, 0x7fff
	s_delay_alu instid0(VALU_DEP_1) | instskip(SKIP_1) | instid1(VALU_DEP_1)
	v_lshrrev_b32_e32 v9, 16, v9
	s_wait_xcnt 0x1
	v_cndmask_b32_e32 v16, 0x7fc0, v9, vcc_lo
.LBB167_2398:
	s_mov_b32 s13, 0
.LBB167_2399:
	s_delay_alu instid0(SALU_CYCLE_1)
	s_and_not1_b32 vcc_lo, exec_lo, s13
	s_cbranch_vccnz .LBB167_2410
; %bb.2400:
	s_cmp_lt_i32 s10, 6
	s_cbranch_scc1 .LBB167_2403
; %bb.2401:
	s_cmp_gt_i32 s10, 6
	s_cbranch_scc0 .LBB167_2404
; %bb.2402:
	s_wait_loadcnt 0x0
	global_load_b64 v[16:17], v[14:15], off
	s_mov_b32 s13, 0
	s_wait_loadcnt 0x0
	v_cvt_f32_f64_e32 v7, v[16:17]
	s_delay_alu instid0(VALU_DEP_1) | instskip(SKIP_1) | instid1(VALU_DEP_2)
	v_bfe_u32 v9, v7, 16, 1
	v_cmp_o_f32_e32 vcc_lo, v7, v7
	v_add3_u32 v9, v7, v9, 0x7fff
	s_delay_alu instid0(VALU_DEP_1) | instskip(NEXT) | instid1(VALU_DEP_1)
	v_lshrrev_b32_e32 v9, 16, v9
	v_cndmask_b32_e32 v16, 0x7fc0, v9, vcc_lo
	s_branch .LBB167_2405
.LBB167_2403:
	s_mov_b32 s13, -1
                                        ; implicit-def: $vgpr16
	s_branch .LBB167_2408
.LBB167_2404:
	s_mov_b32 s13, -1
                                        ; implicit-def: $vgpr16
.LBB167_2405:
	s_delay_alu instid0(SALU_CYCLE_1)
	s_and_not1_b32 vcc_lo, exec_lo, s13
	s_cbranch_vccnz .LBB167_2407
; %bb.2406:
	global_load_b32 v7, v[14:15], off
	s_wait_loadcnt 0x0
	v_bfe_u32 v9, v7, 16, 1
	v_cmp_o_f32_e32 vcc_lo, v7, v7
	s_delay_alu instid0(VALU_DEP_2) | instskip(NEXT) | instid1(VALU_DEP_1)
	v_add3_u32 v9, v7, v9, 0x7fff
	v_lshrrev_b32_e32 v9, 16, v9
	s_wait_xcnt 0x1
	s_delay_alu instid0(VALU_DEP_1)
	v_cndmask_b32_e32 v16, 0x7fc0, v9, vcc_lo
.LBB167_2407:
	s_mov_b32 s13, 0
.LBB167_2408:
	s_delay_alu instid0(SALU_CYCLE_1)
	s_and_not1_b32 vcc_lo, exec_lo, s13
	s_cbranch_vccnz .LBB167_2410
; %bb.2409:
	global_load_u16 v7, v[14:15], off
	s_wait_loadcnt 0x0
	v_cvt_f32_f16_e32 v9, v7
	v_cmp_o_f16_e32 vcc_lo, v7, v7
	s_delay_alu instid0(VALU_DEP_2) | instskip(NEXT) | instid1(VALU_DEP_1)
	v_bfe_u32 v11, v9, 16, 1
	v_add3_u32 v9, v9, v11, 0x7fff
	s_delay_alu instid0(VALU_DEP_1) | instskip(SKIP_1) | instid1(VALU_DEP_1)
	v_lshrrev_b32_e32 v9, 16, v9
	s_wait_xcnt 0x1
	v_cndmask_b32_e32 v16, 0x7fc0, v9, vcc_lo
.LBB167_2410:
	s_mov_b32 s13, 0
.LBB167_2411:
	s_delay_alu instid0(SALU_CYCLE_1)
	s_and_not1_b32 vcc_lo, exec_lo, s13
	s_cbranch_vccnz .LBB167_2431
; %bb.2412:
	s_cmp_lt_i32 s10, 2
	s_cbranch_scc1 .LBB167_2416
; %bb.2413:
	s_cmp_lt_i32 s10, 3
	s_cbranch_scc1 .LBB167_2417
; %bb.2414:
	s_cmp_gt_i32 s10, 3
	s_cbranch_scc0 .LBB167_2418
; %bb.2415:
	s_wait_loadcnt 0x0
	global_load_b64 v[16:17], v[14:15], off
	s_mov_b32 s13, 0
	s_wait_loadcnt 0x0
	v_xor_b32_e32 v7, v16, v17
	v_cls_i32_e32 v9, v17
	s_delay_alu instid0(VALU_DEP_2) | instskip(NEXT) | instid1(VALU_DEP_1)
	v_ashrrev_i32_e32 v7, 31, v7
	v_add_nc_u32_e32 v7, 32, v7
	s_delay_alu instid0(VALU_DEP_1) | instskip(NEXT) | instid1(VALU_DEP_1)
	v_add_min_u32_e64 v7, v9, -1, v7
	v_lshlrev_b64_e32 v[16:17], v7, v[16:17]
	v_sub_nc_u32_e32 v7, 32, v7
	s_delay_alu instid0(VALU_DEP_2) | instskip(NEXT) | instid1(VALU_DEP_1)
	v_min_u32_e32 v9, 1, v16
	v_or_b32_e32 v9, v17, v9
	s_delay_alu instid0(VALU_DEP_1) | instskip(NEXT) | instid1(VALU_DEP_1)
	v_cvt_f32_i32_e32 v9, v9
	v_ldexp_f32 v7, v9, v7
	s_delay_alu instid0(VALU_DEP_1) | instskip(NEXT) | instid1(VALU_DEP_1)
	v_bfe_u32 v9, v7, 16, 1
	v_add3_u32 v7, v7, v9, 0x7fff
	s_delay_alu instid0(VALU_DEP_1)
	v_lshrrev_b32_e32 v16, 16, v7
	s_branch .LBB167_2419
.LBB167_2416:
	s_mov_b32 s13, -1
                                        ; implicit-def: $vgpr16
	s_branch .LBB167_2425
.LBB167_2417:
	s_mov_b32 s13, -1
                                        ; implicit-def: $vgpr16
	s_branch .LBB167_2422
.LBB167_2418:
	s_mov_b32 s13, -1
                                        ; implicit-def: $vgpr16
.LBB167_2419:
	s_delay_alu instid0(SALU_CYCLE_1)
	s_and_not1_b32 vcc_lo, exec_lo, s13
	s_cbranch_vccnz .LBB167_2421
; %bb.2420:
	global_load_b32 v7, v[14:15], off
	s_wait_loadcnt 0x0
	v_cvt_f32_i32_e32 v7, v7
	s_delay_alu instid0(VALU_DEP_1) | instskip(NEXT) | instid1(VALU_DEP_1)
	v_bfe_u32 v9, v7, 16, 1
	v_add3_u32 v7, v7, v9, 0x7fff
	s_wait_xcnt 0x1
	s_delay_alu instid0(VALU_DEP_1)
	v_lshrrev_b32_e32 v16, 16, v7
.LBB167_2421:
	s_mov_b32 s13, 0
.LBB167_2422:
	s_delay_alu instid0(SALU_CYCLE_1)
	s_and_not1_b32 vcc_lo, exec_lo, s13
	s_cbranch_vccnz .LBB167_2424
; %bb.2423:
	global_load_i16 v7, v[14:15], off
	s_wait_loadcnt 0x0
	v_cvt_f32_i32_e32 v7, v7
	s_delay_alu instid0(VALU_DEP_1) | instskip(NEXT) | instid1(VALU_DEP_1)
	v_bfe_u32 v9, v7, 16, 1
	v_add3_u32 v7, v7, v9, 0x7fff
	s_wait_xcnt 0x1
	s_delay_alu instid0(VALU_DEP_1)
	v_lshrrev_b32_e32 v16, 16, v7
.LBB167_2424:
	s_mov_b32 s13, 0
.LBB167_2425:
	s_delay_alu instid0(SALU_CYCLE_1)
	s_and_not1_b32 vcc_lo, exec_lo, s13
	s_cbranch_vccnz .LBB167_2431
; %bb.2426:
	s_cmp_gt_i32 s10, 0
	s_mov_b32 s13, 0
	s_cbranch_scc0 .LBB167_2428
; %bb.2427:
	global_load_i8 v7, v[14:15], off
	s_wait_loadcnt 0x0
	v_cvt_f32_i32_e32 v7, v7
	s_delay_alu instid0(VALU_DEP_1) | instskip(NEXT) | instid1(VALU_DEP_1)
	v_bfe_u32 v9, v7, 16, 1
	v_add3_u32 v7, v7, v9, 0x7fff
	s_wait_xcnt 0x1
	s_delay_alu instid0(VALU_DEP_1)
	v_lshrrev_b32_e32 v16, 16, v7
	s_branch .LBB167_2429
.LBB167_2428:
	s_mov_b32 s13, -1
                                        ; implicit-def: $vgpr16
.LBB167_2429:
	s_delay_alu instid0(SALU_CYCLE_1)
	s_and_not1_b32 vcc_lo, exec_lo, s13
	s_cbranch_vccnz .LBB167_2431
; %bb.2430:
	global_load_u8 v7, v[14:15], off
	s_wait_loadcnt 0x0
	v_cvt_f32_ubyte0_e32 v7, v7
	s_delay_alu instid0(VALU_DEP_1) | instskip(NEXT) | instid1(VALU_DEP_1)
	v_bfe_u32 v9, v7, 16, 1
	v_add3_u32 v7, v7, v9, 0x7fff
	s_wait_xcnt 0x1
	s_delay_alu instid0(VALU_DEP_1)
	v_lshrrev_b32_e32 v16, 16, v7
.LBB167_2431:
	s_mov_b32 s15, -1
.LBB167_2432:
	s_delay_alu instid0(SALU_CYCLE_1)
	s_and_not1_b32 vcc_lo, exec_lo, s15
	s_cbranch_vccnz .LBB167_3280
; %bb.2433:
	v_mov_b32_e32 v13, 0
	s_cmp_lt_i32 s11, 11
	s_delay_alu instid0(VALU_DEP_1)
	v_add_nc_u64_e32 v[12:13], s[4:5], v[12:13]
	s_cbranch_scc1 .LBB167_2440
; %bb.2434:
	s_cmp_gt_i32 s11, 25
	s_mov_b32 s14, 0
	s_cbranch_scc0 .LBB167_2441
; %bb.2435:
	s_cmp_gt_i32 s11, 28
	s_cbranch_scc0 .LBB167_2442
; %bb.2436:
	s_cmp_gt_i32 s11, 43
	;; [unrolled: 3-line block ×3, first 2 shown]
	s_cbranch_scc0 .LBB167_2445
; %bb.2438:
	s_cmp_eq_u32 s11, 46
	s_mov_b32 s16, 0
	s_cbranch_scc0 .LBB167_2446
; %bb.2439:
	global_load_b32 v14, v[12:13], off
	s_mov_b32 s13, 0
	s_mov_b32 s15, -1
	s_branch .LBB167_2448
.LBB167_2440:
	s_mov_b32 s13, -1
	s_mov_b32 s15, 0
                                        ; implicit-def: $vgpr14
	s_branch .LBB167_2514
.LBB167_2441:
	s_mov_b32 s16, -1
	s_mov_b32 s15, 0
	s_mov_b32 s13, 0
                                        ; implicit-def: $vgpr14
	s_branch .LBB167_2477
.LBB167_2442:
	s_mov_b32 s16, -1
	s_mov_b32 s15, 0
	s_mov_b32 s13, 0
                                        ; implicit-def: $vgpr14
	s_branch .LBB167_2458
.LBB167_2443:
	s_mov_b32 s16, -1
	s_mov_b32 s15, 0
	s_mov_b32 s13, 0
                                        ; implicit-def: $vgpr14
	s_branch .LBB167_2453
.LBB167_2444:
	s_or_b32 s8, s8, exec_lo
	s_trap 2
	s_cbranch_execz .LBB167_2381
	s_branch .LBB167_2382
.LBB167_2445:
	s_mov_b32 s16, -1
	s_mov_b32 s15, 0
	s_mov_b32 s13, 0
	s_branch .LBB167_2447
.LBB167_2446:
	s_mov_b32 s13, -1
	s_mov_b32 s15, 0
.LBB167_2447:
                                        ; implicit-def: $vgpr14
.LBB167_2448:
	s_and_b32 vcc_lo, exec_lo, s16
	s_cbranch_vccz .LBB167_2452
; %bb.2449:
	s_cmp_eq_u32 s11, 44
	s_cbranch_scc0 .LBB167_2451
; %bb.2450:
	global_load_u8 v7, v[12:13], off
	s_mov_b32 s13, 0
	s_mov_b32 s15, -1
	s_wait_loadcnt 0x0
	v_lshlrev_b32_e32 v9, 23, v7
	v_cmp_ne_u32_e32 vcc_lo, 0xff, v7
	s_delay_alu instid0(VALU_DEP_2) | instskip(SKIP_1) | instid1(VALU_DEP_2)
	v_cndmask_b32_e32 v9, 0x7f800001, v9, vcc_lo
	v_cmp_ne_u32_e32 vcc_lo, 0, v7
	v_cndmask_b32_e32 v7, 0x400000, v9, vcc_lo
	s_delay_alu instid0(VALU_DEP_1) | instskip(SKIP_1) | instid1(VALU_DEP_2)
	v_add_nc_u32_e32 v9, 0x7fff, v7
	v_cmp_o_f32_e32 vcc_lo, v7, v7
	v_lshrrev_b32_e32 v9, 16, v9
	s_wait_xcnt 0x1
	s_delay_alu instid0(VALU_DEP_1)
	v_cndmask_b32_e32 v14, 0x7fc0, v9, vcc_lo
	s_branch .LBB167_2452
.LBB167_2451:
	s_mov_b32 s13, -1
                                        ; implicit-def: $vgpr14
.LBB167_2452:
	s_mov_b32 s16, 0
.LBB167_2453:
	s_delay_alu instid0(SALU_CYCLE_1)
	s_and_b32 vcc_lo, exec_lo, s16
	s_cbranch_vccz .LBB167_2457
; %bb.2454:
	s_cmp_eq_u32 s11, 29
	s_cbranch_scc0 .LBB167_2456
; %bb.2455:
	s_wait_loadcnt 0x0
	global_load_b64 v[14:15], v[12:13], off
	s_mov_b32 s13, 0
	s_mov_b32 s15, -1
	s_mov_b32 s16, 0
	s_wait_loadcnt 0x0
	v_clz_i32_u32_e32 v7, v15
	s_delay_alu instid0(VALU_DEP_1) | instskip(NEXT) | instid1(VALU_DEP_1)
	v_min_u32_e32 v7, 32, v7
	v_lshlrev_b64_e32 v[14:15], v7, v[14:15]
	v_sub_nc_u32_e32 v7, 32, v7
	s_delay_alu instid0(VALU_DEP_2) | instskip(NEXT) | instid1(VALU_DEP_1)
	v_min_u32_e32 v9, 1, v14
	v_or_b32_e32 v9, v15, v9
	s_delay_alu instid0(VALU_DEP_1) | instskip(NEXT) | instid1(VALU_DEP_1)
	v_cvt_f32_u32_e32 v9, v9
	v_ldexp_f32 v7, v9, v7
	s_delay_alu instid0(VALU_DEP_1) | instskip(NEXT) | instid1(VALU_DEP_1)
	v_bfe_u32 v9, v7, 16, 1
	v_add3_u32 v7, v7, v9, 0x7fff
	s_delay_alu instid0(VALU_DEP_1)
	v_lshrrev_b32_e32 v14, 16, v7
	s_branch .LBB167_2458
.LBB167_2456:
	s_mov_b32 s13, -1
                                        ; implicit-def: $vgpr14
.LBB167_2457:
	s_mov_b32 s16, 0
.LBB167_2458:
	s_delay_alu instid0(SALU_CYCLE_1)
	s_and_b32 vcc_lo, exec_lo, s16
	s_cbranch_vccz .LBB167_2476
; %bb.2459:
	s_cmp_lt_i32 s11, 27
	s_cbranch_scc1 .LBB167_2462
; %bb.2460:
	s_cmp_gt_i32 s11, 27
	s_cbranch_scc0 .LBB167_2463
; %bb.2461:
	global_load_b32 v7, v[12:13], off
	s_mov_b32 s15, 0
	s_wait_loadcnt 0x0
	v_cvt_f32_u32_e32 v7, v7
	s_delay_alu instid0(VALU_DEP_1) | instskip(NEXT) | instid1(VALU_DEP_1)
	v_bfe_u32 v9, v7, 16, 1
	v_add3_u32 v7, v7, v9, 0x7fff
	s_wait_xcnt 0x1
	s_delay_alu instid0(VALU_DEP_1)
	v_lshrrev_b32_e32 v14, 16, v7
	s_branch .LBB167_2464
.LBB167_2462:
	s_mov_b32 s15, -1
                                        ; implicit-def: $vgpr14
	s_branch .LBB167_2467
.LBB167_2463:
	s_mov_b32 s15, -1
                                        ; implicit-def: $vgpr14
.LBB167_2464:
	s_delay_alu instid0(SALU_CYCLE_1)
	s_and_not1_b32 vcc_lo, exec_lo, s15
	s_cbranch_vccnz .LBB167_2466
; %bb.2465:
	global_load_u16 v7, v[12:13], off
	s_wait_loadcnt 0x0
	v_cvt_f32_u32_e32 v7, v7
	s_delay_alu instid0(VALU_DEP_1) | instskip(NEXT) | instid1(VALU_DEP_1)
	v_bfe_u32 v9, v7, 16, 1
	v_add3_u32 v7, v7, v9, 0x7fff
	s_wait_xcnt 0x1
	s_delay_alu instid0(VALU_DEP_1)
	v_lshrrev_b32_e32 v14, 16, v7
.LBB167_2466:
	s_mov_b32 s15, 0
.LBB167_2467:
	s_delay_alu instid0(SALU_CYCLE_1)
	s_and_not1_b32 vcc_lo, exec_lo, s15
	s_cbranch_vccnz .LBB167_2475
; %bb.2468:
	global_load_u8 v7, v[12:13], off
	s_mov_b32 s15, 0
	s_mov_b32 s16, exec_lo
	s_wait_loadcnt 0x0
	v_cmpx_lt_i16_e32 0x7f, v7
	s_xor_b32 s16, exec_lo, s16
	s_cbranch_execz .LBB167_2489
; %bb.2469:
	s_mov_b32 s15, -1
	s_mov_b32 s17, exec_lo
	v_cmpx_eq_u16_e32 0x80, v7
; %bb.2470:
	s_xor_b32 s15, exec_lo, -1
; %bb.2471:
	s_or_b32 exec_lo, exec_lo, s17
	s_delay_alu instid0(SALU_CYCLE_1)
	s_and_b32 s15, s15, exec_lo
	s_or_saveexec_b32 s16, s16
	v_mov_b32_e32 v9, 0x7f800001
	s_xor_b32 exec_lo, exec_lo, s16
	s_cbranch_execnz .LBB167_2490
.LBB167_2472:
	s_or_b32 exec_lo, exec_lo, s16
	s_and_saveexec_b32 s16, s15
	s_cbranch_execz .LBB167_2474
.LBB167_2473:
	v_and_b32_e32 v9, 0xffff, v7
	s_delay_alu instid0(VALU_DEP_1) | instskip(SKIP_1) | instid1(VALU_DEP_2)
	v_and_b32_e32 v11, 7, v9
	v_bfe_u32 v17, v9, 3, 4
	v_clz_i32_u32_e32 v14, v11
	s_delay_alu instid0(VALU_DEP_2) | instskip(NEXT) | instid1(VALU_DEP_2)
	v_cmp_eq_u32_e32 vcc_lo, 0, v17
	v_min_u32_e32 v14, 32, v14
	s_delay_alu instid0(VALU_DEP_1) | instskip(NEXT) | instid1(VALU_DEP_1)
	v_subrev_nc_u32_e32 v15, 28, v14
	v_dual_lshlrev_b32 v9, v15, v9 :: v_dual_sub_nc_u32 v14, 29, v14
	s_delay_alu instid0(VALU_DEP_1) | instskip(NEXT) | instid1(VALU_DEP_1)
	v_dual_lshlrev_b32 v7, 24, v7 :: v_dual_bitop2_b32 v9, 7, v9 bitop3:0x40
	v_dual_cndmask_b32 v14, v17, v14 :: v_dual_cndmask_b32 v9, v11, v9
	s_delay_alu instid0(VALU_DEP_2) | instskip(NEXT) | instid1(VALU_DEP_2)
	v_and_b32_e32 v7, 0x80000000, v7
	v_lshl_add_u32 v11, v14, 23, 0x3b800000
	s_delay_alu instid0(VALU_DEP_3) | instskip(NEXT) | instid1(VALU_DEP_1)
	v_lshlrev_b32_e32 v9, 20, v9
	v_or3_b32 v9, v7, v11, v9
.LBB167_2474:
	s_or_b32 exec_lo, exec_lo, s16
	s_delay_alu instid0(VALU_DEP_1) | instskip(SKIP_1) | instid1(VALU_DEP_2)
	v_bfe_u32 v7, v9, 16, 1
	v_cmp_o_f32_e32 vcc_lo, v9, v9
	v_add3_u32 v7, v9, v7, 0x7fff
	s_delay_alu instid0(VALU_DEP_1) | instskip(NEXT) | instid1(VALU_DEP_1)
	v_lshrrev_b32_e32 v7, 16, v7
	v_cndmask_b32_e32 v14, 0x7fc0, v7, vcc_lo
.LBB167_2475:
	s_mov_b32 s15, -1
.LBB167_2476:
	s_mov_b32 s16, 0
.LBB167_2477:
	s_delay_alu instid0(SALU_CYCLE_1)
	s_and_b32 vcc_lo, exec_lo, s16
	s_cbranch_vccz .LBB167_2510
; %bb.2478:
	s_cmp_gt_i32 s11, 22
	s_cbranch_scc0 .LBB167_2488
; %bb.2479:
	s_cmp_lt_i32 s11, 24
	s_cbranch_scc1 .LBB167_2491
; %bb.2480:
	s_cmp_gt_i32 s11, 24
	s_cbranch_scc0 .LBB167_2492
; %bb.2481:
	global_load_u8 v7, v[12:13], off
	s_mov_b32 s15, exec_lo
	s_wait_loadcnt 0x0
	v_cmpx_lt_i16_e32 0x7f, v7
	s_xor_b32 s15, exec_lo, s15
	s_cbranch_execz .LBB167_2504
; %bb.2482:
	s_mov_b32 s14, -1
	s_mov_b32 s16, exec_lo
	v_cmpx_eq_u16_e32 0x80, v7
; %bb.2483:
	s_xor_b32 s14, exec_lo, -1
; %bb.2484:
	s_or_b32 exec_lo, exec_lo, s16
	s_delay_alu instid0(SALU_CYCLE_1)
	s_and_b32 s14, s14, exec_lo
	s_or_saveexec_b32 s15, s15
	v_mov_b32_e32 v9, 0x7f800001
	s_xor_b32 exec_lo, exec_lo, s15
	s_cbranch_execnz .LBB167_2505
.LBB167_2485:
	s_or_b32 exec_lo, exec_lo, s15
	s_and_saveexec_b32 s15, s14
	s_cbranch_execz .LBB167_2487
.LBB167_2486:
	v_and_b32_e32 v9, 0xffff, v7
	s_delay_alu instid0(VALU_DEP_1) | instskip(SKIP_1) | instid1(VALU_DEP_2)
	v_and_b32_e32 v11, 3, v9
	v_bfe_u32 v17, v9, 2, 5
	v_clz_i32_u32_e32 v14, v11
	s_delay_alu instid0(VALU_DEP_2) | instskip(NEXT) | instid1(VALU_DEP_2)
	v_cmp_eq_u32_e32 vcc_lo, 0, v17
	v_min_u32_e32 v14, 32, v14
	s_delay_alu instid0(VALU_DEP_1) | instskip(NEXT) | instid1(VALU_DEP_1)
	v_subrev_nc_u32_e32 v15, 29, v14
	v_dual_lshlrev_b32 v9, v15, v9 :: v_dual_sub_nc_u32 v14, 30, v14
	s_delay_alu instid0(VALU_DEP_1) | instskip(NEXT) | instid1(VALU_DEP_1)
	v_dual_lshlrev_b32 v7, 24, v7 :: v_dual_bitop2_b32 v9, 3, v9 bitop3:0x40
	v_dual_cndmask_b32 v14, v17, v14 :: v_dual_cndmask_b32 v9, v11, v9
	s_delay_alu instid0(VALU_DEP_2) | instskip(NEXT) | instid1(VALU_DEP_2)
	v_and_b32_e32 v7, 0x80000000, v7
	v_lshl_add_u32 v11, v14, 23, 0x37800000
	s_delay_alu instid0(VALU_DEP_3) | instskip(NEXT) | instid1(VALU_DEP_1)
	v_lshlrev_b32_e32 v9, 21, v9
	v_or3_b32 v9, v7, v11, v9
.LBB167_2487:
	s_or_b32 exec_lo, exec_lo, s15
	s_delay_alu instid0(VALU_DEP_1) | instskip(SKIP_2) | instid1(VALU_DEP_2)
	v_bfe_u32 v7, v9, 16, 1
	v_cmp_o_f32_e32 vcc_lo, v9, v9
	s_mov_b32 s14, 0
	v_add3_u32 v7, v9, v7, 0x7fff
	s_delay_alu instid0(VALU_DEP_1) | instskip(NEXT) | instid1(VALU_DEP_1)
	v_lshrrev_b32_e32 v7, 16, v7
	v_cndmask_b32_e32 v14, 0x7fc0, v7, vcc_lo
	s_branch .LBB167_2493
.LBB167_2488:
	s_mov_b32 s14, -1
                                        ; implicit-def: $vgpr14
	s_branch .LBB167_2499
.LBB167_2489:
	s_or_saveexec_b32 s16, s16
	v_mov_b32_e32 v9, 0x7f800001
	s_xor_b32 exec_lo, exec_lo, s16
	s_cbranch_execz .LBB167_2472
.LBB167_2490:
	v_cmp_ne_u16_e32 vcc_lo, 0, v7
	v_mov_b32_e32 v9, 0
	s_and_not1_b32 s15, s15, exec_lo
	s_and_b32 s17, vcc_lo, exec_lo
	s_delay_alu instid0(SALU_CYCLE_1)
	s_or_b32 s15, s15, s17
	s_or_b32 exec_lo, exec_lo, s16
	s_and_saveexec_b32 s16, s15
	s_cbranch_execnz .LBB167_2473
	s_branch .LBB167_2474
.LBB167_2491:
	s_mov_b32 s14, -1
                                        ; implicit-def: $vgpr14
	s_branch .LBB167_2496
.LBB167_2492:
	s_mov_b32 s14, -1
                                        ; implicit-def: $vgpr14
.LBB167_2493:
	s_delay_alu instid0(SALU_CYCLE_1)
	s_and_b32 vcc_lo, exec_lo, s14
	s_cbranch_vccz .LBB167_2495
; %bb.2494:
	global_load_u8 v7, v[12:13], off
	s_wait_loadcnt 0x0
	v_lshlrev_b32_e32 v7, 24, v7
	s_delay_alu instid0(VALU_DEP_1) | instskip(NEXT) | instid1(VALU_DEP_1)
	v_and_b32_e32 v9, 0x7f000000, v7
	v_clz_i32_u32_e32 v11, v9
	s_wait_xcnt 0x1
	v_add_nc_u32_e32 v15, 0x1000000, v9
	v_cmp_ne_u32_e32 vcc_lo, 0, v9
	s_delay_alu instid0(VALU_DEP_3) | instskip(NEXT) | instid1(VALU_DEP_1)
	v_min_u32_e32 v11, 32, v11
	v_sub_nc_u32_e64 v11, v11, 4 clamp
	s_delay_alu instid0(VALU_DEP_1) | instskip(NEXT) | instid1(VALU_DEP_1)
	v_dual_lshlrev_b32 v14, v11, v9 :: v_dual_lshlrev_b32 v11, 23, v11
	v_lshrrev_b32_e32 v14, 4, v14
	s_delay_alu instid0(VALU_DEP_1) | instskip(SKIP_1) | instid1(VALU_DEP_2)
	v_sub_nc_u32_e32 v11, v14, v11
	v_ashrrev_i32_e32 v14, 8, v15
	v_add_nc_u32_e32 v11, 0x3c000000, v11
	s_delay_alu instid0(VALU_DEP_1) | instskip(NEXT) | instid1(VALU_DEP_1)
	v_and_or_b32 v11, 0x7f800000, v14, v11
	v_cndmask_b32_e32 v9, 0, v11, vcc_lo
	s_delay_alu instid0(VALU_DEP_1) | instskip(SKIP_1) | instid1(VALU_DEP_2)
	v_and_or_b32 v7, 0x80000000, v7, v9
	v_bfe_u32 v9, v9, 16, 1
	v_cmp_o_f32_e32 vcc_lo, v7, v7
	s_delay_alu instid0(VALU_DEP_2) | instskip(NEXT) | instid1(VALU_DEP_1)
	v_add3_u32 v9, v7, v9, 0x7fff
	v_lshrrev_b32_e32 v9, 16, v9
	s_delay_alu instid0(VALU_DEP_1)
	v_cndmask_b32_e32 v14, 0x7fc0, v9, vcc_lo
.LBB167_2495:
	s_mov_b32 s14, 0
.LBB167_2496:
	s_delay_alu instid0(SALU_CYCLE_1)
	s_and_not1_b32 vcc_lo, exec_lo, s14
	s_cbranch_vccnz .LBB167_2498
; %bb.2497:
	global_load_u8 v7, v[12:13], off
	s_wait_loadcnt 0x0
	v_lshlrev_b32_e32 v9, 25, v7
	v_lshlrev_b16 v7, 8, v7
	s_wait_xcnt 0x1
	s_delay_alu instid0(VALU_DEP_1) | instskip(SKIP_1) | instid1(VALU_DEP_2)
	v_and_or_b32 v14, 0x7f00, v7, 0.5
	v_bfe_i32 v7, v7, 0, 16
	v_dual_add_f32 v14, -0.5, v14 :: v_dual_lshrrev_b32 v11, 4, v9
	v_cmp_gt_u32_e32 vcc_lo, 0x8000000, v9
	s_delay_alu instid0(VALU_DEP_2) | instskip(NEXT) | instid1(VALU_DEP_1)
	v_or_b32_e32 v11, 0x70000000, v11
	v_mul_f32_e32 v11, 0x7800000, v11
	s_delay_alu instid0(VALU_DEP_1) | instskip(NEXT) | instid1(VALU_DEP_1)
	v_cndmask_b32_e32 v9, v11, v14, vcc_lo
	v_and_or_b32 v7, 0x80000000, v7, v9
	v_bfe_u32 v9, v9, 16, 1
	s_delay_alu instid0(VALU_DEP_2) | instskip(NEXT) | instid1(VALU_DEP_2)
	v_cmp_o_f32_e32 vcc_lo, v7, v7
	v_add3_u32 v9, v7, v9, 0x7fff
	s_delay_alu instid0(VALU_DEP_1) | instskip(NEXT) | instid1(VALU_DEP_1)
	v_lshrrev_b32_e32 v9, 16, v9
	v_cndmask_b32_e32 v14, 0x7fc0, v9, vcc_lo
.LBB167_2498:
	s_mov_b32 s14, 0
	s_mov_b32 s15, -1
.LBB167_2499:
	s_and_not1_b32 vcc_lo, exec_lo, s14
	s_mov_b32 s14, 0
	s_cbranch_vccnz .LBB167_2510
; %bb.2500:
	s_cmp_gt_i32 s11, 14
	s_cbranch_scc0 .LBB167_2503
; %bb.2501:
	s_cmp_eq_u32 s11, 15
	s_cbranch_scc0 .LBB167_2506
; %bb.2502:
	s_wait_loadcnt 0x0
	global_load_u16 v14, v[12:13], off
	s_mov_b32 s13, 0
	s_mov_b32 s15, -1
	s_branch .LBB167_2508
.LBB167_2503:
	s_mov_b32 s14, -1
	s_branch .LBB167_2507
.LBB167_2504:
	s_or_saveexec_b32 s15, s15
	v_mov_b32_e32 v9, 0x7f800001
	s_xor_b32 exec_lo, exec_lo, s15
	s_cbranch_execz .LBB167_2485
.LBB167_2505:
	v_cmp_ne_u16_e32 vcc_lo, 0, v7
	v_mov_b32_e32 v9, 0
	s_and_not1_b32 s14, s14, exec_lo
	s_and_b32 s16, vcc_lo, exec_lo
	s_delay_alu instid0(SALU_CYCLE_1)
	s_or_b32 s14, s14, s16
	s_or_b32 exec_lo, exec_lo, s15
	s_and_saveexec_b32 s15, s14
	s_cbranch_execnz .LBB167_2486
	s_branch .LBB167_2487
.LBB167_2506:
	s_mov_b32 s13, -1
.LBB167_2507:
                                        ; implicit-def: $vgpr14
.LBB167_2508:
	s_and_b32 vcc_lo, exec_lo, s14
	s_mov_b32 s14, 0
	s_cbranch_vccz .LBB167_2510
; %bb.2509:
	s_cmp_lg_u32 s11, 11
	s_mov_b32 s14, -1
	s_cselect_b32 s13, -1, 0
.LBB167_2510:
	s_delay_alu instid0(SALU_CYCLE_1)
	s_and_b32 vcc_lo, exec_lo, s13
	s_cbranch_vccnz .LBB167_2594
; %bb.2511:
	s_and_not1_b32 vcc_lo, exec_lo, s14
	s_cbranch_vccnz .LBB167_2513
.LBB167_2512:
	global_load_u8 v7, v[12:13], off
	s_mov_b32 s15, -1
	s_wait_loadcnt 0x0
	v_cmp_ne_u16_e32 vcc_lo, 0, v7
	v_cndmask_b32_e64 v7, 0, 1.0, vcc_lo
	s_wait_xcnt 0x1
	s_delay_alu instid0(VALU_DEP_1)
	v_lshrrev_b32_e32 v14, 16, v7
.LBB167_2513:
	s_mov_b32 s13, 0
.LBB167_2514:
	s_delay_alu instid0(SALU_CYCLE_1)
	s_and_b32 vcc_lo, exec_lo, s13
	s_cbranch_vccz .LBB167_2563
; %bb.2515:
	s_cmp_lt_i32 s11, 5
	s_cbranch_scc1 .LBB167_2520
; %bb.2516:
	s_cmp_lt_i32 s11, 8
	s_cbranch_scc1 .LBB167_2521
	;; [unrolled: 3-line block ×3, first 2 shown]
; %bb.2518:
	s_cmp_gt_i32 s11, 9
	s_cbranch_scc0 .LBB167_2523
; %bb.2519:
	s_wait_loadcnt 0x0
	global_load_b64 v[14:15], v[12:13], off
	s_mov_b32 s13, 0
	s_wait_loadcnt 0x0
	v_cvt_f32_f64_e32 v7, v[14:15]
	s_delay_alu instid0(VALU_DEP_1) | instskip(SKIP_1) | instid1(VALU_DEP_2)
	v_bfe_u32 v9, v7, 16, 1
	v_cmp_o_f32_e32 vcc_lo, v7, v7
	v_add3_u32 v9, v7, v9, 0x7fff
	s_delay_alu instid0(VALU_DEP_1) | instskip(NEXT) | instid1(VALU_DEP_1)
	v_lshrrev_b32_e32 v9, 16, v9
	v_cndmask_b32_e32 v14, 0x7fc0, v9, vcc_lo
	s_branch .LBB167_2524
.LBB167_2520:
	s_mov_b32 s13, -1
                                        ; implicit-def: $vgpr14
	s_branch .LBB167_2542
.LBB167_2521:
	s_mov_b32 s13, -1
                                        ; implicit-def: $vgpr14
	s_branch .LBB167_2530
.LBB167_2522:
	s_mov_b32 s13, -1
                                        ; implicit-def: $vgpr14
	s_branch .LBB167_2527
.LBB167_2523:
	s_mov_b32 s13, -1
                                        ; implicit-def: $vgpr14
.LBB167_2524:
	s_delay_alu instid0(SALU_CYCLE_1)
	s_and_not1_b32 vcc_lo, exec_lo, s13
	s_cbranch_vccnz .LBB167_2526
; %bb.2525:
	global_load_b32 v7, v[12:13], off
	s_wait_loadcnt 0x0
	v_bfe_u32 v9, v7, 16, 1
	v_cmp_o_f32_e32 vcc_lo, v7, v7
	s_delay_alu instid0(VALU_DEP_2) | instskip(NEXT) | instid1(VALU_DEP_1)
	v_add3_u32 v9, v7, v9, 0x7fff
	v_lshrrev_b32_e32 v9, 16, v9
	s_wait_xcnt 0x1
	s_delay_alu instid0(VALU_DEP_1)
	v_cndmask_b32_e32 v14, 0x7fc0, v9, vcc_lo
.LBB167_2526:
	s_mov_b32 s13, 0
.LBB167_2527:
	s_delay_alu instid0(SALU_CYCLE_1)
	s_and_not1_b32 vcc_lo, exec_lo, s13
	s_cbranch_vccnz .LBB167_2529
; %bb.2528:
	global_load_b32 v7, v[12:13], off
	s_wait_loadcnt 0x0
	v_cvt_f32_f16_e32 v9, v7
	v_cmp_o_f16_e32 vcc_lo, v7, v7
	s_delay_alu instid0(VALU_DEP_2) | instskip(NEXT) | instid1(VALU_DEP_1)
	v_bfe_u32 v11, v9, 16, 1
	v_add3_u32 v9, v9, v11, 0x7fff
	s_delay_alu instid0(VALU_DEP_1) | instskip(SKIP_1) | instid1(VALU_DEP_1)
	v_lshrrev_b32_e32 v9, 16, v9
	s_wait_xcnt 0x1
	v_cndmask_b32_e32 v14, 0x7fc0, v9, vcc_lo
.LBB167_2529:
	s_mov_b32 s13, 0
.LBB167_2530:
	s_delay_alu instid0(SALU_CYCLE_1)
	s_and_not1_b32 vcc_lo, exec_lo, s13
	s_cbranch_vccnz .LBB167_2541
; %bb.2531:
	s_cmp_lt_i32 s11, 6
	s_cbranch_scc1 .LBB167_2534
; %bb.2532:
	s_cmp_gt_i32 s11, 6
	s_cbranch_scc0 .LBB167_2535
; %bb.2533:
	s_wait_loadcnt 0x0
	global_load_b64 v[14:15], v[12:13], off
	s_mov_b32 s13, 0
	s_wait_loadcnt 0x0
	v_cvt_f32_f64_e32 v7, v[14:15]
	s_delay_alu instid0(VALU_DEP_1) | instskip(SKIP_1) | instid1(VALU_DEP_2)
	v_bfe_u32 v9, v7, 16, 1
	v_cmp_o_f32_e32 vcc_lo, v7, v7
	v_add3_u32 v9, v7, v9, 0x7fff
	s_delay_alu instid0(VALU_DEP_1) | instskip(NEXT) | instid1(VALU_DEP_1)
	v_lshrrev_b32_e32 v9, 16, v9
	v_cndmask_b32_e32 v14, 0x7fc0, v9, vcc_lo
	s_branch .LBB167_2536
.LBB167_2534:
	s_mov_b32 s13, -1
                                        ; implicit-def: $vgpr14
	s_branch .LBB167_2539
.LBB167_2535:
	s_mov_b32 s13, -1
                                        ; implicit-def: $vgpr14
.LBB167_2536:
	s_delay_alu instid0(SALU_CYCLE_1)
	s_and_not1_b32 vcc_lo, exec_lo, s13
	s_cbranch_vccnz .LBB167_2538
; %bb.2537:
	global_load_b32 v7, v[12:13], off
	s_wait_loadcnt 0x0
	v_bfe_u32 v9, v7, 16, 1
	v_cmp_o_f32_e32 vcc_lo, v7, v7
	s_delay_alu instid0(VALU_DEP_2) | instskip(NEXT) | instid1(VALU_DEP_1)
	v_add3_u32 v9, v7, v9, 0x7fff
	v_lshrrev_b32_e32 v9, 16, v9
	s_wait_xcnt 0x1
	s_delay_alu instid0(VALU_DEP_1)
	v_cndmask_b32_e32 v14, 0x7fc0, v9, vcc_lo
.LBB167_2538:
	s_mov_b32 s13, 0
.LBB167_2539:
	s_delay_alu instid0(SALU_CYCLE_1)
	s_and_not1_b32 vcc_lo, exec_lo, s13
	s_cbranch_vccnz .LBB167_2541
; %bb.2540:
	global_load_u16 v7, v[12:13], off
	s_wait_loadcnt 0x0
	v_cvt_f32_f16_e32 v9, v7
	v_cmp_o_f16_e32 vcc_lo, v7, v7
	s_delay_alu instid0(VALU_DEP_2) | instskip(NEXT) | instid1(VALU_DEP_1)
	v_bfe_u32 v11, v9, 16, 1
	v_add3_u32 v9, v9, v11, 0x7fff
	s_delay_alu instid0(VALU_DEP_1) | instskip(SKIP_1) | instid1(VALU_DEP_1)
	v_lshrrev_b32_e32 v9, 16, v9
	s_wait_xcnt 0x1
	v_cndmask_b32_e32 v14, 0x7fc0, v9, vcc_lo
.LBB167_2541:
	s_mov_b32 s13, 0
.LBB167_2542:
	s_delay_alu instid0(SALU_CYCLE_1)
	s_and_not1_b32 vcc_lo, exec_lo, s13
	s_cbranch_vccnz .LBB167_2562
; %bb.2543:
	s_cmp_lt_i32 s11, 2
	s_cbranch_scc1 .LBB167_2547
; %bb.2544:
	s_cmp_lt_i32 s11, 3
	s_cbranch_scc1 .LBB167_2548
; %bb.2545:
	s_cmp_gt_i32 s11, 3
	s_cbranch_scc0 .LBB167_2549
; %bb.2546:
	s_wait_loadcnt 0x0
	global_load_b64 v[14:15], v[12:13], off
	s_mov_b32 s13, 0
	s_wait_loadcnt 0x0
	v_xor_b32_e32 v7, v14, v15
	v_cls_i32_e32 v9, v15
	s_delay_alu instid0(VALU_DEP_2) | instskip(NEXT) | instid1(VALU_DEP_1)
	v_ashrrev_i32_e32 v7, 31, v7
	v_add_nc_u32_e32 v7, 32, v7
	s_delay_alu instid0(VALU_DEP_1) | instskip(NEXT) | instid1(VALU_DEP_1)
	v_add_min_u32_e64 v7, v9, -1, v7
	v_lshlrev_b64_e32 v[14:15], v7, v[14:15]
	v_sub_nc_u32_e32 v7, 32, v7
	s_delay_alu instid0(VALU_DEP_2) | instskip(NEXT) | instid1(VALU_DEP_1)
	v_min_u32_e32 v9, 1, v14
	v_or_b32_e32 v9, v15, v9
	s_delay_alu instid0(VALU_DEP_1) | instskip(NEXT) | instid1(VALU_DEP_1)
	v_cvt_f32_i32_e32 v9, v9
	v_ldexp_f32 v7, v9, v7
	s_delay_alu instid0(VALU_DEP_1) | instskip(NEXT) | instid1(VALU_DEP_1)
	v_bfe_u32 v9, v7, 16, 1
	v_add3_u32 v7, v7, v9, 0x7fff
	s_delay_alu instid0(VALU_DEP_1)
	v_lshrrev_b32_e32 v14, 16, v7
	s_branch .LBB167_2550
.LBB167_2547:
	s_mov_b32 s13, -1
                                        ; implicit-def: $vgpr14
	s_branch .LBB167_2556
.LBB167_2548:
	s_mov_b32 s13, -1
                                        ; implicit-def: $vgpr14
	s_branch .LBB167_2553
.LBB167_2549:
	s_mov_b32 s13, -1
                                        ; implicit-def: $vgpr14
.LBB167_2550:
	s_delay_alu instid0(SALU_CYCLE_1)
	s_and_not1_b32 vcc_lo, exec_lo, s13
	s_cbranch_vccnz .LBB167_2552
; %bb.2551:
	global_load_b32 v7, v[12:13], off
	s_wait_loadcnt 0x0
	v_cvt_f32_i32_e32 v7, v7
	s_delay_alu instid0(VALU_DEP_1) | instskip(NEXT) | instid1(VALU_DEP_1)
	v_bfe_u32 v9, v7, 16, 1
	v_add3_u32 v7, v7, v9, 0x7fff
	s_wait_xcnt 0x1
	s_delay_alu instid0(VALU_DEP_1)
	v_lshrrev_b32_e32 v14, 16, v7
.LBB167_2552:
	s_mov_b32 s13, 0
.LBB167_2553:
	s_delay_alu instid0(SALU_CYCLE_1)
	s_and_not1_b32 vcc_lo, exec_lo, s13
	s_cbranch_vccnz .LBB167_2555
; %bb.2554:
	global_load_i16 v7, v[12:13], off
	s_wait_loadcnt 0x0
	v_cvt_f32_i32_e32 v7, v7
	s_delay_alu instid0(VALU_DEP_1) | instskip(NEXT) | instid1(VALU_DEP_1)
	v_bfe_u32 v9, v7, 16, 1
	v_add3_u32 v7, v7, v9, 0x7fff
	s_wait_xcnt 0x1
	s_delay_alu instid0(VALU_DEP_1)
	v_lshrrev_b32_e32 v14, 16, v7
.LBB167_2555:
	s_mov_b32 s13, 0
.LBB167_2556:
	s_delay_alu instid0(SALU_CYCLE_1)
	s_and_not1_b32 vcc_lo, exec_lo, s13
	s_cbranch_vccnz .LBB167_2562
; %bb.2557:
	s_cmp_gt_i32 s11, 0
	s_mov_b32 s13, 0
	s_cbranch_scc0 .LBB167_2559
; %bb.2558:
	global_load_i8 v7, v[12:13], off
	s_wait_loadcnt 0x0
	v_cvt_f32_i32_e32 v7, v7
	s_delay_alu instid0(VALU_DEP_1) | instskip(NEXT) | instid1(VALU_DEP_1)
	v_bfe_u32 v9, v7, 16, 1
	v_add3_u32 v7, v7, v9, 0x7fff
	s_wait_xcnt 0x1
	s_delay_alu instid0(VALU_DEP_1)
	v_lshrrev_b32_e32 v14, 16, v7
	s_branch .LBB167_2560
.LBB167_2559:
	s_mov_b32 s13, -1
                                        ; implicit-def: $vgpr14
.LBB167_2560:
	s_delay_alu instid0(SALU_CYCLE_1)
	s_and_not1_b32 vcc_lo, exec_lo, s13
	s_cbranch_vccnz .LBB167_2562
; %bb.2561:
	global_load_u8 v7, v[12:13], off
	s_wait_loadcnt 0x0
	v_cvt_f32_ubyte0_e32 v7, v7
	s_delay_alu instid0(VALU_DEP_1) | instskip(NEXT) | instid1(VALU_DEP_1)
	v_bfe_u32 v9, v7, 16, 1
	v_add3_u32 v7, v7, v9, 0x7fff
	s_wait_xcnt 0x1
	s_delay_alu instid0(VALU_DEP_1)
	v_lshrrev_b32_e32 v14, 16, v7
.LBB167_2562:
	s_mov_b32 s15, -1
.LBB167_2563:
	s_delay_alu instid0(SALU_CYCLE_1)
	s_and_not1_b32 vcc_lo, exec_lo, s15
	s_cbranch_vccnz .LBB167_3280
; %bb.2564:
	s_cmp_lt_i32 s12, 23
	s_cbranch_scc1 .LBB167_2568
; %bb.2565:
	s_cmp_gt_i32 s12, 43
	s_cbranch_scc0 .LBB167_2569
; %bb.2566:
	s_cmp_gt_i32 s12, 45
	s_cbranch_scc0 .LBB167_2570
; %bb.2567:
	s_cmp_lg_u32 s12, 46
	s_mov_b32 s15, 0
	s_mov_b32 s13, -1
	s_cselect_b32 s14, -1, 0
	s_branch .LBB167_2571
.LBB167_2568:
	s_mov_b32 s15, -1
	s_mov_b32 s13, 0
	s_mov_b32 s14, 0
	s_branch .LBB167_2577
.LBB167_2569:
	s_mov_b32 s15, -1
	s_mov_b32 s13, 0
	s_mov_b32 s14, 0
	s_branch .LBB167_2574
.LBB167_2570:
	s_mov_b32 s15, -1
	s_mov_b32 s13, 0
	s_mov_b32 s14, 0
.LBB167_2571:
	s_and_not1_b32 vcc_lo, exec_lo, s15
	s_cbranch_vccnz .LBB167_2573
; %bb.2572:
	s_cmp_eq_u32 s12, 44
	s_cselect_b32 s13, -1, 0
	s_cmp_lg_u32 s12, 44
	s_cselect_b32 s14, -1, 0
.LBB167_2573:
	s_mov_b32 s15, 0
.LBB167_2574:
	s_delay_alu instid0(SALU_CYCLE_1)
	s_and_b32 vcc_lo, exec_lo, s15
	s_cbranch_vccz .LBB167_2576
; %bb.2575:
	s_cmp_lt_i32 s12, 30
	s_cselect_b32 s13, -1, 0
	s_cmp_gt_i32 s12, 29
	s_cselect_b32 s14, -1, 0
.LBB167_2576:
	s_mov_b32 s15, 0
.LBB167_2577:
	s_delay_alu instid0(SALU_CYCLE_1)
	s_and_b32 vcc_lo, exec_lo, s15
	s_cbranch_vccz .LBB167_2582
; %bb.2578:
	s_cmp_gt_i32 s12, 14
	s_mov_b32 s15, -1
	s_cbranch_scc0 .LBB167_2580
; %bb.2579:
	s_cmp_eq_u32 s12, 15
	s_mov_b32 s15, 0
	s_cselect_b32 s13, -1, 0
	s_cmp_lg_u32 s12, 15
	s_cselect_b32 s14, -1, 0
.LBB167_2580:
	s_and_not1_b32 vcc_lo, exec_lo, s15
	s_cbranch_vccnz .LBB167_2582
; %bb.2581:
	s_cmp_lt_i32 s12, 12
	s_cselect_b32 s13, -1, 0
	s_cmp_gt_i32 s12, 11
	s_cselect_b32 s14, -1, 0
.LBB167_2582:
	s_delay_alu instid0(SALU_CYCLE_1)
	s_and_b32 vcc_lo, exec_lo, s14
	s_cbranch_vccnz .LBB167_2595
; %bb.2583:
	s_and_not1_b32 vcc_lo, exec_lo, s13
	s_cbranch_vccnz .LBB167_3280
.LBB167_2584:
	v_mov_b32_e32 v11, 0
	s_cmp_lt_i32 s10, 11
	s_delay_alu instid0(VALU_DEP_1)
	v_add_nc_u64_e32 v[10:11], s[0:1], v[10:11]
	s_cbranch_scc1 .LBB167_2591
; %bb.2585:
	s_cmp_gt_i32 s10, 25
	s_mov_b32 s1, 0
	s_cbranch_scc0 .LBB167_2592
; %bb.2586:
	s_cmp_gt_i32 s10, 28
	s_cbranch_scc0 .LBB167_2593
; %bb.2587:
	s_cmp_gt_i32 s10, 43
	;; [unrolled: 3-line block ×3, first 2 shown]
	s_cbranch_scc0 .LBB167_2597
; %bb.2589:
	s_cmp_eq_u32 s10, 46
	s_mov_b32 s13, 0
	s_cbranch_scc0 .LBB167_2598
; %bb.2590:
	global_load_b32 v12, v[10:11], off
	s_mov_b32 s0, 0
	s_mov_b32 s12, -1
	s_branch .LBB167_2600
.LBB167_2591:
	s_mov_b32 s0, -1
	s_mov_b32 s12, 0
                                        ; implicit-def: $vgpr12
	s_branch .LBB167_2666
.LBB167_2592:
	s_mov_b32 s13, -1
	s_mov_b32 s12, 0
	s_mov_b32 s0, 0
                                        ; implicit-def: $vgpr12
	s_branch .LBB167_2629
.LBB167_2593:
	s_mov_b32 s13, -1
	s_mov_b32 s12, 0
	s_mov_b32 s0, 0
                                        ; implicit-def: $vgpr12
	s_branch .LBB167_2610
.LBB167_2594:
	s_or_b32 s8, s8, exec_lo
	s_trap 2
	s_cbranch_execz .LBB167_2512
	s_branch .LBB167_2513
.LBB167_2595:
	s_or_b32 s8, s8, exec_lo
	s_trap 2
	s_cbranch_execz .LBB167_2584
	s_branch .LBB167_3280
.LBB167_2596:
	s_mov_b32 s13, -1
	s_mov_b32 s12, 0
	s_mov_b32 s0, 0
                                        ; implicit-def: $vgpr12
	s_branch .LBB167_2605
.LBB167_2597:
	s_mov_b32 s13, -1
	s_mov_b32 s12, 0
	s_mov_b32 s0, 0
	s_branch .LBB167_2599
.LBB167_2598:
	s_mov_b32 s0, -1
	s_mov_b32 s12, 0
.LBB167_2599:
                                        ; implicit-def: $vgpr12
.LBB167_2600:
	s_and_b32 vcc_lo, exec_lo, s13
	s_cbranch_vccz .LBB167_2604
; %bb.2601:
	s_cmp_eq_u32 s10, 44
	s_cbranch_scc0 .LBB167_2603
; %bb.2602:
	global_load_u8 v7, v[10:11], off
	s_mov_b32 s0, 0
	s_mov_b32 s12, -1
	s_wait_loadcnt 0x0
	v_lshlrev_b32_e32 v9, 23, v7
	v_cmp_ne_u32_e32 vcc_lo, 0xff, v7
	s_delay_alu instid0(VALU_DEP_2) | instskip(SKIP_1) | instid1(VALU_DEP_2)
	v_cndmask_b32_e32 v9, 0x7f800001, v9, vcc_lo
	v_cmp_ne_u32_e32 vcc_lo, 0, v7
	v_cndmask_b32_e32 v7, 0x400000, v9, vcc_lo
	s_delay_alu instid0(VALU_DEP_1) | instskip(SKIP_1) | instid1(VALU_DEP_2)
	v_add_nc_u32_e32 v9, 0x7fff, v7
	v_cmp_o_f32_e32 vcc_lo, v7, v7
	v_lshrrev_b32_e32 v9, 16, v9
	s_wait_xcnt 0x1
	s_delay_alu instid0(VALU_DEP_1)
	v_cndmask_b32_e32 v12, 0x7fc0, v9, vcc_lo
	s_branch .LBB167_2604
.LBB167_2603:
	s_mov_b32 s0, -1
                                        ; implicit-def: $vgpr12
.LBB167_2604:
	s_mov_b32 s13, 0
.LBB167_2605:
	s_delay_alu instid0(SALU_CYCLE_1)
	s_and_b32 vcc_lo, exec_lo, s13
	s_cbranch_vccz .LBB167_2609
; %bb.2606:
	s_cmp_eq_u32 s10, 29
	s_cbranch_scc0 .LBB167_2608
; %bb.2607:
	s_wait_loadcnt 0x0
	global_load_b64 v[12:13], v[10:11], off
	s_mov_b32 s0, 0
	s_mov_b32 s12, -1
	s_mov_b32 s13, 0
	s_wait_loadcnt 0x0
	v_clz_i32_u32_e32 v7, v13
	s_delay_alu instid0(VALU_DEP_1) | instskip(NEXT) | instid1(VALU_DEP_1)
	v_min_u32_e32 v7, 32, v7
	v_lshlrev_b64_e32 v[12:13], v7, v[12:13]
	v_sub_nc_u32_e32 v7, 32, v7
	s_delay_alu instid0(VALU_DEP_2) | instskip(NEXT) | instid1(VALU_DEP_1)
	v_min_u32_e32 v9, 1, v12
	v_or_b32_e32 v9, v13, v9
	s_delay_alu instid0(VALU_DEP_1) | instskip(NEXT) | instid1(VALU_DEP_1)
	v_cvt_f32_u32_e32 v9, v9
	v_ldexp_f32 v7, v9, v7
	s_delay_alu instid0(VALU_DEP_1) | instskip(NEXT) | instid1(VALU_DEP_1)
	v_bfe_u32 v9, v7, 16, 1
	v_add3_u32 v7, v7, v9, 0x7fff
	s_delay_alu instid0(VALU_DEP_1)
	v_lshrrev_b32_e32 v12, 16, v7
	s_branch .LBB167_2610
.LBB167_2608:
	s_mov_b32 s0, -1
                                        ; implicit-def: $vgpr12
.LBB167_2609:
	s_mov_b32 s13, 0
.LBB167_2610:
	s_delay_alu instid0(SALU_CYCLE_1)
	s_and_b32 vcc_lo, exec_lo, s13
	s_cbranch_vccz .LBB167_2628
; %bb.2611:
	s_cmp_lt_i32 s10, 27
	s_cbranch_scc1 .LBB167_2614
; %bb.2612:
	s_cmp_gt_i32 s10, 27
	s_cbranch_scc0 .LBB167_2615
; %bb.2613:
	global_load_b32 v7, v[10:11], off
	s_mov_b32 s12, 0
	s_wait_loadcnt 0x0
	v_cvt_f32_u32_e32 v7, v7
	s_delay_alu instid0(VALU_DEP_1) | instskip(NEXT) | instid1(VALU_DEP_1)
	v_bfe_u32 v9, v7, 16, 1
	v_add3_u32 v7, v7, v9, 0x7fff
	s_wait_xcnt 0x1
	s_delay_alu instid0(VALU_DEP_1)
	v_lshrrev_b32_e32 v12, 16, v7
	s_branch .LBB167_2616
.LBB167_2614:
	s_mov_b32 s12, -1
                                        ; implicit-def: $vgpr12
	s_branch .LBB167_2619
.LBB167_2615:
	s_mov_b32 s12, -1
                                        ; implicit-def: $vgpr12
.LBB167_2616:
	s_delay_alu instid0(SALU_CYCLE_1)
	s_and_not1_b32 vcc_lo, exec_lo, s12
	s_cbranch_vccnz .LBB167_2618
; %bb.2617:
	global_load_u16 v7, v[10:11], off
	s_wait_loadcnt 0x0
	v_cvt_f32_u32_e32 v7, v7
	s_delay_alu instid0(VALU_DEP_1) | instskip(NEXT) | instid1(VALU_DEP_1)
	v_bfe_u32 v9, v7, 16, 1
	v_add3_u32 v7, v7, v9, 0x7fff
	s_wait_xcnt 0x1
	s_delay_alu instid0(VALU_DEP_1)
	v_lshrrev_b32_e32 v12, 16, v7
.LBB167_2618:
	s_mov_b32 s12, 0
.LBB167_2619:
	s_delay_alu instid0(SALU_CYCLE_1)
	s_and_not1_b32 vcc_lo, exec_lo, s12
	s_cbranch_vccnz .LBB167_2627
; %bb.2620:
	global_load_u8 v7, v[10:11], off
	s_mov_b32 s12, 0
	s_mov_b32 s13, exec_lo
	s_wait_loadcnt 0x0
	v_cmpx_lt_i16_e32 0x7f, v7
	s_xor_b32 s13, exec_lo, s13
	s_cbranch_execz .LBB167_2641
; %bb.2621:
	s_mov_b32 s12, -1
	s_mov_b32 s14, exec_lo
	v_cmpx_eq_u16_e32 0x80, v7
; %bb.2622:
	s_xor_b32 s12, exec_lo, -1
; %bb.2623:
	s_or_b32 exec_lo, exec_lo, s14
	s_delay_alu instid0(SALU_CYCLE_1)
	s_and_b32 s12, s12, exec_lo
	s_or_saveexec_b32 s13, s13
	v_mov_b32_e32 v9, 0x7f800001
	s_xor_b32 exec_lo, exec_lo, s13
	s_cbranch_execnz .LBB167_2642
.LBB167_2624:
	s_or_b32 exec_lo, exec_lo, s13
	s_and_saveexec_b32 s13, s12
	s_cbranch_execz .LBB167_2626
.LBB167_2625:
	v_and_b32_e32 v9, 0xffff, v7
	s_delay_alu instid0(VALU_DEP_1) | instskip(SKIP_1) | instid1(VALU_DEP_2)
	v_dual_lshlrev_b32 v7, 24, v7 :: v_dual_bitop2_b32 v12, 7, v9 bitop3:0x40
	v_bfe_u32 v17, v9, 3, 4
	v_and_b32_e32 v7, 0x80000000, v7
	s_delay_alu instid0(VALU_DEP_3) | instskip(NEXT) | instid1(VALU_DEP_3)
	v_clz_i32_u32_e32 v13, v12
	v_cmp_eq_u32_e32 vcc_lo, 0, v17
	s_delay_alu instid0(VALU_DEP_2) | instskip(NEXT) | instid1(VALU_DEP_1)
	v_min_u32_e32 v13, 32, v13
	v_subrev_nc_u32_e32 v15, 28, v13
	v_sub_nc_u32_e32 v13, 29, v13
	s_delay_alu instid0(VALU_DEP_2) | instskip(NEXT) | instid1(VALU_DEP_2)
	v_lshlrev_b32_e32 v9, v15, v9
	v_cndmask_b32_e32 v13, v17, v13, vcc_lo
	s_delay_alu instid0(VALU_DEP_2) | instskip(NEXT) | instid1(VALU_DEP_1)
	v_and_b32_e32 v9, 7, v9
	v_cndmask_b32_e32 v9, v12, v9, vcc_lo
	s_delay_alu instid0(VALU_DEP_3) | instskip(NEXT) | instid1(VALU_DEP_2)
	v_lshl_add_u32 v12, v13, 23, 0x3b800000
	v_lshlrev_b32_e32 v9, 20, v9
	s_delay_alu instid0(VALU_DEP_1)
	v_or3_b32 v9, v7, v12, v9
.LBB167_2626:
	s_or_b32 exec_lo, exec_lo, s13
	s_delay_alu instid0(VALU_DEP_1) | instskip(SKIP_1) | instid1(VALU_DEP_2)
	v_bfe_u32 v7, v9, 16, 1
	v_cmp_o_f32_e32 vcc_lo, v9, v9
	v_add3_u32 v7, v9, v7, 0x7fff
	s_delay_alu instid0(VALU_DEP_1) | instskip(NEXT) | instid1(VALU_DEP_1)
	v_lshrrev_b32_e32 v7, 16, v7
	v_cndmask_b32_e32 v12, 0x7fc0, v7, vcc_lo
.LBB167_2627:
	s_mov_b32 s12, -1
.LBB167_2628:
	s_mov_b32 s13, 0
.LBB167_2629:
	s_delay_alu instid0(SALU_CYCLE_1)
	s_and_b32 vcc_lo, exec_lo, s13
	s_cbranch_vccz .LBB167_2662
; %bb.2630:
	s_cmp_gt_i32 s10, 22
	s_cbranch_scc0 .LBB167_2640
; %bb.2631:
	s_cmp_lt_i32 s10, 24
	s_cbranch_scc1 .LBB167_2643
; %bb.2632:
	s_cmp_gt_i32 s10, 24
	s_cbranch_scc0 .LBB167_2644
; %bb.2633:
	global_load_u8 v7, v[10:11], off
	s_mov_b32 s12, exec_lo
	s_wait_loadcnt 0x0
	v_cmpx_lt_i16_e32 0x7f, v7
	s_xor_b32 s12, exec_lo, s12
	s_cbranch_execz .LBB167_2656
; %bb.2634:
	s_mov_b32 s1, -1
	s_mov_b32 s13, exec_lo
	v_cmpx_eq_u16_e32 0x80, v7
; %bb.2635:
	s_xor_b32 s1, exec_lo, -1
; %bb.2636:
	s_or_b32 exec_lo, exec_lo, s13
	s_delay_alu instid0(SALU_CYCLE_1)
	s_and_b32 s1, s1, exec_lo
	s_or_saveexec_b32 s12, s12
	v_mov_b32_e32 v9, 0x7f800001
	s_xor_b32 exec_lo, exec_lo, s12
	s_cbranch_execnz .LBB167_2657
.LBB167_2637:
	s_or_b32 exec_lo, exec_lo, s12
	s_and_saveexec_b32 s12, s1
	s_cbranch_execz .LBB167_2639
.LBB167_2638:
	v_and_b32_e32 v9, 0xffff, v7
	s_delay_alu instid0(VALU_DEP_1) | instskip(SKIP_1) | instid1(VALU_DEP_2)
	v_dual_lshlrev_b32 v7, 24, v7 :: v_dual_bitop2_b32 v12, 3, v9 bitop3:0x40
	v_bfe_u32 v17, v9, 2, 5
	v_and_b32_e32 v7, 0x80000000, v7
	s_delay_alu instid0(VALU_DEP_3) | instskip(NEXT) | instid1(VALU_DEP_3)
	v_clz_i32_u32_e32 v13, v12
	v_cmp_eq_u32_e32 vcc_lo, 0, v17
	s_delay_alu instid0(VALU_DEP_2) | instskip(NEXT) | instid1(VALU_DEP_1)
	v_min_u32_e32 v13, 32, v13
	v_subrev_nc_u32_e32 v15, 29, v13
	v_sub_nc_u32_e32 v13, 30, v13
	s_delay_alu instid0(VALU_DEP_2) | instskip(NEXT) | instid1(VALU_DEP_2)
	v_lshlrev_b32_e32 v9, v15, v9
	v_cndmask_b32_e32 v13, v17, v13, vcc_lo
	s_delay_alu instid0(VALU_DEP_2) | instskip(NEXT) | instid1(VALU_DEP_1)
	v_and_b32_e32 v9, 3, v9
	v_cndmask_b32_e32 v9, v12, v9, vcc_lo
	s_delay_alu instid0(VALU_DEP_3) | instskip(NEXT) | instid1(VALU_DEP_2)
	v_lshl_add_u32 v12, v13, 23, 0x37800000
	v_lshlrev_b32_e32 v9, 21, v9
	s_delay_alu instid0(VALU_DEP_1)
	v_or3_b32 v9, v7, v12, v9
.LBB167_2639:
	s_or_b32 exec_lo, exec_lo, s12
	s_delay_alu instid0(VALU_DEP_1) | instskip(SKIP_2) | instid1(VALU_DEP_2)
	v_bfe_u32 v7, v9, 16, 1
	v_cmp_o_f32_e32 vcc_lo, v9, v9
	s_mov_b32 s1, 0
	v_add3_u32 v7, v9, v7, 0x7fff
	s_delay_alu instid0(VALU_DEP_1) | instskip(NEXT) | instid1(VALU_DEP_1)
	v_lshrrev_b32_e32 v7, 16, v7
	v_cndmask_b32_e32 v12, 0x7fc0, v7, vcc_lo
	s_branch .LBB167_2645
.LBB167_2640:
	s_mov_b32 s1, -1
                                        ; implicit-def: $vgpr12
	s_branch .LBB167_2651
.LBB167_2641:
	s_or_saveexec_b32 s13, s13
	v_mov_b32_e32 v9, 0x7f800001
	s_xor_b32 exec_lo, exec_lo, s13
	s_cbranch_execz .LBB167_2624
.LBB167_2642:
	v_cmp_ne_u16_e32 vcc_lo, 0, v7
	v_mov_b32_e32 v9, 0
	s_and_not1_b32 s12, s12, exec_lo
	s_and_b32 s14, vcc_lo, exec_lo
	s_delay_alu instid0(SALU_CYCLE_1)
	s_or_b32 s12, s12, s14
	s_or_b32 exec_lo, exec_lo, s13
	s_and_saveexec_b32 s13, s12
	s_cbranch_execnz .LBB167_2625
	s_branch .LBB167_2626
.LBB167_2643:
	s_mov_b32 s1, -1
                                        ; implicit-def: $vgpr12
	s_branch .LBB167_2648
.LBB167_2644:
	s_mov_b32 s1, -1
                                        ; implicit-def: $vgpr12
.LBB167_2645:
	s_delay_alu instid0(SALU_CYCLE_1)
	s_and_b32 vcc_lo, exec_lo, s1
	s_cbranch_vccz .LBB167_2647
; %bb.2646:
	global_load_u8 v7, v[10:11], off
	s_wait_loadcnt 0x0
	v_lshlrev_b32_e32 v7, 24, v7
	s_delay_alu instid0(VALU_DEP_1) | instskip(SKIP_1) | instid1(VALU_DEP_1)
	v_and_b32_e32 v9, 0x7f000000, v7
	s_wait_xcnt 0x1
	v_clz_i32_u32_e32 v12, v9
	v_add_nc_u32_e32 v15, 0x1000000, v9
	v_cmp_ne_u32_e32 vcc_lo, 0, v9
	s_delay_alu instid0(VALU_DEP_3) | instskip(NEXT) | instid1(VALU_DEP_1)
	v_min_u32_e32 v12, 32, v12
	v_sub_nc_u32_e64 v12, v12, 4 clamp
	s_delay_alu instid0(VALU_DEP_1) | instskip(NEXT) | instid1(VALU_DEP_1)
	v_dual_lshlrev_b32 v13, v12, v9 :: v_dual_lshlrev_b32 v12, 23, v12
	v_lshrrev_b32_e32 v13, 4, v13
	s_delay_alu instid0(VALU_DEP_1) | instskip(NEXT) | instid1(VALU_DEP_1)
	v_dual_sub_nc_u32 v12, v13, v12 :: v_dual_ashrrev_i32 v13, 8, v15
	v_add_nc_u32_e32 v12, 0x3c000000, v12
	s_delay_alu instid0(VALU_DEP_1) | instskip(NEXT) | instid1(VALU_DEP_1)
	v_and_or_b32 v12, 0x7f800000, v13, v12
	v_cndmask_b32_e32 v9, 0, v12, vcc_lo
	s_delay_alu instid0(VALU_DEP_1) | instskip(SKIP_1) | instid1(VALU_DEP_2)
	v_and_or_b32 v7, 0x80000000, v7, v9
	v_bfe_u32 v9, v9, 16, 1
	v_cmp_o_f32_e32 vcc_lo, v7, v7
	s_delay_alu instid0(VALU_DEP_2) | instskip(NEXT) | instid1(VALU_DEP_1)
	v_add3_u32 v9, v7, v9, 0x7fff
	v_lshrrev_b32_e32 v9, 16, v9
	s_delay_alu instid0(VALU_DEP_1)
	v_cndmask_b32_e32 v12, 0x7fc0, v9, vcc_lo
.LBB167_2647:
	s_mov_b32 s1, 0
.LBB167_2648:
	s_delay_alu instid0(SALU_CYCLE_1)
	s_and_not1_b32 vcc_lo, exec_lo, s1
	s_cbranch_vccnz .LBB167_2650
; %bb.2649:
	global_load_u8 v7, v[10:11], off
	s_wait_loadcnt 0x0
	v_lshlrev_b32_e32 v9, 25, v7
	v_lshlrev_b16 v7, 8, v7
	s_wait_xcnt 0x1
	s_delay_alu instid0(VALU_DEP_1) | instskip(SKIP_1) | instid1(VALU_DEP_2)
	v_and_or_b32 v13, 0x7f00, v7, 0.5
	v_bfe_i32 v7, v7, 0, 16
	v_add_f32_e32 v13, -0.5, v13
	v_lshrrev_b32_e32 v12, 4, v9
	v_cmp_gt_u32_e32 vcc_lo, 0x8000000, v9
	s_delay_alu instid0(VALU_DEP_2) | instskip(NEXT) | instid1(VALU_DEP_1)
	v_or_b32_e32 v12, 0x70000000, v12
	v_mul_f32_e32 v12, 0x7800000, v12
	s_delay_alu instid0(VALU_DEP_1) | instskip(NEXT) | instid1(VALU_DEP_1)
	v_cndmask_b32_e32 v9, v12, v13, vcc_lo
	v_and_or_b32 v7, 0x80000000, v7, v9
	v_bfe_u32 v9, v9, 16, 1
	s_delay_alu instid0(VALU_DEP_2) | instskip(NEXT) | instid1(VALU_DEP_2)
	v_cmp_o_f32_e32 vcc_lo, v7, v7
	v_add3_u32 v9, v7, v9, 0x7fff
	s_delay_alu instid0(VALU_DEP_1) | instskip(NEXT) | instid1(VALU_DEP_1)
	v_lshrrev_b32_e32 v9, 16, v9
	v_cndmask_b32_e32 v12, 0x7fc0, v9, vcc_lo
.LBB167_2650:
	s_mov_b32 s1, 0
	s_mov_b32 s12, -1
.LBB167_2651:
	s_and_not1_b32 vcc_lo, exec_lo, s1
	s_mov_b32 s1, 0
	s_cbranch_vccnz .LBB167_2662
; %bb.2652:
	s_cmp_gt_i32 s10, 14
	s_cbranch_scc0 .LBB167_2655
; %bb.2653:
	s_cmp_eq_u32 s10, 15
	s_cbranch_scc0 .LBB167_2658
; %bb.2654:
	s_wait_loadcnt 0x0
	global_load_u16 v12, v[10:11], off
	s_mov_b32 s0, 0
	s_mov_b32 s12, -1
	s_branch .LBB167_2660
.LBB167_2655:
	s_mov_b32 s1, -1
	s_branch .LBB167_2659
.LBB167_2656:
	s_or_saveexec_b32 s12, s12
	v_mov_b32_e32 v9, 0x7f800001
	s_xor_b32 exec_lo, exec_lo, s12
	s_cbranch_execz .LBB167_2637
.LBB167_2657:
	v_cmp_ne_u16_e32 vcc_lo, 0, v7
	v_mov_b32_e32 v9, 0
	s_and_not1_b32 s1, s1, exec_lo
	s_and_b32 s13, vcc_lo, exec_lo
	s_delay_alu instid0(SALU_CYCLE_1)
	s_or_b32 s1, s1, s13
	s_or_b32 exec_lo, exec_lo, s12
	s_and_saveexec_b32 s12, s1
	s_cbranch_execnz .LBB167_2638
	s_branch .LBB167_2639
.LBB167_2658:
	s_mov_b32 s0, -1
.LBB167_2659:
                                        ; implicit-def: $vgpr12
.LBB167_2660:
	s_and_b32 vcc_lo, exec_lo, s1
	s_mov_b32 s1, 0
	s_cbranch_vccz .LBB167_2662
; %bb.2661:
	s_cmp_lg_u32 s10, 11
	s_mov_b32 s1, -1
	s_cselect_b32 s0, -1, 0
.LBB167_2662:
	s_delay_alu instid0(SALU_CYCLE_1)
	s_and_b32 vcc_lo, exec_lo, s0
	s_cbranch_vccnz .LBB167_2727
; %bb.2663:
	s_and_not1_b32 vcc_lo, exec_lo, s1
	s_cbranch_vccnz .LBB167_2665
.LBB167_2664:
	global_load_u8 v7, v[10:11], off
	s_mov_b32 s12, -1
	s_wait_loadcnt 0x0
	v_cmp_ne_u16_e32 vcc_lo, 0, v7
	v_cndmask_b32_e64 v7, 0, 1.0, vcc_lo
	s_wait_xcnt 0x1
	s_delay_alu instid0(VALU_DEP_1)
	v_lshrrev_b32_e32 v12, 16, v7
.LBB167_2665:
	s_mov_b32 s0, 0
.LBB167_2666:
	s_delay_alu instid0(SALU_CYCLE_1)
	s_and_b32 vcc_lo, exec_lo, s0
	s_cbranch_vccz .LBB167_2715
; %bb.2667:
	s_cmp_lt_i32 s10, 5
	s_cbranch_scc1 .LBB167_2672
; %bb.2668:
	s_cmp_lt_i32 s10, 8
	s_cbranch_scc1 .LBB167_2673
	;; [unrolled: 3-line block ×3, first 2 shown]
; %bb.2670:
	s_cmp_gt_i32 s10, 9
	s_cbranch_scc0 .LBB167_2675
; %bb.2671:
	s_wait_loadcnt 0x0
	global_load_b64 v[12:13], v[10:11], off
	s_mov_b32 s0, 0
	s_wait_loadcnt 0x0
	v_cvt_f32_f64_e32 v7, v[12:13]
	s_delay_alu instid0(VALU_DEP_1) | instskip(SKIP_1) | instid1(VALU_DEP_2)
	v_bfe_u32 v9, v7, 16, 1
	v_cmp_o_f32_e32 vcc_lo, v7, v7
	v_add3_u32 v9, v7, v9, 0x7fff
	s_delay_alu instid0(VALU_DEP_1) | instskip(NEXT) | instid1(VALU_DEP_1)
	v_lshrrev_b32_e32 v9, 16, v9
	v_cndmask_b32_e32 v12, 0x7fc0, v9, vcc_lo
	s_branch .LBB167_2676
.LBB167_2672:
	s_mov_b32 s0, -1
                                        ; implicit-def: $vgpr12
	s_branch .LBB167_2694
.LBB167_2673:
	s_mov_b32 s0, -1
                                        ; implicit-def: $vgpr12
	s_branch .LBB167_2682
.LBB167_2674:
	s_mov_b32 s0, -1
                                        ; implicit-def: $vgpr12
	s_branch .LBB167_2679
.LBB167_2675:
	s_mov_b32 s0, -1
                                        ; implicit-def: $vgpr12
.LBB167_2676:
	s_delay_alu instid0(SALU_CYCLE_1)
	s_and_not1_b32 vcc_lo, exec_lo, s0
	s_cbranch_vccnz .LBB167_2678
; %bb.2677:
	global_load_b32 v7, v[10:11], off
	s_wait_loadcnt 0x0
	v_bfe_u32 v9, v7, 16, 1
	v_cmp_o_f32_e32 vcc_lo, v7, v7
	s_delay_alu instid0(VALU_DEP_2) | instskip(NEXT) | instid1(VALU_DEP_1)
	v_add3_u32 v9, v7, v9, 0x7fff
	v_lshrrev_b32_e32 v9, 16, v9
	s_wait_xcnt 0x1
	s_delay_alu instid0(VALU_DEP_1)
	v_cndmask_b32_e32 v12, 0x7fc0, v9, vcc_lo
.LBB167_2678:
	s_mov_b32 s0, 0
.LBB167_2679:
	s_delay_alu instid0(SALU_CYCLE_1)
	s_and_not1_b32 vcc_lo, exec_lo, s0
	s_cbranch_vccnz .LBB167_2681
; %bb.2680:
	global_load_b32 v7, v[10:11], off
	s_wait_loadcnt 0x0
	v_cvt_f32_f16_e32 v9, v7
	v_cmp_o_f16_e32 vcc_lo, v7, v7
	s_wait_xcnt 0x1
	s_delay_alu instid0(VALU_DEP_2) | instskip(NEXT) | instid1(VALU_DEP_1)
	v_bfe_u32 v12, v9, 16, 1
	v_add3_u32 v9, v9, v12, 0x7fff
	s_delay_alu instid0(VALU_DEP_1) | instskip(NEXT) | instid1(VALU_DEP_1)
	v_lshrrev_b32_e32 v9, 16, v9
	v_cndmask_b32_e32 v12, 0x7fc0, v9, vcc_lo
.LBB167_2681:
	s_mov_b32 s0, 0
.LBB167_2682:
	s_delay_alu instid0(SALU_CYCLE_1)
	s_and_not1_b32 vcc_lo, exec_lo, s0
	s_cbranch_vccnz .LBB167_2693
; %bb.2683:
	s_cmp_lt_i32 s10, 6
	s_cbranch_scc1 .LBB167_2686
; %bb.2684:
	s_cmp_gt_i32 s10, 6
	s_cbranch_scc0 .LBB167_2687
; %bb.2685:
	s_wait_loadcnt 0x0
	global_load_b64 v[12:13], v[10:11], off
	s_mov_b32 s0, 0
	s_wait_loadcnt 0x0
	v_cvt_f32_f64_e32 v7, v[12:13]
	s_delay_alu instid0(VALU_DEP_1) | instskip(SKIP_1) | instid1(VALU_DEP_2)
	v_bfe_u32 v9, v7, 16, 1
	v_cmp_o_f32_e32 vcc_lo, v7, v7
	v_add3_u32 v9, v7, v9, 0x7fff
	s_delay_alu instid0(VALU_DEP_1) | instskip(NEXT) | instid1(VALU_DEP_1)
	v_lshrrev_b32_e32 v9, 16, v9
	v_cndmask_b32_e32 v12, 0x7fc0, v9, vcc_lo
	s_branch .LBB167_2688
.LBB167_2686:
	s_mov_b32 s0, -1
                                        ; implicit-def: $vgpr12
	s_branch .LBB167_2691
.LBB167_2687:
	s_mov_b32 s0, -1
                                        ; implicit-def: $vgpr12
.LBB167_2688:
	s_delay_alu instid0(SALU_CYCLE_1)
	s_and_not1_b32 vcc_lo, exec_lo, s0
	s_cbranch_vccnz .LBB167_2690
; %bb.2689:
	global_load_b32 v7, v[10:11], off
	s_wait_loadcnt 0x0
	v_bfe_u32 v9, v7, 16, 1
	v_cmp_o_f32_e32 vcc_lo, v7, v7
	s_delay_alu instid0(VALU_DEP_2) | instskip(NEXT) | instid1(VALU_DEP_1)
	v_add3_u32 v9, v7, v9, 0x7fff
	v_lshrrev_b32_e32 v9, 16, v9
	s_wait_xcnt 0x1
	s_delay_alu instid0(VALU_DEP_1)
	v_cndmask_b32_e32 v12, 0x7fc0, v9, vcc_lo
.LBB167_2690:
	s_mov_b32 s0, 0
.LBB167_2691:
	s_delay_alu instid0(SALU_CYCLE_1)
	s_and_not1_b32 vcc_lo, exec_lo, s0
	s_cbranch_vccnz .LBB167_2693
; %bb.2692:
	global_load_u16 v7, v[10:11], off
	s_wait_loadcnt 0x0
	v_cvt_f32_f16_e32 v9, v7
	v_cmp_o_f16_e32 vcc_lo, v7, v7
	s_wait_xcnt 0x1
	s_delay_alu instid0(VALU_DEP_2) | instskip(NEXT) | instid1(VALU_DEP_1)
	v_bfe_u32 v12, v9, 16, 1
	v_add3_u32 v9, v9, v12, 0x7fff
	s_delay_alu instid0(VALU_DEP_1) | instskip(NEXT) | instid1(VALU_DEP_1)
	v_lshrrev_b32_e32 v9, 16, v9
	v_cndmask_b32_e32 v12, 0x7fc0, v9, vcc_lo
.LBB167_2693:
	s_mov_b32 s0, 0
.LBB167_2694:
	s_delay_alu instid0(SALU_CYCLE_1)
	s_and_not1_b32 vcc_lo, exec_lo, s0
	s_cbranch_vccnz .LBB167_2714
; %bb.2695:
	s_cmp_lt_i32 s10, 2
	s_cbranch_scc1 .LBB167_2699
; %bb.2696:
	s_cmp_lt_i32 s10, 3
	s_cbranch_scc1 .LBB167_2700
; %bb.2697:
	s_cmp_gt_i32 s10, 3
	s_cbranch_scc0 .LBB167_2701
; %bb.2698:
	s_wait_loadcnt 0x0
	global_load_b64 v[12:13], v[10:11], off
	s_mov_b32 s0, 0
	s_wait_loadcnt 0x0
	v_xor_b32_e32 v7, v12, v13
	v_cls_i32_e32 v9, v13
	s_delay_alu instid0(VALU_DEP_2) | instskip(NEXT) | instid1(VALU_DEP_1)
	v_ashrrev_i32_e32 v7, 31, v7
	v_add_nc_u32_e32 v7, 32, v7
	s_delay_alu instid0(VALU_DEP_1) | instskip(NEXT) | instid1(VALU_DEP_1)
	v_add_min_u32_e64 v7, v9, -1, v7
	v_lshlrev_b64_e32 v[12:13], v7, v[12:13]
	v_sub_nc_u32_e32 v7, 32, v7
	s_delay_alu instid0(VALU_DEP_2) | instskip(NEXT) | instid1(VALU_DEP_1)
	v_min_u32_e32 v9, 1, v12
	v_or_b32_e32 v9, v13, v9
	s_delay_alu instid0(VALU_DEP_1) | instskip(NEXT) | instid1(VALU_DEP_1)
	v_cvt_f32_i32_e32 v9, v9
	v_ldexp_f32 v7, v9, v7
	s_delay_alu instid0(VALU_DEP_1) | instskip(NEXT) | instid1(VALU_DEP_1)
	v_bfe_u32 v9, v7, 16, 1
	v_add3_u32 v7, v7, v9, 0x7fff
	s_delay_alu instid0(VALU_DEP_1)
	v_lshrrev_b32_e32 v12, 16, v7
	s_branch .LBB167_2702
.LBB167_2699:
	s_mov_b32 s0, -1
                                        ; implicit-def: $vgpr12
	s_branch .LBB167_2708
.LBB167_2700:
	s_mov_b32 s0, -1
                                        ; implicit-def: $vgpr12
	s_branch .LBB167_2705
.LBB167_2701:
	s_mov_b32 s0, -1
                                        ; implicit-def: $vgpr12
.LBB167_2702:
	s_delay_alu instid0(SALU_CYCLE_1)
	s_and_not1_b32 vcc_lo, exec_lo, s0
	s_cbranch_vccnz .LBB167_2704
; %bb.2703:
	global_load_b32 v7, v[10:11], off
	s_wait_loadcnt 0x0
	v_cvt_f32_i32_e32 v7, v7
	s_delay_alu instid0(VALU_DEP_1) | instskip(NEXT) | instid1(VALU_DEP_1)
	v_bfe_u32 v9, v7, 16, 1
	v_add3_u32 v7, v7, v9, 0x7fff
	s_wait_xcnt 0x1
	s_delay_alu instid0(VALU_DEP_1)
	v_lshrrev_b32_e32 v12, 16, v7
.LBB167_2704:
	s_mov_b32 s0, 0
.LBB167_2705:
	s_delay_alu instid0(SALU_CYCLE_1)
	s_and_not1_b32 vcc_lo, exec_lo, s0
	s_cbranch_vccnz .LBB167_2707
; %bb.2706:
	global_load_i16 v7, v[10:11], off
	s_wait_loadcnt 0x0
	v_cvt_f32_i32_e32 v7, v7
	s_delay_alu instid0(VALU_DEP_1) | instskip(NEXT) | instid1(VALU_DEP_1)
	v_bfe_u32 v9, v7, 16, 1
	v_add3_u32 v7, v7, v9, 0x7fff
	s_wait_xcnt 0x1
	s_delay_alu instid0(VALU_DEP_1)
	v_lshrrev_b32_e32 v12, 16, v7
.LBB167_2707:
	s_mov_b32 s0, 0
.LBB167_2708:
	s_delay_alu instid0(SALU_CYCLE_1)
	s_and_not1_b32 vcc_lo, exec_lo, s0
	s_cbranch_vccnz .LBB167_2714
; %bb.2709:
	s_cmp_gt_i32 s10, 0
	s_mov_b32 s0, 0
	s_cbranch_scc0 .LBB167_2711
; %bb.2710:
	global_load_i8 v7, v[10:11], off
	s_wait_loadcnt 0x0
	v_cvt_f32_i32_e32 v7, v7
	s_delay_alu instid0(VALU_DEP_1) | instskip(NEXT) | instid1(VALU_DEP_1)
	v_bfe_u32 v9, v7, 16, 1
	v_add3_u32 v7, v7, v9, 0x7fff
	s_wait_xcnt 0x1
	s_delay_alu instid0(VALU_DEP_1)
	v_lshrrev_b32_e32 v12, 16, v7
	s_branch .LBB167_2712
.LBB167_2711:
	s_mov_b32 s0, -1
                                        ; implicit-def: $vgpr12
.LBB167_2712:
	s_delay_alu instid0(SALU_CYCLE_1)
	s_and_not1_b32 vcc_lo, exec_lo, s0
	s_cbranch_vccnz .LBB167_2714
; %bb.2713:
	global_load_u8 v7, v[10:11], off
	s_wait_loadcnt 0x0
	v_cvt_f32_ubyte0_e32 v7, v7
	s_delay_alu instid0(VALU_DEP_1) | instskip(NEXT) | instid1(VALU_DEP_1)
	v_bfe_u32 v9, v7, 16, 1
	v_add3_u32 v7, v7, v9, 0x7fff
	s_wait_xcnt 0x1
	s_delay_alu instid0(VALU_DEP_1)
	v_lshrrev_b32_e32 v12, 16, v7
.LBB167_2714:
	s_mov_b32 s12, -1
.LBB167_2715:
	s_delay_alu instid0(SALU_CYCLE_1)
	s_and_not1_b32 vcc_lo, exec_lo, s12
	s_cbranch_vccnz .LBB167_3280
; %bb.2716:
	v_mov_b32_e32 v9, 0
	s_cmp_lt_i32 s11, 11
	s_delay_alu instid0(VALU_DEP_1)
	v_add_nc_u64_e32 v[8:9], s[4:5], v[8:9]
	s_cbranch_scc1 .LBB167_2723
; %bb.2717:
	s_cmp_gt_i32 s11, 25
	s_mov_b32 s1, 0
	s_cbranch_scc0 .LBB167_2724
; %bb.2718:
	s_cmp_gt_i32 s11, 28
	s_cbranch_scc0 .LBB167_2725
; %bb.2719:
	s_cmp_gt_i32 s11, 43
	s_cbranch_scc0 .LBB167_2726
; %bb.2720:
	s_cmp_gt_i32 s11, 45
	s_cbranch_scc0 .LBB167_2728
; %bb.2721:
	s_cmp_eq_u32 s11, 46
	s_mov_b32 s5, 0
	s_cbranch_scc0 .LBB167_2729
; %bb.2722:
	global_load_b32 v10, v[8:9], off
	s_mov_b32 s0, 0
	s_mov_b32 s4, -1
	s_branch .LBB167_2731
.LBB167_2723:
	s_mov_b32 s0, -1
	s_mov_b32 s4, 0
                                        ; implicit-def: $vgpr10
	s_branch .LBB167_2797
.LBB167_2724:
	s_mov_b32 s5, -1
	s_mov_b32 s4, 0
	s_mov_b32 s0, 0
                                        ; implicit-def: $vgpr10
	s_branch .LBB167_2760
.LBB167_2725:
	s_mov_b32 s5, -1
	s_mov_b32 s4, 0
	s_mov_b32 s0, 0
                                        ; implicit-def: $vgpr10
	s_branch .LBB167_2741
.LBB167_2726:
	s_mov_b32 s5, -1
	s_mov_b32 s4, 0
	s_mov_b32 s0, 0
                                        ; implicit-def: $vgpr10
	s_branch .LBB167_2736
.LBB167_2727:
	s_or_b32 s8, s8, exec_lo
	s_trap 2
	s_cbranch_execz .LBB167_2664
	s_branch .LBB167_2665
.LBB167_2728:
	s_mov_b32 s5, -1
	s_mov_b32 s4, 0
	s_mov_b32 s0, 0
	s_branch .LBB167_2730
.LBB167_2729:
	s_mov_b32 s0, -1
	s_mov_b32 s4, 0
.LBB167_2730:
                                        ; implicit-def: $vgpr10
.LBB167_2731:
	s_and_b32 vcc_lo, exec_lo, s5
	s_cbranch_vccz .LBB167_2735
; %bb.2732:
	s_cmp_eq_u32 s11, 44
	s_cbranch_scc0 .LBB167_2734
; %bb.2733:
	global_load_u8 v7, v[8:9], off
	s_mov_b32 s0, 0
	s_mov_b32 s4, -1
	s_wait_loadcnt 0x0
	s_wait_xcnt 0x1
	v_lshlrev_b32_e32 v10, 23, v7
	v_cmp_ne_u32_e32 vcc_lo, 0xff, v7
	s_delay_alu instid0(VALU_DEP_2) | instskip(SKIP_1) | instid1(VALU_DEP_2)
	v_cndmask_b32_e32 v10, 0x7f800001, v10, vcc_lo
	v_cmp_ne_u32_e32 vcc_lo, 0, v7
	v_cndmask_b32_e32 v7, 0x400000, v10, vcc_lo
	s_delay_alu instid0(VALU_DEP_1) | instskip(NEXT) | instid1(VALU_DEP_1)
	v_add_nc_u32_e32 v10, 0x7fff, v7
	v_lshrrev_b32_e32 v10, 16, v10
	v_cmp_o_f32_e32 vcc_lo, v7, v7
	s_delay_alu instid0(VALU_DEP_2)
	v_cndmask_b32_e32 v10, 0x7fc0, v10, vcc_lo
	s_branch .LBB167_2735
.LBB167_2734:
	s_mov_b32 s0, -1
                                        ; implicit-def: $vgpr10
.LBB167_2735:
	s_mov_b32 s5, 0
.LBB167_2736:
	s_delay_alu instid0(SALU_CYCLE_1)
	s_and_b32 vcc_lo, exec_lo, s5
	s_cbranch_vccz .LBB167_2740
; %bb.2737:
	s_cmp_eq_u32 s11, 29
	s_cbranch_scc0 .LBB167_2739
; %bb.2738:
	s_wait_loadcnt 0x0
	global_load_b64 v[10:11], v[8:9], off
	s_mov_b32 s0, 0
	s_mov_b32 s4, -1
	s_mov_b32 s5, 0
	s_wait_loadcnt 0x0
	v_clz_i32_u32_e32 v7, v11
	s_delay_alu instid0(VALU_DEP_1) | instskip(NEXT) | instid1(VALU_DEP_1)
	v_min_u32_e32 v7, 32, v7
	v_lshlrev_b64_e32 v[10:11], v7, v[10:11]
	v_sub_nc_u32_e32 v7, 32, v7
	s_delay_alu instid0(VALU_DEP_2) | instskip(NEXT) | instid1(VALU_DEP_1)
	v_min_u32_e32 v10, 1, v10
	v_or_b32_e32 v10, v11, v10
	s_delay_alu instid0(VALU_DEP_1) | instskip(NEXT) | instid1(VALU_DEP_1)
	v_cvt_f32_u32_e32 v10, v10
	v_ldexp_f32 v7, v10, v7
	s_delay_alu instid0(VALU_DEP_1) | instskip(NEXT) | instid1(VALU_DEP_1)
	v_bfe_u32 v10, v7, 16, 1
	v_add3_u32 v7, v7, v10, 0x7fff
	s_delay_alu instid0(VALU_DEP_1)
	v_lshrrev_b32_e32 v10, 16, v7
	s_branch .LBB167_2741
.LBB167_2739:
	s_mov_b32 s0, -1
                                        ; implicit-def: $vgpr10
.LBB167_2740:
	s_mov_b32 s5, 0
.LBB167_2741:
	s_delay_alu instid0(SALU_CYCLE_1)
	s_and_b32 vcc_lo, exec_lo, s5
	s_cbranch_vccz .LBB167_2759
; %bb.2742:
	s_cmp_lt_i32 s11, 27
	s_cbranch_scc1 .LBB167_2745
; %bb.2743:
	s_cmp_gt_i32 s11, 27
	s_cbranch_scc0 .LBB167_2746
; %bb.2744:
	global_load_b32 v7, v[8:9], off
	s_mov_b32 s4, 0
	s_wait_loadcnt 0x0
	v_cvt_f32_u32_e32 v7, v7
	s_wait_xcnt 0x1
	s_delay_alu instid0(VALU_DEP_1) | instskip(NEXT) | instid1(VALU_DEP_1)
	v_bfe_u32 v10, v7, 16, 1
	v_add3_u32 v7, v7, v10, 0x7fff
	s_delay_alu instid0(VALU_DEP_1)
	v_lshrrev_b32_e32 v10, 16, v7
	s_branch .LBB167_2747
.LBB167_2745:
	s_mov_b32 s4, -1
                                        ; implicit-def: $vgpr10
	s_branch .LBB167_2750
.LBB167_2746:
	s_mov_b32 s4, -1
                                        ; implicit-def: $vgpr10
.LBB167_2747:
	s_delay_alu instid0(SALU_CYCLE_1)
	s_and_not1_b32 vcc_lo, exec_lo, s4
	s_cbranch_vccnz .LBB167_2749
; %bb.2748:
	global_load_u16 v7, v[8:9], off
	s_wait_loadcnt 0x0
	v_cvt_f32_u32_e32 v7, v7
	s_wait_xcnt 0x1
	s_delay_alu instid0(VALU_DEP_1) | instskip(NEXT) | instid1(VALU_DEP_1)
	v_bfe_u32 v10, v7, 16, 1
	v_add3_u32 v7, v7, v10, 0x7fff
	s_delay_alu instid0(VALU_DEP_1)
	v_lshrrev_b32_e32 v10, 16, v7
.LBB167_2749:
	s_mov_b32 s4, 0
.LBB167_2750:
	s_delay_alu instid0(SALU_CYCLE_1)
	s_and_not1_b32 vcc_lo, exec_lo, s4
	s_cbranch_vccnz .LBB167_2758
; %bb.2751:
	global_load_u8 v7, v[8:9], off
	s_mov_b32 s4, 0
	s_mov_b32 s5, exec_lo
	s_wait_loadcnt 0x0
	v_cmpx_lt_i16_e32 0x7f, v7
	s_xor_b32 s5, exec_lo, s5
	s_cbranch_execz .LBB167_2772
; %bb.2752:
	s_mov_b32 s4, -1
	s_mov_b32 s10, exec_lo
	v_cmpx_eq_u16_e32 0x80, v7
; %bb.2753:
	s_xor_b32 s4, exec_lo, -1
; %bb.2754:
	s_or_b32 exec_lo, exec_lo, s10
	s_delay_alu instid0(SALU_CYCLE_1)
	s_and_b32 s4, s4, exec_lo
	s_or_saveexec_b32 s5, s5
	v_mov_b32_e32 v10, 0x7f800001
	s_xor_b32 exec_lo, exec_lo, s5
	s_cbranch_execnz .LBB167_2773
.LBB167_2755:
	s_or_b32 exec_lo, exec_lo, s5
	s_and_saveexec_b32 s5, s4
	s_cbranch_execz .LBB167_2757
.LBB167_2756:
	v_and_b32_e32 v10, 0xffff, v7
	s_delay_alu instid0(VALU_DEP_1) | instskip(SKIP_1) | instid1(VALU_DEP_2)
	v_and_b32_e32 v11, 7, v10
	v_bfe_u32 v17, v10, 3, 4
	v_clz_i32_u32_e32 v13, v11
	s_delay_alu instid0(VALU_DEP_2) | instskip(NEXT) | instid1(VALU_DEP_2)
	v_cmp_eq_u32_e32 vcc_lo, 0, v17
	v_min_u32_e32 v13, 32, v13
	s_delay_alu instid0(VALU_DEP_1) | instskip(NEXT) | instid1(VALU_DEP_1)
	v_subrev_nc_u32_e32 v15, 28, v13
	v_dual_lshlrev_b32 v10, v15, v10 :: v_dual_sub_nc_u32 v13, 29, v13
	s_delay_alu instid0(VALU_DEP_1) | instskip(NEXT) | instid1(VALU_DEP_1)
	v_dual_lshlrev_b32 v7, 24, v7 :: v_dual_bitop2_b32 v10, 7, v10 bitop3:0x40
	v_dual_cndmask_b32 v13, v17, v13 :: v_dual_cndmask_b32 v10, v11, v10
	s_delay_alu instid0(VALU_DEP_2) | instskip(NEXT) | instid1(VALU_DEP_2)
	v_and_b32_e32 v7, 0x80000000, v7
	v_lshl_add_u32 v11, v13, 23, 0x3b800000
	s_delay_alu instid0(VALU_DEP_3) | instskip(NEXT) | instid1(VALU_DEP_1)
	v_lshlrev_b32_e32 v10, 20, v10
	v_or3_b32 v10, v7, v11, v10
.LBB167_2757:
	s_or_b32 exec_lo, exec_lo, s5
	s_delay_alu instid0(VALU_DEP_1) | instskip(SKIP_1) | instid1(VALU_DEP_2)
	v_bfe_u32 v7, v10, 16, 1
	v_cmp_o_f32_e32 vcc_lo, v10, v10
	v_add3_u32 v7, v10, v7, 0x7fff
	s_delay_alu instid0(VALU_DEP_1) | instskip(NEXT) | instid1(VALU_DEP_1)
	v_lshrrev_b32_e32 v7, 16, v7
	v_cndmask_b32_e32 v10, 0x7fc0, v7, vcc_lo
.LBB167_2758:
	s_mov_b32 s4, -1
.LBB167_2759:
	s_mov_b32 s5, 0
.LBB167_2760:
	s_delay_alu instid0(SALU_CYCLE_1)
	s_and_b32 vcc_lo, exec_lo, s5
	s_cbranch_vccz .LBB167_2793
; %bb.2761:
	s_cmp_gt_i32 s11, 22
	s_cbranch_scc0 .LBB167_2771
; %bb.2762:
	s_cmp_lt_i32 s11, 24
	s_cbranch_scc1 .LBB167_2774
; %bb.2763:
	s_cmp_gt_i32 s11, 24
	s_cbranch_scc0 .LBB167_2775
; %bb.2764:
	global_load_u8 v7, v[8:9], off
	s_mov_b32 s4, exec_lo
	s_wait_loadcnt 0x0
	v_cmpx_lt_i16_e32 0x7f, v7
	s_xor_b32 s4, exec_lo, s4
	s_cbranch_execz .LBB167_2787
; %bb.2765:
	s_mov_b32 s1, -1
	s_mov_b32 s5, exec_lo
	v_cmpx_eq_u16_e32 0x80, v7
; %bb.2766:
	s_xor_b32 s1, exec_lo, -1
; %bb.2767:
	s_or_b32 exec_lo, exec_lo, s5
	s_delay_alu instid0(SALU_CYCLE_1)
	s_and_b32 s1, s1, exec_lo
	s_or_saveexec_b32 s4, s4
	v_mov_b32_e32 v10, 0x7f800001
	s_xor_b32 exec_lo, exec_lo, s4
	s_cbranch_execnz .LBB167_2788
.LBB167_2768:
	s_or_b32 exec_lo, exec_lo, s4
	s_and_saveexec_b32 s4, s1
	s_cbranch_execz .LBB167_2770
.LBB167_2769:
	v_and_b32_e32 v10, 0xffff, v7
	s_delay_alu instid0(VALU_DEP_1) | instskip(SKIP_1) | instid1(VALU_DEP_2)
	v_and_b32_e32 v11, 3, v10
	v_bfe_u32 v17, v10, 2, 5
	v_clz_i32_u32_e32 v13, v11
	s_delay_alu instid0(VALU_DEP_2) | instskip(NEXT) | instid1(VALU_DEP_2)
	v_cmp_eq_u32_e32 vcc_lo, 0, v17
	v_min_u32_e32 v13, 32, v13
	s_delay_alu instid0(VALU_DEP_1) | instskip(NEXT) | instid1(VALU_DEP_1)
	v_subrev_nc_u32_e32 v15, 29, v13
	v_dual_lshlrev_b32 v10, v15, v10 :: v_dual_sub_nc_u32 v13, 30, v13
	s_delay_alu instid0(VALU_DEP_1) | instskip(NEXT) | instid1(VALU_DEP_1)
	v_dual_lshlrev_b32 v7, 24, v7 :: v_dual_bitop2_b32 v10, 3, v10 bitop3:0x40
	v_dual_cndmask_b32 v13, v17, v13 :: v_dual_cndmask_b32 v10, v11, v10
	s_delay_alu instid0(VALU_DEP_2) | instskip(NEXT) | instid1(VALU_DEP_2)
	v_and_b32_e32 v7, 0x80000000, v7
	v_lshl_add_u32 v11, v13, 23, 0x37800000
	s_delay_alu instid0(VALU_DEP_3) | instskip(NEXT) | instid1(VALU_DEP_1)
	v_lshlrev_b32_e32 v10, 21, v10
	v_or3_b32 v10, v7, v11, v10
.LBB167_2770:
	s_or_b32 exec_lo, exec_lo, s4
	s_delay_alu instid0(VALU_DEP_1) | instskip(SKIP_2) | instid1(VALU_DEP_2)
	v_bfe_u32 v7, v10, 16, 1
	v_cmp_o_f32_e32 vcc_lo, v10, v10
	s_mov_b32 s1, 0
	v_add3_u32 v7, v10, v7, 0x7fff
	s_delay_alu instid0(VALU_DEP_1) | instskip(NEXT) | instid1(VALU_DEP_1)
	v_lshrrev_b32_e32 v7, 16, v7
	v_cndmask_b32_e32 v10, 0x7fc0, v7, vcc_lo
	s_branch .LBB167_2776
.LBB167_2771:
	s_mov_b32 s1, -1
                                        ; implicit-def: $vgpr10
	s_branch .LBB167_2782
.LBB167_2772:
	s_or_saveexec_b32 s5, s5
	v_mov_b32_e32 v10, 0x7f800001
	s_xor_b32 exec_lo, exec_lo, s5
	s_cbranch_execz .LBB167_2755
.LBB167_2773:
	v_cmp_ne_u16_e32 vcc_lo, 0, v7
	v_mov_b32_e32 v10, 0
	s_and_not1_b32 s4, s4, exec_lo
	s_and_b32 s10, vcc_lo, exec_lo
	s_delay_alu instid0(SALU_CYCLE_1)
	s_or_b32 s4, s4, s10
	s_or_b32 exec_lo, exec_lo, s5
	s_and_saveexec_b32 s5, s4
	s_cbranch_execnz .LBB167_2756
	s_branch .LBB167_2757
.LBB167_2774:
	s_mov_b32 s1, -1
                                        ; implicit-def: $vgpr10
	s_branch .LBB167_2779
.LBB167_2775:
	s_mov_b32 s1, -1
                                        ; implicit-def: $vgpr10
.LBB167_2776:
	s_delay_alu instid0(SALU_CYCLE_1)
	s_and_b32 vcc_lo, exec_lo, s1
	s_cbranch_vccz .LBB167_2778
; %bb.2777:
	global_load_u8 v7, v[8:9], off
	s_wait_loadcnt 0x0
	v_lshlrev_b32_e32 v7, 24, v7
	s_wait_xcnt 0x1
	s_delay_alu instid0(VALU_DEP_1) | instskip(NEXT) | instid1(VALU_DEP_1)
	v_and_b32_e32 v10, 0x7f000000, v7
	v_clz_i32_u32_e32 v11, v10
	v_cmp_ne_u32_e32 vcc_lo, 0, v10
	v_add_nc_u32_e32 v15, 0x1000000, v10
	s_delay_alu instid0(VALU_DEP_3) | instskip(NEXT) | instid1(VALU_DEP_1)
	v_min_u32_e32 v11, 32, v11
	v_sub_nc_u32_e64 v11, v11, 4 clamp
	s_delay_alu instid0(VALU_DEP_1) | instskip(NEXT) | instid1(VALU_DEP_1)
	v_dual_lshlrev_b32 v13, v11, v10 :: v_dual_lshlrev_b32 v11, 23, v11
	v_lshrrev_b32_e32 v13, 4, v13
	s_delay_alu instid0(VALU_DEP_1) | instskip(SKIP_1) | instid1(VALU_DEP_2)
	v_sub_nc_u32_e32 v11, v13, v11
	v_ashrrev_i32_e32 v13, 8, v15
	v_add_nc_u32_e32 v11, 0x3c000000, v11
	s_delay_alu instid0(VALU_DEP_1) | instskip(NEXT) | instid1(VALU_DEP_1)
	v_and_or_b32 v11, 0x7f800000, v13, v11
	v_cndmask_b32_e32 v10, 0, v11, vcc_lo
	s_delay_alu instid0(VALU_DEP_1) | instskip(SKIP_1) | instid1(VALU_DEP_2)
	v_and_or_b32 v7, 0x80000000, v7, v10
	v_bfe_u32 v10, v10, 16, 1
	v_cmp_o_f32_e32 vcc_lo, v7, v7
	s_delay_alu instid0(VALU_DEP_2) | instskip(NEXT) | instid1(VALU_DEP_1)
	v_add3_u32 v10, v7, v10, 0x7fff
	v_lshrrev_b32_e32 v10, 16, v10
	s_delay_alu instid0(VALU_DEP_1)
	v_cndmask_b32_e32 v10, 0x7fc0, v10, vcc_lo
.LBB167_2778:
	s_mov_b32 s1, 0
.LBB167_2779:
	s_delay_alu instid0(SALU_CYCLE_1)
	s_and_not1_b32 vcc_lo, exec_lo, s1
	s_cbranch_vccnz .LBB167_2781
; %bb.2780:
	global_load_u8 v7, v[8:9], off
	s_wait_loadcnt 0x0
	s_wait_xcnt 0x1
	v_lshlrev_b32_e32 v10, 25, v7
	v_lshlrev_b16 v7, 8, v7
	s_delay_alu instid0(VALU_DEP_1) | instskip(SKIP_1) | instid1(VALU_DEP_2)
	v_and_or_b32 v13, 0x7f00, v7, 0.5
	v_bfe_i32 v7, v7, 0, 16
	v_dual_add_f32 v13, -0.5, v13 :: v_dual_lshrrev_b32 v11, 4, v10
	v_cmp_gt_u32_e32 vcc_lo, 0x8000000, v10
	s_delay_alu instid0(VALU_DEP_2) | instskip(NEXT) | instid1(VALU_DEP_1)
	v_or_b32_e32 v11, 0x70000000, v11
	v_mul_f32_e32 v11, 0x7800000, v11
	s_delay_alu instid0(VALU_DEP_1) | instskip(NEXT) | instid1(VALU_DEP_1)
	v_cndmask_b32_e32 v10, v11, v13, vcc_lo
	v_and_or_b32 v7, 0x80000000, v7, v10
	v_bfe_u32 v10, v10, 16, 1
	s_delay_alu instid0(VALU_DEP_2) | instskip(NEXT) | instid1(VALU_DEP_2)
	v_cmp_o_f32_e32 vcc_lo, v7, v7
	v_add3_u32 v10, v7, v10, 0x7fff
	s_delay_alu instid0(VALU_DEP_1) | instskip(NEXT) | instid1(VALU_DEP_1)
	v_lshrrev_b32_e32 v10, 16, v10
	v_cndmask_b32_e32 v10, 0x7fc0, v10, vcc_lo
.LBB167_2781:
	s_mov_b32 s1, 0
	s_mov_b32 s4, -1
.LBB167_2782:
	s_and_not1_b32 vcc_lo, exec_lo, s1
	s_mov_b32 s1, 0
	s_cbranch_vccnz .LBB167_2793
; %bb.2783:
	s_cmp_gt_i32 s11, 14
	s_cbranch_scc0 .LBB167_2786
; %bb.2784:
	s_cmp_eq_u32 s11, 15
	s_cbranch_scc0 .LBB167_2789
; %bb.2785:
	s_wait_loadcnt 0x0
	global_load_u16 v10, v[8:9], off
	s_mov_b32 s0, 0
	s_mov_b32 s4, -1
	s_branch .LBB167_2791
.LBB167_2786:
	s_mov_b32 s1, -1
	s_branch .LBB167_2790
.LBB167_2787:
	s_or_saveexec_b32 s4, s4
	v_mov_b32_e32 v10, 0x7f800001
	s_xor_b32 exec_lo, exec_lo, s4
	s_cbranch_execz .LBB167_2768
.LBB167_2788:
	v_cmp_ne_u16_e32 vcc_lo, 0, v7
	v_mov_b32_e32 v10, 0
	s_and_not1_b32 s1, s1, exec_lo
	s_and_b32 s5, vcc_lo, exec_lo
	s_delay_alu instid0(SALU_CYCLE_1)
	s_or_b32 s1, s1, s5
	s_or_b32 exec_lo, exec_lo, s4
	s_and_saveexec_b32 s4, s1
	s_cbranch_execnz .LBB167_2769
	s_branch .LBB167_2770
.LBB167_2789:
	s_mov_b32 s0, -1
.LBB167_2790:
                                        ; implicit-def: $vgpr10
.LBB167_2791:
	s_and_b32 vcc_lo, exec_lo, s1
	s_mov_b32 s1, 0
	s_cbranch_vccz .LBB167_2793
; %bb.2792:
	s_cmp_lg_u32 s11, 11
	s_mov_b32 s1, -1
	s_cselect_b32 s0, -1, 0
.LBB167_2793:
	s_delay_alu instid0(SALU_CYCLE_1)
	s_and_b32 vcc_lo, exec_lo, s0
	s_cbranch_vccnz .LBB167_3326
; %bb.2794:
	s_and_not1_b32 vcc_lo, exec_lo, s1
	s_cbranch_vccnz .LBB167_2796
.LBB167_2795:
	global_load_u8 v7, v[8:9], off
	s_mov_b32 s4, -1
	s_wait_loadcnt 0x0
	v_cmp_ne_u16_e32 vcc_lo, 0, v7
	v_cndmask_b32_e64 v7, 0, 1.0, vcc_lo
	s_wait_xcnt 0x1
	s_delay_alu instid0(VALU_DEP_1)
	v_lshrrev_b32_e32 v10, 16, v7
.LBB167_2796:
	s_mov_b32 s0, 0
.LBB167_2797:
	s_delay_alu instid0(SALU_CYCLE_1)
	s_and_b32 vcc_lo, exec_lo, s0
	s_cbranch_vccz .LBB167_2846
; %bb.2798:
	s_cmp_lt_i32 s11, 5
	s_cbranch_scc1 .LBB167_2803
; %bb.2799:
	s_cmp_lt_i32 s11, 8
	s_cbranch_scc1 .LBB167_2804
	;; [unrolled: 3-line block ×3, first 2 shown]
; %bb.2801:
	s_cmp_gt_i32 s11, 9
	s_cbranch_scc0 .LBB167_2806
; %bb.2802:
	s_wait_loadcnt 0x0
	global_load_b64 v[10:11], v[8:9], off
	s_mov_b32 s0, 0
	s_wait_loadcnt 0x0
	v_cvt_f32_f64_e32 v7, v[10:11]
	s_delay_alu instid0(VALU_DEP_1) | instskip(SKIP_1) | instid1(VALU_DEP_2)
	v_bfe_u32 v10, v7, 16, 1
	v_cmp_o_f32_e32 vcc_lo, v7, v7
	v_add3_u32 v10, v7, v10, 0x7fff
	s_delay_alu instid0(VALU_DEP_1) | instskip(NEXT) | instid1(VALU_DEP_1)
	v_lshrrev_b32_e32 v10, 16, v10
	v_cndmask_b32_e32 v10, 0x7fc0, v10, vcc_lo
	s_branch .LBB167_2807
.LBB167_2803:
	s_mov_b32 s0, -1
                                        ; implicit-def: $vgpr10
	s_branch .LBB167_2825
.LBB167_2804:
	s_mov_b32 s0, -1
                                        ; implicit-def: $vgpr10
	s_branch .LBB167_2813
.LBB167_2805:
	s_mov_b32 s0, -1
                                        ; implicit-def: $vgpr10
	s_branch .LBB167_2810
.LBB167_2806:
	s_mov_b32 s0, -1
                                        ; implicit-def: $vgpr10
.LBB167_2807:
	s_delay_alu instid0(SALU_CYCLE_1)
	s_and_not1_b32 vcc_lo, exec_lo, s0
	s_cbranch_vccnz .LBB167_2809
; %bb.2808:
	global_load_b32 v7, v[8:9], off
	s_wait_loadcnt 0x0
	s_wait_xcnt 0x1
	v_bfe_u32 v10, v7, 16, 1
	v_cmp_o_f32_e32 vcc_lo, v7, v7
	s_delay_alu instid0(VALU_DEP_2) | instskip(NEXT) | instid1(VALU_DEP_1)
	v_add3_u32 v10, v7, v10, 0x7fff
	v_lshrrev_b32_e32 v10, 16, v10
	s_delay_alu instid0(VALU_DEP_1)
	v_cndmask_b32_e32 v10, 0x7fc0, v10, vcc_lo
.LBB167_2809:
	s_mov_b32 s0, 0
.LBB167_2810:
	s_delay_alu instid0(SALU_CYCLE_1)
	s_and_not1_b32 vcc_lo, exec_lo, s0
	s_cbranch_vccnz .LBB167_2812
; %bb.2811:
	global_load_b32 v7, v[8:9], off
	s_wait_loadcnt 0x0
	s_wait_xcnt 0x1
	v_cvt_f32_f16_e32 v10, v7
	v_cmp_o_f16_e32 vcc_lo, v7, v7
	s_delay_alu instid0(VALU_DEP_2) | instskip(NEXT) | instid1(VALU_DEP_1)
	v_bfe_u32 v11, v10, 16, 1
	v_add3_u32 v10, v10, v11, 0x7fff
	s_delay_alu instid0(VALU_DEP_1) | instskip(NEXT) | instid1(VALU_DEP_1)
	v_lshrrev_b32_e32 v10, 16, v10
	v_cndmask_b32_e32 v10, 0x7fc0, v10, vcc_lo
.LBB167_2812:
	s_mov_b32 s0, 0
.LBB167_2813:
	s_delay_alu instid0(SALU_CYCLE_1)
	s_and_not1_b32 vcc_lo, exec_lo, s0
	s_cbranch_vccnz .LBB167_2824
; %bb.2814:
	s_cmp_lt_i32 s11, 6
	s_cbranch_scc1 .LBB167_2817
; %bb.2815:
	s_cmp_gt_i32 s11, 6
	s_cbranch_scc0 .LBB167_2818
; %bb.2816:
	s_wait_loadcnt 0x0
	global_load_b64 v[10:11], v[8:9], off
	s_mov_b32 s0, 0
	s_wait_loadcnt 0x0
	v_cvt_f32_f64_e32 v7, v[10:11]
	s_delay_alu instid0(VALU_DEP_1) | instskip(SKIP_1) | instid1(VALU_DEP_2)
	v_bfe_u32 v10, v7, 16, 1
	v_cmp_o_f32_e32 vcc_lo, v7, v7
	v_add3_u32 v10, v7, v10, 0x7fff
	s_delay_alu instid0(VALU_DEP_1) | instskip(NEXT) | instid1(VALU_DEP_1)
	v_lshrrev_b32_e32 v10, 16, v10
	v_cndmask_b32_e32 v10, 0x7fc0, v10, vcc_lo
	s_branch .LBB167_2819
.LBB167_2817:
	s_mov_b32 s0, -1
                                        ; implicit-def: $vgpr10
	s_branch .LBB167_2822
.LBB167_2818:
	s_mov_b32 s0, -1
                                        ; implicit-def: $vgpr10
.LBB167_2819:
	s_delay_alu instid0(SALU_CYCLE_1)
	s_and_not1_b32 vcc_lo, exec_lo, s0
	s_cbranch_vccnz .LBB167_2821
; %bb.2820:
	global_load_b32 v7, v[8:9], off
	s_wait_loadcnt 0x0
	s_wait_xcnt 0x1
	v_bfe_u32 v10, v7, 16, 1
	v_cmp_o_f32_e32 vcc_lo, v7, v7
	s_delay_alu instid0(VALU_DEP_2) | instskip(NEXT) | instid1(VALU_DEP_1)
	v_add3_u32 v10, v7, v10, 0x7fff
	v_lshrrev_b32_e32 v10, 16, v10
	s_delay_alu instid0(VALU_DEP_1)
	v_cndmask_b32_e32 v10, 0x7fc0, v10, vcc_lo
.LBB167_2821:
	s_mov_b32 s0, 0
.LBB167_2822:
	s_delay_alu instid0(SALU_CYCLE_1)
	s_and_not1_b32 vcc_lo, exec_lo, s0
	s_cbranch_vccnz .LBB167_2824
; %bb.2823:
	global_load_u16 v7, v[8:9], off
	s_wait_loadcnt 0x0
	s_wait_xcnt 0x1
	v_cvt_f32_f16_e32 v10, v7
	v_cmp_o_f16_e32 vcc_lo, v7, v7
	s_delay_alu instid0(VALU_DEP_2) | instskip(NEXT) | instid1(VALU_DEP_1)
	v_bfe_u32 v11, v10, 16, 1
	v_add3_u32 v10, v10, v11, 0x7fff
	s_delay_alu instid0(VALU_DEP_1) | instskip(NEXT) | instid1(VALU_DEP_1)
	v_lshrrev_b32_e32 v10, 16, v10
	v_cndmask_b32_e32 v10, 0x7fc0, v10, vcc_lo
.LBB167_2824:
	s_mov_b32 s0, 0
.LBB167_2825:
	s_delay_alu instid0(SALU_CYCLE_1)
	s_and_not1_b32 vcc_lo, exec_lo, s0
	s_cbranch_vccnz .LBB167_2845
; %bb.2826:
	s_cmp_lt_i32 s11, 2
	s_cbranch_scc1 .LBB167_2830
; %bb.2827:
	s_cmp_lt_i32 s11, 3
	s_cbranch_scc1 .LBB167_2831
; %bb.2828:
	s_cmp_gt_i32 s11, 3
	s_cbranch_scc0 .LBB167_2832
; %bb.2829:
	s_wait_loadcnt 0x0
	global_load_b64 v[10:11], v[8:9], off
	s_mov_b32 s0, 0
	s_wait_loadcnt 0x0
	v_xor_b32_e32 v7, v10, v11
	v_cls_i32_e32 v13, v11
	s_delay_alu instid0(VALU_DEP_2) | instskip(NEXT) | instid1(VALU_DEP_1)
	v_ashrrev_i32_e32 v7, 31, v7
	v_add_nc_u32_e32 v7, 32, v7
	s_delay_alu instid0(VALU_DEP_1) | instskip(NEXT) | instid1(VALU_DEP_1)
	v_add_min_u32_e64 v7, v13, -1, v7
	v_lshlrev_b64_e32 v[10:11], v7, v[10:11]
	v_sub_nc_u32_e32 v7, 32, v7
	s_delay_alu instid0(VALU_DEP_2) | instskip(NEXT) | instid1(VALU_DEP_1)
	v_min_u32_e32 v10, 1, v10
	v_or_b32_e32 v10, v11, v10
	s_delay_alu instid0(VALU_DEP_1) | instskip(NEXT) | instid1(VALU_DEP_1)
	v_cvt_f32_i32_e32 v10, v10
	v_ldexp_f32 v7, v10, v7
	s_delay_alu instid0(VALU_DEP_1) | instskip(NEXT) | instid1(VALU_DEP_1)
	v_bfe_u32 v10, v7, 16, 1
	v_add3_u32 v7, v7, v10, 0x7fff
	s_delay_alu instid0(VALU_DEP_1)
	v_lshrrev_b32_e32 v10, 16, v7
	s_branch .LBB167_2833
.LBB167_2830:
	s_mov_b32 s0, -1
                                        ; implicit-def: $vgpr10
	s_branch .LBB167_2839
.LBB167_2831:
	s_mov_b32 s0, -1
                                        ; implicit-def: $vgpr10
	s_branch .LBB167_2836
.LBB167_2832:
	s_mov_b32 s0, -1
                                        ; implicit-def: $vgpr10
.LBB167_2833:
	s_delay_alu instid0(SALU_CYCLE_1)
	s_and_not1_b32 vcc_lo, exec_lo, s0
	s_cbranch_vccnz .LBB167_2835
; %bb.2834:
	global_load_b32 v7, v[8:9], off
	s_wait_loadcnt 0x0
	v_cvt_f32_i32_e32 v7, v7
	s_wait_xcnt 0x1
	s_delay_alu instid0(VALU_DEP_1) | instskip(NEXT) | instid1(VALU_DEP_1)
	v_bfe_u32 v10, v7, 16, 1
	v_add3_u32 v7, v7, v10, 0x7fff
	s_delay_alu instid0(VALU_DEP_1)
	v_lshrrev_b32_e32 v10, 16, v7
.LBB167_2835:
	s_mov_b32 s0, 0
.LBB167_2836:
	s_delay_alu instid0(SALU_CYCLE_1)
	s_and_not1_b32 vcc_lo, exec_lo, s0
	s_cbranch_vccnz .LBB167_2838
; %bb.2837:
	global_load_i16 v7, v[8:9], off
	s_wait_loadcnt 0x0
	v_cvt_f32_i32_e32 v7, v7
	s_wait_xcnt 0x1
	s_delay_alu instid0(VALU_DEP_1) | instskip(NEXT) | instid1(VALU_DEP_1)
	v_bfe_u32 v10, v7, 16, 1
	v_add3_u32 v7, v7, v10, 0x7fff
	s_delay_alu instid0(VALU_DEP_1)
	v_lshrrev_b32_e32 v10, 16, v7
.LBB167_2838:
	s_mov_b32 s0, 0
.LBB167_2839:
	s_delay_alu instid0(SALU_CYCLE_1)
	s_and_not1_b32 vcc_lo, exec_lo, s0
	s_cbranch_vccnz .LBB167_2845
; %bb.2840:
	s_cmp_gt_i32 s11, 0
	s_mov_b32 s0, 0
	s_cbranch_scc0 .LBB167_2842
; %bb.2841:
	global_load_i8 v7, v[8:9], off
	s_wait_loadcnt 0x0
	v_cvt_f32_i32_e32 v7, v7
	s_wait_xcnt 0x1
	s_delay_alu instid0(VALU_DEP_1) | instskip(NEXT) | instid1(VALU_DEP_1)
	v_bfe_u32 v10, v7, 16, 1
	v_add3_u32 v7, v7, v10, 0x7fff
	s_delay_alu instid0(VALU_DEP_1)
	v_lshrrev_b32_e32 v10, 16, v7
	s_branch .LBB167_2843
.LBB167_2842:
	s_mov_b32 s0, -1
                                        ; implicit-def: $vgpr10
.LBB167_2843:
	s_delay_alu instid0(SALU_CYCLE_1)
	s_and_not1_b32 vcc_lo, exec_lo, s0
	s_cbranch_vccnz .LBB167_2845
; %bb.2844:
	global_load_u8 v7, v[8:9], off
	s_wait_loadcnt 0x0
	v_cvt_f32_ubyte0_e32 v7, v7
	s_wait_xcnt 0x0
	s_delay_alu instid0(VALU_DEP_1) | instskip(NEXT) | instid1(VALU_DEP_1)
	v_bfe_u32 v8, v7, 16, 1
	v_add3_u32 v7, v7, v8, 0x7fff
	s_delay_alu instid0(VALU_DEP_1)
	v_lshrrev_b32_e32 v10, 16, v7
.LBB167_2845:
	s_mov_b32 s4, -1
.LBB167_2846:
	s_delay_alu instid0(SALU_CYCLE_1)
	s_and_not1_b32 vcc_lo, exec_lo, s4
	s_cbranch_vccnz .LBB167_3280
; %bb.2847:
	v_dual_mov_b32 v7, 0 :: v_dual_lshlrev_b32 v1, 16, v1
	s_lshl_b32 s0, s9, 16
	s_wait_loadcnt 0x0
	v_lshlrev_b32_e32 v3, 16, v3
	global_load_u8 v8, v7, s[2:3] offset:490
	v_mul_f32_e32 v1, s0, v1
	s_wait_xcnt 0x0
	s_load_b64 s[2:3], s[2:3], 0x1c8
	s_delay_alu instid0(VALU_DEP_1) | instskip(SKIP_1) | instid1(VALU_DEP_2)
	v_bfe_u32 v9, v1, 16, 1
	v_cmp_o_f32_e32 vcc_lo, v1, v1
	v_add3_u32 v9, v1, v9, 0x7fff
	s_delay_alu instid0(VALU_DEP_1) | instskip(NEXT) | instid1(VALU_DEP_1)
	v_and_b32_e32 v9, 0xffff0000, v9
	v_cndmask_b32_e32 v1, 0x7fc00000, v9, vcc_lo
	s_wait_kmcnt 0x0
	v_add_nc_u64_e32 v[6:7], s[2:3], v[6:7]
	s_delay_alu instid0(VALU_DEP_2) | instskip(NEXT) | instid1(VALU_DEP_1)
	v_mul_f32_e32 v3, v1, v3
	v_bfe_u32 v1, v3, 16, 1
	s_delay_alu instid0(VALU_DEP_1) | instskip(SKIP_2) | instid1(VALU_DEP_3)
	v_add3_u32 v9, v3, v1, 0x7fff
	v_mov_b32_e32 v1, s0
	v_cmp_o_f32_e64 s0, v3, v3
	v_lshrrev_b32_e32 v9, 16, v9
	s_delay_alu instid0(VALU_DEP_1) | instskip(SKIP_3) | instid1(VALU_DEP_2)
	v_cndmask_b32_e64 v3, 0x7fc0, v9, s0
	s_wait_loadcnt 0x0
	v_and_b32_e32 v11, 0xffff, v8
	v_readfirstlane_b32 s1, v8
	v_cmp_gt_i32_e32 vcc_lo, 11, v11
	s_cbranch_vccnz .LBB167_2925
; %bb.2848:
	s_and_b32 s4, 0xffff, s1
	s_mov_b32 s10, -1
	s_mov_b32 s5, 0
	s_cmp_gt_i32 s4, 25
	s_mov_b32 s9, 0
	s_mov_b32 s0, 0
	s_cbranch_scc0 .LBB167_2881
; %bb.2849:
	s_cmp_gt_i32 s4, 28
	s_cbranch_scc0 .LBB167_2864
; %bb.2850:
	s_cmp_gt_i32 s4, 43
	;; [unrolled: 3-line block ×3, first 2 shown]
	s_cbranch_scc0 .LBB167_2854
; %bb.2852:
	s_mov_b32 s0, -1
	s_mov_b32 s10, 0
	s_cmp_eq_u32 s4, 46
	s_cbranch_scc0 .LBB167_2854
; %bb.2853:
	v_and_b32_e32 v8, 0xffff, v3
	s_mov_b32 s0, 0
	s_mov_b32 s9, -1
	global_store_b32 v[6:7], v8, off
.LBB167_2854:
	s_and_b32 vcc_lo, exec_lo, s10
	s_cbranch_vccz .LBB167_2859
; %bb.2855:
	s_cmp_eq_u32 s4, 44
	s_mov_b32 s0, -1
	s_cbranch_scc0 .LBB167_2859
; %bb.2856:
	s_wait_xcnt 0x0
	v_and_b32_e32 v8, 0xffff, v3
	v_mov_b32_e32 v9, 0xff
	s_mov_b32 s9, exec_lo
	s_delay_alu instid0(VALU_DEP_2) | instskip(NEXT) | instid1(VALU_DEP_1)
	v_bfe_u32 v11, v8, 7, 8
	v_cmpx_ne_u32_e32 0xff, v11
	s_cbranch_execz .LBB167_2858
; %bb.2857:
	v_dual_lshlrev_b32 v9, 16, v8 :: v_dual_bitop2_b32 v13, 64, v8 bitop3:0x40
	v_lshrrev_b32_e32 v8, 7, v8
	s_delay_alu instid0(VALU_DEP_2) | instskip(NEXT) | instid1(VALU_DEP_3)
	v_and_or_b32 v9, 0x3f0000, v9, v11
	v_cmp_ne_u32_e32 vcc_lo, 0, v13
	s_delay_alu instid0(VALU_DEP_2) | instskip(SKIP_1) | instid1(SALU_CYCLE_1)
	v_cmp_ne_u32_e64 s0, 0, v9
	s_and_b32 s0, vcc_lo, s0
	v_cndmask_b32_e64 v9, 0, 1, s0
	s_delay_alu instid0(VALU_DEP_1)
	v_add_nc_u32_e32 v9, v8, v9
.LBB167_2858:
	s_or_b32 exec_lo, exec_lo, s9
	s_mov_b32 s0, 0
	s_mov_b32 s9, -1
	global_store_b8 v[6:7], v9, off
.LBB167_2859:
	s_mov_b32 s10, 0
.LBB167_2860:
	s_delay_alu instid0(SALU_CYCLE_1)
	s_and_b32 vcc_lo, exec_lo, s10
	s_cbranch_vccz .LBB167_2863
; %bb.2861:
	s_cmp_eq_u32 s4, 29
	s_mov_b32 s0, -1
	s_cbranch_scc0 .LBB167_2863
; %bb.2862:
	s_wait_xcnt 0x0
	v_lshlrev_b32_e32 v8, 16, v3
	s_mov_b32 s0, 0
	s_mov_b32 s9, -1
	s_delay_alu instid0(VALU_DEP_1) | instskip(NEXT) | instid1(VALU_DEP_1)
	v_trunc_f32_e32 v8, v8
	v_mul_f32_e32 v9, 0x2f800000, v8
	s_delay_alu instid0(VALU_DEP_1) | instskip(NEXT) | instid1(VALU_DEP_1)
	v_floor_f32_e32 v9, v9
	v_fmamk_f32 v8, v9, 0xcf800000, v8
	v_cvt_u32_f32_e32 v9, v9
	s_delay_alu instid0(VALU_DEP_2)
	v_cvt_u32_f32_e32 v8, v8
	global_store_b64 v[6:7], v[8:9], off
.LBB167_2863:
	s_mov_b32 s10, 0
.LBB167_2864:
	s_delay_alu instid0(SALU_CYCLE_1)
	s_and_b32 vcc_lo, exec_lo, s10
	s_cbranch_vccz .LBB167_2880
; %bb.2865:
	s_cmp_lt_i32 s4, 27
	s_mov_b32 s9, -1
	s_cbranch_scc1 .LBB167_2871
; %bb.2866:
	s_cmp_gt_i32 s4, 27
	s_cbranch_scc0 .LBB167_2868
; %bb.2867:
	s_wait_xcnt 0x0
	v_lshlrev_b32_e32 v8, 16, v3
	s_mov_b32 s9, 0
	s_delay_alu instid0(VALU_DEP_1)
	v_cvt_u32_f32_e32 v8, v8
	global_store_b32 v[6:7], v8, off
.LBB167_2868:
	s_and_not1_b32 vcc_lo, exec_lo, s9
	s_cbranch_vccnz .LBB167_2870
; %bb.2869:
	s_wait_xcnt 0x0
	v_lshlrev_b32_e32 v8, 16, v3
	s_delay_alu instid0(VALU_DEP_1)
	v_cvt_u32_f32_e32 v8, v8
	global_store_b16 v[6:7], v8, off
.LBB167_2870:
	s_mov_b32 s9, 0
.LBB167_2871:
	s_delay_alu instid0(SALU_CYCLE_1)
	s_and_not1_b32 vcc_lo, exec_lo, s9
	s_cbranch_vccnz .LBB167_2879
; %bb.2872:
	v_lshlrev_b32_e32 v11, 16, v3
	v_mov_b32_e32 v13, 0x80
	s_mov_b32 s9, exec_lo
	s_wait_xcnt 0x0
	s_delay_alu instid0(VALU_DEP_2) | instskip(NEXT) | instid1(VALU_DEP_1)
	v_and_b32_e32 v9, 0x7fffffff, v11
	v_cmpx_gt_u32_e32 0x43800000, v9
	s_cbranch_execz .LBB167_2878
; %bb.2873:
	v_and_b32_e32 v8, 0xffff, v3
	v_cmp_lt_u32_e32 vcc_lo, 0x3bffffff, v9
	s_mov_b32 s10, 0
                                        ; implicit-def: $vgpr9
	s_and_saveexec_b32 s11, vcc_lo
	s_delay_alu instid0(SALU_CYCLE_1)
	s_xor_b32 s11, exec_lo, s11
	s_cbranch_execz .LBB167_3327
; %bb.2874:
	v_bfe_u32 v9, v8, 4, 1
	s_mov_b32 s10, exec_lo
	s_delay_alu instid0(VALU_DEP_1) | instskip(NEXT) | instid1(VALU_DEP_1)
	v_add3_u32 v9, v11, v9, 0x487ffff
                                        ; implicit-def: $vgpr11
	v_lshrrev_b32_e32 v9, 20, v9
	s_and_not1_saveexec_b32 s11, s11
	s_cbranch_execnz .LBB167_3328
.LBB167_2875:
	s_or_b32 exec_lo, exec_lo, s11
	v_mov_b32_e32 v13, 0
	s_and_saveexec_b32 s11, s10
.LBB167_2876:
	v_lshrrev_b32_e32 v8, 8, v8
	s_delay_alu instid0(VALU_DEP_1)
	v_and_or_b32 v13, 0x80, v8, v9
.LBB167_2877:
	s_or_b32 exec_lo, exec_lo, s11
.LBB167_2878:
	s_delay_alu instid0(SALU_CYCLE_1)
	s_or_b32 exec_lo, exec_lo, s9
	global_store_b8 v[6:7], v13, off
.LBB167_2879:
	s_mov_b32 s9, -1
.LBB167_2880:
	s_mov_b32 s10, 0
.LBB167_2881:
	s_delay_alu instid0(SALU_CYCLE_1)
	s_and_b32 vcc_lo, exec_lo, s10
	s_cbranch_vccz .LBB167_2921
; %bb.2882:
	s_cmp_gt_i32 s4, 22
	s_mov_b32 s5, -1
	s_cbranch_scc0 .LBB167_2914
; %bb.2883:
	s_cmp_lt_i32 s4, 24
	s_cbranch_scc1 .LBB167_2903
; %bb.2884:
	s_cmp_gt_i32 s4, 24
	s_cbranch_scc0 .LBB167_2892
; %bb.2885:
	v_lshlrev_b32_e32 v11, 16, v3
	s_wait_xcnt 0x0
	v_mov_b32_e32 v13, 0x80
	s_mov_b32 s5, exec_lo
	s_delay_alu instid0(VALU_DEP_2) | instskip(NEXT) | instid1(VALU_DEP_1)
	v_and_b32_e32 v9, 0x7fffffff, v11
	v_cmpx_gt_u32_e32 0x47800000, v9
	s_cbranch_execz .LBB167_2891
; %bb.2886:
	v_and_b32_e32 v8, 0xffff, v3
	v_cmp_lt_u32_e32 vcc_lo, 0x37ffffff, v9
	s_mov_b32 s9, 0
                                        ; implicit-def: $vgpr9
	s_and_saveexec_b32 s10, vcc_lo
	s_delay_alu instid0(SALU_CYCLE_1)
	s_xor_b32 s10, exec_lo, s10
	s_cbranch_execz .LBB167_3330
; %bb.2887:
	v_bfe_u32 v9, v8, 5, 1
	s_mov_b32 s9, exec_lo
	s_delay_alu instid0(VALU_DEP_1) | instskip(NEXT) | instid1(VALU_DEP_1)
	v_add3_u32 v9, v11, v9, 0x88fffff
                                        ; implicit-def: $vgpr11
	v_lshrrev_b32_e32 v9, 21, v9
	s_and_not1_saveexec_b32 s10, s10
	s_cbranch_execnz .LBB167_3331
.LBB167_2888:
	s_or_b32 exec_lo, exec_lo, s10
	v_mov_b32_e32 v13, 0
	s_and_saveexec_b32 s10, s9
.LBB167_2889:
	v_lshrrev_b32_e32 v8, 8, v8
	s_delay_alu instid0(VALU_DEP_1)
	v_and_or_b32 v13, 0x80, v8, v9
.LBB167_2890:
	s_or_b32 exec_lo, exec_lo, s10
.LBB167_2891:
	s_delay_alu instid0(SALU_CYCLE_1)
	s_or_b32 exec_lo, exec_lo, s5
	s_mov_b32 s5, 0
	global_store_b8 v[6:7], v13, off
.LBB167_2892:
	s_and_b32 vcc_lo, exec_lo, s5
	s_cbranch_vccz .LBB167_2902
; %bb.2893:
	v_lshlrev_b32_e32 v11, 16, v3
	s_wait_xcnt 0x0
	v_and_b32_e32 v8, 0xffff, v3
	s_mov_b32 s5, exec_lo
                                        ; implicit-def: $vgpr9
	s_delay_alu instid0(VALU_DEP_2) | instskip(NEXT) | instid1(VALU_DEP_1)
	v_and_b32_e32 v13, 0x7fffffff, v11
	v_cmpx_gt_u32_e32 0x43f00000, v13
	s_xor_b32 s5, exec_lo, s5
	s_cbranch_execz .LBB167_2899
; %bb.2894:
	s_mov_b32 s9, exec_lo
                                        ; implicit-def: $vgpr9
	v_cmpx_lt_u32_e32 0x3c7fffff, v13
	s_xor_b32 s9, exec_lo, s9
; %bb.2895:
	v_bfe_u32 v9, v8, 4, 1
	s_delay_alu instid0(VALU_DEP_1) | instskip(NEXT) | instid1(VALU_DEP_1)
	v_add3_u32 v9, v11, v9, 0x407ffff
	v_and_b32_e32 v11, 0xff00000, v9
	v_lshrrev_b32_e32 v9, 20, v9
	s_delay_alu instid0(VALU_DEP_2) | instskip(NEXT) | instid1(VALU_DEP_2)
	v_cmp_ne_u32_e32 vcc_lo, 0x7f00000, v11
                                        ; implicit-def: $vgpr11
	v_cndmask_b32_e32 v9, 0x7e, v9, vcc_lo
; %bb.2896:
	s_and_not1_saveexec_b32 s9, s9
; %bb.2897:
	v_add_f32_e64 v9, 0x46800000, |v11|
; %bb.2898:
	s_or_b32 exec_lo, exec_lo, s9
                                        ; implicit-def: $vgpr13
.LBB167_2899:
	s_and_not1_saveexec_b32 s5, s5
; %bb.2900:
	v_mov_b32_e32 v9, 0x7f
	v_cmp_lt_u32_e32 vcc_lo, 0x7f800000, v13
	s_delay_alu instid0(VALU_DEP_2)
	v_cndmask_b32_e32 v9, 0x7e, v9, vcc_lo
; %bb.2901:
	s_or_b32 exec_lo, exec_lo, s5
	v_lshrrev_b32_e32 v8, 8, v8
	s_delay_alu instid0(VALU_DEP_1)
	v_and_or_b32 v8, 0x80, v8, v9
	global_store_b8 v[6:7], v8, off
.LBB167_2902:
	s_mov_b32 s5, 0
.LBB167_2903:
	s_delay_alu instid0(SALU_CYCLE_1)
	s_and_not1_b32 vcc_lo, exec_lo, s5
	s_cbranch_vccnz .LBB167_2913
; %bb.2904:
	v_lshlrev_b32_e32 v11, 16, v3
	s_wait_xcnt 0x0
	v_and_b32_e32 v8, 0xffff, v3
	s_mov_b32 s5, exec_lo
                                        ; implicit-def: $vgpr9
	s_delay_alu instid0(VALU_DEP_2) | instskip(NEXT) | instid1(VALU_DEP_1)
	v_and_b32_e32 v13, 0x7fffffff, v11
	v_cmpx_gt_u32_e32 0x47800000, v13
	s_xor_b32 s5, exec_lo, s5
	s_cbranch_execz .LBB167_2910
; %bb.2905:
	s_mov_b32 s9, exec_lo
                                        ; implicit-def: $vgpr9
	v_cmpx_lt_u32_e32 0x387fffff, v13
	s_xor_b32 s9, exec_lo, s9
; %bb.2906:
	v_bfe_u32 v9, v8, 5, 1
	s_delay_alu instid0(VALU_DEP_1) | instskip(NEXT) | instid1(VALU_DEP_1)
	v_add3_u32 v9, v11, v9, 0x80fffff
                                        ; implicit-def: $vgpr11
	v_lshrrev_b32_e32 v9, 21, v9
; %bb.2907:
	s_and_not1_saveexec_b32 s9, s9
; %bb.2908:
	v_add_f32_e64 v9, 0x43000000, |v11|
; %bb.2909:
	s_or_b32 exec_lo, exec_lo, s9
                                        ; implicit-def: $vgpr13
.LBB167_2910:
	s_and_not1_saveexec_b32 s5, s5
; %bb.2911:
	v_mov_b32_e32 v9, 0x7f
	v_cmp_lt_u32_e32 vcc_lo, 0x7f800000, v13
	s_delay_alu instid0(VALU_DEP_2)
	v_cndmask_b32_e32 v9, 0x7c, v9, vcc_lo
; %bb.2912:
	s_or_b32 exec_lo, exec_lo, s5
	v_lshrrev_b32_e32 v8, 8, v8
	s_delay_alu instid0(VALU_DEP_1)
	v_and_or_b32 v8, 0x80, v8, v9
	global_store_b8 v[6:7], v8, off
.LBB167_2913:
	s_mov_b32 s5, 0
	s_mov_b32 s9, -1
.LBB167_2914:
	s_and_not1_b32 vcc_lo, exec_lo, s5
	s_mov_b32 s5, 0
	s_cbranch_vccnz .LBB167_2921
; %bb.2915:
	s_cmp_gt_i32 s4, 14
	s_mov_b32 s5, -1
	s_cbranch_scc0 .LBB167_2919
; %bb.2916:
	s_cmp_eq_u32 s4, 15
	s_mov_b32 s0, -1
	s_cbranch_scc0 .LBB167_2918
; %bb.2917:
	s_mov_b32 s0, 0
	s_mov_b32 s9, -1
	global_store_b16 v[6:7], v3, off
.LBB167_2918:
	s_mov_b32 s5, 0
.LBB167_2919:
	s_delay_alu instid0(SALU_CYCLE_1)
	s_and_b32 vcc_lo, exec_lo, s5
	s_mov_b32 s5, 0
	s_cbranch_vccz .LBB167_2921
; %bb.2920:
	s_cmp_lg_u32 s4, 11
	s_mov_b32 s5, -1
	s_cselect_b32 s0, -1, 0
.LBB167_2921:
	s_delay_alu instid0(SALU_CYCLE_1)
	s_and_b32 vcc_lo, exec_lo, s0
	s_cbranch_vccnz .LBB167_3329
; %bb.2922:
	s_and_not1_b32 vcc_lo, exec_lo, s5
	s_cbranch_vccnz .LBB167_2924
.LBB167_2923:
	s_wait_xcnt 0x0
	v_and_b32_e32 v8, 0x7fff, v3
	s_mov_b32 s9, -1
	s_delay_alu instid0(VALU_DEP_1)
	v_cmp_ne_u16_e32 vcc_lo, 0, v8
	v_cndmask_b32_e64 v8, 0, 1, vcc_lo
	global_store_b8 v[6:7], v8, off
.LBB167_2924:
	s_mov_b32 s0, 0
	s_branch .LBB167_2926
.LBB167_2925:
	s_mov_b32 s0, -1
	s_mov_b32 s9, 0
.LBB167_2926:
	s_and_b32 vcc_lo, exec_lo, s0
	s_cbranch_vccz .LBB167_2965
; %bb.2927:
	s_and_b32 s0, 0xffff, s1
	s_mov_b32 s4, -1
	s_cmp_lt_i32 s0, 5
	s_cbranch_scc1 .LBB167_2948
; %bb.2928:
	s_cmp_lt_i32 s0, 8
	s_cbranch_scc1 .LBB167_2938
; %bb.2929:
	;; [unrolled: 3-line block ×3, first 2 shown]
	s_cmp_gt_i32 s0, 9
	s_cbranch_scc0 .LBB167_2932
; %bb.2931:
	s_wait_xcnt 0x0
	v_dual_lshlrev_b32 v8, 16, v3 :: v_dual_mov_b32 v22, 0
	s_mov_b32 s4, 0
	s_delay_alu instid0(VALU_DEP_1) | instskip(NEXT) | instid1(VALU_DEP_2)
	v_cvt_f64_f32_e32 v[20:21], v8
	v_mov_b32_e32 v23, v22
	global_store_b128 v[6:7], v[20:23], off
.LBB167_2932:
	s_and_not1_b32 vcc_lo, exec_lo, s4
	s_cbranch_vccnz .LBB167_2934
; %bb.2933:
	s_wait_xcnt 0x0
	v_dual_mov_b32 v9, 0 :: v_dual_lshlrev_b32 v8, 16, v3
	global_store_b64 v[6:7], v[8:9], off
.LBB167_2934:
	s_mov_b32 s4, 0
.LBB167_2935:
	s_delay_alu instid0(SALU_CYCLE_1)
	s_and_not1_b32 vcc_lo, exec_lo, s4
	s_cbranch_vccnz .LBB167_2937
; %bb.2936:
	s_wait_xcnt 0x0
	v_lshlrev_b32_e32 v8, 16, v3
	s_delay_alu instid0(VALU_DEP_1) | instskip(NEXT) | instid1(VALU_DEP_1)
	v_cvt_f16_f32_e32 v8, v8
	v_and_b32_e32 v8, 0xffff, v8
	global_store_b32 v[6:7], v8, off
.LBB167_2937:
	s_mov_b32 s4, 0
.LBB167_2938:
	s_delay_alu instid0(SALU_CYCLE_1)
	s_and_not1_b32 vcc_lo, exec_lo, s4
	s_cbranch_vccnz .LBB167_2947
; %bb.2939:
	s_cmp_lt_i32 s0, 6
	s_mov_b32 s4, -1
	s_cbranch_scc1 .LBB167_2945
; %bb.2940:
	s_cmp_gt_i32 s0, 6
	s_cbranch_scc0 .LBB167_2942
; %bb.2941:
	s_wait_xcnt 0x0
	v_lshlrev_b32_e32 v8, 16, v3
	s_mov_b32 s4, 0
	s_delay_alu instid0(VALU_DEP_1)
	v_cvt_f64_f32_e32 v[8:9], v8
	global_store_b64 v[6:7], v[8:9], off
.LBB167_2942:
	s_and_not1_b32 vcc_lo, exec_lo, s4
	s_cbranch_vccnz .LBB167_2944
; %bb.2943:
	s_wait_xcnt 0x0
	v_lshlrev_b32_e32 v8, 16, v3
	global_store_b32 v[6:7], v8, off
.LBB167_2944:
	s_mov_b32 s4, 0
.LBB167_2945:
	s_delay_alu instid0(SALU_CYCLE_1)
	s_and_not1_b32 vcc_lo, exec_lo, s4
	s_cbranch_vccnz .LBB167_2947
; %bb.2946:
	s_wait_xcnt 0x0
	v_lshlrev_b32_e32 v8, 16, v3
	s_delay_alu instid0(VALU_DEP_1)
	v_cvt_f16_f32_e32 v8, v8
	global_store_b16 v[6:7], v8, off
.LBB167_2947:
	s_mov_b32 s4, 0
.LBB167_2948:
	s_delay_alu instid0(SALU_CYCLE_1)
	s_and_not1_b32 vcc_lo, exec_lo, s4
	s_cbranch_vccnz .LBB167_2964
; %bb.2949:
	s_cmp_lt_i32 s0, 2
	s_mov_b32 s4, -1
	s_cbranch_scc1 .LBB167_2959
; %bb.2950:
	s_cmp_lt_i32 s0, 3
	s_cbranch_scc1 .LBB167_2956
; %bb.2951:
	s_cmp_gt_i32 s0, 3
	s_cbranch_scc0 .LBB167_2953
; %bb.2952:
	s_wait_xcnt 0x0
	v_lshlrev_b32_e32 v8, 16, v3
	s_mov_b32 s4, 0
	s_delay_alu instid0(VALU_DEP_1) | instskip(NEXT) | instid1(VALU_DEP_1)
	v_trunc_f32_e32 v8, v8
	v_mul_f32_e64 v9, 0x2f800000, |v8|
	s_delay_alu instid0(VALU_DEP_1) | instskip(NEXT) | instid1(VALU_DEP_1)
	v_floor_f32_e32 v9, v9
	v_fma_f32 v11, 0xcf800000, v9, |v8|
	v_ashrrev_i32_e32 v8, 31, v8
	v_cvt_u32_f32_e32 v13, v9
	s_delay_alu instid0(VALU_DEP_3) | instskip(NEXT) | instid1(VALU_DEP_2)
	v_cvt_u32_f32_e32 v11, v11
	v_dual_mov_b32 v9, v8 :: v_dual_bitop2_b32 v21, v13, v8 bitop3:0x14
	s_delay_alu instid0(VALU_DEP_2) | instskip(NEXT) | instid1(VALU_DEP_1)
	v_xor_b32_e32 v20, v11, v8
	v_sub_nc_u64_e32 v[8:9], v[20:21], v[8:9]
	global_store_b64 v[6:7], v[8:9], off
.LBB167_2953:
	s_and_not1_b32 vcc_lo, exec_lo, s4
	s_cbranch_vccnz .LBB167_2955
; %bb.2954:
	s_wait_xcnt 0x0
	v_lshlrev_b32_e32 v8, 16, v3
	s_delay_alu instid0(VALU_DEP_1)
	v_cvt_i32_f32_e32 v8, v8
	global_store_b32 v[6:7], v8, off
.LBB167_2955:
	s_mov_b32 s4, 0
.LBB167_2956:
	s_delay_alu instid0(SALU_CYCLE_1)
	s_and_not1_b32 vcc_lo, exec_lo, s4
	s_cbranch_vccnz .LBB167_2958
; %bb.2957:
	s_wait_xcnt 0x0
	v_lshlrev_b32_e32 v8, 16, v3
	s_delay_alu instid0(VALU_DEP_1)
	v_cvt_i32_f32_e32 v8, v8
	global_store_b16 v[6:7], v8, off
.LBB167_2958:
	s_mov_b32 s4, 0
.LBB167_2959:
	s_delay_alu instid0(SALU_CYCLE_1)
	s_and_not1_b32 vcc_lo, exec_lo, s4
	s_cbranch_vccnz .LBB167_2964
; %bb.2960:
	s_wait_xcnt 0x0
	v_lshlrev_b32_e32 v3, 16, v3
	s_cmp_gt_i32 s0, 0
	s_mov_b32 s0, -1
	s_cbranch_scc0 .LBB167_2962
; %bb.2961:
	s_delay_alu instid0(VALU_DEP_1)
	v_cvt_i32_f32_e32 v8, v3
	s_mov_b32 s0, 0
	global_store_b8 v[6:7], v8, off
.LBB167_2962:
	s_and_not1_b32 vcc_lo, exec_lo, s0
	s_cbranch_vccnz .LBB167_2964
; %bb.2963:
	v_trunc_f32_e32 v3, v3
	s_wait_xcnt 0x0
	s_delay_alu instid0(VALU_DEP_1) | instskip(NEXT) | instid1(VALU_DEP_1)
	v_mul_f32_e64 v8, 0x2f800000, |v3|
	v_floor_f32_e32 v8, v8
	s_delay_alu instid0(VALU_DEP_1) | instskip(SKIP_1) | instid1(VALU_DEP_2)
	v_fma_f32 v8, 0xcf800000, v8, |v3|
	v_ashrrev_i32_e32 v3, 31, v3
	v_cvt_u32_f32_e32 v8, v8
	s_delay_alu instid0(VALU_DEP_1) | instskip(NEXT) | instid1(VALU_DEP_1)
	v_xor_b32_e32 v8, v8, v3
	v_sub_nc_u32_e32 v3, v8, v3
	global_store_b8 v[6:7], v3, off
.LBB167_2964:
	s_mov_b32 s9, -1
.LBB167_2965:
	s_delay_alu instid0(SALU_CYCLE_1)
	s_and_not1_b32 vcc_lo, exec_lo, s9
	s_cbranch_vccnz .LBB167_3280
; %bb.2966:
	s_wait_xcnt 0x0
	v_dual_lshlrev_b32 v3, 16, v5 :: v_dual_lshlrev_b32 v6, 16, v18
	s_and_b32 s4, 0xffff, s1
	s_delay_alu instid0(SALU_CYCLE_1) | instskip(NEXT) | instid1(VALU_DEP_1)
	s_cmp_lt_i32 s4, 11
	v_mul_f32_e32 v3, v1, v3
	s_delay_alu instid0(VALU_DEP_1) | instskip(SKIP_1) | instid1(VALU_DEP_2)
	v_bfe_u32 v5, v3, 16, 1
	v_cmp_o_f32_e32 vcc_lo, v3, v3
	v_add3_u32 v5, v3, v5, 0x7fff
	s_delay_alu instid0(VALU_DEP_1) | instskip(NEXT) | instid1(VALU_DEP_1)
	v_and_b32_e32 v5, 0xffff0000, v5
	v_cndmask_b32_e32 v3, 0x7fc00000, v5, vcc_lo
	s_delay_alu instid0(VALU_DEP_1) | instskip(NEXT) | instid1(VALU_DEP_1)
	v_mul_f32_e32 v3, v3, v6
	v_bfe_u32 v5, v3, 16, 1
	v_cmp_o_f32_e32 vcc_lo, v3, v3
	s_delay_alu instid0(VALU_DEP_2) | instskip(NEXT) | instid1(VALU_DEP_1)
	v_add3_u32 v6, v3, v5, 0x7fff
	v_dual_mov_b32 v5, 0 :: v_dual_lshrrev_b32 v6, 16, v6
	s_delay_alu instid0(VALU_DEP_1) | instskip(NEXT) | instid1(VALU_DEP_2)
	v_add_nc_u64_e32 v[4:5], s[2:3], v[4:5]
	v_cndmask_b32_e32 v3, 0x7fc0, v6, vcc_lo
	s_cbranch_scc1 .LBB167_3044
; %bb.2967:
	s_mov_b32 s10, -1
	s_mov_b32 s5, 0
	s_cmp_gt_i32 s4, 25
	s_mov_b32 s9, 0
	s_mov_b32 s0, 0
	s_cbranch_scc0 .LBB167_3000
; %bb.2968:
	s_cmp_gt_i32 s4, 28
	s_cbranch_scc0 .LBB167_2983
; %bb.2969:
	s_cmp_gt_i32 s4, 43
	;; [unrolled: 3-line block ×3, first 2 shown]
	s_cbranch_scc0 .LBB167_2973
; %bb.2971:
	s_mov_b32 s0, -1
	s_mov_b32 s10, 0
	s_cmp_eq_u32 s4, 46
	s_cbranch_scc0 .LBB167_2973
; %bb.2972:
	v_and_b32_e32 v6, 0xffff, v3
	s_mov_b32 s0, 0
	s_mov_b32 s9, -1
	global_store_b32 v[4:5], v6, off
.LBB167_2973:
	s_and_b32 vcc_lo, exec_lo, s10
	s_cbranch_vccz .LBB167_2978
; %bb.2974:
	s_cmp_eq_u32 s4, 44
	s_mov_b32 s0, -1
	s_cbranch_scc0 .LBB167_2978
; %bb.2975:
	s_wait_xcnt 0x0
	v_and_b32_e32 v6, 0xffff, v3
	v_mov_b32_e32 v7, 0xff
	s_mov_b32 s9, exec_lo
	s_delay_alu instid0(VALU_DEP_2) | instskip(NEXT) | instid1(VALU_DEP_1)
	v_bfe_u32 v8, v6, 7, 8
	v_cmpx_ne_u32_e32 0xff, v8
	s_cbranch_execz .LBB167_2977
; %bb.2976:
	v_dual_lshlrev_b32 v7, 16, v6 :: v_dual_bitop2_b32 v9, 64, v6 bitop3:0x40
	v_lshrrev_b32_e32 v6, 7, v6
	s_delay_alu instid0(VALU_DEP_2) | instskip(NEXT) | instid1(VALU_DEP_3)
	v_and_or_b32 v7, 0x3f0000, v7, v8
	v_cmp_ne_u32_e32 vcc_lo, 0, v9
	s_delay_alu instid0(VALU_DEP_2) | instskip(SKIP_1) | instid1(SALU_CYCLE_1)
	v_cmp_ne_u32_e64 s0, 0, v7
	s_and_b32 s0, vcc_lo, s0
	v_cndmask_b32_e64 v7, 0, 1, s0
	s_delay_alu instid0(VALU_DEP_1)
	v_add_nc_u32_e32 v7, v6, v7
.LBB167_2977:
	s_or_b32 exec_lo, exec_lo, s9
	s_mov_b32 s0, 0
	s_mov_b32 s9, -1
	global_store_b8 v[4:5], v7, off
.LBB167_2978:
	s_mov_b32 s10, 0
.LBB167_2979:
	s_delay_alu instid0(SALU_CYCLE_1)
	s_and_b32 vcc_lo, exec_lo, s10
	s_cbranch_vccz .LBB167_2982
; %bb.2980:
	s_cmp_eq_u32 s4, 29
	s_mov_b32 s0, -1
	s_cbranch_scc0 .LBB167_2982
; %bb.2981:
	s_wait_xcnt 0x0
	v_lshlrev_b32_e32 v6, 16, v3
	s_mov_b32 s0, 0
	s_mov_b32 s9, -1
	s_delay_alu instid0(VALU_DEP_1) | instskip(NEXT) | instid1(VALU_DEP_1)
	v_trunc_f32_e32 v6, v6
	v_mul_f32_e32 v7, 0x2f800000, v6
	s_delay_alu instid0(VALU_DEP_1) | instskip(NEXT) | instid1(VALU_DEP_1)
	v_floor_f32_e32 v7, v7
	v_fmamk_f32 v6, v7, 0xcf800000, v6
	v_cvt_u32_f32_e32 v7, v7
	s_delay_alu instid0(VALU_DEP_2)
	v_cvt_u32_f32_e32 v6, v6
	global_store_b64 v[4:5], v[6:7], off
.LBB167_2982:
	s_mov_b32 s10, 0
.LBB167_2983:
	s_delay_alu instid0(SALU_CYCLE_1)
	s_and_b32 vcc_lo, exec_lo, s10
	s_cbranch_vccz .LBB167_2999
; %bb.2984:
	s_cmp_lt_i32 s4, 27
	s_mov_b32 s9, -1
	s_cbranch_scc1 .LBB167_2990
; %bb.2985:
	s_cmp_gt_i32 s4, 27
	s_cbranch_scc0 .LBB167_2987
; %bb.2986:
	s_wait_xcnt 0x0
	v_lshlrev_b32_e32 v6, 16, v3
	s_mov_b32 s9, 0
	s_delay_alu instid0(VALU_DEP_1)
	v_cvt_u32_f32_e32 v6, v6
	global_store_b32 v[4:5], v6, off
.LBB167_2987:
	s_and_not1_b32 vcc_lo, exec_lo, s9
	s_cbranch_vccnz .LBB167_2989
; %bb.2988:
	s_wait_xcnt 0x0
	v_lshlrev_b32_e32 v6, 16, v3
	s_delay_alu instid0(VALU_DEP_1)
	v_cvt_u32_f32_e32 v6, v6
	global_store_b16 v[4:5], v6, off
.LBB167_2989:
	s_mov_b32 s9, 0
.LBB167_2990:
	s_delay_alu instid0(SALU_CYCLE_1)
	s_and_not1_b32 vcc_lo, exec_lo, s9
	s_cbranch_vccnz .LBB167_2998
; %bb.2991:
	v_dual_mov_b32 v9, 0x80 :: v_dual_lshlrev_b32 v8, 16, v3
	s_mov_b32 s9, exec_lo
	s_wait_xcnt 0x0
	s_delay_alu instid0(VALU_DEP_1) | instskip(NEXT) | instid1(VALU_DEP_1)
	v_and_b32_e32 v7, 0x7fffffff, v8
	v_cmpx_gt_u32_e32 0x43800000, v7
	s_cbranch_execz .LBB167_2997
; %bb.2992:
	v_and_b32_e32 v6, 0xffff, v3
	v_cmp_lt_u32_e32 vcc_lo, 0x3bffffff, v7
	s_mov_b32 s10, 0
                                        ; implicit-def: $vgpr7
	s_and_saveexec_b32 s11, vcc_lo
	s_delay_alu instid0(SALU_CYCLE_1)
	s_xor_b32 s11, exec_lo, s11
	s_cbranch_execz .LBB167_3332
; %bb.2993:
	v_bfe_u32 v7, v6, 4, 1
	s_mov_b32 s10, exec_lo
	s_delay_alu instid0(VALU_DEP_1) | instskip(NEXT) | instid1(VALU_DEP_1)
	v_add3_u32 v7, v8, v7, 0x487ffff
                                        ; implicit-def: $vgpr8
	v_lshrrev_b32_e32 v7, 20, v7
	s_and_not1_saveexec_b32 s11, s11
	s_cbranch_execnz .LBB167_3333
.LBB167_2994:
	s_or_b32 exec_lo, exec_lo, s11
	v_mov_b32_e32 v9, 0
	s_and_saveexec_b32 s11, s10
.LBB167_2995:
	v_lshrrev_b32_e32 v6, 8, v6
	s_delay_alu instid0(VALU_DEP_1)
	v_and_or_b32 v9, 0x80, v6, v7
.LBB167_2996:
	s_or_b32 exec_lo, exec_lo, s11
.LBB167_2997:
	s_delay_alu instid0(SALU_CYCLE_1)
	s_or_b32 exec_lo, exec_lo, s9
	global_store_b8 v[4:5], v9, off
.LBB167_2998:
	s_mov_b32 s9, -1
.LBB167_2999:
	s_mov_b32 s10, 0
.LBB167_3000:
	s_delay_alu instid0(SALU_CYCLE_1)
	s_and_b32 vcc_lo, exec_lo, s10
	s_cbranch_vccz .LBB167_3040
; %bb.3001:
	s_cmp_gt_i32 s4, 22
	s_mov_b32 s5, -1
	s_cbranch_scc0 .LBB167_3033
; %bb.3002:
	s_cmp_lt_i32 s4, 24
	s_cbranch_scc1 .LBB167_3022
; %bb.3003:
	s_cmp_gt_i32 s4, 24
	s_cbranch_scc0 .LBB167_3011
; %bb.3004:
	s_wait_xcnt 0x0
	v_dual_mov_b32 v9, 0x80 :: v_dual_lshlrev_b32 v8, 16, v3
	s_mov_b32 s5, exec_lo
	s_delay_alu instid0(VALU_DEP_1) | instskip(NEXT) | instid1(VALU_DEP_1)
	v_and_b32_e32 v7, 0x7fffffff, v8
	v_cmpx_gt_u32_e32 0x47800000, v7
	s_cbranch_execz .LBB167_3010
; %bb.3005:
	v_and_b32_e32 v6, 0xffff, v3
	v_cmp_lt_u32_e32 vcc_lo, 0x37ffffff, v7
	s_mov_b32 s9, 0
                                        ; implicit-def: $vgpr7
	s_and_saveexec_b32 s10, vcc_lo
	s_delay_alu instid0(SALU_CYCLE_1)
	s_xor_b32 s10, exec_lo, s10
	s_cbranch_execz .LBB167_3335
; %bb.3006:
	v_bfe_u32 v7, v6, 5, 1
	s_mov_b32 s9, exec_lo
	s_delay_alu instid0(VALU_DEP_1) | instskip(NEXT) | instid1(VALU_DEP_1)
	v_add3_u32 v7, v8, v7, 0x88fffff
                                        ; implicit-def: $vgpr8
	v_lshrrev_b32_e32 v7, 21, v7
	s_and_not1_saveexec_b32 s10, s10
	s_cbranch_execnz .LBB167_3336
.LBB167_3007:
	s_or_b32 exec_lo, exec_lo, s10
	v_mov_b32_e32 v9, 0
	s_and_saveexec_b32 s10, s9
.LBB167_3008:
	v_lshrrev_b32_e32 v6, 8, v6
	s_delay_alu instid0(VALU_DEP_1)
	v_and_or_b32 v9, 0x80, v6, v7
.LBB167_3009:
	s_or_b32 exec_lo, exec_lo, s10
.LBB167_3010:
	s_delay_alu instid0(SALU_CYCLE_1)
	s_or_b32 exec_lo, exec_lo, s5
	s_mov_b32 s5, 0
	global_store_b8 v[4:5], v9, off
.LBB167_3011:
	s_and_b32 vcc_lo, exec_lo, s5
	s_cbranch_vccz .LBB167_3021
; %bb.3012:
	v_lshlrev_b32_e32 v8, 16, v3
	s_wait_xcnt 0x0
	v_and_b32_e32 v6, 0xffff, v3
	s_mov_b32 s5, exec_lo
                                        ; implicit-def: $vgpr7
	s_delay_alu instid0(VALU_DEP_2) | instskip(NEXT) | instid1(VALU_DEP_1)
	v_and_b32_e32 v9, 0x7fffffff, v8
	v_cmpx_gt_u32_e32 0x43f00000, v9
	s_xor_b32 s5, exec_lo, s5
	s_cbranch_execz .LBB167_3018
; %bb.3013:
	s_mov_b32 s9, exec_lo
                                        ; implicit-def: $vgpr7
	v_cmpx_lt_u32_e32 0x3c7fffff, v9
	s_xor_b32 s9, exec_lo, s9
; %bb.3014:
	v_bfe_u32 v7, v6, 4, 1
	s_delay_alu instid0(VALU_DEP_1) | instskip(NEXT) | instid1(VALU_DEP_1)
	v_add3_u32 v7, v8, v7, 0x407ffff
	v_and_b32_e32 v8, 0xff00000, v7
	v_lshrrev_b32_e32 v7, 20, v7
	s_delay_alu instid0(VALU_DEP_2) | instskip(NEXT) | instid1(VALU_DEP_2)
	v_cmp_ne_u32_e32 vcc_lo, 0x7f00000, v8
                                        ; implicit-def: $vgpr8
	v_cndmask_b32_e32 v7, 0x7e, v7, vcc_lo
; %bb.3015:
	s_and_not1_saveexec_b32 s9, s9
; %bb.3016:
	v_add_f32_e64 v7, 0x46800000, |v8|
; %bb.3017:
	s_or_b32 exec_lo, exec_lo, s9
                                        ; implicit-def: $vgpr9
.LBB167_3018:
	s_and_not1_saveexec_b32 s5, s5
; %bb.3019:
	v_mov_b32_e32 v7, 0x7f
	v_cmp_lt_u32_e32 vcc_lo, 0x7f800000, v9
	s_delay_alu instid0(VALU_DEP_2)
	v_cndmask_b32_e32 v7, 0x7e, v7, vcc_lo
; %bb.3020:
	s_or_b32 exec_lo, exec_lo, s5
	v_lshrrev_b32_e32 v6, 8, v6
	s_delay_alu instid0(VALU_DEP_1)
	v_and_or_b32 v6, 0x80, v6, v7
	global_store_b8 v[4:5], v6, off
.LBB167_3021:
	s_mov_b32 s5, 0
.LBB167_3022:
	s_delay_alu instid0(SALU_CYCLE_1)
	s_and_not1_b32 vcc_lo, exec_lo, s5
	s_cbranch_vccnz .LBB167_3032
; %bb.3023:
	v_lshlrev_b32_e32 v8, 16, v3
	s_wait_xcnt 0x0
	v_and_b32_e32 v6, 0xffff, v3
	s_mov_b32 s5, exec_lo
                                        ; implicit-def: $vgpr7
	s_delay_alu instid0(VALU_DEP_2) | instskip(NEXT) | instid1(VALU_DEP_1)
	v_and_b32_e32 v9, 0x7fffffff, v8
	v_cmpx_gt_u32_e32 0x47800000, v9
	s_xor_b32 s5, exec_lo, s5
	s_cbranch_execz .LBB167_3029
; %bb.3024:
	s_mov_b32 s9, exec_lo
                                        ; implicit-def: $vgpr7
	v_cmpx_lt_u32_e32 0x387fffff, v9
	s_xor_b32 s9, exec_lo, s9
; %bb.3025:
	v_bfe_u32 v7, v6, 5, 1
	s_delay_alu instid0(VALU_DEP_1) | instskip(NEXT) | instid1(VALU_DEP_1)
	v_add3_u32 v7, v8, v7, 0x80fffff
                                        ; implicit-def: $vgpr8
	v_lshrrev_b32_e32 v7, 21, v7
; %bb.3026:
	s_and_not1_saveexec_b32 s9, s9
; %bb.3027:
	v_add_f32_e64 v7, 0x43000000, |v8|
; %bb.3028:
	s_or_b32 exec_lo, exec_lo, s9
                                        ; implicit-def: $vgpr9
.LBB167_3029:
	s_and_not1_saveexec_b32 s5, s5
; %bb.3030:
	v_mov_b32_e32 v7, 0x7f
	v_cmp_lt_u32_e32 vcc_lo, 0x7f800000, v9
	s_delay_alu instid0(VALU_DEP_2)
	v_cndmask_b32_e32 v7, 0x7c, v7, vcc_lo
; %bb.3031:
	s_or_b32 exec_lo, exec_lo, s5
	v_lshrrev_b32_e32 v6, 8, v6
	s_delay_alu instid0(VALU_DEP_1)
	v_and_or_b32 v6, 0x80, v6, v7
	global_store_b8 v[4:5], v6, off
.LBB167_3032:
	s_mov_b32 s5, 0
	s_mov_b32 s9, -1
.LBB167_3033:
	s_and_not1_b32 vcc_lo, exec_lo, s5
	s_mov_b32 s5, 0
	s_cbranch_vccnz .LBB167_3040
; %bb.3034:
	s_cmp_gt_i32 s4, 14
	s_mov_b32 s5, -1
	s_cbranch_scc0 .LBB167_3038
; %bb.3035:
	s_cmp_eq_u32 s4, 15
	s_mov_b32 s0, -1
	s_cbranch_scc0 .LBB167_3037
; %bb.3036:
	s_mov_b32 s0, 0
	s_mov_b32 s9, -1
	global_store_b16 v[4:5], v3, off
.LBB167_3037:
	s_mov_b32 s5, 0
.LBB167_3038:
	s_delay_alu instid0(SALU_CYCLE_1)
	s_and_b32 vcc_lo, exec_lo, s5
	s_mov_b32 s5, 0
	s_cbranch_vccz .LBB167_3040
; %bb.3039:
	s_cmp_lg_u32 s4, 11
	s_mov_b32 s5, -1
	s_cselect_b32 s0, -1, 0
.LBB167_3040:
	s_delay_alu instid0(SALU_CYCLE_1)
	s_and_b32 vcc_lo, exec_lo, s0
	s_cbranch_vccnz .LBB167_3334
; %bb.3041:
	s_and_not1_b32 vcc_lo, exec_lo, s5
	s_cbranch_vccnz .LBB167_3043
.LBB167_3042:
	s_wait_xcnt 0x0
	v_and_b32_e32 v6, 0x7fff, v3
	s_mov_b32 s9, -1
	s_delay_alu instid0(VALU_DEP_1)
	v_cmp_ne_u16_e32 vcc_lo, 0, v6
	v_cndmask_b32_e64 v6, 0, 1, vcc_lo
	global_store_b8 v[4:5], v6, off
.LBB167_3043:
	s_mov_b32 s0, 0
	s_branch .LBB167_3045
.LBB167_3044:
	s_mov_b32 s0, -1
	s_mov_b32 s9, 0
.LBB167_3045:
	s_and_b32 vcc_lo, exec_lo, s0
	s_cbranch_vccz .LBB167_3084
; %bb.3046:
	s_cmp_lt_i32 s4, 5
	s_mov_b32 s0, -1
	s_cbranch_scc1 .LBB167_3067
; %bb.3047:
	s_cmp_lt_i32 s4, 8
	s_cbranch_scc1 .LBB167_3057
; %bb.3048:
	s_cmp_lt_i32 s4, 9
	s_cbranch_scc1 .LBB167_3054
; %bb.3049:
	s_cmp_gt_i32 s4, 9
	s_cbranch_scc0 .LBB167_3051
; %bb.3050:
	s_wait_xcnt 0x0
	v_dual_lshlrev_b32 v6, 16, v3 :: v_dual_mov_b32 v8, 0
	s_mov_b32 s0, 0
	s_delay_alu instid0(VALU_DEP_1) | instskip(NEXT) | instid1(VALU_DEP_2)
	v_cvt_f64_f32_e32 v[6:7], v6
	v_mov_b32_e32 v9, v8
	global_store_b128 v[4:5], v[6:9], off
.LBB167_3051:
	s_and_not1_b32 vcc_lo, exec_lo, s0
	s_cbranch_vccnz .LBB167_3053
; %bb.3052:
	s_wait_xcnt 0x0
	v_dual_mov_b32 v7, 0 :: v_dual_lshlrev_b32 v6, 16, v3
	global_store_b64 v[4:5], v[6:7], off
.LBB167_3053:
	s_mov_b32 s0, 0
.LBB167_3054:
	s_delay_alu instid0(SALU_CYCLE_1)
	s_and_not1_b32 vcc_lo, exec_lo, s0
	s_cbranch_vccnz .LBB167_3056
; %bb.3055:
	s_wait_xcnt 0x0
	v_lshlrev_b32_e32 v6, 16, v3
	s_delay_alu instid0(VALU_DEP_1) | instskip(NEXT) | instid1(VALU_DEP_1)
	v_cvt_f16_f32_e32 v6, v6
	v_and_b32_e32 v6, 0xffff, v6
	global_store_b32 v[4:5], v6, off
.LBB167_3056:
	s_mov_b32 s0, 0
.LBB167_3057:
	s_delay_alu instid0(SALU_CYCLE_1)
	s_and_not1_b32 vcc_lo, exec_lo, s0
	s_cbranch_vccnz .LBB167_3066
; %bb.3058:
	s_cmp_lt_i32 s4, 6
	s_mov_b32 s0, -1
	s_cbranch_scc1 .LBB167_3064
; %bb.3059:
	s_cmp_gt_i32 s4, 6
	s_cbranch_scc0 .LBB167_3061
; %bb.3060:
	s_wait_xcnt 0x0
	v_lshlrev_b32_e32 v6, 16, v3
	s_mov_b32 s0, 0
	s_delay_alu instid0(VALU_DEP_1)
	v_cvt_f64_f32_e32 v[6:7], v6
	global_store_b64 v[4:5], v[6:7], off
.LBB167_3061:
	s_and_not1_b32 vcc_lo, exec_lo, s0
	s_cbranch_vccnz .LBB167_3063
; %bb.3062:
	s_wait_xcnt 0x0
	v_lshlrev_b32_e32 v6, 16, v3
	global_store_b32 v[4:5], v6, off
.LBB167_3063:
	s_mov_b32 s0, 0
.LBB167_3064:
	s_delay_alu instid0(SALU_CYCLE_1)
	s_and_not1_b32 vcc_lo, exec_lo, s0
	s_cbranch_vccnz .LBB167_3066
; %bb.3065:
	s_wait_xcnt 0x0
	v_lshlrev_b32_e32 v6, 16, v3
	s_delay_alu instid0(VALU_DEP_1)
	v_cvt_f16_f32_e32 v6, v6
	global_store_b16 v[4:5], v6, off
.LBB167_3066:
	s_mov_b32 s0, 0
.LBB167_3067:
	s_delay_alu instid0(SALU_CYCLE_1)
	s_and_not1_b32 vcc_lo, exec_lo, s0
	s_cbranch_vccnz .LBB167_3083
; %bb.3068:
	s_cmp_lt_i32 s4, 2
	s_mov_b32 s0, -1
	s_cbranch_scc1 .LBB167_3078
; %bb.3069:
	s_cmp_lt_i32 s4, 3
	s_cbranch_scc1 .LBB167_3075
; %bb.3070:
	s_cmp_gt_i32 s4, 3
	s_cbranch_scc0 .LBB167_3072
; %bb.3071:
	s_wait_xcnt 0x0
	v_lshlrev_b32_e32 v6, 16, v3
	s_mov_b32 s0, 0
	s_delay_alu instid0(VALU_DEP_1) | instskip(NEXT) | instid1(VALU_DEP_1)
	v_trunc_f32_e32 v6, v6
	v_mul_f32_e64 v7, 0x2f800000, |v6|
	s_delay_alu instid0(VALU_DEP_1) | instskip(NEXT) | instid1(VALU_DEP_1)
	v_floor_f32_e32 v7, v7
	v_fma_f32 v8, 0xcf800000, v7, |v6|
	v_ashrrev_i32_e32 v6, 31, v6
	v_cvt_u32_f32_e32 v9, v7
	s_delay_alu instid0(VALU_DEP_3) | instskip(NEXT) | instid1(VALU_DEP_2)
	v_cvt_u32_f32_e32 v8, v8
	v_dual_mov_b32 v7, v6 :: v_dual_bitop2_b32 v9, v9, v6 bitop3:0x14
	s_delay_alu instid0(VALU_DEP_2) | instskip(NEXT) | instid1(VALU_DEP_1)
	v_xor_b32_e32 v8, v8, v6
	v_sub_nc_u64_e32 v[6:7], v[8:9], v[6:7]
	global_store_b64 v[4:5], v[6:7], off
.LBB167_3072:
	s_and_not1_b32 vcc_lo, exec_lo, s0
	s_cbranch_vccnz .LBB167_3074
; %bb.3073:
	s_wait_xcnt 0x0
	v_lshlrev_b32_e32 v6, 16, v3
	s_delay_alu instid0(VALU_DEP_1)
	v_cvt_i32_f32_e32 v6, v6
	global_store_b32 v[4:5], v6, off
.LBB167_3074:
	s_mov_b32 s0, 0
.LBB167_3075:
	s_delay_alu instid0(SALU_CYCLE_1)
	s_and_not1_b32 vcc_lo, exec_lo, s0
	s_cbranch_vccnz .LBB167_3077
; %bb.3076:
	s_wait_xcnt 0x0
	v_lshlrev_b32_e32 v6, 16, v3
	s_delay_alu instid0(VALU_DEP_1)
	v_cvt_i32_f32_e32 v6, v6
	global_store_b16 v[4:5], v6, off
.LBB167_3077:
	s_mov_b32 s0, 0
.LBB167_3078:
	s_delay_alu instid0(SALU_CYCLE_1)
	s_and_not1_b32 vcc_lo, exec_lo, s0
	s_cbranch_vccnz .LBB167_3083
; %bb.3079:
	s_wait_xcnt 0x0
	v_lshlrev_b32_e32 v3, 16, v3
	s_cmp_gt_i32 s4, 0
	s_mov_b32 s0, -1
	s_cbranch_scc0 .LBB167_3081
; %bb.3080:
	s_delay_alu instid0(VALU_DEP_1)
	v_cvt_i32_f32_e32 v6, v3
	s_mov_b32 s0, 0
	global_store_b8 v[4:5], v6, off
.LBB167_3081:
	s_and_not1_b32 vcc_lo, exec_lo, s0
	s_cbranch_vccnz .LBB167_3083
; %bb.3082:
	v_trunc_f32_e32 v3, v3
	s_wait_xcnt 0x0
	s_delay_alu instid0(VALU_DEP_1) | instskip(NEXT) | instid1(VALU_DEP_1)
	v_mul_f32_e64 v6, 0x2f800000, |v3|
	v_floor_f32_e32 v6, v6
	s_delay_alu instid0(VALU_DEP_1) | instskip(SKIP_1) | instid1(VALU_DEP_2)
	v_fma_f32 v6, 0xcf800000, v6, |v3|
	v_ashrrev_i32_e32 v3, 31, v3
	v_cvt_u32_f32_e32 v6, v6
	s_delay_alu instid0(VALU_DEP_1) | instskip(NEXT) | instid1(VALU_DEP_1)
	v_xor_b32_e32 v6, v6, v3
	v_sub_nc_u32_e32 v3, v6, v3
	global_store_b8 v[4:5], v3, off
.LBB167_3083:
	s_mov_b32 s9, -1
.LBB167_3084:
	s_delay_alu instid0(SALU_CYCLE_1)
	s_and_not1_b32 vcc_lo, exec_lo, s9
	s_cbranch_vccnz .LBB167_3280
; %bb.3085:
	s_wait_xcnt 0x0
	v_lshlrev_b32_e32 v3, 16, v16
	s_cmp_lt_i32 s4, 11
	s_delay_alu instid0(VALU_DEP_1) | instskip(NEXT) | instid1(VALU_DEP_1)
	v_mul_f32_e32 v3, v1, v3
	v_bfe_u32 v4, v3, 16, 1
	v_cmp_o_f32_e32 vcc_lo, v3, v3
	s_delay_alu instid0(VALU_DEP_2) | instskip(NEXT) | instid1(VALU_DEP_1)
	v_add3_u32 v4, v3, v4, 0x7fff
	v_and_b32_e32 v4, 0xffff0000, v4
	s_delay_alu instid0(VALU_DEP_1) | instskip(NEXT) | instid1(VALU_DEP_1)
	v_dual_cndmask_b32 v3, 0x7fc00000, v4 :: v_dual_lshlrev_b32 v4, 16, v14
	v_mul_f32_e32 v4, v3, v4
	s_delay_alu instid0(VALU_DEP_1) | instskip(NEXT) | instid1(VALU_DEP_1)
	v_bfe_u32 v3, v4, 16, 1
	v_add3_u32 v5, v4, v3, 0x7fff
	v_mov_b32_e32 v3, 0
	v_cmp_o_f32_e32 vcc_lo, v4, v4
	s_delay_alu instid0(VALU_DEP_3) | instskip(NEXT) | instid1(VALU_DEP_3)
	v_lshrrev_b32_e32 v5, 16, v5
	v_add_nc_u64_e32 v[2:3], s[2:3], v[2:3]
	s_delay_alu instid0(VALU_DEP_2)
	v_cndmask_b32_e32 v4, 0x7fc0, v5, vcc_lo
	s_cbranch_scc1 .LBB167_3163
; %bb.3086:
	s_mov_b32 s10, -1
	s_mov_b32 s5, 0
	s_cmp_gt_i32 s4, 25
	s_mov_b32 s9, 0
	s_mov_b32 s0, 0
	s_cbranch_scc0 .LBB167_3119
; %bb.3087:
	s_cmp_gt_i32 s4, 28
	s_cbranch_scc0 .LBB167_3102
; %bb.3088:
	s_cmp_gt_i32 s4, 43
	;; [unrolled: 3-line block ×3, first 2 shown]
	s_cbranch_scc0 .LBB167_3092
; %bb.3090:
	s_mov_b32 s0, -1
	s_mov_b32 s10, 0
	s_cmp_eq_u32 s4, 46
	s_cbranch_scc0 .LBB167_3092
; %bb.3091:
	v_and_b32_e32 v5, 0xffff, v4
	s_mov_b32 s0, 0
	s_mov_b32 s9, -1
	global_store_b32 v[2:3], v5, off
.LBB167_3092:
	s_and_b32 vcc_lo, exec_lo, s10
	s_cbranch_vccz .LBB167_3097
; %bb.3093:
	s_cmp_eq_u32 s4, 44
	s_mov_b32 s0, -1
	s_cbranch_scc0 .LBB167_3097
; %bb.3094:
	s_wait_xcnt 0x0
	v_and_b32_e32 v5, 0xffff, v4
	v_mov_b32_e32 v6, 0xff
	s_mov_b32 s9, exec_lo
	s_delay_alu instid0(VALU_DEP_2) | instskip(NEXT) | instid1(VALU_DEP_1)
	v_bfe_u32 v7, v5, 7, 8
	v_cmpx_ne_u32_e32 0xff, v7
	s_cbranch_execz .LBB167_3096
; %bb.3095:
	v_dual_lshlrev_b32 v6, 16, v5 :: v_dual_bitop2_b32 v8, 64, v5 bitop3:0x40
	v_lshrrev_b32_e32 v5, 7, v5
	s_delay_alu instid0(VALU_DEP_2) | instskip(NEXT) | instid1(VALU_DEP_3)
	v_and_or_b32 v6, 0x3f0000, v6, v7
	v_cmp_ne_u32_e32 vcc_lo, 0, v8
	s_delay_alu instid0(VALU_DEP_2) | instskip(SKIP_1) | instid1(SALU_CYCLE_1)
	v_cmp_ne_u32_e64 s0, 0, v6
	s_and_b32 s0, vcc_lo, s0
	v_cndmask_b32_e64 v6, 0, 1, s0
	s_delay_alu instid0(VALU_DEP_1)
	v_add_nc_u32_e32 v6, v5, v6
.LBB167_3096:
	s_or_b32 exec_lo, exec_lo, s9
	s_mov_b32 s0, 0
	s_mov_b32 s9, -1
	global_store_b8 v[2:3], v6, off
.LBB167_3097:
	s_mov_b32 s10, 0
.LBB167_3098:
	s_delay_alu instid0(SALU_CYCLE_1)
	s_and_b32 vcc_lo, exec_lo, s10
	s_cbranch_vccz .LBB167_3101
; %bb.3099:
	s_cmp_eq_u32 s4, 29
	s_mov_b32 s0, -1
	s_cbranch_scc0 .LBB167_3101
; %bb.3100:
	s_wait_xcnt 0x0
	v_lshlrev_b32_e32 v5, 16, v4
	s_mov_b32 s0, 0
	s_mov_b32 s9, -1
	s_delay_alu instid0(VALU_DEP_1) | instskip(NEXT) | instid1(VALU_DEP_1)
	v_trunc_f32_e32 v5, v5
	v_mul_f32_e32 v6, 0x2f800000, v5
	s_delay_alu instid0(VALU_DEP_1) | instskip(NEXT) | instid1(VALU_DEP_1)
	v_floor_f32_e32 v6, v6
	v_fmamk_f32 v5, v6, 0xcf800000, v5
	v_cvt_u32_f32_e32 v7, v6
	s_delay_alu instid0(VALU_DEP_2)
	v_cvt_u32_f32_e32 v6, v5
	global_store_b64 v[2:3], v[6:7], off
.LBB167_3101:
	s_mov_b32 s10, 0
.LBB167_3102:
	s_delay_alu instid0(SALU_CYCLE_1)
	s_and_b32 vcc_lo, exec_lo, s10
	s_cbranch_vccz .LBB167_3118
; %bb.3103:
	s_cmp_lt_i32 s4, 27
	s_mov_b32 s9, -1
	s_cbranch_scc1 .LBB167_3109
; %bb.3104:
	s_cmp_gt_i32 s4, 27
	s_cbranch_scc0 .LBB167_3106
; %bb.3105:
	s_wait_xcnt 0x0
	v_lshlrev_b32_e32 v5, 16, v4
	s_mov_b32 s9, 0
	s_delay_alu instid0(VALU_DEP_1)
	v_cvt_u32_f32_e32 v5, v5
	global_store_b32 v[2:3], v5, off
.LBB167_3106:
	s_and_not1_b32 vcc_lo, exec_lo, s9
	s_cbranch_vccnz .LBB167_3108
; %bb.3107:
	s_wait_xcnt 0x0
	v_lshlrev_b32_e32 v5, 16, v4
	s_delay_alu instid0(VALU_DEP_1)
	v_cvt_u32_f32_e32 v5, v5
	global_store_b16 v[2:3], v5, off
.LBB167_3108:
	s_mov_b32 s9, 0
.LBB167_3109:
	s_delay_alu instid0(SALU_CYCLE_1)
	s_and_not1_b32 vcc_lo, exec_lo, s9
	s_cbranch_vccnz .LBB167_3117
; %bb.3110:
	s_wait_xcnt 0x0
	v_dual_mov_b32 v8, 0x80 :: v_dual_lshlrev_b32 v7, 16, v4
	s_mov_b32 s9, exec_lo
	s_delay_alu instid0(VALU_DEP_1) | instskip(NEXT) | instid1(VALU_DEP_1)
	v_and_b32_e32 v6, 0x7fffffff, v7
	v_cmpx_gt_u32_e32 0x43800000, v6
	s_cbranch_execz .LBB167_3116
; %bb.3111:
	v_and_b32_e32 v5, 0xffff, v4
	v_cmp_lt_u32_e32 vcc_lo, 0x3bffffff, v6
	s_mov_b32 s10, 0
                                        ; implicit-def: $vgpr6
	s_and_saveexec_b32 s11, vcc_lo
	s_delay_alu instid0(SALU_CYCLE_1)
	s_xor_b32 s11, exec_lo, s11
	s_cbranch_execz .LBB167_3337
; %bb.3112:
	v_bfe_u32 v6, v5, 4, 1
	s_mov_b32 s10, exec_lo
	s_delay_alu instid0(VALU_DEP_1) | instskip(NEXT) | instid1(VALU_DEP_1)
	v_add3_u32 v6, v7, v6, 0x487ffff
                                        ; implicit-def: $vgpr7
	v_lshrrev_b32_e32 v6, 20, v6
	s_and_not1_saveexec_b32 s11, s11
	s_cbranch_execnz .LBB167_3338
.LBB167_3113:
	s_or_b32 exec_lo, exec_lo, s11
	v_mov_b32_e32 v8, 0
	s_and_saveexec_b32 s11, s10
.LBB167_3114:
	v_lshrrev_b32_e32 v5, 8, v5
	s_delay_alu instid0(VALU_DEP_1)
	v_and_or_b32 v8, 0x80, v5, v6
.LBB167_3115:
	s_or_b32 exec_lo, exec_lo, s11
.LBB167_3116:
	s_delay_alu instid0(SALU_CYCLE_1)
	s_or_b32 exec_lo, exec_lo, s9
	global_store_b8 v[2:3], v8, off
.LBB167_3117:
	s_mov_b32 s9, -1
.LBB167_3118:
	s_mov_b32 s10, 0
.LBB167_3119:
	s_delay_alu instid0(SALU_CYCLE_1)
	s_and_b32 vcc_lo, exec_lo, s10
	s_cbranch_vccz .LBB167_3159
; %bb.3120:
	s_cmp_gt_i32 s4, 22
	s_mov_b32 s5, -1
	s_cbranch_scc0 .LBB167_3152
; %bb.3121:
	s_cmp_lt_i32 s4, 24
	s_cbranch_scc1 .LBB167_3141
; %bb.3122:
	s_cmp_gt_i32 s4, 24
	s_cbranch_scc0 .LBB167_3130
; %bb.3123:
	s_wait_xcnt 0x0
	v_dual_mov_b32 v8, 0x80 :: v_dual_lshlrev_b32 v7, 16, v4
	s_mov_b32 s5, exec_lo
	s_delay_alu instid0(VALU_DEP_1) | instskip(NEXT) | instid1(VALU_DEP_1)
	v_and_b32_e32 v6, 0x7fffffff, v7
	v_cmpx_gt_u32_e32 0x47800000, v6
	s_cbranch_execz .LBB167_3129
; %bb.3124:
	v_and_b32_e32 v5, 0xffff, v4
	v_cmp_lt_u32_e32 vcc_lo, 0x37ffffff, v6
	s_mov_b32 s9, 0
                                        ; implicit-def: $vgpr6
	s_and_saveexec_b32 s10, vcc_lo
	s_delay_alu instid0(SALU_CYCLE_1)
	s_xor_b32 s10, exec_lo, s10
	s_cbranch_execz .LBB167_3340
; %bb.3125:
	v_bfe_u32 v6, v5, 5, 1
	s_mov_b32 s9, exec_lo
	s_delay_alu instid0(VALU_DEP_1) | instskip(NEXT) | instid1(VALU_DEP_1)
	v_add3_u32 v6, v7, v6, 0x88fffff
                                        ; implicit-def: $vgpr7
	v_lshrrev_b32_e32 v6, 21, v6
	s_and_not1_saveexec_b32 s10, s10
	s_cbranch_execnz .LBB167_3341
.LBB167_3126:
	s_or_b32 exec_lo, exec_lo, s10
	v_mov_b32_e32 v8, 0
	s_and_saveexec_b32 s10, s9
.LBB167_3127:
	v_lshrrev_b32_e32 v5, 8, v5
	s_delay_alu instid0(VALU_DEP_1)
	v_and_or_b32 v8, 0x80, v5, v6
.LBB167_3128:
	s_or_b32 exec_lo, exec_lo, s10
.LBB167_3129:
	s_delay_alu instid0(SALU_CYCLE_1)
	s_or_b32 exec_lo, exec_lo, s5
	s_mov_b32 s5, 0
	global_store_b8 v[2:3], v8, off
.LBB167_3130:
	s_and_b32 vcc_lo, exec_lo, s5
	s_cbranch_vccz .LBB167_3140
; %bb.3131:
	s_wait_xcnt 0x0
	v_lshlrev_b32_e32 v7, 16, v4
	v_and_b32_e32 v5, 0xffff, v4
	s_mov_b32 s5, exec_lo
                                        ; implicit-def: $vgpr6
	s_delay_alu instid0(VALU_DEP_2) | instskip(NEXT) | instid1(VALU_DEP_1)
	v_and_b32_e32 v8, 0x7fffffff, v7
	v_cmpx_gt_u32_e32 0x43f00000, v8
	s_xor_b32 s5, exec_lo, s5
	s_cbranch_execz .LBB167_3137
; %bb.3132:
	s_mov_b32 s9, exec_lo
                                        ; implicit-def: $vgpr6
	v_cmpx_lt_u32_e32 0x3c7fffff, v8
	s_xor_b32 s9, exec_lo, s9
; %bb.3133:
	v_bfe_u32 v6, v5, 4, 1
	s_delay_alu instid0(VALU_DEP_1) | instskip(NEXT) | instid1(VALU_DEP_1)
	v_add3_u32 v6, v7, v6, 0x407ffff
	v_and_b32_e32 v7, 0xff00000, v6
	v_lshrrev_b32_e32 v6, 20, v6
	s_delay_alu instid0(VALU_DEP_2) | instskip(NEXT) | instid1(VALU_DEP_2)
	v_cmp_ne_u32_e32 vcc_lo, 0x7f00000, v7
                                        ; implicit-def: $vgpr7
	v_cndmask_b32_e32 v6, 0x7e, v6, vcc_lo
; %bb.3134:
	s_and_not1_saveexec_b32 s9, s9
; %bb.3135:
	v_add_f32_e64 v6, 0x46800000, |v7|
; %bb.3136:
	s_or_b32 exec_lo, exec_lo, s9
                                        ; implicit-def: $vgpr8
.LBB167_3137:
	s_and_not1_saveexec_b32 s5, s5
; %bb.3138:
	v_mov_b32_e32 v6, 0x7f
	v_cmp_lt_u32_e32 vcc_lo, 0x7f800000, v8
	s_delay_alu instid0(VALU_DEP_2)
	v_cndmask_b32_e32 v6, 0x7e, v6, vcc_lo
; %bb.3139:
	s_or_b32 exec_lo, exec_lo, s5
	v_lshrrev_b32_e32 v5, 8, v5
	s_delay_alu instid0(VALU_DEP_1)
	v_and_or_b32 v5, 0x80, v5, v6
	global_store_b8 v[2:3], v5, off
.LBB167_3140:
	s_mov_b32 s5, 0
.LBB167_3141:
	s_delay_alu instid0(SALU_CYCLE_1)
	s_and_not1_b32 vcc_lo, exec_lo, s5
	s_cbranch_vccnz .LBB167_3151
; %bb.3142:
	s_wait_xcnt 0x0
	v_lshlrev_b32_e32 v7, 16, v4
	v_and_b32_e32 v5, 0xffff, v4
	s_mov_b32 s5, exec_lo
                                        ; implicit-def: $vgpr6
	s_delay_alu instid0(VALU_DEP_2) | instskip(NEXT) | instid1(VALU_DEP_1)
	v_and_b32_e32 v8, 0x7fffffff, v7
	v_cmpx_gt_u32_e32 0x47800000, v8
	s_xor_b32 s5, exec_lo, s5
	s_cbranch_execz .LBB167_3148
; %bb.3143:
	s_mov_b32 s9, exec_lo
                                        ; implicit-def: $vgpr6
	v_cmpx_lt_u32_e32 0x387fffff, v8
	s_xor_b32 s9, exec_lo, s9
; %bb.3144:
	v_bfe_u32 v6, v5, 5, 1
	s_delay_alu instid0(VALU_DEP_1) | instskip(NEXT) | instid1(VALU_DEP_1)
	v_add3_u32 v6, v7, v6, 0x80fffff
                                        ; implicit-def: $vgpr7
	v_lshrrev_b32_e32 v6, 21, v6
; %bb.3145:
	s_and_not1_saveexec_b32 s9, s9
; %bb.3146:
	v_add_f32_e64 v6, 0x43000000, |v7|
; %bb.3147:
	s_or_b32 exec_lo, exec_lo, s9
                                        ; implicit-def: $vgpr8
.LBB167_3148:
	s_and_not1_saveexec_b32 s5, s5
; %bb.3149:
	v_mov_b32_e32 v6, 0x7f
	v_cmp_lt_u32_e32 vcc_lo, 0x7f800000, v8
	s_delay_alu instid0(VALU_DEP_2)
	v_cndmask_b32_e32 v6, 0x7c, v6, vcc_lo
; %bb.3150:
	s_or_b32 exec_lo, exec_lo, s5
	v_lshrrev_b32_e32 v5, 8, v5
	s_delay_alu instid0(VALU_DEP_1)
	v_and_or_b32 v5, 0x80, v5, v6
	global_store_b8 v[2:3], v5, off
.LBB167_3151:
	s_mov_b32 s5, 0
	s_mov_b32 s9, -1
.LBB167_3152:
	s_and_not1_b32 vcc_lo, exec_lo, s5
	s_mov_b32 s5, 0
	s_cbranch_vccnz .LBB167_3159
; %bb.3153:
	s_cmp_gt_i32 s4, 14
	s_mov_b32 s5, -1
	s_cbranch_scc0 .LBB167_3157
; %bb.3154:
	s_cmp_eq_u32 s4, 15
	s_mov_b32 s0, -1
	s_cbranch_scc0 .LBB167_3156
; %bb.3155:
	s_mov_b32 s0, 0
	s_mov_b32 s9, -1
	global_store_b16 v[2:3], v4, off
.LBB167_3156:
	s_mov_b32 s5, 0
.LBB167_3157:
	s_delay_alu instid0(SALU_CYCLE_1)
	s_and_b32 vcc_lo, exec_lo, s5
	s_mov_b32 s5, 0
	s_cbranch_vccz .LBB167_3159
; %bb.3158:
	s_cmp_lg_u32 s4, 11
	s_mov_b32 s5, -1
	s_cselect_b32 s0, -1, 0
.LBB167_3159:
	s_delay_alu instid0(SALU_CYCLE_1)
	s_and_b32 vcc_lo, exec_lo, s0
	s_cbranch_vccnz .LBB167_3339
; %bb.3160:
	s_and_not1_b32 vcc_lo, exec_lo, s5
	s_cbranch_vccnz .LBB167_3162
.LBB167_3161:
	s_wait_xcnt 0x0
	v_and_b32_e32 v5, 0x7fff, v4
	s_mov_b32 s9, -1
	s_delay_alu instid0(VALU_DEP_1)
	v_cmp_ne_u16_e32 vcc_lo, 0, v5
	v_cndmask_b32_e64 v5, 0, 1, vcc_lo
	global_store_b8 v[2:3], v5, off
.LBB167_3162:
	s_mov_b32 s0, 0
	s_branch .LBB167_3164
.LBB167_3163:
	s_mov_b32 s0, -1
	s_mov_b32 s9, 0
.LBB167_3164:
	s_and_b32 vcc_lo, exec_lo, s0
	s_cbranch_vccz .LBB167_3203
; %bb.3165:
	s_cmp_lt_i32 s4, 5
	s_mov_b32 s0, -1
	s_cbranch_scc1 .LBB167_3186
; %bb.3166:
	s_cmp_lt_i32 s4, 8
	s_cbranch_scc1 .LBB167_3176
; %bb.3167:
	s_cmp_lt_i32 s4, 9
	s_cbranch_scc1 .LBB167_3173
; %bb.3168:
	s_cmp_gt_i32 s4, 9
	s_cbranch_scc0 .LBB167_3170
; %bb.3169:
	s_wait_xcnt 0x0
	v_dual_mov_b32 v8, 0 :: v_dual_lshlrev_b32 v5, 16, v4
	s_mov_b32 s0, 0
	s_delay_alu instid0(VALU_DEP_1) | instskip(NEXT) | instid1(VALU_DEP_2)
	v_cvt_f64_f32_e32 v[6:7], v5
	v_mov_b32_e32 v9, v8
	global_store_b128 v[2:3], v[6:9], off
.LBB167_3170:
	s_and_not1_b32 vcc_lo, exec_lo, s0
	s_cbranch_vccnz .LBB167_3172
; %bb.3171:
	s_wait_xcnt 0x0
	v_dual_mov_b32 v7, 0 :: v_dual_lshlrev_b32 v6, 16, v4
	global_store_b64 v[2:3], v[6:7], off
.LBB167_3172:
	s_mov_b32 s0, 0
.LBB167_3173:
	s_delay_alu instid0(SALU_CYCLE_1)
	s_and_not1_b32 vcc_lo, exec_lo, s0
	s_cbranch_vccnz .LBB167_3175
; %bb.3174:
	s_wait_xcnt 0x0
	v_lshlrev_b32_e32 v5, 16, v4
	s_delay_alu instid0(VALU_DEP_1) | instskip(NEXT) | instid1(VALU_DEP_1)
	v_cvt_f16_f32_e32 v5, v5
	v_and_b32_e32 v5, 0xffff, v5
	global_store_b32 v[2:3], v5, off
.LBB167_3175:
	s_mov_b32 s0, 0
.LBB167_3176:
	s_delay_alu instid0(SALU_CYCLE_1)
	s_and_not1_b32 vcc_lo, exec_lo, s0
	s_cbranch_vccnz .LBB167_3185
; %bb.3177:
	s_cmp_lt_i32 s4, 6
	s_mov_b32 s0, -1
	s_cbranch_scc1 .LBB167_3183
; %bb.3178:
	s_cmp_gt_i32 s4, 6
	s_cbranch_scc0 .LBB167_3180
; %bb.3179:
	s_wait_xcnt 0x0
	v_lshlrev_b32_e32 v5, 16, v4
	s_mov_b32 s0, 0
	s_delay_alu instid0(VALU_DEP_1)
	v_cvt_f64_f32_e32 v[6:7], v5
	global_store_b64 v[2:3], v[6:7], off
.LBB167_3180:
	s_and_not1_b32 vcc_lo, exec_lo, s0
	s_cbranch_vccnz .LBB167_3182
; %bb.3181:
	s_wait_xcnt 0x0
	v_lshlrev_b32_e32 v5, 16, v4
	global_store_b32 v[2:3], v5, off
.LBB167_3182:
	s_mov_b32 s0, 0
.LBB167_3183:
	s_delay_alu instid0(SALU_CYCLE_1)
	s_and_not1_b32 vcc_lo, exec_lo, s0
	s_cbranch_vccnz .LBB167_3185
; %bb.3184:
	s_wait_xcnt 0x0
	v_lshlrev_b32_e32 v5, 16, v4
	s_delay_alu instid0(VALU_DEP_1)
	v_cvt_f16_f32_e32 v5, v5
	global_store_b16 v[2:3], v5, off
.LBB167_3185:
	s_mov_b32 s0, 0
.LBB167_3186:
	s_delay_alu instid0(SALU_CYCLE_1)
	s_and_not1_b32 vcc_lo, exec_lo, s0
	s_cbranch_vccnz .LBB167_3202
; %bb.3187:
	s_cmp_lt_i32 s4, 2
	s_mov_b32 s0, -1
	s_cbranch_scc1 .LBB167_3197
; %bb.3188:
	s_cmp_lt_i32 s4, 3
	s_cbranch_scc1 .LBB167_3194
; %bb.3189:
	s_cmp_gt_i32 s4, 3
	s_cbranch_scc0 .LBB167_3191
; %bb.3190:
	s_wait_xcnt 0x0
	v_lshlrev_b32_e32 v5, 16, v4
	s_mov_b32 s0, 0
	s_delay_alu instid0(VALU_DEP_1) | instskip(NEXT) | instid1(VALU_DEP_1)
	v_trunc_f32_e32 v5, v5
	v_mul_f32_e64 v6, 0x2f800000, |v5|
	s_delay_alu instid0(VALU_DEP_1) | instskip(SKIP_1) | instid1(VALU_DEP_2)
	v_floor_f32_e32 v7, v6
	v_ashrrev_i32_e32 v6, 31, v5
	v_fma_f32 v8, 0xcf800000, v7, |v5|
	v_cvt_u32_f32_e32 v5, v7
	s_delay_alu instid0(VALU_DEP_3) | instskip(NEXT) | instid1(VALU_DEP_3)
	v_mov_b32_e32 v7, v6
	v_cvt_u32_f32_e32 v8, v8
	s_delay_alu instid0(VALU_DEP_3) | instskip(NEXT) | instid1(VALU_DEP_2)
	v_xor_b32_e32 v9, v5, v6
	v_xor_b32_e32 v8, v8, v6
	s_delay_alu instid0(VALU_DEP_1)
	v_sub_nc_u64_e32 v[6:7], v[8:9], v[6:7]
	global_store_b64 v[2:3], v[6:7], off
.LBB167_3191:
	s_and_not1_b32 vcc_lo, exec_lo, s0
	s_cbranch_vccnz .LBB167_3193
; %bb.3192:
	s_wait_xcnt 0x0
	v_lshlrev_b32_e32 v5, 16, v4
	s_delay_alu instid0(VALU_DEP_1)
	v_cvt_i32_f32_e32 v5, v5
	global_store_b32 v[2:3], v5, off
.LBB167_3193:
	s_mov_b32 s0, 0
.LBB167_3194:
	s_delay_alu instid0(SALU_CYCLE_1)
	s_and_not1_b32 vcc_lo, exec_lo, s0
	s_cbranch_vccnz .LBB167_3196
; %bb.3195:
	s_wait_xcnt 0x0
	v_lshlrev_b32_e32 v5, 16, v4
	s_delay_alu instid0(VALU_DEP_1)
	v_cvt_i32_f32_e32 v5, v5
	global_store_b16 v[2:3], v5, off
.LBB167_3196:
	s_mov_b32 s0, 0
.LBB167_3197:
	s_delay_alu instid0(SALU_CYCLE_1)
	s_and_not1_b32 vcc_lo, exec_lo, s0
	s_cbranch_vccnz .LBB167_3202
; %bb.3198:
	s_cmp_gt_i32 s4, 0
	s_mov_b32 s0, -1
	s_cbranch_scc0 .LBB167_3200
; %bb.3199:
	s_wait_xcnt 0x0
	v_lshlrev_b32_e32 v5, 16, v4
	s_mov_b32 s0, 0
	s_delay_alu instid0(VALU_DEP_1)
	v_cvt_i32_f32_e32 v5, v5
	global_store_b8 v[2:3], v5, off
.LBB167_3200:
	s_and_not1_b32 vcc_lo, exec_lo, s0
	s_cbranch_vccnz .LBB167_3202
; %bb.3201:
	s_wait_xcnt 0x0
	v_lshlrev_b32_e32 v4, 16, v4
	s_delay_alu instid0(VALU_DEP_1) | instskip(NEXT) | instid1(VALU_DEP_1)
	v_trunc_f32_e32 v4, v4
	v_mul_f32_e64 v5, 0x2f800000, |v4|
	s_delay_alu instid0(VALU_DEP_1) | instskip(NEXT) | instid1(VALU_DEP_1)
	v_floor_f32_e32 v5, v5
	v_fma_f32 v5, 0xcf800000, v5, |v4|
	v_ashrrev_i32_e32 v4, 31, v4
	s_delay_alu instid0(VALU_DEP_2) | instskip(NEXT) | instid1(VALU_DEP_1)
	v_cvt_u32_f32_e32 v5, v5
	v_xor_b32_e32 v5, v5, v4
	s_delay_alu instid0(VALU_DEP_1)
	v_sub_nc_u32_e32 v4, v5, v4
	global_store_b8 v[2:3], v4, off
.LBB167_3202:
	s_mov_b32 s9, -1
.LBB167_3203:
	s_delay_alu instid0(SALU_CYCLE_1)
	s_and_not1_b32 vcc_lo, exec_lo, s9
	s_cbranch_vccnz .LBB167_3280
; %bb.3204:
	s_wait_xcnt 0x0
	v_lshlrev_b32_e32 v2, 16, v12
	s_cmp_lt_i32 s4, 11
	s_delay_alu instid0(VALU_DEP_1) | instskip(NEXT) | instid1(VALU_DEP_1)
	v_mul_f32_e32 v1, v1, v2
	v_bfe_u32 v2, v1, 16, 1
	v_cmp_o_f32_e32 vcc_lo, v1, v1
	s_delay_alu instid0(VALU_DEP_2) | instskip(NEXT) | instid1(VALU_DEP_1)
	v_add3_u32 v2, v1, v2, 0x7fff
	v_and_b32_e32 v2, 0xffff0000, v2
	s_delay_alu instid0(VALU_DEP_1) | instskip(SKIP_1) | instid1(VALU_DEP_1)
	v_cndmask_b32_e32 v1, 0x7fc00000, v2, vcc_lo
	v_lshlrev_b32_e32 v2, 16, v10
	v_mul_f32_e32 v4, v1, v2
	s_delay_alu instid0(VALU_DEP_1) | instskip(SKIP_1) | instid1(VALU_DEP_2)
	v_bfe_u32 v1, v4, 16, 1
	v_cmp_o_f32_e32 vcc_lo, v4, v4
	v_add3_u32 v2, v4, v1, 0x7fff
	s_delay_alu instid0(VALU_DEP_1) | instskip(NEXT) | instid1(VALU_DEP_1)
	v_dual_mov_b32 v1, 0 :: v_dual_lshrrev_b32 v5, 16, v2
	v_add_nc_u64_e32 v[2:3], s[2:3], v[0:1]
	s_delay_alu instid0(VALU_DEP_2)
	v_cndmask_b32_e32 v1, 0x7fc0, v5, vcc_lo
	s_cbranch_scc1 .LBB167_3325
; %bb.3205:
	s_mov_b32 s3, -1
	s_mov_b32 s2, 0
	s_cmp_gt_i32 s4, 25
	s_mov_b32 s0, 0
	s_cbranch_scc0 .LBB167_3238
; %bb.3206:
	s_cmp_gt_i32 s4, 28
	s_cbranch_scc0 .LBB167_3222
; %bb.3207:
	s_cmp_gt_i32 s4, 43
	s_cbranch_scc0 .LBB167_3218
; %bb.3208:
	s_cmp_gt_i32 s4, 45
	s_cbranch_scc0 .LBB167_3212
; %bb.3209:
	s_cmp_eq_u32 s4, 46
	s_mov_b32 s0, -1
	s_cbranch_scc0 .LBB167_3211
; %bb.3210:
	v_and_b32_e32 v0, 0xffff, v1
	s_mov_b32 s0, 0
	global_store_b32 v[2:3], v0, off
.LBB167_3211:
	s_mov_b32 s3, 0
.LBB167_3212:
	s_delay_alu instid0(SALU_CYCLE_1)
	s_and_b32 vcc_lo, exec_lo, s3
	s_cbranch_vccz .LBB167_3217
; %bb.3213:
	s_cmp_eq_u32 s4, 44
	s_mov_b32 s0, -1
	s_cbranch_scc0 .LBB167_3217
; %bb.3214:
	s_wait_xcnt 0x0
	v_and_b32_e32 v0, 0xffff, v1
	v_mov_b32_e32 v4, 0xff
	s_mov_b32 s3, exec_lo
	s_delay_alu instid0(VALU_DEP_2) | instskip(NEXT) | instid1(VALU_DEP_1)
	v_bfe_u32 v5, v0, 7, 8
	v_cmpx_ne_u32_e32 0xff, v5
	s_cbranch_execz .LBB167_3216
; %bb.3215:
	v_dual_lshlrev_b32 v4, 16, v0 :: v_dual_bitop2_b32 v6, 64, v0 bitop3:0x40
	v_lshrrev_b32_e32 v0, 7, v0
	s_delay_alu instid0(VALU_DEP_2) | instskip(NEXT) | instid1(VALU_DEP_3)
	v_and_or_b32 v4, 0x3f0000, v4, v5
	v_cmp_ne_u32_e32 vcc_lo, 0, v6
	s_delay_alu instid0(VALU_DEP_2) | instskip(SKIP_1) | instid1(SALU_CYCLE_1)
	v_cmp_ne_u32_e64 s0, 0, v4
	s_and_b32 s0, vcc_lo, s0
	v_cndmask_b32_e64 v4, 0, 1, s0
	s_delay_alu instid0(VALU_DEP_1)
	v_add_nc_u32_e32 v4, v0, v4
.LBB167_3216:
	s_or_b32 exec_lo, exec_lo, s3
	s_mov_b32 s0, 0
	global_store_b8 v[2:3], v4, off
.LBB167_3217:
	s_mov_b32 s3, 0
.LBB167_3218:
	s_delay_alu instid0(SALU_CYCLE_1)
	s_and_b32 vcc_lo, exec_lo, s3
	s_cbranch_vccz .LBB167_3221
; %bb.3219:
	s_cmp_eq_u32 s4, 29
	s_mov_b32 s0, -1
	s_cbranch_scc0 .LBB167_3221
; %bb.3220:
	s_wait_xcnt 0x0
	v_lshlrev_b32_e32 v0, 16, v1
	s_mov_b32 s0, 0
	s_delay_alu instid0(VALU_DEP_1) | instskip(NEXT) | instid1(VALU_DEP_1)
	v_trunc_f32_e32 v0, v0
	v_mul_f32_e32 v4, 0x2f800000, v0
	s_delay_alu instid0(VALU_DEP_1) | instskip(NEXT) | instid1(VALU_DEP_1)
	v_floor_f32_e32 v4, v4
	v_fmamk_f32 v0, v4, 0xcf800000, v0
	v_cvt_u32_f32_e32 v5, v4
	s_delay_alu instid0(VALU_DEP_2)
	v_cvt_u32_f32_e32 v4, v0
	global_store_b64 v[2:3], v[4:5], off
.LBB167_3221:
	s_mov_b32 s3, 0
.LBB167_3222:
	s_delay_alu instid0(SALU_CYCLE_1)
	s_and_b32 vcc_lo, exec_lo, s3
	s_cbranch_vccz .LBB167_3237
; %bb.3223:
	s_cmp_lt_i32 s4, 27
	s_mov_b32 s3, -1
	s_cbranch_scc1 .LBB167_3229
; %bb.3224:
	s_cmp_gt_i32 s4, 27
	s_cbranch_scc0 .LBB167_3226
; %bb.3225:
	s_wait_xcnt 0x0
	v_lshlrev_b32_e32 v0, 16, v1
	s_mov_b32 s3, 0
	s_delay_alu instid0(VALU_DEP_1)
	v_cvt_u32_f32_e32 v0, v0
	global_store_b32 v[2:3], v0, off
.LBB167_3226:
	s_and_not1_b32 vcc_lo, exec_lo, s3
	s_cbranch_vccnz .LBB167_3228
; %bb.3227:
	s_wait_xcnt 0x0
	v_lshlrev_b32_e32 v0, 16, v1
	s_delay_alu instid0(VALU_DEP_1)
	v_cvt_u32_f32_e32 v0, v0
	global_store_b16 v[2:3], v0, off
.LBB167_3228:
	s_mov_b32 s3, 0
.LBB167_3229:
	s_delay_alu instid0(SALU_CYCLE_1)
	s_and_not1_b32 vcc_lo, exec_lo, s3
	s_cbranch_vccnz .LBB167_3237
; %bb.3230:
	s_wait_xcnt 0x0
	v_dual_mov_b32 v6, 0x80 :: v_dual_lshlrev_b32 v5, 16, v1
	s_mov_b32 s3, exec_lo
	s_delay_alu instid0(VALU_DEP_1) | instskip(NEXT) | instid1(VALU_DEP_1)
	v_and_b32_e32 v4, 0x7fffffff, v5
	v_cmpx_gt_u32_e32 0x43800000, v4
	s_cbranch_execz .LBB167_3236
; %bb.3231:
	v_and_b32_e32 v0, 0xffff, v1
	v_cmp_lt_u32_e32 vcc_lo, 0x3bffffff, v4
	s_mov_b32 s5, 0
                                        ; implicit-def: $vgpr4
	s_and_saveexec_b32 s9, vcc_lo
	s_delay_alu instid0(SALU_CYCLE_1)
	s_xor_b32 s9, exec_lo, s9
	s_cbranch_execz .LBB167_3342
; %bb.3232:
	v_bfe_u32 v4, v0, 4, 1
	s_mov_b32 s5, exec_lo
	s_delay_alu instid0(VALU_DEP_1) | instskip(NEXT) | instid1(VALU_DEP_1)
	v_add3_u32 v4, v5, v4, 0x487ffff
                                        ; implicit-def: $vgpr5
	v_lshrrev_b32_e32 v4, 20, v4
	s_and_not1_saveexec_b32 s9, s9
	s_cbranch_execnz .LBB167_3343
.LBB167_3233:
	s_or_b32 exec_lo, exec_lo, s9
	v_mov_b32_e32 v6, 0
	s_and_saveexec_b32 s9, s5
.LBB167_3234:
	v_lshrrev_b32_e32 v0, 8, v0
	s_delay_alu instid0(VALU_DEP_1)
	v_and_or_b32 v6, 0x80, v0, v4
.LBB167_3235:
	s_or_b32 exec_lo, exec_lo, s9
.LBB167_3236:
	s_delay_alu instid0(SALU_CYCLE_1)
	s_or_b32 exec_lo, exec_lo, s3
	global_store_b8 v[2:3], v6, off
.LBB167_3237:
	s_mov_b32 s3, 0
.LBB167_3238:
	s_delay_alu instid0(SALU_CYCLE_1)
	s_and_b32 vcc_lo, exec_lo, s3
	s_cbranch_vccz .LBB167_3278
; %bb.3239:
	s_cmp_gt_i32 s4, 22
	s_mov_b32 s2, -1
	s_cbranch_scc0 .LBB167_3271
; %bb.3240:
	s_cmp_lt_i32 s4, 24
	s_cbranch_scc1 .LBB167_3260
; %bb.3241:
	s_cmp_gt_i32 s4, 24
	s_cbranch_scc0 .LBB167_3249
; %bb.3242:
	s_wait_xcnt 0x0
	v_dual_mov_b32 v6, 0x80 :: v_dual_lshlrev_b32 v5, 16, v1
	s_mov_b32 s2, exec_lo
	s_delay_alu instid0(VALU_DEP_1) | instskip(NEXT) | instid1(VALU_DEP_1)
	v_and_b32_e32 v4, 0x7fffffff, v5
	v_cmpx_gt_u32_e32 0x47800000, v4
	s_cbranch_execz .LBB167_3248
; %bb.3243:
	v_and_b32_e32 v0, 0xffff, v1
	v_cmp_lt_u32_e32 vcc_lo, 0x37ffffff, v4
	s_mov_b32 s3, 0
                                        ; implicit-def: $vgpr4
	s_and_saveexec_b32 s5, vcc_lo
	s_delay_alu instid0(SALU_CYCLE_1)
	s_xor_b32 s5, exec_lo, s5
	s_cbranch_execz .LBB167_3345
; %bb.3244:
	v_bfe_u32 v4, v0, 5, 1
	s_mov_b32 s3, exec_lo
	s_delay_alu instid0(VALU_DEP_1) | instskip(NEXT) | instid1(VALU_DEP_1)
	v_add3_u32 v4, v5, v4, 0x88fffff
                                        ; implicit-def: $vgpr5
	v_lshrrev_b32_e32 v4, 21, v4
	s_and_not1_saveexec_b32 s5, s5
	s_cbranch_execnz .LBB167_3346
.LBB167_3245:
	s_or_b32 exec_lo, exec_lo, s5
	v_mov_b32_e32 v6, 0
	s_and_saveexec_b32 s5, s3
.LBB167_3246:
	v_lshrrev_b32_e32 v0, 8, v0
	s_delay_alu instid0(VALU_DEP_1)
	v_and_or_b32 v6, 0x80, v0, v4
.LBB167_3247:
	s_or_b32 exec_lo, exec_lo, s5
.LBB167_3248:
	s_delay_alu instid0(SALU_CYCLE_1)
	s_or_b32 exec_lo, exec_lo, s2
	s_mov_b32 s2, 0
	global_store_b8 v[2:3], v6, off
.LBB167_3249:
	s_and_b32 vcc_lo, exec_lo, s2
	s_cbranch_vccz .LBB167_3259
; %bb.3250:
	s_wait_xcnt 0x0
	v_lshlrev_b32_e32 v5, 16, v1
	v_and_b32_e32 v0, 0xffff, v1
	s_mov_b32 s2, exec_lo
                                        ; implicit-def: $vgpr4
	s_delay_alu instid0(VALU_DEP_2) | instskip(NEXT) | instid1(VALU_DEP_1)
	v_and_b32_e32 v6, 0x7fffffff, v5
	v_cmpx_gt_u32_e32 0x43f00000, v6
	s_xor_b32 s2, exec_lo, s2
	s_cbranch_execz .LBB167_3256
; %bb.3251:
	s_mov_b32 s3, exec_lo
                                        ; implicit-def: $vgpr4
	v_cmpx_lt_u32_e32 0x3c7fffff, v6
	s_xor_b32 s3, exec_lo, s3
; %bb.3252:
	v_bfe_u32 v4, v0, 4, 1
	s_delay_alu instid0(VALU_DEP_1) | instskip(NEXT) | instid1(VALU_DEP_1)
	v_add3_u32 v4, v5, v4, 0x407ffff
	v_and_b32_e32 v5, 0xff00000, v4
	v_lshrrev_b32_e32 v4, 20, v4
	s_delay_alu instid0(VALU_DEP_2) | instskip(NEXT) | instid1(VALU_DEP_2)
	v_cmp_ne_u32_e32 vcc_lo, 0x7f00000, v5
                                        ; implicit-def: $vgpr5
	v_cndmask_b32_e32 v4, 0x7e, v4, vcc_lo
; %bb.3253:
	s_and_not1_saveexec_b32 s3, s3
; %bb.3254:
	v_add_f32_e64 v4, 0x46800000, |v5|
; %bb.3255:
	s_or_b32 exec_lo, exec_lo, s3
                                        ; implicit-def: $vgpr6
.LBB167_3256:
	s_and_not1_saveexec_b32 s2, s2
; %bb.3257:
	v_mov_b32_e32 v4, 0x7f
	v_cmp_lt_u32_e32 vcc_lo, 0x7f800000, v6
	s_delay_alu instid0(VALU_DEP_2)
	v_cndmask_b32_e32 v4, 0x7e, v4, vcc_lo
; %bb.3258:
	s_or_b32 exec_lo, exec_lo, s2
	v_lshrrev_b32_e32 v0, 8, v0
	s_delay_alu instid0(VALU_DEP_1)
	v_and_or_b32 v0, 0x80, v0, v4
	global_store_b8 v[2:3], v0, off
.LBB167_3259:
	s_mov_b32 s2, 0
.LBB167_3260:
	s_delay_alu instid0(SALU_CYCLE_1)
	s_and_not1_b32 vcc_lo, exec_lo, s2
	s_cbranch_vccnz .LBB167_3270
; %bb.3261:
	s_wait_xcnt 0x0
	v_lshlrev_b32_e32 v5, 16, v1
	v_and_b32_e32 v0, 0xffff, v1
	s_mov_b32 s2, exec_lo
                                        ; implicit-def: $vgpr4
	s_delay_alu instid0(VALU_DEP_2) | instskip(NEXT) | instid1(VALU_DEP_1)
	v_and_b32_e32 v6, 0x7fffffff, v5
	v_cmpx_gt_u32_e32 0x47800000, v6
	s_xor_b32 s2, exec_lo, s2
	s_cbranch_execz .LBB167_3267
; %bb.3262:
	s_mov_b32 s3, exec_lo
                                        ; implicit-def: $vgpr4
	v_cmpx_lt_u32_e32 0x387fffff, v6
	s_xor_b32 s3, exec_lo, s3
; %bb.3263:
	v_bfe_u32 v4, v0, 5, 1
	s_delay_alu instid0(VALU_DEP_1) | instskip(NEXT) | instid1(VALU_DEP_1)
	v_add3_u32 v4, v5, v4, 0x80fffff
                                        ; implicit-def: $vgpr5
	v_lshrrev_b32_e32 v4, 21, v4
; %bb.3264:
	s_and_not1_saveexec_b32 s3, s3
; %bb.3265:
	v_add_f32_e64 v4, 0x43000000, |v5|
; %bb.3266:
	s_or_b32 exec_lo, exec_lo, s3
                                        ; implicit-def: $vgpr6
.LBB167_3267:
	s_and_not1_saveexec_b32 s2, s2
; %bb.3268:
	v_mov_b32_e32 v4, 0x7f
	v_cmp_lt_u32_e32 vcc_lo, 0x7f800000, v6
	s_delay_alu instid0(VALU_DEP_2)
	v_cndmask_b32_e32 v4, 0x7c, v4, vcc_lo
; %bb.3269:
	s_or_b32 exec_lo, exec_lo, s2
	v_lshrrev_b32_e32 v0, 8, v0
	s_delay_alu instid0(VALU_DEP_1)
	v_and_or_b32 v0, 0x80, v0, v4
	global_store_b8 v[2:3], v0, off
.LBB167_3270:
	s_mov_b32 s2, 0
.LBB167_3271:
	s_delay_alu instid0(SALU_CYCLE_1)
	s_and_not1_b32 vcc_lo, exec_lo, s2
	s_mov_b32 s2, 0
	s_cbranch_vccnz .LBB167_3278
; %bb.3272:
	s_cmp_gt_i32 s4, 14
	s_mov_b32 s2, -1
	s_cbranch_scc0 .LBB167_3276
; %bb.3273:
	s_cmp_eq_u32 s4, 15
	s_mov_b32 s0, -1
	s_cbranch_scc0 .LBB167_3275
; %bb.3274:
	s_mov_b32 s0, 0
	global_store_b16 v[2:3], v1, off
.LBB167_3275:
	s_mov_b32 s2, 0
.LBB167_3276:
	s_delay_alu instid0(SALU_CYCLE_1)
	s_and_b32 vcc_lo, exec_lo, s2
	s_mov_b32 s2, 0
	s_cbranch_vccz .LBB167_3278
; %bb.3277:
	s_cmp_lg_u32 s4, 11
	s_mov_b32 s2, -1
	s_cselect_b32 s0, -1, 0
.LBB167_3278:
	s_delay_alu instid0(SALU_CYCLE_1)
	s_and_b32 vcc_lo, exec_lo, s0
	s_cbranch_vccnz .LBB167_3344
.LBB167_3279:
	s_mov_b32 s0, 0
	s_branch .LBB167_3281
.LBB167_3280:
	s_mov_b32 s0, 0
	s_mov_b32 s2, 0
                                        ; implicit-def: $vgpr2_vgpr3
                                        ; implicit-def: $sgpr1
                                        ; implicit-def: $vgpr1
.LBB167_3281:
	s_and_not1_b32 s3, s6, exec_lo
	s_and_b32 s4, s8, exec_lo
	s_and_b32 s0, s0, exec_lo
	;; [unrolled: 1-line block ×3, first 2 shown]
	s_or_b32 s6, s3, s4
.LBB167_3282:
	s_wait_xcnt 0x0
	s_or_b32 exec_lo, exec_lo, s7
	s_and_saveexec_b32 s2, s6
	s_cbranch_execz .LBB167_3285
; %bb.3283:
	; divergent unreachable
	s_or_b32 exec_lo, exec_lo, s2
	s_and_saveexec_b32 s2, s29
	s_delay_alu instid0(SALU_CYCLE_1)
	s_xor_b32 s2, exec_lo, s2
	s_cbranch_execnz .LBB167_3286
.LBB167_3284:
	s_or_b32 exec_lo, exec_lo, s2
	s_and_saveexec_b32 s2, s0
	s_cbranch_execnz .LBB167_3287
	s_branch .LBB167_3324
.LBB167_3285:
	s_or_b32 exec_lo, exec_lo, s2
	s_and_saveexec_b32 s2, s29
	s_delay_alu instid0(SALU_CYCLE_1)
	s_xor_b32 s2, exec_lo, s2
	s_cbranch_execz .LBB167_3284
.LBB167_3286:
	s_wait_loadcnt 0x0
	v_and_b32_e32 v0, 0x7fff, v1
	s_delay_alu instid0(VALU_DEP_1)
	v_cmp_ne_u16_e32 vcc_lo, 0, v0
	v_cndmask_b32_e64 v0, 0, 1, vcc_lo
	global_store_b8 v[2:3], v0, off
	s_wait_xcnt 0x0
	s_or_b32 exec_lo, exec_lo, s2
	s_and_saveexec_b32 s2, s0
	s_cbranch_execz .LBB167_3324
.LBB167_3287:
	s_sext_i32_i16 s2, s1
	s_mov_b32 s0, -1
	s_cmp_lt_i32 s2, 5
	s_cbranch_scc1 .LBB167_3308
; %bb.3288:
	s_cmp_lt_i32 s2, 8
	s_cbranch_scc1 .LBB167_3298
; %bb.3289:
	;; [unrolled: 3-line block ×3, first 2 shown]
	s_cmp_gt_i32 s2, 9
	s_cbranch_scc0 .LBB167_3292
; %bb.3291:
	s_wait_loadcnt 0x0
	v_dual_lshlrev_b32 v0, 16, v1 :: v_dual_mov_b32 v6, 0
	s_mov_b32 s0, 0
	s_delay_alu instid0(VALU_DEP_1) | instskip(NEXT) | instid1(VALU_DEP_2)
	v_cvt_f64_f32_e32 v[4:5], v0
	v_mov_b32_e32 v7, v6
	global_store_b128 v[2:3], v[4:7], off
.LBB167_3292:
	s_and_not1_b32 vcc_lo, exec_lo, s0
	s_cbranch_vccnz .LBB167_3294
; %bb.3293:
	s_wait_loadcnt 0x0
	v_dual_mov_b32 v5, 0 :: v_dual_lshlrev_b32 v4, 16, v1
	global_store_b64 v[2:3], v[4:5], off
.LBB167_3294:
	s_mov_b32 s0, 0
.LBB167_3295:
	s_delay_alu instid0(SALU_CYCLE_1)
	s_and_not1_b32 vcc_lo, exec_lo, s0
	s_cbranch_vccnz .LBB167_3297
; %bb.3296:
	s_wait_loadcnt 0x0
	v_lshlrev_b32_e32 v0, 16, v1
	s_delay_alu instid0(VALU_DEP_1) | instskip(NEXT) | instid1(VALU_DEP_1)
	v_cvt_f16_f32_e32 v0, v0
	v_and_b32_e32 v0, 0xffff, v0
	global_store_b32 v[2:3], v0, off
.LBB167_3297:
	s_mov_b32 s0, 0
.LBB167_3298:
	s_delay_alu instid0(SALU_CYCLE_1)
	s_and_not1_b32 vcc_lo, exec_lo, s0
	s_cbranch_vccnz .LBB167_3307
; %bb.3299:
	s_sext_i32_i16 s2, s1
	s_mov_b32 s0, -1
	s_cmp_lt_i32 s2, 6
	s_cbranch_scc1 .LBB167_3305
; %bb.3300:
	s_cmp_gt_i32 s2, 6
	s_cbranch_scc0 .LBB167_3302
; %bb.3301:
	s_wait_loadcnt 0x0
	v_lshlrev_b32_e32 v0, 16, v1
	s_mov_b32 s0, 0
	s_delay_alu instid0(VALU_DEP_1)
	v_cvt_f64_f32_e32 v[4:5], v0
	global_store_b64 v[2:3], v[4:5], off
.LBB167_3302:
	s_and_not1_b32 vcc_lo, exec_lo, s0
	s_cbranch_vccnz .LBB167_3304
; %bb.3303:
	s_wait_loadcnt 0x0
	v_lshlrev_b32_e32 v0, 16, v1
	global_store_b32 v[2:3], v0, off
.LBB167_3304:
	s_mov_b32 s0, 0
.LBB167_3305:
	s_delay_alu instid0(SALU_CYCLE_1)
	s_and_not1_b32 vcc_lo, exec_lo, s0
	s_cbranch_vccnz .LBB167_3307
; %bb.3306:
	s_wait_loadcnt 0x0
	v_lshlrev_b32_e32 v0, 16, v1
	s_delay_alu instid0(VALU_DEP_1)
	v_cvt_f16_f32_e32 v0, v0
	global_store_b16 v[2:3], v0, off
.LBB167_3307:
	s_mov_b32 s0, 0
.LBB167_3308:
	s_delay_alu instid0(SALU_CYCLE_1)
	s_and_not1_b32 vcc_lo, exec_lo, s0
	s_cbranch_vccnz .LBB167_3324
; %bb.3309:
	s_sext_i32_i16 s2, s1
	s_mov_b32 s0, -1
	s_cmp_lt_i32 s2, 2
	s_cbranch_scc1 .LBB167_3319
; %bb.3310:
	s_cmp_lt_i32 s2, 3
	s_cbranch_scc1 .LBB167_3316
; %bb.3311:
	s_cmp_gt_i32 s2, 3
	s_cbranch_scc0 .LBB167_3313
; %bb.3312:
	s_wait_loadcnt 0x0
	v_lshlrev_b32_e32 v0, 16, v1
	s_mov_b32 s0, 0
	s_delay_alu instid0(VALU_DEP_1) | instskip(NEXT) | instid1(VALU_DEP_1)
	v_trunc_f32_e32 v0, v0
	v_mul_f32_e64 v4, 0x2f800000, |v0|
	s_delay_alu instid0(VALU_DEP_1) | instskip(SKIP_1) | instid1(VALU_DEP_2)
	v_floor_f32_e32 v5, v4
	v_ashrrev_i32_e32 v4, 31, v0
	v_fma_f32 v6, 0xcf800000, v5, |v0|
	v_cvt_u32_f32_e32 v0, v5
	s_delay_alu instid0(VALU_DEP_3) | instskip(NEXT) | instid1(VALU_DEP_3)
	v_mov_b32_e32 v5, v4
	v_cvt_u32_f32_e32 v6, v6
	s_delay_alu instid0(VALU_DEP_3) | instskip(NEXT) | instid1(VALU_DEP_2)
	v_xor_b32_e32 v7, v0, v4
	v_xor_b32_e32 v6, v6, v4
	s_delay_alu instid0(VALU_DEP_1)
	v_sub_nc_u64_e32 v[4:5], v[6:7], v[4:5]
	global_store_b64 v[2:3], v[4:5], off
.LBB167_3313:
	s_and_not1_b32 vcc_lo, exec_lo, s0
	s_cbranch_vccnz .LBB167_3315
; %bb.3314:
	s_wait_loadcnt 0x0
	v_lshlrev_b32_e32 v0, 16, v1
	s_delay_alu instid0(VALU_DEP_1)
	v_cvt_i32_f32_e32 v0, v0
	global_store_b32 v[2:3], v0, off
.LBB167_3315:
	s_mov_b32 s0, 0
.LBB167_3316:
	s_delay_alu instid0(SALU_CYCLE_1)
	s_and_not1_b32 vcc_lo, exec_lo, s0
	s_cbranch_vccnz .LBB167_3318
; %bb.3317:
	s_wait_loadcnt 0x0
	v_lshlrev_b32_e32 v0, 16, v1
	s_delay_alu instid0(VALU_DEP_1)
	v_cvt_i32_f32_e32 v0, v0
	global_store_b16 v[2:3], v0, off
.LBB167_3318:
	s_mov_b32 s0, 0
.LBB167_3319:
	s_delay_alu instid0(SALU_CYCLE_1)
	s_and_not1_b32 vcc_lo, exec_lo, s0
	s_cbranch_vccnz .LBB167_3324
; %bb.3320:
	s_sext_i32_i16 s0, s1
	s_delay_alu instid0(SALU_CYCLE_1)
	s_cmp_gt_i32 s0, 0
	s_mov_b32 s0, -1
	s_cbranch_scc0 .LBB167_3322
; %bb.3321:
	s_wait_loadcnt 0x0
	v_lshlrev_b32_e32 v0, 16, v1
	s_mov_b32 s0, 0
	s_delay_alu instid0(VALU_DEP_1)
	v_cvt_i32_f32_e32 v0, v0
	global_store_b8 v[2:3], v0, off
.LBB167_3322:
	s_and_not1_b32 vcc_lo, exec_lo, s0
	s_cbranch_vccnz .LBB167_3324
; %bb.3323:
	s_wait_loadcnt 0x0
	v_lshlrev_b32_e32 v0, 16, v1
	s_delay_alu instid0(VALU_DEP_1) | instskip(NEXT) | instid1(VALU_DEP_1)
	v_trunc_f32_e32 v0, v0
	v_mul_f32_e64 v1, 0x2f800000, |v0|
	s_delay_alu instid0(VALU_DEP_1) | instskip(NEXT) | instid1(VALU_DEP_1)
	v_floor_f32_e32 v1, v1
	v_fma_f32 v1, 0xcf800000, v1, |v0|
	v_ashrrev_i32_e32 v0, 31, v0
	s_delay_alu instid0(VALU_DEP_2) | instskip(NEXT) | instid1(VALU_DEP_1)
	v_cvt_u32_f32_e32 v1, v1
	v_xor_b32_e32 v1, v1, v0
	s_delay_alu instid0(VALU_DEP_1)
	v_sub_nc_u32_e32 v0, v1, v0
	global_store_b8 v[2:3], v0, off
	s_endpgm
.LBB167_3324:
	s_endpgm
.LBB167_3325:
	s_mov_b32 s2, 0
	s_mov_b32 s0, -1
	s_branch .LBB167_3281
.LBB167_3326:
	s_or_b32 s8, s8, exec_lo
	s_trap 2
	s_cbranch_execz .LBB167_2795
	s_branch .LBB167_2796
.LBB167_3327:
	s_and_not1_saveexec_b32 s11, s11
	s_cbranch_execz .LBB167_2875
.LBB167_3328:
	v_add_f32_e64 v9, 0x46000000, |v11|
	s_and_not1_b32 s10, s10, exec_lo
	s_delay_alu instid0(VALU_DEP_1) | instskip(NEXT) | instid1(VALU_DEP_1)
	v_and_b32_e32 v9, 0xff, v9
	v_cmp_ne_u32_e32 vcc_lo, 0, v9
	s_and_b32 s12, vcc_lo, exec_lo
	s_delay_alu instid0(SALU_CYCLE_1)
	s_or_b32 s10, s10, s12
	s_or_b32 exec_lo, exec_lo, s11
	v_mov_b32_e32 v13, 0
	s_and_saveexec_b32 s11, s10
	s_cbranch_execnz .LBB167_2876
	s_branch .LBB167_2877
.LBB167_3329:
	s_or_b32 s8, s8, exec_lo
	s_trap 2
	s_cbranch_execz .LBB167_2923
	s_branch .LBB167_2924
.LBB167_3330:
	s_and_not1_saveexec_b32 s10, s10
	s_cbranch_execz .LBB167_2888
.LBB167_3331:
	v_add_f32_e64 v9, 0x42800000, |v11|
	s_and_not1_b32 s9, s9, exec_lo
	s_delay_alu instid0(VALU_DEP_1) | instskip(NEXT) | instid1(VALU_DEP_1)
	v_and_b32_e32 v9, 0xff, v9
	v_cmp_ne_u32_e32 vcc_lo, 0, v9
	s_and_b32 s11, vcc_lo, exec_lo
	s_delay_alu instid0(SALU_CYCLE_1)
	s_or_b32 s9, s9, s11
	s_or_b32 exec_lo, exec_lo, s10
	v_mov_b32_e32 v13, 0
	s_and_saveexec_b32 s10, s9
	s_cbranch_execnz .LBB167_2889
	s_branch .LBB167_2890
.LBB167_3332:
	s_and_not1_saveexec_b32 s11, s11
	s_cbranch_execz .LBB167_2994
.LBB167_3333:
	v_add_f32_e64 v7, 0x46000000, |v8|
	s_and_not1_b32 s10, s10, exec_lo
	s_delay_alu instid0(VALU_DEP_1) | instskip(NEXT) | instid1(VALU_DEP_1)
	v_and_b32_e32 v7, 0xff, v7
	v_cmp_ne_u32_e32 vcc_lo, 0, v7
	s_and_b32 s12, vcc_lo, exec_lo
	s_delay_alu instid0(SALU_CYCLE_1)
	s_or_b32 s10, s10, s12
	s_or_b32 exec_lo, exec_lo, s11
	v_mov_b32_e32 v9, 0
	s_and_saveexec_b32 s11, s10
	s_cbranch_execnz .LBB167_2995
	s_branch .LBB167_2996
.LBB167_3334:
	s_or_b32 s8, s8, exec_lo
	s_trap 2
	s_cbranch_execz .LBB167_3042
	s_branch .LBB167_3043
.LBB167_3335:
	s_and_not1_saveexec_b32 s10, s10
	s_cbranch_execz .LBB167_3007
.LBB167_3336:
	v_add_f32_e64 v7, 0x42800000, |v8|
	s_and_not1_b32 s9, s9, exec_lo
	s_delay_alu instid0(VALU_DEP_1) | instskip(NEXT) | instid1(VALU_DEP_1)
	v_and_b32_e32 v7, 0xff, v7
	v_cmp_ne_u32_e32 vcc_lo, 0, v7
	s_and_b32 s11, vcc_lo, exec_lo
	s_delay_alu instid0(SALU_CYCLE_1)
	s_or_b32 s9, s9, s11
	s_or_b32 exec_lo, exec_lo, s10
	v_mov_b32_e32 v9, 0
	s_and_saveexec_b32 s10, s9
	s_cbranch_execnz .LBB167_3008
	s_branch .LBB167_3009
.LBB167_3337:
	s_and_not1_saveexec_b32 s11, s11
	s_cbranch_execz .LBB167_3113
.LBB167_3338:
	v_add_f32_e64 v6, 0x46000000, |v7|
	s_and_not1_b32 s10, s10, exec_lo
	s_delay_alu instid0(VALU_DEP_1) | instskip(NEXT) | instid1(VALU_DEP_1)
	v_and_b32_e32 v6, 0xff, v6
	v_cmp_ne_u32_e32 vcc_lo, 0, v6
	s_and_b32 s12, vcc_lo, exec_lo
	s_delay_alu instid0(SALU_CYCLE_1)
	s_or_b32 s10, s10, s12
	s_or_b32 exec_lo, exec_lo, s11
	v_mov_b32_e32 v8, 0
	s_and_saveexec_b32 s11, s10
	s_cbranch_execnz .LBB167_3114
	s_branch .LBB167_3115
.LBB167_3339:
	s_or_b32 s8, s8, exec_lo
	s_trap 2
	s_cbranch_execz .LBB167_3161
	s_branch .LBB167_3162
.LBB167_3340:
	s_and_not1_saveexec_b32 s10, s10
	s_cbranch_execz .LBB167_3126
.LBB167_3341:
	v_add_f32_e64 v6, 0x42800000, |v7|
	s_and_not1_b32 s9, s9, exec_lo
	s_delay_alu instid0(VALU_DEP_1) | instskip(NEXT) | instid1(VALU_DEP_1)
	v_and_b32_e32 v6, 0xff, v6
	v_cmp_ne_u32_e32 vcc_lo, 0, v6
	s_and_b32 s11, vcc_lo, exec_lo
	s_delay_alu instid0(SALU_CYCLE_1)
	s_or_b32 s9, s9, s11
	s_or_b32 exec_lo, exec_lo, s10
	v_mov_b32_e32 v8, 0
	s_and_saveexec_b32 s10, s9
	s_cbranch_execnz .LBB167_3127
	s_branch .LBB167_3128
.LBB167_3342:
	s_and_not1_saveexec_b32 s9, s9
	s_cbranch_execz .LBB167_3233
.LBB167_3343:
	v_add_f32_e64 v4, 0x46000000, |v5|
	s_and_not1_b32 s5, s5, exec_lo
	s_delay_alu instid0(VALU_DEP_1) | instskip(NEXT) | instid1(VALU_DEP_1)
	v_and_b32_e32 v4, 0xff, v4
	v_cmp_ne_u32_e32 vcc_lo, 0, v4
	s_and_b32 s10, vcc_lo, exec_lo
	s_delay_alu instid0(SALU_CYCLE_1)
	s_or_b32 s5, s5, s10
	s_or_b32 exec_lo, exec_lo, s9
	v_mov_b32_e32 v6, 0
	s_and_saveexec_b32 s9, s5
	s_cbranch_execnz .LBB167_3234
	s_branch .LBB167_3235
.LBB167_3344:
	s_mov_b32 s2, 0
	s_or_b32 s8, s8, exec_lo
	s_trap 2
	s_branch .LBB167_3279
.LBB167_3345:
	s_and_not1_saveexec_b32 s5, s5
	s_cbranch_execz .LBB167_3245
.LBB167_3346:
	v_add_f32_e64 v4, 0x42800000, |v5|
	s_and_not1_b32 s3, s3, exec_lo
	s_delay_alu instid0(VALU_DEP_1) | instskip(NEXT) | instid1(VALU_DEP_1)
	v_and_b32_e32 v4, 0xff, v4
	v_cmp_ne_u32_e32 vcc_lo, 0, v4
	s_and_b32 s9, vcc_lo, exec_lo
	s_delay_alu instid0(SALU_CYCLE_1)
	s_or_b32 s3, s3, s9
	s_or_b32 exec_lo, exec_lo, s5
	v_mov_b32_e32 v6, 0
	s_and_saveexec_b32 s5, s3
	s_cbranch_execnz .LBB167_3246
	s_branch .LBB167_3247
	.section	.rodata,"a",@progbits
	.p2align	6, 0x0
	.amdhsa_kernel _ZN2at6native32elementwise_kernel_manual_unrollILi128ELi4EZNS0_15gpu_kernel_implIZZZNS0_12_GLOBAL__N_116addr_kernel_cudaERNS_14TensorIteratorERKN3c106ScalarES9_ENKUlvE_clEvENKUlvE8_clEvEUlNS6_8BFloat16ESC_SC_E_EEvRNS_18TensorIteratorBaseERKT_EUlibE0_EEviT1_
		.amdhsa_group_segment_fixed_size 0
		.amdhsa_private_segment_fixed_size 0
		.amdhsa_kernarg_size 504
		.amdhsa_user_sgpr_count 2
		.amdhsa_user_sgpr_dispatch_ptr 0
		.amdhsa_user_sgpr_queue_ptr 0
		.amdhsa_user_sgpr_kernarg_segment_ptr 1
		.amdhsa_user_sgpr_dispatch_id 0
		.amdhsa_user_sgpr_kernarg_preload_length 0
		.amdhsa_user_sgpr_kernarg_preload_offset 0
		.amdhsa_user_sgpr_private_segment_size 0
		.amdhsa_wavefront_size32 1
		.amdhsa_uses_dynamic_stack 0
		.amdhsa_enable_private_segment 0
		.amdhsa_system_sgpr_workgroup_id_x 1
		.amdhsa_system_sgpr_workgroup_id_y 0
		.amdhsa_system_sgpr_workgroup_id_z 0
		.amdhsa_system_sgpr_workgroup_info 0
		.amdhsa_system_vgpr_workitem_id 0
		.amdhsa_next_free_vgpr 26
		.amdhsa_next_free_sgpr 63
		.amdhsa_named_barrier_count 0
		.amdhsa_reserve_vcc 1
		.amdhsa_float_round_mode_32 0
		.amdhsa_float_round_mode_16_64 0
		.amdhsa_float_denorm_mode_32 3
		.amdhsa_float_denorm_mode_16_64 3
		.amdhsa_fp16_overflow 0
		.amdhsa_memory_ordered 1
		.amdhsa_forward_progress 1
		.amdhsa_inst_pref_size 255
		.amdhsa_round_robin_scheduling 0
		.amdhsa_exception_fp_ieee_invalid_op 0
		.amdhsa_exception_fp_denorm_src 0
		.amdhsa_exception_fp_ieee_div_zero 0
		.amdhsa_exception_fp_ieee_overflow 0
		.amdhsa_exception_fp_ieee_underflow 0
		.amdhsa_exception_fp_ieee_inexact 0
		.amdhsa_exception_int_div_zero 0
	.end_amdhsa_kernel
	.section	.text._ZN2at6native32elementwise_kernel_manual_unrollILi128ELi4EZNS0_15gpu_kernel_implIZZZNS0_12_GLOBAL__N_116addr_kernel_cudaERNS_14TensorIteratorERKN3c106ScalarES9_ENKUlvE_clEvENKUlvE8_clEvEUlNS6_8BFloat16ESC_SC_E_EEvRNS_18TensorIteratorBaseERKT_EUlibE0_EEviT1_,"axG",@progbits,_ZN2at6native32elementwise_kernel_manual_unrollILi128ELi4EZNS0_15gpu_kernel_implIZZZNS0_12_GLOBAL__N_116addr_kernel_cudaERNS_14TensorIteratorERKN3c106ScalarES9_ENKUlvE_clEvENKUlvE8_clEvEUlNS6_8BFloat16ESC_SC_E_EEvRNS_18TensorIteratorBaseERKT_EUlibE0_EEviT1_,comdat
.Lfunc_end167:
	.size	_ZN2at6native32elementwise_kernel_manual_unrollILi128ELi4EZNS0_15gpu_kernel_implIZZZNS0_12_GLOBAL__N_116addr_kernel_cudaERNS_14TensorIteratorERKN3c106ScalarES9_ENKUlvE_clEvENKUlvE8_clEvEUlNS6_8BFloat16ESC_SC_E_EEvRNS_18TensorIteratorBaseERKT_EUlibE0_EEviT1_, .Lfunc_end167-_ZN2at6native32elementwise_kernel_manual_unrollILi128ELi4EZNS0_15gpu_kernel_implIZZZNS0_12_GLOBAL__N_116addr_kernel_cudaERNS_14TensorIteratorERKN3c106ScalarES9_ENKUlvE_clEvENKUlvE8_clEvEUlNS6_8BFloat16ESC_SC_E_EEvRNS_18TensorIteratorBaseERKT_EUlibE0_EEviT1_
                                        ; -- End function
	.set _ZN2at6native32elementwise_kernel_manual_unrollILi128ELi4EZNS0_15gpu_kernel_implIZZZNS0_12_GLOBAL__N_116addr_kernel_cudaERNS_14TensorIteratorERKN3c106ScalarES9_ENKUlvE_clEvENKUlvE8_clEvEUlNS6_8BFloat16ESC_SC_E_EEvRNS_18TensorIteratorBaseERKT_EUlibE0_EEviT1_.num_vgpr, 26
	.set _ZN2at6native32elementwise_kernel_manual_unrollILi128ELi4EZNS0_15gpu_kernel_implIZZZNS0_12_GLOBAL__N_116addr_kernel_cudaERNS_14TensorIteratorERKN3c106ScalarES9_ENKUlvE_clEvENKUlvE8_clEvEUlNS6_8BFloat16ESC_SC_E_EEvRNS_18TensorIteratorBaseERKT_EUlibE0_EEviT1_.num_agpr, 0
	.set _ZN2at6native32elementwise_kernel_manual_unrollILi128ELi4EZNS0_15gpu_kernel_implIZZZNS0_12_GLOBAL__N_116addr_kernel_cudaERNS_14TensorIteratorERKN3c106ScalarES9_ENKUlvE_clEvENKUlvE8_clEvEUlNS6_8BFloat16ESC_SC_E_EEvRNS_18TensorIteratorBaseERKT_EUlibE0_EEviT1_.numbered_sgpr, 63
	.set _ZN2at6native32elementwise_kernel_manual_unrollILi128ELi4EZNS0_15gpu_kernel_implIZZZNS0_12_GLOBAL__N_116addr_kernel_cudaERNS_14TensorIteratorERKN3c106ScalarES9_ENKUlvE_clEvENKUlvE8_clEvEUlNS6_8BFloat16ESC_SC_E_EEvRNS_18TensorIteratorBaseERKT_EUlibE0_EEviT1_.num_named_barrier, 0
	.set _ZN2at6native32elementwise_kernel_manual_unrollILi128ELi4EZNS0_15gpu_kernel_implIZZZNS0_12_GLOBAL__N_116addr_kernel_cudaERNS_14TensorIteratorERKN3c106ScalarES9_ENKUlvE_clEvENKUlvE8_clEvEUlNS6_8BFloat16ESC_SC_E_EEvRNS_18TensorIteratorBaseERKT_EUlibE0_EEviT1_.private_seg_size, 0
	.set _ZN2at6native32elementwise_kernel_manual_unrollILi128ELi4EZNS0_15gpu_kernel_implIZZZNS0_12_GLOBAL__N_116addr_kernel_cudaERNS_14TensorIteratorERKN3c106ScalarES9_ENKUlvE_clEvENKUlvE8_clEvEUlNS6_8BFloat16ESC_SC_E_EEvRNS_18TensorIteratorBaseERKT_EUlibE0_EEviT1_.uses_vcc, 1
	.set _ZN2at6native32elementwise_kernel_manual_unrollILi128ELi4EZNS0_15gpu_kernel_implIZZZNS0_12_GLOBAL__N_116addr_kernel_cudaERNS_14TensorIteratorERKN3c106ScalarES9_ENKUlvE_clEvENKUlvE8_clEvEUlNS6_8BFloat16ESC_SC_E_EEvRNS_18TensorIteratorBaseERKT_EUlibE0_EEviT1_.uses_flat_scratch, 0
	.set _ZN2at6native32elementwise_kernel_manual_unrollILi128ELi4EZNS0_15gpu_kernel_implIZZZNS0_12_GLOBAL__N_116addr_kernel_cudaERNS_14TensorIteratorERKN3c106ScalarES9_ENKUlvE_clEvENKUlvE8_clEvEUlNS6_8BFloat16ESC_SC_E_EEvRNS_18TensorIteratorBaseERKT_EUlibE0_EEviT1_.has_dyn_sized_stack, 0
	.set _ZN2at6native32elementwise_kernel_manual_unrollILi128ELi4EZNS0_15gpu_kernel_implIZZZNS0_12_GLOBAL__N_116addr_kernel_cudaERNS_14TensorIteratorERKN3c106ScalarES9_ENKUlvE_clEvENKUlvE8_clEvEUlNS6_8BFloat16ESC_SC_E_EEvRNS_18TensorIteratorBaseERKT_EUlibE0_EEviT1_.has_recursion, 0
	.set _ZN2at6native32elementwise_kernel_manual_unrollILi128ELi4EZNS0_15gpu_kernel_implIZZZNS0_12_GLOBAL__N_116addr_kernel_cudaERNS_14TensorIteratorERKN3c106ScalarES9_ENKUlvE_clEvENKUlvE8_clEvEUlNS6_8BFloat16ESC_SC_E_EEvRNS_18TensorIteratorBaseERKT_EUlibE0_EEviT1_.has_indirect_call, 0
	.section	.AMDGPU.csdata,"",@progbits
; Kernel info:
; codeLenInByte = 76928
; TotalNumSgprs: 65
; NumVgprs: 26
; ScratchSize: 0
; MemoryBound: 0
; FloatMode: 240
; IeeeMode: 1
; LDSByteSize: 0 bytes/workgroup (compile time only)
; SGPRBlocks: 0
; VGPRBlocks: 1
; NumSGPRsForWavesPerEU: 65
; NumVGPRsForWavesPerEU: 26
; NamedBarCnt: 0
; Occupancy: 16
; WaveLimiterHint : 1
; COMPUTE_PGM_RSRC2:SCRATCH_EN: 0
; COMPUTE_PGM_RSRC2:USER_SGPR: 2
; COMPUTE_PGM_RSRC2:TRAP_HANDLER: 0
; COMPUTE_PGM_RSRC2:TGID_X_EN: 1
; COMPUTE_PGM_RSRC2:TGID_Y_EN: 0
; COMPUTE_PGM_RSRC2:TGID_Z_EN: 0
; COMPUTE_PGM_RSRC2:TIDIG_COMP_CNT: 0
	.section	.text._ZN2at6native29vectorized_elementwise_kernelILi16EZZZNS0_12_GLOBAL__N_116addr_kernel_cudaERNS_14TensorIteratorERKN3c106ScalarES8_ENKUlvE_clEvENKUlvE8_clEvEUlNS5_8BFloat16ESB_SB_E0_St5arrayIPcLm4EEEEviT0_T1_,"axG",@progbits,_ZN2at6native29vectorized_elementwise_kernelILi16EZZZNS0_12_GLOBAL__N_116addr_kernel_cudaERNS_14TensorIteratorERKN3c106ScalarES8_ENKUlvE_clEvENKUlvE8_clEvEUlNS5_8BFloat16ESB_SB_E0_St5arrayIPcLm4EEEEviT0_T1_,comdat
	.globl	_ZN2at6native29vectorized_elementwise_kernelILi16EZZZNS0_12_GLOBAL__N_116addr_kernel_cudaERNS_14TensorIteratorERKN3c106ScalarES8_ENKUlvE_clEvENKUlvE8_clEvEUlNS5_8BFloat16ESB_SB_E0_St5arrayIPcLm4EEEEviT0_T1_ ; -- Begin function _ZN2at6native29vectorized_elementwise_kernelILi16EZZZNS0_12_GLOBAL__N_116addr_kernel_cudaERNS_14TensorIteratorERKN3c106ScalarES8_ENKUlvE_clEvENKUlvE8_clEvEUlNS5_8BFloat16ESB_SB_E0_St5arrayIPcLm4EEEEviT0_T1_
	.p2align	8
	.type	_ZN2at6native29vectorized_elementwise_kernelILi16EZZZNS0_12_GLOBAL__N_116addr_kernel_cudaERNS_14TensorIteratorERKN3c106ScalarES8_ENKUlvE_clEvENKUlvE8_clEvEUlNS5_8BFloat16ESB_SB_E0_St5arrayIPcLm4EEEEviT0_T1_,@function
_ZN2at6native29vectorized_elementwise_kernelILi16EZZZNS0_12_GLOBAL__N_116addr_kernel_cudaERNS_14TensorIteratorERKN3c106ScalarES8_ENKUlvE_clEvENKUlvE8_clEvEUlNS5_8BFloat16ESB_SB_E0_St5arrayIPcLm4EEEEviT0_T1_: ; @_ZN2at6native29vectorized_elementwise_kernelILi16EZZZNS0_12_GLOBAL__N_116addr_kernel_cudaERNS_14TensorIteratorERKN3c106ScalarES8_ENKUlvE_clEvENKUlvE8_clEvEUlNS5_8BFloat16ESB_SB_E0_St5arrayIPcLm4EEEEviT0_T1_
; %bb.0:
	s_clause 0x1
	s_load_b64 s[12:13], s[0:1], 0x0
	s_load_b256 s[4:11], s[0:1], 0x8
	s_wait_xcnt 0x0
	s_bfe_u32 s0, ttmp6, 0x4000c
	s_and_b32 s1, ttmp6, 15
	s_add_co_i32 s0, s0, 1
	s_getreg_b32 s2, hwreg(HW_REG_IB_STS2, 6, 4)
	s_mul_i32 s0, ttmp9, s0
	s_delay_alu instid0(SALU_CYCLE_1) | instskip(SKIP_2) | instid1(SALU_CYCLE_1)
	s_add_co_i32 s1, s1, s0
	s_cmp_eq_u32 s2, 0
	s_cselect_b32 s0, ttmp9, s1
	s_lshl_b32 s2, s0, 11
	s_mov_b32 s0, -1
	s_wait_kmcnt 0x0
	s_sub_co_i32 s15, s12, s2
	s_and_b32 s12, s13, 0xffff0000
	s_cmp_gt_i32 s15, 0x7ff
	s_cbranch_scc0 .LBB168_2
; %bb.1:
	s_ashr_i32 s3, s2, 31
	s_lshl_b32 s14, s13, 16
	s_lshl_b64 s[0:1], s[2:3], 1
	s_delay_alu instid0(SALU_CYCLE_1)
	s_add_nc_u64 s[16:17], s[8:9], s[0:1]
	global_load_b128 v[2:5], v0, s[16:17] scale_offset
	s_wait_xcnt 0x0
	s_add_nc_u64 s[16:17], s[6:7], s[0:1]
	global_load_b128 v[6:9], v0, s[16:17] scale_offset
	s_wait_xcnt 0x0
	;; [unrolled: 3-line block ×3, first 2 shown]
	s_add_nc_u64 s[16:17], s[4:5], s[0:1]
	s_mov_b32 s0, 0
	s_wait_loadcnt 0x2
	v_and_b32_e32 v15, 0xffff0000, v2
	v_dual_lshlrev_b32 v14, 16, v2 :: v_dual_lshlrev_b32 v16, 16, v3
	v_and_b32_e32 v17, 0xffff0000, v3
	s_wait_loadcnt 0x1
	v_and_b32_e32 v3, 0xffff0000, v6
	v_dual_lshlrev_b32 v2, 16, v6 :: v_dual_lshlrev_b32 v18, 16, v7
	v_pk_mul_f32 v[14:15], s[12:13], v[14:15] op_sel_hi:[0,1]
	v_and_b32_e32 v19, 0xffff0000, v7
	s_wait_loadcnt 0x0
	v_and_b32_e32 v7, 0xffff0000, v10
	v_dual_lshlrev_b32 v6, 16, v10 :: v_dual_lshlrev_b32 v20, 16, v11
	v_bfe_u32 v32, v15, 16, 1
	v_and_b32_e32 v21, 0xffff0000, v11
	v_and_b32_e32 v11, 0xffff0000, v4
	v_dual_lshlrev_b32 v10, 16, v4 :: v_dual_lshlrev_b32 v22, 16, v5
	v_and_b32_e32 v23, 0xffff0000, v5
	v_and_b32_e32 v5, 0xffff0000, v8
	v_dual_lshlrev_b32 v4, 16, v8 :: v_dual_lshlrev_b32 v24, 16, v9
	;; [unrolled: 3-line block ×3, first 2 shown]
	v_and_b32_e32 v27, 0xffff0000, v13
	v_pk_mul_f32 v[12:13], s[12:13], v[16:17] op_sel_hi:[0,1]
	v_bfe_u32 v31, v14, 16, 1
	v_add3_u32 v32, v15, v32, 0x7fff
	v_cmp_o_f32_e32 vcc_lo, v15, v15
	v_pk_mul_f32 v[2:3], s[14:15], v[2:3] op_sel_hi:[0,1]
	v_bfe_u32 v30, v13, 16, 1
	v_add3_u32 v31, v14, v31, 0x7fff
	v_and_b32_e32 v32, 0xffff0000, v32
	v_bfe_u32 v29, v12, 16, 1
	v_bfe_u32 v28, v3, 16, 1
	v_add3_u32 v30, v13, v30, 0x7fff
	v_and_b32_e32 v31, 0xffff0000, v31
	v_cndmask_b32_e32 v15, 0x7fc00000, v32, vcc_lo
	v_cmp_o_f32_e32 vcc_lo, v14, v14
	v_add3_u32 v29, v12, v29, 0x7fff
	v_and_b32_e32 v30, 0xffff0000, v30
	v_pk_mul_f32 v[16:17], s[14:15], v[18:19] op_sel_hi:[0,1]
	v_pk_mul_f32 v[18:19], s[12:13], v[22:23] op_sel_hi:[0,1]
	v_cndmask_b32_e32 v14, 0x7fc00000, v31, vcc_lo
	v_cmp_o_f32_e32 vcc_lo, v13, v13
	v_pk_mul_f32 v[22:23], s[14:15], v[24:25] op_sel_hi:[0,1]
	v_bfe_u32 v25, v2, 16, 1
	v_add3_u32 v28, v3, v28, 0x7fff
	v_and_b32_e32 v29, 0xffff0000, v29
	v_cndmask_b32_e32 v13, 0x7fc00000, v30, vcc_lo
	v_cmp_o_f32_e32 vcc_lo, v12, v12
	v_bfe_u32 v24, v17, 16, 1
	v_add3_u32 v25, v2, v25, 0x7fff
	v_and_b32_e32 v28, 0xffff0000, v28
	v_pk_mul_f32 v[10:11], s[12:13], v[10:11] op_sel_hi:[0,1]
	v_cndmask_b32_e32 v12, 0x7fc00000, v29, vcc_lo
	v_cmp_o_f32_e32 vcc_lo, v3, v3
	v_bfe_u32 v1, v16, 16, 1
	v_add3_u32 v24, v17, v24, 0x7fff
	v_and_b32_e32 v25, 0xffff0000, v25
	v_bfe_u32 v40, v11, 16, 1
	v_cndmask_b32_e32 v3, 0x7fc00000, v28, vcc_lo
	v_cmp_o_f32_e32 vcc_lo, v2, v2
	v_add3_u32 v1, v16, v1, 0x7fff
	v_and_b32_e32 v24, 0xffff0000, v24
	v_bfe_u32 v39, v10, 16, 1
	v_add3_u32 v40, v11, v40, 0x7fff
	v_cndmask_b32_e32 v2, 0x7fc00000, v25, vcc_lo
	v_cmp_o_f32_e32 vcc_lo, v17, v17
	v_and_b32_e32 v1, 0xffff0000, v1
	v_bfe_u32 v38, v19, 16, 1
	v_add3_u32 v39, v10, v39, 0x7fff
	v_and_b32_e32 v40, 0xffff0000, v40
	v_cndmask_b32_e32 v17, 0x7fc00000, v24, vcc_lo
	v_cmp_o_f32_e32 vcc_lo, v16, v16
	v_pk_mul_f32 v[4:5], s[14:15], v[4:5] op_sel_hi:[0,1]
	v_bfe_u32 v37, v18, 16, 1
	v_add3_u32 v38, v19, v38, 0x7fff
	v_and_b32_e32 v39, 0xffff0000, v39
	v_cndmask_b32_e32 v16, 0x7fc00000, v1, vcc_lo
	v_cmp_o_f32_e32 vcc_lo, v11, v11
	v_bfe_u32 v36, v5, 16, 1
	v_add3_u32 v37, v18, v37, 0x7fff
	v_and_b32_e32 v38, 0xffff0000, v38
	v_bfe_u32 v35, v4, 16, 1
	v_cndmask_b32_e32 v11, 0x7fc00000, v40, vcc_lo
	v_cmp_o_f32_e32 vcc_lo, v10, v10
	v_add3_u32 v36, v5, v36, 0x7fff
	v_and_b32_e32 v37, 0xffff0000, v37
	v_bfe_u32 v34, v23, 16, 1
	v_add3_u32 v35, v4, v35, 0x7fff
	v_cndmask_b32_e32 v10, 0x7fc00000, v39, vcc_lo
	v_cmp_o_f32_e32 vcc_lo, v19, v19
	v_and_b32_e32 v36, 0xffff0000, v36
	v_bfe_u32 v33, v22, 16, 1
	v_add3_u32 v34, v23, v34, 0x7fff
	v_and_b32_e32 v35, 0xffff0000, v35
	v_cndmask_b32_e32 v19, 0x7fc00000, v38, vcc_lo
	v_cmp_o_f32_e32 vcc_lo, v18, v18
	v_pk_mul_f32 v[6:7], v[14:15], v[6:7]
	v_add3_u32 v33, v22, v33, 0x7fff
	v_and_b32_e32 v34, 0xffff0000, v34
	v_pk_mul_f32 v[12:13], v[12:13], v[20:21]
	v_cndmask_b32_e32 v18, 0x7fc00000, v37, vcc_lo
	v_cmp_o_f32_e32 vcc_lo, v5, v5
	v_and_b32_e32 v33, 0xffff0000, v33
	v_pk_mul_f32 v[8:9], v[10:11], v[8:9]
	v_bfe_u32 v11, v6, 16, 1
	v_pk_mul_f32 v[14:15], v[18:19], v[26:27]
	v_cndmask_b32_e32 v5, 0x7fc00000, v36, vcc_lo
	v_cmp_o_f32_e32 vcc_lo, v4, v4
	v_bfe_u32 v18, v7, 16, 1
	v_bfe_u32 v10, v13, 16, 1
	v_add3_u32 v11, v6, v11, 0x7fff
	v_bfe_u32 v1, v12, 16, 1
	v_cndmask_b32_e32 v4, 0x7fc00000, v35, vcc_lo
	v_cmp_o_f32_e32 vcc_lo, v23, v23
	v_add3_u32 v18, v7, v18, 0x7fff
	v_add3_u32 v10, v13, v10, 0x7fff
	v_and_b32_e32 v11, 0xffff0000, v11
	v_bfe_u32 v24, v9, 16, 1
	v_cndmask_b32_e32 v23, 0x7fc00000, v34, vcc_lo
	v_cmp_o_f32_e32 vcc_lo, v22, v22
	v_and_b32_e32 v18, 0xffff0000, v18
	v_add3_u32 v1, v12, v1, 0x7fff
	v_and_b32_e32 v10, 0xffff0000, v10
	v_bfe_u32 v20, v15, 16, 1
	v_cndmask_b32_e32 v22, 0x7fc00000, v33, vcc_lo
	v_cmp_o_f32_e32 vcc_lo, v7, v7
	v_add3_u32 v24, v9, v24, 0x7fff
	v_and_b32_e32 v1, 0xffff0000, v1
	v_bfe_u32 v19, v14, 16, 1
	v_add3_u32 v20, v15, v20, 0x7fff
	v_cndmask_b32_e32 v7, 0x7fc00000, v18, vcc_lo
	v_cmp_o_f32_e32 vcc_lo, v6, v6
	v_and_b32_e32 v24, 0xffff0000, v24
	v_bfe_u32 v21, v8, 16, 1
	v_add3_u32 v19, v14, v19, 0x7fff
	v_and_b32_e32 v20, 0xffff0000, v20
	v_cndmask_b32_e32 v6, 0x7fc00000, v11, vcc_lo
	v_cmp_o_f32_e32 vcc_lo, v13, v13
	v_add3_u32 v21, v8, v21, 0x7fff
	v_and_b32_e32 v19, 0xffff0000, v19
	s_delay_alu instid0(VALU_DEP_4)
	v_pk_add_f32 v[2:3], v[2:3], v[6:7]
	v_cndmask_b32_e32 v11, 0x7fc00000, v10, vcc_lo
	v_cmp_o_f32_e32 vcc_lo, v12, v12
	v_and_b32_e32 v21, 0xffff0000, v21
	v_cndmask_b32_e32 v10, 0x7fc00000, v1, vcc_lo
	v_cmp_o_f32_e32 vcc_lo, v9, v9
	v_bfe_u32 v1, v2, 16, 1
	s_delay_alu instid0(VALU_DEP_3) | instskip(SKIP_2) | instid1(VALU_DEP_4)
	v_pk_add_f32 v[6:7], v[16:17], v[10:11]
	v_cndmask_b32_e32 v9, 0x7fc00000, v24, vcc_lo
	v_cmp_o_f32_e32 vcc_lo, v15, v15
	v_add3_u32 v1, v2, v1, 0x7fff
	v_cndmask_b32_e32 v13, 0x7fc00000, v20, vcc_lo
	v_cmp_o_f32_e32 vcc_lo, v14, v14
	s_delay_alu instid0(VALU_DEP_3) | instskip(SKIP_1) | instid1(VALU_DEP_2)
	v_dual_cndmask_b32 v12, 0x7fc00000, v19 :: v_dual_lshrrev_b32 v1, 16, v1
	v_cmp_o_f32_e32 vcc_lo, v8, v8
	v_pk_add_f32 v[10:11], v[22:23], v[12:13]
	v_cndmask_b32_e32 v8, 0x7fc00000, v21, vcc_lo
	v_bfe_u32 v12, v7, 16, 1
	v_cmp_o_f32_e32 vcc_lo, v2, v2
	s_delay_alu instid0(VALU_DEP_4) | instskip(NEXT) | instid1(VALU_DEP_4)
	v_bfe_u32 v15, v10, 16, 1
	v_pk_add_f32 v[4:5], v[4:5], v[8:9]
	v_bfe_u32 v9, v6, 16, 1
	v_add3_u32 v12, v7, v12, 0x7fff
	v_cndmask_b32_e32 v1, 0x7fc0, v1, vcc_lo
	v_cmp_o_f32_e32 vcc_lo, v6, v6
	v_bfe_u32 v13, v4, 16, 1
	v_add3_u32 v9, v6, v9, 0x7fff
	v_lshrrev_b32_e32 v12, 16, v12
	v_bfe_u32 v16, v11, 16, 1
	v_add3_u32 v15, v10, v15, 0x7fff
	v_add3_u32 v13, v4, v13, 0x7fff
	v_lshrrev_b32_e32 v9, 16, v9
	v_bfe_u32 v14, v5, 16, 1
	v_add3_u32 v16, v11, v16, 0x7fff
	s_delay_alu instid0(VALU_DEP_4) | instskip(NEXT) | instid1(VALU_DEP_4)
	v_dual_lshrrev_b32 v15, 16, v15 :: v_dual_lshrrev_b32 v13, 16, v13
	v_cndmask_b32_e32 v2, 0x7fc0, v9, vcc_lo
	v_cmp_o_f32_e32 vcc_lo, v7, v7
	v_bfe_u32 v8, v3, 16, 1
	v_add3_u32 v14, v5, v14, 0x7fff
	v_lshrrev_b32_e32 v16, 16, v16
	v_cndmask_b32_e32 v6, 0x7fc0, v12, vcc_lo
	v_cmp_o_f32_e32 vcc_lo, v4, v4
	v_add3_u32 v8, v3, v8, 0x7fff
	v_lshrrev_b32_e32 v14, 16, v14
	v_cndmask_b32_e32 v4, 0x7fc0, v13, vcc_lo
	v_cmp_o_f32_e32 vcc_lo, v10, v10
	s_delay_alu instid0(VALU_DEP_4) | instskip(SKIP_3) | instid1(VALU_DEP_2)
	v_dual_cndmask_b32 v7, 0x7fc0, v15 :: v_dual_lshrrev_b32 v8, 16, v8
	v_cmp_o_f32_e32 vcc_lo, v11, v11
	v_cndmask_b32_e32 v9, 0x7fc0, v16, vcc_lo
	v_cmp_o_f32_e32 vcc_lo, v5, v5
	v_perm_b32 v5, v9, v7, 0x5040100
	v_cndmask_b32_e32 v10, 0x7fc0, v14, vcc_lo
	v_cmp_o_f32_e32 vcc_lo, v3, v3
	v_perm_b32 v3, v6, v2, 0x5040100
	s_delay_alu instid0(VALU_DEP_3) | instskip(SKIP_1) | instid1(VALU_DEP_1)
	v_perm_b32 v4, v10, v4, 0x5040100
	v_cndmask_b32_e32 v8, 0x7fc0, v8, vcc_lo
	v_perm_b32 v2, v8, v1, 0x5040100
	global_store_b128 v0, v[2:5], s[16:17] scale_offset
.LBB168_2:
	s_and_not1_b32 vcc_lo, exec_lo, s0
	s_cbranch_vccnz .LBB168_43
; %bb.3:
	v_cmp_gt_i32_e32 vcc_lo, s15, v0
	v_dual_mov_b32 v24, 0 :: v_dual_bitop2_b32 v1, s2, v0 bitop3:0x54
	v_or_b32_e32 v18, 0x100, v0
	v_dual_mov_b32 v27, 0 :: v_dual_mov_b32 v21, v0
	v_dual_mov_b32 v16, 0 :: v_dual_mov_b32 v17, 0
	s_wait_xcnt 0x0
	s_and_saveexec_b32 s0, vcc_lo
	s_cbranch_execz .LBB168_5
; %bb.4:
	s_clause 0x2
	global_load_u16 v2, v1, s[8:9] scale_offset
	global_load_u16 v3, v1, s[6:7] scale_offset
	;; [unrolled: 1-line block ×3, first 2 shown]
	v_or_b32_e32 v21, 0x100, v0
	s_wait_loadcnt 0x1
	v_dual_lshlrev_b32 v27, 16, v2 :: v_dual_lshlrev_b32 v16, 16, v3
	s_wait_loadcnt 0x0
	v_lshlrev_b32_e32 v17, 16, v4
.LBB168_5:
	s_wait_xcnt 0x0
	s_or_b32 exec_lo, exec_lo, s0
	v_dual_mov_b32 v14, 0 :: v_dual_mov_b32 v15, 0
	s_mov_b32 s1, exec_lo
	v_cmpx_gt_i32_e64 s15, v21
	s_cbranch_execz .LBB168_7
; %bb.6:
	v_add_nc_u32_e32 v2, s2, v21
	v_add_nc_u32_e32 v21, 0x100, v21
	s_clause 0x2
	global_load_u16 v3, v2, s[8:9] scale_offset
	global_load_u16 v4, v2, s[6:7] scale_offset
	global_load_u16 v5, v2, s[10:11] scale_offset
	s_wait_loadcnt 0x1
	v_dual_lshlrev_b32 v24, 16, v3 :: v_dual_lshlrev_b32 v14, 16, v4
	s_wait_loadcnt 0x0
	v_lshlrev_b32_e32 v15, 16, v5
.LBB168_7:
	s_wait_xcnt 0x0
	s_or_b32 exec_lo, exec_lo, s1
	v_dual_mov_b32 v22, 0 :: v_dual_mov_b32 v26, 0
	v_dual_mov_b32 v12, 0 :: v_dual_mov_b32 v13, 0
	s_mov_b32 s1, exec_lo
	v_cmpx_gt_i32_e64 s15, v21
	s_cbranch_execz .LBB168_9
; %bb.8:
	v_add_nc_u32_e32 v2, s2, v21
	v_add_nc_u32_e32 v21, 0x100, v21
	s_clause 0x2
	global_load_u16 v3, v2, s[8:9] scale_offset
	global_load_u16 v4, v2, s[6:7] scale_offset
	global_load_u16 v5, v2, s[10:11] scale_offset
	s_wait_loadcnt 0x1
	v_dual_lshlrev_b32 v26, 16, v3 :: v_dual_lshlrev_b32 v12, 16, v4
	s_wait_loadcnt 0x0
	v_lshlrev_b32_e32 v13, 16, v5
.LBB168_9:
	s_wait_xcnt 0x0
	s_or_b32 exec_lo, exec_lo, s1
	v_dual_mov_b32 v10, 0 :: v_dual_mov_b32 v11, 0
	s_mov_b32 s1, exec_lo
	v_cmpx_gt_i32_e64 s15, v21
	s_cbranch_execz .LBB168_11
; %bb.10:
	v_add_nc_u32_e32 v2, s2, v21
	v_add_nc_u32_e32 v21, 0x100, v21
	s_clause 0x2
	global_load_u16 v3, v2, s[8:9] scale_offset
	global_load_u16 v4, v2, s[6:7] scale_offset
	global_load_u16 v5, v2, s[10:11] scale_offset
	s_wait_loadcnt 0x1
	v_dual_lshlrev_b32 v22, 16, v3 :: v_dual_lshlrev_b32 v10, 16, v4
	s_wait_loadcnt 0x0
	v_lshlrev_b32_e32 v11, 16, v5
.LBB168_11:
	s_wait_xcnt 0x0
	s_or_b32 exec_lo, exec_lo, s1
	v_dual_mov_b32 v20, 0 :: v_dual_mov_b32 v25, 0
	v_dual_mov_b32 v8, 0 :: v_dual_mov_b32 v9, 0
	s_mov_b32 s1, exec_lo
	v_cmpx_gt_i32_e64 s15, v21
	s_cbranch_execz .LBB168_13
; %bb.12:
	v_add_nc_u32_e32 v2, s2, v21
	v_add_nc_u32_e32 v21, 0x100, v21
	s_clause 0x2
	global_load_u16 v3, v2, s[8:9] scale_offset
	global_load_u16 v4, v2, s[6:7] scale_offset
	global_load_u16 v5, v2, s[10:11] scale_offset
	s_wait_loadcnt 0x1
	v_dual_lshlrev_b32 v25, 16, v3 :: v_dual_lshlrev_b32 v8, 16, v4
	s_wait_loadcnt 0x0
	v_lshlrev_b32_e32 v9, 16, v5
.LBB168_13:
	;; [unrolled: 37-line block ×3, first 2 shown]
	s_wait_xcnt 0x0
	s_or_b32 exec_lo, exec_lo, s1
	v_dual_mov_b32 v2, 0 :: v_dual_mov_b32 v3, 0
	s_mov_b32 s1, exec_lo
	v_cmpx_gt_i32_e64 s15, v21
	s_cbranch_execz .LBB168_19
; %bb.18:
	v_add_nc_u32_e32 v2, s2, v21
	s_clause 0x2
	global_load_u16 v3, v2, s[8:9] scale_offset
	global_load_u16 v21, v2, s[6:7] scale_offset
	;; [unrolled: 1-line block ×3, first 2 shown]
	s_wait_loadcnt 0x1
	s_wait_xcnt 0x0
	v_dual_lshlrev_b32 v19, 16, v3 :: v_dual_lshlrev_b32 v2, 16, v21
	s_wait_loadcnt 0x0
	v_lshlrev_b32_e32 v3, 16, v28
.LBB168_19:
	s_or_b32 exec_lo, exec_lo, s1
	s_lshl_b32 s1, s13, 16
                                        ; implicit-def: $vgpr21
	s_and_saveexec_b32 s3, vcc_lo
	s_cbranch_execz .LBB168_21
; %bb.20:
	v_dual_mul_f32 v21, s12, v27 :: v_dual_mov_b32 v28, s1
	s_delay_alu instid0(VALU_DEP_1) | instskip(SKIP_1) | instid1(VALU_DEP_2)
	v_bfe_u32 v27, v21, 16, 1
	v_cmp_o_f32_e64 s0, v21, v21
	v_add3_u32 v27, v21, v27, 0x7fff
	s_delay_alu instid0(VALU_DEP_1) | instskip(NEXT) | instid1(VALU_DEP_1)
	v_and_b32_e32 v27, 0xffff0000, v27
	v_cndmask_b32_e64 v29, 0x7fc00000, v27, s0
	s_delay_alu instid0(VALU_DEP_1) | instskip(NEXT) | instid1(VALU_DEP_1)
	v_pk_mul_f32 v[16:17], v[16:17], v[28:29]
	v_dual_lshrrev_b32 v21, 16, v17 :: v_dual_lshrrev_b32 v27, 16, v16
	v_cmp_o_f32_e64 s0, v17, v17
	s_delay_alu instid0(VALU_DEP_2) | instskip(NEXT) | instid1(VALU_DEP_1)
	v_and_b32_e32 v21, 1, v21
	v_add3_u32 v21, v17, v21, 0x7fff
	s_delay_alu instid0(VALU_DEP_1) | instskip(NEXT) | instid1(VALU_DEP_1)
	v_and_b32_e32 v21, 0xffff0000, v21
	v_cndmask_b32_e64 v17, 0x7fc00000, v21, s0
	v_and_b32_e32 v27, 1, v27
	v_cmp_o_f32_e64 s0, v16, v16
	s_delay_alu instid0(VALU_DEP_2) | instskip(NEXT) | instid1(VALU_DEP_1)
	v_add3_u32 v27, v16, v27, 0x7fff
	v_and_b32_e32 v27, 0xffff0000, v27
	s_delay_alu instid0(VALU_DEP_1) | instskip(NEXT) | instid1(VALU_DEP_1)
	v_cndmask_b32_e64 v16, 0x7fc00000, v27, s0
	v_add_f32_e32 v16, v16, v17
	s_delay_alu instid0(VALU_DEP_1) | instskip(SKIP_1) | instid1(VALU_DEP_2)
	v_bfe_u32 v17, v16, 16, 1
	v_cmp_o_f32_e64 s0, v16, v16
	v_add3_u32 v17, v16, v17, 0x7fff
	s_delay_alu instid0(VALU_DEP_1) | instskip(NEXT) | instid1(VALU_DEP_1)
	v_lshrrev_b32_e32 v17, 16, v17
	v_cndmask_b32_e64 v21, 0x7fc0, v17, s0
.LBB168_21:
	s_or_b32 exec_lo, exec_lo, s3
	s_delay_alu instid0(SALU_CYCLE_1)
	s_mov_b32 s3, exec_lo
                                        ; implicit-def: $vgpr16
	v_cmpx_gt_i32_e64 s15, v18
	s_cbranch_execz .LBB168_23
; %bb.22:
	v_mul_f32_e32 v17, s12, v24
	s_delay_alu instid0(VALU_DEP_1) | instskip(NEXT) | instid1(VALU_DEP_1)
	v_bfe_u32 v16, v17, 16, 1
	v_add3_u32 v16, v17, v16, 0x7fff
	s_delay_alu instid0(VALU_DEP_1) | instskip(SKIP_2) | instid1(VALU_DEP_1)
	v_and_b32_e32 v24, 0xffff0000, v16
	v_mov_b32_e32 v16, s1
	v_cmp_o_f32_e64 s0, v17, v17
	v_cndmask_b32_e64 v17, 0x7fc00000, v24, s0
	s_delay_alu instid0(VALU_DEP_1) | instskip(NEXT) | instid1(VALU_DEP_1)
	v_pk_mul_f32 v[14:15], v[14:15], v[16:17]
	v_dual_lshrrev_b32 v16, 16, v15 :: v_dual_lshrrev_b32 v17, 16, v14
	v_cmp_o_f32_e64 s0, v15, v15
	s_delay_alu instid0(VALU_DEP_2) | instskip(NEXT) | instid1(VALU_DEP_3)
	v_and_b32_e32 v16, 1, v16
	v_and_b32_e32 v17, 1, v17
	s_delay_alu instid0(VALU_DEP_2) | instskip(NEXT) | instid1(VALU_DEP_2)
	v_add3_u32 v16, v15, v16, 0x7fff
	v_add3_u32 v17, v14, v17, 0x7fff
	s_delay_alu instid0(VALU_DEP_2) | instskip(NEXT) | instid1(VALU_DEP_2)
	v_and_b32_e32 v16, 0xffff0000, v16
	v_and_b32_e32 v17, 0xffff0000, v17
	s_delay_alu instid0(VALU_DEP_2) | instskip(SKIP_1) | instid1(VALU_DEP_1)
	v_cndmask_b32_e64 v15, 0x7fc00000, v16, s0
	v_cmp_o_f32_e64 s0, v14, v14
	v_cndmask_b32_e64 v14, 0x7fc00000, v17, s0
	s_delay_alu instid0(VALU_DEP_1) | instskip(NEXT) | instid1(VALU_DEP_1)
	v_add_f32_e32 v14, v14, v15
	v_bfe_u32 v15, v14, 16, 1
	v_cmp_o_f32_e64 s0, v14, v14
	s_delay_alu instid0(VALU_DEP_2) | instskip(NEXT) | instid1(VALU_DEP_1)
	v_add3_u32 v15, v14, v15, 0x7fff
	v_lshrrev_b32_e32 v15, 16, v15
	s_delay_alu instid0(VALU_DEP_1)
	v_cndmask_b32_e64 v16, 0x7fc0, v15, s0
.LBB168_23:
	s_or_b32 exec_lo, exec_lo, s3
	v_or_b32_e32 v14, 0x200, v0
	s_delay_alu instid0(VALU_DEP_1)
	v_cmp_gt_i32_e64 s0, s15, v14
                                        ; implicit-def: $vgpr14
	s_and_saveexec_b32 s3, s0
	s_cbranch_execz .LBB168_25
; %bb.24:
	v_mul_f32_e32 v15, s12, v26
	s_delay_alu instid0(VALU_DEP_1) | instskip(NEXT) | instid1(VALU_DEP_1)
	v_bfe_u32 v14, v15, 16, 1
	v_add3_u32 v14, v15, v14, 0x7fff
	s_delay_alu instid0(VALU_DEP_1) | instskip(SKIP_2) | instid1(VALU_DEP_1)
	v_and_b32_e32 v17, 0xffff0000, v14
	v_mov_b32_e32 v14, s1
	v_cmp_o_f32_e64 s0, v15, v15
	v_cndmask_b32_e64 v15, 0x7fc00000, v17, s0
	s_delay_alu instid0(VALU_DEP_1) | instskip(NEXT) | instid1(VALU_DEP_1)
	v_pk_mul_f32 v[12:13], v[12:13], v[14:15]
	v_dual_lshrrev_b32 v14, 16, v13 :: v_dual_lshrrev_b32 v15, 16, v12
	v_cmp_o_f32_e64 s0, v13, v13
	s_delay_alu instid0(VALU_DEP_2) | instskip(NEXT) | instid1(VALU_DEP_3)
	v_and_b32_e32 v14, 1, v14
	v_and_b32_e32 v15, 1, v15
	s_delay_alu instid0(VALU_DEP_2) | instskip(NEXT) | instid1(VALU_DEP_2)
	v_add3_u32 v14, v13, v14, 0x7fff
	v_add3_u32 v15, v12, v15, 0x7fff
	s_delay_alu instid0(VALU_DEP_2) | instskip(NEXT) | instid1(VALU_DEP_2)
	v_and_b32_e32 v14, 0xffff0000, v14
	v_and_b32_e32 v15, 0xffff0000, v15
	s_delay_alu instid0(VALU_DEP_2) | instskip(SKIP_1) | instid1(VALU_DEP_1)
	v_cndmask_b32_e64 v13, 0x7fc00000, v14, s0
	v_cmp_o_f32_e64 s0, v12, v12
	v_cndmask_b32_e64 v12, 0x7fc00000, v15, s0
	s_delay_alu instid0(VALU_DEP_1) | instskip(NEXT) | instid1(VALU_DEP_1)
	v_add_f32_e32 v12, v12, v13
	v_bfe_u32 v13, v12, 16, 1
	v_cmp_o_f32_e64 s0, v12, v12
	s_delay_alu instid0(VALU_DEP_2) | instskip(NEXT) | instid1(VALU_DEP_1)
	v_add3_u32 v13, v12, v13, 0x7fff
	v_lshrrev_b32_e32 v13, 16, v13
	s_delay_alu instid0(VALU_DEP_1)
	v_cndmask_b32_e64 v14, 0x7fc0, v13, s0
.LBB168_25:
	s_or_b32 exec_lo, exec_lo, s3
	v_or_b32_e32 v12, 0x300, v0
	s_delay_alu instid0(VALU_DEP_1)
	v_cmp_gt_i32_e64 s0, s15, v12
                                        ; implicit-def: $vgpr12
	s_and_saveexec_b32 s3, s0
	s_cbranch_execz .LBB168_27
; %bb.26:
	v_mul_f32_e32 v13, s12, v22
	s_delay_alu instid0(VALU_DEP_1) | instskip(NEXT) | instid1(VALU_DEP_1)
	v_bfe_u32 v12, v13, 16, 1
	v_add3_u32 v12, v13, v12, 0x7fff
	s_delay_alu instid0(VALU_DEP_1) | instskip(SKIP_2) | instid1(VALU_DEP_1)
	v_and_b32_e32 v15, 0xffff0000, v12
	v_mov_b32_e32 v12, s1
	v_cmp_o_f32_e64 s0, v13, v13
	v_cndmask_b32_e64 v13, 0x7fc00000, v15, s0
	s_delay_alu instid0(VALU_DEP_1) | instskip(NEXT) | instid1(VALU_DEP_1)
	v_pk_mul_f32 v[10:11], v[10:11], v[12:13]
	v_dual_lshrrev_b32 v12, 16, v11 :: v_dual_lshrrev_b32 v13, 16, v10
	v_cmp_o_f32_e64 s0, v11, v11
	s_delay_alu instid0(VALU_DEP_2) | instskip(NEXT) | instid1(VALU_DEP_3)
	v_and_b32_e32 v12, 1, v12
	v_and_b32_e32 v13, 1, v13
	s_delay_alu instid0(VALU_DEP_2) | instskip(NEXT) | instid1(VALU_DEP_2)
	v_add3_u32 v12, v11, v12, 0x7fff
	v_add3_u32 v13, v10, v13, 0x7fff
	s_delay_alu instid0(VALU_DEP_2) | instskip(NEXT) | instid1(VALU_DEP_2)
	v_and_b32_e32 v12, 0xffff0000, v12
	v_and_b32_e32 v13, 0xffff0000, v13
	s_delay_alu instid0(VALU_DEP_2) | instskip(SKIP_1) | instid1(VALU_DEP_1)
	v_cndmask_b32_e64 v11, 0x7fc00000, v12, s0
	v_cmp_o_f32_e64 s0, v10, v10
	v_cndmask_b32_e64 v10, 0x7fc00000, v13, s0
	s_delay_alu instid0(VALU_DEP_1) | instskip(NEXT) | instid1(VALU_DEP_1)
	v_add_f32_e32 v10, v10, v11
	v_bfe_u32 v11, v10, 16, 1
	v_cmp_o_f32_e64 s0, v10, v10
	s_delay_alu instid0(VALU_DEP_2) | instskip(NEXT) | instid1(VALU_DEP_1)
	v_add3_u32 v11, v10, v11, 0x7fff
	v_lshrrev_b32_e32 v11, 16, v11
	s_delay_alu instid0(VALU_DEP_1)
	v_cndmask_b32_e64 v12, 0x7fc0, v11, s0
.LBB168_27:
	s_or_b32 exec_lo, exec_lo, s3
	v_or_b32_e32 v10, 0x400, v0
	s_delay_alu instid0(VALU_DEP_1)
	v_cmp_gt_i32_e64 s0, s15, v10
                                        ; implicit-def: $vgpr10
	s_and_saveexec_b32 s3, s0
	s_cbranch_execz .LBB168_29
; %bb.28:
	v_mul_f32_e32 v11, s12, v25
	s_delay_alu instid0(VALU_DEP_1) | instskip(NEXT) | instid1(VALU_DEP_1)
	v_bfe_u32 v10, v11, 16, 1
	v_add3_u32 v10, v11, v10, 0x7fff
	s_delay_alu instid0(VALU_DEP_1) | instskip(SKIP_2) | instid1(VALU_DEP_1)
	v_and_b32_e32 v13, 0xffff0000, v10
	v_mov_b32_e32 v10, s1
	v_cmp_o_f32_e64 s0, v11, v11
	v_cndmask_b32_e64 v11, 0x7fc00000, v13, s0
	s_delay_alu instid0(VALU_DEP_1) | instskip(NEXT) | instid1(VALU_DEP_1)
	v_pk_mul_f32 v[8:9], v[8:9], v[10:11]
	v_dual_lshrrev_b32 v10, 16, v9 :: v_dual_lshrrev_b32 v11, 16, v8
	v_cmp_o_f32_e64 s0, v9, v9
	s_delay_alu instid0(VALU_DEP_2) | instskip(NEXT) | instid1(VALU_DEP_3)
	v_and_b32_e32 v10, 1, v10
	v_and_b32_e32 v11, 1, v11
	s_delay_alu instid0(VALU_DEP_2) | instskip(NEXT) | instid1(VALU_DEP_2)
	v_add3_u32 v10, v9, v10, 0x7fff
	v_add3_u32 v11, v8, v11, 0x7fff
	s_delay_alu instid0(VALU_DEP_2) | instskip(NEXT) | instid1(VALU_DEP_2)
	v_and_b32_e32 v10, 0xffff0000, v10
	v_and_b32_e32 v11, 0xffff0000, v11
	s_delay_alu instid0(VALU_DEP_2) | instskip(SKIP_1) | instid1(VALU_DEP_1)
	v_cndmask_b32_e64 v9, 0x7fc00000, v10, s0
	v_cmp_o_f32_e64 s0, v8, v8
	v_cndmask_b32_e64 v8, 0x7fc00000, v11, s0
	s_delay_alu instid0(VALU_DEP_1) | instskip(NEXT) | instid1(VALU_DEP_1)
	v_add_f32_e32 v8, v8, v9
	v_bfe_u32 v9, v8, 16, 1
	v_cmp_o_f32_e64 s0, v8, v8
	s_delay_alu instid0(VALU_DEP_2) | instskip(NEXT) | instid1(VALU_DEP_1)
	v_add3_u32 v9, v8, v9, 0x7fff
	v_lshrrev_b32_e32 v9, 16, v9
	s_delay_alu instid0(VALU_DEP_1)
	v_cndmask_b32_e64 v10, 0x7fc0, v9, s0
.LBB168_29:
	s_or_b32 exec_lo, exec_lo, s3
	v_or_b32_e32 v8, 0x500, v0
	s_delay_alu instid0(VALU_DEP_1)
	v_cmp_gt_i32_e64 s0, s15, v8
                                        ; implicit-def: $vgpr8
	s_and_saveexec_b32 s3, s0
	s_cbranch_execz .LBB168_31
; %bb.30:
	v_mul_f32_e32 v9, s12, v20
	s_delay_alu instid0(VALU_DEP_1) | instskip(NEXT) | instid1(VALU_DEP_1)
	v_bfe_u32 v8, v9, 16, 1
	v_add3_u32 v8, v9, v8, 0x7fff
	s_delay_alu instid0(VALU_DEP_1) | instskip(SKIP_2) | instid1(VALU_DEP_1)
	v_and_b32_e32 v11, 0xffff0000, v8
	v_mov_b32_e32 v8, s1
	v_cmp_o_f32_e64 s0, v9, v9
	v_cndmask_b32_e64 v9, 0x7fc00000, v11, s0
	s_delay_alu instid0(VALU_DEP_1) | instskip(NEXT) | instid1(VALU_DEP_1)
	v_pk_mul_f32 v[6:7], v[6:7], v[8:9]
	v_dual_lshrrev_b32 v8, 16, v7 :: v_dual_lshrrev_b32 v9, 16, v6
	v_cmp_o_f32_e64 s0, v7, v7
	s_delay_alu instid0(VALU_DEP_2) | instskip(NEXT) | instid1(VALU_DEP_3)
	v_and_b32_e32 v8, 1, v8
	v_and_b32_e32 v9, 1, v9
	s_delay_alu instid0(VALU_DEP_2) | instskip(NEXT) | instid1(VALU_DEP_2)
	v_add3_u32 v8, v7, v8, 0x7fff
	v_add3_u32 v9, v6, v9, 0x7fff
	s_delay_alu instid0(VALU_DEP_2) | instskip(NEXT) | instid1(VALU_DEP_2)
	v_and_b32_e32 v8, 0xffff0000, v8
	v_and_b32_e32 v9, 0xffff0000, v9
	s_delay_alu instid0(VALU_DEP_2) | instskip(SKIP_1) | instid1(VALU_DEP_1)
	v_cndmask_b32_e64 v7, 0x7fc00000, v8, s0
	v_cmp_o_f32_e64 s0, v6, v6
	v_cndmask_b32_e64 v6, 0x7fc00000, v9, s0
	s_delay_alu instid0(VALU_DEP_1) | instskip(NEXT) | instid1(VALU_DEP_1)
	v_add_f32_e32 v6, v6, v7
	v_bfe_u32 v7, v6, 16, 1
	v_cmp_o_f32_e64 s0, v6, v6
	s_delay_alu instid0(VALU_DEP_2) | instskip(NEXT) | instid1(VALU_DEP_1)
	v_add3_u32 v7, v6, v7, 0x7fff
	v_lshrrev_b32_e32 v7, 16, v7
	s_delay_alu instid0(VALU_DEP_1)
	v_cndmask_b32_e64 v8, 0x7fc0, v7, s0
.LBB168_31:
	s_or_b32 exec_lo, exec_lo, s3
	v_or_b32_e32 v6, 0x600, v0
	s_delay_alu instid0(VALU_DEP_1)
	v_cmp_gt_i32_e64 s0, s15, v6
                                        ; implicit-def: $vgpr6
	s_and_saveexec_b32 s3, s0
	s_cbranch_execz .LBB168_33
; %bb.32:
	v_mul_f32_e32 v7, s12, v23
	s_delay_alu instid0(VALU_DEP_1) | instskip(NEXT) | instid1(VALU_DEP_1)
	v_bfe_u32 v6, v7, 16, 1
	v_add3_u32 v6, v7, v6, 0x7fff
	s_delay_alu instid0(VALU_DEP_1) | instskip(SKIP_2) | instid1(VALU_DEP_1)
	v_and_b32_e32 v9, 0xffff0000, v6
	v_mov_b32_e32 v6, s1
	v_cmp_o_f32_e64 s0, v7, v7
	v_cndmask_b32_e64 v7, 0x7fc00000, v9, s0
	s_delay_alu instid0(VALU_DEP_1) | instskip(NEXT) | instid1(VALU_DEP_1)
	v_pk_mul_f32 v[4:5], v[4:5], v[6:7]
	v_dual_lshrrev_b32 v6, 16, v5 :: v_dual_lshrrev_b32 v7, 16, v4
	v_cmp_o_f32_e64 s0, v5, v5
	s_delay_alu instid0(VALU_DEP_2) | instskip(NEXT) | instid1(VALU_DEP_3)
	v_and_b32_e32 v6, 1, v6
	v_and_b32_e32 v7, 1, v7
	s_delay_alu instid0(VALU_DEP_2) | instskip(NEXT) | instid1(VALU_DEP_2)
	v_add3_u32 v6, v5, v6, 0x7fff
	v_add3_u32 v7, v4, v7, 0x7fff
	s_delay_alu instid0(VALU_DEP_2) | instskip(NEXT) | instid1(VALU_DEP_2)
	v_and_b32_e32 v6, 0xffff0000, v6
	v_and_b32_e32 v7, 0xffff0000, v7
	s_delay_alu instid0(VALU_DEP_2) | instskip(SKIP_1) | instid1(VALU_DEP_1)
	v_cndmask_b32_e64 v5, 0x7fc00000, v6, s0
	v_cmp_o_f32_e64 s0, v4, v4
	v_cndmask_b32_e64 v4, 0x7fc00000, v7, s0
	s_delay_alu instid0(VALU_DEP_1) | instskip(NEXT) | instid1(VALU_DEP_1)
	v_add_f32_e32 v4, v4, v5
	v_bfe_u32 v5, v4, 16, 1
	v_cmp_o_f32_e64 s0, v4, v4
	s_delay_alu instid0(VALU_DEP_2) | instskip(NEXT) | instid1(VALU_DEP_1)
	v_add3_u32 v5, v4, v5, 0x7fff
	v_lshrrev_b32_e32 v5, 16, v5
	s_delay_alu instid0(VALU_DEP_1)
	v_cndmask_b32_e64 v6, 0x7fc0, v5, s0
.LBB168_33:
	s_or_b32 exec_lo, exec_lo, s3
	v_or_b32_e32 v4, 0x700, v0
	s_delay_alu instid0(VALU_DEP_1)
	v_cmp_gt_i32_e64 s0, s15, v4
                                        ; implicit-def: $vgpr4
	s_and_saveexec_b32 s3, s0
	s_cbranch_execz .LBB168_44
; %bb.34:
	v_mul_f32_e32 v5, s12, v19
	s_delay_alu instid0(VALU_DEP_1) | instskip(NEXT) | instid1(VALU_DEP_1)
	v_bfe_u32 v4, v5, 16, 1
	v_add3_u32 v4, v5, v4, 0x7fff
	s_delay_alu instid0(VALU_DEP_1) | instskip(SKIP_2) | instid1(VALU_DEP_1)
	v_and_b32_e32 v7, 0xffff0000, v4
	v_mov_b32_e32 v4, s1
	v_cmp_o_f32_e64 s0, v5, v5
	v_cndmask_b32_e64 v5, 0x7fc00000, v7, s0
	s_delay_alu instid0(VALU_DEP_1) | instskip(NEXT) | instid1(VALU_DEP_1)
	v_pk_mul_f32 v[2:3], v[2:3], v[4:5]
	v_dual_lshrrev_b32 v4, 16, v3 :: v_dual_lshrrev_b32 v5, 16, v2
	v_cmp_o_f32_e64 s0, v3, v3
	s_delay_alu instid0(VALU_DEP_2) | instskip(NEXT) | instid1(VALU_DEP_3)
	v_and_b32_e32 v4, 1, v4
	v_and_b32_e32 v5, 1, v5
	s_delay_alu instid0(VALU_DEP_2) | instskip(NEXT) | instid1(VALU_DEP_2)
	v_add3_u32 v4, v3, v4, 0x7fff
	v_add3_u32 v5, v2, v5, 0x7fff
	s_delay_alu instid0(VALU_DEP_2) | instskip(NEXT) | instid1(VALU_DEP_2)
	v_and_b32_e32 v4, 0xffff0000, v4
	v_and_b32_e32 v5, 0xffff0000, v5
	s_delay_alu instid0(VALU_DEP_2) | instskip(SKIP_1) | instid1(VALU_DEP_1)
	v_cndmask_b32_e64 v3, 0x7fc00000, v4, s0
	v_cmp_o_f32_e64 s0, v2, v2
	v_cndmask_b32_e64 v2, 0x7fc00000, v5, s0
	s_delay_alu instid0(VALU_DEP_1) | instskip(NEXT) | instid1(VALU_DEP_1)
	v_add_f32_e32 v2, v2, v3
	v_bfe_u32 v3, v2, 16, 1
	v_cmp_o_f32_e64 s0, v2, v2
	s_delay_alu instid0(VALU_DEP_2) | instskip(NEXT) | instid1(VALU_DEP_1)
	v_add3_u32 v3, v2, v3, 0x7fff
	v_lshrrev_b32_e32 v3, 16, v3
	s_delay_alu instid0(VALU_DEP_1) | instskip(SKIP_2) | instid1(SALU_CYCLE_1)
	v_cndmask_b32_e64 v4, 0x7fc0, v3, s0
	s_or_b32 exec_lo, exec_lo, s3
	s_and_saveexec_b32 s0, vcc_lo
	s_xor_b32 s0, exec_lo, s0
	s_cbranch_execnz .LBB168_45
.LBB168_35:
	s_or_b32 exec_lo, exec_lo, s0
	s_delay_alu instid0(SALU_CYCLE_1)
	s_mov_b32 s0, exec_lo
	v_cmpx_gt_i32_e64 s15, v0
	s_cbranch_execz .LBB168_46
.LBB168_36:
	v_add_nc_u32_e32 v1, s2, v0
	v_add_nc_u32_e32 v0, 0x100, v0
	global_store_b16 v1, v16, s[4:5] scale_offset
	s_wait_xcnt 0x0
	s_or_b32 exec_lo, exec_lo, s0
	s_delay_alu instid0(SALU_CYCLE_1)
	s_mov_b32 s0, exec_lo
	v_cmpx_gt_i32_e64 s15, v0
	s_cbranch_execnz .LBB168_47
.LBB168_37:
	s_or_b32 exec_lo, exec_lo, s0
	s_delay_alu instid0(SALU_CYCLE_1)
	s_mov_b32 s0, exec_lo
	v_cmpx_gt_i32_e64 s15, v0
	s_cbranch_execz .LBB168_48
.LBB168_38:
	v_add_nc_u32_e32 v1, s2, v0
	v_add_nc_u32_e32 v0, 0x100, v0
	global_store_b16 v1, v12, s[4:5] scale_offset
	s_wait_xcnt 0x0
	s_or_b32 exec_lo, exec_lo, s0
	s_delay_alu instid0(SALU_CYCLE_1)
	s_mov_b32 s0, exec_lo
	v_cmpx_gt_i32_e64 s15, v0
	s_cbranch_execnz .LBB168_49
.LBB168_39:
	s_or_b32 exec_lo, exec_lo, s0
	s_delay_alu instid0(SALU_CYCLE_1)
	s_mov_b32 s0, exec_lo
	v_cmpx_gt_i32_e64 s15, v0
	s_cbranch_execz .LBB168_50
.LBB168_40:
	v_add_nc_u32_e32 v1, s2, v0
	v_add_nc_u32_e32 v0, 0x100, v0
	global_store_b16 v1, v8, s[4:5] scale_offset
	s_wait_xcnt 0x0
	s_or_b32 exec_lo, exec_lo, s0
	s_delay_alu instid0(SALU_CYCLE_1)
	s_mov_b32 s0, exec_lo
	v_cmpx_gt_i32_e64 s15, v0
	s_cbranch_execnz .LBB168_51
.LBB168_41:
	s_or_b32 exec_lo, exec_lo, s0
	s_delay_alu instid0(SALU_CYCLE_1)
	s_mov_b32 s0, exec_lo
	v_cmpx_gt_i32_e64 s15, v0
	s_cbranch_execz .LBB168_43
.LBB168_42:
	v_add_nc_u32_e32 v0, s2, v0
	global_store_b16 v0, v4, s[4:5] scale_offset
.LBB168_43:
	s_endpgm
.LBB168_44:
	s_or_b32 exec_lo, exec_lo, s3
	s_and_saveexec_b32 s0, vcc_lo
	s_delay_alu instid0(SALU_CYCLE_1)
	s_xor_b32 s0, exec_lo, s0
	s_cbranch_execz .LBB168_35
.LBB168_45:
	v_mov_b32_e32 v0, v18
	global_store_b16 v1, v21, s[4:5] scale_offset
	s_wait_xcnt 0x0
	s_or_b32 exec_lo, exec_lo, s0
	s_delay_alu instid0(SALU_CYCLE_1)
	s_mov_b32 s0, exec_lo
	v_cmpx_gt_i32_e64 s15, v0
	s_cbranch_execnz .LBB168_36
.LBB168_46:
	s_or_b32 exec_lo, exec_lo, s0
	s_delay_alu instid0(SALU_CYCLE_1)
	s_mov_b32 s0, exec_lo
	v_cmpx_gt_i32_e64 s15, v0
	s_cbranch_execz .LBB168_37
.LBB168_47:
	v_add_nc_u32_e32 v1, s2, v0
	v_add_nc_u32_e32 v0, 0x100, v0
	global_store_b16 v1, v14, s[4:5] scale_offset
	s_wait_xcnt 0x0
	s_or_b32 exec_lo, exec_lo, s0
	s_delay_alu instid0(SALU_CYCLE_1)
	s_mov_b32 s0, exec_lo
	v_cmpx_gt_i32_e64 s15, v0
	s_cbranch_execnz .LBB168_38
.LBB168_48:
	s_or_b32 exec_lo, exec_lo, s0
	s_delay_alu instid0(SALU_CYCLE_1)
	s_mov_b32 s0, exec_lo
	v_cmpx_gt_i32_e64 s15, v0
	s_cbranch_execz .LBB168_39
.LBB168_49:
	v_add_nc_u32_e32 v1, s2, v0
	v_add_nc_u32_e32 v0, 0x100, v0
	global_store_b16 v1, v10, s[4:5] scale_offset
	s_wait_xcnt 0x0
	s_or_b32 exec_lo, exec_lo, s0
	s_delay_alu instid0(SALU_CYCLE_1)
	s_mov_b32 s0, exec_lo
	v_cmpx_gt_i32_e64 s15, v0
	s_cbranch_execnz .LBB168_40
.LBB168_50:
	s_or_b32 exec_lo, exec_lo, s0
	s_delay_alu instid0(SALU_CYCLE_1)
	s_mov_b32 s0, exec_lo
	v_cmpx_gt_i32_e64 s15, v0
	s_cbranch_execz .LBB168_41
.LBB168_51:
	v_add_nc_u32_e32 v1, s2, v0
	v_add_nc_u32_e32 v0, 0x100, v0
	global_store_b16 v1, v6, s[4:5] scale_offset
	s_wait_xcnt 0x0
	s_or_b32 exec_lo, exec_lo, s0
	s_delay_alu instid0(SALU_CYCLE_1)
	s_mov_b32 s0, exec_lo
	v_cmpx_gt_i32_e64 s15, v0
	s_cbranch_execnz .LBB168_42
	s_branch .LBB168_43
	.section	.rodata,"a",@progbits
	.p2align	6, 0x0
	.amdhsa_kernel _ZN2at6native29vectorized_elementwise_kernelILi16EZZZNS0_12_GLOBAL__N_116addr_kernel_cudaERNS_14TensorIteratorERKN3c106ScalarES8_ENKUlvE_clEvENKUlvE8_clEvEUlNS5_8BFloat16ESB_SB_E0_St5arrayIPcLm4EEEEviT0_T1_
		.amdhsa_group_segment_fixed_size 0
		.amdhsa_private_segment_fixed_size 0
		.amdhsa_kernarg_size 40
		.amdhsa_user_sgpr_count 2
		.amdhsa_user_sgpr_dispatch_ptr 0
		.amdhsa_user_sgpr_queue_ptr 0
		.amdhsa_user_sgpr_kernarg_segment_ptr 1
		.amdhsa_user_sgpr_dispatch_id 0
		.amdhsa_user_sgpr_kernarg_preload_length 0
		.amdhsa_user_sgpr_kernarg_preload_offset 0
		.amdhsa_user_sgpr_private_segment_size 0
		.amdhsa_wavefront_size32 1
		.amdhsa_uses_dynamic_stack 0
		.amdhsa_enable_private_segment 0
		.amdhsa_system_sgpr_workgroup_id_x 1
		.amdhsa_system_sgpr_workgroup_id_y 0
		.amdhsa_system_sgpr_workgroup_id_z 0
		.amdhsa_system_sgpr_workgroup_info 0
		.amdhsa_system_vgpr_workitem_id 0
		.amdhsa_next_free_vgpr 41
		.amdhsa_next_free_sgpr 18
		.amdhsa_named_barrier_count 0
		.amdhsa_reserve_vcc 1
		.amdhsa_float_round_mode_32 0
		.amdhsa_float_round_mode_16_64 0
		.amdhsa_float_denorm_mode_32 3
		.amdhsa_float_denorm_mode_16_64 3
		.amdhsa_fp16_overflow 0
		.amdhsa_memory_ordered 1
		.amdhsa_forward_progress 1
		.amdhsa_inst_pref_size 44
		.amdhsa_round_robin_scheduling 0
		.amdhsa_exception_fp_ieee_invalid_op 0
		.amdhsa_exception_fp_denorm_src 0
		.amdhsa_exception_fp_ieee_div_zero 0
		.amdhsa_exception_fp_ieee_overflow 0
		.amdhsa_exception_fp_ieee_underflow 0
		.amdhsa_exception_fp_ieee_inexact 0
		.amdhsa_exception_int_div_zero 0
	.end_amdhsa_kernel
	.section	.text._ZN2at6native29vectorized_elementwise_kernelILi16EZZZNS0_12_GLOBAL__N_116addr_kernel_cudaERNS_14TensorIteratorERKN3c106ScalarES8_ENKUlvE_clEvENKUlvE8_clEvEUlNS5_8BFloat16ESB_SB_E0_St5arrayIPcLm4EEEEviT0_T1_,"axG",@progbits,_ZN2at6native29vectorized_elementwise_kernelILi16EZZZNS0_12_GLOBAL__N_116addr_kernel_cudaERNS_14TensorIteratorERKN3c106ScalarES8_ENKUlvE_clEvENKUlvE8_clEvEUlNS5_8BFloat16ESB_SB_E0_St5arrayIPcLm4EEEEviT0_T1_,comdat
.Lfunc_end168:
	.size	_ZN2at6native29vectorized_elementwise_kernelILi16EZZZNS0_12_GLOBAL__N_116addr_kernel_cudaERNS_14TensorIteratorERKN3c106ScalarES8_ENKUlvE_clEvENKUlvE8_clEvEUlNS5_8BFloat16ESB_SB_E0_St5arrayIPcLm4EEEEviT0_T1_, .Lfunc_end168-_ZN2at6native29vectorized_elementwise_kernelILi16EZZZNS0_12_GLOBAL__N_116addr_kernel_cudaERNS_14TensorIteratorERKN3c106ScalarES8_ENKUlvE_clEvENKUlvE8_clEvEUlNS5_8BFloat16ESB_SB_E0_St5arrayIPcLm4EEEEviT0_T1_
                                        ; -- End function
	.set _ZN2at6native29vectorized_elementwise_kernelILi16EZZZNS0_12_GLOBAL__N_116addr_kernel_cudaERNS_14TensorIteratorERKN3c106ScalarES8_ENKUlvE_clEvENKUlvE8_clEvEUlNS5_8BFloat16ESB_SB_E0_St5arrayIPcLm4EEEEviT0_T1_.num_vgpr, 41
	.set _ZN2at6native29vectorized_elementwise_kernelILi16EZZZNS0_12_GLOBAL__N_116addr_kernel_cudaERNS_14TensorIteratorERKN3c106ScalarES8_ENKUlvE_clEvENKUlvE8_clEvEUlNS5_8BFloat16ESB_SB_E0_St5arrayIPcLm4EEEEviT0_T1_.num_agpr, 0
	.set _ZN2at6native29vectorized_elementwise_kernelILi16EZZZNS0_12_GLOBAL__N_116addr_kernel_cudaERNS_14TensorIteratorERKN3c106ScalarES8_ENKUlvE_clEvENKUlvE8_clEvEUlNS5_8BFloat16ESB_SB_E0_St5arrayIPcLm4EEEEviT0_T1_.numbered_sgpr, 18
	.set _ZN2at6native29vectorized_elementwise_kernelILi16EZZZNS0_12_GLOBAL__N_116addr_kernel_cudaERNS_14TensorIteratorERKN3c106ScalarES8_ENKUlvE_clEvENKUlvE8_clEvEUlNS5_8BFloat16ESB_SB_E0_St5arrayIPcLm4EEEEviT0_T1_.num_named_barrier, 0
	.set _ZN2at6native29vectorized_elementwise_kernelILi16EZZZNS0_12_GLOBAL__N_116addr_kernel_cudaERNS_14TensorIteratorERKN3c106ScalarES8_ENKUlvE_clEvENKUlvE8_clEvEUlNS5_8BFloat16ESB_SB_E0_St5arrayIPcLm4EEEEviT0_T1_.private_seg_size, 0
	.set _ZN2at6native29vectorized_elementwise_kernelILi16EZZZNS0_12_GLOBAL__N_116addr_kernel_cudaERNS_14TensorIteratorERKN3c106ScalarES8_ENKUlvE_clEvENKUlvE8_clEvEUlNS5_8BFloat16ESB_SB_E0_St5arrayIPcLm4EEEEviT0_T1_.uses_vcc, 1
	.set _ZN2at6native29vectorized_elementwise_kernelILi16EZZZNS0_12_GLOBAL__N_116addr_kernel_cudaERNS_14TensorIteratorERKN3c106ScalarES8_ENKUlvE_clEvENKUlvE8_clEvEUlNS5_8BFloat16ESB_SB_E0_St5arrayIPcLm4EEEEviT0_T1_.uses_flat_scratch, 0
	.set _ZN2at6native29vectorized_elementwise_kernelILi16EZZZNS0_12_GLOBAL__N_116addr_kernel_cudaERNS_14TensorIteratorERKN3c106ScalarES8_ENKUlvE_clEvENKUlvE8_clEvEUlNS5_8BFloat16ESB_SB_E0_St5arrayIPcLm4EEEEviT0_T1_.has_dyn_sized_stack, 0
	.set _ZN2at6native29vectorized_elementwise_kernelILi16EZZZNS0_12_GLOBAL__N_116addr_kernel_cudaERNS_14TensorIteratorERKN3c106ScalarES8_ENKUlvE_clEvENKUlvE8_clEvEUlNS5_8BFloat16ESB_SB_E0_St5arrayIPcLm4EEEEviT0_T1_.has_recursion, 0
	.set _ZN2at6native29vectorized_elementwise_kernelILi16EZZZNS0_12_GLOBAL__N_116addr_kernel_cudaERNS_14TensorIteratorERKN3c106ScalarES8_ENKUlvE_clEvENKUlvE8_clEvEUlNS5_8BFloat16ESB_SB_E0_St5arrayIPcLm4EEEEviT0_T1_.has_indirect_call, 0
	.section	.AMDGPU.csdata,"",@progbits
; Kernel info:
; codeLenInByte = 5580
; TotalNumSgprs: 20
; NumVgprs: 41
; ScratchSize: 0
; MemoryBound: 0
; FloatMode: 240
; IeeeMode: 1
; LDSByteSize: 0 bytes/workgroup (compile time only)
; SGPRBlocks: 0
; VGPRBlocks: 2
; NumSGPRsForWavesPerEU: 20
; NumVGPRsForWavesPerEU: 41
; NamedBarCnt: 0
; Occupancy: 16
; WaveLimiterHint : 0
; COMPUTE_PGM_RSRC2:SCRATCH_EN: 0
; COMPUTE_PGM_RSRC2:USER_SGPR: 2
; COMPUTE_PGM_RSRC2:TRAP_HANDLER: 0
; COMPUTE_PGM_RSRC2:TGID_X_EN: 1
; COMPUTE_PGM_RSRC2:TGID_Y_EN: 0
; COMPUTE_PGM_RSRC2:TGID_Z_EN: 0
; COMPUTE_PGM_RSRC2:TIDIG_COMP_CNT: 0
	.section	.text._ZN2at6native29vectorized_elementwise_kernelILi8EZZZNS0_12_GLOBAL__N_116addr_kernel_cudaERNS_14TensorIteratorERKN3c106ScalarES8_ENKUlvE_clEvENKUlvE8_clEvEUlNS5_8BFloat16ESB_SB_E0_St5arrayIPcLm4EEEEviT0_T1_,"axG",@progbits,_ZN2at6native29vectorized_elementwise_kernelILi8EZZZNS0_12_GLOBAL__N_116addr_kernel_cudaERNS_14TensorIteratorERKN3c106ScalarES8_ENKUlvE_clEvENKUlvE8_clEvEUlNS5_8BFloat16ESB_SB_E0_St5arrayIPcLm4EEEEviT0_T1_,comdat
	.globl	_ZN2at6native29vectorized_elementwise_kernelILi8EZZZNS0_12_GLOBAL__N_116addr_kernel_cudaERNS_14TensorIteratorERKN3c106ScalarES8_ENKUlvE_clEvENKUlvE8_clEvEUlNS5_8BFloat16ESB_SB_E0_St5arrayIPcLm4EEEEviT0_T1_ ; -- Begin function _ZN2at6native29vectorized_elementwise_kernelILi8EZZZNS0_12_GLOBAL__N_116addr_kernel_cudaERNS_14TensorIteratorERKN3c106ScalarES8_ENKUlvE_clEvENKUlvE8_clEvEUlNS5_8BFloat16ESB_SB_E0_St5arrayIPcLm4EEEEviT0_T1_
	.p2align	8
	.type	_ZN2at6native29vectorized_elementwise_kernelILi8EZZZNS0_12_GLOBAL__N_116addr_kernel_cudaERNS_14TensorIteratorERKN3c106ScalarES8_ENKUlvE_clEvENKUlvE8_clEvEUlNS5_8BFloat16ESB_SB_E0_St5arrayIPcLm4EEEEviT0_T1_,@function
_ZN2at6native29vectorized_elementwise_kernelILi8EZZZNS0_12_GLOBAL__N_116addr_kernel_cudaERNS_14TensorIteratorERKN3c106ScalarES8_ENKUlvE_clEvENKUlvE8_clEvEUlNS5_8BFloat16ESB_SB_E0_St5arrayIPcLm4EEEEviT0_T1_: ; @_ZN2at6native29vectorized_elementwise_kernelILi8EZZZNS0_12_GLOBAL__N_116addr_kernel_cudaERNS_14TensorIteratorERKN3c106ScalarES8_ENKUlvE_clEvENKUlvE8_clEvEUlNS5_8BFloat16ESB_SB_E0_St5arrayIPcLm4EEEEviT0_T1_
; %bb.0:
	s_clause 0x1
	s_load_b64 s[12:13], s[0:1], 0x0
	s_load_b256 s[4:11], s[0:1], 0x8
	s_wait_xcnt 0x0
	s_bfe_u32 s0, ttmp6, 0x4000c
	s_and_b32 s1, ttmp6, 15
	s_add_co_i32 s0, s0, 1
	s_getreg_b32 s2, hwreg(HW_REG_IB_STS2, 6, 4)
	s_mul_i32 s0, ttmp9, s0
	s_delay_alu instid0(SALU_CYCLE_1) | instskip(SKIP_2) | instid1(SALU_CYCLE_1)
	s_add_co_i32 s1, s1, s0
	s_cmp_eq_u32 s2, 0
	s_cselect_b32 s0, ttmp9, s1
	s_lshl_b32 s2, s0, 11
	s_mov_b32 s0, -1
	s_wait_kmcnt 0x0
	s_sub_co_i32 s15, s12, s2
	s_and_b32 s12, s13, 0xffff0000
	s_cmp_gt_i32 s15, 0x7ff
	s_cbranch_scc0 .LBB169_2
; %bb.1:
	s_ashr_i32 s3, s2, 31
	s_lshl_b32 s14, s13, 16
	s_lshl_b64 s[0:1], s[2:3], 1
	s_delay_alu instid0(SALU_CYCLE_1)
	s_add_nc_u64 s[16:17], s[8:9], s[0:1]
	global_load_b128 v[2:5], v0, s[16:17] scale_offset
	s_wait_xcnt 0x0
	s_add_nc_u64 s[16:17], s[6:7], s[0:1]
	global_load_b128 v[6:9], v0, s[16:17] scale_offset
	s_wait_xcnt 0x0
	;; [unrolled: 3-line block ×3, first 2 shown]
	s_add_nc_u64 s[16:17], s[4:5], s[0:1]
	s_mov_b32 s0, 0
	s_wait_loadcnt 0x2
	v_and_b32_e32 v15, 0xffff0000, v2
	v_dual_lshlrev_b32 v14, 16, v2 :: v_dual_lshlrev_b32 v16, 16, v3
	v_and_b32_e32 v17, 0xffff0000, v3
	s_wait_loadcnt 0x1
	v_and_b32_e32 v3, 0xffff0000, v6
	v_dual_lshlrev_b32 v2, 16, v6 :: v_dual_lshlrev_b32 v18, 16, v7
	v_pk_mul_f32 v[14:15], s[12:13], v[14:15] op_sel_hi:[0,1]
	v_and_b32_e32 v19, 0xffff0000, v7
	s_wait_loadcnt 0x0
	v_and_b32_e32 v7, 0xffff0000, v10
	v_dual_lshlrev_b32 v6, 16, v10 :: v_dual_lshlrev_b32 v20, 16, v11
	v_bfe_u32 v32, v15, 16, 1
	v_and_b32_e32 v21, 0xffff0000, v11
	v_and_b32_e32 v11, 0xffff0000, v4
	v_dual_lshlrev_b32 v10, 16, v4 :: v_dual_lshlrev_b32 v22, 16, v5
	v_and_b32_e32 v23, 0xffff0000, v5
	v_and_b32_e32 v5, 0xffff0000, v8
	v_dual_lshlrev_b32 v4, 16, v8 :: v_dual_lshlrev_b32 v24, 16, v9
	;; [unrolled: 3-line block ×3, first 2 shown]
	v_and_b32_e32 v27, 0xffff0000, v13
	v_pk_mul_f32 v[12:13], s[12:13], v[16:17] op_sel_hi:[0,1]
	v_bfe_u32 v31, v14, 16, 1
	v_add3_u32 v32, v15, v32, 0x7fff
	v_cmp_o_f32_e32 vcc_lo, v15, v15
	v_pk_mul_f32 v[2:3], s[14:15], v[2:3] op_sel_hi:[0,1]
	v_bfe_u32 v30, v13, 16, 1
	v_add3_u32 v31, v14, v31, 0x7fff
	v_and_b32_e32 v32, 0xffff0000, v32
	v_bfe_u32 v29, v12, 16, 1
	v_bfe_u32 v28, v3, 16, 1
	v_add3_u32 v30, v13, v30, 0x7fff
	v_and_b32_e32 v31, 0xffff0000, v31
	v_cndmask_b32_e32 v15, 0x7fc00000, v32, vcc_lo
	v_cmp_o_f32_e32 vcc_lo, v14, v14
	v_add3_u32 v29, v12, v29, 0x7fff
	v_and_b32_e32 v30, 0xffff0000, v30
	v_pk_mul_f32 v[16:17], s[14:15], v[18:19] op_sel_hi:[0,1]
	v_pk_mul_f32 v[18:19], s[12:13], v[22:23] op_sel_hi:[0,1]
	v_cndmask_b32_e32 v14, 0x7fc00000, v31, vcc_lo
	v_cmp_o_f32_e32 vcc_lo, v13, v13
	v_pk_mul_f32 v[22:23], s[14:15], v[24:25] op_sel_hi:[0,1]
	v_bfe_u32 v25, v2, 16, 1
	v_add3_u32 v28, v3, v28, 0x7fff
	v_and_b32_e32 v29, 0xffff0000, v29
	v_cndmask_b32_e32 v13, 0x7fc00000, v30, vcc_lo
	v_cmp_o_f32_e32 vcc_lo, v12, v12
	v_bfe_u32 v24, v17, 16, 1
	v_add3_u32 v25, v2, v25, 0x7fff
	v_and_b32_e32 v28, 0xffff0000, v28
	v_pk_mul_f32 v[10:11], s[12:13], v[10:11] op_sel_hi:[0,1]
	v_cndmask_b32_e32 v12, 0x7fc00000, v29, vcc_lo
	v_cmp_o_f32_e32 vcc_lo, v3, v3
	v_bfe_u32 v1, v16, 16, 1
	v_add3_u32 v24, v17, v24, 0x7fff
	v_and_b32_e32 v25, 0xffff0000, v25
	v_bfe_u32 v40, v11, 16, 1
	v_cndmask_b32_e32 v3, 0x7fc00000, v28, vcc_lo
	v_cmp_o_f32_e32 vcc_lo, v2, v2
	v_add3_u32 v1, v16, v1, 0x7fff
	v_and_b32_e32 v24, 0xffff0000, v24
	v_bfe_u32 v39, v10, 16, 1
	v_add3_u32 v40, v11, v40, 0x7fff
	v_cndmask_b32_e32 v2, 0x7fc00000, v25, vcc_lo
	v_cmp_o_f32_e32 vcc_lo, v17, v17
	v_and_b32_e32 v1, 0xffff0000, v1
	v_bfe_u32 v38, v19, 16, 1
	v_add3_u32 v39, v10, v39, 0x7fff
	v_and_b32_e32 v40, 0xffff0000, v40
	v_cndmask_b32_e32 v17, 0x7fc00000, v24, vcc_lo
	v_cmp_o_f32_e32 vcc_lo, v16, v16
	v_pk_mul_f32 v[4:5], s[14:15], v[4:5] op_sel_hi:[0,1]
	v_bfe_u32 v37, v18, 16, 1
	v_add3_u32 v38, v19, v38, 0x7fff
	v_and_b32_e32 v39, 0xffff0000, v39
	v_cndmask_b32_e32 v16, 0x7fc00000, v1, vcc_lo
	v_cmp_o_f32_e32 vcc_lo, v11, v11
	v_bfe_u32 v36, v5, 16, 1
	v_add3_u32 v37, v18, v37, 0x7fff
	v_and_b32_e32 v38, 0xffff0000, v38
	v_bfe_u32 v35, v4, 16, 1
	v_cndmask_b32_e32 v11, 0x7fc00000, v40, vcc_lo
	v_cmp_o_f32_e32 vcc_lo, v10, v10
	v_add3_u32 v36, v5, v36, 0x7fff
	v_and_b32_e32 v37, 0xffff0000, v37
	v_bfe_u32 v34, v23, 16, 1
	v_add3_u32 v35, v4, v35, 0x7fff
	v_cndmask_b32_e32 v10, 0x7fc00000, v39, vcc_lo
	v_cmp_o_f32_e32 vcc_lo, v19, v19
	v_and_b32_e32 v36, 0xffff0000, v36
	v_bfe_u32 v33, v22, 16, 1
	v_add3_u32 v34, v23, v34, 0x7fff
	v_and_b32_e32 v35, 0xffff0000, v35
	v_cndmask_b32_e32 v19, 0x7fc00000, v38, vcc_lo
	v_cmp_o_f32_e32 vcc_lo, v18, v18
	v_pk_mul_f32 v[6:7], v[14:15], v[6:7]
	v_add3_u32 v33, v22, v33, 0x7fff
	v_and_b32_e32 v34, 0xffff0000, v34
	v_pk_mul_f32 v[12:13], v[12:13], v[20:21]
	v_cndmask_b32_e32 v18, 0x7fc00000, v37, vcc_lo
	v_cmp_o_f32_e32 vcc_lo, v5, v5
	v_and_b32_e32 v33, 0xffff0000, v33
	v_pk_mul_f32 v[8:9], v[10:11], v[8:9]
	v_bfe_u32 v11, v6, 16, 1
	v_pk_mul_f32 v[14:15], v[18:19], v[26:27]
	v_cndmask_b32_e32 v5, 0x7fc00000, v36, vcc_lo
	v_cmp_o_f32_e32 vcc_lo, v4, v4
	v_bfe_u32 v18, v7, 16, 1
	v_bfe_u32 v10, v13, 16, 1
	v_add3_u32 v11, v6, v11, 0x7fff
	v_bfe_u32 v1, v12, 16, 1
	v_cndmask_b32_e32 v4, 0x7fc00000, v35, vcc_lo
	v_cmp_o_f32_e32 vcc_lo, v23, v23
	v_add3_u32 v18, v7, v18, 0x7fff
	v_add3_u32 v10, v13, v10, 0x7fff
	v_and_b32_e32 v11, 0xffff0000, v11
	v_bfe_u32 v24, v9, 16, 1
	v_cndmask_b32_e32 v23, 0x7fc00000, v34, vcc_lo
	v_cmp_o_f32_e32 vcc_lo, v22, v22
	v_and_b32_e32 v18, 0xffff0000, v18
	v_add3_u32 v1, v12, v1, 0x7fff
	v_and_b32_e32 v10, 0xffff0000, v10
	v_bfe_u32 v20, v15, 16, 1
	v_cndmask_b32_e32 v22, 0x7fc00000, v33, vcc_lo
	v_cmp_o_f32_e32 vcc_lo, v7, v7
	v_add3_u32 v24, v9, v24, 0x7fff
	v_and_b32_e32 v1, 0xffff0000, v1
	v_bfe_u32 v19, v14, 16, 1
	v_add3_u32 v20, v15, v20, 0x7fff
	v_cndmask_b32_e32 v7, 0x7fc00000, v18, vcc_lo
	v_cmp_o_f32_e32 vcc_lo, v6, v6
	v_and_b32_e32 v24, 0xffff0000, v24
	v_bfe_u32 v21, v8, 16, 1
	v_add3_u32 v19, v14, v19, 0x7fff
	v_and_b32_e32 v20, 0xffff0000, v20
	v_cndmask_b32_e32 v6, 0x7fc00000, v11, vcc_lo
	v_cmp_o_f32_e32 vcc_lo, v13, v13
	v_add3_u32 v21, v8, v21, 0x7fff
	v_and_b32_e32 v19, 0xffff0000, v19
	s_delay_alu instid0(VALU_DEP_4)
	v_pk_add_f32 v[2:3], v[2:3], v[6:7]
	v_cndmask_b32_e32 v11, 0x7fc00000, v10, vcc_lo
	v_cmp_o_f32_e32 vcc_lo, v12, v12
	v_and_b32_e32 v21, 0xffff0000, v21
	v_cndmask_b32_e32 v10, 0x7fc00000, v1, vcc_lo
	v_cmp_o_f32_e32 vcc_lo, v9, v9
	v_bfe_u32 v1, v2, 16, 1
	s_delay_alu instid0(VALU_DEP_3) | instskip(SKIP_2) | instid1(VALU_DEP_4)
	v_pk_add_f32 v[6:7], v[16:17], v[10:11]
	v_cndmask_b32_e32 v9, 0x7fc00000, v24, vcc_lo
	v_cmp_o_f32_e32 vcc_lo, v15, v15
	v_add3_u32 v1, v2, v1, 0x7fff
	v_cndmask_b32_e32 v13, 0x7fc00000, v20, vcc_lo
	v_cmp_o_f32_e32 vcc_lo, v14, v14
	s_delay_alu instid0(VALU_DEP_3) | instskip(SKIP_1) | instid1(VALU_DEP_2)
	v_dual_cndmask_b32 v12, 0x7fc00000, v19 :: v_dual_lshrrev_b32 v1, 16, v1
	v_cmp_o_f32_e32 vcc_lo, v8, v8
	v_pk_add_f32 v[10:11], v[22:23], v[12:13]
	v_cndmask_b32_e32 v8, 0x7fc00000, v21, vcc_lo
	v_bfe_u32 v12, v7, 16, 1
	v_cmp_o_f32_e32 vcc_lo, v2, v2
	s_delay_alu instid0(VALU_DEP_4) | instskip(NEXT) | instid1(VALU_DEP_4)
	v_bfe_u32 v15, v10, 16, 1
	v_pk_add_f32 v[4:5], v[4:5], v[8:9]
	v_bfe_u32 v9, v6, 16, 1
	v_add3_u32 v12, v7, v12, 0x7fff
	v_cndmask_b32_e32 v1, 0x7fc0, v1, vcc_lo
	v_cmp_o_f32_e32 vcc_lo, v6, v6
	v_bfe_u32 v13, v4, 16, 1
	v_add3_u32 v9, v6, v9, 0x7fff
	v_lshrrev_b32_e32 v12, 16, v12
	v_bfe_u32 v16, v11, 16, 1
	v_add3_u32 v15, v10, v15, 0x7fff
	v_add3_u32 v13, v4, v13, 0x7fff
	v_lshrrev_b32_e32 v9, 16, v9
	v_bfe_u32 v14, v5, 16, 1
	v_add3_u32 v16, v11, v16, 0x7fff
	s_delay_alu instid0(VALU_DEP_4) | instskip(NEXT) | instid1(VALU_DEP_4)
	v_dual_lshrrev_b32 v15, 16, v15 :: v_dual_lshrrev_b32 v13, 16, v13
	v_cndmask_b32_e32 v2, 0x7fc0, v9, vcc_lo
	v_cmp_o_f32_e32 vcc_lo, v7, v7
	v_bfe_u32 v8, v3, 16, 1
	v_add3_u32 v14, v5, v14, 0x7fff
	v_lshrrev_b32_e32 v16, 16, v16
	v_cndmask_b32_e32 v6, 0x7fc0, v12, vcc_lo
	v_cmp_o_f32_e32 vcc_lo, v4, v4
	v_add3_u32 v8, v3, v8, 0x7fff
	v_lshrrev_b32_e32 v14, 16, v14
	v_cndmask_b32_e32 v4, 0x7fc0, v13, vcc_lo
	v_cmp_o_f32_e32 vcc_lo, v10, v10
	s_delay_alu instid0(VALU_DEP_4) | instskip(SKIP_3) | instid1(VALU_DEP_2)
	v_dual_cndmask_b32 v7, 0x7fc0, v15 :: v_dual_lshrrev_b32 v8, 16, v8
	v_cmp_o_f32_e32 vcc_lo, v11, v11
	v_cndmask_b32_e32 v9, 0x7fc0, v16, vcc_lo
	v_cmp_o_f32_e32 vcc_lo, v5, v5
	v_perm_b32 v5, v9, v7, 0x5040100
	v_cndmask_b32_e32 v10, 0x7fc0, v14, vcc_lo
	v_cmp_o_f32_e32 vcc_lo, v3, v3
	v_perm_b32 v3, v6, v2, 0x5040100
	s_delay_alu instid0(VALU_DEP_3) | instskip(SKIP_1) | instid1(VALU_DEP_1)
	v_perm_b32 v4, v10, v4, 0x5040100
	v_cndmask_b32_e32 v8, 0x7fc0, v8, vcc_lo
	v_perm_b32 v2, v8, v1, 0x5040100
	global_store_b128 v0, v[2:5], s[16:17] scale_offset
.LBB169_2:
	s_and_not1_b32 vcc_lo, exec_lo, s0
	s_cbranch_vccnz .LBB169_43
; %bb.3:
	v_cmp_gt_i32_e32 vcc_lo, s15, v0
	v_dual_mov_b32 v24, 0 :: v_dual_bitop2_b32 v1, s2, v0 bitop3:0x54
	v_or_b32_e32 v18, 0x100, v0
	v_dual_mov_b32 v27, 0 :: v_dual_mov_b32 v21, v0
	v_dual_mov_b32 v16, 0 :: v_dual_mov_b32 v17, 0
	s_wait_xcnt 0x0
	s_and_saveexec_b32 s0, vcc_lo
	s_cbranch_execz .LBB169_5
; %bb.4:
	s_clause 0x2
	global_load_u16 v2, v1, s[8:9] scale_offset
	global_load_u16 v3, v1, s[6:7] scale_offset
	;; [unrolled: 1-line block ×3, first 2 shown]
	v_or_b32_e32 v21, 0x100, v0
	s_wait_loadcnt 0x1
	v_dual_lshlrev_b32 v27, 16, v2 :: v_dual_lshlrev_b32 v16, 16, v3
	s_wait_loadcnt 0x0
	v_lshlrev_b32_e32 v17, 16, v4
.LBB169_5:
	s_wait_xcnt 0x0
	s_or_b32 exec_lo, exec_lo, s0
	v_dual_mov_b32 v14, 0 :: v_dual_mov_b32 v15, 0
	s_mov_b32 s1, exec_lo
	v_cmpx_gt_i32_e64 s15, v21
	s_cbranch_execz .LBB169_7
; %bb.6:
	v_add_nc_u32_e32 v2, s2, v21
	v_add_nc_u32_e32 v21, 0x100, v21
	s_clause 0x2
	global_load_u16 v3, v2, s[8:9] scale_offset
	global_load_u16 v4, v2, s[6:7] scale_offset
	global_load_u16 v5, v2, s[10:11] scale_offset
	s_wait_loadcnt 0x1
	v_dual_lshlrev_b32 v24, 16, v3 :: v_dual_lshlrev_b32 v14, 16, v4
	s_wait_loadcnt 0x0
	v_lshlrev_b32_e32 v15, 16, v5
.LBB169_7:
	s_wait_xcnt 0x0
	s_or_b32 exec_lo, exec_lo, s1
	v_dual_mov_b32 v22, 0 :: v_dual_mov_b32 v26, 0
	v_dual_mov_b32 v12, 0 :: v_dual_mov_b32 v13, 0
	s_mov_b32 s1, exec_lo
	v_cmpx_gt_i32_e64 s15, v21
	s_cbranch_execz .LBB169_9
; %bb.8:
	v_add_nc_u32_e32 v2, s2, v21
	v_add_nc_u32_e32 v21, 0x100, v21
	s_clause 0x2
	global_load_u16 v3, v2, s[8:9] scale_offset
	global_load_u16 v4, v2, s[6:7] scale_offset
	global_load_u16 v5, v2, s[10:11] scale_offset
	s_wait_loadcnt 0x1
	v_dual_lshlrev_b32 v26, 16, v3 :: v_dual_lshlrev_b32 v12, 16, v4
	s_wait_loadcnt 0x0
	v_lshlrev_b32_e32 v13, 16, v5
.LBB169_9:
	s_wait_xcnt 0x0
	s_or_b32 exec_lo, exec_lo, s1
	v_dual_mov_b32 v10, 0 :: v_dual_mov_b32 v11, 0
	s_mov_b32 s1, exec_lo
	v_cmpx_gt_i32_e64 s15, v21
	s_cbranch_execz .LBB169_11
; %bb.10:
	v_add_nc_u32_e32 v2, s2, v21
	v_add_nc_u32_e32 v21, 0x100, v21
	s_clause 0x2
	global_load_u16 v3, v2, s[8:9] scale_offset
	global_load_u16 v4, v2, s[6:7] scale_offset
	global_load_u16 v5, v2, s[10:11] scale_offset
	s_wait_loadcnt 0x1
	v_dual_lshlrev_b32 v22, 16, v3 :: v_dual_lshlrev_b32 v10, 16, v4
	s_wait_loadcnt 0x0
	v_lshlrev_b32_e32 v11, 16, v5
.LBB169_11:
	s_wait_xcnt 0x0
	s_or_b32 exec_lo, exec_lo, s1
	v_dual_mov_b32 v20, 0 :: v_dual_mov_b32 v25, 0
	v_dual_mov_b32 v8, 0 :: v_dual_mov_b32 v9, 0
	s_mov_b32 s1, exec_lo
	v_cmpx_gt_i32_e64 s15, v21
	s_cbranch_execz .LBB169_13
; %bb.12:
	v_add_nc_u32_e32 v2, s2, v21
	v_add_nc_u32_e32 v21, 0x100, v21
	s_clause 0x2
	global_load_u16 v3, v2, s[8:9] scale_offset
	global_load_u16 v4, v2, s[6:7] scale_offset
	global_load_u16 v5, v2, s[10:11] scale_offset
	s_wait_loadcnt 0x1
	v_dual_lshlrev_b32 v25, 16, v3 :: v_dual_lshlrev_b32 v8, 16, v4
	s_wait_loadcnt 0x0
	v_lshlrev_b32_e32 v9, 16, v5
.LBB169_13:
	;; [unrolled: 37-line block ×3, first 2 shown]
	s_wait_xcnt 0x0
	s_or_b32 exec_lo, exec_lo, s1
	v_dual_mov_b32 v2, 0 :: v_dual_mov_b32 v3, 0
	s_mov_b32 s1, exec_lo
	v_cmpx_gt_i32_e64 s15, v21
	s_cbranch_execz .LBB169_19
; %bb.18:
	v_add_nc_u32_e32 v2, s2, v21
	s_clause 0x2
	global_load_u16 v3, v2, s[8:9] scale_offset
	global_load_u16 v21, v2, s[6:7] scale_offset
	;; [unrolled: 1-line block ×3, first 2 shown]
	s_wait_loadcnt 0x1
	s_wait_xcnt 0x0
	v_dual_lshlrev_b32 v19, 16, v3 :: v_dual_lshlrev_b32 v2, 16, v21
	s_wait_loadcnt 0x0
	v_lshlrev_b32_e32 v3, 16, v28
.LBB169_19:
	s_or_b32 exec_lo, exec_lo, s1
	s_lshl_b32 s1, s13, 16
                                        ; implicit-def: $vgpr21
	s_and_saveexec_b32 s3, vcc_lo
	s_cbranch_execz .LBB169_21
; %bb.20:
	v_dual_mul_f32 v21, s12, v27 :: v_dual_mov_b32 v28, s1
	s_delay_alu instid0(VALU_DEP_1) | instskip(SKIP_1) | instid1(VALU_DEP_2)
	v_bfe_u32 v27, v21, 16, 1
	v_cmp_o_f32_e64 s0, v21, v21
	v_add3_u32 v27, v21, v27, 0x7fff
	s_delay_alu instid0(VALU_DEP_1) | instskip(NEXT) | instid1(VALU_DEP_1)
	v_and_b32_e32 v27, 0xffff0000, v27
	v_cndmask_b32_e64 v29, 0x7fc00000, v27, s0
	s_delay_alu instid0(VALU_DEP_1) | instskip(NEXT) | instid1(VALU_DEP_1)
	v_pk_mul_f32 v[16:17], v[16:17], v[28:29]
	v_dual_lshrrev_b32 v21, 16, v17 :: v_dual_lshrrev_b32 v27, 16, v16
	v_cmp_o_f32_e64 s0, v17, v17
	s_delay_alu instid0(VALU_DEP_2) | instskip(NEXT) | instid1(VALU_DEP_1)
	v_and_b32_e32 v21, 1, v21
	v_add3_u32 v21, v17, v21, 0x7fff
	s_delay_alu instid0(VALU_DEP_1) | instskip(NEXT) | instid1(VALU_DEP_1)
	v_and_b32_e32 v21, 0xffff0000, v21
	v_cndmask_b32_e64 v17, 0x7fc00000, v21, s0
	v_and_b32_e32 v27, 1, v27
	v_cmp_o_f32_e64 s0, v16, v16
	s_delay_alu instid0(VALU_DEP_2) | instskip(NEXT) | instid1(VALU_DEP_1)
	v_add3_u32 v27, v16, v27, 0x7fff
	v_and_b32_e32 v27, 0xffff0000, v27
	s_delay_alu instid0(VALU_DEP_1) | instskip(NEXT) | instid1(VALU_DEP_1)
	v_cndmask_b32_e64 v16, 0x7fc00000, v27, s0
	v_add_f32_e32 v16, v16, v17
	s_delay_alu instid0(VALU_DEP_1) | instskip(SKIP_1) | instid1(VALU_DEP_2)
	v_bfe_u32 v17, v16, 16, 1
	v_cmp_o_f32_e64 s0, v16, v16
	v_add3_u32 v17, v16, v17, 0x7fff
	s_delay_alu instid0(VALU_DEP_1) | instskip(NEXT) | instid1(VALU_DEP_1)
	v_lshrrev_b32_e32 v17, 16, v17
	v_cndmask_b32_e64 v21, 0x7fc0, v17, s0
.LBB169_21:
	s_or_b32 exec_lo, exec_lo, s3
	s_delay_alu instid0(SALU_CYCLE_1)
	s_mov_b32 s3, exec_lo
                                        ; implicit-def: $vgpr16
	v_cmpx_gt_i32_e64 s15, v18
	s_cbranch_execz .LBB169_23
; %bb.22:
	v_mul_f32_e32 v17, s12, v24
	s_delay_alu instid0(VALU_DEP_1) | instskip(NEXT) | instid1(VALU_DEP_1)
	v_bfe_u32 v16, v17, 16, 1
	v_add3_u32 v16, v17, v16, 0x7fff
	s_delay_alu instid0(VALU_DEP_1) | instskip(SKIP_2) | instid1(VALU_DEP_1)
	v_and_b32_e32 v24, 0xffff0000, v16
	v_mov_b32_e32 v16, s1
	v_cmp_o_f32_e64 s0, v17, v17
	v_cndmask_b32_e64 v17, 0x7fc00000, v24, s0
	s_delay_alu instid0(VALU_DEP_1) | instskip(NEXT) | instid1(VALU_DEP_1)
	v_pk_mul_f32 v[14:15], v[14:15], v[16:17]
	v_dual_lshrrev_b32 v16, 16, v15 :: v_dual_lshrrev_b32 v17, 16, v14
	v_cmp_o_f32_e64 s0, v15, v15
	s_delay_alu instid0(VALU_DEP_2) | instskip(NEXT) | instid1(VALU_DEP_3)
	v_and_b32_e32 v16, 1, v16
	v_and_b32_e32 v17, 1, v17
	s_delay_alu instid0(VALU_DEP_2) | instskip(NEXT) | instid1(VALU_DEP_2)
	v_add3_u32 v16, v15, v16, 0x7fff
	v_add3_u32 v17, v14, v17, 0x7fff
	s_delay_alu instid0(VALU_DEP_2) | instskip(NEXT) | instid1(VALU_DEP_2)
	v_and_b32_e32 v16, 0xffff0000, v16
	v_and_b32_e32 v17, 0xffff0000, v17
	s_delay_alu instid0(VALU_DEP_2) | instskip(SKIP_1) | instid1(VALU_DEP_1)
	v_cndmask_b32_e64 v15, 0x7fc00000, v16, s0
	v_cmp_o_f32_e64 s0, v14, v14
	v_cndmask_b32_e64 v14, 0x7fc00000, v17, s0
	s_delay_alu instid0(VALU_DEP_1) | instskip(NEXT) | instid1(VALU_DEP_1)
	v_add_f32_e32 v14, v14, v15
	v_bfe_u32 v15, v14, 16, 1
	v_cmp_o_f32_e64 s0, v14, v14
	s_delay_alu instid0(VALU_DEP_2) | instskip(NEXT) | instid1(VALU_DEP_1)
	v_add3_u32 v15, v14, v15, 0x7fff
	v_lshrrev_b32_e32 v15, 16, v15
	s_delay_alu instid0(VALU_DEP_1)
	v_cndmask_b32_e64 v16, 0x7fc0, v15, s0
.LBB169_23:
	s_or_b32 exec_lo, exec_lo, s3
	v_or_b32_e32 v14, 0x200, v0
	s_delay_alu instid0(VALU_DEP_1)
	v_cmp_gt_i32_e64 s0, s15, v14
                                        ; implicit-def: $vgpr14
	s_and_saveexec_b32 s3, s0
	s_cbranch_execz .LBB169_25
; %bb.24:
	v_mul_f32_e32 v15, s12, v26
	s_delay_alu instid0(VALU_DEP_1) | instskip(NEXT) | instid1(VALU_DEP_1)
	v_bfe_u32 v14, v15, 16, 1
	v_add3_u32 v14, v15, v14, 0x7fff
	s_delay_alu instid0(VALU_DEP_1) | instskip(SKIP_2) | instid1(VALU_DEP_1)
	v_and_b32_e32 v17, 0xffff0000, v14
	v_mov_b32_e32 v14, s1
	v_cmp_o_f32_e64 s0, v15, v15
	v_cndmask_b32_e64 v15, 0x7fc00000, v17, s0
	s_delay_alu instid0(VALU_DEP_1) | instskip(NEXT) | instid1(VALU_DEP_1)
	v_pk_mul_f32 v[12:13], v[12:13], v[14:15]
	v_dual_lshrrev_b32 v14, 16, v13 :: v_dual_lshrrev_b32 v15, 16, v12
	v_cmp_o_f32_e64 s0, v13, v13
	s_delay_alu instid0(VALU_DEP_2) | instskip(NEXT) | instid1(VALU_DEP_3)
	v_and_b32_e32 v14, 1, v14
	v_and_b32_e32 v15, 1, v15
	s_delay_alu instid0(VALU_DEP_2) | instskip(NEXT) | instid1(VALU_DEP_2)
	v_add3_u32 v14, v13, v14, 0x7fff
	v_add3_u32 v15, v12, v15, 0x7fff
	s_delay_alu instid0(VALU_DEP_2) | instskip(NEXT) | instid1(VALU_DEP_2)
	v_and_b32_e32 v14, 0xffff0000, v14
	v_and_b32_e32 v15, 0xffff0000, v15
	s_delay_alu instid0(VALU_DEP_2) | instskip(SKIP_1) | instid1(VALU_DEP_1)
	v_cndmask_b32_e64 v13, 0x7fc00000, v14, s0
	v_cmp_o_f32_e64 s0, v12, v12
	v_cndmask_b32_e64 v12, 0x7fc00000, v15, s0
	s_delay_alu instid0(VALU_DEP_1) | instskip(NEXT) | instid1(VALU_DEP_1)
	v_add_f32_e32 v12, v12, v13
	v_bfe_u32 v13, v12, 16, 1
	v_cmp_o_f32_e64 s0, v12, v12
	s_delay_alu instid0(VALU_DEP_2) | instskip(NEXT) | instid1(VALU_DEP_1)
	v_add3_u32 v13, v12, v13, 0x7fff
	v_lshrrev_b32_e32 v13, 16, v13
	s_delay_alu instid0(VALU_DEP_1)
	v_cndmask_b32_e64 v14, 0x7fc0, v13, s0
.LBB169_25:
	s_or_b32 exec_lo, exec_lo, s3
	v_or_b32_e32 v12, 0x300, v0
	s_delay_alu instid0(VALU_DEP_1)
	v_cmp_gt_i32_e64 s0, s15, v12
                                        ; implicit-def: $vgpr12
	s_and_saveexec_b32 s3, s0
	s_cbranch_execz .LBB169_27
; %bb.26:
	v_mul_f32_e32 v13, s12, v22
	s_delay_alu instid0(VALU_DEP_1) | instskip(NEXT) | instid1(VALU_DEP_1)
	v_bfe_u32 v12, v13, 16, 1
	v_add3_u32 v12, v13, v12, 0x7fff
	s_delay_alu instid0(VALU_DEP_1) | instskip(SKIP_2) | instid1(VALU_DEP_1)
	v_and_b32_e32 v15, 0xffff0000, v12
	v_mov_b32_e32 v12, s1
	v_cmp_o_f32_e64 s0, v13, v13
	v_cndmask_b32_e64 v13, 0x7fc00000, v15, s0
	s_delay_alu instid0(VALU_DEP_1) | instskip(NEXT) | instid1(VALU_DEP_1)
	v_pk_mul_f32 v[10:11], v[10:11], v[12:13]
	v_dual_lshrrev_b32 v12, 16, v11 :: v_dual_lshrrev_b32 v13, 16, v10
	v_cmp_o_f32_e64 s0, v11, v11
	s_delay_alu instid0(VALU_DEP_2) | instskip(NEXT) | instid1(VALU_DEP_3)
	v_and_b32_e32 v12, 1, v12
	v_and_b32_e32 v13, 1, v13
	s_delay_alu instid0(VALU_DEP_2) | instskip(NEXT) | instid1(VALU_DEP_2)
	v_add3_u32 v12, v11, v12, 0x7fff
	v_add3_u32 v13, v10, v13, 0x7fff
	s_delay_alu instid0(VALU_DEP_2) | instskip(NEXT) | instid1(VALU_DEP_2)
	v_and_b32_e32 v12, 0xffff0000, v12
	v_and_b32_e32 v13, 0xffff0000, v13
	s_delay_alu instid0(VALU_DEP_2) | instskip(SKIP_1) | instid1(VALU_DEP_1)
	v_cndmask_b32_e64 v11, 0x7fc00000, v12, s0
	v_cmp_o_f32_e64 s0, v10, v10
	v_cndmask_b32_e64 v10, 0x7fc00000, v13, s0
	s_delay_alu instid0(VALU_DEP_1) | instskip(NEXT) | instid1(VALU_DEP_1)
	v_add_f32_e32 v10, v10, v11
	v_bfe_u32 v11, v10, 16, 1
	v_cmp_o_f32_e64 s0, v10, v10
	s_delay_alu instid0(VALU_DEP_2) | instskip(NEXT) | instid1(VALU_DEP_1)
	v_add3_u32 v11, v10, v11, 0x7fff
	v_lshrrev_b32_e32 v11, 16, v11
	s_delay_alu instid0(VALU_DEP_1)
	v_cndmask_b32_e64 v12, 0x7fc0, v11, s0
.LBB169_27:
	s_or_b32 exec_lo, exec_lo, s3
	v_or_b32_e32 v10, 0x400, v0
	s_delay_alu instid0(VALU_DEP_1)
	v_cmp_gt_i32_e64 s0, s15, v10
                                        ; implicit-def: $vgpr10
	s_and_saveexec_b32 s3, s0
	s_cbranch_execz .LBB169_29
; %bb.28:
	v_mul_f32_e32 v11, s12, v25
	s_delay_alu instid0(VALU_DEP_1) | instskip(NEXT) | instid1(VALU_DEP_1)
	v_bfe_u32 v10, v11, 16, 1
	v_add3_u32 v10, v11, v10, 0x7fff
	s_delay_alu instid0(VALU_DEP_1) | instskip(SKIP_2) | instid1(VALU_DEP_1)
	v_and_b32_e32 v13, 0xffff0000, v10
	v_mov_b32_e32 v10, s1
	v_cmp_o_f32_e64 s0, v11, v11
	v_cndmask_b32_e64 v11, 0x7fc00000, v13, s0
	s_delay_alu instid0(VALU_DEP_1) | instskip(NEXT) | instid1(VALU_DEP_1)
	v_pk_mul_f32 v[8:9], v[8:9], v[10:11]
	v_dual_lshrrev_b32 v10, 16, v9 :: v_dual_lshrrev_b32 v11, 16, v8
	v_cmp_o_f32_e64 s0, v9, v9
	s_delay_alu instid0(VALU_DEP_2) | instskip(NEXT) | instid1(VALU_DEP_3)
	v_and_b32_e32 v10, 1, v10
	v_and_b32_e32 v11, 1, v11
	s_delay_alu instid0(VALU_DEP_2) | instskip(NEXT) | instid1(VALU_DEP_2)
	v_add3_u32 v10, v9, v10, 0x7fff
	v_add3_u32 v11, v8, v11, 0x7fff
	s_delay_alu instid0(VALU_DEP_2) | instskip(NEXT) | instid1(VALU_DEP_2)
	v_and_b32_e32 v10, 0xffff0000, v10
	v_and_b32_e32 v11, 0xffff0000, v11
	s_delay_alu instid0(VALU_DEP_2) | instskip(SKIP_1) | instid1(VALU_DEP_1)
	v_cndmask_b32_e64 v9, 0x7fc00000, v10, s0
	v_cmp_o_f32_e64 s0, v8, v8
	v_cndmask_b32_e64 v8, 0x7fc00000, v11, s0
	s_delay_alu instid0(VALU_DEP_1) | instskip(NEXT) | instid1(VALU_DEP_1)
	v_add_f32_e32 v8, v8, v9
	v_bfe_u32 v9, v8, 16, 1
	v_cmp_o_f32_e64 s0, v8, v8
	s_delay_alu instid0(VALU_DEP_2) | instskip(NEXT) | instid1(VALU_DEP_1)
	v_add3_u32 v9, v8, v9, 0x7fff
	v_lshrrev_b32_e32 v9, 16, v9
	s_delay_alu instid0(VALU_DEP_1)
	v_cndmask_b32_e64 v10, 0x7fc0, v9, s0
.LBB169_29:
	s_or_b32 exec_lo, exec_lo, s3
	v_or_b32_e32 v8, 0x500, v0
	s_delay_alu instid0(VALU_DEP_1)
	v_cmp_gt_i32_e64 s0, s15, v8
                                        ; implicit-def: $vgpr8
	s_and_saveexec_b32 s3, s0
	s_cbranch_execz .LBB169_31
; %bb.30:
	v_mul_f32_e32 v9, s12, v20
	s_delay_alu instid0(VALU_DEP_1) | instskip(NEXT) | instid1(VALU_DEP_1)
	v_bfe_u32 v8, v9, 16, 1
	v_add3_u32 v8, v9, v8, 0x7fff
	s_delay_alu instid0(VALU_DEP_1) | instskip(SKIP_2) | instid1(VALU_DEP_1)
	v_and_b32_e32 v11, 0xffff0000, v8
	v_mov_b32_e32 v8, s1
	v_cmp_o_f32_e64 s0, v9, v9
	v_cndmask_b32_e64 v9, 0x7fc00000, v11, s0
	s_delay_alu instid0(VALU_DEP_1) | instskip(NEXT) | instid1(VALU_DEP_1)
	v_pk_mul_f32 v[6:7], v[6:7], v[8:9]
	v_dual_lshrrev_b32 v8, 16, v7 :: v_dual_lshrrev_b32 v9, 16, v6
	v_cmp_o_f32_e64 s0, v7, v7
	s_delay_alu instid0(VALU_DEP_2) | instskip(NEXT) | instid1(VALU_DEP_3)
	v_and_b32_e32 v8, 1, v8
	v_and_b32_e32 v9, 1, v9
	s_delay_alu instid0(VALU_DEP_2) | instskip(NEXT) | instid1(VALU_DEP_2)
	v_add3_u32 v8, v7, v8, 0x7fff
	v_add3_u32 v9, v6, v9, 0x7fff
	s_delay_alu instid0(VALU_DEP_2) | instskip(NEXT) | instid1(VALU_DEP_2)
	v_and_b32_e32 v8, 0xffff0000, v8
	v_and_b32_e32 v9, 0xffff0000, v9
	s_delay_alu instid0(VALU_DEP_2) | instskip(SKIP_1) | instid1(VALU_DEP_1)
	v_cndmask_b32_e64 v7, 0x7fc00000, v8, s0
	v_cmp_o_f32_e64 s0, v6, v6
	v_cndmask_b32_e64 v6, 0x7fc00000, v9, s0
	s_delay_alu instid0(VALU_DEP_1) | instskip(NEXT) | instid1(VALU_DEP_1)
	v_add_f32_e32 v6, v6, v7
	v_bfe_u32 v7, v6, 16, 1
	v_cmp_o_f32_e64 s0, v6, v6
	s_delay_alu instid0(VALU_DEP_2) | instskip(NEXT) | instid1(VALU_DEP_1)
	v_add3_u32 v7, v6, v7, 0x7fff
	v_lshrrev_b32_e32 v7, 16, v7
	s_delay_alu instid0(VALU_DEP_1)
	v_cndmask_b32_e64 v8, 0x7fc0, v7, s0
.LBB169_31:
	s_or_b32 exec_lo, exec_lo, s3
	v_or_b32_e32 v6, 0x600, v0
	s_delay_alu instid0(VALU_DEP_1)
	v_cmp_gt_i32_e64 s0, s15, v6
                                        ; implicit-def: $vgpr6
	s_and_saveexec_b32 s3, s0
	s_cbranch_execz .LBB169_33
; %bb.32:
	v_mul_f32_e32 v7, s12, v23
	s_delay_alu instid0(VALU_DEP_1) | instskip(NEXT) | instid1(VALU_DEP_1)
	v_bfe_u32 v6, v7, 16, 1
	v_add3_u32 v6, v7, v6, 0x7fff
	s_delay_alu instid0(VALU_DEP_1) | instskip(SKIP_2) | instid1(VALU_DEP_1)
	v_and_b32_e32 v9, 0xffff0000, v6
	v_mov_b32_e32 v6, s1
	v_cmp_o_f32_e64 s0, v7, v7
	v_cndmask_b32_e64 v7, 0x7fc00000, v9, s0
	s_delay_alu instid0(VALU_DEP_1) | instskip(NEXT) | instid1(VALU_DEP_1)
	v_pk_mul_f32 v[4:5], v[4:5], v[6:7]
	v_dual_lshrrev_b32 v6, 16, v5 :: v_dual_lshrrev_b32 v7, 16, v4
	v_cmp_o_f32_e64 s0, v5, v5
	s_delay_alu instid0(VALU_DEP_2) | instskip(NEXT) | instid1(VALU_DEP_3)
	v_and_b32_e32 v6, 1, v6
	v_and_b32_e32 v7, 1, v7
	s_delay_alu instid0(VALU_DEP_2) | instskip(NEXT) | instid1(VALU_DEP_2)
	v_add3_u32 v6, v5, v6, 0x7fff
	v_add3_u32 v7, v4, v7, 0x7fff
	s_delay_alu instid0(VALU_DEP_2) | instskip(NEXT) | instid1(VALU_DEP_2)
	v_and_b32_e32 v6, 0xffff0000, v6
	v_and_b32_e32 v7, 0xffff0000, v7
	s_delay_alu instid0(VALU_DEP_2) | instskip(SKIP_1) | instid1(VALU_DEP_1)
	v_cndmask_b32_e64 v5, 0x7fc00000, v6, s0
	v_cmp_o_f32_e64 s0, v4, v4
	v_cndmask_b32_e64 v4, 0x7fc00000, v7, s0
	s_delay_alu instid0(VALU_DEP_1) | instskip(NEXT) | instid1(VALU_DEP_1)
	v_add_f32_e32 v4, v4, v5
	v_bfe_u32 v5, v4, 16, 1
	v_cmp_o_f32_e64 s0, v4, v4
	s_delay_alu instid0(VALU_DEP_2) | instskip(NEXT) | instid1(VALU_DEP_1)
	v_add3_u32 v5, v4, v5, 0x7fff
	v_lshrrev_b32_e32 v5, 16, v5
	s_delay_alu instid0(VALU_DEP_1)
	v_cndmask_b32_e64 v6, 0x7fc0, v5, s0
.LBB169_33:
	s_or_b32 exec_lo, exec_lo, s3
	v_or_b32_e32 v4, 0x700, v0
	s_delay_alu instid0(VALU_DEP_1)
	v_cmp_gt_i32_e64 s0, s15, v4
                                        ; implicit-def: $vgpr4
	s_and_saveexec_b32 s3, s0
	s_cbranch_execz .LBB169_44
; %bb.34:
	v_mul_f32_e32 v5, s12, v19
	s_delay_alu instid0(VALU_DEP_1) | instskip(NEXT) | instid1(VALU_DEP_1)
	v_bfe_u32 v4, v5, 16, 1
	v_add3_u32 v4, v5, v4, 0x7fff
	s_delay_alu instid0(VALU_DEP_1) | instskip(SKIP_2) | instid1(VALU_DEP_1)
	v_and_b32_e32 v7, 0xffff0000, v4
	v_mov_b32_e32 v4, s1
	v_cmp_o_f32_e64 s0, v5, v5
	v_cndmask_b32_e64 v5, 0x7fc00000, v7, s0
	s_delay_alu instid0(VALU_DEP_1) | instskip(NEXT) | instid1(VALU_DEP_1)
	v_pk_mul_f32 v[2:3], v[2:3], v[4:5]
	v_dual_lshrrev_b32 v4, 16, v3 :: v_dual_lshrrev_b32 v5, 16, v2
	v_cmp_o_f32_e64 s0, v3, v3
	s_delay_alu instid0(VALU_DEP_2) | instskip(NEXT) | instid1(VALU_DEP_3)
	v_and_b32_e32 v4, 1, v4
	v_and_b32_e32 v5, 1, v5
	s_delay_alu instid0(VALU_DEP_2) | instskip(NEXT) | instid1(VALU_DEP_2)
	v_add3_u32 v4, v3, v4, 0x7fff
	v_add3_u32 v5, v2, v5, 0x7fff
	s_delay_alu instid0(VALU_DEP_2) | instskip(NEXT) | instid1(VALU_DEP_2)
	v_and_b32_e32 v4, 0xffff0000, v4
	v_and_b32_e32 v5, 0xffff0000, v5
	s_delay_alu instid0(VALU_DEP_2) | instskip(SKIP_1) | instid1(VALU_DEP_1)
	v_cndmask_b32_e64 v3, 0x7fc00000, v4, s0
	v_cmp_o_f32_e64 s0, v2, v2
	v_cndmask_b32_e64 v2, 0x7fc00000, v5, s0
	s_delay_alu instid0(VALU_DEP_1) | instskip(NEXT) | instid1(VALU_DEP_1)
	v_add_f32_e32 v2, v2, v3
	v_bfe_u32 v3, v2, 16, 1
	v_cmp_o_f32_e64 s0, v2, v2
	s_delay_alu instid0(VALU_DEP_2) | instskip(NEXT) | instid1(VALU_DEP_1)
	v_add3_u32 v3, v2, v3, 0x7fff
	v_lshrrev_b32_e32 v3, 16, v3
	s_delay_alu instid0(VALU_DEP_1) | instskip(SKIP_2) | instid1(SALU_CYCLE_1)
	v_cndmask_b32_e64 v4, 0x7fc0, v3, s0
	s_or_b32 exec_lo, exec_lo, s3
	s_and_saveexec_b32 s0, vcc_lo
	s_xor_b32 s0, exec_lo, s0
	s_cbranch_execnz .LBB169_45
.LBB169_35:
	s_or_b32 exec_lo, exec_lo, s0
	s_delay_alu instid0(SALU_CYCLE_1)
	s_mov_b32 s0, exec_lo
	v_cmpx_gt_i32_e64 s15, v0
	s_cbranch_execz .LBB169_46
.LBB169_36:
	v_add_nc_u32_e32 v1, s2, v0
	v_add_nc_u32_e32 v0, 0x100, v0
	global_store_b16 v1, v16, s[4:5] scale_offset
	s_wait_xcnt 0x0
	s_or_b32 exec_lo, exec_lo, s0
	s_delay_alu instid0(SALU_CYCLE_1)
	s_mov_b32 s0, exec_lo
	v_cmpx_gt_i32_e64 s15, v0
	s_cbranch_execnz .LBB169_47
.LBB169_37:
	s_or_b32 exec_lo, exec_lo, s0
	s_delay_alu instid0(SALU_CYCLE_1)
	s_mov_b32 s0, exec_lo
	v_cmpx_gt_i32_e64 s15, v0
	s_cbranch_execz .LBB169_48
.LBB169_38:
	v_add_nc_u32_e32 v1, s2, v0
	v_add_nc_u32_e32 v0, 0x100, v0
	global_store_b16 v1, v12, s[4:5] scale_offset
	s_wait_xcnt 0x0
	s_or_b32 exec_lo, exec_lo, s0
	s_delay_alu instid0(SALU_CYCLE_1)
	s_mov_b32 s0, exec_lo
	v_cmpx_gt_i32_e64 s15, v0
	s_cbranch_execnz .LBB169_49
.LBB169_39:
	s_or_b32 exec_lo, exec_lo, s0
	s_delay_alu instid0(SALU_CYCLE_1)
	s_mov_b32 s0, exec_lo
	v_cmpx_gt_i32_e64 s15, v0
	s_cbranch_execz .LBB169_50
.LBB169_40:
	v_add_nc_u32_e32 v1, s2, v0
	v_add_nc_u32_e32 v0, 0x100, v0
	global_store_b16 v1, v8, s[4:5] scale_offset
	s_wait_xcnt 0x0
	s_or_b32 exec_lo, exec_lo, s0
	s_delay_alu instid0(SALU_CYCLE_1)
	s_mov_b32 s0, exec_lo
	v_cmpx_gt_i32_e64 s15, v0
	s_cbranch_execnz .LBB169_51
.LBB169_41:
	s_or_b32 exec_lo, exec_lo, s0
	s_delay_alu instid0(SALU_CYCLE_1)
	s_mov_b32 s0, exec_lo
	v_cmpx_gt_i32_e64 s15, v0
	s_cbranch_execz .LBB169_43
.LBB169_42:
	v_add_nc_u32_e32 v0, s2, v0
	global_store_b16 v0, v4, s[4:5] scale_offset
.LBB169_43:
	s_endpgm
.LBB169_44:
	s_or_b32 exec_lo, exec_lo, s3
	s_and_saveexec_b32 s0, vcc_lo
	s_delay_alu instid0(SALU_CYCLE_1)
	s_xor_b32 s0, exec_lo, s0
	s_cbranch_execz .LBB169_35
.LBB169_45:
	v_mov_b32_e32 v0, v18
	global_store_b16 v1, v21, s[4:5] scale_offset
	s_wait_xcnt 0x0
	s_or_b32 exec_lo, exec_lo, s0
	s_delay_alu instid0(SALU_CYCLE_1)
	s_mov_b32 s0, exec_lo
	v_cmpx_gt_i32_e64 s15, v0
	s_cbranch_execnz .LBB169_36
.LBB169_46:
	s_or_b32 exec_lo, exec_lo, s0
	s_delay_alu instid0(SALU_CYCLE_1)
	s_mov_b32 s0, exec_lo
	v_cmpx_gt_i32_e64 s15, v0
	s_cbranch_execz .LBB169_37
.LBB169_47:
	v_add_nc_u32_e32 v1, s2, v0
	v_add_nc_u32_e32 v0, 0x100, v0
	global_store_b16 v1, v14, s[4:5] scale_offset
	s_wait_xcnt 0x0
	s_or_b32 exec_lo, exec_lo, s0
	s_delay_alu instid0(SALU_CYCLE_1)
	s_mov_b32 s0, exec_lo
	v_cmpx_gt_i32_e64 s15, v0
	s_cbranch_execnz .LBB169_38
.LBB169_48:
	s_or_b32 exec_lo, exec_lo, s0
	s_delay_alu instid0(SALU_CYCLE_1)
	s_mov_b32 s0, exec_lo
	v_cmpx_gt_i32_e64 s15, v0
	s_cbranch_execz .LBB169_39
.LBB169_49:
	v_add_nc_u32_e32 v1, s2, v0
	v_add_nc_u32_e32 v0, 0x100, v0
	global_store_b16 v1, v10, s[4:5] scale_offset
	s_wait_xcnt 0x0
	s_or_b32 exec_lo, exec_lo, s0
	s_delay_alu instid0(SALU_CYCLE_1)
	s_mov_b32 s0, exec_lo
	v_cmpx_gt_i32_e64 s15, v0
	s_cbranch_execnz .LBB169_40
.LBB169_50:
	s_or_b32 exec_lo, exec_lo, s0
	s_delay_alu instid0(SALU_CYCLE_1)
	s_mov_b32 s0, exec_lo
	v_cmpx_gt_i32_e64 s15, v0
	s_cbranch_execz .LBB169_41
.LBB169_51:
	v_add_nc_u32_e32 v1, s2, v0
	v_add_nc_u32_e32 v0, 0x100, v0
	global_store_b16 v1, v6, s[4:5] scale_offset
	s_wait_xcnt 0x0
	s_or_b32 exec_lo, exec_lo, s0
	s_delay_alu instid0(SALU_CYCLE_1)
	s_mov_b32 s0, exec_lo
	v_cmpx_gt_i32_e64 s15, v0
	s_cbranch_execnz .LBB169_42
	s_branch .LBB169_43
	.section	.rodata,"a",@progbits
	.p2align	6, 0x0
	.amdhsa_kernel _ZN2at6native29vectorized_elementwise_kernelILi8EZZZNS0_12_GLOBAL__N_116addr_kernel_cudaERNS_14TensorIteratorERKN3c106ScalarES8_ENKUlvE_clEvENKUlvE8_clEvEUlNS5_8BFloat16ESB_SB_E0_St5arrayIPcLm4EEEEviT0_T1_
		.amdhsa_group_segment_fixed_size 0
		.amdhsa_private_segment_fixed_size 0
		.amdhsa_kernarg_size 40
		.amdhsa_user_sgpr_count 2
		.amdhsa_user_sgpr_dispatch_ptr 0
		.amdhsa_user_sgpr_queue_ptr 0
		.amdhsa_user_sgpr_kernarg_segment_ptr 1
		.amdhsa_user_sgpr_dispatch_id 0
		.amdhsa_user_sgpr_kernarg_preload_length 0
		.amdhsa_user_sgpr_kernarg_preload_offset 0
		.amdhsa_user_sgpr_private_segment_size 0
		.amdhsa_wavefront_size32 1
		.amdhsa_uses_dynamic_stack 0
		.amdhsa_enable_private_segment 0
		.amdhsa_system_sgpr_workgroup_id_x 1
		.amdhsa_system_sgpr_workgroup_id_y 0
		.amdhsa_system_sgpr_workgroup_id_z 0
		.amdhsa_system_sgpr_workgroup_info 0
		.amdhsa_system_vgpr_workitem_id 0
		.amdhsa_next_free_vgpr 41
		.amdhsa_next_free_sgpr 18
		.amdhsa_named_barrier_count 0
		.amdhsa_reserve_vcc 1
		.amdhsa_float_round_mode_32 0
		.amdhsa_float_round_mode_16_64 0
		.amdhsa_float_denorm_mode_32 3
		.amdhsa_float_denorm_mode_16_64 3
		.amdhsa_fp16_overflow 0
		.amdhsa_memory_ordered 1
		.amdhsa_forward_progress 1
		.amdhsa_inst_pref_size 44
		.amdhsa_round_robin_scheduling 0
		.amdhsa_exception_fp_ieee_invalid_op 0
		.amdhsa_exception_fp_denorm_src 0
		.amdhsa_exception_fp_ieee_div_zero 0
		.amdhsa_exception_fp_ieee_overflow 0
		.amdhsa_exception_fp_ieee_underflow 0
		.amdhsa_exception_fp_ieee_inexact 0
		.amdhsa_exception_int_div_zero 0
	.end_amdhsa_kernel
	.section	.text._ZN2at6native29vectorized_elementwise_kernelILi8EZZZNS0_12_GLOBAL__N_116addr_kernel_cudaERNS_14TensorIteratorERKN3c106ScalarES8_ENKUlvE_clEvENKUlvE8_clEvEUlNS5_8BFloat16ESB_SB_E0_St5arrayIPcLm4EEEEviT0_T1_,"axG",@progbits,_ZN2at6native29vectorized_elementwise_kernelILi8EZZZNS0_12_GLOBAL__N_116addr_kernel_cudaERNS_14TensorIteratorERKN3c106ScalarES8_ENKUlvE_clEvENKUlvE8_clEvEUlNS5_8BFloat16ESB_SB_E0_St5arrayIPcLm4EEEEviT0_T1_,comdat
.Lfunc_end169:
	.size	_ZN2at6native29vectorized_elementwise_kernelILi8EZZZNS0_12_GLOBAL__N_116addr_kernel_cudaERNS_14TensorIteratorERKN3c106ScalarES8_ENKUlvE_clEvENKUlvE8_clEvEUlNS5_8BFloat16ESB_SB_E0_St5arrayIPcLm4EEEEviT0_T1_, .Lfunc_end169-_ZN2at6native29vectorized_elementwise_kernelILi8EZZZNS0_12_GLOBAL__N_116addr_kernel_cudaERNS_14TensorIteratorERKN3c106ScalarES8_ENKUlvE_clEvENKUlvE8_clEvEUlNS5_8BFloat16ESB_SB_E0_St5arrayIPcLm4EEEEviT0_T1_
                                        ; -- End function
	.set _ZN2at6native29vectorized_elementwise_kernelILi8EZZZNS0_12_GLOBAL__N_116addr_kernel_cudaERNS_14TensorIteratorERKN3c106ScalarES8_ENKUlvE_clEvENKUlvE8_clEvEUlNS5_8BFloat16ESB_SB_E0_St5arrayIPcLm4EEEEviT0_T1_.num_vgpr, 41
	.set _ZN2at6native29vectorized_elementwise_kernelILi8EZZZNS0_12_GLOBAL__N_116addr_kernel_cudaERNS_14TensorIteratorERKN3c106ScalarES8_ENKUlvE_clEvENKUlvE8_clEvEUlNS5_8BFloat16ESB_SB_E0_St5arrayIPcLm4EEEEviT0_T1_.num_agpr, 0
	.set _ZN2at6native29vectorized_elementwise_kernelILi8EZZZNS0_12_GLOBAL__N_116addr_kernel_cudaERNS_14TensorIteratorERKN3c106ScalarES8_ENKUlvE_clEvENKUlvE8_clEvEUlNS5_8BFloat16ESB_SB_E0_St5arrayIPcLm4EEEEviT0_T1_.numbered_sgpr, 18
	.set _ZN2at6native29vectorized_elementwise_kernelILi8EZZZNS0_12_GLOBAL__N_116addr_kernel_cudaERNS_14TensorIteratorERKN3c106ScalarES8_ENKUlvE_clEvENKUlvE8_clEvEUlNS5_8BFloat16ESB_SB_E0_St5arrayIPcLm4EEEEviT0_T1_.num_named_barrier, 0
	.set _ZN2at6native29vectorized_elementwise_kernelILi8EZZZNS0_12_GLOBAL__N_116addr_kernel_cudaERNS_14TensorIteratorERKN3c106ScalarES8_ENKUlvE_clEvENKUlvE8_clEvEUlNS5_8BFloat16ESB_SB_E0_St5arrayIPcLm4EEEEviT0_T1_.private_seg_size, 0
	.set _ZN2at6native29vectorized_elementwise_kernelILi8EZZZNS0_12_GLOBAL__N_116addr_kernel_cudaERNS_14TensorIteratorERKN3c106ScalarES8_ENKUlvE_clEvENKUlvE8_clEvEUlNS5_8BFloat16ESB_SB_E0_St5arrayIPcLm4EEEEviT0_T1_.uses_vcc, 1
	.set _ZN2at6native29vectorized_elementwise_kernelILi8EZZZNS0_12_GLOBAL__N_116addr_kernel_cudaERNS_14TensorIteratorERKN3c106ScalarES8_ENKUlvE_clEvENKUlvE8_clEvEUlNS5_8BFloat16ESB_SB_E0_St5arrayIPcLm4EEEEviT0_T1_.uses_flat_scratch, 0
	.set _ZN2at6native29vectorized_elementwise_kernelILi8EZZZNS0_12_GLOBAL__N_116addr_kernel_cudaERNS_14TensorIteratorERKN3c106ScalarES8_ENKUlvE_clEvENKUlvE8_clEvEUlNS5_8BFloat16ESB_SB_E0_St5arrayIPcLm4EEEEviT0_T1_.has_dyn_sized_stack, 0
	.set _ZN2at6native29vectorized_elementwise_kernelILi8EZZZNS0_12_GLOBAL__N_116addr_kernel_cudaERNS_14TensorIteratorERKN3c106ScalarES8_ENKUlvE_clEvENKUlvE8_clEvEUlNS5_8BFloat16ESB_SB_E0_St5arrayIPcLm4EEEEviT0_T1_.has_recursion, 0
	.set _ZN2at6native29vectorized_elementwise_kernelILi8EZZZNS0_12_GLOBAL__N_116addr_kernel_cudaERNS_14TensorIteratorERKN3c106ScalarES8_ENKUlvE_clEvENKUlvE8_clEvEUlNS5_8BFloat16ESB_SB_E0_St5arrayIPcLm4EEEEviT0_T1_.has_indirect_call, 0
	.section	.AMDGPU.csdata,"",@progbits
; Kernel info:
; codeLenInByte = 5580
; TotalNumSgprs: 20
; NumVgprs: 41
; ScratchSize: 0
; MemoryBound: 0
; FloatMode: 240
; IeeeMode: 1
; LDSByteSize: 0 bytes/workgroup (compile time only)
; SGPRBlocks: 0
; VGPRBlocks: 2
; NumSGPRsForWavesPerEU: 20
; NumVGPRsForWavesPerEU: 41
; NamedBarCnt: 0
; Occupancy: 16
; WaveLimiterHint : 0
; COMPUTE_PGM_RSRC2:SCRATCH_EN: 0
; COMPUTE_PGM_RSRC2:USER_SGPR: 2
; COMPUTE_PGM_RSRC2:TRAP_HANDLER: 0
; COMPUTE_PGM_RSRC2:TGID_X_EN: 1
; COMPUTE_PGM_RSRC2:TGID_Y_EN: 0
; COMPUTE_PGM_RSRC2:TGID_Z_EN: 0
; COMPUTE_PGM_RSRC2:TIDIG_COMP_CNT: 0
	.section	.text._ZN2at6native29vectorized_elementwise_kernelILi4EZZZNS0_12_GLOBAL__N_116addr_kernel_cudaERNS_14TensorIteratorERKN3c106ScalarES8_ENKUlvE_clEvENKUlvE8_clEvEUlNS5_8BFloat16ESB_SB_E0_St5arrayIPcLm4EEEEviT0_T1_,"axG",@progbits,_ZN2at6native29vectorized_elementwise_kernelILi4EZZZNS0_12_GLOBAL__N_116addr_kernel_cudaERNS_14TensorIteratorERKN3c106ScalarES8_ENKUlvE_clEvENKUlvE8_clEvEUlNS5_8BFloat16ESB_SB_E0_St5arrayIPcLm4EEEEviT0_T1_,comdat
	.globl	_ZN2at6native29vectorized_elementwise_kernelILi4EZZZNS0_12_GLOBAL__N_116addr_kernel_cudaERNS_14TensorIteratorERKN3c106ScalarES8_ENKUlvE_clEvENKUlvE8_clEvEUlNS5_8BFloat16ESB_SB_E0_St5arrayIPcLm4EEEEviT0_T1_ ; -- Begin function _ZN2at6native29vectorized_elementwise_kernelILi4EZZZNS0_12_GLOBAL__N_116addr_kernel_cudaERNS_14TensorIteratorERKN3c106ScalarES8_ENKUlvE_clEvENKUlvE8_clEvEUlNS5_8BFloat16ESB_SB_E0_St5arrayIPcLm4EEEEviT0_T1_
	.p2align	8
	.type	_ZN2at6native29vectorized_elementwise_kernelILi4EZZZNS0_12_GLOBAL__N_116addr_kernel_cudaERNS_14TensorIteratorERKN3c106ScalarES8_ENKUlvE_clEvENKUlvE8_clEvEUlNS5_8BFloat16ESB_SB_E0_St5arrayIPcLm4EEEEviT0_T1_,@function
_ZN2at6native29vectorized_elementwise_kernelILi4EZZZNS0_12_GLOBAL__N_116addr_kernel_cudaERNS_14TensorIteratorERKN3c106ScalarES8_ENKUlvE_clEvENKUlvE8_clEvEUlNS5_8BFloat16ESB_SB_E0_St5arrayIPcLm4EEEEviT0_T1_: ; @_ZN2at6native29vectorized_elementwise_kernelILi4EZZZNS0_12_GLOBAL__N_116addr_kernel_cudaERNS_14TensorIteratorERKN3c106ScalarES8_ENKUlvE_clEvENKUlvE8_clEvEUlNS5_8BFloat16ESB_SB_E0_St5arrayIPcLm4EEEEviT0_T1_
; %bb.0:
	s_clause 0x1
	s_load_b64 s[12:13], s[0:1], 0x0
	s_load_b256 s[4:11], s[0:1], 0x8
	s_wait_xcnt 0x0
	s_bfe_u32 s0, ttmp6, 0x4000c
	s_and_b32 s1, ttmp6, 15
	s_add_co_i32 s0, s0, 1
	s_getreg_b32 s2, hwreg(HW_REG_IB_STS2, 6, 4)
	s_mul_i32 s0, ttmp9, s0
	s_delay_alu instid0(SALU_CYCLE_1) | instskip(SKIP_2) | instid1(SALU_CYCLE_1)
	s_add_co_i32 s1, s1, s0
	s_cmp_eq_u32 s2, 0
	s_cselect_b32 s0, ttmp9, s1
	s_lshl_b32 s2, s0, 11
	s_mov_b32 s0, -1
	s_wait_kmcnt 0x0
	s_sub_co_i32 s14, s12, s2
	s_and_b32 s12, s13, 0xffff0000
	s_cmp_gt_i32 s14, 0x7ff
	s_cbranch_scc0 .LBB170_2
; %bb.1:
	s_ashr_i32 s3, s2, 31
	s_delay_alu instid0(SALU_CYCLE_1)
	s_lshl_b64 s[0:1], s[2:3], 1
	s_lshl_b32 s3, s13, 16
	s_add_nc_u64 s[16:17], s[8:9], s[0:1]
	s_add_nc_u64 s[18:19], s[6:7], s[0:1]
	s_clause 0x1
	global_load_b64 v[2:3], v0, s[16:17] scale_offset
	global_load_b64 v[4:5], v0, s[16:17] offset:2048 scale_offset
	s_wait_xcnt 0x0
	s_add_nc_u64 s[16:17], s[10:11], s[0:1]
	s_clause 0x3
	global_load_b64 v[6:7], v0, s[16:17] scale_offset
	global_load_b64 v[8:9], v0, s[18:19] scale_offset
	global_load_b64 v[10:11], v0, s[16:17] offset:2048 scale_offset
	global_load_b64 v[12:13], v0, s[18:19] offset:2048 scale_offset
	v_mov_b32_e32 v14, s3
	s_wait_xcnt 0x1
	s_add_nc_u64 s[16:17], s[4:5], s[0:1]
	s_mov_b32 s0, 0
	s_wait_loadcnt 0x5
	v_and_b32_e32 v16, 0xffff0000, v2
	v_lshlrev_b32_e32 v17, 16, v2
	v_and_b32_e32 v18, 0xffff0000, v3
	s_wait_loadcnt 0x2
	v_dual_lshlrev_b32 v19, 16, v3 :: v_dual_lshlrev_b32 v2, 16, v9
	v_and_b32_e32 v20, 0xffff0000, v4
	v_pk_mul_f32 v[16:17], s[12:13], v[16:17] op_sel_hi:[0,1]
	v_and_b32_e32 v22, 0xffff0000, v5
	v_dual_lshlrev_b32 v25, 16, v6 :: v_dual_lshlrev_b32 v24, 16, v8
	v_and_b32_e32 v27, 0xffff0000, v6
	s_delay_alu instid0(VALU_DEP_4)
	v_bfe_u32 v1, v17, 16, 1
	v_bfe_u32 v15, v16, 16, 1
	v_cmp_o_f32_e32 vcc_lo, v17, v17
	v_and_b32_e32 v26, 0xffff0000, v8
	v_dual_lshlrev_b32 v3, 16, v7 :: v_dual_lshlrev_b32 v21, 16, v4
	v_add3_u32 v1, v17, v1, 0x7fff
	v_add3_u32 v15, v16, v15, 0x7fff
	v_and_b32_e32 v6, 0xffff0000, v9
	s_wait_loadcnt 0x0
	v_dual_lshlrev_b32 v9, 16, v10 :: v_dual_lshlrev_b32 v8, 16, v12
	v_and_b32_e32 v1, 0xffff0000, v1
	v_and_b32_e32 v29, 0xffff0000, v10
	v_and_b32_e32 v28, 0xffff0000, v12
	v_dual_lshlrev_b32 v23, 16, v5 :: v_dual_lshlrev_b32 v5, 16, v11
	v_and_b32_e32 v10, 0xffff0000, v13
	v_and_b32_e32 v34, 0xffff0000, v15
	v_cndmask_b32_e32 v15, 0x7fc00000, v1, vcc_lo
	v_cmp_o_f32_e32 vcc_lo, v16, v16
	v_lshlrev_b32_e32 v4, 16, v13
	v_pk_mul_f32 v[12:13], s[12:13], v[18:19] op_sel_hi:[0,1]
	v_pk_mul_f32 v[18:19], s[12:13], v[20:21] op_sel_hi:[0,1]
	;; [unrolled: 1-line block ×3, first 2 shown]
	v_and_b32_e32 v7, 0xffff0000, v7
	v_and_b32_e32 v11, 0xffff0000, v11
	v_bfe_u32 v22, v13, 16, 1
	v_bfe_u32 v23, v12, 16, 1
	;; [unrolled: 1-line block ×5, first 2 shown]
	v_add3_u32 v22, v13, v22, 0x7fff
	v_add3_u32 v23, v12, v23, 0x7fff
	;; [unrolled: 1-line block ×3, first 2 shown]
	v_bfe_u32 v31, v18, 16, 1
	v_add3_u32 v30, v19, v30, 0x7fff
	v_and_b32_e32 v1, 0xffff0000, v22
	v_and_b32_e32 v35, 0xffff0000, v23
	v_pk_mul_f32 v[22:23], v[14:15], v[24:25]
	v_cndmask_b32_e32 v15, 0x7fc00000, v34, vcc_lo
	v_cmp_o_f32_e32 vcc_lo, v13, v13
	v_add3_u32 v33, v20, v33, 0x7fff
	v_and_b32_e32 v24, 0xffff0000, v32
	v_lshrrev_b32_e32 v32, 16, v23
	v_pk_mul_f32 v[16:17], v[14:15], v[26:27]
	v_cndmask_b32_e32 v15, 0x7fc00000, v1, vcc_lo
	v_cmp_o_f32_e32 vcc_lo, v12, v12
	v_add3_u32 v31, v18, v31, 0x7fff
	v_and_b32_e32 v30, 0xffff0000, v30
	v_and_b32_e32 v25, 0xffff0000, v33
	v_dual_lshrrev_b32 v33, 16, v22 :: v_dual_bitop2_b32 v1, 1, v32 bitop3:0x40
	v_lshrrev_b32_e32 v26, 16, v17
	v_pk_mul_f32 v[2:3], v[14:15], v[2:3]
	v_cndmask_b32_e32 v15, 0x7fc00000, v35, vcc_lo
	v_cmp_o_f32_e32 vcc_lo, v19, v19
	v_and_b32_e32 v31, 0xffff0000, v31
	v_dual_lshrrev_b32 v27, 16, v16 :: v_dual_bitop2_b32 v13, 1, v33 bitop3:0x40
	v_add3_u32 v1, v23, v1, 0x7fff
	v_pk_mul_f32 v[6:7], v[14:15], v[6:7]
	v_cndmask_b32_e32 v15, 0x7fc00000, v30, vcc_lo
	v_cmp_o_f32_e32 vcc_lo, v18, v18
	v_add3_u32 v12, v22, v13, 0x7fff
	v_and_b32_e32 v1, 0xffff0000, v1
	v_lshrrev_b32_e32 v30, 16, v7
	v_pk_mul_f32 v[8:9], v[14:15], v[8:9]
	v_cndmask_b32_e32 v15, 0x7fc00000, v31, vcc_lo
	v_cmp_o_f32_e32 vcc_lo, v23, v23
	v_and_b32_e32 v13, 1, v26
	v_and_b32_e32 v26, 1, v27
	v_dual_lshrrev_b32 v27, 16, v3 :: v_dual_lshrrev_b32 v32, 16, v2
	v_and_b32_e32 v12, 0xffff0000, v12
	v_cndmask_b32_e32 v1, 0x7fc00000, v1, vcc_lo
	v_cmp_o_f32_e32 vcc_lo, v22, v22
	v_add3_u32 v13, v17, v13, 0x7fff
	v_add3_u32 v19, v16, v26, 0x7fff
	v_dual_lshrrev_b32 v31, 16, v9 :: v_dual_bitop2_b32 v26, 1, v27 bitop3:0x40
	v_cndmask_b32_e32 v18, 0x7fc00000, v12, vcc_lo
	v_dual_lshrrev_b32 v32, 16, v6 :: v_dual_bitop2_b32 v27, 1, v32 bitop3:0x40
	v_cmp_o_f32_e32 vcc_lo, v21, v21
	v_and_b32_e32 v22, 0xffff0000, v13
	v_add3_u32 v23, v3, v26, 0x7fff
	v_add_f32_e32 v1, v18, v1
	v_add3_u32 v26, v2, v27, 0x7fff
	v_and_b32_e32 v27, 1, v30
	v_and_b32_e32 v30, 1, v32
	v_lshrrev_b32_e32 v32, 16, v8
	v_pk_mul_f32 v[12:13], v[14:15], v[28:29]
	v_cndmask_b32_e32 v15, 0x7fc00000, v24, vcc_lo
	v_cmp_o_f32_e32 vcc_lo, v17, v17
	v_and_b32_e32 v19, 0xffff0000, v19
	v_and_b32_e32 v18, 0xffff0000, v23
	s_delay_alu instid0(VALU_DEP_4)
	v_pk_mul_f32 v[4:5], v[14:15], v[4:5]
	v_cndmask_b32_e32 v17, 0x7fc00000, v22, vcc_lo
	v_cmp_o_f32_e32 vcc_lo, v16, v16
	v_cndmask_b32_e32 v16, 0x7fc00000, v19, vcc_lo
	v_cmp_o_f32_e32 vcc_lo, v20, v20
	v_and_b32_e32 v19, 0xffff0000, v26
	v_lshrrev_b32_e32 v26, 16, v13
	v_add3_u32 v21, v7, v27, 0x7fff
	v_lshrrev_b32_e32 v27, 16, v12
	v_cndmask_b32_e32 v15, 0x7fc00000, v25, vcc_lo
	v_cmp_o_f32_e32 vcc_lo, v3, v3
	v_bfe_u32 v20, v1, 16, 1
	s_delay_alu instid0(VALU_DEP_4)
	v_dual_lshrrev_b32 v27, 16, v4 :: v_dual_bitop2_b32 v25, 1, v27 bitop3:0x40
	v_dual_add_f32 v16, v16, v17 :: v_dual_cndmask_b32 v17, 0x7fc00000, v18
	v_cmp_o_f32_e32 vcc_lo, v2, v2
	v_add3_u32 v22, v6, v30, 0x7fff
	v_pk_mul_f32 v[2:3], v[14:15], v[10:11]
	v_and_b32_e32 v24, 1, v32
	v_add3_u32 v10, v1, v20, 0x7fff
	v_cndmask_b32_e32 v18, 0x7fc00000, v19, vcc_lo
	v_and_b32_e32 v23, 1, v31
	v_and_b32_e32 v19, 0xffff0000, v21
	v_cmp_o_f32_e32 vcc_lo, v7, v7
	v_and_b32_e32 v21, 0xffff0000, v22
	v_add_f32_e32 v14, v18, v17
	v_add3_u32 v22, v9, v23, 0x7fff
	v_add3_u32 v23, v8, v24, 0x7fff
	v_cndmask_b32_e32 v7, 0x7fc00000, v19, vcc_lo
	v_cmp_o_f32_e32 vcc_lo, v6, v6
	v_lshrrev_b32_e32 v10, 16, v10
	v_and_b32_e32 v15, 0xffff0000, v22
	v_and_b32_e32 v17, 0xffff0000, v23
	v_bfe_u32 v11, v16, 16, 1
	v_cndmask_b32_e32 v6, 0x7fc00000, v21, vcc_lo
	v_cmp_o_f32_e32 vcc_lo, v9, v9
	v_add3_u32 v19, v12, v25, 0x7fff
	v_and_b32_e32 v21, 1, v27
	v_add3_u32 v11, v16, v11, 0x7fff
	v_add_f32_e32 v6, v6, v7
	v_cndmask_b32_e32 v7, 0x7fc00000, v15, vcc_lo
	v_cmp_o_f32_e32 vcc_lo, v8, v8
	v_and_b32_e32 v15, 0xffff0000, v19
	v_dual_lshrrev_b32 v22, 16, v3 :: v_dual_lshrrev_b32 v23, 16, v2
	v_cndmask_b32_e32 v8, 0x7fc00000, v17, vcc_lo
	v_and_b32_e32 v24, 1, v26
	v_cmp_o_f32_e32 vcc_lo, v1, v1
	s_delay_alu instid0(VALU_DEP_4) | instskip(NEXT) | instid1(VALU_DEP_4)
	v_dual_lshrrev_b32 v26, 16, v5 :: v_dual_bitop2_b32 v19, 1, v22 bitop3:0x40
	v_add_f32_e32 v7, v8, v7
	s_delay_alu instid0(VALU_DEP_4)
	v_add3_u32 v18, v13, v24, 0x7fff
	v_cndmask_b32_e32 v1, 0x7fc0, v10, vcc_lo
	v_cmp_o_f32_e32 vcc_lo, v13, v13
	v_and_b32_e32 v20, 1, v26
	v_and_b32_e32 v10, 0xffff0000, v11
	;; [unrolled: 1-line block ×3, first 2 shown]
	v_add3_u32 v18, v4, v21, 0x7fff
	v_bfe_u32 v24, v14, 16, 1
	v_add3_u32 v17, v5, v20, 0x7fff
	v_and_b32_e32 v20, 1, v23
	v_cndmask_b32_e32 v8, 0x7fc00000, v9, vcc_lo
	v_cmp_o_f32_e32 vcc_lo, v12, v12
	v_and_b32_e32 v13, 0xffff0000, v18
	v_and_b32_e32 v12, 0xffff0000, v17
	v_add3_u32 v17, v2, v20, 0x7fff
	v_add3_u32 v11, v14, v24, 0x7fff
	v_cndmask_b32_e32 v9, 0x7fc00000, v15, vcc_lo
	v_cmp_o_f32_e32 vcc_lo, v16, v16
	v_add3_u32 v15, v3, v19, 0x7fff
	v_bfe_u32 v21, v6, 16, 1
	s_delay_alu instid0(VALU_DEP_4)
	v_dual_add_f32 v8, v9, v8 :: v_dual_lshrrev_b32 v11, 16, v11
	v_cndmask_b32_e32 v10, 0x7fc00000, v10, vcc_lo
	v_cmp_o_f32_e32 vcc_lo, v5, v5
	v_and_b32_e32 v9, 0xffff0000, v15
	v_add3_u32 v16, v6, v21, 0x7fff
	v_bfe_u32 v18, v7, 16, 1
	v_or_b32_e32 v1, v1, v10
	v_cndmask_b32_e32 v5, 0x7fc00000, v12, vcc_lo
	v_cmp_o_f32_e32 vcc_lo, v4, v4
	v_and_b32_e32 v12, 0xffff0000, v17
	v_bfe_u32 v10, v8, 16, 1
	v_cndmask_b32_e32 v4, 0x7fc00000, v13, vcc_lo
	v_cmp_o_f32_e32 vcc_lo, v3, v3
	s_delay_alu instid0(VALU_DEP_3) | instskip(NEXT) | instid1(VALU_DEP_3)
	v_add3_u32 v10, v8, v10, 0x7fff
	v_add_f32_e32 v4, v4, v5
	v_cndmask_b32_e32 v3, 0x7fc00000, v9, vcc_lo
	v_cmp_o_f32_e32 vcc_lo, v2, v2
	v_add3_u32 v5, v7, v18, 0x7fff
	v_and_b32_e32 v10, 0xffff0000, v10
	v_cndmask_b32_e32 v2, 0x7fc00000, v12, vcc_lo
	v_cmp_o_f32_e32 vcc_lo, v14, v14
	s_delay_alu instid0(VALU_DEP_2)
	v_dual_add_f32 v2, v2, v3 :: v_dual_lshrrev_b32 v5, 16, v5
	v_cndmask_b32_e32 v9, 0x7fc0, v11, vcc_lo
	v_and_b32_e32 v3, 0xffff0000, v16
	v_cmp_o_f32_e32 vcc_lo, v6, v6
	v_bfe_u32 v11, v4, 16, 1
	v_bfe_u32 v12, v2, 16, 1
	s_delay_alu instid0(VALU_DEP_4) | instskip(SKIP_1) | instid1(VALU_DEP_4)
	v_cndmask_b32_e32 v3, 0x7fc00000, v3, vcc_lo
	v_cmp_o_f32_e32 vcc_lo, v7, v7
	v_add3_u32 v6, v4, v11, 0x7fff
	s_delay_alu instid0(VALU_DEP_4) | instskip(NEXT) | instid1(VALU_DEP_4)
	v_add3_u32 v11, v2, v12, 0x7fff
	v_or3_b32 v3, 0, v9, v3
	v_cndmask_b32_e32 v5, 0x7fc0, v5, vcc_lo
	v_cmp_o_f32_e32 vcc_lo, v8, v8
	v_lshrrev_b32_e32 v6, 16, v6
	v_and_b32_e32 v7, 0xffff0000, v11
	v_cndmask_b32_e32 v8, 0x7fc00000, v10, vcc_lo
	v_cmp_o_f32_e32 vcc_lo, v4, v4
	s_delay_alu instid0(VALU_DEP_4) | instskip(SKIP_4) | instid1(VALU_DEP_2)
	v_cndmask_b32_e32 v4, 0x7fc0, v6, vcc_lo
	v_cmp_o_f32_e32 vcc_lo, v2, v2
	v_or3_b32 v2, v1, 0, 0
	v_cndmask_b32_e32 v6, 0x7fc00000, v7, vcc_lo
	v_or_b32_e32 v7, v5, v8
	v_or3_b32 v5, 0, v4, v6
	s_delay_alu instid0(VALU_DEP_2)
	v_or3_b32 v4, v7, 0, 0
	s_clause 0x1
	global_store_b64 v0, v[2:3], s[16:17] scale_offset
	global_store_b64 v0, v[4:5], s[16:17] offset:2048 scale_offset
.LBB170_2:
	s_and_not1_b32 vcc_lo, exec_lo, s0
	s_cbranch_vccnz .LBB170_43
; %bb.3:
	v_cmp_gt_i32_e32 vcc_lo, s14, v0
	v_dual_mov_b32 v24, 0 :: v_dual_bitop2_b32 v1, s2, v0 bitop3:0x54
	v_or_b32_e32 v18, 0x100, v0
	v_dual_mov_b32 v27, 0 :: v_dual_mov_b32 v21, v0
	v_dual_mov_b32 v16, 0 :: v_dual_mov_b32 v17, 0
	s_wait_xcnt 0x0
	s_and_saveexec_b32 s0, vcc_lo
	s_cbranch_execz .LBB170_5
; %bb.4:
	s_clause 0x2
	global_load_u16 v2, v1, s[8:9] scale_offset
	global_load_u16 v3, v1, s[6:7] scale_offset
	;; [unrolled: 1-line block ×3, first 2 shown]
	v_or_b32_e32 v21, 0x100, v0
	s_wait_loadcnt 0x1
	v_dual_lshlrev_b32 v27, 16, v2 :: v_dual_lshlrev_b32 v16, 16, v3
	s_wait_loadcnt 0x0
	v_lshlrev_b32_e32 v17, 16, v4
.LBB170_5:
	s_wait_xcnt 0x0
	s_or_b32 exec_lo, exec_lo, s0
	v_dual_mov_b32 v14, 0 :: v_dual_mov_b32 v15, 0
	s_mov_b32 s1, exec_lo
	v_cmpx_gt_i32_e64 s14, v21
	s_cbranch_execz .LBB170_7
; %bb.6:
	v_add_nc_u32_e32 v2, s2, v21
	v_add_nc_u32_e32 v21, 0x100, v21
	s_clause 0x2
	global_load_u16 v3, v2, s[8:9] scale_offset
	global_load_u16 v4, v2, s[6:7] scale_offset
	global_load_u16 v5, v2, s[10:11] scale_offset
	s_wait_loadcnt 0x1
	v_dual_lshlrev_b32 v24, 16, v3 :: v_dual_lshlrev_b32 v14, 16, v4
	s_wait_loadcnt 0x0
	v_lshlrev_b32_e32 v15, 16, v5
.LBB170_7:
	s_wait_xcnt 0x0
	s_or_b32 exec_lo, exec_lo, s1
	v_dual_mov_b32 v22, 0 :: v_dual_mov_b32 v26, 0
	v_dual_mov_b32 v12, 0 :: v_dual_mov_b32 v13, 0
	s_mov_b32 s1, exec_lo
	v_cmpx_gt_i32_e64 s14, v21
	s_cbranch_execz .LBB170_9
; %bb.8:
	v_add_nc_u32_e32 v2, s2, v21
	v_add_nc_u32_e32 v21, 0x100, v21
	s_clause 0x2
	global_load_u16 v3, v2, s[8:9] scale_offset
	global_load_u16 v4, v2, s[6:7] scale_offset
	global_load_u16 v5, v2, s[10:11] scale_offset
	s_wait_loadcnt 0x1
	v_dual_lshlrev_b32 v26, 16, v3 :: v_dual_lshlrev_b32 v12, 16, v4
	s_wait_loadcnt 0x0
	v_lshlrev_b32_e32 v13, 16, v5
.LBB170_9:
	s_wait_xcnt 0x0
	s_or_b32 exec_lo, exec_lo, s1
	v_dual_mov_b32 v10, 0 :: v_dual_mov_b32 v11, 0
	s_mov_b32 s1, exec_lo
	v_cmpx_gt_i32_e64 s14, v21
	s_cbranch_execz .LBB170_11
; %bb.10:
	v_add_nc_u32_e32 v2, s2, v21
	v_add_nc_u32_e32 v21, 0x100, v21
	s_clause 0x2
	global_load_u16 v3, v2, s[8:9] scale_offset
	global_load_u16 v4, v2, s[6:7] scale_offset
	global_load_u16 v5, v2, s[10:11] scale_offset
	s_wait_loadcnt 0x1
	v_dual_lshlrev_b32 v22, 16, v3 :: v_dual_lshlrev_b32 v10, 16, v4
	s_wait_loadcnt 0x0
	v_lshlrev_b32_e32 v11, 16, v5
.LBB170_11:
	s_wait_xcnt 0x0
	s_or_b32 exec_lo, exec_lo, s1
	v_dual_mov_b32 v20, 0 :: v_dual_mov_b32 v25, 0
	v_dual_mov_b32 v8, 0 :: v_dual_mov_b32 v9, 0
	s_mov_b32 s1, exec_lo
	v_cmpx_gt_i32_e64 s14, v21
	s_cbranch_execz .LBB170_13
; %bb.12:
	v_add_nc_u32_e32 v2, s2, v21
	v_add_nc_u32_e32 v21, 0x100, v21
	s_clause 0x2
	global_load_u16 v3, v2, s[8:9] scale_offset
	global_load_u16 v4, v2, s[6:7] scale_offset
	global_load_u16 v5, v2, s[10:11] scale_offset
	s_wait_loadcnt 0x1
	v_dual_lshlrev_b32 v25, 16, v3 :: v_dual_lshlrev_b32 v8, 16, v4
	s_wait_loadcnt 0x0
	v_lshlrev_b32_e32 v9, 16, v5
.LBB170_13:
	;; [unrolled: 37-line block ×3, first 2 shown]
	s_wait_xcnt 0x0
	s_or_b32 exec_lo, exec_lo, s1
	v_dual_mov_b32 v2, 0 :: v_dual_mov_b32 v3, 0
	s_mov_b32 s1, exec_lo
	v_cmpx_gt_i32_e64 s14, v21
	s_cbranch_execz .LBB170_19
; %bb.18:
	v_add_nc_u32_e32 v2, s2, v21
	s_clause 0x2
	global_load_u16 v3, v2, s[8:9] scale_offset
	global_load_u16 v21, v2, s[6:7] scale_offset
	;; [unrolled: 1-line block ×3, first 2 shown]
	s_wait_loadcnt 0x1
	s_wait_xcnt 0x0
	v_dual_lshlrev_b32 v19, 16, v3 :: v_dual_lshlrev_b32 v2, 16, v21
	s_wait_loadcnt 0x0
	v_lshlrev_b32_e32 v3, 16, v28
.LBB170_19:
	s_or_b32 exec_lo, exec_lo, s1
	s_lshl_b32 s1, s13, 16
                                        ; implicit-def: $vgpr21
	s_and_saveexec_b32 s3, vcc_lo
	s_cbranch_execz .LBB170_21
; %bb.20:
	v_dual_mul_f32 v21, s12, v27 :: v_dual_mov_b32 v28, s1
	s_delay_alu instid0(VALU_DEP_1) | instskip(SKIP_1) | instid1(VALU_DEP_2)
	v_bfe_u32 v27, v21, 16, 1
	v_cmp_o_f32_e64 s0, v21, v21
	v_add3_u32 v27, v21, v27, 0x7fff
	s_delay_alu instid0(VALU_DEP_1) | instskip(NEXT) | instid1(VALU_DEP_1)
	v_and_b32_e32 v27, 0xffff0000, v27
	v_cndmask_b32_e64 v29, 0x7fc00000, v27, s0
	s_delay_alu instid0(VALU_DEP_1) | instskip(NEXT) | instid1(VALU_DEP_1)
	v_pk_mul_f32 v[16:17], v[16:17], v[28:29]
	v_dual_lshrrev_b32 v21, 16, v17 :: v_dual_lshrrev_b32 v27, 16, v16
	v_cmp_o_f32_e64 s0, v17, v17
	s_delay_alu instid0(VALU_DEP_2) | instskip(NEXT) | instid1(VALU_DEP_1)
	v_and_b32_e32 v21, 1, v21
	v_add3_u32 v21, v17, v21, 0x7fff
	s_delay_alu instid0(VALU_DEP_1) | instskip(NEXT) | instid1(VALU_DEP_1)
	v_and_b32_e32 v21, 0xffff0000, v21
	v_cndmask_b32_e64 v17, 0x7fc00000, v21, s0
	v_and_b32_e32 v27, 1, v27
	v_cmp_o_f32_e64 s0, v16, v16
	s_delay_alu instid0(VALU_DEP_2) | instskip(NEXT) | instid1(VALU_DEP_1)
	v_add3_u32 v27, v16, v27, 0x7fff
	v_and_b32_e32 v27, 0xffff0000, v27
	s_delay_alu instid0(VALU_DEP_1) | instskip(NEXT) | instid1(VALU_DEP_1)
	v_cndmask_b32_e64 v16, 0x7fc00000, v27, s0
	v_add_f32_e32 v16, v16, v17
	s_delay_alu instid0(VALU_DEP_1) | instskip(SKIP_1) | instid1(VALU_DEP_2)
	v_bfe_u32 v17, v16, 16, 1
	v_cmp_o_f32_e64 s0, v16, v16
	v_add3_u32 v17, v16, v17, 0x7fff
	s_delay_alu instid0(VALU_DEP_1) | instskip(NEXT) | instid1(VALU_DEP_1)
	v_lshrrev_b32_e32 v17, 16, v17
	v_cndmask_b32_e64 v21, 0x7fc0, v17, s0
.LBB170_21:
	s_or_b32 exec_lo, exec_lo, s3
	s_delay_alu instid0(SALU_CYCLE_1)
	s_mov_b32 s3, exec_lo
                                        ; implicit-def: $vgpr16
	v_cmpx_gt_i32_e64 s14, v18
	s_cbranch_execz .LBB170_23
; %bb.22:
	v_mul_f32_e32 v17, s12, v24
	s_delay_alu instid0(VALU_DEP_1) | instskip(NEXT) | instid1(VALU_DEP_1)
	v_bfe_u32 v16, v17, 16, 1
	v_add3_u32 v16, v17, v16, 0x7fff
	s_delay_alu instid0(VALU_DEP_1) | instskip(SKIP_2) | instid1(VALU_DEP_1)
	v_and_b32_e32 v24, 0xffff0000, v16
	v_mov_b32_e32 v16, s1
	v_cmp_o_f32_e64 s0, v17, v17
	v_cndmask_b32_e64 v17, 0x7fc00000, v24, s0
	s_delay_alu instid0(VALU_DEP_1) | instskip(NEXT) | instid1(VALU_DEP_1)
	v_pk_mul_f32 v[14:15], v[14:15], v[16:17]
	v_dual_lshrrev_b32 v16, 16, v15 :: v_dual_lshrrev_b32 v17, 16, v14
	v_cmp_o_f32_e64 s0, v15, v15
	s_delay_alu instid0(VALU_DEP_2) | instskip(NEXT) | instid1(VALU_DEP_3)
	v_and_b32_e32 v16, 1, v16
	v_and_b32_e32 v17, 1, v17
	s_delay_alu instid0(VALU_DEP_2) | instskip(NEXT) | instid1(VALU_DEP_2)
	v_add3_u32 v16, v15, v16, 0x7fff
	v_add3_u32 v17, v14, v17, 0x7fff
	s_delay_alu instid0(VALU_DEP_2) | instskip(NEXT) | instid1(VALU_DEP_2)
	v_and_b32_e32 v16, 0xffff0000, v16
	v_and_b32_e32 v17, 0xffff0000, v17
	s_delay_alu instid0(VALU_DEP_2) | instskip(SKIP_1) | instid1(VALU_DEP_1)
	v_cndmask_b32_e64 v15, 0x7fc00000, v16, s0
	v_cmp_o_f32_e64 s0, v14, v14
	v_cndmask_b32_e64 v14, 0x7fc00000, v17, s0
	s_delay_alu instid0(VALU_DEP_1) | instskip(NEXT) | instid1(VALU_DEP_1)
	v_add_f32_e32 v14, v14, v15
	v_bfe_u32 v15, v14, 16, 1
	v_cmp_o_f32_e64 s0, v14, v14
	s_delay_alu instid0(VALU_DEP_2) | instskip(NEXT) | instid1(VALU_DEP_1)
	v_add3_u32 v15, v14, v15, 0x7fff
	v_lshrrev_b32_e32 v15, 16, v15
	s_delay_alu instid0(VALU_DEP_1)
	v_cndmask_b32_e64 v16, 0x7fc0, v15, s0
.LBB170_23:
	s_or_b32 exec_lo, exec_lo, s3
	v_or_b32_e32 v14, 0x200, v0
	s_delay_alu instid0(VALU_DEP_1)
	v_cmp_gt_i32_e64 s0, s14, v14
                                        ; implicit-def: $vgpr14
	s_and_saveexec_b32 s3, s0
	s_cbranch_execz .LBB170_25
; %bb.24:
	v_mul_f32_e32 v15, s12, v26
	s_delay_alu instid0(VALU_DEP_1) | instskip(NEXT) | instid1(VALU_DEP_1)
	v_bfe_u32 v14, v15, 16, 1
	v_add3_u32 v14, v15, v14, 0x7fff
	s_delay_alu instid0(VALU_DEP_1) | instskip(SKIP_2) | instid1(VALU_DEP_1)
	v_and_b32_e32 v17, 0xffff0000, v14
	v_mov_b32_e32 v14, s1
	v_cmp_o_f32_e64 s0, v15, v15
	v_cndmask_b32_e64 v15, 0x7fc00000, v17, s0
	s_delay_alu instid0(VALU_DEP_1) | instskip(NEXT) | instid1(VALU_DEP_1)
	v_pk_mul_f32 v[12:13], v[12:13], v[14:15]
	v_dual_lshrrev_b32 v14, 16, v13 :: v_dual_lshrrev_b32 v15, 16, v12
	v_cmp_o_f32_e64 s0, v13, v13
	s_delay_alu instid0(VALU_DEP_2) | instskip(NEXT) | instid1(VALU_DEP_3)
	v_and_b32_e32 v14, 1, v14
	v_and_b32_e32 v15, 1, v15
	s_delay_alu instid0(VALU_DEP_2) | instskip(NEXT) | instid1(VALU_DEP_2)
	v_add3_u32 v14, v13, v14, 0x7fff
	v_add3_u32 v15, v12, v15, 0x7fff
	s_delay_alu instid0(VALU_DEP_2) | instskip(NEXT) | instid1(VALU_DEP_2)
	v_and_b32_e32 v14, 0xffff0000, v14
	v_and_b32_e32 v15, 0xffff0000, v15
	s_delay_alu instid0(VALU_DEP_2) | instskip(SKIP_1) | instid1(VALU_DEP_1)
	v_cndmask_b32_e64 v13, 0x7fc00000, v14, s0
	v_cmp_o_f32_e64 s0, v12, v12
	v_cndmask_b32_e64 v12, 0x7fc00000, v15, s0
	s_delay_alu instid0(VALU_DEP_1) | instskip(NEXT) | instid1(VALU_DEP_1)
	v_add_f32_e32 v12, v12, v13
	v_bfe_u32 v13, v12, 16, 1
	v_cmp_o_f32_e64 s0, v12, v12
	s_delay_alu instid0(VALU_DEP_2) | instskip(NEXT) | instid1(VALU_DEP_1)
	v_add3_u32 v13, v12, v13, 0x7fff
	v_lshrrev_b32_e32 v13, 16, v13
	s_delay_alu instid0(VALU_DEP_1)
	v_cndmask_b32_e64 v14, 0x7fc0, v13, s0
.LBB170_25:
	s_or_b32 exec_lo, exec_lo, s3
	v_or_b32_e32 v12, 0x300, v0
	s_delay_alu instid0(VALU_DEP_1)
	v_cmp_gt_i32_e64 s0, s14, v12
                                        ; implicit-def: $vgpr12
	s_and_saveexec_b32 s3, s0
	s_cbranch_execz .LBB170_27
; %bb.26:
	v_mul_f32_e32 v13, s12, v22
	s_delay_alu instid0(VALU_DEP_1) | instskip(NEXT) | instid1(VALU_DEP_1)
	v_bfe_u32 v12, v13, 16, 1
	v_add3_u32 v12, v13, v12, 0x7fff
	s_delay_alu instid0(VALU_DEP_1) | instskip(SKIP_2) | instid1(VALU_DEP_1)
	v_and_b32_e32 v15, 0xffff0000, v12
	v_mov_b32_e32 v12, s1
	v_cmp_o_f32_e64 s0, v13, v13
	v_cndmask_b32_e64 v13, 0x7fc00000, v15, s0
	s_delay_alu instid0(VALU_DEP_1) | instskip(NEXT) | instid1(VALU_DEP_1)
	v_pk_mul_f32 v[10:11], v[10:11], v[12:13]
	v_dual_lshrrev_b32 v12, 16, v11 :: v_dual_lshrrev_b32 v13, 16, v10
	v_cmp_o_f32_e64 s0, v11, v11
	s_delay_alu instid0(VALU_DEP_2) | instskip(NEXT) | instid1(VALU_DEP_3)
	v_and_b32_e32 v12, 1, v12
	v_and_b32_e32 v13, 1, v13
	s_delay_alu instid0(VALU_DEP_2) | instskip(NEXT) | instid1(VALU_DEP_2)
	v_add3_u32 v12, v11, v12, 0x7fff
	v_add3_u32 v13, v10, v13, 0x7fff
	s_delay_alu instid0(VALU_DEP_2) | instskip(NEXT) | instid1(VALU_DEP_2)
	v_and_b32_e32 v12, 0xffff0000, v12
	v_and_b32_e32 v13, 0xffff0000, v13
	s_delay_alu instid0(VALU_DEP_2) | instskip(SKIP_1) | instid1(VALU_DEP_1)
	v_cndmask_b32_e64 v11, 0x7fc00000, v12, s0
	v_cmp_o_f32_e64 s0, v10, v10
	v_cndmask_b32_e64 v10, 0x7fc00000, v13, s0
	s_delay_alu instid0(VALU_DEP_1) | instskip(NEXT) | instid1(VALU_DEP_1)
	v_add_f32_e32 v10, v10, v11
	v_bfe_u32 v11, v10, 16, 1
	v_cmp_o_f32_e64 s0, v10, v10
	s_delay_alu instid0(VALU_DEP_2) | instskip(NEXT) | instid1(VALU_DEP_1)
	v_add3_u32 v11, v10, v11, 0x7fff
	v_lshrrev_b32_e32 v11, 16, v11
	s_delay_alu instid0(VALU_DEP_1)
	v_cndmask_b32_e64 v12, 0x7fc0, v11, s0
.LBB170_27:
	s_or_b32 exec_lo, exec_lo, s3
	v_or_b32_e32 v10, 0x400, v0
	s_delay_alu instid0(VALU_DEP_1)
	v_cmp_gt_i32_e64 s0, s14, v10
                                        ; implicit-def: $vgpr10
	s_and_saveexec_b32 s3, s0
	s_cbranch_execz .LBB170_29
; %bb.28:
	v_mul_f32_e32 v11, s12, v25
	s_delay_alu instid0(VALU_DEP_1) | instskip(NEXT) | instid1(VALU_DEP_1)
	v_bfe_u32 v10, v11, 16, 1
	v_add3_u32 v10, v11, v10, 0x7fff
	s_delay_alu instid0(VALU_DEP_1) | instskip(SKIP_2) | instid1(VALU_DEP_1)
	v_and_b32_e32 v13, 0xffff0000, v10
	v_mov_b32_e32 v10, s1
	v_cmp_o_f32_e64 s0, v11, v11
	v_cndmask_b32_e64 v11, 0x7fc00000, v13, s0
	s_delay_alu instid0(VALU_DEP_1) | instskip(NEXT) | instid1(VALU_DEP_1)
	v_pk_mul_f32 v[8:9], v[8:9], v[10:11]
	v_dual_lshrrev_b32 v10, 16, v9 :: v_dual_lshrrev_b32 v11, 16, v8
	v_cmp_o_f32_e64 s0, v9, v9
	s_delay_alu instid0(VALU_DEP_2) | instskip(NEXT) | instid1(VALU_DEP_3)
	v_and_b32_e32 v10, 1, v10
	v_and_b32_e32 v11, 1, v11
	s_delay_alu instid0(VALU_DEP_2) | instskip(NEXT) | instid1(VALU_DEP_2)
	v_add3_u32 v10, v9, v10, 0x7fff
	v_add3_u32 v11, v8, v11, 0x7fff
	s_delay_alu instid0(VALU_DEP_2) | instskip(NEXT) | instid1(VALU_DEP_2)
	v_and_b32_e32 v10, 0xffff0000, v10
	v_and_b32_e32 v11, 0xffff0000, v11
	s_delay_alu instid0(VALU_DEP_2) | instskip(SKIP_1) | instid1(VALU_DEP_1)
	v_cndmask_b32_e64 v9, 0x7fc00000, v10, s0
	v_cmp_o_f32_e64 s0, v8, v8
	v_cndmask_b32_e64 v8, 0x7fc00000, v11, s0
	s_delay_alu instid0(VALU_DEP_1) | instskip(NEXT) | instid1(VALU_DEP_1)
	v_add_f32_e32 v8, v8, v9
	v_bfe_u32 v9, v8, 16, 1
	v_cmp_o_f32_e64 s0, v8, v8
	s_delay_alu instid0(VALU_DEP_2) | instskip(NEXT) | instid1(VALU_DEP_1)
	v_add3_u32 v9, v8, v9, 0x7fff
	v_lshrrev_b32_e32 v9, 16, v9
	s_delay_alu instid0(VALU_DEP_1)
	v_cndmask_b32_e64 v10, 0x7fc0, v9, s0
.LBB170_29:
	s_or_b32 exec_lo, exec_lo, s3
	v_or_b32_e32 v8, 0x500, v0
	s_delay_alu instid0(VALU_DEP_1)
	v_cmp_gt_i32_e64 s0, s14, v8
                                        ; implicit-def: $vgpr8
	s_and_saveexec_b32 s3, s0
	s_cbranch_execz .LBB170_31
; %bb.30:
	v_mul_f32_e32 v9, s12, v20
	s_delay_alu instid0(VALU_DEP_1) | instskip(NEXT) | instid1(VALU_DEP_1)
	v_bfe_u32 v8, v9, 16, 1
	v_add3_u32 v8, v9, v8, 0x7fff
	s_delay_alu instid0(VALU_DEP_1) | instskip(SKIP_2) | instid1(VALU_DEP_1)
	v_and_b32_e32 v11, 0xffff0000, v8
	v_mov_b32_e32 v8, s1
	v_cmp_o_f32_e64 s0, v9, v9
	v_cndmask_b32_e64 v9, 0x7fc00000, v11, s0
	s_delay_alu instid0(VALU_DEP_1) | instskip(NEXT) | instid1(VALU_DEP_1)
	v_pk_mul_f32 v[6:7], v[6:7], v[8:9]
	v_dual_lshrrev_b32 v8, 16, v7 :: v_dual_lshrrev_b32 v9, 16, v6
	v_cmp_o_f32_e64 s0, v7, v7
	s_delay_alu instid0(VALU_DEP_2) | instskip(NEXT) | instid1(VALU_DEP_3)
	v_and_b32_e32 v8, 1, v8
	v_and_b32_e32 v9, 1, v9
	s_delay_alu instid0(VALU_DEP_2) | instskip(NEXT) | instid1(VALU_DEP_2)
	v_add3_u32 v8, v7, v8, 0x7fff
	v_add3_u32 v9, v6, v9, 0x7fff
	s_delay_alu instid0(VALU_DEP_2) | instskip(NEXT) | instid1(VALU_DEP_2)
	v_and_b32_e32 v8, 0xffff0000, v8
	v_and_b32_e32 v9, 0xffff0000, v9
	s_delay_alu instid0(VALU_DEP_2) | instskip(SKIP_1) | instid1(VALU_DEP_1)
	v_cndmask_b32_e64 v7, 0x7fc00000, v8, s0
	v_cmp_o_f32_e64 s0, v6, v6
	v_cndmask_b32_e64 v6, 0x7fc00000, v9, s0
	s_delay_alu instid0(VALU_DEP_1) | instskip(NEXT) | instid1(VALU_DEP_1)
	v_add_f32_e32 v6, v6, v7
	v_bfe_u32 v7, v6, 16, 1
	v_cmp_o_f32_e64 s0, v6, v6
	s_delay_alu instid0(VALU_DEP_2) | instskip(NEXT) | instid1(VALU_DEP_1)
	v_add3_u32 v7, v6, v7, 0x7fff
	v_lshrrev_b32_e32 v7, 16, v7
	s_delay_alu instid0(VALU_DEP_1)
	v_cndmask_b32_e64 v8, 0x7fc0, v7, s0
.LBB170_31:
	s_or_b32 exec_lo, exec_lo, s3
	v_or_b32_e32 v6, 0x600, v0
	s_delay_alu instid0(VALU_DEP_1)
	v_cmp_gt_i32_e64 s0, s14, v6
                                        ; implicit-def: $vgpr6
	s_and_saveexec_b32 s3, s0
	s_cbranch_execz .LBB170_33
; %bb.32:
	v_mul_f32_e32 v7, s12, v23
	s_delay_alu instid0(VALU_DEP_1) | instskip(NEXT) | instid1(VALU_DEP_1)
	v_bfe_u32 v6, v7, 16, 1
	v_add3_u32 v6, v7, v6, 0x7fff
	s_delay_alu instid0(VALU_DEP_1) | instskip(SKIP_2) | instid1(VALU_DEP_1)
	v_and_b32_e32 v9, 0xffff0000, v6
	v_mov_b32_e32 v6, s1
	v_cmp_o_f32_e64 s0, v7, v7
	v_cndmask_b32_e64 v7, 0x7fc00000, v9, s0
	s_delay_alu instid0(VALU_DEP_1) | instskip(NEXT) | instid1(VALU_DEP_1)
	v_pk_mul_f32 v[4:5], v[4:5], v[6:7]
	v_dual_lshrrev_b32 v6, 16, v5 :: v_dual_lshrrev_b32 v7, 16, v4
	v_cmp_o_f32_e64 s0, v5, v5
	s_delay_alu instid0(VALU_DEP_2) | instskip(NEXT) | instid1(VALU_DEP_3)
	v_and_b32_e32 v6, 1, v6
	v_and_b32_e32 v7, 1, v7
	s_delay_alu instid0(VALU_DEP_2) | instskip(NEXT) | instid1(VALU_DEP_2)
	v_add3_u32 v6, v5, v6, 0x7fff
	v_add3_u32 v7, v4, v7, 0x7fff
	s_delay_alu instid0(VALU_DEP_2) | instskip(NEXT) | instid1(VALU_DEP_2)
	v_and_b32_e32 v6, 0xffff0000, v6
	v_and_b32_e32 v7, 0xffff0000, v7
	s_delay_alu instid0(VALU_DEP_2) | instskip(SKIP_1) | instid1(VALU_DEP_1)
	v_cndmask_b32_e64 v5, 0x7fc00000, v6, s0
	v_cmp_o_f32_e64 s0, v4, v4
	v_cndmask_b32_e64 v4, 0x7fc00000, v7, s0
	s_delay_alu instid0(VALU_DEP_1) | instskip(NEXT) | instid1(VALU_DEP_1)
	v_add_f32_e32 v4, v4, v5
	v_bfe_u32 v5, v4, 16, 1
	v_cmp_o_f32_e64 s0, v4, v4
	s_delay_alu instid0(VALU_DEP_2) | instskip(NEXT) | instid1(VALU_DEP_1)
	v_add3_u32 v5, v4, v5, 0x7fff
	v_lshrrev_b32_e32 v5, 16, v5
	s_delay_alu instid0(VALU_DEP_1)
	v_cndmask_b32_e64 v6, 0x7fc0, v5, s0
.LBB170_33:
	s_or_b32 exec_lo, exec_lo, s3
	v_or_b32_e32 v4, 0x700, v0
	s_delay_alu instid0(VALU_DEP_1)
	v_cmp_gt_i32_e64 s0, s14, v4
                                        ; implicit-def: $vgpr4
	s_and_saveexec_b32 s3, s0
	s_cbranch_execz .LBB170_44
; %bb.34:
	v_mul_f32_e32 v5, s12, v19
	s_delay_alu instid0(VALU_DEP_1) | instskip(NEXT) | instid1(VALU_DEP_1)
	v_bfe_u32 v4, v5, 16, 1
	v_add3_u32 v4, v5, v4, 0x7fff
	s_delay_alu instid0(VALU_DEP_1) | instskip(SKIP_2) | instid1(VALU_DEP_1)
	v_and_b32_e32 v7, 0xffff0000, v4
	v_mov_b32_e32 v4, s1
	v_cmp_o_f32_e64 s0, v5, v5
	v_cndmask_b32_e64 v5, 0x7fc00000, v7, s0
	s_delay_alu instid0(VALU_DEP_1) | instskip(NEXT) | instid1(VALU_DEP_1)
	v_pk_mul_f32 v[2:3], v[2:3], v[4:5]
	v_dual_lshrrev_b32 v4, 16, v3 :: v_dual_lshrrev_b32 v5, 16, v2
	v_cmp_o_f32_e64 s0, v3, v3
	s_delay_alu instid0(VALU_DEP_2) | instskip(NEXT) | instid1(VALU_DEP_3)
	v_and_b32_e32 v4, 1, v4
	v_and_b32_e32 v5, 1, v5
	s_delay_alu instid0(VALU_DEP_2) | instskip(NEXT) | instid1(VALU_DEP_2)
	v_add3_u32 v4, v3, v4, 0x7fff
	v_add3_u32 v5, v2, v5, 0x7fff
	s_delay_alu instid0(VALU_DEP_2) | instskip(NEXT) | instid1(VALU_DEP_2)
	v_and_b32_e32 v4, 0xffff0000, v4
	v_and_b32_e32 v5, 0xffff0000, v5
	s_delay_alu instid0(VALU_DEP_2) | instskip(SKIP_1) | instid1(VALU_DEP_1)
	v_cndmask_b32_e64 v3, 0x7fc00000, v4, s0
	v_cmp_o_f32_e64 s0, v2, v2
	v_cndmask_b32_e64 v2, 0x7fc00000, v5, s0
	s_delay_alu instid0(VALU_DEP_1) | instskip(NEXT) | instid1(VALU_DEP_1)
	v_add_f32_e32 v2, v2, v3
	v_bfe_u32 v3, v2, 16, 1
	v_cmp_o_f32_e64 s0, v2, v2
	s_delay_alu instid0(VALU_DEP_2) | instskip(NEXT) | instid1(VALU_DEP_1)
	v_add3_u32 v3, v2, v3, 0x7fff
	v_lshrrev_b32_e32 v3, 16, v3
	s_delay_alu instid0(VALU_DEP_1) | instskip(SKIP_2) | instid1(SALU_CYCLE_1)
	v_cndmask_b32_e64 v4, 0x7fc0, v3, s0
	s_or_b32 exec_lo, exec_lo, s3
	s_and_saveexec_b32 s0, vcc_lo
	s_xor_b32 s0, exec_lo, s0
	s_cbranch_execnz .LBB170_45
.LBB170_35:
	s_or_b32 exec_lo, exec_lo, s0
	s_delay_alu instid0(SALU_CYCLE_1)
	s_mov_b32 s0, exec_lo
	v_cmpx_gt_i32_e64 s14, v0
	s_cbranch_execz .LBB170_46
.LBB170_36:
	v_add_nc_u32_e32 v1, s2, v0
	v_add_nc_u32_e32 v0, 0x100, v0
	global_store_b16 v1, v16, s[4:5] scale_offset
	s_wait_xcnt 0x0
	s_or_b32 exec_lo, exec_lo, s0
	s_delay_alu instid0(SALU_CYCLE_1)
	s_mov_b32 s0, exec_lo
	v_cmpx_gt_i32_e64 s14, v0
	s_cbranch_execnz .LBB170_47
.LBB170_37:
	s_or_b32 exec_lo, exec_lo, s0
	s_delay_alu instid0(SALU_CYCLE_1)
	s_mov_b32 s0, exec_lo
	v_cmpx_gt_i32_e64 s14, v0
	s_cbranch_execz .LBB170_48
.LBB170_38:
	v_add_nc_u32_e32 v1, s2, v0
	v_add_nc_u32_e32 v0, 0x100, v0
	global_store_b16 v1, v12, s[4:5] scale_offset
	s_wait_xcnt 0x0
	s_or_b32 exec_lo, exec_lo, s0
	s_delay_alu instid0(SALU_CYCLE_1)
	s_mov_b32 s0, exec_lo
	v_cmpx_gt_i32_e64 s14, v0
	s_cbranch_execnz .LBB170_49
.LBB170_39:
	s_or_b32 exec_lo, exec_lo, s0
	s_delay_alu instid0(SALU_CYCLE_1)
	s_mov_b32 s0, exec_lo
	v_cmpx_gt_i32_e64 s14, v0
	s_cbranch_execz .LBB170_50
.LBB170_40:
	v_add_nc_u32_e32 v1, s2, v0
	v_add_nc_u32_e32 v0, 0x100, v0
	global_store_b16 v1, v8, s[4:5] scale_offset
	s_wait_xcnt 0x0
	s_or_b32 exec_lo, exec_lo, s0
	s_delay_alu instid0(SALU_CYCLE_1)
	s_mov_b32 s0, exec_lo
	v_cmpx_gt_i32_e64 s14, v0
	s_cbranch_execnz .LBB170_51
.LBB170_41:
	s_or_b32 exec_lo, exec_lo, s0
	s_delay_alu instid0(SALU_CYCLE_1)
	s_mov_b32 s0, exec_lo
	v_cmpx_gt_i32_e64 s14, v0
	s_cbranch_execz .LBB170_43
.LBB170_42:
	v_add_nc_u32_e32 v0, s2, v0
	global_store_b16 v0, v4, s[4:5] scale_offset
.LBB170_43:
	s_endpgm
.LBB170_44:
	s_or_b32 exec_lo, exec_lo, s3
	s_and_saveexec_b32 s0, vcc_lo
	s_delay_alu instid0(SALU_CYCLE_1)
	s_xor_b32 s0, exec_lo, s0
	s_cbranch_execz .LBB170_35
.LBB170_45:
	v_mov_b32_e32 v0, v18
	global_store_b16 v1, v21, s[4:5] scale_offset
	s_wait_xcnt 0x0
	s_or_b32 exec_lo, exec_lo, s0
	s_delay_alu instid0(SALU_CYCLE_1)
	s_mov_b32 s0, exec_lo
	v_cmpx_gt_i32_e64 s14, v0
	s_cbranch_execnz .LBB170_36
.LBB170_46:
	s_or_b32 exec_lo, exec_lo, s0
	s_delay_alu instid0(SALU_CYCLE_1)
	s_mov_b32 s0, exec_lo
	v_cmpx_gt_i32_e64 s14, v0
	s_cbranch_execz .LBB170_37
.LBB170_47:
	v_add_nc_u32_e32 v1, s2, v0
	v_add_nc_u32_e32 v0, 0x100, v0
	global_store_b16 v1, v14, s[4:5] scale_offset
	s_wait_xcnt 0x0
	s_or_b32 exec_lo, exec_lo, s0
	s_delay_alu instid0(SALU_CYCLE_1)
	s_mov_b32 s0, exec_lo
	v_cmpx_gt_i32_e64 s14, v0
	s_cbranch_execnz .LBB170_38
.LBB170_48:
	s_or_b32 exec_lo, exec_lo, s0
	s_delay_alu instid0(SALU_CYCLE_1)
	s_mov_b32 s0, exec_lo
	v_cmpx_gt_i32_e64 s14, v0
	s_cbranch_execz .LBB170_39
.LBB170_49:
	v_add_nc_u32_e32 v1, s2, v0
	v_add_nc_u32_e32 v0, 0x100, v0
	global_store_b16 v1, v10, s[4:5] scale_offset
	s_wait_xcnt 0x0
	s_or_b32 exec_lo, exec_lo, s0
	s_delay_alu instid0(SALU_CYCLE_1)
	s_mov_b32 s0, exec_lo
	v_cmpx_gt_i32_e64 s14, v0
	s_cbranch_execnz .LBB170_40
.LBB170_50:
	s_or_b32 exec_lo, exec_lo, s0
	s_delay_alu instid0(SALU_CYCLE_1)
	s_mov_b32 s0, exec_lo
	v_cmpx_gt_i32_e64 s14, v0
	s_cbranch_execz .LBB170_41
.LBB170_51:
	v_add_nc_u32_e32 v1, s2, v0
	v_add_nc_u32_e32 v0, 0x100, v0
	global_store_b16 v1, v6, s[4:5] scale_offset
	s_wait_xcnt 0x0
	s_or_b32 exec_lo, exec_lo, s0
	s_delay_alu instid0(SALU_CYCLE_1)
	s_mov_b32 s0, exec_lo
	v_cmpx_gt_i32_e64 s14, v0
	s_cbranch_execnz .LBB170_42
	s_branch .LBB170_43
	.section	.rodata,"a",@progbits
	.p2align	6, 0x0
	.amdhsa_kernel _ZN2at6native29vectorized_elementwise_kernelILi4EZZZNS0_12_GLOBAL__N_116addr_kernel_cudaERNS_14TensorIteratorERKN3c106ScalarES8_ENKUlvE_clEvENKUlvE8_clEvEUlNS5_8BFloat16ESB_SB_E0_St5arrayIPcLm4EEEEviT0_T1_
		.amdhsa_group_segment_fixed_size 0
		.amdhsa_private_segment_fixed_size 0
		.amdhsa_kernarg_size 40
		.amdhsa_user_sgpr_count 2
		.amdhsa_user_sgpr_dispatch_ptr 0
		.amdhsa_user_sgpr_queue_ptr 0
		.amdhsa_user_sgpr_kernarg_segment_ptr 1
		.amdhsa_user_sgpr_dispatch_id 0
		.amdhsa_user_sgpr_kernarg_preload_length 0
		.amdhsa_user_sgpr_kernarg_preload_offset 0
		.amdhsa_user_sgpr_private_segment_size 0
		.amdhsa_wavefront_size32 1
		.amdhsa_uses_dynamic_stack 0
		.amdhsa_enable_private_segment 0
		.amdhsa_system_sgpr_workgroup_id_x 1
		.amdhsa_system_sgpr_workgroup_id_y 0
		.amdhsa_system_sgpr_workgroup_id_z 0
		.amdhsa_system_sgpr_workgroup_info 0
		.amdhsa_system_vgpr_workitem_id 0
		.amdhsa_next_free_vgpr 36
		.amdhsa_next_free_sgpr 20
		.amdhsa_named_barrier_count 0
		.amdhsa_reserve_vcc 1
		.amdhsa_float_round_mode_32 0
		.amdhsa_float_round_mode_16_64 0
		.amdhsa_float_denorm_mode_32 3
		.amdhsa_float_denorm_mode_16_64 3
		.amdhsa_fp16_overflow 0
		.amdhsa_memory_ordered 1
		.amdhsa_forward_progress 1
		.amdhsa_inst_pref_size 45
		.amdhsa_round_robin_scheduling 0
		.amdhsa_exception_fp_ieee_invalid_op 0
		.amdhsa_exception_fp_denorm_src 0
		.amdhsa_exception_fp_ieee_div_zero 0
		.amdhsa_exception_fp_ieee_overflow 0
		.amdhsa_exception_fp_ieee_underflow 0
		.amdhsa_exception_fp_ieee_inexact 0
		.amdhsa_exception_int_div_zero 0
	.end_amdhsa_kernel
	.section	.text._ZN2at6native29vectorized_elementwise_kernelILi4EZZZNS0_12_GLOBAL__N_116addr_kernel_cudaERNS_14TensorIteratorERKN3c106ScalarES8_ENKUlvE_clEvENKUlvE8_clEvEUlNS5_8BFloat16ESB_SB_E0_St5arrayIPcLm4EEEEviT0_T1_,"axG",@progbits,_ZN2at6native29vectorized_elementwise_kernelILi4EZZZNS0_12_GLOBAL__N_116addr_kernel_cudaERNS_14TensorIteratorERKN3c106ScalarES8_ENKUlvE_clEvENKUlvE8_clEvEUlNS5_8BFloat16ESB_SB_E0_St5arrayIPcLm4EEEEviT0_T1_,comdat
.Lfunc_end170:
	.size	_ZN2at6native29vectorized_elementwise_kernelILi4EZZZNS0_12_GLOBAL__N_116addr_kernel_cudaERNS_14TensorIteratorERKN3c106ScalarES8_ENKUlvE_clEvENKUlvE8_clEvEUlNS5_8BFloat16ESB_SB_E0_St5arrayIPcLm4EEEEviT0_T1_, .Lfunc_end170-_ZN2at6native29vectorized_elementwise_kernelILi4EZZZNS0_12_GLOBAL__N_116addr_kernel_cudaERNS_14TensorIteratorERKN3c106ScalarES8_ENKUlvE_clEvENKUlvE8_clEvEUlNS5_8BFloat16ESB_SB_E0_St5arrayIPcLm4EEEEviT0_T1_
                                        ; -- End function
	.set _ZN2at6native29vectorized_elementwise_kernelILi4EZZZNS0_12_GLOBAL__N_116addr_kernel_cudaERNS_14TensorIteratorERKN3c106ScalarES8_ENKUlvE_clEvENKUlvE8_clEvEUlNS5_8BFloat16ESB_SB_E0_St5arrayIPcLm4EEEEviT0_T1_.num_vgpr, 36
	.set _ZN2at6native29vectorized_elementwise_kernelILi4EZZZNS0_12_GLOBAL__N_116addr_kernel_cudaERNS_14TensorIteratorERKN3c106ScalarES8_ENKUlvE_clEvENKUlvE8_clEvEUlNS5_8BFloat16ESB_SB_E0_St5arrayIPcLm4EEEEviT0_T1_.num_agpr, 0
	.set _ZN2at6native29vectorized_elementwise_kernelILi4EZZZNS0_12_GLOBAL__N_116addr_kernel_cudaERNS_14TensorIteratorERKN3c106ScalarES8_ENKUlvE_clEvENKUlvE8_clEvEUlNS5_8BFloat16ESB_SB_E0_St5arrayIPcLm4EEEEviT0_T1_.numbered_sgpr, 20
	.set _ZN2at6native29vectorized_elementwise_kernelILi4EZZZNS0_12_GLOBAL__N_116addr_kernel_cudaERNS_14TensorIteratorERKN3c106ScalarES8_ENKUlvE_clEvENKUlvE8_clEvEUlNS5_8BFloat16ESB_SB_E0_St5arrayIPcLm4EEEEviT0_T1_.num_named_barrier, 0
	.set _ZN2at6native29vectorized_elementwise_kernelILi4EZZZNS0_12_GLOBAL__N_116addr_kernel_cudaERNS_14TensorIteratorERKN3c106ScalarES8_ENKUlvE_clEvENKUlvE8_clEvEUlNS5_8BFloat16ESB_SB_E0_St5arrayIPcLm4EEEEviT0_T1_.private_seg_size, 0
	.set _ZN2at6native29vectorized_elementwise_kernelILi4EZZZNS0_12_GLOBAL__N_116addr_kernel_cudaERNS_14TensorIteratorERKN3c106ScalarES8_ENKUlvE_clEvENKUlvE8_clEvEUlNS5_8BFloat16ESB_SB_E0_St5arrayIPcLm4EEEEviT0_T1_.uses_vcc, 1
	.set _ZN2at6native29vectorized_elementwise_kernelILi4EZZZNS0_12_GLOBAL__N_116addr_kernel_cudaERNS_14TensorIteratorERKN3c106ScalarES8_ENKUlvE_clEvENKUlvE8_clEvEUlNS5_8BFloat16ESB_SB_E0_St5arrayIPcLm4EEEEviT0_T1_.uses_flat_scratch, 0
	.set _ZN2at6native29vectorized_elementwise_kernelILi4EZZZNS0_12_GLOBAL__N_116addr_kernel_cudaERNS_14TensorIteratorERKN3c106ScalarES8_ENKUlvE_clEvENKUlvE8_clEvEUlNS5_8BFloat16ESB_SB_E0_St5arrayIPcLm4EEEEviT0_T1_.has_dyn_sized_stack, 0
	.set _ZN2at6native29vectorized_elementwise_kernelILi4EZZZNS0_12_GLOBAL__N_116addr_kernel_cudaERNS_14TensorIteratorERKN3c106ScalarES8_ENKUlvE_clEvENKUlvE8_clEvEUlNS5_8BFloat16ESB_SB_E0_St5arrayIPcLm4EEEEviT0_T1_.has_recursion, 0
	.set _ZN2at6native29vectorized_elementwise_kernelILi4EZZZNS0_12_GLOBAL__N_116addr_kernel_cudaERNS_14TensorIteratorERKN3c106ScalarES8_ENKUlvE_clEvENKUlvE8_clEvEUlNS5_8BFloat16ESB_SB_E0_St5arrayIPcLm4EEEEviT0_T1_.has_indirect_call, 0
	.section	.AMDGPU.csdata,"",@progbits
; Kernel info:
; codeLenInByte = 5692
; TotalNumSgprs: 22
; NumVgprs: 36
; ScratchSize: 0
; MemoryBound: 0
; FloatMode: 240
; IeeeMode: 1
; LDSByteSize: 0 bytes/workgroup (compile time only)
; SGPRBlocks: 0
; VGPRBlocks: 2
; NumSGPRsForWavesPerEU: 22
; NumVGPRsForWavesPerEU: 36
; NamedBarCnt: 0
; Occupancy: 16
; WaveLimiterHint : 1
; COMPUTE_PGM_RSRC2:SCRATCH_EN: 0
; COMPUTE_PGM_RSRC2:USER_SGPR: 2
; COMPUTE_PGM_RSRC2:TRAP_HANDLER: 0
; COMPUTE_PGM_RSRC2:TGID_X_EN: 1
; COMPUTE_PGM_RSRC2:TGID_Y_EN: 0
; COMPUTE_PGM_RSRC2:TGID_Z_EN: 0
; COMPUTE_PGM_RSRC2:TIDIG_COMP_CNT: 0
	.section	.text._ZN2at6native29vectorized_elementwise_kernelILi2EZZZNS0_12_GLOBAL__N_116addr_kernel_cudaERNS_14TensorIteratorERKN3c106ScalarES8_ENKUlvE_clEvENKUlvE8_clEvEUlNS5_8BFloat16ESB_SB_E0_St5arrayIPcLm4EEEEviT0_T1_,"axG",@progbits,_ZN2at6native29vectorized_elementwise_kernelILi2EZZZNS0_12_GLOBAL__N_116addr_kernel_cudaERNS_14TensorIteratorERKN3c106ScalarES8_ENKUlvE_clEvENKUlvE8_clEvEUlNS5_8BFloat16ESB_SB_E0_St5arrayIPcLm4EEEEviT0_T1_,comdat
	.globl	_ZN2at6native29vectorized_elementwise_kernelILi2EZZZNS0_12_GLOBAL__N_116addr_kernel_cudaERNS_14TensorIteratorERKN3c106ScalarES8_ENKUlvE_clEvENKUlvE8_clEvEUlNS5_8BFloat16ESB_SB_E0_St5arrayIPcLm4EEEEviT0_T1_ ; -- Begin function _ZN2at6native29vectorized_elementwise_kernelILi2EZZZNS0_12_GLOBAL__N_116addr_kernel_cudaERNS_14TensorIteratorERKN3c106ScalarES8_ENKUlvE_clEvENKUlvE8_clEvEUlNS5_8BFloat16ESB_SB_E0_St5arrayIPcLm4EEEEviT0_T1_
	.p2align	8
	.type	_ZN2at6native29vectorized_elementwise_kernelILi2EZZZNS0_12_GLOBAL__N_116addr_kernel_cudaERNS_14TensorIteratorERKN3c106ScalarES8_ENKUlvE_clEvENKUlvE8_clEvEUlNS5_8BFloat16ESB_SB_E0_St5arrayIPcLm4EEEEviT0_T1_,@function
_ZN2at6native29vectorized_elementwise_kernelILi2EZZZNS0_12_GLOBAL__N_116addr_kernel_cudaERNS_14TensorIteratorERKN3c106ScalarES8_ENKUlvE_clEvENKUlvE8_clEvEUlNS5_8BFloat16ESB_SB_E0_St5arrayIPcLm4EEEEviT0_T1_: ; @_ZN2at6native29vectorized_elementwise_kernelILi2EZZZNS0_12_GLOBAL__N_116addr_kernel_cudaERNS_14TensorIteratorERKN3c106ScalarES8_ENKUlvE_clEvENKUlvE8_clEvEUlNS5_8BFloat16ESB_SB_E0_St5arrayIPcLm4EEEEviT0_T1_
; %bb.0:
	s_clause 0x1
	s_load_b64 s[12:13], s[0:1], 0x0
	s_load_b256 s[4:11], s[0:1], 0x8
	s_wait_xcnt 0x0
	s_bfe_u32 s0, ttmp6, 0x4000c
	s_and_b32 s1, ttmp6, 15
	s_add_co_i32 s0, s0, 1
	s_getreg_b32 s2, hwreg(HW_REG_IB_STS2, 6, 4)
	s_mul_i32 s0, ttmp9, s0
	s_delay_alu instid0(SALU_CYCLE_1) | instskip(SKIP_2) | instid1(SALU_CYCLE_1)
	s_add_co_i32 s1, s1, s0
	s_cmp_eq_u32 s2, 0
	s_cselect_b32 s0, ttmp9, s1
	s_lshl_b32 s2, s0, 11
	s_mov_b32 s0, -1
	s_wait_kmcnt 0x0
	s_sub_co_i32 s14, s12, s2
	s_and_b32 s12, s13, 0xffff0000
	s_cmp_gt_i32 s14, 0x7ff
	s_cbranch_scc0 .LBB171_2
; %bb.1:
	s_ashr_i32 s3, s2, 31
	s_delay_alu instid0(SALU_CYCLE_1)
	s_lshl_b64 s[0:1], s[2:3], 1
	s_lshl_b32 s3, s13, 16
	s_add_nc_u64 s[16:17], s[8:9], s[0:1]
	s_add_nc_u64 s[18:19], s[10:11], s[0:1]
	s_clause 0x3
	global_load_b32 v1, v0, s[16:17] scale_offset
	global_load_b32 v3, v0, s[16:17] offset:1024 scale_offset
	global_load_b32 v9, v0, s[16:17] offset:2048 scale_offset
	;; [unrolled: 1-line block ×3, first 2 shown]
	s_wait_xcnt 0x0
	s_add_nc_u64 s[16:17], s[6:7], s[0:1]
	s_clause 0x7
	global_load_b32 v7, v0, s[18:19] scale_offset
	global_load_b32 v14, v0, s[16:17] scale_offset
	global_load_b32 v18, v0, s[18:19] offset:1024 scale_offset
	global_load_b32 v20, v0, s[16:17] offset:1024 scale_offset
	;; [unrolled: 1-line block ×6, first 2 shown]
	v_mov_b32_e32 v2, s3
	s_wait_xcnt 0x0
	s_add_nc_u64 s[16:17], s[4:5], s[0:1]
	s_mov_b32 s0, 0
	s_wait_loadcnt 0x6
	v_dual_lshlrev_b32 v13, 16, v7 :: v_dual_lshlrev_b32 v12, 16, v14
	v_and_b32_e32 v4, 0xffff0000, v1
	v_lshlrev_b32_e32 v5, 16, v1
	v_and_b32_e32 v6, 0xffff0000, v3
	v_and_b32_e32 v15, 0xffff0000, v7
	s_wait_loadcnt 0x5
	v_dual_lshlrev_b32 v7, 16, v3 :: v_dual_lshlrev_b32 v17, 16, v18
	v_pk_mul_f32 v[4:5], s[12:13], v[4:5] op_sel_hi:[0,1]
	v_and_b32_e32 v8, 0xffff0000, v9
	v_and_b32_e32 v10, 0xffff0000, v11
	s_wait_loadcnt 0x4
	v_dual_lshlrev_b32 v16, 16, v20 :: v_dual_lshlrev_b32 v9, 16, v9
	v_bfe_u32 v1, v5, 16, 1
	s_wait_loadcnt 0x1
	v_dual_lshlrev_b32 v11, 16, v11 :: v_dual_lshlrev_b32 v25, 16, v26
	v_pk_mul_f32 v[6:7], s[12:13], v[6:7] op_sel_hi:[0,1]
	v_bfe_u32 v3, v4, 16, 1
	v_add3_u32 v1, v5, v1, 0x7fff
	v_and_b32_e32 v19, 0xffff0000, v18
	v_and_b32_e32 v18, 0xffff0000, v20
	v_dual_lshlrev_b32 v21, 16, v22 :: v_dual_lshlrev_b32 v20, 16, v24
	v_and_b32_e32 v23, 0xffff0000, v22
	v_and_b32_e32 v22, 0xffff0000, v24
	;; [unrolled: 1-line block ×3, first 2 shown]
	s_wait_loadcnt 0x0
	v_and_b32_e32 v26, 0xffff0000, v28
	v_pk_mul_f32 v[8:9], s[12:13], v[8:9] op_sel_hi:[0,1]
	v_pk_mul_f32 v[10:11], s[12:13], v[10:11] op_sel_hi:[0,1]
	v_add3_u32 v3, v4, v3, 0x7fff
	v_and_b32_e32 v1, 0xffff0000, v1
	v_cmp_o_f32_e32 vcc_lo, v5, v5
	v_lshlrev_b32_e32 v24, 16, v28
	v_bfe_u32 v28, v7, 16, 1
	v_bfe_u32 v29, v6, 16, 1
	;; [unrolled: 1-line block ×6, first 2 shown]
	v_add3_u32 v28, v7, v28, 0x7fff
	v_and_b32_e32 v34, 0xffff0000, v3
	v_cndmask_b32_e32 v3, 0x7fc00000, v1, vcc_lo
	v_cmp_o_f32_e32 vcc_lo, v4, v4
	v_and_b32_e32 v14, 0xffff0000, v14
	v_add3_u32 v29, v6, v29, 0x7fff
	v_add3_u32 v30, v9, v30, 0x7fff
	;; [unrolled: 1-line block ×5, first 2 shown]
	v_and_b32_e32 v1, 0xffff0000, v28
	v_pk_mul_f32 v[12:13], v[2:3], v[12:13]
	v_cndmask_b32_e32 v3, 0x7fc00000, v34, vcc_lo
	v_cmp_o_f32_e32 vcc_lo, v7, v7
	v_and_b32_e32 v28, 0xffff0000, v29
	v_and_b32_e32 v29, 0xffff0000, v30
	;; [unrolled: 1-line block ×5, first 2 shown]
	v_dual_lshrrev_b32 v34, 16, v12 :: v_dual_lshrrev_b32 v33, 16, v13
	v_pk_mul_f32 v[4:5], v[2:3], v[14:15]
	v_cndmask_b32_e32 v3, 0x7fc00000, v1, vcc_lo
	v_cmp_o_f32_e32 vcc_lo, v6, v6
	s_delay_alu instid0(VALU_DEP_3) | instskip(NEXT) | instid1(VALU_DEP_3)
	v_dual_lshrrev_b32 v34, 16, v4 :: v_dual_bitop2_b32 v7, 1, v34 bitop3:0x40
	v_pk_mul_f32 v[14:15], v[2:3], v[16:17]
	v_and_b32_e32 v1, 1, v33
	v_lshrrev_b32_e32 v33, 16, v5
	v_cndmask_b32_e32 v3, 0x7fc00000, v28, vcc_lo
	v_cmp_o_f32_e32 vcc_lo, v9, v9
	v_add3_u32 v16, v12, v7, 0x7fff
	v_and_b32_e32 v28, 1, v34
	v_lshrrev_b32_e32 v34, 16, v14
	v_pk_mul_f32 v[6:7], v[2:3], v[18:19]
	v_dual_lshrrev_b32 v33, 16, v15 :: v_dual_bitop2_b32 v17, 1, v33 bitop3:0x40
	v_add3_u32 v1, v13, v1, 0x7fff
	v_cndmask_b32_e32 v3, 0x7fc00000, v29, vcc_lo
	v_cmp_o_f32_e32 vcc_lo, v8, v8
	v_and_b32_e32 v9, 0xffff0000, v16
	v_add3_u32 v19, v4, v28, 0x7fff
	v_and_b32_e32 v1, 0xffff0000, v1
	v_and_b32_e32 v28, 1, v33
	v_dual_lshrrev_b32 v33, 16, v7 :: v_dual_bitop2_b32 v29, 1, v34 bitop3:0x40
	v_add3_u32 v18, v5, v17, 0x7fff
	v_lshrrev_b32_e32 v34, 16, v6
	v_pk_mul_f32 v[16:17], v[2:3], v[20:21]
	v_cndmask_b32_e32 v3, 0x7fc00000, v30, vcc_lo
	v_cmp_o_f32_e32 vcc_lo, v13, v13
	v_and_b32_e32 v13, 0xffff0000, v18
	v_and_b32_e32 v18, 0xffff0000, v19
	v_lshrrev_b32_e32 v30, 16, v16
	v_add3_u32 v19, v15, v28, 0x7fff
	v_cndmask_b32_e32 v1, 0x7fc00000, v1, vcc_lo
	v_cmp_o_f32_e32 vcc_lo, v12, v12
	v_and_b32_e32 v28, 1, v34
	v_cndmask_b32_e32 v12, 0x7fc00000, v9, vcc_lo
	v_cmp_o_f32_e32 vcc_lo, v11, v11
	v_pk_mul_f32 v[8:9], v[2:3], v[22:23]
	v_cndmask_b32_e32 v3, 0x7fc00000, v31, vcc_lo
	v_cmp_o_f32_e32 vcc_lo, v5, v5
	s_delay_alu instid0(VALU_DEP_3)
	v_lshrrev_b32_e32 v23, 16, v9
	v_add_f32_e32 v1, v12, v1
	v_add3_u32 v20, v14, v29, 0x7fff
	v_lshrrev_b32_e32 v29, 16, v17
	v_cndmask_b32_e32 v11, 0x7fc00000, v13, vcc_lo
	v_cmp_o_f32_e32 vcc_lo, v4, v4
	v_pk_mul_f32 v[4:5], v[2:3], v[24:25]
	v_and_b32_e32 v13, 0xffff0000, v19
	v_cndmask_b32_e32 v12, 0x7fc00000, v18, vcc_lo
	v_and_b32_e32 v18, 0xffff0000, v20
	v_add3_u32 v20, v6, v28, 0x7fff
	v_cmp_o_f32_e32 vcc_lo, v10, v10
	v_bfe_u32 v10, v1, 16, 1
	v_lshrrev_b32_e32 v28, 16, v8
	v_cndmask_b32_e32 v3, 0x7fc00000, v32, vcc_lo
	v_cmp_o_f32_e32 vcc_lo, v15, v15
	v_and_b32_e32 v15, 0xffff0000, v20
	v_dual_lshrrev_b32 v23, 16, v4 :: v_dual_bitop2_b32 v20, 1, v23 bitop3:0x40
	v_dual_add_f32 v11, v12, v11 :: v_dual_bitop2_b32 v21, 1, v33 bitop3:0x40
	v_cndmask_b32_e32 v12, 0x7fc00000, v13, vcc_lo
	v_cmp_o_f32_e32 vcc_lo, v14, v14
	v_add3_u32 v10, v1, v10, 0x7fff
	s_delay_alu instid0(VALU_DEP_4)
	v_add3_u32 v19, v7, v21, 0x7fff
	v_and_b32_e32 v21, 1, v29
	v_bfe_u32 v24, v11, 16, 1
	v_cndmask_b32_e32 v13, 0x7fc00000, v18, vcc_lo
	v_cmp_o_f32_e32 vcc_lo, v7, v7
	v_and_b32_e32 v14, 0xffff0000, v19
	v_lshrrev_b32_e32 v10, 16, v10
	v_add3_u32 v18, v17, v21, 0x7fff
	v_and_b32_e32 v21, 1, v28
	s_delay_alu instid0(VALU_DEP_4) | instskip(SKIP_1) | instid1(VALU_DEP_4)
	v_dual_add_f32 v12, v13, v12 :: v_dual_cndmask_b32 v7, 0x7fc00000, v14
	v_cmp_o_f32_e32 vcc_lo, v6, v6
	v_and_b32_e32 v13, 0xffff0000, v18
	s_delay_alu instid0(VALU_DEP_4)
	v_add3_u32 v18, v8, v21, 0x7fff
	v_cndmask_b32_e32 v6, 0x7fc00000, v15, vcc_lo
	v_cmp_o_f32_e32 vcc_lo, v17, v17
	v_add3_u32 v15, v9, v20, 0x7fff
	v_and_b32_e32 v20, 1, v23
	v_add3_u32 v23, v11, v24, 0x7fff
	v_add_f32_e32 v6, v6, v7
	v_pk_mul_f32 v[2:3], v[2:3], v[26:27]
	v_and_b32_e32 v22, 1, v30
	v_cndmask_b32_e32 v7, 0x7fc00000, v13, vcc_lo
	v_cmp_o_f32_e32 vcc_lo, v16, v16
	v_add3_u32 v17, v4, v20, 0x7fff
	v_lshrrev_b32_e32 v21, 16, v3
	v_add3_u32 v19, v16, v22, 0x7fff
	v_lshrrev_b32_e32 v22, 16, v5
	v_bfe_u32 v24, v12, 16, 1
	s_delay_alu instid0(VALU_DEP_3) | instskip(NEXT) | instid1(VALU_DEP_3)
	v_and_b32_e32 v14, 0xffff0000, v19
	v_and_b32_e32 v19, 1, v22
	v_lshrrev_b32_e32 v22, 16, v2
	s_delay_alu instid0(VALU_DEP_4) | instskip(NEXT) | instid1(VALU_DEP_4)
	v_add3_u32 v20, v12, v24, 0x7fff
	v_cndmask_b32_e32 v13, 0x7fc00000, v14, vcc_lo
	v_cmp_o_f32_e32 vcc_lo, v1, v1
	v_and_b32_e32 v14, 0xffff0000, v15
	v_and_b32_e32 v15, 0xffff0000, v18
	v_add3_u32 v16, v5, v19, 0x7fff
	v_and_b32_e32 v18, 1, v21
	v_cndmask_b32_e32 v1, 0x7fc0, v10, vcc_lo
	v_cmp_o_f32_e32 vcc_lo, v9, v9
	v_and_b32_e32 v10, 0xffff0000, v23
	v_add_f32_e32 v7, v13, v7
	v_and_b32_e32 v13, 0xffff0000, v16
	v_and_b32_e32 v19, 1, v22
	v_cndmask_b32_e32 v9, 0x7fc00000, v14, vcc_lo
	v_cmp_o_f32_e32 vcc_lo, v8, v8
	v_and_b32_e32 v14, 0xffff0000, v17
	v_bfe_u32 v21, v6, 16, 1
	v_add3_u32 v16, v2, v19, 0x7fff
	v_cndmask_b32_e32 v8, 0x7fc00000, v15, vcc_lo
	v_cmp_o_f32_e32 vcc_lo, v11, v11
	v_add3_u32 v15, v3, v18, 0x7fff
	v_lshrrev_b32_e32 v11, 16, v20
	v_add3_u32 v17, v6, v21, 0x7fff
	v_add_f32_e32 v8, v8, v9
	v_cndmask_b32_e32 v10, 0x7fc00000, v10, vcc_lo
	v_cmp_o_f32_e32 vcc_lo, v5, v5
	v_and_b32_e32 v9, 0xffff0000, v15
	v_bfe_u32 v18, v7, 16, 1
	s_delay_alu instid0(VALU_DEP_4)
	v_or_b32_e32 v1, v1, v10
	v_cndmask_b32_e32 v5, 0x7fc00000, v13, vcc_lo
	v_cmp_o_f32_e32 vcc_lo, v4, v4
	v_and_b32_e32 v13, 0xffff0000, v16
	v_cndmask_b32_e32 v4, 0x7fc00000, v14, vcc_lo
	v_cmp_o_f32_e32 vcc_lo, v3, v3
	s_delay_alu instid0(VALU_DEP_2)
	v_add_f32_e32 v4, v4, v5
	v_cndmask_b32_e32 v3, 0x7fc00000, v9, vcc_lo
	v_cmp_o_f32_e32 vcc_lo, v2, v2
	v_add3_u32 v5, v7, v18, 0x7fff
	v_cndmask_b32_e32 v2, 0x7fc00000, v13, vcc_lo
	v_cmp_o_f32_e32 vcc_lo, v12, v12
	v_bfe_u32 v12, v4, 16, 1
	s_delay_alu instid0(VALU_DEP_3)
	v_dual_add_f32 v2, v2, v3 :: v_dual_lshrrev_b32 v5, 16, v5
	v_cndmask_b32_e32 v9, 0x7fc0, v11, vcc_lo
	v_bfe_u32 v11, v8, 16, 1
	v_and_b32_e32 v3, 0xffff0000, v17
	v_cmp_o_f32_e32 vcc_lo, v6, v6
	v_bfe_u32 v13, v2, 16, 1
	v_add3_u32 v6, v4, v12, 0x7fff
	v_add3_u32 v11, v8, v11, 0x7fff
	v_cndmask_b32_e32 v3, 0x7fc00000, v3, vcc_lo
	v_cmp_o_f32_e32 vcc_lo, v7, v7
	v_add3_u32 v12, v2, v13, 0x7fff
	s_delay_alu instid0(VALU_DEP_4) | instskip(NEXT) | instid1(VALU_DEP_4)
	v_and_b32_e32 v11, 0xffff0000, v11
	v_dual_lshrrev_b32 v6, 16, v6 :: v_dual_bitop2_b32 v3, v9, v3 bitop3:0x54
	v_cndmask_b32_e32 v5, 0x7fc0, v5, vcc_lo
	v_cmp_o_f32_e32 vcc_lo, v8, v8
	v_and_b32_e32 v7, 0xffff0000, v12
	v_cndmask_b32_e32 v8, 0x7fc00000, v11, vcc_lo
	v_cmp_o_f32_e32 vcc_lo, v4, v4
	s_delay_alu instid0(VALU_DEP_2) | instskip(SKIP_3) | instid1(VALU_DEP_1)
	v_or_b32_e32 v5, v5, v8
	v_cndmask_b32_e32 v4, 0x7fc0, v6, vcc_lo
	v_cmp_o_f32_e32 vcc_lo, v2, v2
	v_cndmask_b32_e32 v2, 0x7fc00000, v7, vcc_lo
	v_or_b32_e32 v2, v4, v2
	s_clause 0x3
	global_store_b32 v0, v1, s[16:17] scale_offset
	global_store_b32 v0, v3, s[16:17] offset:1024 scale_offset
	global_store_b32 v0, v5, s[16:17] offset:2048 scale_offset
	;; [unrolled: 1-line block ×3, first 2 shown]
.LBB171_2:
	s_and_not1_b32 vcc_lo, exec_lo, s0
	s_cbranch_vccnz .LBB171_43
; %bb.3:
	v_cmp_gt_i32_e32 vcc_lo, s14, v0
	s_wait_xcnt 0x3
	v_dual_mov_b32 v24, 0 :: v_dual_bitop2_b32 v1, s2, v0 bitop3:0x54
	v_or_b32_e32 v18, 0x100, v0
	v_dual_mov_b32 v27, 0 :: v_dual_mov_b32 v21, v0
	v_dual_mov_b32 v16, 0 :: v_dual_mov_b32 v17, 0
	s_wait_xcnt 0x0
	s_and_saveexec_b32 s0, vcc_lo
	s_cbranch_execz .LBB171_5
; %bb.4:
	s_clause 0x2
	global_load_u16 v2, v1, s[8:9] scale_offset
	global_load_u16 v3, v1, s[6:7] scale_offset
	;; [unrolled: 1-line block ×3, first 2 shown]
	v_or_b32_e32 v21, 0x100, v0
	s_wait_loadcnt 0x1
	v_dual_lshlrev_b32 v27, 16, v2 :: v_dual_lshlrev_b32 v16, 16, v3
	s_wait_loadcnt 0x0
	v_lshlrev_b32_e32 v17, 16, v4
.LBB171_5:
	s_wait_xcnt 0x0
	s_or_b32 exec_lo, exec_lo, s0
	v_dual_mov_b32 v14, 0 :: v_dual_mov_b32 v15, 0
	s_mov_b32 s1, exec_lo
	v_cmpx_gt_i32_e64 s14, v21
	s_cbranch_execz .LBB171_7
; %bb.6:
	v_add_nc_u32_e32 v2, s2, v21
	v_add_nc_u32_e32 v21, 0x100, v21
	s_clause 0x2
	global_load_u16 v3, v2, s[8:9] scale_offset
	global_load_u16 v4, v2, s[6:7] scale_offset
	global_load_u16 v5, v2, s[10:11] scale_offset
	s_wait_loadcnt 0x1
	v_dual_lshlrev_b32 v24, 16, v3 :: v_dual_lshlrev_b32 v14, 16, v4
	s_wait_loadcnt 0x0
	v_lshlrev_b32_e32 v15, 16, v5
.LBB171_7:
	s_wait_xcnt 0x0
	s_or_b32 exec_lo, exec_lo, s1
	v_dual_mov_b32 v22, 0 :: v_dual_mov_b32 v26, 0
	v_dual_mov_b32 v12, 0 :: v_dual_mov_b32 v13, 0
	s_mov_b32 s1, exec_lo
	v_cmpx_gt_i32_e64 s14, v21
	s_cbranch_execz .LBB171_9
; %bb.8:
	v_add_nc_u32_e32 v2, s2, v21
	v_add_nc_u32_e32 v21, 0x100, v21
	s_clause 0x2
	global_load_u16 v3, v2, s[8:9] scale_offset
	global_load_u16 v4, v2, s[6:7] scale_offset
	global_load_u16 v5, v2, s[10:11] scale_offset
	s_wait_loadcnt 0x1
	v_dual_lshlrev_b32 v26, 16, v3 :: v_dual_lshlrev_b32 v12, 16, v4
	s_wait_loadcnt 0x0
	v_lshlrev_b32_e32 v13, 16, v5
.LBB171_9:
	s_wait_xcnt 0x0
	s_or_b32 exec_lo, exec_lo, s1
	v_dual_mov_b32 v10, 0 :: v_dual_mov_b32 v11, 0
	s_mov_b32 s1, exec_lo
	v_cmpx_gt_i32_e64 s14, v21
	s_cbranch_execz .LBB171_11
; %bb.10:
	v_add_nc_u32_e32 v2, s2, v21
	v_add_nc_u32_e32 v21, 0x100, v21
	s_clause 0x2
	global_load_u16 v3, v2, s[8:9] scale_offset
	global_load_u16 v4, v2, s[6:7] scale_offset
	global_load_u16 v5, v2, s[10:11] scale_offset
	s_wait_loadcnt 0x1
	v_dual_lshlrev_b32 v22, 16, v3 :: v_dual_lshlrev_b32 v10, 16, v4
	s_wait_loadcnt 0x0
	v_lshlrev_b32_e32 v11, 16, v5
.LBB171_11:
	s_wait_xcnt 0x0
	s_or_b32 exec_lo, exec_lo, s1
	v_dual_mov_b32 v20, 0 :: v_dual_mov_b32 v25, 0
	v_dual_mov_b32 v8, 0 :: v_dual_mov_b32 v9, 0
	s_mov_b32 s1, exec_lo
	v_cmpx_gt_i32_e64 s14, v21
	s_cbranch_execz .LBB171_13
; %bb.12:
	v_add_nc_u32_e32 v2, s2, v21
	v_add_nc_u32_e32 v21, 0x100, v21
	s_clause 0x2
	global_load_u16 v3, v2, s[8:9] scale_offset
	global_load_u16 v4, v2, s[6:7] scale_offset
	global_load_u16 v5, v2, s[10:11] scale_offset
	s_wait_loadcnt 0x1
	v_dual_lshlrev_b32 v25, 16, v3 :: v_dual_lshlrev_b32 v8, 16, v4
	s_wait_loadcnt 0x0
	v_lshlrev_b32_e32 v9, 16, v5
.LBB171_13:
	;; [unrolled: 37-line block ×3, first 2 shown]
	s_wait_xcnt 0x0
	s_or_b32 exec_lo, exec_lo, s1
	v_dual_mov_b32 v2, 0 :: v_dual_mov_b32 v3, 0
	s_mov_b32 s1, exec_lo
	v_cmpx_gt_i32_e64 s14, v21
	s_cbranch_execz .LBB171_19
; %bb.18:
	v_add_nc_u32_e32 v2, s2, v21
	s_clause 0x2
	global_load_u16 v3, v2, s[8:9] scale_offset
	global_load_u16 v21, v2, s[6:7] scale_offset
	;; [unrolled: 1-line block ×3, first 2 shown]
	s_wait_loadcnt 0x1
	s_wait_xcnt 0x0
	v_dual_lshlrev_b32 v19, 16, v3 :: v_dual_lshlrev_b32 v2, 16, v21
	s_wait_loadcnt 0x0
	v_lshlrev_b32_e32 v3, 16, v28
.LBB171_19:
	s_or_b32 exec_lo, exec_lo, s1
	s_lshl_b32 s1, s13, 16
                                        ; implicit-def: $vgpr21
	s_and_saveexec_b32 s3, vcc_lo
	s_cbranch_execz .LBB171_21
; %bb.20:
	v_dual_mul_f32 v21, s12, v27 :: v_dual_mov_b32 v28, s1
	s_delay_alu instid0(VALU_DEP_1) | instskip(SKIP_1) | instid1(VALU_DEP_2)
	v_bfe_u32 v27, v21, 16, 1
	v_cmp_o_f32_e64 s0, v21, v21
	v_add3_u32 v27, v21, v27, 0x7fff
	s_delay_alu instid0(VALU_DEP_1) | instskip(NEXT) | instid1(VALU_DEP_1)
	v_and_b32_e32 v27, 0xffff0000, v27
	v_cndmask_b32_e64 v29, 0x7fc00000, v27, s0
	s_delay_alu instid0(VALU_DEP_1) | instskip(NEXT) | instid1(VALU_DEP_1)
	v_pk_mul_f32 v[16:17], v[16:17], v[28:29]
	v_dual_lshrrev_b32 v21, 16, v17 :: v_dual_lshrrev_b32 v27, 16, v16
	v_cmp_o_f32_e64 s0, v17, v17
	s_delay_alu instid0(VALU_DEP_2) | instskip(NEXT) | instid1(VALU_DEP_1)
	v_and_b32_e32 v21, 1, v21
	v_add3_u32 v21, v17, v21, 0x7fff
	s_delay_alu instid0(VALU_DEP_1) | instskip(NEXT) | instid1(VALU_DEP_1)
	v_and_b32_e32 v21, 0xffff0000, v21
	v_cndmask_b32_e64 v17, 0x7fc00000, v21, s0
	v_and_b32_e32 v27, 1, v27
	v_cmp_o_f32_e64 s0, v16, v16
	s_delay_alu instid0(VALU_DEP_2) | instskip(NEXT) | instid1(VALU_DEP_1)
	v_add3_u32 v27, v16, v27, 0x7fff
	v_and_b32_e32 v27, 0xffff0000, v27
	s_delay_alu instid0(VALU_DEP_1) | instskip(NEXT) | instid1(VALU_DEP_1)
	v_cndmask_b32_e64 v16, 0x7fc00000, v27, s0
	v_add_f32_e32 v16, v16, v17
	s_delay_alu instid0(VALU_DEP_1) | instskip(SKIP_1) | instid1(VALU_DEP_2)
	v_bfe_u32 v17, v16, 16, 1
	v_cmp_o_f32_e64 s0, v16, v16
	v_add3_u32 v17, v16, v17, 0x7fff
	s_delay_alu instid0(VALU_DEP_1) | instskip(NEXT) | instid1(VALU_DEP_1)
	v_lshrrev_b32_e32 v17, 16, v17
	v_cndmask_b32_e64 v21, 0x7fc0, v17, s0
.LBB171_21:
	s_or_b32 exec_lo, exec_lo, s3
	s_delay_alu instid0(SALU_CYCLE_1)
	s_mov_b32 s3, exec_lo
                                        ; implicit-def: $vgpr16
	v_cmpx_gt_i32_e64 s14, v18
	s_cbranch_execz .LBB171_23
; %bb.22:
	v_mul_f32_e32 v17, s12, v24
	s_delay_alu instid0(VALU_DEP_1) | instskip(NEXT) | instid1(VALU_DEP_1)
	v_bfe_u32 v16, v17, 16, 1
	v_add3_u32 v16, v17, v16, 0x7fff
	s_delay_alu instid0(VALU_DEP_1) | instskip(SKIP_2) | instid1(VALU_DEP_1)
	v_and_b32_e32 v24, 0xffff0000, v16
	v_mov_b32_e32 v16, s1
	v_cmp_o_f32_e64 s0, v17, v17
	v_cndmask_b32_e64 v17, 0x7fc00000, v24, s0
	s_delay_alu instid0(VALU_DEP_1) | instskip(NEXT) | instid1(VALU_DEP_1)
	v_pk_mul_f32 v[14:15], v[14:15], v[16:17]
	v_dual_lshrrev_b32 v16, 16, v15 :: v_dual_lshrrev_b32 v17, 16, v14
	v_cmp_o_f32_e64 s0, v15, v15
	s_delay_alu instid0(VALU_DEP_2) | instskip(NEXT) | instid1(VALU_DEP_3)
	v_and_b32_e32 v16, 1, v16
	v_and_b32_e32 v17, 1, v17
	s_delay_alu instid0(VALU_DEP_2) | instskip(NEXT) | instid1(VALU_DEP_2)
	v_add3_u32 v16, v15, v16, 0x7fff
	v_add3_u32 v17, v14, v17, 0x7fff
	s_delay_alu instid0(VALU_DEP_2) | instskip(NEXT) | instid1(VALU_DEP_2)
	v_and_b32_e32 v16, 0xffff0000, v16
	v_and_b32_e32 v17, 0xffff0000, v17
	s_delay_alu instid0(VALU_DEP_2) | instskip(SKIP_1) | instid1(VALU_DEP_1)
	v_cndmask_b32_e64 v15, 0x7fc00000, v16, s0
	v_cmp_o_f32_e64 s0, v14, v14
	v_cndmask_b32_e64 v14, 0x7fc00000, v17, s0
	s_delay_alu instid0(VALU_DEP_1) | instskip(NEXT) | instid1(VALU_DEP_1)
	v_add_f32_e32 v14, v14, v15
	v_bfe_u32 v15, v14, 16, 1
	v_cmp_o_f32_e64 s0, v14, v14
	s_delay_alu instid0(VALU_DEP_2) | instskip(NEXT) | instid1(VALU_DEP_1)
	v_add3_u32 v15, v14, v15, 0x7fff
	v_lshrrev_b32_e32 v15, 16, v15
	s_delay_alu instid0(VALU_DEP_1)
	v_cndmask_b32_e64 v16, 0x7fc0, v15, s0
.LBB171_23:
	s_or_b32 exec_lo, exec_lo, s3
	v_or_b32_e32 v14, 0x200, v0
	s_delay_alu instid0(VALU_DEP_1)
	v_cmp_gt_i32_e64 s0, s14, v14
                                        ; implicit-def: $vgpr14
	s_and_saveexec_b32 s3, s0
	s_cbranch_execz .LBB171_25
; %bb.24:
	v_mul_f32_e32 v15, s12, v26
	s_delay_alu instid0(VALU_DEP_1) | instskip(NEXT) | instid1(VALU_DEP_1)
	v_bfe_u32 v14, v15, 16, 1
	v_add3_u32 v14, v15, v14, 0x7fff
	s_delay_alu instid0(VALU_DEP_1) | instskip(SKIP_2) | instid1(VALU_DEP_1)
	v_and_b32_e32 v17, 0xffff0000, v14
	v_mov_b32_e32 v14, s1
	v_cmp_o_f32_e64 s0, v15, v15
	v_cndmask_b32_e64 v15, 0x7fc00000, v17, s0
	s_delay_alu instid0(VALU_DEP_1) | instskip(NEXT) | instid1(VALU_DEP_1)
	v_pk_mul_f32 v[12:13], v[12:13], v[14:15]
	v_dual_lshrrev_b32 v14, 16, v13 :: v_dual_lshrrev_b32 v15, 16, v12
	v_cmp_o_f32_e64 s0, v13, v13
	s_delay_alu instid0(VALU_DEP_2) | instskip(NEXT) | instid1(VALU_DEP_3)
	v_and_b32_e32 v14, 1, v14
	v_and_b32_e32 v15, 1, v15
	s_delay_alu instid0(VALU_DEP_2) | instskip(NEXT) | instid1(VALU_DEP_2)
	v_add3_u32 v14, v13, v14, 0x7fff
	v_add3_u32 v15, v12, v15, 0x7fff
	s_delay_alu instid0(VALU_DEP_2) | instskip(NEXT) | instid1(VALU_DEP_2)
	v_and_b32_e32 v14, 0xffff0000, v14
	v_and_b32_e32 v15, 0xffff0000, v15
	s_delay_alu instid0(VALU_DEP_2) | instskip(SKIP_1) | instid1(VALU_DEP_1)
	v_cndmask_b32_e64 v13, 0x7fc00000, v14, s0
	v_cmp_o_f32_e64 s0, v12, v12
	v_cndmask_b32_e64 v12, 0x7fc00000, v15, s0
	s_delay_alu instid0(VALU_DEP_1) | instskip(NEXT) | instid1(VALU_DEP_1)
	v_add_f32_e32 v12, v12, v13
	v_bfe_u32 v13, v12, 16, 1
	v_cmp_o_f32_e64 s0, v12, v12
	s_delay_alu instid0(VALU_DEP_2) | instskip(NEXT) | instid1(VALU_DEP_1)
	v_add3_u32 v13, v12, v13, 0x7fff
	v_lshrrev_b32_e32 v13, 16, v13
	s_delay_alu instid0(VALU_DEP_1)
	v_cndmask_b32_e64 v14, 0x7fc0, v13, s0
.LBB171_25:
	s_or_b32 exec_lo, exec_lo, s3
	v_or_b32_e32 v12, 0x300, v0
	s_delay_alu instid0(VALU_DEP_1)
	v_cmp_gt_i32_e64 s0, s14, v12
                                        ; implicit-def: $vgpr12
	s_and_saveexec_b32 s3, s0
	s_cbranch_execz .LBB171_27
; %bb.26:
	v_mul_f32_e32 v13, s12, v22
	s_delay_alu instid0(VALU_DEP_1) | instskip(NEXT) | instid1(VALU_DEP_1)
	v_bfe_u32 v12, v13, 16, 1
	v_add3_u32 v12, v13, v12, 0x7fff
	s_delay_alu instid0(VALU_DEP_1) | instskip(SKIP_2) | instid1(VALU_DEP_1)
	v_and_b32_e32 v15, 0xffff0000, v12
	v_mov_b32_e32 v12, s1
	v_cmp_o_f32_e64 s0, v13, v13
	v_cndmask_b32_e64 v13, 0x7fc00000, v15, s0
	s_delay_alu instid0(VALU_DEP_1) | instskip(NEXT) | instid1(VALU_DEP_1)
	v_pk_mul_f32 v[10:11], v[10:11], v[12:13]
	v_dual_lshrrev_b32 v12, 16, v11 :: v_dual_lshrrev_b32 v13, 16, v10
	v_cmp_o_f32_e64 s0, v11, v11
	s_delay_alu instid0(VALU_DEP_2) | instskip(NEXT) | instid1(VALU_DEP_3)
	v_and_b32_e32 v12, 1, v12
	v_and_b32_e32 v13, 1, v13
	s_delay_alu instid0(VALU_DEP_2) | instskip(NEXT) | instid1(VALU_DEP_2)
	v_add3_u32 v12, v11, v12, 0x7fff
	v_add3_u32 v13, v10, v13, 0x7fff
	s_delay_alu instid0(VALU_DEP_2) | instskip(NEXT) | instid1(VALU_DEP_2)
	v_and_b32_e32 v12, 0xffff0000, v12
	v_and_b32_e32 v13, 0xffff0000, v13
	s_delay_alu instid0(VALU_DEP_2) | instskip(SKIP_1) | instid1(VALU_DEP_1)
	v_cndmask_b32_e64 v11, 0x7fc00000, v12, s0
	v_cmp_o_f32_e64 s0, v10, v10
	v_cndmask_b32_e64 v10, 0x7fc00000, v13, s0
	s_delay_alu instid0(VALU_DEP_1) | instskip(NEXT) | instid1(VALU_DEP_1)
	v_add_f32_e32 v10, v10, v11
	v_bfe_u32 v11, v10, 16, 1
	v_cmp_o_f32_e64 s0, v10, v10
	s_delay_alu instid0(VALU_DEP_2) | instskip(NEXT) | instid1(VALU_DEP_1)
	v_add3_u32 v11, v10, v11, 0x7fff
	v_lshrrev_b32_e32 v11, 16, v11
	s_delay_alu instid0(VALU_DEP_1)
	v_cndmask_b32_e64 v12, 0x7fc0, v11, s0
.LBB171_27:
	s_or_b32 exec_lo, exec_lo, s3
	v_or_b32_e32 v10, 0x400, v0
	s_delay_alu instid0(VALU_DEP_1)
	v_cmp_gt_i32_e64 s0, s14, v10
                                        ; implicit-def: $vgpr10
	s_and_saveexec_b32 s3, s0
	s_cbranch_execz .LBB171_29
; %bb.28:
	v_mul_f32_e32 v11, s12, v25
	s_delay_alu instid0(VALU_DEP_1) | instskip(NEXT) | instid1(VALU_DEP_1)
	v_bfe_u32 v10, v11, 16, 1
	v_add3_u32 v10, v11, v10, 0x7fff
	s_delay_alu instid0(VALU_DEP_1) | instskip(SKIP_2) | instid1(VALU_DEP_1)
	v_and_b32_e32 v13, 0xffff0000, v10
	v_mov_b32_e32 v10, s1
	v_cmp_o_f32_e64 s0, v11, v11
	v_cndmask_b32_e64 v11, 0x7fc00000, v13, s0
	s_delay_alu instid0(VALU_DEP_1) | instskip(NEXT) | instid1(VALU_DEP_1)
	v_pk_mul_f32 v[8:9], v[8:9], v[10:11]
	v_dual_lshrrev_b32 v10, 16, v9 :: v_dual_lshrrev_b32 v11, 16, v8
	v_cmp_o_f32_e64 s0, v9, v9
	s_delay_alu instid0(VALU_DEP_2) | instskip(NEXT) | instid1(VALU_DEP_3)
	v_and_b32_e32 v10, 1, v10
	v_and_b32_e32 v11, 1, v11
	s_delay_alu instid0(VALU_DEP_2) | instskip(NEXT) | instid1(VALU_DEP_2)
	v_add3_u32 v10, v9, v10, 0x7fff
	v_add3_u32 v11, v8, v11, 0x7fff
	s_delay_alu instid0(VALU_DEP_2) | instskip(NEXT) | instid1(VALU_DEP_2)
	v_and_b32_e32 v10, 0xffff0000, v10
	v_and_b32_e32 v11, 0xffff0000, v11
	s_delay_alu instid0(VALU_DEP_2) | instskip(SKIP_1) | instid1(VALU_DEP_1)
	v_cndmask_b32_e64 v9, 0x7fc00000, v10, s0
	v_cmp_o_f32_e64 s0, v8, v8
	v_cndmask_b32_e64 v8, 0x7fc00000, v11, s0
	s_delay_alu instid0(VALU_DEP_1) | instskip(NEXT) | instid1(VALU_DEP_1)
	v_add_f32_e32 v8, v8, v9
	v_bfe_u32 v9, v8, 16, 1
	v_cmp_o_f32_e64 s0, v8, v8
	s_delay_alu instid0(VALU_DEP_2) | instskip(NEXT) | instid1(VALU_DEP_1)
	v_add3_u32 v9, v8, v9, 0x7fff
	v_lshrrev_b32_e32 v9, 16, v9
	s_delay_alu instid0(VALU_DEP_1)
	v_cndmask_b32_e64 v10, 0x7fc0, v9, s0
.LBB171_29:
	s_or_b32 exec_lo, exec_lo, s3
	v_or_b32_e32 v8, 0x500, v0
	s_delay_alu instid0(VALU_DEP_1)
	v_cmp_gt_i32_e64 s0, s14, v8
                                        ; implicit-def: $vgpr8
	s_and_saveexec_b32 s3, s0
	s_cbranch_execz .LBB171_31
; %bb.30:
	v_mul_f32_e32 v9, s12, v20
	s_delay_alu instid0(VALU_DEP_1) | instskip(NEXT) | instid1(VALU_DEP_1)
	v_bfe_u32 v8, v9, 16, 1
	v_add3_u32 v8, v9, v8, 0x7fff
	s_delay_alu instid0(VALU_DEP_1) | instskip(SKIP_2) | instid1(VALU_DEP_1)
	v_and_b32_e32 v11, 0xffff0000, v8
	v_mov_b32_e32 v8, s1
	v_cmp_o_f32_e64 s0, v9, v9
	v_cndmask_b32_e64 v9, 0x7fc00000, v11, s0
	s_delay_alu instid0(VALU_DEP_1) | instskip(NEXT) | instid1(VALU_DEP_1)
	v_pk_mul_f32 v[6:7], v[6:7], v[8:9]
	v_dual_lshrrev_b32 v8, 16, v7 :: v_dual_lshrrev_b32 v9, 16, v6
	v_cmp_o_f32_e64 s0, v7, v7
	s_delay_alu instid0(VALU_DEP_2) | instskip(NEXT) | instid1(VALU_DEP_3)
	v_and_b32_e32 v8, 1, v8
	v_and_b32_e32 v9, 1, v9
	s_delay_alu instid0(VALU_DEP_2) | instskip(NEXT) | instid1(VALU_DEP_2)
	v_add3_u32 v8, v7, v8, 0x7fff
	v_add3_u32 v9, v6, v9, 0x7fff
	s_delay_alu instid0(VALU_DEP_2) | instskip(NEXT) | instid1(VALU_DEP_2)
	v_and_b32_e32 v8, 0xffff0000, v8
	v_and_b32_e32 v9, 0xffff0000, v9
	s_delay_alu instid0(VALU_DEP_2) | instskip(SKIP_1) | instid1(VALU_DEP_1)
	v_cndmask_b32_e64 v7, 0x7fc00000, v8, s0
	v_cmp_o_f32_e64 s0, v6, v6
	v_cndmask_b32_e64 v6, 0x7fc00000, v9, s0
	s_delay_alu instid0(VALU_DEP_1) | instskip(NEXT) | instid1(VALU_DEP_1)
	v_add_f32_e32 v6, v6, v7
	v_bfe_u32 v7, v6, 16, 1
	v_cmp_o_f32_e64 s0, v6, v6
	s_delay_alu instid0(VALU_DEP_2) | instskip(NEXT) | instid1(VALU_DEP_1)
	v_add3_u32 v7, v6, v7, 0x7fff
	v_lshrrev_b32_e32 v7, 16, v7
	s_delay_alu instid0(VALU_DEP_1)
	v_cndmask_b32_e64 v8, 0x7fc0, v7, s0
.LBB171_31:
	s_or_b32 exec_lo, exec_lo, s3
	v_or_b32_e32 v6, 0x600, v0
	s_delay_alu instid0(VALU_DEP_1)
	v_cmp_gt_i32_e64 s0, s14, v6
                                        ; implicit-def: $vgpr6
	s_and_saveexec_b32 s3, s0
	s_cbranch_execz .LBB171_33
; %bb.32:
	v_mul_f32_e32 v7, s12, v23
	s_delay_alu instid0(VALU_DEP_1) | instskip(NEXT) | instid1(VALU_DEP_1)
	v_bfe_u32 v6, v7, 16, 1
	v_add3_u32 v6, v7, v6, 0x7fff
	s_delay_alu instid0(VALU_DEP_1) | instskip(SKIP_2) | instid1(VALU_DEP_1)
	v_and_b32_e32 v9, 0xffff0000, v6
	v_mov_b32_e32 v6, s1
	v_cmp_o_f32_e64 s0, v7, v7
	v_cndmask_b32_e64 v7, 0x7fc00000, v9, s0
	s_delay_alu instid0(VALU_DEP_1) | instskip(NEXT) | instid1(VALU_DEP_1)
	v_pk_mul_f32 v[4:5], v[4:5], v[6:7]
	v_dual_lshrrev_b32 v6, 16, v5 :: v_dual_lshrrev_b32 v7, 16, v4
	v_cmp_o_f32_e64 s0, v5, v5
	s_delay_alu instid0(VALU_DEP_2) | instskip(NEXT) | instid1(VALU_DEP_3)
	v_and_b32_e32 v6, 1, v6
	v_and_b32_e32 v7, 1, v7
	s_delay_alu instid0(VALU_DEP_2) | instskip(NEXT) | instid1(VALU_DEP_2)
	v_add3_u32 v6, v5, v6, 0x7fff
	v_add3_u32 v7, v4, v7, 0x7fff
	s_delay_alu instid0(VALU_DEP_2) | instskip(NEXT) | instid1(VALU_DEP_2)
	v_and_b32_e32 v6, 0xffff0000, v6
	v_and_b32_e32 v7, 0xffff0000, v7
	s_delay_alu instid0(VALU_DEP_2) | instskip(SKIP_1) | instid1(VALU_DEP_1)
	v_cndmask_b32_e64 v5, 0x7fc00000, v6, s0
	v_cmp_o_f32_e64 s0, v4, v4
	v_cndmask_b32_e64 v4, 0x7fc00000, v7, s0
	s_delay_alu instid0(VALU_DEP_1) | instskip(NEXT) | instid1(VALU_DEP_1)
	v_add_f32_e32 v4, v4, v5
	v_bfe_u32 v5, v4, 16, 1
	v_cmp_o_f32_e64 s0, v4, v4
	s_delay_alu instid0(VALU_DEP_2) | instskip(NEXT) | instid1(VALU_DEP_1)
	v_add3_u32 v5, v4, v5, 0x7fff
	v_lshrrev_b32_e32 v5, 16, v5
	s_delay_alu instid0(VALU_DEP_1)
	v_cndmask_b32_e64 v6, 0x7fc0, v5, s0
.LBB171_33:
	s_or_b32 exec_lo, exec_lo, s3
	v_or_b32_e32 v4, 0x700, v0
	s_delay_alu instid0(VALU_DEP_1)
	v_cmp_gt_i32_e64 s0, s14, v4
                                        ; implicit-def: $vgpr4
	s_and_saveexec_b32 s3, s0
	s_cbranch_execz .LBB171_44
; %bb.34:
	v_mul_f32_e32 v5, s12, v19
	s_delay_alu instid0(VALU_DEP_1) | instskip(NEXT) | instid1(VALU_DEP_1)
	v_bfe_u32 v4, v5, 16, 1
	v_add3_u32 v4, v5, v4, 0x7fff
	s_delay_alu instid0(VALU_DEP_1) | instskip(SKIP_2) | instid1(VALU_DEP_1)
	v_and_b32_e32 v7, 0xffff0000, v4
	v_mov_b32_e32 v4, s1
	v_cmp_o_f32_e64 s0, v5, v5
	v_cndmask_b32_e64 v5, 0x7fc00000, v7, s0
	s_delay_alu instid0(VALU_DEP_1) | instskip(NEXT) | instid1(VALU_DEP_1)
	v_pk_mul_f32 v[2:3], v[2:3], v[4:5]
	v_dual_lshrrev_b32 v4, 16, v3 :: v_dual_lshrrev_b32 v5, 16, v2
	v_cmp_o_f32_e64 s0, v3, v3
	s_delay_alu instid0(VALU_DEP_2) | instskip(NEXT) | instid1(VALU_DEP_3)
	v_and_b32_e32 v4, 1, v4
	v_and_b32_e32 v5, 1, v5
	s_delay_alu instid0(VALU_DEP_2) | instskip(NEXT) | instid1(VALU_DEP_2)
	v_add3_u32 v4, v3, v4, 0x7fff
	v_add3_u32 v5, v2, v5, 0x7fff
	s_delay_alu instid0(VALU_DEP_2) | instskip(NEXT) | instid1(VALU_DEP_2)
	v_and_b32_e32 v4, 0xffff0000, v4
	v_and_b32_e32 v5, 0xffff0000, v5
	s_delay_alu instid0(VALU_DEP_2) | instskip(SKIP_1) | instid1(VALU_DEP_1)
	v_cndmask_b32_e64 v3, 0x7fc00000, v4, s0
	v_cmp_o_f32_e64 s0, v2, v2
	v_cndmask_b32_e64 v2, 0x7fc00000, v5, s0
	s_delay_alu instid0(VALU_DEP_1) | instskip(NEXT) | instid1(VALU_DEP_1)
	v_add_f32_e32 v2, v2, v3
	v_bfe_u32 v3, v2, 16, 1
	v_cmp_o_f32_e64 s0, v2, v2
	s_delay_alu instid0(VALU_DEP_2) | instskip(NEXT) | instid1(VALU_DEP_1)
	v_add3_u32 v3, v2, v3, 0x7fff
	v_lshrrev_b32_e32 v3, 16, v3
	s_delay_alu instid0(VALU_DEP_1) | instskip(SKIP_2) | instid1(SALU_CYCLE_1)
	v_cndmask_b32_e64 v4, 0x7fc0, v3, s0
	s_or_b32 exec_lo, exec_lo, s3
	s_and_saveexec_b32 s0, vcc_lo
	s_xor_b32 s0, exec_lo, s0
	s_cbranch_execnz .LBB171_45
.LBB171_35:
	s_or_b32 exec_lo, exec_lo, s0
	s_delay_alu instid0(SALU_CYCLE_1)
	s_mov_b32 s0, exec_lo
	v_cmpx_gt_i32_e64 s14, v0
	s_cbranch_execz .LBB171_46
.LBB171_36:
	v_add_nc_u32_e32 v1, s2, v0
	v_add_nc_u32_e32 v0, 0x100, v0
	global_store_b16 v1, v16, s[4:5] scale_offset
	s_wait_xcnt 0x0
	s_or_b32 exec_lo, exec_lo, s0
	s_delay_alu instid0(SALU_CYCLE_1)
	s_mov_b32 s0, exec_lo
	v_cmpx_gt_i32_e64 s14, v0
	s_cbranch_execnz .LBB171_47
.LBB171_37:
	s_or_b32 exec_lo, exec_lo, s0
	s_delay_alu instid0(SALU_CYCLE_1)
	s_mov_b32 s0, exec_lo
	v_cmpx_gt_i32_e64 s14, v0
	s_cbranch_execz .LBB171_48
.LBB171_38:
	v_add_nc_u32_e32 v1, s2, v0
	v_add_nc_u32_e32 v0, 0x100, v0
	global_store_b16 v1, v12, s[4:5] scale_offset
	s_wait_xcnt 0x0
	s_or_b32 exec_lo, exec_lo, s0
	s_delay_alu instid0(SALU_CYCLE_1)
	s_mov_b32 s0, exec_lo
	v_cmpx_gt_i32_e64 s14, v0
	s_cbranch_execnz .LBB171_49
.LBB171_39:
	s_or_b32 exec_lo, exec_lo, s0
	s_delay_alu instid0(SALU_CYCLE_1)
	s_mov_b32 s0, exec_lo
	v_cmpx_gt_i32_e64 s14, v0
	s_cbranch_execz .LBB171_50
.LBB171_40:
	v_add_nc_u32_e32 v1, s2, v0
	v_add_nc_u32_e32 v0, 0x100, v0
	global_store_b16 v1, v8, s[4:5] scale_offset
	s_wait_xcnt 0x0
	s_or_b32 exec_lo, exec_lo, s0
	s_delay_alu instid0(SALU_CYCLE_1)
	s_mov_b32 s0, exec_lo
	v_cmpx_gt_i32_e64 s14, v0
	s_cbranch_execnz .LBB171_51
.LBB171_41:
	s_or_b32 exec_lo, exec_lo, s0
	s_delay_alu instid0(SALU_CYCLE_1)
	s_mov_b32 s0, exec_lo
	v_cmpx_gt_i32_e64 s14, v0
	s_cbranch_execz .LBB171_43
.LBB171_42:
	v_add_nc_u32_e32 v0, s2, v0
	global_store_b16 v0, v4, s[4:5] scale_offset
.LBB171_43:
	s_endpgm
.LBB171_44:
	s_or_b32 exec_lo, exec_lo, s3
	s_and_saveexec_b32 s0, vcc_lo
	s_delay_alu instid0(SALU_CYCLE_1)
	s_xor_b32 s0, exec_lo, s0
	s_cbranch_execz .LBB171_35
.LBB171_45:
	v_mov_b32_e32 v0, v18
	global_store_b16 v1, v21, s[4:5] scale_offset
	s_wait_xcnt 0x0
	s_or_b32 exec_lo, exec_lo, s0
	s_delay_alu instid0(SALU_CYCLE_1)
	s_mov_b32 s0, exec_lo
	v_cmpx_gt_i32_e64 s14, v0
	s_cbranch_execnz .LBB171_36
.LBB171_46:
	s_or_b32 exec_lo, exec_lo, s0
	s_delay_alu instid0(SALU_CYCLE_1)
	s_mov_b32 s0, exec_lo
	v_cmpx_gt_i32_e64 s14, v0
	s_cbranch_execz .LBB171_37
.LBB171_47:
	v_add_nc_u32_e32 v1, s2, v0
	v_add_nc_u32_e32 v0, 0x100, v0
	global_store_b16 v1, v14, s[4:5] scale_offset
	s_wait_xcnt 0x0
	s_or_b32 exec_lo, exec_lo, s0
	s_delay_alu instid0(SALU_CYCLE_1)
	s_mov_b32 s0, exec_lo
	v_cmpx_gt_i32_e64 s14, v0
	s_cbranch_execnz .LBB171_38
.LBB171_48:
	s_or_b32 exec_lo, exec_lo, s0
	s_delay_alu instid0(SALU_CYCLE_1)
	s_mov_b32 s0, exec_lo
	v_cmpx_gt_i32_e64 s14, v0
	s_cbranch_execz .LBB171_39
.LBB171_49:
	v_add_nc_u32_e32 v1, s2, v0
	v_add_nc_u32_e32 v0, 0x100, v0
	global_store_b16 v1, v10, s[4:5] scale_offset
	s_wait_xcnt 0x0
	s_or_b32 exec_lo, exec_lo, s0
	s_delay_alu instid0(SALU_CYCLE_1)
	s_mov_b32 s0, exec_lo
	v_cmpx_gt_i32_e64 s14, v0
	s_cbranch_execnz .LBB171_40
.LBB171_50:
	s_or_b32 exec_lo, exec_lo, s0
	s_delay_alu instid0(SALU_CYCLE_1)
	s_mov_b32 s0, exec_lo
	v_cmpx_gt_i32_e64 s14, v0
	s_cbranch_execz .LBB171_41
.LBB171_51:
	v_add_nc_u32_e32 v1, s2, v0
	v_add_nc_u32_e32 v0, 0x100, v0
	global_store_b16 v1, v6, s[4:5] scale_offset
	s_wait_xcnt 0x0
	s_or_b32 exec_lo, exec_lo, s0
	s_delay_alu instid0(SALU_CYCLE_1)
	s_mov_b32 s0, exec_lo
	v_cmpx_gt_i32_e64 s14, v0
	s_cbranch_execnz .LBB171_42
	s_branch .LBB171_43
	.section	.rodata,"a",@progbits
	.p2align	6, 0x0
	.amdhsa_kernel _ZN2at6native29vectorized_elementwise_kernelILi2EZZZNS0_12_GLOBAL__N_116addr_kernel_cudaERNS_14TensorIteratorERKN3c106ScalarES8_ENKUlvE_clEvENKUlvE8_clEvEUlNS5_8BFloat16ESB_SB_E0_St5arrayIPcLm4EEEEviT0_T1_
		.amdhsa_group_segment_fixed_size 0
		.amdhsa_private_segment_fixed_size 0
		.amdhsa_kernarg_size 40
		.amdhsa_user_sgpr_count 2
		.amdhsa_user_sgpr_dispatch_ptr 0
		.amdhsa_user_sgpr_queue_ptr 0
		.amdhsa_user_sgpr_kernarg_segment_ptr 1
		.amdhsa_user_sgpr_dispatch_id 0
		.amdhsa_user_sgpr_kernarg_preload_length 0
		.amdhsa_user_sgpr_kernarg_preload_offset 0
		.amdhsa_user_sgpr_private_segment_size 0
		.amdhsa_wavefront_size32 1
		.amdhsa_uses_dynamic_stack 0
		.amdhsa_enable_private_segment 0
		.amdhsa_system_sgpr_workgroup_id_x 1
		.amdhsa_system_sgpr_workgroup_id_y 0
		.amdhsa_system_sgpr_workgroup_id_z 0
		.amdhsa_system_sgpr_workgroup_info 0
		.amdhsa_system_vgpr_workitem_id 0
		.amdhsa_next_free_vgpr 35
		.amdhsa_next_free_sgpr 20
		.amdhsa_named_barrier_count 0
		.amdhsa_reserve_vcc 1
		.amdhsa_float_round_mode_32 0
		.amdhsa_float_round_mode_16_64 0
		.amdhsa_float_denorm_mode_32 3
		.amdhsa_float_denorm_mode_16_64 3
		.amdhsa_fp16_overflow 0
		.amdhsa_memory_ordered 1
		.amdhsa_forward_progress 1
		.amdhsa_inst_pref_size 46
		.amdhsa_round_robin_scheduling 0
		.amdhsa_exception_fp_ieee_invalid_op 0
		.amdhsa_exception_fp_denorm_src 0
		.amdhsa_exception_fp_ieee_div_zero 0
		.amdhsa_exception_fp_ieee_overflow 0
		.amdhsa_exception_fp_ieee_underflow 0
		.amdhsa_exception_fp_ieee_inexact 0
		.amdhsa_exception_int_div_zero 0
	.end_amdhsa_kernel
	.section	.text._ZN2at6native29vectorized_elementwise_kernelILi2EZZZNS0_12_GLOBAL__N_116addr_kernel_cudaERNS_14TensorIteratorERKN3c106ScalarES8_ENKUlvE_clEvENKUlvE8_clEvEUlNS5_8BFloat16ESB_SB_E0_St5arrayIPcLm4EEEEviT0_T1_,"axG",@progbits,_ZN2at6native29vectorized_elementwise_kernelILi2EZZZNS0_12_GLOBAL__N_116addr_kernel_cudaERNS_14TensorIteratorERKN3c106ScalarES8_ENKUlvE_clEvENKUlvE8_clEvEUlNS5_8BFloat16ESB_SB_E0_St5arrayIPcLm4EEEEviT0_T1_,comdat
.Lfunc_end171:
	.size	_ZN2at6native29vectorized_elementwise_kernelILi2EZZZNS0_12_GLOBAL__N_116addr_kernel_cudaERNS_14TensorIteratorERKN3c106ScalarES8_ENKUlvE_clEvENKUlvE8_clEvEUlNS5_8BFloat16ESB_SB_E0_St5arrayIPcLm4EEEEviT0_T1_, .Lfunc_end171-_ZN2at6native29vectorized_elementwise_kernelILi2EZZZNS0_12_GLOBAL__N_116addr_kernel_cudaERNS_14TensorIteratorERKN3c106ScalarES8_ENKUlvE_clEvENKUlvE8_clEvEUlNS5_8BFloat16ESB_SB_E0_St5arrayIPcLm4EEEEviT0_T1_
                                        ; -- End function
	.set _ZN2at6native29vectorized_elementwise_kernelILi2EZZZNS0_12_GLOBAL__N_116addr_kernel_cudaERNS_14TensorIteratorERKN3c106ScalarES8_ENKUlvE_clEvENKUlvE8_clEvEUlNS5_8BFloat16ESB_SB_E0_St5arrayIPcLm4EEEEviT0_T1_.num_vgpr, 35
	.set _ZN2at6native29vectorized_elementwise_kernelILi2EZZZNS0_12_GLOBAL__N_116addr_kernel_cudaERNS_14TensorIteratorERKN3c106ScalarES8_ENKUlvE_clEvENKUlvE8_clEvEUlNS5_8BFloat16ESB_SB_E0_St5arrayIPcLm4EEEEviT0_T1_.num_agpr, 0
	.set _ZN2at6native29vectorized_elementwise_kernelILi2EZZZNS0_12_GLOBAL__N_116addr_kernel_cudaERNS_14TensorIteratorERKN3c106ScalarES8_ENKUlvE_clEvENKUlvE8_clEvEUlNS5_8BFloat16ESB_SB_E0_St5arrayIPcLm4EEEEviT0_T1_.numbered_sgpr, 20
	.set _ZN2at6native29vectorized_elementwise_kernelILi2EZZZNS0_12_GLOBAL__N_116addr_kernel_cudaERNS_14TensorIteratorERKN3c106ScalarES8_ENKUlvE_clEvENKUlvE8_clEvEUlNS5_8BFloat16ESB_SB_E0_St5arrayIPcLm4EEEEviT0_T1_.num_named_barrier, 0
	.set _ZN2at6native29vectorized_elementwise_kernelILi2EZZZNS0_12_GLOBAL__N_116addr_kernel_cudaERNS_14TensorIteratorERKN3c106ScalarES8_ENKUlvE_clEvENKUlvE8_clEvEUlNS5_8BFloat16ESB_SB_E0_St5arrayIPcLm4EEEEviT0_T1_.private_seg_size, 0
	.set _ZN2at6native29vectorized_elementwise_kernelILi2EZZZNS0_12_GLOBAL__N_116addr_kernel_cudaERNS_14TensorIteratorERKN3c106ScalarES8_ENKUlvE_clEvENKUlvE8_clEvEUlNS5_8BFloat16ESB_SB_E0_St5arrayIPcLm4EEEEviT0_T1_.uses_vcc, 1
	.set _ZN2at6native29vectorized_elementwise_kernelILi2EZZZNS0_12_GLOBAL__N_116addr_kernel_cudaERNS_14TensorIteratorERKN3c106ScalarES8_ENKUlvE_clEvENKUlvE8_clEvEUlNS5_8BFloat16ESB_SB_E0_St5arrayIPcLm4EEEEviT0_T1_.uses_flat_scratch, 0
	.set _ZN2at6native29vectorized_elementwise_kernelILi2EZZZNS0_12_GLOBAL__N_116addr_kernel_cudaERNS_14TensorIteratorERKN3c106ScalarES8_ENKUlvE_clEvENKUlvE8_clEvEUlNS5_8BFloat16ESB_SB_E0_St5arrayIPcLm4EEEEviT0_T1_.has_dyn_sized_stack, 0
	.set _ZN2at6native29vectorized_elementwise_kernelILi2EZZZNS0_12_GLOBAL__N_116addr_kernel_cudaERNS_14TensorIteratorERKN3c106ScalarES8_ENKUlvE_clEvENKUlvE8_clEvEUlNS5_8BFloat16ESB_SB_E0_St5arrayIPcLm4EEEEviT0_T1_.has_recursion, 0
	.set _ZN2at6native29vectorized_elementwise_kernelILi2EZZZNS0_12_GLOBAL__N_116addr_kernel_cudaERNS_14TensorIteratorERKN3c106ScalarES8_ENKUlvE_clEvENKUlvE8_clEvEUlNS5_8BFloat16ESB_SB_E0_St5arrayIPcLm4EEEEviT0_T1_.has_indirect_call, 0
	.section	.AMDGPU.csdata,"",@progbits
; Kernel info:
; codeLenInByte = 5772
; TotalNumSgprs: 22
; NumVgprs: 35
; ScratchSize: 0
; MemoryBound: 0
; FloatMode: 240
; IeeeMode: 1
; LDSByteSize: 0 bytes/workgroup (compile time only)
; SGPRBlocks: 0
; VGPRBlocks: 2
; NumSGPRsForWavesPerEU: 22
; NumVGPRsForWavesPerEU: 35
; NamedBarCnt: 0
; Occupancy: 16
; WaveLimiterHint : 1
; COMPUTE_PGM_RSRC2:SCRATCH_EN: 0
; COMPUTE_PGM_RSRC2:USER_SGPR: 2
; COMPUTE_PGM_RSRC2:TRAP_HANDLER: 0
; COMPUTE_PGM_RSRC2:TGID_X_EN: 1
; COMPUTE_PGM_RSRC2:TGID_Y_EN: 0
; COMPUTE_PGM_RSRC2:TGID_Z_EN: 0
; COMPUTE_PGM_RSRC2:TIDIG_COMP_CNT: 0
	.section	.text._ZN2at6native27unrolled_elementwise_kernelIZZZNS0_12_GLOBAL__N_116addr_kernel_cudaERNS_14TensorIteratorERKN3c106ScalarES8_ENKUlvE_clEvENKUlvE8_clEvEUlNS5_8BFloat16ESB_SB_E0_St5arrayIPcLm4EELi4E23TrivialOffsetCalculatorILi3EjESG_ILi1EjENS0_6memory15LoadWithoutCastENSJ_16StoreWithoutCastEEEviT_T0_T2_T3_T4_T5_,"axG",@progbits,_ZN2at6native27unrolled_elementwise_kernelIZZZNS0_12_GLOBAL__N_116addr_kernel_cudaERNS_14TensorIteratorERKN3c106ScalarES8_ENKUlvE_clEvENKUlvE8_clEvEUlNS5_8BFloat16ESB_SB_E0_St5arrayIPcLm4EELi4E23TrivialOffsetCalculatorILi3EjESG_ILi1EjENS0_6memory15LoadWithoutCastENSJ_16StoreWithoutCastEEEviT_T0_T2_T3_T4_T5_,comdat
	.globl	_ZN2at6native27unrolled_elementwise_kernelIZZZNS0_12_GLOBAL__N_116addr_kernel_cudaERNS_14TensorIteratorERKN3c106ScalarES8_ENKUlvE_clEvENKUlvE8_clEvEUlNS5_8BFloat16ESB_SB_E0_St5arrayIPcLm4EELi4E23TrivialOffsetCalculatorILi3EjESG_ILi1EjENS0_6memory15LoadWithoutCastENSJ_16StoreWithoutCastEEEviT_T0_T2_T3_T4_T5_ ; -- Begin function _ZN2at6native27unrolled_elementwise_kernelIZZZNS0_12_GLOBAL__N_116addr_kernel_cudaERNS_14TensorIteratorERKN3c106ScalarES8_ENKUlvE_clEvENKUlvE8_clEvEUlNS5_8BFloat16ESB_SB_E0_St5arrayIPcLm4EELi4E23TrivialOffsetCalculatorILi3EjESG_ILi1EjENS0_6memory15LoadWithoutCastENSJ_16StoreWithoutCastEEEviT_T0_T2_T3_T4_T5_
	.p2align	8
	.type	_ZN2at6native27unrolled_elementwise_kernelIZZZNS0_12_GLOBAL__N_116addr_kernel_cudaERNS_14TensorIteratorERKN3c106ScalarES8_ENKUlvE_clEvENKUlvE8_clEvEUlNS5_8BFloat16ESB_SB_E0_St5arrayIPcLm4EELi4E23TrivialOffsetCalculatorILi3EjESG_ILi1EjENS0_6memory15LoadWithoutCastENSJ_16StoreWithoutCastEEEviT_T0_T2_T3_T4_T5_,@function
_ZN2at6native27unrolled_elementwise_kernelIZZZNS0_12_GLOBAL__N_116addr_kernel_cudaERNS_14TensorIteratorERKN3c106ScalarES8_ENKUlvE_clEvENKUlvE8_clEvEUlNS5_8BFloat16ESB_SB_E0_St5arrayIPcLm4EELi4E23TrivialOffsetCalculatorILi3EjESG_ILi1EjENS0_6memory15LoadWithoutCastENSJ_16StoreWithoutCastEEEviT_T0_T2_T3_T4_T5_: ; @_ZN2at6native27unrolled_elementwise_kernelIZZZNS0_12_GLOBAL__N_116addr_kernel_cudaERNS_14TensorIteratorERKN3c106ScalarES8_ENKUlvE_clEvENKUlvE8_clEvEUlNS5_8BFloat16ESB_SB_E0_St5arrayIPcLm4EELi4E23TrivialOffsetCalculatorILi3EjESG_ILi1EjENS0_6memory15LoadWithoutCastENSJ_16StoreWithoutCastEEEviT_T0_T2_T3_T4_T5_
; %bb.0:
	s_load_b64 s[2:3], s[0:1], 0x0
	s_bfe_u32 s13, ttmp6, 0x4000c
	s_load_b256 s[4:11], s[0:1], 0x8
	s_add_co_i32 s13, s13, 1
	s_and_b32 s12, ttmp6, 15
	s_wait_xcnt 0x0
	s_mul_i32 s0, ttmp9, s13
	s_getreg_b32 s14, hwreg(HW_REG_IB_STS2, 6, 4)
	s_add_co_i32 s12, s12, s0
	s_cmp_eq_u32 s14, 0
	v_dual_mov_b32 v12, 0 :: v_dual_mov_b32 v15, 0
	s_cselect_b32 s0, ttmp9, s12
	v_dual_mov_b32 v8, 0 :: v_dual_mov_b32 v13, v0
	s_lshl_b32 s1, s0, 10
	v_or_b32_e32 v1, 0x100, v0
	v_dual_mov_b32 v9, 0 :: v_dual_bitop2_b32 v10, s1, v0 bitop3:0x54
	s_wait_kmcnt 0x0
	s_sub_co_i32 s2, s2, s1
	s_delay_alu instid0(SALU_CYCLE_1)
	v_cmp_gt_i32_e32 vcc_lo, s2, v0
	s_and_saveexec_b32 s0, vcc_lo
	s_cbranch_execz .LBB172_2
; %bb.1:
	s_clause 0x2
	global_load_u16 v2, v10, s[8:9] scale_offset
	global_load_u16 v3, v10, s[6:7] scale_offset
	;; [unrolled: 1-line block ×3, first 2 shown]
	v_or_b32_e32 v13, 0x100, v0
	s_wait_loadcnt 0x1
	v_dual_lshlrev_b32 v15, 16, v2 :: v_dual_lshlrev_b32 v8, 16, v3
	s_wait_loadcnt 0x0
	v_lshlrev_b32_e32 v9, 16, v4
.LBB172_2:
	s_or_b32 exec_lo, exec_lo, s0
	v_dual_mov_b32 v6, 0 :: v_dual_mov_b32 v7, 0
	s_mov_b32 s12, exec_lo
	v_cmpx_gt_i32_e64 s2, v13
	s_cbranch_execz .LBB172_4
; %bb.3:
	v_add_nc_u32_e32 v2, s1, v13
	v_add_nc_u32_e32 v13, 0x100, v13
	s_clause 0x2
	global_load_u16 v3, v2, s[8:9] scale_offset
	global_load_u16 v4, v2, s[6:7] scale_offset
	;; [unrolled: 1-line block ×3, first 2 shown]
	s_wait_loadcnt 0x1
	v_dual_lshlrev_b32 v12, 16, v3 :: v_dual_lshlrev_b32 v6, 16, v4
	s_wait_loadcnt 0x0
	v_lshlrev_b32_e32 v7, 16, v5
.LBB172_4:
	s_or_b32 exec_lo, exec_lo, s12
	v_dual_mov_b32 v11, 0 :: v_dual_mov_b32 v14, 0
	v_dual_mov_b32 v4, 0 :: v_dual_mov_b32 v5, 0
	s_mov_b32 s12, exec_lo
	v_cmpx_gt_i32_e64 s2, v13
	s_cbranch_execz .LBB172_6
; %bb.5:
	v_add_nc_u32_e32 v2, s1, v13
	v_add_nc_u32_e32 v13, 0x100, v13
	s_clause 0x2
	global_load_u16 v3, v2, s[8:9] scale_offset
	global_load_u16 v4, v2, s[6:7] scale_offset
	;; [unrolled: 1-line block ×3, first 2 shown]
	s_wait_loadcnt 0x1
	v_dual_lshlrev_b32 v14, 16, v3 :: v_dual_lshlrev_b32 v4, 16, v4
	s_wait_loadcnt 0x0
	v_lshlrev_b32_e32 v5, 16, v5
.LBB172_6:
	s_or_b32 exec_lo, exec_lo, s12
	v_dual_mov_b32 v2, 0 :: v_dual_mov_b32 v3, 0
	s_mov_b32 s12, exec_lo
	v_cmpx_gt_i32_e64 s2, v13
	s_cbranch_execz .LBB172_8
; %bb.7:
	v_add_nc_u32_e32 v2, s1, v13
	s_clause 0x2
	global_load_u16 v3, v2, s[8:9] scale_offset
	global_load_u16 v13, v2, s[6:7] scale_offset
	;; [unrolled: 1-line block ×3, first 2 shown]
	s_wait_loadcnt 0x1
	s_wait_xcnt 0x0
	v_dual_lshlrev_b32 v11, 16, v3 :: v_dual_lshlrev_b32 v2, 16, v13
	s_wait_loadcnt 0x0
	v_lshlrev_b32_e32 v3, 16, v16
.LBB172_8:
	s_or_b32 exec_lo, exec_lo, s12
	s_and_b32 s6, s3, 0xffff0000
	s_lshl_b32 s3, s3, 16
                                        ; implicit-def: $vgpr13
	s_and_saveexec_b32 s7, vcc_lo
	s_cbranch_execz .LBB172_10
; %bb.9:
	v_dual_mul_f32 v13, s6, v15 :: v_dual_mov_b32 v16, s3
	s_delay_alu instid0(VALU_DEP_1) | instskip(SKIP_1) | instid1(VALU_DEP_2)
	v_bfe_u32 v15, v13, 16, 1
	v_cmp_o_f32_e64 s0, v13, v13
	v_add3_u32 v15, v13, v15, 0x7fff
	s_delay_alu instid0(VALU_DEP_1) | instskip(NEXT) | instid1(VALU_DEP_1)
	v_and_b32_e32 v15, 0xffff0000, v15
	v_cndmask_b32_e64 v17, 0x7fc00000, v15, s0
	s_delay_alu instid0(VALU_DEP_1) | instskip(NEXT) | instid1(VALU_DEP_1)
	v_pk_mul_f32 v[8:9], v[8:9], v[16:17]
	v_dual_lshrrev_b32 v13, 16, v9 :: v_dual_lshrrev_b32 v15, 16, v8
	v_cmp_o_f32_e64 s0, v9, v9
	s_delay_alu instid0(VALU_DEP_2) | instskip(NEXT) | instid1(VALU_DEP_1)
	v_and_b32_e32 v13, 1, v13
	v_add3_u32 v13, v9, v13, 0x7fff
	s_delay_alu instid0(VALU_DEP_1) | instskip(NEXT) | instid1(VALU_DEP_1)
	v_and_b32_e32 v13, 0xffff0000, v13
	v_cndmask_b32_e64 v9, 0x7fc00000, v13, s0
	v_and_b32_e32 v15, 1, v15
	v_cmp_o_f32_e64 s0, v8, v8
	s_delay_alu instid0(VALU_DEP_2) | instskip(NEXT) | instid1(VALU_DEP_1)
	v_add3_u32 v15, v8, v15, 0x7fff
	v_and_b32_e32 v15, 0xffff0000, v15
	s_delay_alu instid0(VALU_DEP_1) | instskip(NEXT) | instid1(VALU_DEP_1)
	v_cndmask_b32_e64 v8, 0x7fc00000, v15, s0
	v_add_f32_e32 v8, v8, v9
	s_delay_alu instid0(VALU_DEP_1) | instskip(SKIP_1) | instid1(VALU_DEP_2)
	v_bfe_u32 v9, v8, 16, 1
	v_cmp_o_f32_e64 s0, v8, v8
	v_add3_u32 v9, v8, v9, 0x7fff
	s_delay_alu instid0(VALU_DEP_1) | instskip(NEXT) | instid1(VALU_DEP_1)
	v_lshrrev_b32_e32 v9, 16, v9
	v_cndmask_b32_e64 v13, 0x7fc0, v9, s0
.LBB172_10:
	s_or_b32 exec_lo, exec_lo, s7
	s_delay_alu instid0(SALU_CYCLE_1)
	s_mov_b32 s7, exec_lo
                                        ; implicit-def: $vgpr8
	v_cmpx_gt_i32_e64 s2, v1
	s_cbranch_execz .LBB172_12
; %bb.11:
	v_mul_f32_e32 v9, s6, v12
	s_delay_alu instid0(VALU_DEP_1) | instskip(NEXT) | instid1(VALU_DEP_1)
	v_bfe_u32 v8, v9, 16, 1
	v_add3_u32 v8, v9, v8, 0x7fff
	s_delay_alu instid0(VALU_DEP_1) | instskip(SKIP_2) | instid1(VALU_DEP_1)
	v_and_b32_e32 v12, 0xffff0000, v8
	v_mov_b32_e32 v8, s3
	v_cmp_o_f32_e64 s0, v9, v9
	v_cndmask_b32_e64 v9, 0x7fc00000, v12, s0
	s_delay_alu instid0(VALU_DEP_1) | instskip(NEXT) | instid1(VALU_DEP_1)
	v_pk_mul_f32 v[6:7], v[6:7], v[8:9]
	v_dual_lshrrev_b32 v8, 16, v7 :: v_dual_lshrrev_b32 v9, 16, v6
	v_cmp_o_f32_e64 s0, v7, v7
	s_delay_alu instid0(VALU_DEP_2) | instskip(NEXT) | instid1(VALU_DEP_3)
	v_and_b32_e32 v8, 1, v8
	v_and_b32_e32 v9, 1, v9
	s_delay_alu instid0(VALU_DEP_2) | instskip(NEXT) | instid1(VALU_DEP_2)
	v_add3_u32 v8, v7, v8, 0x7fff
	v_add3_u32 v9, v6, v9, 0x7fff
	s_delay_alu instid0(VALU_DEP_2) | instskip(NEXT) | instid1(VALU_DEP_2)
	v_and_b32_e32 v8, 0xffff0000, v8
	v_and_b32_e32 v9, 0xffff0000, v9
	s_delay_alu instid0(VALU_DEP_2) | instskip(SKIP_1) | instid1(VALU_DEP_1)
	v_cndmask_b32_e64 v7, 0x7fc00000, v8, s0
	v_cmp_o_f32_e64 s0, v6, v6
	v_cndmask_b32_e64 v6, 0x7fc00000, v9, s0
	s_delay_alu instid0(VALU_DEP_1) | instskip(NEXT) | instid1(VALU_DEP_1)
	v_add_f32_e32 v6, v6, v7
	v_bfe_u32 v7, v6, 16, 1
	v_cmp_o_f32_e64 s0, v6, v6
	s_delay_alu instid0(VALU_DEP_2) | instskip(NEXT) | instid1(VALU_DEP_1)
	v_add3_u32 v7, v6, v7, 0x7fff
	v_lshrrev_b32_e32 v7, 16, v7
	s_delay_alu instid0(VALU_DEP_1)
	v_cndmask_b32_e64 v8, 0x7fc0, v7, s0
.LBB172_12:
	s_or_b32 exec_lo, exec_lo, s7
	v_or_b32_e32 v6, 0x200, v0
	s_delay_alu instid0(VALU_DEP_1)
	v_cmp_gt_i32_e64 s0, s2, v6
                                        ; implicit-def: $vgpr6
	s_and_saveexec_b32 s7, s0
	s_cbranch_execz .LBB172_14
; %bb.13:
	v_mul_f32_e32 v7, s6, v14
	s_delay_alu instid0(VALU_DEP_1) | instskip(NEXT) | instid1(VALU_DEP_1)
	v_bfe_u32 v6, v7, 16, 1
	v_add3_u32 v6, v7, v6, 0x7fff
	s_delay_alu instid0(VALU_DEP_1) | instskip(SKIP_2) | instid1(VALU_DEP_1)
	v_and_b32_e32 v9, 0xffff0000, v6
	v_mov_b32_e32 v6, s3
	v_cmp_o_f32_e64 s0, v7, v7
	v_cndmask_b32_e64 v7, 0x7fc00000, v9, s0
	s_delay_alu instid0(VALU_DEP_1) | instskip(NEXT) | instid1(VALU_DEP_1)
	v_pk_mul_f32 v[4:5], v[4:5], v[6:7]
	v_dual_lshrrev_b32 v6, 16, v5 :: v_dual_lshrrev_b32 v7, 16, v4
	v_cmp_o_f32_e64 s0, v5, v5
	s_delay_alu instid0(VALU_DEP_2) | instskip(NEXT) | instid1(VALU_DEP_3)
	v_and_b32_e32 v6, 1, v6
	v_and_b32_e32 v7, 1, v7
	s_delay_alu instid0(VALU_DEP_2) | instskip(NEXT) | instid1(VALU_DEP_2)
	v_add3_u32 v6, v5, v6, 0x7fff
	v_add3_u32 v7, v4, v7, 0x7fff
	s_delay_alu instid0(VALU_DEP_2) | instskip(NEXT) | instid1(VALU_DEP_2)
	v_and_b32_e32 v6, 0xffff0000, v6
	v_and_b32_e32 v7, 0xffff0000, v7
	s_delay_alu instid0(VALU_DEP_2) | instskip(SKIP_1) | instid1(VALU_DEP_1)
	v_cndmask_b32_e64 v5, 0x7fc00000, v6, s0
	v_cmp_o_f32_e64 s0, v4, v4
	v_cndmask_b32_e64 v4, 0x7fc00000, v7, s0
	s_delay_alu instid0(VALU_DEP_1) | instskip(NEXT) | instid1(VALU_DEP_1)
	v_add_f32_e32 v4, v4, v5
	v_bfe_u32 v5, v4, 16, 1
	v_cmp_o_f32_e64 s0, v4, v4
	s_delay_alu instid0(VALU_DEP_2) | instskip(NEXT) | instid1(VALU_DEP_1)
	v_add3_u32 v5, v4, v5, 0x7fff
	v_lshrrev_b32_e32 v5, 16, v5
	s_delay_alu instid0(VALU_DEP_1)
	v_cndmask_b32_e64 v6, 0x7fc0, v5, s0
.LBB172_14:
	s_or_b32 exec_lo, exec_lo, s7
	v_or_b32_e32 v4, 0x300, v0
	s_delay_alu instid0(VALU_DEP_1)
	v_cmp_gt_i32_e64 s0, s2, v4
                                        ; implicit-def: $vgpr4
	s_and_saveexec_b32 s7, s0
	s_cbranch_execnz .LBB172_20
; %bb.15:
	s_or_b32 exec_lo, exec_lo, s7
	s_and_saveexec_b32 s0, vcc_lo
	s_delay_alu instid0(SALU_CYCLE_1)
	s_xor_b32 s0, exec_lo, s0
	s_cbranch_execnz .LBB172_21
.LBB172_16:
	s_or_b32 exec_lo, exec_lo, s0
	s_delay_alu instid0(SALU_CYCLE_1)
	s_mov_b32 s0, exec_lo
	v_cmpx_gt_i32_e64 s2, v0
	s_cbranch_execnz .LBB172_22
.LBB172_17:
	s_or_b32 exec_lo, exec_lo, s0
	s_delay_alu instid0(SALU_CYCLE_1)
	s_mov_b32 s0, exec_lo
	v_cmpx_gt_i32_e64 s2, v0
	s_cbranch_execnz .LBB172_23
.LBB172_18:
	s_or_b32 exec_lo, exec_lo, s0
	s_delay_alu instid0(SALU_CYCLE_1)
	s_mov_b32 s0, exec_lo
	v_cmpx_gt_i32_e64 s2, v0
	s_cbranch_execnz .LBB172_24
.LBB172_19:
	s_endpgm
.LBB172_20:
	v_mul_f32_e32 v5, s6, v11
	s_delay_alu instid0(VALU_DEP_1) | instskip(NEXT) | instid1(VALU_DEP_1)
	v_bfe_u32 v4, v5, 16, 1
	v_add3_u32 v4, v5, v4, 0x7fff
	s_delay_alu instid0(VALU_DEP_1) | instskip(SKIP_2) | instid1(VALU_DEP_1)
	v_and_b32_e32 v7, 0xffff0000, v4
	v_mov_b32_e32 v4, s3
	v_cmp_o_f32_e64 s0, v5, v5
	v_cndmask_b32_e64 v5, 0x7fc00000, v7, s0
	s_delay_alu instid0(VALU_DEP_1) | instskip(NEXT) | instid1(VALU_DEP_1)
	v_pk_mul_f32 v[2:3], v[2:3], v[4:5]
	v_dual_lshrrev_b32 v4, 16, v3 :: v_dual_lshrrev_b32 v5, 16, v2
	v_cmp_o_f32_e64 s0, v3, v3
	s_delay_alu instid0(VALU_DEP_2) | instskip(NEXT) | instid1(VALU_DEP_3)
	v_and_b32_e32 v4, 1, v4
	v_and_b32_e32 v5, 1, v5
	s_delay_alu instid0(VALU_DEP_2) | instskip(NEXT) | instid1(VALU_DEP_2)
	v_add3_u32 v4, v3, v4, 0x7fff
	v_add3_u32 v5, v2, v5, 0x7fff
	s_delay_alu instid0(VALU_DEP_2) | instskip(NEXT) | instid1(VALU_DEP_2)
	v_and_b32_e32 v4, 0xffff0000, v4
	v_and_b32_e32 v5, 0xffff0000, v5
	s_delay_alu instid0(VALU_DEP_2) | instskip(SKIP_1) | instid1(VALU_DEP_1)
	v_cndmask_b32_e64 v3, 0x7fc00000, v4, s0
	v_cmp_o_f32_e64 s0, v2, v2
	v_cndmask_b32_e64 v2, 0x7fc00000, v5, s0
	s_delay_alu instid0(VALU_DEP_1) | instskip(NEXT) | instid1(VALU_DEP_1)
	v_add_f32_e32 v2, v2, v3
	v_bfe_u32 v3, v2, 16, 1
	v_cmp_o_f32_e64 s0, v2, v2
	s_delay_alu instid0(VALU_DEP_2) | instskip(NEXT) | instid1(VALU_DEP_1)
	v_add3_u32 v3, v2, v3, 0x7fff
	v_lshrrev_b32_e32 v3, 16, v3
	s_delay_alu instid0(VALU_DEP_1) | instskip(SKIP_2) | instid1(SALU_CYCLE_1)
	v_cndmask_b32_e64 v4, 0x7fc0, v3, s0
	s_or_b32 exec_lo, exec_lo, s7
	s_and_saveexec_b32 s0, vcc_lo
	s_xor_b32 s0, exec_lo, s0
	s_cbranch_execz .LBB172_16
.LBB172_21:
	v_mov_b32_e32 v0, v1
	global_store_b16 v10, v13, s[4:5] scale_offset
	s_wait_xcnt 0x0
	s_or_b32 exec_lo, exec_lo, s0
	s_delay_alu instid0(SALU_CYCLE_1)
	s_mov_b32 s0, exec_lo
	v_cmpx_gt_i32_e64 s2, v0
	s_cbranch_execz .LBB172_17
.LBB172_22:
	v_add_nc_u32_e32 v1, 0x100, v0
	s_delay_alu instid0(VALU_DEP_1) | instskip(SKIP_3) | instid1(SALU_CYCLE_1)
	v_dual_add_nc_u32 v2, s1, v0 :: v_dual_mov_b32 v0, v1
	global_store_b16 v2, v8, s[4:5] scale_offset
	s_wait_xcnt 0x0
	s_or_b32 exec_lo, exec_lo, s0
	s_mov_b32 s0, exec_lo
	v_cmpx_gt_i32_e64 s2, v0
	s_cbranch_execz .LBB172_18
.LBB172_23:
	v_add_nc_u32_e32 v1, 0x100, v0
	s_delay_alu instid0(VALU_DEP_1) | instskip(SKIP_3) | instid1(SALU_CYCLE_1)
	v_dual_add_nc_u32 v2, s1, v0 :: v_dual_mov_b32 v0, v1
	global_store_b16 v2, v6, s[4:5] scale_offset
	s_wait_xcnt 0x0
	s_or_b32 exec_lo, exec_lo, s0
	s_mov_b32 s0, exec_lo
	v_cmpx_gt_i32_e64 s2, v0
	s_cbranch_execz .LBB172_19
.LBB172_24:
	v_add_nc_u32_e32 v0, s1, v0
	global_store_b16 v0, v4, s[4:5] scale_offset
	s_endpgm
	.section	.rodata,"a",@progbits
	.p2align	6, 0x0
	.amdhsa_kernel _ZN2at6native27unrolled_elementwise_kernelIZZZNS0_12_GLOBAL__N_116addr_kernel_cudaERNS_14TensorIteratorERKN3c106ScalarES8_ENKUlvE_clEvENKUlvE8_clEvEUlNS5_8BFloat16ESB_SB_E0_St5arrayIPcLm4EELi4E23TrivialOffsetCalculatorILi3EjESG_ILi1EjENS0_6memory15LoadWithoutCastENSJ_16StoreWithoutCastEEEviT_T0_T2_T3_T4_T5_
		.amdhsa_group_segment_fixed_size 0
		.amdhsa_private_segment_fixed_size 0
		.amdhsa_kernarg_size 44
		.amdhsa_user_sgpr_count 2
		.amdhsa_user_sgpr_dispatch_ptr 0
		.amdhsa_user_sgpr_queue_ptr 0
		.amdhsa_user_sgpr_kernarg_segment_ptr 1
		.amdhsa_user_sgpr_dispatch_id 0
		.amdhsa_user_sgpr_kernarg_preload_length 0
		.amdhsa_user_sgpr_kernarg_preload_offset 0
		.amdhsa_user_sgpr_private_segment_size 0
		.amdhsa_wavefront_size32 1
		.amdhsa_uses_dynamic_stack 0
		.amdhsa_enable_private_segment 0
		.amdhsa_system_sgpr_workgroup_id_x 1
		.amdhsa_system_sgpr_workgroup_id_y 0
		.amdhsa_system_sgpr_workgroup_id_z 0
		.amdhsa_system_sgpr_workgroup_info 0
		.amdhsa_system_vgpr_workitem_id 0
		.amdhsa_next_free_vgpr 18
		.amdhsa_next_free_sgpr 15
		.amdhsa_named_barrier_count 0
		.amdhsa_reserve_vcc 1
		.amdhsa_float_round_mode_32 0
		.amdhsa_float_round_mode_16_64 0
		.amdhsa_float_denorm_mode_32 3
		.amdhsa_float_denorm_mode_16_64 3
		.amdhsa_fp16_overflow 0
		.amdhsa_memory_ordered 1
		.amdhsa_forward_progress 1
		.amdhsa_inst_pref_size 15
		.amdhsa_round_robin_scheduling 0
		.amdhsa_exception_fp_ieee_invalid_op 0
		.amdhsa_exception_fp_denorm_src 0
		.amdhsa_exception_fp_ieee_div_zero 0
		.amdhsa_exception_fp_ieee_overflow 0
		.amdhsa_exception_fp_ieee_underflow 0
		.amdhsa_exception_fp_ieee_inexact 0
		.amdhsa_exception_int_div_zero 0
	.end_amdhsa_kernel
	.section	.text._ZN2at6native27unrolled_elementwise_kernelIZZZNS0_12_GLOBAL__N_116addr_kernel_cudaERNS_14TensorIteratorERKN3c106ScalarES8_ENKUlvE_clEvENKUlvE8_clEvEUlNS5_8BFloat16ESB_SB_E0_St5arrayIPcLm4EELi4E23TrivialOffsetCalculatorILi3EjESG_ILi1EjENS0_6memory15LoadWithoutCastENSJ_16StoreWithoutCastEEEviT_T0_T2_T3_T4_T5_,"axG",@progbits,_ZN2at6native27unrolled_elementwise_kernelIZZZNS0_12_GLOBAL__N_116addr_kernel_cudaERNS_14TensorIteratorERKN3c106ScalarES8_ENKUlvE_clEvENKUlvE8_clEvEUlNS5_8BFloat16ESB_SB_E0_St5arrayIPcLm4EELi4E23TrivialOffsetCalculatorILi3EjESG_ILi1EjENS0_6memory15LoadWithoutCastENSJ_16StoreWithoutCastEEEviT_T0_T2_T3_T4_T5_,comdat
.Lfunc_end172:
	.size	_ZN2at6native27unrolled_elementwise_kernelIZZZNS0_12_GLOBAL__N_116addr_kernel_cudaERNS_14TensorIteratorERKN3c106ScalarES8_ENKUlvE_clEvENKUlvE8_clEvEUlNS5_8BFloat16ESB_SB_E0_St5arrayIPcLm4EELi4E23TrivialOffsetCalculatorILi3EjESG_ILi1EjENS0_6memory15LoadWithoutCastENSJ_16StoreWithoutCastEEEviT_T0_T2_T3_T4_T5_, .Lfunc_end172-_ZN2at6native27unrolled_elementwise_kernelIZZZNS0_12_GLOBAL__N_116addr_kernel_cudaERNS_14TensorIteratorERKN3c106ScalarES8_ENKUlvE_clEvENKUlvE8_clEvEUlNS5_8BFloat16ESB_SB_E0_St5arrayIPcLm4EELi4E23TrivialOffsetCalculatorILi3EjESG_ILi1EjENS0_6memory15LoadWithoutCastENSJ_16StoreWithoutCastEEEviT_T0_T2_T3_T4_T5_
                                        ; -- End function
	.set _ZN2at6native27unrolled_elementwise_kernelIZZZNS0_12_GLOBAL__N_116addr_kernel_cudaERNS_14TensorIteratorERKN3c106ScalarES8_ENKUlvE_clEvENKUlvE8_clEvEUlNS5_8BFloat16ESB_SB_E0_St5arrayIPcLm4EELi4E23TrivialOffsetCalculatorILi3EjESG_ILi1EjENS0_6memory15LoadWithoutCastENSJ_16StoreWithoutCastEEEviT_T0_T2_T3_T4_T5_.num_vgpr, 18
	.set _ZN2at6native27unrolled_elementwise_kernelIZZZNS0_12_GLOBAL__N_116addr_kernel_cudaERNS_14TensorIteratorERKN3c106ScalarES8_ENKUlvE_clEvENKUlvE8_clEvEUlNS5_8BFloat16ESB_SB_E0_St5arrayIPcLm4EELi4E23TrivialOffsetCalculatorILi3EjESG_ILi1EjENS0_6memory15LoadWithoutCastENSJ_16StoreWithoutCastEEEviT_T0_T2_T3_T4_T5_.num_agpr, 0
	.set _ZN2at6native27unrolled_elementwise_kernelIZZZNS0_12_GLOBAL__N_116addr_kernel_cudaERNS_14TensorIteratorERKN3c106ScalarES8_ENKUlvE_clEvENKUlvE8_clEvEUlNS5_8BFloat16ESB_SB_E0_St5arrayIPcLm4EELi4E23TrivialOffsetCalculatorILi3EjESG_ILi1EjENS0_6memory15LoadWithoutCastENSJ_16StoreWithoutCastEEEviT_T0_T2_T3_T4_T5_.numbered_sgpr, 15
	.set _ZN2at6native27unrolled_elementwise_kernelIZZZNS0_12_GLOBAL__N_116addr_kernel_cudaERNS_14TensorIteratorERKN3c106ScalarES8_ENKUlvE_clEvENKUlvE8_clEvEUlNS5_8BFloat16ESB_SB_E0_St5arrayIPcLm4EELi4E23TrivialOffsetCalculatorILi3EjESG_ILi1EjENS0_6memory15LoadWithoutCastENSJ_16StoreWithoutCastEEEviT_T0_T2_T3_T4_T5_.num_named_barrier, 0
	.set _ZN2at6native27unrolled_elementwise_kernelIZZZNS0_12_GLOBAL__N_116addr_kernel_cudaERNS_14TensorIteratorERKN3c106ScalarES8_ENKUlvE_clEvENKUlvE8_clEvEUlNS5_8BFloat16ESB_SB_E0_St5arrayIPcLm4EELi4E23TrivialOffsetCalculatorILi3EjESG_ILi1EjENS0_6memory15LoadWithoutCastENSJ_16StoreWithoutCastEEEviT_T0_T2_T3_T4_T5_.private_seg_size, 0
	.set _ZN2at6native27unrolled_elementwise_kernelIZZZNS0_12_GLOBAL__N_116addr_kernel_cudaERNS_14TensorIteratorERKN3c106ScalarES8_ENKUlvE_clEvENKUlvE8_clEvEUlNS5_8BFloat16ESB_SB_E0_St5arrayIPcLm4EELi4E23TrivialOffsetCalculatorILi3EjESG_ILi1EjENS0_6memory15LoadWithoutCastENSJ_16StoreWithoutCastEEEviT_T0_T2_T3_T4_T5_.uses_vcc, 1
	.set _ZN2at6native27unrolled_elementwise_kernelIZZZNS0_12_GLOBAL__N_116addr_kernel_cudaERNS_14TensorIteratorERKN3c106ScalarES8_ENKUlvE_clEvENKUlvE8_clEvEUlNS5_8BFloat16ESB_SB_E0_St5arrayIPcLm4EELi4E23TrivialOffsetCalculatorILi3EjESG_ILi1EjENS0_6memory15LoadWithoutCastENSJ_16StoreWithoutCastEEEviT_T0_T2_T3_T4_T5_.uses_flat_scratch, 0
	.set _ZN2at6native27unrolled_elementwise_kernelIZZZNS0_12_GLOBAL__N_116addr_kernel_cudaERNS_14TensorIteratorERKN3c106ScalarES8_ENKUlvE_clEvENKUlvE8_clEvEUlNS5_8BFloat16ESB_SB_E0_St5arrayIPcLm4EELi4E23TrivialOffsetCalculatorILi3EjESG_ILi1EjENS0_6memory15LoadWithoutCastENSJ_16StoreWithoutCastEEEviT_T0_T2_T3_T4_T5_.has_dyn_sized_stack, 0
	.set _ZN2at6native27unrolled_elementwise_kernelIZZZNS0_12_GLOBAL__N_116addr_kernel_cudaERNS_14TensorIteratorERKN3c106ScalarES8_ENKUlvE_clEvENKUlvE8_clEvEUlNS5_8BFloat16ESB_SB_E0_St5arrayIPcLm4EELi4E23TrivialOffsetCalculatorILi3EjESG_ILi1EjENS0_6memory15LoadWithoutCastENSJ_16StoreWithoutCastEEEviT_T0_T2_T3_T4_T5_.has_recursion, 0
	.set _ZN2at6native27unrolled_elementwise_kernelIZZZNS0_12_GLOBAL__N_116addr_kernel_cudaERNS_14TensorIteratorERKN3c106ScalarES8_ENKUlvE_clEvENKUlvE8_clEvEUlNS5_8BFloat16ESB_SB_E0_St5arrayIPcLm4EELi4E23TrivialOffsetCalculatorILi3EjESG_ILi1EjENS0_6memory15LoadWithoutCastENSJ_16StoreWithoutCastEEEviT_T0_T2_T3_T4_T5_.has_indirect_call, 0
	.section	.AMDGPU.csdata,"",@progbits
; Kernel info:
; codeLenInByte = 1920
; TotalNumSgprs: 17
; NumVgprs: 18
; ScratchSize: 0
; MemoryBound: 0
; FloatMode: 240
; IeeeMode: 1
; LDSByteSize: 0 bytes/workgroup (compile time only)
; SGPRBlocks: 0
; VGPRBlocks: 1
; NumSGPRsForWavesPerEU: 17
; NumVGPRsForWavesPerEU: 18
; NamedBarCnt: 0
; Occupancy: 16
; WaveLimiterHint : 0
; COMPUTE_PGM_RSRC2:SCRATCH_EN: 0
; COMPUTE_PGM_RSRC2:USER_SGPR: 2
; COMPUTE_PGM_RSRC2:TRAP_HANDLER: 0
; COMPUTE_PGM_RSRC2:TGID_X_EN: 1
; COMPUTE_PGM_RSRC2:TGID_Y_EN: 0
; COMPUTE_PGM_RSRC2:TGID_Z_EN: 0
; COMPUTE_PGM_RSRC2:TIDIG_COMP_CNT: 0
	.section	.text._ZN2at6native32elementwise_kernel_manual_unrollILi128ELi8EZNS0_22gpu_kernel_impl_nocastIZZZNS0_12_GLOBAL__N_116addr_kernel_cudaERNS_14TensorIteratorERKN3c106ScalarES9_ENKUlvE_clEvENKUlvE8_clEvEUlNS6_8BFloat16ESC_SC_E0_EEvRNS_18TensorIteratorBaseERKT_EUlibE_EEviT1_,"axG",@progbits,_ZN2at6native32elementwise_kernel_manual_unrollILi128ELi8EZNS0_22gpu_kernel_impl_nocastIZZZNS0_12_GLOBAL__N_116addr_kernel_cudaERNS_14TensorIteratorERKN3c106ScalarES9_ENKUlvE_clEvENKUlvE8_clEvEUlNS6_8BFloat16ESC_SC_E0_EEvRNS_18TensorIteratorBaseERKT_EUlibE_EEviT1_,comdat
	.globl	_ZN2at6native32elementwise_kernel_manual_unrollILi128ELi8EZNS0_22gpu_kernel_impl_nocastIZZZNS0_12_GLOBAL__N_116addr_kernel_cudaERNS_14TensorIteratorERKN3c106ScalarES9_ENKUlvE_clEvENKUlvE8_clEvEUlNS6_8BFloat16ESC_SC_E0_EEvRNS_18TensorIteratorBaseERKT_EUlibE_EEviT1_ ; -- Begin function _ZN2at6native32elementwise_kernel_manual_unrollILi128ELi8EZNS0_22gpu_kernel_impl_nocastIZZZNS0_12_GLOBAL__N_116addr_kernel_cudaERNS_14TensorIteratorERKN3c106ScalarES9_ENKUlvE_clEvENKUlvE8_clEvEUlNS6_8BFloat16ESC_SC_E0_EEvRNS_18TensorIteratorBaseERKT_EUlibE_EEviT1_
	.p2align	8
	.type	_ZN2at6native32elementwise_kernel_manual_unrollILi128ELi8EZNS0_22gpu_kernel_impl_nocastIZZZNS0_12_GLOBAL__N_116addr_kernel_cudaERNS_14TensorIteratorERKN3c106ScalarES9_ENKUlvE_clEvENKUlvE8_clEvEUlNS6_8BFloat16ESC_SC_E0_EEvRNS_18TensorIteratorBaseERKT_EUlibE_EEviT1_,@function
_ZN2at6native32elementwise_kernel_manual_unrollILi128ELi8EZNS0_22gpu_kernel_impl_nocastIZZZNS0_12_GLOBAL__N_116addr_kernel_cudaERNS_14TensorIteratorERKN3c106ScalarES9_ENKUlvE_clEvENKUlvE8_clEvEUlNS6_8BFloat16ESC_SC_E0_EEvRNS_18TensorIteratorBaseERKT_EUlibE_EEviT1_: ; @_ZN2at6native32elementwise_kernel_manual_unrollILi128ELi8EZNS0_22gpu_kernel_impl_nocastIZZZNS0_12_GLOBAL__N_116addr_kernel_cudaERNS_14TensorIteratorERKN3c106ScalarES9_ENKUlvE_clEvENKUlvE8_clEvEUlNS6_8BFloat16ESC_SC_E0_EEvRNS_18TensorIteratorBaseERKT_EUlibE_EEviT1_
; %bb.0:
	s_clause 0x1
	s_load_b32 s33, s[0:1], 0x8
	s_load_b32 s39, s[0:1], 0x0
	s_bfe_u32 s2, ttmp6, 0x4000c
	s_and_b32 s3, ttmp6, 15
	s_add_co_i32 s2, s2, 1
	s_getreg_b32 s4, hwreg(HW_REG_IB_STS2, 6, 4)
	s_mul_i32 s2, ttmp9, s2
	s_add_nc_u64 s[20:21], s[0:1], 8
	s_add_co_i32 s3, s3, s2
	s_cmp_eq_u32 s4, 0
	s_mov_b32 s25, 0
	s_cselect_b32 s2, ttmp9, s3
	s_wait_xcnt 0x0
	s_mov_b32 s0, exec_lo
	v_lshl_or_b32 v0, s2, 10, v0
	s_delay_alu instid0(VALU_DEP_1) | instskip(SKIP_2) | instid1(SALU_CYCLE_1)
	v_or_b32_e32 v7, 0x380, v0
	s_wait_kmcnt 0x0
	s_add_co_i32 s34, s33, -1
	s_cmp_gt_u32 s34, 1
	s_cselect_b32 s35, -1, 0
	v_cmpx_le_i32_e64 s39, v7
	s_xor_b32 s36, exec_lo, s0
	s_cbranch_execz .LBB173_106
; %bb.1:
	s_clause 0x4
	s_load_b128 s[16:19], s[20:21], 0x4
	s_load_b64 s[22:23], s[20:21], 0x14
	s_load_b32 s28, s[20:21], 0x1e8
	s_load_b256 s[8:15], s[20:21], 0xc4
	s_load_b256 s[0:7], s[20:21], 0x1c8
	s_cmp_lg_u32 s33, 0
	s_mov_b32 s27, s25
	s_cselect_b32 s40, -1, 0
	s_min_u32 s38, s34, 15
	s_cmp_gt_u32 s33, 1
	s_mov_b32 s41, exec_lo
	s_cselect_b32 s37, -1, 0
	s_wait_kmcnt 0x0
	s_mov_b32 s24, s17
	s_mov_b32 s26, s22
	s_lshl_b32 s17, s28, 16
	s_pack_lh_b32_b16 s22, 0, s28
	v_cmpx_gt_i32_e64 s39, v0
	s_cbranch_execnz .LBB173_9
; %bb.2:
	s_or_b32 exec_lo, exec_lo, s41
	s_delay_alu instid0(SALU_CYCLE_1)
	s_mov_b32 s41, exec_lo
	v_cmpx_gt_i32_e64 s39, v0
	s_cbranch_execnz .LBB173_21
.LBB173_3:
	s_or_b32 exec_lo, exec_lo, s41
	s_delay_alu instid0(SALU_CYCLE_1)
	s_mov_b32 s41, exec_lo
	v_cmpx_gt_i32_e64 s39, v0
	s_cbranch_execnz .LBB173_33
.LBB173_4:
	s_or_b32 exec_lo, exec_lo, s41
	s_delay_alu instid0(SALU_CYCLE_1)
	s_mov_b32 s41, exec_lo
	v_cmpx_gt_i32_e64 s39, v0
	s_cbranch_execnz .LBB173_45
.LBB173_5:
	s_or_b32 exec_lo, exec_lo, s41
	s_delay_alu instid0(SALU_CYCLE_1)
	s_mov_b32 s41, exec_lo
	v_cmpx_gt_i32_e64 s39, v0
	s_cbranch_execnz .LBB173_57
.LBB173_6:
	s_or_b32 exec_lo, exec_lo, s41
	s_delay_alu instid0(SALU_CYCLE_1)
	s_mov_b32 s41, exec_lo
	v_cmpx_gt_i32_e64 s39, v0
	s_cbranch_execnz .LBB173_69
.LBB173_7:
	s_or_b32 exec_lo, exec_lo, s41
	s_delay_alu instid0(SALU_CYCLE_1)
	s_mov_b32 s41, exec_lo
	v_cmpx_gt_i32_e64 s39, v0
	s_cbranch_execnz .LBB173_81
.LBB173_8:
	s_or_b32 exec_lo, exec_lo, s41
	v_cmp_gt_i32_e32 vcc_lo, s39, v0
	s_and_saveexec_b32 s39, vcc_lo
	s_cbranch_execnz .LBB173_93
	s_branch .LBB173_105
.LBB173_9:
	s_and_not1_b32 vcc_lo, exec_lo, s35
	s_cbranch_vccnz .LBB173_15
; %bb.10:
	s_and_not1_b32 vcc_lo, exec_lo, s40
	s_cbranch_vccnz .LBB173_16
; %bb.11:
	v_dual_mov_b32 v5, 0 :: v_dual_mov_b32 v1, v0
	v_dual_mov_b32 v7, 0 :: v_dual_mov_b32 v4, 0
	v_mov_b32_e32 v6, 0
	s_add_co_i32 s30, s38, 1
	s_mov_b64 s[28:29], 0xffffffffffffffe0
	s_and_b32 s42, s30, 30
	s_add_nc_u64 s[28:29], s[20:21], s[28:29]
	s_mov_b64 s[30:31], s[20:21]
.LBB173_12:                             ; =>This Inner Loop Header: Depth=1
	s_clause 0x1
	s_load_b128 s[52:55], s[30:31], 0x4
	s_load_b64 s[56:57], s[30:31], 0x14
	s_load_b256 s[44:51], s[28:29], 0xe4
	s_add_co_i32 s42, s42, -2
	s_wait_xcnt 0x0
	s_add_nc_u64 s[30:31], s[30:31], 24
	s_cmp_lg_u32 s42, 0
	s_add_nc_u64 s[28:29], s[28:29], 32
	s_wait_kmcnt 0x0
	v_mul_hi_u32 v2, s53, v1
	s_delay_alu instid0(VALU_DEP_1) | instskip(NEXT) | instid1(VALU_DEP_1)
	v_add_nc_u32_e32 v2, v1, v2
	v_lshrrev_b32_e32 v2, s54, v2
	s_delay_alu instid0(VALU_DEP_1) | instskip(SKIP_1) | instid1(VALU_DEP_1)
	v_mul_hi_u32 v3, s56, v2
	v_mul_lo_u32 v8, v2, s52
	v_dual_add_nc_u32 v3, v2, v3 :: v_dual_sub_nc_u32 v8, v1, v8
	s_delay_alu instid0(VALU_DEP_1) | instskip(NEXT) | instid1(VALU_DEP_2)
	v_lshrrev_b32_e32 v1, s57, v3
	v_mad_u32 v6, v8, s45, v6
	v_mad_u32 v4, v8, s44, v4
	;; [unrolled: 1-line block ×4, first 2 shown]
	v_mul_lo_u32 v3, v1, s55
	s_delay_alu instid0(VALU_DEP_1) | instskip(NEXT) | instid1(VALU_DEP_1)
	v_sub_nc_u32_e32 v2, v2, v3
	v_mad_u32 v6, v2, s49, v6
	v_mad_u32 v4, v2, s48, v4
	v_mad_u32 v7, v2, s51, v7
	v_mad_u32 v5, v2, s50, v5
	s_cbranch_scc1 .LBB173_12
; %bb.13:
	s_bitcmp1_b32 s38, 0
	s_cselect_b32 s42, -1, 0
	s_delay_alu instid0(SALU_CYCLE_1)
	s_and_b32 vcc_lo, exec_lo, s42
	s_cbranch_vccnz .LBB173_17
; %bb.14:
	s_load_b96 s[48:50], s[30:31], 0x4
	s_load_b128 s[44:47], s[28:29], 0xe4
	s_wait_xcnt 0x0
	s_wait_kmcnt 0x0
	v_mul_hi_u32 v2, s49, v1
	s_delay_alu instid0(VALU_DEP_1) | instskip(NEXT) | instid1(VALU_DEP_1)
	v_add_nc_u32_e32 v2, v1, v2
	v_lshrrev_b32_e32 v2, s50, v2
	s_delay_alu instid0(VALU_DEP_1) | instskip(NEXT) | instid1(VALU_DEP_1)
	v_mul_lo_u32 v2, v2, s48
	v_sub_nc_u32_e32 v1, v1, v2
	s_delay_alu instid0(VALU_DEP_1)
	v_mad_u32 v4, v1, s44, v4
	v_mad_u32 v6, v1, s45, v6
	;; [unrolled: 1-line block ×4, first 2 shown]
	s_cbranch_execz .LBB173_18
	s_branch .LBB173_20
.LBB173_15:
                                        ; implicit-def: $vgpr6
                                        ; implicit-def: $vgpr4
                                        ; implicit-def: $vgpr7
                                        ; implicit-def: $vgpr5
	s_branch .LBB173_18
.LBB173_16:
	v_dual_mov_b32 v6, 0 :: v_dual_mov_b32 v4, 0
	v_dual_mov_b32 v7, 0 :: v_dual_mov_b32 v5, 0
.LBB173_17:
	s_cbranch_execnz .LBB173_20
.LBB173_18:
	v_mov_b32_e32 v1, 0
	s_and_not1_b32 vcc_lo, exec_lo, s37
	s_delay_alu instid0(VALU_DEP_1) | instskip(NEXT) | instid1(VALU_DEP_1)
	v_mul_u64_e32 v[2:3], s[24:25], v[0:1]
	v_add_nc_u32_e32 v2, v0, v3
	s_delay_alu instid0(VALU_DEP_1) | instskip(NEXT) | instid1(VALU_DEP_1)
	v_lshrrev_b32_e32 v2, s18, v2
	v_mul_lo_u32 v3, v2, s16
	s_delay_alu instid0(VALU_DEP_1) | instskip(NEXT) | instid1(VALU_DEP_1)
	v_sub_nc_u32_e32 v3, v0, v3
	v_mul_lo_u32 v6, v3, s9
	v_mul_lo_u32 v4, v3, s8
	v_mul_lo_u32 v7, v3, s11
	v_mul_lo_u32 v5, v3, s10
	s_cbranch_vccnz .LBB173_20
; %bb.19:
	v_mov_b32_e32 v3, v1
	s_delay_alu instid0(VALU_DEP_1) | instskip(NEXT) | instid1(VALU_DEP_1)
	v_mul_u64_e32 v[8:9], s[26:27], v[2:3]
	v_add_nc_u32_e32 v1, v2, v9
	s_delay_alu instid0(VALU_DEP_1) | instskip(NEXT) | instid1(VALU_DEP_1)
	v_lshrrev_b32_e32 v1, s23, v1
	v_mul_lo_u32 v1, v1, s19
	s_delay_alu instid0(VALU_DEP_1) | instskip(NEXT) | instid1(VALU_DEP_1)
	v_sub_nc_u32_e32 v1, v2, v1
	v_mad_u32 v4, v1, s12, v4
	v_mad_u32 v6, v1, s13, v6
	v_mad_u32 v5, v1, s14, v5
	v_mad_u32 v7, v1, s15, v7
.LBB173_20:
	global_load_u16 v1, v5, s[4:5]
	global_load_u16 v3, v7, s[6:7]
	;; [unrolled: 1-line block ×3, first 2 shown]
	v_add_nc_u32_e32 v0, 0x80, v0
	s_wait_loadcnt 0x1
	s_wait_xcnt 0x1
	v_dual_lshlrev_b32 v1, 16, v1 :: v_dual_lshlrev_b32 v7, 16, v3
	s_delay_alu instid0(VALU_DEP_1) | instskip(NEXT) | instid1(VALU_DEP_1)
	v_mul_f32_e32 v1, s22, v1
	v_bfe_u32 v2, v1, 16, 1
	v_cmp_o_f32_e32 vcc_lo, v1, v1
	s_delay_alu instid0(VALU_DEP_2) | instskip(NEXT) | instid1(VALU_DEP_1)
	v_add3_u32 v2, v1, v2, 0x7fff
	v_and_b32_e32 v5, 0xffff0000, v2
	s_wait_loadcnt 0x0
	v_dual_mov_b32 v2, s17 :: v_dual_lshlrev_b32 v6, 16, v8
	s_delay_alu instid0(VALU_DEP_2) | instskip(NEXT) | instid1(VALU_DEP_1)
	v_cndmask_b32_e32 v3, 0x7fc00000, v5, vcc_lo
	v_pk_mul_f32 v[2:3], v[2:3], v[6:7]
	s_delay_alu instid0(VALU_DEP_1) | instskip(SKIP_1) | instid1(VALU_DEP_2)
	v_dual_lshrrev_b32 v1, 16, v3 :: v_dual_lshrrev_b32 v5, 16, v2
	v_cmp_o_f32_e32 vcc_lo, v3, v3
	v_and_b32_e32 v1, 1, v1
	s_delay_alu instid0(VALU_DEP_3) | instskip(NEXT) | instid1(VALU_DEP_2)
	v_and_b32_e32 v5, 1, v5
	v_add3_u32 v1, v3, v1, 0x7fff
	s_delay_alu instid0(VALU_DEP_2) | instskip(NEXT) | instid1(VALU_DEP_2)
	v_add3_u32 v5, v2, v5, 0x7fff
	v_and_b32_e32 v1, 0xffff0000, v1
	s_delay_alu instid0(VALU_DEP_2) | instskip(NEXT) | instid1(VALU_DEP_2)
	v_and_b32_e32 v5, 0xffff0000, v5
	v_cndmask_b32_e32 v1, 0x7fc00000, v1, vcc_lo
	v_cmp_o_f32_e32 vcc_lo, v2, v2
	s_delay_alu instid0(VALU_DEP_3) | instskip(NEXT) | instid1(VALU_DEP_1)
	v_cndmask_b32_e32 v2, 0x7fc00000, v5, vcc_lo
	v_add_f32_e32 v1, v2, v1
	s_delay_alu instid0(VALU_DEP_1) | instskip(SKIP_1) | instid1(VALU_DEP_2)
	v_bfe_u32 v2, v1, 16, 1
	v_cmp_o_f32_e32 vcc_lo, v1, v1
	v_add3_u32 v2, v1, v2, 0x7fff
	s_delay_alu instid0(VALU_DEP_1) | instskip(NEXT) | instid1(VALU_DEP_1)
	v_lshrrev_b32_e32 v2, 16, v2
	v_cndmask_b32_e32 v1, 0x7fc0, v2, vcc_lo
	global_store_b16 v4, v1, s[0:1]
	s_wait_xcnt 0x0
	s_or_b32 exec_lo, exec_lo, s41
	s_delay_alu instid0(SALU_CYCLE_1)
	s_mov_b32 s41, exec_lo
	v_cmpx_gt_i32_e64 s39, v0
	s_cbranch_execz .LBB173_3
.LBB173_21:
	s_and_not1_b32 vcc_lo, exec_lo, s35
	s_cbranch_vccnz .LBB173_27
; %bb.22:
	s_and_not1_b32 vcc_lo, exec_lo, s40
	s_cbranch_vccnz .LBB173_28
; %bb.23:
	v_dual_mov_b32 v6, 0 :: v_dual_mov_b32 v1, v0
	v_dual_mov_b32 v7, 0 :: v_dual_mov_b32 v4, 0
	v_mov_b32_e32 v5, 0
	s_add_co_i32 s30, s38, 1
	s_mov_b64 s[28:29], 0xffffffffffffffe0
	s_and_b32 s42, s30, 30
	s_add_nc_u64 s[28:29], s[20:21], s[28:29]
	s_mov_b64 s[30:31], s[20:21]
.LBB173_24:                             ; =>This Inner Loop Header: Depth=1
	s_clause 0x1
	s_load_b128 s[52:55], s[30:31], 0x4
	s_load_b64 s[56:57], s[30:31], 0x14
	s_load_b256 s[44:51], s[28:29], 0xe4
	s_add_co_i32 s42, s42, -2
	s_wait_xcnt 0x0
	s_add_nc_u64 s[30:31], s[30:31], 24
	s_cmp_eq_u32 s42, 0
	s_add_nc_u64 s[28:29], s[28:29], 32
	s_wait_kmcnt 0x0
	v_mul_hi_u32 v2, s53, v1
	s_delay_alu instid0(VALU_DEP_1) | instskip(NEXT) | instid1(VALU_DEP_1)
	v_add_nc_u32_e32 v2, v1, v2
	v_lshrrev_b32_e32 v2, s54, v2
	s_delay_alu instid0(VALU_DEP_1) | instskip(SKIP_1) | instid1(VALU_DEP_1)
	v_mul_hi_u32 v3, s56, v2
	v_mul_lo_u32 v8, v2, s52
	v_dual_add_nc_u32 v3, v2, v3 :: v_dual_sub_nc_u32 v8, v1, v8
	s_delay_alu instid0(VALU_DEP_1) | instskip(NEXT) | instid1(VALU_DEP_2)
	v_lshrrev_b32_e32 v1, s57, v3
	v_mad_u32 v5, v8, s45, v5
	v_mad_u32 v4, v8, s44, v4
	;; [unrolled: 1-line block ×4, first 2 shown]
	v_mul_lo_u32 v3, v1, s55
	s_delay_alu instid0(VALU_DEP_1) | instskip(NEXT) | instid1(VALU_DEP_1)
	v_sub_nc_u32_e32 v2, v2, v3
	v_mad_u32 v5, v2, s49, v5
	v_mad_u32 v4, v2, s48, v4
	;; [unrolled: 1-line block ×4, first 2 shown]
	s_cbranch_scc0 .LBB173_24
; %bb.25:
	s_bitcmp1_b32 s38, 0
	s_cselect_b32 s42, -1, 0
	s_delay_alu instid0(SALU_CYCLE_1)
	s_and_b32 vcc_lo, exec_lo, s42
	s_cbranch_vccnz .LBB173_29
; %bb.26:
	s_load_b96 s[48:50], s[30:31], 0x4
	s_load_b128 s[44:47], s[28:29], 0xe4
	s_wait_kmcnt 0x0
	v_mul_hi_u32 v2, s49, v1
	s_delay_alu instid0(VALU_DEP_1) | instskip(NEXT) | instid1(VALU_DEP_1)
	v_add_nc_u32_e32 v2, v1, v2
	v_lshrrev_b32_e32 v2, s50, v2
	s_delay_alu instid0(VALU_DEP_1) | instskip(NEXT) | instid1(VALU_DEP_1)
	v_mul_lo_u32 v2, v2, s48
	v_sub_nc_u32_e32 v1, v1, v2
	s_delay_alu instid0(VALU_DEP_1)
	v_mad_u32 v4, v1, s44, v4
	v_mad_u32 v5, v1, s45, v5
	;; [unrolled: 1-line block ×4, first 2 shown]
	s_branch .LBB173_29
.LBB173_27:
                                        ; implicit-def: $vgpr5
                                        ; implicit-def: $vgpr4
                                        ; implicit-def: $vgpr7
                                        ; implicit-def: $vgpr6
	s_branch .LBB173_30
.LBB173_28:
	v_dual_mov_b32 v5, 0 :: v_dual_mov_b32 v4, 0
	v_dual_mov_b32 v7, 0 :: v_dual_mov_b32 v6, 0
.LBB173_29:
	s_cbranch_execnz .LBB173_32
.LBB173_30:
	v_mov_b32_e32 v1, 0
	s_and_not1_b32 vcc_lo, exec_lo, s37
	s_delay_alu instid0(VALU_DEP_1) | instskip(NEXT) | instid1(VALU_DEP_1)
	v_mul_u64_e32 v[2:3], s[24:25], v[0:1]
	v_add_nc_u32_e32 v2, v0, v3
	s_delay_alu instid0(VALU_DEP_1) | instskip(NEXT) | instid1(VALU_DEP_1)
	v_lshrrev_b32_e32 v2, s18, v2
	v_mul_lo_u32 v3, v2, s16
	s_delay_alu instid0(VALU_DEP_1) | instskip(NEXT) | instid1(VALU_DEP_1)
	v_sub_nc_u32_e32 v3, v0, v3
	v_mul_lo_u32 v5, v3, s9
	v_mul_lo_u32 v4, v3, s8
	;; [unrolled: 1-line block ×4, first 2 shown]
	s_cbranch_vccnz .LBB173_32
; %bb.31:
	v_mov_b32_e32 v3, v1
	s_delay_alu instid0(VALU_DEP_1) | instskip(NEXT) | instid1(VALU_DEP_1)
	v_mul_u64_e32 v[8:9], s[26:27], v[2:3]
	v_add_nc_u32_e32 v1, v2, v9
	s_delay_alu instid0(VALU_DEP_1) | instskip(NEXT) | instid1(VALU_DEP_1)
	v_lshrrev_b32_e32 v1, s23, v1
	v_mul_lo_u32 v1, v1, s19
	s_delay_alu instid0(VALU_DEP_1) | instskip(NEXT) | instid1(VALU_DEP_1)
	v_sub_nc_u32_e32 v1, v2, v1
	v_mad_u32 v4, v1, s12, v4
	v_mad_u32 v5, v1, s13, v5
	;; [unrolled: 1-line block ×4, first 2 shown]
.LBB173_32:
	global_load_u16 v1, v6, s[4:5]
	global_load_u16 v3, v7, s[6:7]
	;; [unrolled: 1-line block ×3, first 2 shown]
	v_add_nc_u32_e32 v0, 0x80, v0
	s_wait_loadcnt 0x1
	s_wait_xcnt 0x1
	v_dual_lshlrev_b32 v1, 16, v1 :: v_dual_lshlrev_b32 v7, 16, v3
	s_delay_alu instid0(VALU_DEP_1) | instskip(NEXT) | instid1(VALU_DEP_1)
	v_mul_f32_e32 v1, s22, v1
	v_bfe_u32 v2, v1, 16, 1
	v_cmp_o_f32_e32 vcc_lo, v1, v1
	s_delay_alu instid0(VALU_DEP_2) | instskip(SKIP_1) | instid1(VALU_DEP_1)
	v_add3_u32 v2, v1, v2, 0x7fff
	s_wait_xcnt 0x0
	v_and_b32_e32 v5, 0xffff0000, v2
	s_wait_loadcnt 0x0
	v_dual_mov_b32 v2, s17 :: v_dual_lshlrev_b32 v6, 16, v8
	s_delay_alu instid0(VALU_DEP_2) | instskip(NEXT) | instid1(VALU_DEP_1)
	v_cndmask_b32_e32 v3, 0x7fc00000, v5, vcc_lo
	v_pk_mul_f32 v[2:3], v[2:3], v[6:7]
	s_delay_alu instid0(VALU_DEP_1) | instskip(SKIP_1) | instid1(VALU_DEP_2)
	v_dual_lshrrev_b32 v1, 16, v3 :: v_dual_lshrrev_b32 v5, 16, v2
	v_cmp_o_f32_e32 vcc_lo, v3, v3
	v_and_b32_e32 v1, 1, v1
	s_delay_alu instid0(VALU_DEP_3) | instskip(NEXT) | instid1(VALU_DEP_2)
	v_and_b32_e32 v5, 1, v5
	v_add3_u32 v1, v3, v1, 0x7fff
	s_delay_alu instid0(VALU_DEP_2) | instskip(NEXT) | instid1(VALU_DEP_2)
	v_add3_u32 v5, v2, v5, 0x7fff
	v_and_b32_e32 v1, 0xffff0000, v1
	s_delay_alu instid0(VALU_DEP_2) | instskip(NEXT) | instid1(VALU_DEP_2)
	v_and_b32_e32 v5, 0xffff0000, v5
	v_cndmask_b32_e32 v1, 0x7fc00000, v1, vcc_lo
	v_cmp_o_f32_e32 vcc_lo, v2, v2
	s_delay_alu instid0(VALU_DEP_3) | instskip(NEXT) | instid1(VALU_DEP_1)
	v_cndmask_b32_e32 v2, 0x7fc00000, v5, vcc_lo
	v_add_f32_e32 v1, v2, v1
	s_delay_alu instid0(VALU_DEP_1) | instskip(SKIP_1) | instid1(VALU_DEP_2)
	v_bfe_u32 v2, v1, 16, 1
	v_cmp_o_f32_e32 vcc_lo, v1, v1
	v_add3_u32 v2, v1, v2, 0x7fff
	s_delay_alu instid0(VALU_DEP_1) | instskip(NEXT) | instid1(VALU_DEP_1)
	v_lshrrev_b32_e32 v2, 16, v2
	v_cndmask_b32_e32 v1, 0x7fc0, v2, vcc_lo
	global_store_b16 v4, v1, s[0:1]
	s_wait_xcnt 0x0
	s_or_b32 exec_lo, exec_lo, s41
	s_delay_alu instid0(SALU_CYCLE_1)
	s_mov_b32 s41, exec_lo
	v_cmpx_gt_i32_e64 s39, v0
	s_cbranch_execz .LBB173_4
.LBB173_33:
	s_and_not1_b32 vcc_lo, exec_lo, s35
	s_cbranch_vccnz .LBB173_39
; %bb.34:
	s_and_not1_b32 vcc_lo, exec_lo, s40
	s_cbranch_vccnz .LBB173_40
; %bb.35:
	v_dual_mov_b32 v5, 0 :: v_dual_mov_b32 v1, v0
	v_dual_mov_b32 v7, 0 :: v_dual_mov_b32 v4, 0
	v_mov_b32_e32 v6, 0
	s_add_co_i32 s30, s38, 1
	s_mov_b64 s[28:29], 0xffffffffffffffe0
	s_and_b32 s42, s30, 30
	s_add_nc_u64 s[28:29], s[20:21], s[28:29]
	s_mov_b64 s[30:31], s[20:21]
.LBB173_36:                             ; =>This Inner Loop Header: Depth=1
	s_clause 0x1
	s_load_b128 s[52:55], s[30:31], 0x4
	s_load_b64 s[56:57], s[30:31], 0x14
	s_load_b256 s[44:51], s[28:29], 0xe4
	s_add_co_i32 s42, s42, -2
	s_wait_xcnt 0x0
	s_add_nc_u64 s[30:31], s[30:31], 24
	s_cmp_eq_u32 s42, 0
	s_add_nc_u64 s[28:29], s[28:29], 32
	s_wait_kmcnt 0x0
	v_mul_hi_u32 v2, s53, v1
	s_delay_alu instid0(VALU_DEP_1) | instskip(NEXT) | instid1(VALU_DEP_1)
	v_add_nc_u32_e32 v2, v1, v2
	v_lshrrev_b32_e32 v2, s54, v2
	s_delay_alu instid0(VALU_DEP_1) | instskip(SKIP_1) | instid1(VALU_DEP_1)
	v_mul_hi_u32 v3, s56, v2
	v_mul_lo_u32 v8, v2, s52
	v_dual_add_nc_u32 v3, v2, v3 :: v_dual_sub_nc_u32 v8, v1, v8
	s_delay_alu instid0(VALU_DEP_1) | instskip(NEXT) | instid1(VALU_DEP_2)
	v_lshrrev_b32_e32 v1, s57, v3
	v_mad_u32 v6, v8, s45, v6
	v_mad_u32 v4, v8, s44, v4
	;; [unrolled: 1-line block ×4, first 2 shown]
	v_mul_lo_u32 v3, v1, s55
	s_delay_alu instid0(VALU_DEP_1) | instskip(NEXT) | instid1(VALU_DEP_1)
	v_sub_nc_u32_e32 v2, v2, v3
	v_mad_u32 v6, v2, s49, v6
	v_mad_u32 v4, v2, s48, v4
	v_mad_u32 v7, v2, s51, v7
	v_mad_u32 v5, v2, s50, v5
	s_cbranch_scc0 .LBB173_36
; %bb.37:
	s_bitcmp1_b32 s38, 0
	s_cselect_b32 s42, -1, 0
	s_delay_alu instid0(SALU_CYCLE_1)
	s_and_b32 vcc_lo, exec_lo, s42
	s_cbranch_vccnz .LBB173_41
; %bb.38:
	s_load_b96 s[48:50], s[30:31], 0x4
	s_load_b128 s[44:47], s[28:29], 0xe4
	s_wait_kmcnt 0x0
	v_mul_hi_u32 v2, s49, v1
	s_delay_alu instid0(VALU_DEP_1) | instskip(NEXT) | instid1(VALU_DEP_1)
	v_add_nc_u32_e32 v2, v1, v2
	v_lshrrev_b32_e32 v2, s50, v2
	s_delay_alu instid0(VALU_DEP_1) | instskip(NEXT) | instid1(VALU_DEP_1)
	v_mul_lo_u32 v2, v2, s48
	v_sub_nc_u32_e32 v1, v1, v2
	s_delay_alu instid0(VALU_DEP_1)
	v_mad_u32 v4, v1, s44, v4
	v_mad_u32 v6, v1, s45, v6
	;; [unrolled: 1-line block ×4, first 2 shown]
	s_branch .LBB173_41
.LBB173_39:
                                        ; implicit-def: $vgpr6
                                        ; implicit-def: $vgpr4
                                        ; implicit-def: $vgpr7
                                        ; implicit-def: $vgpr5
	s_branch .LBB173_42
.LBB173_40:
	v_dual_mov_b32 v6, 0 :: v_dual_mov_b32 v4, 0
	v_dual_mov_b32 v7, 0 :: v_dual_mov_b32 v5, 0
.LBB173_41:
	s_cbranch_execnz .LBB173_44
.LBB173_42:
	v_mov_b32_e32 v1, 0
	s_and_not1_b32 vcc_lo, exec_lo, s37
	s_delay_alu instid0(VALU_DEP_1) | instskip(NEXT) | instid1(VALU_DEP_1)
	v_mul_u64_e32 v[2:3], s[24:25], v[0:1]
	v_add_nc_u32_e32 v2, v0, v3
	s_delay_alu instid0(VALU_DEP_1) | instskip(NEXT) | instid1(VALU_DEP_1)
	v_lshrrev_b32_e32 v2, s18, v2
	v_mul_lo_u32 v3, v2, s16
	s_delay_alu instid0(VALU_DEP_1) | instskip(NEXT) | instid1(VALU_DEP_1)
	v_sub_nc_u32_e32 v3, v0, v3
	v_mul_lo_u32 v6, v3, s9
	v_mul_lo_u32 v4, v3, s8
	;; [unrolled: 1-line block ×4, first 2 shown]
	s_cbranch_vccnz .LBB173_44
; %bb.43:
	v_mov_b32_e32 v3, v1
	s_delay_alu instid0(VALU_DEP_1) | instskip(NEXT) | instid1(VALU_DEP_1)
	v_mul_u64_e32 v[8:9], s[26:27], v[2:3]
	v_add_nc_u32_e32 v1, v2, v9
	s_delay_alu instid0(VALU_DEP_1) | instskip(NEXT) | instid1(VALU_DEP_1)
	v_lshrrev_b32_e32 v1, s23, v1
	v_mul_lo_u32 v1, v1, s19
	s_delay_alu instid0(VALU_DEP_1) | instskip(NEXT) | instid1(VALU_DEP_1)
	v_sub_nc_u32_e32 v1, v2, v1
	v_mad_u32 v4, v1, s12, v4
	v_mad_u32 v6, v1, s13, v6
	;; [unrolled: 1-line block ×4, first 2 shown]
.LBB173_44:
	global_load_u16 v1, v5, s[4:5]
	global_load_u16 v3, v7, s[6:7]
	;; [unrolled: 1-line block ×3, first 2 shown]
	v_add_nc_u32_e32 v0, 0x80, v0
	s_wait_loadcnt 0x1
	s_wait_xcnt 0x1
	v_dual_lshlrev_b32 v1, 16, v1 :: v_dual_lshlrev_b32 v7, 16, v3
	s_delay_alu instid0(VALU_DEP_1) | instskip(NEXT) | instid1(VALU_DEP_1)
	v_mul_f32_e32 v1, s22, v1
	v_bfe_u32 v2, v1, 16, 1
	v_cmp_o_f32_e32 vcc_lo, v1, v1
	s_delay_alu instid0(VALU_DEP_2) | instskip(NEXT) | instid1(VALU_DEP_1)
	v_add3_u32 v2, v1, v2, 0x7fff
	v_and_b32_e32 v5, 0xffff0000, v2
	s_wait_loadcnt 0x0
	v_dual_mov_b32 v2, s17 :: v_dual_lshlrev_b32 v6, 16, v8
	s_delay_alu instid0(VALU_DEP_2) | instskip(NEXT) | instid1(VALU_DEP_1)
	v_cndmask_b32_e32 v3, 0x7fc00000, v5, vcc_lo
	v_pk_mul_f32 v[2:3], v[2:3], v[6:7]
	s_delay_alu instid0(VALU_DEP_1) | instskip(SKIP_1) | instid1(VALU_DEP_2)
	v_dual_lshrrev_b32 v1, 16, v3 :: v_dual_lshrrev_b32 v5, 16, v2
	v_cmp_o_f32_e32 vcc_lo, v3, v3
	v_and_b32_e32 v1, 1, v1
	s_delay_alu instid0(VALU_DEP_3) | instskip(NEXT) | instid1(VALU_DEP_2)
	v_and_b32_e32 v5, 1, v5
	v_add3_u32 v1, v3, v1, 0x7fff
	s_delay_alu instid0(VALU_DEP_2) | instskip(NEXT) | instid1(VALU_DEP_2)
	v_add3_u32 v5, v2, v5, 0x7fff
	v_and_b32_e32 v1, 0xffff0000, v1
	s_delay_alu instid0(VALU_DEP_2) | instskip(NEXT) | instid1(VALU_DEP_2)
	v_and_b32_e32 v5, 0xffff0000, v5
	v_cndmask_b32_e32 v1, 0x7fc00000, v1, vcc_lo
	v_cmp_o_f32_e32 vcc_lo, v2, v2
	s_delay_alu instid0(VALU_DEP_3) | instskip(NEXT) | instid1(VALU_DEP_1)
	v_cndmask_b32_e32 v2, 0x7fc00000, v5, vcc_lo
	v_add_f32_e32 v1, v2, v1
	s_delay_alu instid0(VALU_DEP_1) | instskip(SKIP_1) | instid1(VALU_DEP_2)
	v_bfe_u32 v2, v1, 16, 1
	v_cmp_o_f32_e32 vcc_lo, v1, v1
	v_add3_u32 v2, v1, v2, 0x7fff
	s_delay_alu instid0(VALU_DEP_1) | instskip(NEXT) | instid1(VALU_DEP_1)
	v_lshrrev_b32_e32 v2, 16, v2
	v_cndmask_b32_e32 v1, 0x7fc0, v2, vcc_lo
	global_store_b16 v4, v1, s[0:1]
	s_wait_xcnt 0x0
	s_or_b32 exec_lo, exec_lo, s41
	s_delay_alu instid0(SALU_CYCLE_1)
	s_mov_b32 s41, exec_lo
	v_cmpx_gt_i32_e64 s39, v0
	s_cbranch_execz .LBB173_5
.LBB173_45:
	s_and_not1_b32 vcc_lo, exec_lo, s35
	s_cbranch_vccnz .LBB173_51
; %bb.46:
	s_and_not1_b32 vcc_lo, exec_lo, s40
	s_cbranch_vccnz .LBB173_52
; %bb.47:
	v_dual_mov_b32 v6, 0 :: v_dual_mov_b32 v1, v0
	v_dual_mov_b32 v7, 0 :: v_dual_mov_b32 v4, 0
	v_mov_b32_e32 v5, 0
	s_add_co_i32 s30, s38, 1
	s_mov_b64 s[28:29], 0xffffffffffffffe0
	s_and_b32 s42, s30, 30
	s_add_nc_u64 s[28:29], s[20:21], s[28:29]
	s_mov_b64 s[30:31], s[20:21]
.LBB173_48:                             ; =>This Inner Loop Header: Depth=1
	s_clause 0x1
	s_load_b128 s[52:55], s[30:31], 0x4
	s_load_b64 s[56:57], s[30:31], 0x14
	s_load_b256 s[44:51], s[28:29], 0xe4
	s_add_co_i32 s42, s42, -2
	s_wait_xcnt 0x0
	s_add_nc_u64 s[30:31], s[30:31], 24
	s_cmp_eq_u32 s42, 0
	s_add_nc_u64 s[28:29], s[28:29], 32
	s_wait_kmcnt 0x0
	v_mul_hi_u32 v2, s53, v1
	s_delay_alu instid0(VALU_DEP_1) | instskip(NEXT) | instid1(VALU_DEP_1)
	v_add_nc_u32_e32 v2, v1, v2
	v_lshrrev_b32_e32 v2, s54, v2
	s_delay_alu instid0(VALU_DEP_1) | instskip(SKIP_1) | instid1(VALU_DEP_1)
	v_mul_hi_u32 v3, s56, v2
	v_mul_lo_u32 v8, v2, s52
	v_dual_add_nc_u32 v3, v2, v3 :: v_dual_sub_nc_u32 v8, v1, v8
	s_delay_alu instid0(VALU_DEP_1) | instskip(NEXT) | instid1(VALU_DEP_2)
	v_lshrrev_b32_e32 v1, s57, v3
	v_mad_u32 v5, v8, s45, v5
	v_mad_u32 v4, v8, s44, v4
	v_mad_u32 v7, v8, s47, v7
	v_mad_u32 v6, v8, s46, v6
	v_mul_lo_u32 v3, v1, s55
	s_delay_alu instid0(VALU_DEP_1) | instskip(NEXT) | instid1(VALU_DEP_1)
	v_sub_nc_u32_e32 v2, v2, v3
	v_mad_u32 v5, v2, s49, v5
	v_mad_u32 v4, v2, s48, v4
	;; [unrolled: 1-line block ×4, first 2 shown]
	s_cbranch_scc0 .LBB173_48
; %bb.49:
	s_bitcmp1_b32 s38, 0
	s_cselect_b32 s42, -1, 0
	s_delay_alu instid0(SALU_CYCLE_1)
	s_and_b32 vcc_lo, exec_lo, s42
	s_cbranch_vccnz .LBB173_53
; %bb.50:
	s_load_b96 s[48:50], s[30:31], 0x4
	s_load_b128 s[44:47], s[28:29], 0xe4
	s_wait_kmcnt 0x0
	v_mul_hi_u32 v2, s49, v1
	s_delay_alu instid0(VALU_DEP_1) | instskip(NEXT) | instid1(VALU_DEP_1)
	v_add_nc_u32_e32 v2, v1, v2
	v_lshrrev_b32_e32 v2, s50, v2
	s_delay_alu instid0(VALU_DEP_1) | instskip(NEXT) | instid1(VALU_DEP_1)
	v_mul_lo_u32 v2, v2, s48
	v_sub_nc_u32_e32 v1, v1, v2
	s_delay_alu instid0(VALU_DEP_1)
	v_mad_u32 v4, v1, s44, v4
	v_mad_u32 v5, v1, s45, v5
	;; [unrolled: 1-line block ×4, first 2 shown]
	s_branch .LBB173_53
.LBB173_51:
                                        ; implicit-def: $vgpr5
                                        ; implicit-def: $vgpr4
                                        ; implicit-def: $vgpr7
                                        ; implicit-def: $vgpr6
	s_branch .LBB173_54
.LBB173_52:
	v_dual_mov_b32 v5, 0 :: v_dual_mov_b32 v4, 0
	v_dual_mov_b32 v7, 0 :: v_dual_mov_b32 v6, 0
.LBB173_53:
	s_cbranch_execnz .LBB173_56
.LBB173_54:
	v_mov_b32_e32 v1, 0
	s_and_not1_b32 vcc_lo, exec_lo, s37
	s_delay_alu instid0(VALU_DEP_1) | instskip(NEXT) | instid1(VALU_DEP_1)
	v_mul_u64_e32 v[2:3], s[24:25], v[0:1]
	v_add_nc_u32_e32 v2, v0, v3
	s_delay_alu instid0(VALU_DEP_1) | instskip(NEXT) | instid1(VALU_DEP_1)
	v_lshrrev_b32_e32 v2, s18, v2
	v_mul_lo_u32 v3, v2, s16
	s_delay_alu instid0(VALU_DEP_1) | instskip(NEXT) | instid1(VALU_DEP_1)
	v_sub_nc_u32_e32 v3, v0, v3
	v_mul_lo_u32 v5, v3, s9
	v_mul_lo_u32 v4, v3, s8
	;; [unrolled: 1-line block ×4, first 2 shown]
	s_cbranch_vccnz .LBB173_56
; %bb.55:
	v_mov_b32_e32 v3, v1
	s_delay_alu instid0(VALU_DEP_1) | instskip(NEXT) | instid1(VALU_DEP_1)
	v_mul_u64_e32 v[8:9], s[26:27], v[2:3]
	v_add_nc_u32_e32 v1, v2, v9
	s_delay_alu instid0(VALU_DEP_1) | instskip(NEXT) | instid1(VALU_DEP_1)
	v_lshrrev_b32_e32 v1, s23, v1
	v_mul_lo_u32 v1, v1, s19
	s_delay_alu instid0(VALU_DEP_1) | instskip(NEXT) | instid1(VALU_DEP_1)
	v_sub_nc_u32_e32 v1, v2, v1
	v_mad_u32 v4, v1, s12, v4
	v_mad_u32 v5, v1, s13, v5
	;; [unrolled: 1-line block ×4, first 2 shown]
.LBB173_56:
	global_load_u16 v1, v6, s[4:5]
	global_load_u16 v3, v7, s[6:7]
	;; [unrolled: 1-line block ×3, first 2 shown]
	v_add_nc_u32_e32 v0, 0x80, v0
	s_wait_loadcnt 0x1
	s_wait_xcnt 0x1
	v_dual_lshlrev_b32 v1, 16, v1 :: v_dual_lshlrev_b32 v7, 16, v3
	s_delay_alu instid0(VALU_DEP_1) | instskip(NEXT) | instid1(VALU_DEP_1)
	v_mul_f32_e32 v1, s22, v1
	v_bfe_u32 v2, v1, 16, 1
	v_cmp_o_f32_e32 vcc_lo, v1, v1
	s_delay_alu instid0(VALU_DEP_2) | instskip(SKIP_1) | instid1(VALU_DEP_1)
	v_add3_u32 v2, v1, v2, 0x7fff
	s_wait_xcnt 0x0
	v_and_b32_e32 v5, 0xffff0000, v2
	s_wait_loadcnt 0x0
	v_dual_mov_b32 v2, s17 :: v_dual_lshlrev_b32 v6, 16, v8
	s_delay_alu instid0(VALU_DEP_2) | instskip(NEXT) | instid1(VALU_DEP_1)
	v_cndmask_b32_e32 v3, 0x7fc00000, v5, vcc_lo
	v_pk_mul_f32 v[2:3], v[2:3], v[6:7]
	s_delay_alu instid0(VALU_DEP_1) | instskip(SKIP_1) | instid1(VALU_DEP_2)
	v_dual_lshrrev_b32 v1, 16, v3 :: v_dual_lshrrev_b32 v5, 16, v2
	v_cmp_o_f32_e32 vcc_lo, v3, v3
	v_and_b32_e32 v1, 1, v1
	s_delay_alu instid0(VALU_DEP_3) | instskip(NEXT) | instid1(VALU_DEP_2)
	v_and_b32_e32 v5, 1, v5
	v_add3_u32 v1, v3, v1, 0x7fff
	s_delay_alu instid0(VALU_DEP_2) | instskip(NEXT) | instid1(VALU_DEP_2)
	v_add3_u32 v5, v2, v5, 0x7fff
	v_and_b32_e32 v1, 0xffff0000, v1
	s_delay_alu instid0(VALU_DEP_2) | instskip(NEXT) | instid1(VALU_DEP_2)
	v_and_b32_e32 v5, 0xffff0000, v5
	v_cndmask_b32_e32 v1, 0x7fc00000, v1, vcc_lo
	v_cmp_o_f32_e32 vcc_lo, v2, v2
	s_delay_alu instid0(VALU_DEP_3) | instskip(NEXT) | instid1(VALU_DEP_1)
	v_cndmask_b32_e32 v2, 0x7fc00000, v5, vcc_lo
	v_add_f32_e32 v1, v2, v1
	s_delay_alu instid0(VALU_DEP_1) | instskip(SKIP_1) | instid1(VALU_DEP_2)
	v_bfe_u32 v2, v1, 16, 1
	v_cmp_o_f32_e32 vcc_lo, v1, v1
	v_add3_u32 v2, v1, v2, 0x7fff
	s_delay_alu instid0(VALU_DEP_1) | instskip(NEXT) | instid1(VALU_DEP_1)
	v_lshrrev_b32_e32 v2, 16, v2
	v_cndmask_b32_e32 v1, 0x7fc0, v2, vcc_lo
	global_store_b16 v4, v1, s[0:1]
	s_wait_xcnt 0x0
	s_or_b32 exec_lo, exec_lo, s41
	s_delay_alu instid0(SALU_CYCLE_1)
	s_mov_b32 s41, exec_lo
	v_cmpx_gt_i32_e64 s39, v0
	s_cbranch_execz .LBB173_6
.LBB173_57:
	s_and_not1_b32 vcc_lo, exec_lo, s35
	s_cbranch_vccnz .LBB173_63
; %bb.58:
	s_and_not1_b32 vcc_lo, exec_lo, s40
	s_cbranch_vccnz .LBB173_64
; %bb.59:
	v_dual_mov_b32 v6, 0 :: v_dual_mov_b32 v1, v0
	v_dual_mov_b32 v7, 0 :: v_dual_mov_b32 v4, 0
	v_mov_b32_e32 v5, 0
	s_add_co_i32 s30, s38, 1
	s_mov_b64 s[28:29], 0xffffffffffffffe0
	s_and_b32 s42, s30, 30
	s_add_nc_u64 s[28:29], s[20:21], s[28:29]
	s_mov_b64 s[30:31], s[20:21]
.LBB173_60:                             ; =>This Inner Loop Header: Depth=1
	s_clause 0x1
	s_load_b128 s[52:55], s[30:31], 0x4
	s_load_b64 s[56:57], s[30:31], 0x14
	s_load_b256 s[44:51], s[28:29], 0xe4
	s_add_co_i32 s42, s42, -2
	s_wait_xcnt 0x0
	s_add_nc_u64 s[30:31], s[30:31], 24
	s_cmp_eq_u32 s42, 0
	s_add_nc_u64 s[28:29], s[28:29], 32
	s_wait_kmcnt 0x0
	v_mul_hi_u32 v2, s53, v1
	s_delay_alu instid0(VALU_DEP_1) | instskip(NEXT) | instid1(VALU_DEP_1)
	v_add_nc_u32_e32 v2, v1, v2
	v_lshrrev_b32_e32 v2, s54, v2
	s_delay_alu instid0(VALU_DEP_1) | instskip(SKIP_1) | instid1(VALU_DEP_1)
	v_mul_hi_u32 v3, s56, v2
	v_mul_lo_u32 v8, v2, s52
	v_dual_add_nc_u32 v3, v2, v3 :: v_dual_sub_nc_u32 v8, v1, v8
	s_delay_alu instid0(VALU_DEP_1) | instskip(NEXT) | instid1(VALU_DEP_2)
	v_lshrrev_b32_e32 v1, s57, v3
	v_mad_u32 v5, v8, s45, v5
	v_mad_u32 v4, v8, s44, v4
	;; [unrolled: 1-line block ×4, first 2 shown]
	v_mul_lo_u32 v3, v1, s55
	s_delay_alu instid0(VALU_DEP_1) | instskip(NEXT) | instid1(VALU_DEP_1)
	v_sub_nc_u32_e32 v2, v2, v3
	v_mad_u32 v5, v2, s49, v5
	v_mad_u32 v4, v2, s48, v4
	;; [unrolled: 1-line block ×4, first 2 shown]
	s_cbranch_scc0 .LBB173_60
; %bb.61:
	s_bitcmp1_b32 s38, 0
	s_cselect_b32 s42, -1, 0
	s_delay_alu instid0(SALU_CYCLE_1)
	s_and_b32 vcc_lo, exec_lo, s42
	s_cbranch_vccnz .LBB173_65
; %bb.62:
	s_load_b96 s[48:50], s[30:31], 0x4
	s_load_b128 s[44:47], s[28:29], 0xe4
	s_wait_kmcnt 0x0
	v_mul_hi_u32 v2, s49, v1
	s_delay_alu instid0(VALU_DEP_1) | instskip(NEXT) | instid1(VALU_DEP_1)
	v_add_nc_u32_e32 v2, v1, v2
	v_lshrrev_b32_e32 v2, s50, v2
	s_delay_alu instid0(VALU_DEP_1) | instskip(NEXT) | instid1(VALU_DEP_1)
	v_mul_lo_u32 v2, v2, s48
	v_sub_nc_u32_e32 v1, v1, v2
	s_delay_alu instid0(VALU_DEP_1)
	v_mad_u32 v4, v1, s44, v4
	v_mad_u32 v5, v1, s45, v5
	;; [unrolled: 1-line block ×4, first 2 shown]
	s_branch .LBB173_65
.LBB173_63:
                                        ; implicit-def: $vgpr5
                                        ; implicit-def: $vgpr4
                                        ; implicit-def: $vgpr7
                                        ; implicit-def: $vgpr6
	s_branch .LBB173_66
.LBB173_64:
	v_dual_mov_b32 v5, 0 :: v_dual_mov_b32 v4, 0
	v_dual_mov_b32 v7, 0 :: v_dual_mov_b32 v6, 0
.LBB173_65:
	s_cbranch_execnz .LBB173_68
.LBB173_66:
	v_mov_b32_e32 v1, 0
	s_and_not1_b32 vcc_lo, exec_lo, s37
	s_delay_alu instid0(VALU_DEP_1) | instskip(NEXT) | instid1(VALU_DEP_1)
	v_mul_u64_e32 v[2:3], s[24:25], v[0:1]
	v_add_nc_u32_e32 v2, v0, v3
	s_delay_alu instid0(VALU_DEP_1) | instskip(NEXT) | instid1(VALU_DEP_1)
	v_lshrrev_b32_e32 v2, s18, v2
	v_mul_lo_u32 v3, v2, s16
	s_delay_alu instid0(VALU_DEP_1) | instskip(NEXT) | instid1(VALU_DEP_1)
	v_sub_nc_u32_e32 v3, v0, v3
	v_mul_lo_u32 v5, v3, s9
	v_mul_lo_u32 v4, v3, s8
	;; [unrolled: 1-line block ×4, first 2 shown]
	s_cbranch_vccnz .LBB173_68
; %bb.67:
	v_mov_b32_e32 v3, v1
	s_delay_alu instid0(VALU_DEP_1) | instskip(NEXT) | instid1(VALU_DEP_1)
	v_mul_u64_e32 v[8:9], s[26:27], v[2:3]
	v_add_nc_u32_e32 v1, v2, v9
	s_delay_alu instid0(VALU_DEP_1) | instskip(NEXT) | instid1(VALU_DEP_1)
	v_lshrrev_b32_e32 v1, s23, v1
	v_mul_lo_u32 v1, v1, s19
	s_delay_alu instid0(VALU_DEP_1) | instskip(NEXT) | instid1(VALU_DEP_1)
	v_sub_nc_u32_e32 v1, v2, v1
	v_mad_u32 v4, v1, s12, v4
	v_mad_u32 v5, v1, s13, v5
	;; [unrolled: 1-line block ×4, first 2 shown]
.LBB173_68:
	global_load_u16 v1, v6, s[4:5]
	global_load_u16 v3, v7, s[6:7]
	;; [unrolled: 1-line block ×3, first 2 shown]
	v_add_nc_u32_e32 v0, 0x80, v0
	s_wait_loadcnt 0x1
	s_wait_xcnt 0x1
	v_dual_lshlrev_b32 v1, 16, v1 :: v_dual_lshlrev_b32 v7, 16, v3
	s_delay_alu instid0(VALU_DEP_1) | instskip(NEXT) | instid1(VALU_DEP_1)
	v_mul_f32_e32 v1, s22, v1
	v_bfe_u32 v2, v1, 16, 1
	v_cmp_o_f32_e32 vcc_lo, v1, v1
	s_delay_alu instid0(VALU_DEP_2) | instskip(SKIP_1) | instid1(VALU_DEP_1)
	v_add3_u32 v2, v1, v2, 0x7fff
	s_wait_xcnt 0x0
	v_and_b32_e32 v5, 0xffff0000, v2
	s_wait_loadcnt 0x0
	v_dual_mov_b32 v2, s17 :: v_dual_lshlrev_b32 v6, 16, v8
	s_delay_alu instid0(VALU_DEP_2) | instskip(NEXT) | instid1(VALU_DEP_1)
	v_cndmask_b32_e32 v3, 0x7fc00000, v5, vcc_lo
	v_pk_mul_f32 v[2:3], v[2:3], v[6:7]
	s_delay_alu instid0(VALU_DEP_1) | instskip(SKIP_1) | instid1(VALU_DEP_2)
	v_dual_lshrrev_b32 v1, 16, v3 :: v_dual_lshrrev_b32 v5, 16, v2
	v_cmp_o_f32_e32 vcc_lo, v3, v3
	v_and_b32_e32 v1, 1, v1
	s_delay_alu instid0(VALU_DEP_3) | instskip(NEXT) | instid1(VALU_DEP_2)
	v_and_b32_e32 v5, 1, v5
	v_add3_u32 v1, v3, v1, 0x7fff
	s_delay_alu instid0(VALU_DEP_2) | instskip(NEXT) | instid1(VALU_DEP_2)
	v_add3_u32 v5, v2, v5, 0x7fff
	v_and_b32_e32 v1, 0xffff0000, v1
	s_delay_alu instid0(VALU_DEP_2) | instskip(NEXT) | instid1(VALU_DEP_2)
	v_and_b32_e32 v5, 0xffff0000, v5
	v_cndmask_b32_e32 v1, 0x7fc00000, v1, vcc_lo
	v_cmp_o_f32_e32 vcc_lo, v2, v2
	s_delay_alu instid0(VALU_DEP_3) | instskip(NEXT) | instid1(VALU_DEP_1)
	v_cndmask_b32_e32 v2, 0x7fc00000, v5, vcc_lo
	v_add_f32_e32 v1, v2, v1
	s_delay_alu instid0(VALU_DEP_1) | instskip(SKIP_1) | instid1(VALU_DEP_2)
	v_bfe_u32 v2, v1, 16, 1
	v_cmp_o_f32_e32 vcc_lo, v1, v1
	v_add3_u32 v2, v1, v2, 0x7fff
	s_delay_alu instid0(VALU_DEP_1) | instskip(NEXT) | instid1(VALU_DEP_1)
	v_lshrrev_b32_e32 v2, 16, v2
	v_cndmask_b32_e32 v1, 0x7fc0, v2, vcc_lo
	global_store_b16 v4, v1, s[0:1]
	s_wait_xcnt 0x0
	s_or_b32 exec_lo, exec_lo, s41
	s_delay_alu instid0(SALU_CYCLE_1)
	s_mov_b32 s41, exec_lo
	v_cmpx_gt_i32_e64 s39, v0
	s_cbranch_execz .LBB173_7
.LBB173_69:
	s_and_not1_b32 vcc_lo, exec_lo, s35
	s_cbranch_vccnz .LBB173_75
; %bb.70:
	s_and_not1_b32 vcc_lo, exec_lo, s40
	s_cbranch_vccnz .LBB173_76
; %bb.71:
	v_dual_mov_b32 v5, 0 :: v_dual_mov_b32 v1, v0
	v_dual_mov_b32 v7, 0 :: v_dual_mov_b32 v4, 0
	v_mov_b32_e32 v6, 0
	s_add_co_i32 s30, s38, 1
	s_mov_b64 s[28:29], 0xffffffffffffffe0
	s_and_b32 s42, s30, 30
	s_add_nc_u64 s[28:29], s[20:21], s[28:29]
	s_mov_b64 s[30:31], s[20:21]
.LBB173_72:                             ; =>This Inner Loop Header: Depth=1
	s_clause 0x1
	s_load_b128 s[52:55], s[30:31], 0x4
	s_load_b64 s[56:57], s[30:31], 0x14
	s_load_b256 s[44:51], s[28:29], 0xe4
	s_add_co_i32 s42, s42, -2
	s_wait_xcnt 0x0
	s_add_nc_u64 s[30:31], s[30:31], 24
	s_cmp_eq_u32 s42, 0
	s_add_nc_u64 s[28:29], s[28:29], 32
	s_wait_kmcnt 0x0
	v_mul_hi_u32 v2, s53, v1
	s_delay_alu instid0(VALU_DEP_1) | instskip(NEXT) | instid1(VALU_DEP_1)
	v_add_nc_u32_e32 v2, v1, v2
	v_lshrrev_b32_e32 v2, s54, v2
	s_delay_alu instid0(VALU_DEP_1) | instskip(SKIP_1) | instid1(VALU_DEP_1)
	v_mul_hi_u32 v3, s56, v2
	v_mul_lo_u32 v8, v2, s52
	v_dual_add_nc_u32 v3, v2, v3 :: v_dual_sub_nc_u32 v8, v1, v8
	s_delay_alu instid0(VALU_DEP_1) | instskip(NEXT) | instid1(VALU_DEP_2)
	v_lshrrev_b32_e32 v1, s57, v3
	v_mad_u32 v6, v8, s45, v6
	v_mad_u32 v4, v8, s44, v4
	;; [unrolled: 1-line block ×4, first 2 shown]
	v_mul_lo_u32 v3, v1, s55
	s_delay_alu instid0(VALU_DEP_1) | instskip(NEXT) | instid1(VALU_DEP_1)
	v_sub_nc_u32_e32 v2, v2, v3
	v_mad_u32 v6, v2, s49, v6
	v_mad_u32 v4, v2, s48, v4
	v_mad_u32 v7, v2, s51, v7
	v_mad_u32 v5, v2, s50, v5
	s_cbranch_scc0 .LBB173_72
; %bb.73:
	s_bitcmp1_b32 s38, 0
	s_cselect_b32 s42, -1, 0
	s_delay_alu instid0(SALU_CYCLE_1)
	s_and_b32 vcc_lo, exec_lo, s42
	s_cbranch_vccnz .LBB173_77
; %bb.74:
	s_load_b96 s[48:50], s[30:31], 0x4
	s_load_b128 s[44:47], s[28:29], 0xe4
	s_wait_kmcnt 0x0
	v_mul_hi_u32 v2, s49, v1
	s_delay_alu instid0(VALU_DEP_1) | instskip(NEXT) | instid1(VALU_DEP_1)
	v_add_nc_u32_e32 v2, v1, v2
	v_lshrrev_b32_e32 v2, s50, v2
	s_delay_alu instid0(VALU_DEP_1) | instskip(NEXT) | instid1(VALU_DEP_1)
	v_mul_lo_u32 v2, v2, s48
	v_sub_nc_u32_e32 v1, v1, v2
	s_delay_alu instid0(VALU_DEP_1)
	v_mad_u32 v4, v1, s44, v4
	v_mad_u32 v6, v1, s45, v6
	;; [unrolled: 1-line block ×4, first 2 shown]
	s_branch .LBB173_77
.LBB173_75:
                                        ; implicit-def: $vgpr6
                                        ; implicit-def: $vgpr4
                                        ; implicit-def: $vgpr7
                                        ; implicit-def: $vgpr5
	s_branch .LBB173_78
.LBB173_76:
	v_dual_mov_b32 v6, 0 :: v_dual_mov_b32 v4, 0
	v_dual_mov_b32 v7, 0 :: v_dual_mov_b32 v5, 0
.LBB173_77:
	s_cbranch_execnz .LBB173_80
.LBB173_78:
	v_mov_b32_e32 v1, 0
	s_and_not1_b32 vcc_lo, exec_lo, s37
	s_delay_alu instid0(VALU_DEP_1) | instskip(NEXT) | instid1(VALU_DEP_1)
	v_mul_u64_e32 v[2:3], s[24:25], v[0:1]
	v_add_nc_u32_e32 v2, v0, v3
	s_delay_alu instid0(VALU_DEP_1) | instskip(NEXT) | instid1(VALU_DEP_1)
	v_lshrrev_b32_e32 v2, s18, v2
	v_mul_lo_u32 v3, v2, s16
	s_delay_alu instid0(VALU_DEP_1) | instskip(NEXT) | instid1(VALU_DEP_1)
	v_sub_nc_u32_e32 v3, v0, v3
	v_mul_lo_u32 v6, v3, s9
	v_mul_lo_u32 v4, v3, s8
	;; [unrolled: 1-line block ×4, first 2 shown]
	s_cbranch_vccnz .LBB173_80
; %bb.79:
	v_mov_b32_e32 v3, v1
	s_delay_alu instid0(VALU_DEP_1) | instskip(NEXT) | instid1(VALU_DEP_1)
	v_mul_u64_e32 v[8:9], s[26:27], v[2:3]
	v_add_nc_u32_e32 v1, v2, v9
	s_delay_alu instid0(VALU_DEP_1) | instskip(NEXT) | instid1(VALU_DEP_1)
	v_lshrrev_b32_e32 v1, s23, v1
	v_mul_lo_u32 v1, v1, s19
	s_delay_alu instid0(VALU_DEP_1) | instskip(NEXT) | instid1(VALU_DEP_1)
	v_sub_nc_u32_e32 v1, v2, v1
	v_mad_u32 v4, v1, s12, v4
	v_mad_u32 v6, v1, s13, v6
	;; [unrolled: 1-line block ×4, first 2 shown]
.LBB173_80:
	global_load_u16 v1, v5, s[4:5]
	global_load_u16 v3, v7, s[6:7]
	;; [unrolled: 1-line block ×3, first 2 shown]
	v_add_nc_u32_e32 v0, 0x80, v0
	s_wait_loadcnt 0x1
	s_wait_xcnt 0x1
	v_dual_lshlrev_b32 v1, 16, v1 :: v_dual_lshlrev_b32 v7, 16, v3
	s_delay_alu instid0(VALU_DEP_1) | instskip(NEXT) | instid1(VALU_DEP_1)
	v_mul_f32_e32 v1, s22, v1
	v_bfe_u32 v2, v1, 16, 1
	v_cmp_o_f32_e32 vcc_lo, v1, v1
	s_delay_alu instid0(VALU_DEP_2) | instskip(NEXT) | instid1(VALU_DEP_1)
	v_add3_u32 v2, v1, v2, 0x7fff
	v_and_b32_e32 v5, 0xffff0000, v2
	s_wait_loadcnt 0x0
	v_dual_mov_b32 v2, s17 :: v_dual_lshlrev_b32 v6, 16, v8
	s_delay_alu instid0(VALU_DEP_2) | instskip(NEXT) | instid1(VALU_DEP_1)
	v_cndmask_b32_e32 v3, 0x7fc00000, v5, vcc_lo
	v_pk_mul_f32 v[2:3], v[2:3], v[6:7]
	s_delay_alu instid0(VALU_DEP_1) | instskip(SKIP_1) | instid1(VALU_DEP_2)
	v_dual_lshrrev_b32 v1, 16, v3 :: v_dual_lshrrev_b32 v5, 16, v2
	v_cmp_o_f32_e32 vcc_lo, v3, v3
	v_and_b32_e32 v1, 1, v1
	s_delay_alu instid0(VALU_DEP_3) | instskip(NEXT) | instid1(VALU_DEP_2)
	v_and_b32_e32 v5, 1, v5
	v_add3_u32 v1, v3, v1, 0x7fff
	s_delay_alu instid0(VALU_DEP_2) | instskip(NEXT) | instid1(VALU_DEP_2)
	v_add3_u32 v5, v2, v5, 0x7fff
	v_and_b32_e32 v1, 0xffff0000, v1
	s_delay_alu instid0(VALU_DEP_2) | instskip(NEXT) | instid1(VALU_DEP_2)
	v_and_b32_e32 v5, 0xffff0000, v5
	v_cndmask_b32_e32 v1, 0x7fc00000, v1, vcc_lo
	v_cmp_o_f32_e32 vcc_lo, v2, v2
	s_delay_alu instid0(VALU_DEP_3) | instskip(NEXT) | instid1(VALU_DEP_1)
	v_cndmask_b32_e32 v2, 0x7fc00000, v5, vcc_lo
	v_add_f32_e32 v1, v2, v1
	s_delay_alu instid0(VALU_DEP_1) | instskip(SKIP_1) | instid1(VALU_DEP_2)
	v_bfe_u32 v2, v1, 16, 1
	v_cmp_o_f32_e32 vcc_lo, v1, v1
	v_add3_u32 v2, v1, v2, 0x7fff
	s_delay_alu instid0(VALU_DEP_1) | instskip(NEXT) | instid1(VALU_DEP_1)
	v_lshrrev_b32_e32 v2, 16, v2
	v_cndmask_b32_e32 v1, 0x7fc0, v2, vcc_lo
	global_store_b16 v4, v1, s[0:1]
	s_wait_xcnt 0x0
	s_or_b32 exec_lo, exec_lo, s41
	s_delay_alu instid0(SALU_CYCLE_1)
	s_mov_b32 s41, exec_lo
	v_cmpx_gt_i32_e64 s39, v0
	s_cbranch_execz .LBB173_8
.LBB173_81:
	s_and_not1_b32 vcc_lo, exec_lo, s35
	s_cbranch_vccnz .LBB173_87
; %bb.82:
	s_and_not1_b32 vcc_lo, exec_lo, s40
	s_cbranch_vccnz .LBB173_88
; %bb.83:
	v_dual_mov_b32 v6, 0 :: v_dual_mov_b32 v1, v0
	v_dual_mov_b32 v7, 0 :: v_dual_mov_b32 v4, 0
	v_mov_b32_e32 v5, 0
	s_add_co_i32 s30, s38, 1
	s_mov_b64 s[28:29], 0xffffffffffffffe0
	s_and_b32 s42, s30, 30
	s_add_nc_u64 s[28:29], s[20:21], s[28:29]
	s_mov_b64 s[30:31], s[20:21]
.LBB173_84:                             ; =>This Inner Loop Header: Depth=1
	s_clause 0x1
	s_load_b128 s[52:55], s[30:31], 0x4
	s_load_b64 s[56:57], s[30:31], 0x14
	s_load_b256 s[44:51], s[28:29], 0xe4
	s_add_co_i32 s42, s42, -2
	s_wait_xcnt 0x0
	s_add_nc_u64 s[30:31], s[30:31], 24
	s_cmp_eq_u32 s42, 0
	s_add_nc_u64 s[28:29], s[28:29], 32
	s_wait_kmcnt 0x0
	v_mul_hi_u32 v2, s53, v1
	s_delay_alu instid0(VALU_DEP_1) | instskip(NEXT) | instid1(VALU_DEP_1)
	v_add_nc_u32_e32 v2, v1, v2
	v_lshrrev_b32_e32 v2, s54, v2
	s_delay_alu instid0(VALU_DEP_1) | instskip(SKIP_1) | instid1(VALU_DEP_1)
	v_mul_hi_u32 v3, s56, v2
	v_mul_lo_u32 v8, v2, s52
	v_dual_add_nc_u32 v3, v2, v3 :: v_dual_sub_nc_u32 v8, v1, v8
	s_delay_alu instid0(VALU_DEP_1) | instskip(NEXT) | instid1(VALU_DEP_2)
	v_lshrrev_b32_e32 v1, s57, v3
	v_mad_u32 v5, v8, s45, v5
	v_mad_u32 v4, v8, s44, v4
	;; [unrolled: 1-line block ×4, first 2 shown]
	v_mul_lo_u32 v3, v1, s55
	s_delay_alu instid0(VALU_DEP_1) | instskip(NEXT) | instid1(VALU_DEP_1)
	v_sub_nc_u32_e32 v2, v2, v3
	v_mad_u32 v5, v2, s49, v5
	v_mad_u32 v4, v2, s48, v4
	;; [unrolled: 1-line block ×4, first 2 shown]
	s_cbranch_scc0 .LBB173_84
; %bb.85:
	s_bitcmp1_b32 s38, 0
	s_cselect_b32 s42, -1, 0
	s_delay_alu instid0(SALU_CYCLE_1)
	s_and_b32 vcc_lo, exec_lo, s42
	s_cbranch_vccnz .LBB173_89
; %bb.86:
	s_load_b96 s[48:50], s[30:31], 0x4
	s_load_b128 s[44:47], s[28:29], 0xe4
	s_wait_kmcnt 0x0
	v_mul_hi_u32 v2, s49, v1
	s_delay_alu instid0(VALU_DEP_1) | instskip(NEXT) | instid1(VALU_DEP_1)
	v_add_nc_u32_e32 v2, v1, v2
	v_lshrrev_b32_e32 v2, s50, v2
	s_delay_alu instid0(VALU_DEP_1) | instskip(NEXT) | instid1(VALU_DEP_1)
	v_mul_lo_u32 v2, v2, s48
	v_sub_nc_u32_e32 v1, v1, v2
	s_delay_alu instid0(VALU_DEP_1)
	v_mad_u32 v4, v1, s44, v4
	v_mad_u32 v5, v1, s45, v5
	;; [unrolled: 1-line block ×4, first 2 shown]
	s_branch .LBB173_89
.LBB173_87:
                                        ; implicit-def: $vgpr5
                                        ; implicit-def: $vgpr4
                                        ; implicit-def: $vgpr7
                                        ; implicit-def: $vgpr6
	s_branch .LBB173_90
.LBB173_88:
	v_dual_mov_b32 v5, 0 :: v_dual_mov_b32 v4, 0
	v_dual_mov_b32 v7, 0 :: v_dual_mov_b32 v6, 0
.LBB173_89:
	s_cbranch_execnz .LBB173_92
.LBB173_90:
	v_mov_b32_e32 v1, 0
	s_and_not1_b32 vcc_lo, exec_lo, s37
	s_delay_alu instid0(VALU_DEP_1) | instskip(NEXT) | instid1(VALU_DEP_1)
	v_mul_u64_e32 v[2:3], s[24:25], v[0:1]
	v_add_nc_u32_e32 v2, v0, v3
	s_delay_alu instid0(VALU_DEP_1) | instskip(NEXT) | instid1(VALU_DEP_1)
	v_lshrrev_b32_e32 v2, s18, v2
	v_mul_lo_u32 v3, v2, s16
	s_delay_alu instid0(VALU_DEP_1) | instskip(NEXT) | instid1(VALU_DEP_1)
	v_sub_nc_u32_e32 v3, v0, v3
	v_mul_lo_u32 v5, v3, s9
	v_mul_lo_u32 v4, v3, s8
	;; [unrolled: 1-line block ×4, first 2 shown]
	s_cbranch_vccnz .LBB173_92
; %bb.91:
	v_mov_b32_e32 v3, v1
	s_delay_alu instid0(VALU_DEP_1) | instskip(NEXT) | instid1(VALU_DEP_1)
	v_mul_u64_e32 v[8:9], s[26:27], v[2:3]
	v_add_nc_u32_e32 v1, v2, v9
	s_delay_alu instid0(VALU_DEP_1) | instskip(NEXT) | instid1(VALU_DEP_1)
	v_lshrrev_b32_e32 v1, s23, v1
	v_mul_lo_u32 v1, v1, s19
	s_delay_alu instid0(VALU_DEP_1) | instskip(NEXT) | instid1(VALU_DEP_1)
	v_sub_nc_u32_e32 v1, v2, v1
	v_mad_u32 v4, v1, s12, v4
	v_mad_u32 v5, v1, s13, v5
	;; [unrolled: 1-line block ×4, first 2 shown]
.LBB173_92:
	global_load_u16 v1, v6, s[4:5]
	global_load_u16 v3, v7, s[6:7]
	global_load_u16 v8, v5, s[2:3]
	v_add_nc_u32_e32 v0, 0x80, v0
	s_wait_loadcnt 0x1
	s_wait_xcnt 0x1
	v_dual_lshlrev_b32 v1, 16, v1 :: v_dual_lshlrev_b32 v7, 16, v3
	s_delay_alu instid0(VALU_DEP_1) | instskip(NEXT) | instid1(VALU_DEP_1)
	v_mul_f32_e32 v1, s22, v1
	v_bfe_u32 v2, v1, 16, 1
	v_cmp_o_f32_e32 vcc_lo, v1, v1
	s_delay_alu instid0(VALU_DEP_2) | instskip(SKIP_1) | instid1(VALU_DEP_1)
	v_add3_u32 v2, v1, v2, 0x7fff
	s_wait_xcnt 0x0
	v_and_b32_e32 v5, 0xffff0000, v2
	s_wait_loadcnt 0x0
	v_dual_mov_b32 v2, s17 :: v_dual_lshlrev_b32 v6, 16, v8
	s_delay_alu instid0(VALU_DEP_2) | instskip(NEXT) | instid1(VALU_DEP_1)
	v_cndmask_b32_e32 v3, 0x7fc00000, v5, vcc_lo
	v_pk_mul_f32 v[2:3], v[2:3], v[6:7]
	s_delay_alu instid0(VALU_DEP_1) | instskip(SKIP_1) | instid1(VALU_DEP_2)
	v_dual_lshrrev_b32 v1, 16, v3 :: v_dual_lshrrev_b32 v5, 16, v2
	v_cmp_o_f32_e32 vcc_lo, v3, v3
	v_and_b32_e32 v1, 1, v1
	s_delay_alu instid0(VALU_DEP_3) | instskip(NEXT) | instid1(VALU_DEP_2)
	v_and_b32_e32 v5, 1, v5
	v_add3_u32 v1, v3, v1, 0x7fff
	s_delay_alu instid0(VALU_DEP_2) | instskip(NEXT) | instid1(VALU_DEP_2)
	v_add3_u32 v5, v2, v5, 0x7fff
	v_and_b32_e32 v1, 0xffff0000, v1
	s_delay_alu instid0(VALU_DEP_2) | instskip(NEXT) | instid1(VALU_DEP_2)
	v_and_b32_e32 v5, 0xffff0000, v5
	v_cndmask_b32_e32 v1, 0x7fc00000, v1, vcc_lo
	v_cmp_o_f32_e32 vcc_lo, v2, v2
	s_delay_alu instid0(VALU_DEP_3) | instskip(NEXT) | instid1(VALU_DEP_1)
	v_cndmask_b32_e32 v2, 0x7fc00000, v5, vcc_lo
	v_add_f32_e32 v1, v2, v1
	s_delay_alu instid0(VALU_DEP_1) | instskip(SKIP_1) | instid1(VALU_DEP_2)
	v_bfe_u32 v2, v1, 16, 1
	v_cmp_o_f32_e32 vcc_lo, v1, v1
	v_add3_u32 v2, v1, v2, 0x7fff
	s_delay_alu instid0(VALU_DEP_1) | instskip(NEXT) | instid1(VALU_DEP_1)
	v_lshrrev_b32_e32 v2, 16, v2
	v_cndmask_b32_e32 v1, 0x7fc0, v2, vcc_lo
	global_store_b16 v4, v1, s[0:1]
	s_wait_xcnt 0x0
	s_or_b32 exec_lo, exec_lo, s41
	v_cmp_gt_i32_e32 vcc_lo, s39, v0
	s_and_saveexec_b32 s39, vcc_lo
	s_cbranch_execz .LBB173_105
.LBB173_93:
	s_and_not1_b32 vcc_lo, exec_lo, s35
	s_cbranch_vccnz .LBB173_99
; %bb.94:
	s_and_not1_b32 vcc_lo, exec_lo, s40
	s_cbranch_vccnz .LBB173_100
; %bb.95:
	v_dual_mov_b32 v5, 0 :: v_dual_mov_b32 v1, v0
	v_dual_mov_b32 v7, 0 :: v_dual_mov_b32 v4, 0
	v_mov_b32_e32 v6, 0
	s_add_co_i32 s30, s38, 1
	s_mov_b64 s[28:29], 0xffffffffffffffe0
	s_and_b32 s40, s30, 30
	s_add_nc_u64 s[28:29], s[20:21], s[28:29]
	s_mov_b64 s[30:31], s[20:21]
.LBB173_96:                             ; =>This Inner Loop Header: Depth=1
	s_clause 0x1
	s_load_b128 s[52:55], s[30:31], 0x4
	s_load_b64 s[42:43], s[30:31], 0x14
	s_load_b256 s[44:51], s[28:29], 0xe4
	s_add_co_i32 s40, s40, -2
	s_wait_xcnt 0x0
	s_add_nc_u64 s[30:31], s[30:31], 24
	s_cmp_eq_u32 s40, 0
	s_add_nc_u64 s[28:29], s[28:29], 32
	s_wait_kmcnt 0x0
	v_mul_hi_u32 v2, s53, v1
	s_delay_alu instid0(VALU_DEP_1) | instskip(NEXT) | instid1(VALU_DEP_1)
	v_add_nc_u32_e32 v2, v1, v2
	v_lshrrev_b32_e32 v2, s54, v2
	s_delay_alu instid0(VALU_DEP_1) | instskip(SKIP_1) | instid1(VALU_DEP_1)
	v_mul_hi_u32 v3, s42, v2
	v_mul_lo_u32 v8, v2, s52
	v_dual_add_nc_u32 v3, v2, v3 :: v_dual_sub_nc_u32 v8, v1, v8
	s_delay_alu instid0(VALU_DEP_1) | instskip(NEXT) | instid1(VALU_DEP_2)
	v_lshrrev_b32_e32 v1, s43, v3
	v_mad_u32 v6, v8, s45, v6
	v_mad_u32 v4, v8, s44, v4
	;; [unrolled: 1-line block ×4, first 2 shown]
	v_mul_lo_u32 v3, v1, s55
	s_delay_alu instid0(VALU_DEP_1) | instskip(NEXT) | instid1(VALU_DEP_1)
	v_sub_nc_u32_e32 v2, v2, v3
	v_mad_u32 v6, v2, s49, v6
	v_mad_u32 v4, v2, s48, v4
	;; [unrolled: 1-line block ×4, first 2 shown]
	s_cbranch_scc0 .LBB173_96
; %bb.97:
	s_bitcmp1_b32 s38, 0
	s_cselect_b32 s38, -1, 0
	s_delay_alu instid0(SALU_CYCLE_1)
	s_and_b32 vcc_lo, exec_lo, s38
	s_cbranch_vccnz .LBB173_101
; %bb.98:
	s_load_b96 s[44:46], s[30:31], 0x4
	s_load_b128 s[40:43], s[28:29], 0xe4
	s_wait_kmcnt 0x0
	v_mul_hi_u32 v2, s45, v1
	s_delay_alu instid0(VALU_DEP_1) | instskip(NEXT) | instid1(VALU_DEP_1)
	v_add_nc_u32_e32 v2, v1, v2
	v_lshrrev_b32_e32 v2, s46, v2
	s_delay_alu instid0(VALU_DEP_1) | instskip(NEXT) | instid1(VALU_DEP_1)
	v_mul_lo_u32 v2, v2, s44
	v_sub_nc_u32_e32 v1, v1, v2
	s_delay_alu instid0(VALU_DEP_1)
	v_mad_u32 v4, v1, s40, v4
	v_mad_u32 v6, v1, s41, v6
	;; [unrolled: 1-line block ×4, first 2 shown]
	s_branch .LBB173_101
.LBB173_99:
                                        ; implicit-def: $vgpr6
                                        ; implicit-def: $vgpr4
                                        ; implicit-def: $vgpr7
                                        ; implicit-def: $vgpr5
	s_branch .LBB173_102
.LBB173_100:
	v_dual_mov_b32 v6, 0 :: v_dual_mov_b32 v4, 0
	v_dual_mov_b32 v7, 0 :: v_dual_mov_b32 v5, 0
.LBB173_101:
	s_cbranch_execnz .LBB173_104
.LBB173_102:
	v_mov_b32_e32 v1, 0
	s_and_not1_b32 vcc_lo, exec_lo, s37
	s_delay_alu instid0(VALU_DEP_1) | instskip(NEXT) | instid1(VALU_DEP_1)
	v_mul_u64_e32 v[2:3], s[24:25], v[0:1]
	v_add_nc_u32_e32 v2, v0, v3
	s_delay_alu instid0(VALU_DEP_1) | instskip(NEXT) | instid1(VALU_DEP_1)
	v_lshrrev_b32_e32 v2, s18, v2
	v_mul_lo_u32 v3, v2, s16
	s_delay_alu instid0(VALU_DEP_1) | instskip(NEXT) | instid1(VALU_DEP_1)
	v_sub_nc_u32_e32 v0, v0, v3
	v_mul_lo_u32 v6, v0, s9
	v_mul_lo_u32 v4, v0, s8
	;; [unrolled: 1-line block ×4, first 2 shown]
	s_cbranch_vccnz .LBB173_104
; %bb.103:
	v_mov_b32_e32 v3, v1
	s_delay_alu instid0(VALU_DEP_1) | instskip(NEXT) | instid1(VALU_DEP_1)
	v_mul_u64_e32 v[0:1], s[26:27], v[2:3]
	v_add_nc_u32_e32 v0, v2, v1
	s_delay_alu instid0(VALU_DEP_1) | instskip(NEXT) | instid1(VALU_DEP_1)
	v_lshrrev_b32_e32 v0, s23, v0
	v_mul_lo_u32 v0, v0, s19
	s_delay_alu instid0(VALU_DEP_1) | instskip(NEXT) | instid1(VALU_DEP_1)
	v_sub_nc_u32_e32 v0, v2, v0
	v_mad_u32 v4, v0, s12, v4
	v_mad_u32 v6, v0, s13, v6
	;; [unrolled: 1-line block ×4, first 2 shown]
.LBB173_104:
	global_load_u16 v0, v5, s[4:5]
	global_load_u16 v1, v7, s[6:7]
	;; [unrolled: 1-line block ×3, first 2 shown]
	s_wait_loadcnt 0x1
	v_dual_lshlrev_b32 v0, 16, v0 :: v_dual_lshlrev_b32 v3, 16, v1
	s_wait_loadcnt 0x0
	s_wait_xcnt 0x2
	s_delay_alu instid0(VALU_DEP_1) | instskip(NEXT) | instid1(VALU_DEP_1)
	v_dual_mul_f32 v5, s22, v0 :: v_dual_lshlrev_b32 v2, 16, v2
	v_bfe_u32 v0, v5, 16, 1
	s_delay_alu instid0(VALU_DEP_1) | instskip(SKIP_1) | instid1(VALU_DEP_1)
	v_add3_u32 v0, v5, v0, 0x7fff
	s_wait_xcnt 0x0
	v_and_b32_e32 v6, 0xffff0000, v0
	v_mov_b32_e32 v0, s17
	v_cmp_o_f32_e32 vcc_lo, v5, v5
	s_delay_alu instid0(VALU_DEP_3) | instskip(NEXT) | instid1(VALU_DEP_1)
	v_cndmask_b32_e32 v1, 0x7fc00000, v6, vcc_lo
	v_pk_mul_f32 v[0:1], v[0:1], v[2:3]
	s_delay_alu instid0(VALU_DEP_1) | instskip(SKIP_1) | instid1(VALU_DEP_2)
	v_dual_lshrrev_b32 v3, 16, v0 :: v_dual_lshrrev_b32 v2, 16, v1
	v_cmp_o_f32_e32 vcc_lo, v1, v1
	v_and_b32_e32 v3, 1, v3
	s_delay_alu instid0(VALU_DEP_3) | instskip(NEXT) | instid1(VALU_DEP_2)
	v_and_b32_e32 v2, 1, v2
	v_add3_u32 v3, v0, v3, 0x7fff
	s_delay_alu instid0(VALU_DEP_2) | instskip(NEXT) | instid1(VALU_DEP_2)
	v_add3_u32 v2, v1, v2, 0x7fff
	v_and_b32_e32 v3, 0xffff0000, v3
	s_delay_alu instid0(VALU_DEP_2) | instskip(NEXT) | instid1(VALU_DEP_1)
	v_and_b32_e32 v2, 0xffff0000, v2
	v_cndmask_b32_e32 v1, 0x7fc00000, v2, vcc_lo
	v_cmp_o_f32_e32 vcc_lo, v0, v0
	s_delay_alu instid0(VALU_DEP_4) | instskip(NEXT) | instid1(VALU_DEP_1)
	v_cndmask_b32_e32 v0, 0x7fc00000, v3, vcc_lo
	v_add_f32_e32 v0, v0, v1
	s_delay_alu instid0(VALU_DEP_1) | instskip(SKIP_1) | instid1(VALU_DEP_2)
	v_bfe_u32 v1, v0, 16, 1
	v_cmp_o_f32_e32 vcc_lo, v0, v0
	v_add3_u32 v1, v0, v1, 0x7fff
	s_delay_alu instid0(VALU_DEP_1) | instskip(NEXT) | instid1(VALU_DEP_1)
	v_lshrrev_b32_e32 v1, 16, v1
	v_cndmask_b32_e32 v0, 0x7fc0, v1, vcc_lo
	global_store_b16 v4, v0, s[0:1]
.LBB173_105:
	s_wait_xcnt 0x0
	s_or_b32 exec_lo, exec_lo, s39
                                        ; implicit-def: $vgpr7
                                        ; implicit-def: $vgpr0
.LBB173_106:
	s_and_not1_saveexec_b32 s0, s36
	s_cbranch_execz .LBB173_113
; %bb.107:
	v_cndmask_b32_e64 v12, 0, 1, s35
	s_and_not1_b32 vcc_lo, exec_lo, s35
	s_cbranch_vccnz .LBB173_114
; %bb.108:
	s_cmp_lg_u32 s33, 0
	s_mov_b32 s4, 0
	s_cbranch_scc0 .LBB173_118
; %bb.109:
	s_min_u32 s5, s34, 15
	v_dual_mov_b32 v5, 0 :: v_dual_mov_b32 v2, v0
	v_dual_mov_b32 v4, 0 :: v_dual_mov_b32 v1, 0
	v_mov_b32_e32 v3, 0
	s_add_co_i32 s2, s5, 1
	s_mov_b64 s[0:1], 0xffffffffffffffe0
	s_and_b32 s6, s2, 30
	s_add_nc_u64 s[0:1], s[20:21], s[0:1]
	s_mov_b64 s[2:3], s[20:21]
.LBB173_110:                            ; =>This Inner Loop Header: Depth=1
	s_clause 0x1
	s_load_b128 s[16:19], s[2:3], 0x4
	s_load_b64 s[22:23], s[2:3], 0x14
	s_load_b256 s[8:15], s[0:1], 0xe4
	s_add_co_i32 s6, s6, -2
	s_wait_xcnt 0x0
	s_add_nc_u64 s[2:3], s[2:3], 24
	s_cmp_lg_u32 s6, 0
	s_add_nc_u64 s[0:1], s[0:1], 32
	s_wait_kmcnt 0x0
	v_mul_hi_u32 v6, s17, v2
	s_delay_alu instid0(VALU_DEP_1) | instskip(NEXT) | instid1(VALU_DEP_1)
	v_add_nc_u32_e32 v6, v2, v6
	v_lshrrev_b32_e32 v6, s18, v6
	s_delay_alu instid0(VALU_DEP_1) | instskip(SKIP_1) | instid1(VALU_DEP_2)
	v_mul_hi_u32 v8, s22, v6
	v_mul_lo_u32 v9, v6, s16
	v_add_nc_u32_e32 v8, v6, v8
	s_delay_alu instid0(VALU_DEP_1) | instskip(NEXT) | instid1(VALU_DEP_1)
	v_dual_sub_nc_u32 v9, v2, v9 :: v_dual_lshrrev_b32 v2, s23, v8
	v_mad_u32 v3, v9, s9, v3
	v_mad_u32 v1, v9, s8, v1
	;; [unrolled: 1-line block ×4, first 2 shown]
	v_mul_lo_u32 v8, v2, s19
	s_delay_alu instid0(VALU_DEP_1) | instskip(NEXT) | instid1(VALU_DEP_1)
	v_sub_nc_u32_e32 v6, v6, v8
	v_mad_u32 v3, v6, s13, v3
	v_mad_u32 v1, v6, s12, v1
	;; [unrolled: 1-line block ×4, first 2 shown]
	s_cbranch_scc1 .LBB173_110
; %bb.111:
	s_bitcmp1_b32 s5, 0
	s_cselect_b32 s5, -1, 0
	s_delay_alu instid0(SALU_CYCLE_1)
	s_and_b32 vcc_lo, exec_lo, s5
	s_cbranch_vccnz .LBB173_115
; %bb.112:
	s_load_b96 s[12:14], s[2:3], 0x4
	s_load_b128 s[8:11], s[0:1], 0xe4
	s_wait_kmcnt 0x0
	v_mul_hi_u32 v6, s13, v2
	s_delay_alu instid0(VALU_DEP_1) | instskip(NEXT) | instid1(VALU_DEP_1)
	v_add_nc_u32_e32 v6, v2, v6
	v_lshrrev_b32_e32 v6, s14, v6
	s_delay_alu instid0(VALU_DEP_1) | instskip(NEXT) | instid1(VALU_DEP_1)
	v_mul_lo_u32 v6, v6, s12
	v_sub_nc_u32_e32 v2, v2, v6
	s_delay_alu instid0(VALU_DEP_1)
	v_mad_u32 v1, v2, s8, v1
	v_mad_u32 v3, v2, s9, v3
	;; [unrolled: 1-line block ×4, first 2 shown]
	s_and_not1_b32 vcc_lo, exec_lo, s4
	s_cbranch_vccz .LBB173_116
	s_branch .LBB173_119
.LBB173_113:
	s_endpgm
.LBB173_114:
	s_mov_b32 s4, -1
                                        ; implicit-def: $vgpr3
                                        ; implicit-def: $vgpr1
                                        ; implicit-def: $vgpr4
                                        ; implicit-def: $vgpr5
.LBB173_115:
	s_delay_alu instid0(SALU_CYCLE_1)
	s_and_not1_b32 vcc_lo, exec_lo, s4
	s_cbranch_vccnz .LBB173_119
.LBB173_116:
	s_clause 0x1
	s_load_b96 s[4:6], s[20:21], 0x4
	s_load_b128 s[0:3], s[20:21], 0xc4
	s_cmp_lt_u32 s33, 2
	s_wait_kmcnt 0x0
	v_mul_hi_u32 v1, s5, v0
	s_delay_alu instid0(VALU_DEP_1) | instskip(NEXT) | instid1(VALU_DEP_1)
	v_add_nc_u32_e32 v1, v0, v1
	v_lshrrev_b32_e32 v2, s6, v1
	s_delay_alu instid0(VALU_DEP_1) | instskip(NEXT) | instid1(VALU_DEP_1)
	v_mul_lo_u32 v1, v2, s4
	v_sub_nc_u32_e32 v5, v0, v1
	s_delay_alu instid0(VALU_DEP_1)
	v_mul_lo_u32 v3, v5, s1
	v_mul_lo_u32 v1, v5, s0
	;; [unrolled: 1-line block ×4, first 2 shown]
	s_cbranch_scc1 .LBB173_119
; %bb.117:
	s_clause 0x1
	s_load_b96 s[4:6], s[20:21], 0x10
	s_load_b128 s[0:3], s[20:21], 0xd4
	s_wait_kmcnt 0x0
	v_mul_hi_u32 v6, s5, v2
	s_delay_alu instid0(VALU_DEP_1) | instskip(NEXT) | instid1(VALU_DEP_1)
	v_add_nc_u32_e32 v6, v2, v6
	v_lshrrev_b32_e32 v6, s6, v6
	s_delay_alu instid0(VALU_DEP_1) | instskip(NEXT) | instid1(VALU_DEP_1)
	v_mul_lo_u32 v6, v6, s4
	v_sub_nc_u32_e32 v2, v2, v6
	s_delay_alu instid0(VALU_DEP_1)
	v_mad_u32 v1, v2, s0, v1
	v_mad_u32 v3, v2, s1, v3
	;; [unrolled: 1-line block ×4, first 2 shown]
	s_branch .LBB173_119
.LBB173_118:
	v_dual_mov_b32 v3, 0 :: v_dual_mov_b32 v1, 0
	v_dual_mov_b32 v4, 0 :: v_dual_mov_b32 v5, 0
	s_and_not1_b32 vcc_lo, exec_lo, s4
	s_cbranch_vccz .LBB173_116
.LBB173_119:
	v_cmp_ne_u32_e32 vcc_lo, 1, v12
	v_add_nc_u32_e32 v6, 0x80, v0
	s_cbranch_vccnz .LBB173_125
; %bb.120:
	s_cmp_lg_u32 s33, 0
	s_mov_b32 s4, 0
	s_cbranch_scc0 .LBB173_129
; %bb.121:
	s_min_u32 s5, s34, 15
	v_dual_mov_b32 v9, 0 :: v_dual_mov_b32 v11, v6
	v_dual_mov_b32 v10, 0 :: v_dual_mov_b32 v2, 0
	v_mov_b32_e32 v8, 0
	s_add_co_i32 s2, s5, 1
	s_mov_b64 s[0:1], 0xffffffffffffffe0
	s_and_b32 s6, s2, 30
	s_add_nc_u64 s[0:1], s[20:21], s[0:1]
	s_mov_b64 s[2:3], s[20:21]
.LBB173_122:                            ; =>This Inner Loop Header: Depth=1
	s_clause 0x1
	s_load_b128 s[16:19], s[2:3], 0x4
	s_load_b64 s[22:23], s[2:3], 0x14
	s_load_b256 s[8:15], s[0:1], 0xe4
	s_add_co_i32 s6, s6, -2
	s_wait_xcnt 0x0
	s_add_nc_u64 s[2:3], s[2:3], 24
	s_cmp_lg_u32 s6, 0
	s_add_nc_u64 s[0:1], s[0:1], 32
	s_wait_kmcnt 0x0
	v_mul_hi_u32 v13, s17, v11
	s_delay_alu instid0(VALU_DEP_1) | instskip(NEXT) | instid1(VALU_DEP_1)
	v_add_nc_u32_e32 v13, v11, v13
	v_lshrrev_b32_e32 v13, s18, v13
	s_delay_alu instid0(VALU_DEP_1) | instskip(SKIP_1) | instid1(VALU_DEP_1)
	v_mul_hi_u32 v14, s22, v13
	v_mul_lo_u32 v15, v13, s16
	v_dual_add_nc_u32 v14, v13, v14 :: v_dual_sub_nc_u32 v15, v11, v15
	s_delay_alu instid0(VALU_DEP_1) | instskip(NEXT) | instid1(VALU_DEP_2)
	v_lshrrev_b32_e32 v11, s23, v14
	v_mad_u32 v8, v15, s9, v8
	v_mad_u32 v2, v15, s8, v2
	;; [unrolled: 1-line block ×4, first 2 shown]
	v_mul_lo_u32 v14, v11, s19
	s_delay_alu instid0(VALU_DEP_1) | instskip(NEXT) | instid1(VALU_DEP_1)
	v_sub_nc_u32_e32 v13, v13, v14
	v_mad_u32 v8, v13, s13, v8
	v_mad_u32 v2, v13, s12, v2
	;; [unrolled: 1-line block ×4, first 2 shown]
	s_cbranch_scc1 .LBB173_122
; %bb.123:
	s_bitcmp1_b32 s5, 0
	s_cselect_b32 s5, -1, 0
	s_delay_alu instid0(SALU_CYCLE_1)
	s_and_b32 vcc_lo, exec_lo, s5
	s_cbranch_vccnz .LBB173_126
; %bb.124:
	s_load_b96 s[12:14], s[2:3], 0x4
	s_load_b128 s[8:11], s[0:1], 0xe4
	s_wait_kmcnt 0x0
	v_mul_hi_u32 v13, s13, v11
	s_delay_alu instid0(VALU_DEP_1) | instskip(NEXT) | instid1(VALU_DEP_1)
	v_add_nc_u32_e32 v13, v11, v13
	v_lshrrev_b32_e32 v13, s14, v13
	s_delay_alu instid0(VALU_DEP_1) | instskip(NEXT) | instid1(VALU_DEP_1)
	v_mul_lo_u32 v13, v13, s12
	v_sub_nc_u32_e32 v11, v11, v13
	s_delay_alu instid0(VALU_DEP_1)
	v_mad_u32 v2, v11, s8, v2
	v_mad_u32 v8, v11, s9, v8
	;; [unrolled: 1-line block ×4, first 2 shown]
	s_and_not1_b32 vcc_lo, exec_lo, s4
	s_cbranch_vccz .LBB173_127
	s_branch .LBB173_130
.LBB173_125:
	s_mov_b32 s4, -1
                                        ; implicit-def: $vgpr8
                                        ; implicit-def: $vgpr2
                                        ; implicit-def: $vgpr10
                                        ; implicit-def: $vgpr9
.LBB173_126:
	s_delay_alu instid0(SALU_CYCLE_1)
	s_and_not1_b32 vcc_lo, exec_lo, s4
	s_cbranch_vccnz .LBB173_130
.LBB173_127:
	s_clause 0x1
	s_load_b96 s[4:6], s[20:21], 0x4
	s_load_b128 s[0:3], s[20:21], 0xc4
	s_cmp_lt_u32 s33, 2
	s_wait_kmcnt 0x0
	v_mul_hi_u32 v2, s5, v6
	s_delay_alu instid0(VALU_DEP_1) | instskip(NEXT) | instid1(VALU_DEP_1)
	v_add_nc_u32_e32 v2, v6, v2
	v_lshrrev_b32_e32 v11, s6, v2
	s_delay_alu instid0(VALU_DEP_1) | instskip(NEXT) | instid1(VALU_DEP_1)
	v_mul_lo_u32 v2, v11, s4
	v_sub_nc_u32_e32 v6, v6, v2
	s_delay_alu instid0(VALU_DEP_1)
	v_mul_lo_u32 v8, v6, s1
	v_mul_lo_u32 v2, v6, s0
	;; [unrolled: 1-line block ×4, first 2 shown]
	s_cbranch_scc1 .LBB173_130
; %bb.128:
	s_clause 0x1
	s_load_b96 s[4:6], s[20:21], 0x10
	s_load_b128 s[0:3], s[20:21], 0xd4
	s_wait_kmcnt 0x0
	v_mul_hi_u32 v6, s5, v11
	s_delay_alu instid0(VALU_DEP_1) | instskip(NEXT) | instid1(VALU_DEP_1)
	v_add_nc_u32_e32 v6, v11, v6
	v_lshrrev_b32_e32 v6, s6, v6
	s_delay_alu instid0(VALU_DEP_1) | instskip(NEXT) | instid1(VALU_DEP_1)
	v_mul_lo_u32 v6, v6, s4
	v_sub_nc_u32_e32 v6, v11, v6
	s_delay_alu instid0(VALU_DEP_1)
	v_mad_u32 v2, v6, s0, v2
	v_mad_u32 v8, v6, s1, v8
	;; [unrolled: 1-line block ×4, first 2 shown]
	s_branch .LBB173_130
.LBB173_129:
	v_dual_mov_b32 v8, 0 :: v_dual_mov_b32 v2, 0
	v_dual_mov_b32 v10, 0 :: v_dual_mov_b32 v9, 0
	s_and_not1_b32 vcc_lo, exec_lo, s4
	s_cbranch_vccz .LBB173_127
.LBB173_130:
	v_cmp_ne_u32_e32 vcc_lo, 1, v12
	v_add_nc_u32_e32 v11, 0x100, v0
	s_cbranch_vccnz .LBB173_136
; %bb.131:
	s_cmp_lg_u32 s33, 0
	s_mov_b32 s4, 0
	s_cbranch_scc0 .LBB173_140
; %bb.132:
	s_min_u32 s5, s34, 15
	v_dual_mov_b32 v13, 0 :: v_dual_mov_b32 v16, v11
	v_dual_mov_b32 v15, 0 :: v_dual_mov_b32 v6, 0
	v_mov_b32_e32 v14, 0
	s_add_co_i32 s2, s5, 1
	s_mov_b64 s[0:1], 0xffffffffffffffe0
	s_and_b32 s6, s2, 30
	s_add_nc_u64 s[0:1], s[20:21], s[0:1]
	s_mov_b64 s[2:3], s[20:21]
.LBB173_133:                            ; =>This Inner Loop Header: Depth=1
	s_clause 0x1
	s_load_b128 s[16:19], s[2:3], 0x4
	s_load_b64 s[22:23], s[2:3], 0x14
	s_load_b256 s[8:15], s[0:1], 0xe4
	s_add_co_i32 s6, s6, -2
	s_wait_xcnt 0x0
	s_add_nc_u64 s[2:3], s[2:3], 24
	s_cmp_lg_u32 s6, 0
	s_add_nc_u64 s[0:1], s[0:1], 32
	s_wait_kmcnt 0x0
	v_mul_hi_u32 v17, s17, v16
	s_delay_alu instid0(VALU_DEP_1) | instskip(NEXT) | instid1(VALU_DEP_1)
	v_add_nc_u32_e32 v17, v16, v17
	v_lshrrev_b32_e32 v17, s18, v17
	s_delay_alu instid0(VALU_DEP_1) | instskip(SKIP_1) | instid1(VALU_DEP_1)
	v_mul_hi_u32 v18, s22, v17
	v_mul_lo_u32 v19, v17, s16
	v_dual_add_nc_u32 v18, v17, v18 :: v_dual_sub_nc_u32 v19, v16, v19
	s_delay_alu instid0(VALU_DEP_1) | instskip(NEXT) | instid1(VALU_DEP_2)
	v_lshrrev_b32_e32 v16, s23, v18
	v_mad_u32 v14, v19, s9, v14
	v_mad_u32 v6, v19, s8, v6
	;; [unrolled: 1-line block ×4, first 2 shown]
	v_mul_lo_u32 v18, v16, s19
	s_delay_alu instid0(VALU_DEP_1) | instskip(NEXT) | instid1(VALU_DEP_1)
	v_sub_nc_u32_e32 v17, v17, v18
	v_mad_u32 v14, v17, s13, v14
	v_mad_u32 v6, v17, s12, v6
	;; [unrolled: 1-line block ×4, first 2 shown]
	s_cbranch_scc1 .LBB173_133
; %bb.134:
	s_bitcmp1_b32 s5, 0
	s_cselect_b32 s5, -1, 0
	s_delay_alu instid0(SALU_CYCLE_1)
	s_and_b32 vcc_lo, exec_lo, s5
	s_cbranch_vccnz .LBB173_137
; %bb.135:
	s_load_b96 s[12:14], s[2:3], 0x4
	s_load_b128 s[8:11], s[0:1], 0xe4
	s_wait_kmcnt 0x0
	v_mul_hi_u32 v17, s13, v16
	s_delay_alu instid0(VALU_DEP_1) | instskip(NEXT) | instid1(VALU_DEP_1)
	v_add_nc_u32_e32 v17, v16, v17
	v_lshrrev_b32_e32 v17, s14, v17
	s_delay_alu instid0(VALU_DEP_1) | instskip(NEXT) | instid1(VALU_DEP_1)
	v_mul_lo_u32 v17, v17, s12
	v_sub_nc_u32_e32 v16, v16, v17
	s_delay_alu instid0(VALU_DEP_1)
	v_mad_u32 v6, v16, s8, v6
	v_mad_u32 v14, v16, s9, v14
	;; [unrolled: 1-line block ×4, first 2 shown]
	s_and_not1_b32 vcc_lo, exec_lo, s4
	s_cbranch_vccz .LBB173_138
	s_branch .LBB173_141
.LBB173_136:
	s_mov_b32 s4, -1
                                        ; implicit-def: $vgpr14
                                        ; implicit-def: $vgpr6
                                        ; implicit-def: $vgpr15
                                        ; implicit-def: $vgpr13
.LBB173_137:
	s_delay_alu instid0(SALU_CYCLE_1)
	s_and_not1_b32 vcc_lo, exec_lo, s4
	s_cbranch_vccnz .LBB173_141
.LBB173_138:
	s_clause 0x1
	s_load_b96 s[4:6], s[20:21], 0x4
	s_load_b128 s[0:3], s[20:21], 0xc4
	s_cmp_lt_u32 s33, 2
	s_wait_kmcnt 0x0
	v_mul_hi_u32 v6, s5, v11
	s_delay_alu instid0(VALU_DEP_1) | instskip(NEXT) | instid1(VALU_DEP_1)
	v_add_nc_u32_e32 v6, v11, v6
	v_lshrrev_b32_e32 v16, s6, v6
	s_delay_alu instid0(VALU_DEP_1) | instskip(NEXT) | instid1(VALU_DEP_1)
	v_mul_lo_u32 v6, v16, s4
	v_sub_nc_u32_e32 v11, v11, v6
	s_delay_alu instid0(VALU_DEP_1)
	v_mul_lo_u32 v14, v11, s1
	v_mul_lo_u32 v6, v11, s0
	;; [unrolled: 1-line block ×4, first 2 shown]
	s_cbranch_scc1 .LBB173_141
; %bb.139:
	s_clause 0x1
	s_load_b96 s[4:6], s[20:21], 0x10
	s_load_b128 s[0:3], s[20:21], 0xd4
	s_wait_kmcnt 0x0
	v_mul_hi_u32 v11, s5, v16
	s_delay_alu instid0(VALU_DEP_1) | instskip(NEXT) | instid1(VALU_DEP_1)
	v_add_nc_u32_e32 v11, v16, v11
	v_lshrrev_b32_e32 v11, s6, v11
	s_delay_alu instid0(VALU_DEP_1) | instskip(NEXT) | instid1(VALU_DEP_1)
	v_mul_lo_u32 v11, v11, s4
	v_sub_nc_u32_e32 v11, v16, v11
	s_delay_alu instid0(VALU_DEP_1)
	v_mad_u32 v6, v11, s0, v6
	v_mad_u32 v14, v11, s1, v14
	;; [unrolled: 1-line block ×4, first 2 shown]
	s_branch .LBB173_141
.LBB173_140:
	v_dual_mov_b32 v14, 0 :: v_dual_mov_b32 v6, 0
	v_dual_mov_b32 v15, 0 :: v_dual_mov_b32 v13, 0
	s_and_not1_b32 vcc_lo, exec_lo, s4
	s_cbranch_vccz .LBB173_138
.LBB173_141:
	v_cmp_ne_u32_e32 vcc_lo, 1, v12
	v_add_nc_u32_e32 v16, 0x180, v0
	s_cbranch_vccnz .LBB173_147
; %bb.142:
	s_cmp_lg_u32 s33, 0
	s_mov_b32 s4, 0
	s_cbranch_scc0 .LBB173_151
; %bb.143:
	s_min_u32 s5, s34, 15
	v_dual_mov_b32 v19, 0 :: v_dual_mov_b32 v20, v16
	v_dual_mov_b32 v18, 0 :: v_dual_mov_b32 v11, 0
	v_mov_b32_e32 v17, 0
	s_add_co_i32 s2, s5, 1
	s_mov_b64 s[0:1], 0xffffffffffffffe0
	s_and_b32 s6, s2, 30
	s_add_nc_u64 s[0:1], s[20:21], s[0:1]
	s_mov_b64 s[2:3], s[20:21]
.LBB173_144:                            ; =>This Inner Loop Header: Depth=1
	s_clause 0x1
	s_load_b128 s[16:19], s[2:3], 0x4
	s_load_b64 s[22:23], s[2:3], 0x14
	s_load_b256 s[8:15], s[0:1], 0xe4
	s_add_co_i32 s6, s6, -2
	s_wait_xcnt 0x0
	s_add_nc_u64 s[2:3], s[2:3], 24
	s_cmp_lg_u32 s6, 0
	s_add_nc_u64 s[0:1], s[0:1], 32
	s_wait_kmcnt 0x0
	v_mul_hi_u32 v21, s17, v20
	s_delay_alu instid0(VALU_DEP_1) | instskip(NEXT) | instid1(VALU_DEP_1)
	v_add_nc_u32_e32 v21, v20, v21
	v_lshrrev_b32_e32 v21, s18, v21
	s_delay_alu instid0(VALU_DEP_1) | instskip(SKIP_1) | instid1(VALU_DEP_1)
	v_mul_hi_u32 v22, s22, v21
	v_mul_lo_u32 v23, v21, s16
	v_dual_add_nc_u32 v22, v21, v22 :: v_dual_sub_nc_u32 v23, v20, v23
	s_delay_alu instid0(VALU_DEP_1) | instskip(NEXT) | instid1(VALU_DEP_2)
	v_lshrrev_b32_e32 v20, s23, v22
	v_mad_u32 v17, v23, s9, v17
	v_mad_u32 v11, v23, s8, v11
	;; [unrolled: 1-line block ×4, first 2 shown]
	v_mul_lo_u32 v22, v20, s19
	s_delay_alu instid0(VALU_DEP_1) | instskip(NEXT) | instid1(VALU_DEP_1)
	v_sub_nc_u32_e32 v21, v21, v22
	v_mad_u32 v17, v21, s13, v17
	v_mad_u32 v11, v21, s12, v11
	;; [unrolled: 1-line block ×4, first 2 shown]
	s_cbranch_scc1 .LBB173_144
; %bb.145:
	s_bitcmp1_b32 s5, 0
	s_cselect_b32 s5, -1, 0
	s_delay_alu instid0(SALU_CYCLE_1)
	s_and_b32 vcc_lo, exec_lo, s5
	s_cbranch_vccnz .LBB173_148
; %bb.146:
	s_load_b96 s[12:14], s[2:3], 0x4
	s_load_b128 s[8:11], s[0:1], 0xe4
	s_wait_kmcnt 0x0
	v_mul_hi_u32 v21, s13, v20
	s_delay_alu instid0(VALU_DEP_1) | instskip(NEXT) | instid1(VALU_DEP_1)
	v_add_nc_u32_e32 v21, v20, v21
	v_lshrrev_b32_e32 v21, s14, v21
	s_delay_alu instid0(VALU_DEP_1) | instskip(NEXT) | instid1(VALU_DEP_1)
	v_mul_lo_u32 v21, v21, s12
	v_sub_nc_u32_e32 v20, v20, v21
	s_delay_alu instid0(VALU_DEP_1)
	v_mad_u32 v11, v20, s8, v11
	v_mad_u32 v17, v20, s9, v17
	;; [unrolled: 1-line block ×4, first 2 shown]
	s_and_not1_b32 vcc_lo, exec_lo, s4
	s_cbranch_vccz .LBB173_149
	s_branch .LBB173_152
.LBB173_147:
	s_mov_b32 s4, -1
                                        ; implicit-def: $vgpr17
                                        ; implicit-def: $vgpr11
                                        ; implicit-def: $vgpr18
                                        ; implicit-def: $vgpr19
.LBB173_148:
	s_delay_alu instid0(SALU_CYCLE_1)
	s_and_not1_b32 vcc_lo, exec_lo, s4
	s_cbranch_vccnz .LBB173_152
.LBB173_149:
	s_clause 0x1
	s_load_b96 s[4:6], s[20:21], 0x4
	s_load_b128 s[0:3], s[20:21], 0xc4
	s_cmp_lt_u32 s33, 2
	s_wait_kmcnt 0x0
	v_mul_hi_u32 v11, s5, v16
	s_delay_alu instid0(VALU_DEP_1) | instskip(NEXT) | instid1(VALU_DEP_1)
	v_add_nc_u32_e32 v11, v16, v11
	v_lshrrev_b32_e32 v20, s6, v11
	s_delay_alu instid0(VALU_DEP_1) | instskip(NEXT) | instid1(VALU_DEP_1)
	v_mul_lo_u32 v11, v20, s4
	v_sub_nc_u32_e32 v16, v16, v11
	s_delay_alu instid0(VALU_DEP_1)
	v_mul_lo_u32 v17, v16, s1
	v_mul_lo_u32 v11, v16, s0
	;; [unrolled: 1-line block ×4, first 2 shown]
	s_cbranch_scc1 .LBB173_152
; %bb.150:
	s_clause 0x1
	s_load_b96 s[4:6], s[20:21], 0x10
	s_load_b128 s[0:3], s[20:21], 0xd4
	s_wait_kmcnt 0x0
	v_mul_hi_u32 v16, s5, v20
	s_delay_alu instid0(VALU_DEP_1) | instskip(NEXT) | instid1(VALU_DEP_1)
	v_add_nc_u32_e32 v16, v20, v16
	v_lshrrev_b32_e32 v16, s6, v16
	s_delay_alu instid0(VALU_DEP_1) | instskip(NEXT) | instid1(VALU_DEP_1)
	v_mul_lo_u32 v16, v16, s4
	v_sub_nc_u32_e32 v16, v20, v16
	s_delay_alu instid0(VALU_DEP_1)
	v_mad_u32 v11, v16, s0, v11
	v_mad_u32 v17, v16, s1, v17
	;; [unrolled: 1-line block ×4, first 2 shown]
	s_branch .LBB173_152
.LBB173_151:
	v_dual_mov_b32 v17, 0 :: v_dual_mov_b32 v11, 0
	v_dual_mov_b32 v18, 0 :: v_dual_mov_b32 v19, 0
	s_and_not1_b32 vcc_lo, exec_lo, s4
	s_cbranch_vccz .LBB173_149
.LBB173_152:
	v_cmp_ne_u32_e32 vcc_lo, 1, v12
	v_add_nc_u32_e32 v20, 0x200, v0
	s_cbranch_vccnz .LBB173_158
; %bb.153:
	s_cmp_lg_u32 s33, 0
	s_mov_b32 s4, 0
	s_cbranch_scc0 .LBB173_162
; %bb.154:
	s_min_u32 s5, s34, 15
	v_dual_mov_b32 v23, 0 :: v_dual_mov_b32 v24, v20
	v_dual_mov_b32 v22, 0 :: v_dual_mov_b32 v16, 0
	v_mov_b32_e32 v21, 0
	s_add_co_i32 s2, s5, 1
	s_mov_b64 s[0:1], 0xffffffffffffffe0
	s_and_b32 s6, s2, 30
	s_add_nc_u64 s[0:1], s[20:21], s[0:1]
	s_mov_b64 s[2:3], s[20:21]
.LBB173_155:                            ; =>This Inner Loop Header: Depth=1
	s_clause 0x1
	s_load_b128 s[16:19], s[2:3], 0x4
	s_load_b64 s[22:23], s[2:3], 0x14
	s_load_b256 s[8:15], s[0:1], 0xe4
	s_add_co_i32 s6, s6, -2
	s_wait_xcnt 0x0
	s_add_nc_u64 s[2:3], s[2:3], 24
	s_cmp_lg_u32 s6, 0
	s_add_nc_u64 s[0:1], s[0:1], 32
	s_wait_kmcnt 0x0
	v_mul_hi_u32 v25, s17, v24
	s_delay_alu instid0(VALU_DEP_1) | instskip(NEXT) | instid1(VALU_DEP_1)
	v_add_nc_u32_e32 v25, v24, v25
	v_lshrrev_b32_e32 v25, s18, v25
	s_delay_alu instid0(VALU_DEP_1) | instskip(SKIP_1) | instid1(VALU_DEP_1)
	v_mul_hi_u32 v26, s22, v25
	v_mul_lo_u32 v27, v25, s16
	v_dual_add_nc_u32 v26, v25, v26 :: v_dual_sub_nc_u32 v27, v24, v27
	s_delay_alu instid0(VALU_DEP_1) | instskip(NEXT) | instid1(VALU_DEP_2)
	v_lshrrev_b32_e32 v24, s23, v26
	v_mad_u32 v21, v27, s9, v21
	v_mad_u32 v16, v27, s8, v16
	v_mad_u32 v22, v27, s11, v22
	v_mad_u32 v23, v27, s10, v23
	v_mul_lo_u32 v26, v24, s19
	s_delay_alu instid0(VALU_DEP_1) | instskip(NEXT) | instid1(VALU_DEP_1)
	v_sub_nc_u32_e32 v25, v25, v26
	v_mad_u32 v21, v25, s13, v21
	v_mad_u32 v16, v25, s12, v16
	;; [unrolled: 1-line block ×4, first 2 shown]
	s_cbranch_scc1 .LBB173_155
; %bb.156:
	s_bitcmp1_b32 s5, 0
	s_cselect_b32 s5, -1, 0
	s_delay_alu instid0(SALU_CYCLE_1)
	s_and_b32 vcc_lo, exec_lo, s5
	s_cbranch_vccnz .LBB173_159
; %bb.157:
	s_load_b96 s[12:14], s[2:3], 0x4
	s_load_b128 s[8:11], s[0:1], 0xe4
	s_wait_kmcnt 0x0
	v_mul_hi_u32 v25, s13, v24
	s_delay_alu instid0(VALU_DEP_1) | instskip(NEXT) | instid1(VALU_DEP_1)
	v_add_nc_u32_e32 v25, v24, v25
	v_lshrrev_b32_e32 v25, s14, v25
	s_delay_alu instid0(VALU_DEP_1) | instskip(NEXT) | instid1(VALU_DEP_1)
	v_mul_lo_u32 v25, v25, s12
	v_sub_nc_u32_e32 v24, v24, v25
	s_delay_alu instid0(VALU_DEP_1)
	v_mad_u32 v16, v24, s8, v16
	v_mad_u32 v21, v24, s9, v21
	;; [unrolled: 1-line block ×4, first 2 shown]
	s_and_not1_b32 vcc_lo, exec_lo, s4
	s_cbranch_vccz .LBB173_160
	s_branch .LBB173_163
.LBB173_158:
	s_mov_b32 s4, -1
                                        ; implicit-def: $vgpr21
                                        ; implicit-def: $vgpr16
                                        ; implicit-def: $vgpr22
                                        ; implicit-def: $vgpr23
.LBB173_159:
	s_delay_alu instid0(SALU_CYCLE_1)
	s_and_not1_b32 vcc_lo, exec_lo, s4
	s_cbranch_vccnz .LBB173_163
.LBB173_160:
	s_clause 0x1
	s_load_b96 s[4:6], s[20:21], 0x4
	s_load_b128 s[0:3], s[20:21], 0xc4
	s_cmp_lt_u32 s33, 2
	s_wait_kmcnt 0x0
	v_mul_hi_u32 v16, s5, v20
	s_delay_alu instid0(VALU_DEP_1) | instskip(NEXT) | instid1(VALU_DEP_1)
	v_add_nc_u32_e32 v16, v20, v16
	v_lshrrev_b32_e32 v24, s6, v16
	s_delay_alu instid0(VALU_DEP_1) | instskip(NEXT) | instid1(VALU_DEP_1)
	v_mul_lo_u32 v16, v24, s4
	v_sub_nc_u32_e32 v20, v20, v16
	s_delay_alu instid0(VALU_DEP_1)
	v_mul_lo_u32 v21, v20, s1
	v_mul_lo_u32 v16, v20, s0
	;; [unrolled: 1-line block ×4, first 2 shown]
	s_cbranch_scc1 .LBB173_163
; %bb.161:
	s_clause 0x1
	s_load_b96 s[4:6], s[20:21], 0x10
	s_load_b128 s[0:3], s[20:21], 0xd4
	s_wait_kmcnt 0x0
	v_mul_hi_u32 v20, s5, v24
	s_delay_alu instid0(VALU_DEP_1) | instskip(NEXT) | instid1(VALU_DEP_1)
	v_add_nc_u32_e32 v20, v24, v20
	v_lshrrev_b32_e32 v20, s6, v20
	s_delay_alu instid0(VALU_DEP_1) | instskip(NEXT) | instid1(VALU_DEP_1)
	v_mul_lo_u32 v20, v20, s4
	v_sub_nc_u32_e32 v20, v24, v20
	s_delay_alu instid0(VALU_DEP_1)
	v_mad_u32 v16, v20, s0, v16
	v_mad_u32 v21, v20, s1, v21
	;; [unrolled: 1-line block ×4, first 2 shown]
	s_branch .LBB173_163
.LBB173_162:
	v_dual_mov_b32 v21, 0 :: v_dual_mov_b32 v16, 0
	v_dual_mov_b32 v22, 0 :: v_dual_mov_b32 v23, 0
	s_and_not1_b32 vcc_lo, exec_lo, s4
	s_cbranch_vccz .LBB173_160
.LBB173_163:
	v_cmp_ne_u32_e32 vcc_lo, 1, v12
	v_add_nc_u32_e32 v27, 0x280, v0
	s_cbranch_vccnz .LBB173_169
; %bb.164:
	s_cmp_lg_u32 s33, 0
	s_mov_b32 s4, 0
	s_cbranch_scc0 .LBB173_173
; %bb.165:
	s_min_u32 s5, s34, 15
	v_dual_mov_b32 v26, 0 :: v_dual_mov_b32 v28, v27
	v_dual_mov_b32 v25, 0 :: v_dual_mov_b32 v20, 0
	v_mov_b32_e32 v24, 0
	s_add_co_i32 s2, s5, 1
	s_mov_b64 s[0:1], 0xffffffffffffffe0
	s_and_b32 s6, s2, 30
	s_add_nc_u64 s[0:1], s[20:21], s[0:1]
	s_mov_b64 s[2:3], s[20:21]
.LBB173_166:                            ; =>This Inner Loop Header: Depth=1
	s_clause 0x1
	s_load_b128 s[16:19], s[2:3], 0x4
	s_load_b64 s[22:23], s[2:3], 0x14
	s_load_b256 s[8:15], s[0:1], 0xe4
	s_add_co_i32 s6, s6, -2
	s_wait_xcnt 0x0
	s_add_nc_u64 s[2:3], s[2:3], 24
	s_cmp_lg_u32 s6, 0
	s_add_nc_u64 s[0:1], s[0:1], 32
	s_wait_kmcnt 0x0
	v_mul_hi_u32 v29, s17, v28
	s_delay_alu instid0(VALU_DEP_1) | instskip(NEXT) | instid1(VALU_DEP_1)
	v_add_nc_u32_e32 v29, v28, v29
	v_lshrrev_b32_e32 v29, s18, v29
	s_delay_alu instid0(VALU_DEP_1) | instskip(SKIP_1) | instid1(VALU_DEP_1)
	v_mul_hi_u32 v30, s22, v29
	v_mul_lo_u32 v31, v29, s16
	v_dual_add_nc_u32 v30, v29, v30 :: v_dual_sub_nc_u32 v31, v28, v31
	s_delay_alu instid0(VALU_DEP_1) | instskip(NEXT) | instid1(VALU_DEP_2)
	v_lshrrev_b32_e32 v28, s23, v30
	v_mad_u32 v24, v31, s9, v24
	v_mad_u32 v20, v31, s8, v20
	;; [unrolled: 1-line block ×4, first 2 shown]
	v_mul_lo_u32 v30, v28, s19
	s_delay_alu instid0(VALU_DEP_1) | instskip(NEXT) | instid1(VALU_DEP_1)
	v_sub_nc_u32_e32 v29, v29, v30
	v_mad_u32 v24, v29, s13, v24
	v_mad_u32 v20, v29, s12, v20
	;; [unrolled: 1-line block ×4, first 2 shown]
	s_cbranch_scc1 .LBB173_166
; %bb.167:
	s_bitcmp1_b32 s5, 0
	s_cselect_b32 s5, -1, 0
	s_delay_alu instid0(SALU_CYCLE_1)
	s_and_b32 vcc_lo, exec_lo, s5
	s_cbranch_vccnz .LBB173_170
; %bb.168:
	s_load_b96 s[12:14], s[2:3], 0x4
	s_load_b128 s[8:11], s[0:1], 0xe4
	s_wait_kmcnt 0x0
	v_mul_hi_u32 v29, s13, v28
	s_delay_alu instid0(VALU_DEP_1) | instskip(NEXT) | instid1(VALU_DEP_1)
	v_add_nc_u32_e32 v29, v28, v29
	v_lshrrev_b32_e32 v29, s14, v29
	s_delay_alu instid0(VALU_DEP_1) | instskip(NEXT) | instid1(VALU_DEP_1)
	v_mul_lo_u32 v29, v29, s12
	v_sub_nc_u32_e32 v28, v28, v29
	s_delay_alu instid0(VALU_DEP_1)
	v_mad_u32 v20, v28, s8, v20
	v_mad_u32 v24, v28, s9, v24
	;; [unrolled: 1-line block ×4, first 2 shown]
	s_and_not1_b32 vcc_lo, exec_lo, s4
	s_cbranch_vccz .LBB173_171
	s_branch .LBB173_174
.LBB173_169:
	s_mov_b32 s4, -1
                                        ; implicit-def: $vgpr24
                                        ; implicit-def: $vgpr20
                                        ; implicit-def: $vgpr25
                                        ; implicit-def: $vgpr26
.LBB173_170:
	s_delay_alu instid0(SALU_CYCLE_1)
	s_and_not1_b32 vcc_lo, exec_lo, s4
	s_cbranch_vccnz .LBB173_174
.LBB173_171:
	s_clause 0x1
	s_load_b96 s[4:6], s[20:21], 0x4
	s_load_b128 s[0:3], s[20:21], 0xc4
	s_cmp_lt_u32 s33, 2
	s_wait_kmcnt 0x0
	v_mul_hi_u32 v20, s5, v27
	s_delay_alu instid0(VALU_DEP_1) | instskip(NEXT) | instid1(VALU_DEP_1)
	v_add_nc_u32_e32 v20, v27, v20
	v_lshrrev_b32_e32 v28, s6, v20
	s_delay_alu instid0(VALU_DEP_1) | instskip(NEXT) | instid1(VALU_DEP_1)
	v_mul_lo_u32 v20, v28, s4
	v_sub_nc_u32_e32 v26, v27, v20
	s_delay_alu instid0(VALU_DEP_1)
	v_mul_lo_u32 v24, v26, s1
	v_mul_lo_u32 v20, v26, s0
	;; [unrolled: 1-line block ×4, first 2 shown]
	s_cbranch_scc1 .LBB173_174
; %bb.172:
	s_clause 0x1
	s_load_b96 s[4:6], s[20:21], 0x10
	s_load_b128 s[0:3], s[20:21], 0xd4
	s_wait_kmcnt 0x0
	v_mul_hi_u32 v27, s5, v28
	s_delay_alu instid0(VALU_DEP_1) | instskip(NEXT) | instid1(VALU_DEP_1)
	v_add_nc_u32_e32 v27, v28, v27
	v_lshrrev_b32_e32 v27, s6, v27
	s_delay_alu instid0(VALU_DEP_1) | instskip(NEXT) | instid1(VALU_DEP_1)
	v_mul_lo_u32 v27, v27, s4
	v_sub_nc_u32_e32 v27, v28, v27
	s_delay_alu instid0(VALU_DEP_1)
	v_mad_u32 v20, v27, s0, v20
	v_mad_u32 v24, v27, s1, v24
	;; [unrolled: 1-line block ×4, first 2 shown]
	s_branch .LBB173_174
.LBB173_173:
	v_dual_mov_b32 v24, 0 :: v_dual_mov_b32 v20, 0
	v_dual_mov_b32 v25, 0 :: v_dual_mov_b32 v26, 0
	s_and_not1_b32 vcc_lo, exec_lo, s4
	s_cbranch_vccz .LBB173_171
.LBB173_174:
	v_cmp_ne_u32_e32 vcc_lo, 1, v12
	v_add_nc_u32_e32 v30, 0x300, v0
	s_cbranch_vccnz .LBB173_180
; %bb.175:
	s_cmp_lg_u32 s33, 0
	s_mov_b32 s4, 0
	s_cbranch_scc0 .LBB173_184
; %bb.176:
	s_min_u32 s5, s34, 15
	v_dual_mov_b32 v29, 0 :: v_dual_mov_b32 v31, v30
	v_dual_mov_b32 v28, 0 :: v_dual_mov_b32 v0, 0
	v_mov_b32_e32 v27, 0
	s_add_co_i32 s2, s5, 1
	s_mov_b64 s[0:1], 0xffffffffffffffe0
	s_and_b32 s6, s2, 30
	s_add_nc_u64 s[0:1], s[20:21], s[0:1]
	s_mov_b64 s[2:3], s[20:21]
.LBB173_177:                            ; =>This Inner Loop Header: Depth=1
	s_clause 0x1
	s_load_b128 s[16:19], s[2:3], 0x4
	s_load_b64 s[22:23], s[2:3], 0x14
	s_load_b256 s[8:15], s[0:1], 0xe4
	s_add_co_i32 s6, s6, -2
	s_wait_xcnt 0x0
	s_add_nc_u64 s[2:3], s[2:3], 24
	s_cmp_lg_u32 s6, 0
	s_add_nc_u64 s[0:1], s[0:1], 32
	s_wait_kmcnt 0x0
	v_mul_hi_u32 v32, s17, v31
	s_delay_alu instid0(VALU_DEP_1) | instskip(NEXT) | instid1(VALU_DEP_1)
	v_add_nc_u32_e32 v32, v31, v32
	v_lshrrev_b32_e32 v32, s18, v32
	s_delay_alu instid0(VALU_DEP_1) | instskip(SKIP_1) | instid1(VALU_DEP_1)
	v_mul_hi_u32 v33, s22, v32
	v_mul_lo_u32 v34, v32, s16
	v_dual_add_nc_u32 v33, v32, v33 :: v_dual_sub_nc_u32 v34, v31, v34
	s_delay_alu instid0(VALU_DEP_1) | instskip(NEXT) | instid1(VALU_DEP_2)
	v_lshrrev_b32_e32 v31, s23, v33
	v_mad_u32 v27, v34, s9, v27
	v_mad_u32 v0, v34, s8, v0
	;; [unrolled: 1-line block ×4, first 2 shown]
	v_mul_lo_u32 v33, v31, s19
	s_delay_alu instid0(VALU_DEP_1) | instskip(NEXT) | instid1(VALU_DEP_1)
	v_sub_nc_u32_e32 v32, v32, v33
	v_mad_u32 v27, v32, s13, v27
	v_mad_u32 v0, v32, s12, v0
	;; [unrolled: 1-line block ×4, first 2 shown]
	s_cbranch_scc1 .LBB173_177
; %bb.178:
	s_bitcmp1_b32 s5, 0
	s_cselect_b32 s5, -1, 0
	s_delay_alu instid0(SALU_CYCLE_1)
	s_and_b32 vcc_lo, exec_lo, s5
	s_cbranch_vccnz .LBB173_181
; %bb.179:
	s_load_b96 s[12:14], s[2:3], 0x4
	s_load_b128 s[8:11], s[0:1], 0xe4
	s_wait_kmcnt 0x0
	v_mul_hi_u32 v32, s13, v31
	s_delay_alu instid0(VALU_DEP_1) | instskip(NEXT) | instid1(VALU_DEP_1)
	v_add_nc_u32_e32 v32, v31, v32
	v_lshrrev_b32_e32 v32, s14, v32
	s_delay_alu instid0(VALU_DEP_1) | instskip(NEXT) | instid1(VALU_DEP_1)
	v_mul_lo_u32 v32, v32, s12
	v_sub_nc_u32_e32 v31, v31, v32
	s_delay_alu instid0(VALU_DEP_1)
	v_mad_u32 v0, v31, s8, v0
	v_mad_u32 v27, v31, s9, v27
	;; [unrolled: 1-line block ×4, first 2 shown]
	s_and_not1_b32 vcc_lo, exec_lo, s4
	s_cbranch_vccz .LBB173_182
	s_branch .LBB173_185
.LBB173_180:
	s_mov_b32 s4, -1
                                        ; implicit-def: $vgpr27
                                        ; implicit-def: $vgpr0
                                        ; implicit-def: $vgpr28
                                        ; implicit-def: $vgpr29
.LBB173_181:
	s_delay_alu instid0(SALU_CYCLE_1)
	s_and_not1_b32 vcc_lo, exec_lo, s4
	s_cbranch_vccnz .LBB173_185
.LBB173_182:
	s_clause 0x1
	s_load_b96 s[4:6], s[20:21], 0x4
	s_load_b128 s[0:3], s[20:21], 0xc4
	s_cmp_lt_u32 s33, 2
	s_wait_kmcnt 0x0
	v_mul_hi_u32 v0, s5, v30
	s_delay_alu instid0(VALU_DEP_1) | instskip(NEXT) | instid1(VALU_DEP_1)
	v_add_nc_u32_e32 v0, v30, v0
	v_lshrrev_b32_e32 v31, s6, v0
	s_delay_alu instid0(VALU_DEP_1) | instskip(NEXT) | instid1(VALU_DEP_1)
	v_mul_lo_u32 v0, v31, s4
	v_sub_nc_u32_e32 v29, v30, v0
	s_delay_alu instid0(VALU_DEP_1)
	v_mul_lo_u32 v27, v29, s1
	v_mul_lo_u32 v0, v29, s0
	;; [unrolled: 1-line block ×4, first 2 shown]
	s_cbranch_scc1 .LBB173_185
; %bb.183:
	s_clause 0x1
	s_load_b96 s[4:6], s[20:21], 0x10
	s_load_b128 s[0:3], s[20:21], 0xd4
	s_wait_kmcnt 0x0
	v_mul_hi_u32 v30, s5, v31
	s_delay_alu instid0(VALU_DEP_1) | instskip(NEXT) | instid1(VALU_DEP_1)
	v_add_nc_u32_e32 v30, v31, v30
	v_lshrrev_b32_e32 v30, s6, v30
	s_delay_alu instid0(VALU_DEP_1) | instskip(NEXT) | instid1(VALU_DEP_1)
	v_mul_lo_u32 v30, v30, s4
	v_sub_nc_u32_e32 v30, v31, v30
	s_delay_alu instid0(VALU_DEP_1)
	v_mad_u32 v0, v30, s0, v0
	v_mad_u32 v27, v30, s1, v27
	;; [unrolled: 1-line block ×4, first 2 shown]
	s_branch .LBB173_185
.LBB173_184:
	v_dual_mov_b32 v27, 0 :: v_dual_mov_b32 v0, 0
	v_dual_mov_b32 v28, 0 :: v_dual_mov_b32 v29, 0
	s_and_not1_b32 vcc_lo, exec_lo, s4
	s_cbranch_vccz .LBB173_182
.LBB173_185:
	v_cmp_ne_u32_e32 vcc_lo, 1, v12
	s_cbranch_vccnz .LBB173_191
; %bb.186:
	s_cmp_lg_u32 s33, 0
	s_mov_b32 s4, 0
	s_cbranch_scc0 .LBB173_195
; %bb.187:
	s_min_u32 s5, s34, 15
	v_dual_mov_b32 v32, 0 :: v_dual_mov_b32 v33, v7
	v_dual_mov_b32 v31, 0 :: v_dual_mov_b32 v12, 0
	v_mov_b32_e32 v30, 0
	s_add_co_i32 s2, s5, 1
	s_mov_b64 s[0:1], 0xffffffffffffffe0
	s_and_b32 s6, s2, 30
	s_add_nc_u64 s[0:1], s[20:21], s[0:1]
	s_mov_b64 s[2:3], s[20:21]
.LBB173_188:                            ; =>This Inner Loop Header: Depth=1
	s_clause 0x1
	s_load_b128 s[16:19], s[2:3], 0x4
	s_load_b64 s[22:23], s[2:3], 0x14
	s_load_b256 s[8:15], s[0:1], 0xe4
	s_add_co_i32 s6, s6, -2
	s_wait_xcnt 0x0
	s_add_nc_u64 s[2:3], s[2:3], 24
	s_cmp_lg_u32 s6, 0
	s_add_nc_u64 s[0:1], s[0:1], 32
	s_wait_kmcnt 0x0
	v_mul_hi_u32 v34, s17, v33
	s_delay_alu instid0(VALU_DEP_1) | instskip(NEXT) | instid1(VALU_DEP_1)
	v_add_nc_u32_e32 v34, v33, v34
	v_lshrrev_b32_e32 v34, s18, v34
	s_delay_alu instid0(VALU_DEP_1) | instskip(SKIP_1) | instid1(VALU_DEP_1)
	v_mul_hi_u32 v35, s22, v34
	v_mul_lo_u32 v36, v34, s16
	v_dual_add_nc_u32 v35, v34, v35 :: v_dual_sub_nc_u32 v36, v33, v36
	s_delay_alu instid0(VALU_DEP_1) | instskip(NEXT) | instid1(VALU_DEP_2)
	v_lshrrev_b32_e32 v33, s23, v35
	v_mad_u32 v30, v36, s9, v30
	v_mad_u32 v12, v36, s8, v12
	;; [unrolled: 1-line block ×4, first 2 shown]
	v_mul_lo_u32 v35, v33, s19
	s_delay_alu instid0(VALU_DEP_1) | instskip(NEXT) | instid1(VALU_DEP_1)
	v_sub_nc_u32_e32 v34, v34, v35
	v_mad_u32 v30, v34, s13, v30
	v_mad_u32 v12, v34, s12, v12
	;; [unrolled: 1-line block ×4, first 2 shown]
	s_cbranch_scc1 .LBB173_188
; %bb.189:
	s_bitcmp1_b32 s5, 0
	s_cselect_b32 s5, -1, 0
	s_delay_alu instid0(SALU_CYCLE_1)
	s_and_b32 vcc_lo, exec_lo, s5
	s_cbranch_vccnz .LBB173_192
; %bb.190:
	s_load_b96 s[12:14], s[2:3], 0x4
	s_load_b128 s[8:11], s[0:1], 0xe4
	s_wait_kmcnt 0x0
	v_mul_hi_u32 v34, s13, v33
	s_delay_alu instid0(VALU_DEP_1) | instskip(NEXT) | instid1(VALU_DEP_1)
	v_add_nc_u32_e32 v34, v33, v34
	v_lshrrev_b32_e32 v34, s14, v34
	s_delay_alu instid0(VALU_DEP_1) | instskip(NEXT) | instid1(VALU_DEP_1)
	v_mul_lo_u32 v34, v34, s12
	v_sub_nc_u32_e32 v33, v33, v34
	s_delay_alu instid0(VALU_DEP_1)
	v_mad_u32 v12, v33, s8, v12
	v_mad_u32 v30, v33, s9, v30
	;; [unrolled: 1-line block ×4, first 2 shown]
	s_and_not1_b32 vcc_lo, exec_lo, s4
	s_cbranch_vccz .LBB173_193
	s_branch .LBB173_196
.LBB173_191:
	s_mov_b32 s4, -1
                                        ; implicit-def: $vgpr30
                                        ; implicit-def: $vgpr12
                                        ; implicit-def: $vgpr31
                                        ; implicit-def: $vgpr32
.LBB173_192:
	s_delay_alu instid0(SALU_CYCLE_1)
	s_and_not1_b32 vcc_lo, exec_lo, s4
	s_cbranch_vccnz .LBB173_196
.LBB173_193:
	s_clause 0x1
	s_load_b96 s[4:6], s[20:21], 0x4
	s_load_b128 s[0:3], s[20:21], 0xc4
	s_cmp_lt_u32 s33, 2
	s_wait_kmcnt 0x0
	v_mul_hi_u32 v12, s5, v7
	s_delay_alu instid0(VALU_DEP_1) | instskip(NEXT) | instid1(VALU_DEP_1)
	v_add_nc_u32_e32 v12, v7, v12
	v_lshrrev_b32_e32 v33, s6, v12
	s_delay_alu instid0(VALU_DEP_1) | instskip(NEXT) | instid1(VALU_DEP_1)
	v_mul_lo_u32 v12, v33, s4
	v_sub_nc_u32_e32 v7, v7, v12
	s_delay_alu instid0(VALU_DEP_1)
	v_mul_lo_u32 v30, v7, s1
	v_mul_lo_u32 v12, v7, s0
	;; [unrolled: 1-line block ×4, first 2 shown]
	s_cbranch_scc1 .LBB173_196
; %bb.194:
	s_clause 0x1
	s_load_b96 s[4:6], s[20:21], 0x10
	s_load_b128 s[0:3], s[20:21], 0xd4
	s_wait_kmcnt 0x0
	v_mul_hi_u32 v7, s5, v33
	s_delay_alu instid0(VALU_DEP_1) | instskip(NEXT) | instid1(VALU_DEP_1)
	v_add_nc_u32_e32 v7, v33, v7
	v_lshrrev_b32_e32 v7, s6, v7
	s_delay_alu instid0(VALU_DEP_1) | instskip(NEXT) | instid1(VALU_DEP_1)
	v_mul_lo_u32 v7, v7, s4
	v_sub_nc_u32_e32 v7, v33, v7
	s_delay_alu instid0(VALU_DEP_1)
	v_mad_u32 v12, v7, s0, v12
	v_mad_u32 v30, v7, s1, v30
	;; [unrolled: 1-line block ×4, first 2 shown]
	s_branch .LBB173_196
.LBB173_195:
	v_dual_mov_b32 v30, 0 :: v_dual_mov_b32 v12, 0
	v_dual_mov_b32 v31, 0 :: v_dual_mov_b32 v32, 0
	s_and_not1_b32 vcc_lo, exec_lo, s4
	s_cbranch_vccz .LBB173_193
.LBB173_196:
	s_load_b256 s[0:7], s[20:21], 0x1c8
	s_wait_kmcnt 0x0
	s_clause 0x7
	global_load_u16 v7, v5, s[4:5]
	global_load_u16 v33, v9, s[4:5]
	;; [unrolled: 1-line block ×15, first 2 shown]
                                        ; kill: killed $sgpr4_sgpr5
                                        ; kill: killed $vgpr32
                                        ; kill: killed $vgpr10
                                        ; kill: killed $vgpr19
                                        ; kill: killed $vgpr14
                                        ; kill: killed $vgpr15
                                        ; kill: killed $vgpr23
                                        ; kill: killed $vgpr5
                                        ; kill: killed $vgpr18
                                        ; kill: killed $vgpr26
                                        ; kill: killed $vgpr9
                                        ; kill: killed $vgpr3
                                        ; kill: killed $vgpr29
                                        ; kill: killed $vgpr4
                                        ; kill: killed $vgpr13
                                        ; kill: killed $vgpr8
	global_load_u16 v3, v17, s[2:3]
	global_load_u16 v5, v22, s[6:7]
	;; [unrolled: 1-line block ×9, first 2 shown]
	s_wait_xcnt 0x0
	s_load_b64 s[2:3], s[20:21], 0x1e8
	s_wait_kmcnt 0x0
	s_lshl_b32 s3, s2, 16
	s_pack_lh_b32_b16 s2, 0, s2
	s_wait_loadcnt 0x17
	v_dual_mov_b32 v4, s3 :: v_dual_lshlrev_b32 v7, 16, v7
	s_wait_loadcnt 0x15
	v_dual_lshlrev_b32 v17, 16, v33 :: v_dual_lshlrev_b32 v21, 16, v34
	s_wait_loadcnt 0x13
	v_dual_lshlrev_b32 v33, 16, v35 :: v_dual_lshlrev_b32 v34, 16, v36
	;; [unrolled: 2-line block ×9, first 2 shown]
	v_dual_mul_f32 v10, s2, v21 :: v_dual_mul_f32 v21, s2, v35
	s_wait_loadcnt 0x2
	v_dual_mul_f32 v13, s2, v33 :: v_dual_lshlrev_b32 v28, 16, v32
	s_wait_loadcnt 0x0
	v_dual_lshlrev_b32 v31, 16, v47 :: v_dual_lshlrev_b32 v30, 16, v48
	v_dual_mul_f32 v3, s2, v7 :: v_dual_mul_f32 v7, s2, v17
	v_mul_f32_e32 v17, s2, v34
	v_bfe_u32 v35, v10, 16, 1
	v_mul_f32_e32 v32, s2, v36
	s_delay_alu instid0(VALU_DEP_4)
	v_bfe_u32 v5, v3, 16, 1
	v_bfe_u32 v34, v7, 16, 1
	v_cmp_o_f32_e32 vcc_lo, v3, v3
	v_bfe_u32 v36, v13, 16, 1
	v_bfe_u32 v38, v21, 16, 1
	v_add3_u32 v5, v3, v5, 0x7fff
	v_add3_u32 v34, v7, v34, 0x7fff
	;; [unrolled: 1-line block ×3, first 2 shown]
	v_bfe_u32 v39, v32, 16, 1
	v_add3_u32 v36, v13, v36, 0x7fff
	v_and_b32_e32 v5, 0xffff0000, v5
	v_and_b32_e32 v34, 0xffff0000, v34
	v_add3_u32 v38, v21, v38, 0x7fff
	v_and_b32_e32 v3, 0xffff0000, v35
	v_add3_u32 v39, v32, v39, 0x7fff
	v_cndmask_b32_e32 v5, 0x7fc00000, v5, vcc_lo
	v_cmp_o_f32_e32 vcc_lo, v7, v7
	v_and_b32_e32 v35, 0xffff0000, v36
	v_dual_lshlrev_b32 v26, 16, v26 :: v_dual_lshlrev_b32 v29, 16, v29
	s_delay_alu instid0(VALU_DEP_4)
	v_pk_mul_f32 v[8:9], v[4:5], v[8:9]
	v_mul_f32_e32 v33, s2, v37
	v_bfe_u32 v37, v17, 16, 1
	v_cndmask_b32_e32 v5, 0x7fc00000, v34, vcc_lo
	v_cmp_o_f32_e32 vcc_lo, v10, v10
	v_and_b32_e32 v7, 0xffff0000, v39
	v_lshrrev_b32_e32 v39, 16, v8
	v_add3_u32 v37, v17, v37, 0x7fff
	v_bfe_u32 v40, v33, 16, 1
	s_delay_alu instid0(VALU_DEP_2)
	v_and_b32_e32 v36, 0xffff0000, v37
	v_and_b32_e32 v37, 0xffff0000, v38
	v_lshrrev_b32_e32 v38, 16, v9
	v_pk_mul_f32 v[14:15], v[4:5], v[14:15]
	v_cndmask_b32_e32 v5, 0x7fc00000, v3, vcc_lo
	v_cmp_o_f32_e32 vcc_lo, v13, v13
	v_and_b32_e32 v10, 1, v39
	v_add3_u32 v40, v33, v40, 0x7fff
	v_lshrrev_b32_e32 v39, 16, v14
	v_pk_mul_f32 v[18:19], v[4:5], v[18:19]
	v_dual_lshrrev_b32 v38, 16, v15 :: v_dual_bitop2_b32 v3, 1, v38 bitop3:0x40
	v_cndmask_b32_e32 v5, 0x7fc00000, v35, vcc_lo
	v_cmp_o_f32_e32 vcc_lo, v17, v17
	v_add3_u32 v10, v8, v10, 0x7fff
	v_dual_lshrrev_b32 v39, 16, v18 :: v_dual_bitop2_b32 v35, 1, v39 bitop3:0x40
	s_delay_alu instid0(VALU_DEP_4)
	v_pk_mul_f32 v[22:23], v[4:5], v[22:23]
	v_dual_lshrrev_b32 v38, 16, v19 :: v_dual_bitop2_b32 v13, 1, v38 bitop3:0x40
	v_add3_u32 v3, v9, v3, 0x7fff
	v_cndmask_b32_e32 v5, 0x7fc00000, v36, vcc_lo
	v_cmp_o_f32_e32 vcc_lo, v21, v21
	v_and_b32_e32 v10, 0xffff0000, v10
	v_add3_u32 v17, v14, v35, 0x7fff
	v_and_b32_e32 v3, 0xffff0000, v3
	v_pk_mul_f32 v[24:25], v[4:5], v[24:25]
	v_cndmask_b32_e32 v5, 0x7fc00000, v37, vcc_lo
	v_cmp_o_f32_e32 vcc_lo, v9, v9
	v_dual_lshrrev_b32 v38, 16, v23 :: v_dual_bitop2_b32 v35, 1, v38 bitop3:0x40
	v_add3_u32 v13, v15, v13, 0x7fff
	v_dual_lshrrev_b32 v39, 16, v22 :: v_dual_bitop2_b32 v36, 1, v39 bitop3:0x40
	v_cndmask_b32_e32 v3, 0x7fc00000, v3, vcc_lo
	v_cmp_o_f32_e32 vcc_lo, v8, v8
	v_pk_mul_f32 v[8:9], v[4:5], v[26:27]
	v_and_b32_e32 v13, 0xffff0000, v13
	v_and_b32_e32 v17, 0xffff0000, v17
	;; [unrolled: 1-line block ×3, first 2 shown]
	v_cndmask_b32_e32 v10, 0x7fc00000, v10, vcc_lo
	v_cmp_o_f32_e32 vcc_lo, v32, v32
	v_dual_lshrrev_b32 v39, 16, v24 :: v_dual_bitop2_b32 v37, 1, v39 bitop3:0x40
	v_add3_u32 v21, v19, v35, 0x7fff
	v_add3_u32 v35, v18, v36, 0x7fff
	v_cndmask_b32_e32 v5, 0x7fc00000, v7, vcc_lo
	v_cmp_o_f32_e32 vcc_lo, v15, v15
	v_dual_add_f32 v3, v10, v3 :: v_dual_bitop2_b32 v36, 1, v38 bitop3:0x40
	v_lshrrev_b32_e32 v38, 16, v25
	v_add3_u32 v26, v22, v37, 0x7fff
	v_cndmask_b32_e32 v7, 0x7fc00000, v13, vcc_lo
	v_cmp_o_f32_e32 vcc_lo, v14, v14
	v_pk_mul_f32 v[14:15], v[4:5], v[28:29]
	v_and_b32_e32 v13, 0xffff0000, v21
	v_add3_u32 v21, v23, v36, 0x7fff
	v_bfe_u32 v28, v3, 16, 1
	s_delay_alu instid0(VALU_DEP_4) | instskip(SKIP_2) | instid1(VALU_DEP_3)
	v_dual_cndmask_b32 v10, 0x7fc00000, v17 :: v_dual_lshrrev_b32 v29, 16, v15
	v_cmp_o_f32_e32 vcc_lo, v33, v33
	v_and_b32_e32 v17, 0xffff0000, v35
	v_dual_add_f32 v7, v10, v7 :: v_dual_bitop2_b32 v27, 1, v38 bitop3:0x40
	v_lshrrev_b32_e32 v35, 16, v9
	v_cndmask_b32_e32 v5, 0x7fc00000, v34, vcc_lo
	v_cmp_o_f32_e32 vcc_lo, v19, v19
	s_delay_alu instid0(VALU_DEP_4)
	v_add3_u32 v19, v25, v27, 0x7fff
	v_lshrrev_b32_e32 v36, 16, v8
	v_add3_u32 v28, v3, v28, 0x7fff
	v_pk_mul_f32 v[4:5], v[4:5], v[30:31]
	v_cndmask_b32_e32 v10, 0x7fc00000, v13, vcc_lo
	v_cmp_o_f32_e32 vcc_lo, v18, v18
	v_and_b32_e32 v32, 1, v39
	v_and_b32_e32 v18, 0xffff0000, v26
	;; [unrolled: 1-line block ×3, first 2 shown]
	v_dual_cndmask_b32 v13, 0x7fc00000, v17 :: v_dual_lshrrev_b32 v28, 16, v28
	v_and_b32_e32 v17, 0xffff0000, v21
	v_cmp_o_f32_e32 vcc_lo, v23, v23
	v_dual_lshrrev_b32 v29, 16, v4 :: v_dual_bitop2_b32 v23, 1, v29 bitop3:0x40
	s_delay_alu instid0(VALU_DEP_4)
	v_add_f32_e32 v10, v13, v10
	v_add3_u32 v21, v24, v32, 0x7fff
	v_cndmask_b32_e32 v13, 0x7fc00000, v17, vcc_lo
	v_cmp_o_f32_e32 vcc_lo, v22, v22
	v_lshrrev_b32_e32 v32, 16, v14
	v_bfe_u32 v30, v7, 16, 1
	v_add3_u32 v22, v8, v27, 0x7fff
	v_lshrrev_b32_e32 v27, 16, v5
	v_cndmask_b32_e32 v17, 0x7fc00000, v18, vcc_lo
	v_and_b32_e32 v18, 0xffff0000, v19
	v_cmp_o_f32_e32 vcc_lo, v25, v25
	v_and_b32_e32 v19, 0xffff0000, v21
	v_bfe_u32 v31, v10, 16, 1
	v_add_f32_e32 v13, v17, v13
	v_add3_u32 v30, v7, v30, 0x7fff
	v_cndmask_b32_e32 v17, 0x7fc00000, v18, vcc_lo
	v_cmp_o_f32_e32 vcc_lo, v24, v24
	v_and_b32_e32 v24, 1, v27
	v_add3_u32 v27, v10, v31, 0x7fff
	v_and_b32_e32 v25, 1, v29
	v_cndmask_b32_e32 v18, 0x7fc00000, v19, vcc_lo
	v_and_b32_e32 v26, 1, v35
	v_cmp_o_f32_e32 vcc_lo, v3, v3
	s_delay_alu instid0(VALU_DEP_3) | instskip(NEXT) | instid1(VALU_DEP_3)
	v_add_f32_e32 v17, v18, v17
	v_add3_u32 v21, v9, v26, 0x7fff
	v_cndmask_b32_e32 v3, 0x7fc0, v28, vcc_lo
	v_cmp_o_f32_e32 vcc_lo, v9, v9
	v_and_b32_e32 v26, 1, v32
	v_bfe_u32 v28, v13, 16, 1
	v_and_b32_e32 v19, 0xffff0000, v21
	v_and_b32_e32 v21, 0xffff0000, v22
	v_add3_u32 v22, v15, v23, 0x7fff
	v_add3_u32 v23, v14, v26, 0x7fff
	s_delay_alu instid0(VALU_DEP_4) | instskip(SKIP_1) | instid1(VALU_DEP_4)
	v_dual_cndmask_b32 v9, 0x7fc00000, v19 :: v_dual_lshrrev_b32 v26, 16, v30
	v_cmp_o_f32_e32 vcc_lo, v8, v8
	v_and_b32_e32 v18, 0xffff0000, v22
	s_delay_alu instid0(VALU_DEP_4)
	v_and_b32_e32 v19, 0xffff0000, v23
	v_add3_u32 v22, v4, v25, 0x7fff
	global_store_b16 v1, v3, s[0:1]
	v_cndmask_b32_e32 v8, 0x7fc00000, v21, vcc_lo
	v_cmp_o_f32_e32 vcc_lo, v7, v7
	v_add3_u32 v21, v5, v24, 0x7fff
	v_lshrrev_b32_e32 v23, 16, v27
	v_add3_u32 v24, v13, v28, 0x7fff
	v_dual_add_f32 v8, v8, v9 :: v_dual_cndmask_b32 v7, 0x7fc0, v26
	v_cmp_o_f32_e32 vcc_lo, v15, v15
	v_and_b32_e32 v15, 0xffff0000, v21
	v_bfe_u32 v25, v17, 16, 1
	global_store_b16 v2, v7, s[0:1]
	v_cndmask_b32_e32 v9, 0x7fc00000, v18, vcc_lo
	v_cmp_o_f32_e32 vcc_lo, v14, v14
	v_and_b32_e32 v18, 0xffff0000, v22
	v_cndmask_b32_e32 v14, 0x7fc00000, v19, vcc_lo
	v_cmp_o_f32_e32 vcc_lo, v5, v5
	s_delay_alu instid0(VALU_DEP_2)
	v_dual_lshrrev_b32 v5, 16, v24 :: v_dual_add_f32 v9, v14, v9
	s_wait_xcnt 0x1
	v_cndmask_b32_e32 v1, 0x7fc00000, v15, vcc_lo
	v_cmp_o_f32_e32 vcc_lo, v4, v4
	s_wait_xcnt 0x0
	v_bfe_u32 v7, v9, 16, 1
	v_cndmask_b32_e32 v3, 0x7fc00000, v18, vcc_lo
	v_cmp_o_f32_e32 vcc_lo, v10, v10
	v_bfe_u32 v10, v8, 16, 1
	s_delay_alu instid0(VALU_DEP_4) | instskip(NEXT) | instid1(VALU_DEP_4)
	v_add3_u32 v7, v9, v7, 0x7fff
	v_dual_add_f32 v1, v3, v1 :: v_dual_cndmask_b32 v4, 0x7fc0, v23
	v_add3_u32 v3, v17, v25, 0x7fff
	v_cmp_o_f32_e32 vcc_lo, v13, v13
	v_add3_u32 v2, v8, v10, 0x7fff
	s_delay_alu instid0(VALU_DEP_4)
	v_bfe_u32 v10, v1, 16, 1
	v_lshrrev_b32_e32 v7, 16, v7
	v_lshrrev_b32_e32 v3, 16, v3
	v_cndmask_b32_e32 v5, 0x7fc0, v5, vcc_lo
	v_cmp_o_f32_e32 vcc_lo, v17, v17
	v_lshrrev_b32_e32 v2, 16, v2
	v_add3_u32 v10, v1, v10, 0x7fff
	v_cndmask_b32_e32 v3, 0x7fc0, v3, vcc_lo
	v_cmp_o_f32_e32 vcc_lo, v8, v8
	s_delay_alu instid0(VALU_DEP_3)
	v_lshrrev_b32_e32 v10, 16, v10
	v_cndmask_b32_e32 v2, 0x7fc0, v2, vcc_lo
	v_cmp_o_f32_e32 vcc_lo, v9, v9
	v_cndmask_b32_e32 v7, 0x7fc0, v7, vcc_lo
	v_cmp_o_f32_e32 vcc_lo, v1, v1
	v_cndmask_b32_e32 v1, 0x7fc0, v10, vcc_lo
	s_clause 0x5
	global_store_b16 v6, v4, s[0:1]
	global_store_b16 v11, v5, s[0:1]
	;; [unrolled: 1-line block ×6, first 2 shown]
	s_endpgm
	.section	.rodata,"a",@progbits
	.p2align	6, 0x0
	.amdhsa_kernel _ZN2at6native32elementwise_kernel_manual_unrollILi128ELi8EZNS0_22gpu_kernel_impl_nocastIZZZNS0_12_GLOBAL__N_116addr_kernel_cudaERNS_14TensorIteratorERKN3c106ScalarES9_ENKUlvE_clEvENKUlvE8_clEvEUlNS6_8BFloat16ESC_SC_E0_EEvRNS_18TensorIteratorBaseERKT_EUlibE_EEviT1_
		.amdhsa_group_segment_fixed_size 0
		.amdhsa_private_segment_fixed_size 0
		.amdhsa_kernarg_size 504
		.amdhsa_user_sgpr_count 2
		.amdhsa_user_sgpr_dispatch_ptr 0
		.amdhsa_user_sgpr_queue_ptr 0
		.amdhsa_user_sgpr_kernarg_segment_ptr 1
		.amdhsa_user_sgpr_dispatch_id 0
		.amdhsa_user_sgpr_kernarg_preload_length 0
		.amdhsa_user_sgpr_kernarg_preload_offset 0
		.amdhsa_user_sgpr_private_segment_size 0
		.amdhsa_wavefront_size32 1
		.amdhsa_uses_dynamic_stack 0
		.amdhsa_enable_private_segment 0
		.amdhsa_system_sgpr_workgroup_id_x 1
		.amdhsa_system_sgpr_workgroup_id_y 0
		.amdhsa_system_sgpr_workgroup_id_z 0
		.amdhsa_system_sgpr_workgroup_info 0
		.amdhsa_system_vgpr_workitem_id 0
		.amdhsa_next_free_vgpr 49
		.amdhsa_next_free_sgpr 58
		.amdhsa_named_barrier_count 0
		.amdhsa_reserve_vcc 1
		.amdhsa_float_round_mode_32 0
		.amdhsa_float_round_mode_16_64 0
		.amdhsa_float_denorm_mode_32 3
		.amdhsa_float_denorm_mode_16_64 3
		.amdhsa_fp16_overflow 0
		.amdhsa_memory_ordered 1
		.amdhsa_forward_progress 1
		.amdhsa_inst_pref_size 116
		.amdhsa_round_robin_scheduling 0
		.amdhsa_exception_fp_ieee_invalid_op 0
		.amdhsa_exception_fp_denorm_src 0
		.amdhsa_exception_fp_ieee_div_zero 0
		.amdhsa_exception_fp_ieee_overflow 0
		.amdhsa_exception_fp_ieee_underflow 0
		.amdhsa_exception_fp_ieee_inexact 0
		.amdhsa_exception_int_div_zero 0
	.end_amdhsa_kernel
	.section	.text._ZN2at6native32elementwise_kernel_manual_unrollILi128ELi8EZNS0_22gpu_kernel_impl_nocastIZZZNS0_12_GLOBAL__N_116addr_kernel_cudaERNS_14TensorIteratorERKN3c106ScalarES9_ENKUlvE_clEvENKUlvE8_clEvEUlNS6_8BFloat16ESC_SC_E0_EEvRNS_18TensorIteratorBaseERKT_EUlibE_EEviT1_,"axG",@progbits,_ZN2at6native32elementwise_kernel_manual_unrollILi128ELi8EZNS0_22gpu_kernel_impl_nocastIZZZNS0_12_GLOBAL__N_116addr_kernel_cudaERNS_14TensorIteratorERKN3c106ScalarES9_ENKUlvE_clEvENKUlvE8_clEvEUlNS6_8BFloat16ESC_SC_E0_EEvRNS_18TensorIteratorBaseERKT_EUlibE_EEviT1_,comdat
.Lfunc_end173:
	.size	_ZN2at6native32elementwise_kernel_manual_unrollILi128ELi8EZNS0_22gpu_kernel_impl_nocastIZZZNS0_12_GLOBAL__N_116addr_kernel_cudaERNS_14TensorIteratorERKN3c106ScalarES9_ENKUlvE_clEvENKUlvE8_clEvEUlNS6_8BFloat16ESC_SC_E0_EEvRNS_18TensorIteratorBaseERKT_EUlibE_EEviT1_, .Lfunc_end173-_ZN2at6native32elementwise_kernel_manual_unrollILi128ELi8EZNS0_22gpu_kernel_impl_nocastIZZZNS0_12_GLOBAL__N_116addr_kernel_cudaERNS_14TensorIteratorERKN3c106ScalarES9_ENKUlvE_clEvENKUlvE8_clEvEUlNS6_8BFloat16ESC_SC_E0_EEvRNS_18TensorIteratorBaseERKT_EUlibE_EEviT1_
                                        ; -- End function
	.set _ZN2at6native32elementwise_kernel_manual_unrollILi128ELi8EZNS0_22gpu_kernel_impl_nocastIZZZNS0_12_GLOBAL__N_116addr_kernel_cudaERNS_14TensorIteratorERKN3c106ScalarES9_ENKUlvE_clEvENKUlvE8_clEvEUlNS6_8BFloat16ESC_SC_E0_EEvRNS_18TensorIteratorBaseERKT_EUlibE_EEviT1_.num_vgpr, 49
	.set _ZN2at6native32elementwise_kernel_manual_unrollILi128ELi8EZNS0_22gpu_kernel_impl_nocastIZZZNS0_12_GLOBAL__N_116addr_kernel_cudaERNS_14TensorIteratorERKN3c106ScalarES9_ENKUlvE_clEvENKUlvE8_clEvEUlNS6_8BFloat16ESC_SC_E0_EEvRNS_18TensorIteratorBaseERKT_EUlibE_EEviT1_.num_agpr, 0
	.set _ZN2at6native32elementwise_kernel_manual_unrollILi128ELi8EZNS0_22gpu_kernel_impl_nocastIZZZNS0_12_GLOBAL__N_116addr_kernel_cudaERNS_14TensorIteratorERKN3c106ScalarES9_ENKUlvE_clEvENKUlvE8_clEvEUlNS6_8BFloat16ESC_SC_E0_EEvRNS_18TensorIteratorBaseERKT_EUlibE_EEviT1_.numbered_sgpr, 58
	.set _ZN2at6native32elementwise_kernel_manual_unrollILi128ELi8EZNS0_22gpu_kernel_impl_nocastIZZZNS0_12_GLOBAL__N_116addr_kernel_cudaERNS_14TensorIteratorERKN3c106ScalarES9_ENKUlvE_clEvENKUlvE8_clEvEUlNS6_8BFloat16ESC_SC_E0_EEvRNS_18TensorIteratorBaseERKT_EUlibE_EEviT1_.num_named_barrier, 0
	.set _ZN2at6native32elementwise_kernel_manual_unrollILi128ELi8EZNS0_22gpu_kernel_impl_nocastIZZZNS0_12_GLOBAL__N_116addr_kernel_cudaERNS_14TensorIteratorERKN3c106ScalarES9_ENKUlvE_clEvENKUlvE8_clEvEUlNS6_8BFloat16ESC_SC_E0_EEvRNS_18TensorIteratorBaseERKT_EUlibE_EEviT1_.private_seg_size, 0
	.set _ZN2at6native32elementwise_kernel_manual_unrollILi128ELi8EZNS0_22gpu_kernel_impl_nocastIZZZNS0_12_GLOBAL__N_116addr_kernel_cudaERNS_14TensorIteratorERKN3c106ScalarES9_ENKUlvE_clEvENKUlvE8_clEvEUlNS6_8BFloat16ESC_SC_E0_EEvRNS_18TensorIteratorBaseERKT_EUlibE_EEviT1_.uses_vcc, 1
	.set _ZN2at6native32elementwise_kernel_manual_unrollILi128ELi8EZNS0_22gpu_kernel_impl_nocastIZZZNS0_12_GLOBAL__N_116addr_kernel_cudaERNS_14TensorIteratorERKN3c106ScalarES9_ENKUlvE_clEvENKUlvE8_clEvEUlNS6_8BFloat16ESC_SC_E0_EEvRNS_18TensorIteratorBaseERKT_EUlibE_EEviT1_.uses_flat_scratch, 0
	.set _ZN2at6native32elementwise_kernel_manual_unrollILi128ELi8EZNS0_22gpu_kernel_impl_nocastIZZZNS0_12_GLOBAL__N_116addr_kernel_cudaERNS_14TensorIteratorERKN3c106ScalarES9_ENKUlvE_clEvENKUlvE8_clEvEUlNS6_8BFloat16ESC_SC_E0_EEvRNS_18TensorIteratorBaseERKT_EUlibE_EEviT1_.has_dyn_sized_stack, 0
	.set _ZN2at6native32elementwise_kernel_manual_unrollILi128ELi8EZNS0_22gpu_kernel_impl_nocastIZZZNS0_12_GLOBAL__N_116addr_kernel_cudaERNS_14TensorIteratorERKN3c106ScalarES9_ENKUlvE_clEvENKUlvE8_clEvEUlNS6_8BFloat16ESC_SC_E0_EEvRNS_18TensorIteratorBaseERKT_EUlibE_EEviT1_.has_recursion, 0
	.set _ZN2at6native32elementwise_kernel_manual_unrollILi128ELi8EZNS0_22gpu_kernel_impl_nocastIZZZNS0_12_GLOBAL__N_116addr_kernel_cudaERNS_14TensorIteratorERKN3c106ScalarES9_ENKUlvE_clEvENKUlvE8_clEvEUlNS6_8BFloat16ESC_SC_E0_EEvRNS_18TensorIteratorBaseERKT_EUlibE_EEviT1_.has_indirect_call, 0
	.section	.AMDGPU.csdata,"",@progbits
; Kernel info:
; codeLenInByte = 14784
; TotalNumSgprs: 60
; NumVgprs: 49
; ScratchSize: 0
; MemoryBound: 0
; FloatMode: 240
; IeeeMode: 1
; LDSByteSize: 0 bytes/workgroup (compile time only)
; SGPRBlocks: 0
; VGPRBlocks: 3
; NumSGPRsForWavesPerEU: 60
; NumVGPRsForWavesPerEU: 49
; NamedBarCnt: 0
; Occupancy: 16
; WaveLimiterHint : 1
; COMPUTE_PGM_RSRC2:SCRATCH_EN: 0
; COMPUTE_PGM_RSRC2:USER_SGPR: 2
; COMPUTE_PGM_RSRC2:TRAP_HANDLER: 0
; COMPUTE_PGM_RSRC2:TGID_X_EN: 1
; COMPUTE_PGM_RSRC2:TGID_Y_EN: 0
; COMPUTE_PGM_RSRC2:TGID_Z_EN: 0
; COMPUTE_PGM_RSRC2:TIDIG_COMP_CNT: 0
	.section	.text._ZN2at6native32elementwise_kernel_manual_unrollILi128ELi4EZNS0_15gpu_kernel_implIZZZNS0_12_GLOBAL__N_116addr_kernel_cudaERNS_14TensorIteratorERKN3c106ScalarES9_ENKUlvE_clEvENKUlvE8_clEvEUlNS6_8BFloat16ESC_SC_E0_EEvRNS_18TensorIteratorBaseERKT_EUlibE_EEviT1_,"axG",@progbits,_ZN2at6native32elementwise_kernel_manual_unrollILi128ELi4EZNS0_15gpu_kernel_implIZZZNS0_12_GLOBAL__N_116addr_kernel_cudaERNS_14TensorIteratorERKN3c106ScalarES9_ENKUlvE_clEvENKUlvE8_clEvEUlNS6_8BFloat16ESC_SC_E0_EEvRNS_18TensorIteratorBaseERKT_EUlibE_EEviT1_,comdat
	.globl	_ZN2at6native32elementwise_kernel_manual_unrollILi128ELi4EZNS0_15gpu_kernel_implIZZZNS0_12_GLOBAL__N_116addr_kernel_cudaERNS_14TensorIteratorERKN3c106ScalarES9_ENKUlvE_clEvENKUlvE8_clEvEUlNS6_8BFloat16ESC_SC_E0_EEvRNS_18TensorIteratorBaseERKT_EUlibE_EEviT1_ ; -- Begin function _ZN2at6native32elementwise_kernel_manual_unrollILi128ELi4EZNS0_15gpu_kernel_implIZZZNS0_12_GLOBAL__N_116addr_kernel_cudaERNS_14TensorIteratorERKN3c106ScalarES9_ENKUlvE_clEvENKUlvE8_clEvEUlNS6_8BFloat16ESC_SC_E0_EEvRNS_18TensorIteratorBaseERKT_EUlibE_EEviT1_
	.p2align	8
	.type	_ZN2at6native32elementwise_kernel_manual_unrollILi128ELi4EZNS0_15gpu_kernel_implIZZZNS0_12_GLOBAL__N_116addr_kernel_cudaERNS_14TensorIteratorERKN3c106ScalarES9_ENKUlvE_clEvENKUlvE8_clEvEUlNS6_8BFloat16ESC_SC_E0_EEvRNS_18TensorIteratorBaseERKT_EUlibE_EEviT1_,@function
_ZN2at6native32elementwise_kernel_manual_unrollILi128ELi4EZNS0_15gpu_kernel_implIZZZNS0_12_GLOBAL__N_116addr_kernel_cudaERNS_14TensorIteratorERKN3c106ScalarES9_ENKUlvE_clEvENKUlvE8_clEvEUlNS6_8BFloat16ESC_SC_E0_EEvRNS_18TensorIteratorBaseERKT_EUlibE_EEviT1_: ; @_ZN2at6native32elementwise_kernel_manual_unrollILi128ELi4EZNS0_15gpu_kernel_implIZZZNS0_12_GLOBAL__N_116addr_kernel_cudaERNS_14TensorIteratorERKN3c106ScalarES9_ENKUlvE_clEvENKUlvE8_clEvEUlNS6_8BFloat16ESC_SC_E0_EEvRNS_18TensorIteratorBaseERKT_EUlibE_EEviT1_
; %bb.0:
	s_clause 0x1
	s_load_b64 s[2:3], s[0:1], 0x38
	s_load_b128 s[12:15], s[0:1], 0x28
	s_bfe_u32 s4, ttmp6, 0x4000c
	s_load_b32 s24, s[0:1], 0x0
	s_add_co_i32 s16, s4, 1
	s_load_b256 s[4:11], s[0:1], 0x8
	s_and_b32 s18, ttmp6, 15
	s_wait_xcnt 0x0
	s_mul_i32 s0, ttmp9, s16
	s_getreg_b32 s20, hwreg(HW_REG_IB_STS2, 6, 4)
	s_add_co_i32 s18, s18, s0
	s_mov_b32 s21, 0
	s_wait_kmcnt 0x0
	s_lshr_b32 s16, s2, 16
	s_and_b32 s1, s2, 0xffff
	s_lshr_b32 s17, s3, 16
	s_lshr_b32 s19, s3, 8
	;; [unrolled: 1-line block ×3, first 2 shown]
	s_cmp_eq_u32 s20, 0
	s_cselect_b32 s0, ttmp9, s18
	s_mov_b32 s18, 0
	v_lshl_or_b32 v8, s0, 9, v0
	s_mov_b32 s0, exec_lo
	s_delay_alu instid0(VALU_DEP_1) | instskip(NEXT) | instid1(VALU_DEP_1)
	v_or_b32_e32 v0, 0x180, v8
	v_cmpx_le_i32_e64 s24, v0
	s_xor_b32 s20, exec_lo, s0
	s_cbranch_execz .LBB174_2063
; %bb.1:
	s_lshl_b32 s21, s1, 16
	s_lshl_b32 s22, s16, 16
	s_mov_b32 s33, -1
	s_mov_b32 s29, 0
	s_mov_b32 s27, 0
	;; [unrolled: 1-line block ×5, first 2 shown]
	s_mov_b32 s28, exec_lo
	v_cmpx_gt_i32_e64 s24, v8
	s_cbranch_execz .LBB174_512
; %bb.2:
	v_mul_lo_u32 v0, v8, s13
	s_and_b32 s0, s19, 0xff
	s_delay_alu instid0(SALU_CYCLE_1) | instskip(NEXT) | instid1(VALU_DEP_1)
	s_cmp_lt_i32 s0, 11
	v_ashrrev_i32_e32 v1, 31, v0
	s_delay_alu instid0(VALU_DEP_1)
	v_add_nc_u64_e32 v[0:1], s[6:7], v[0:1]
	s_cbranch_scc1 .LBB174_9
; %bb.3:
	s_and_b32 s23, 0xffff, s0
	s_delay_alu instid0(SALU_CYCLE_1)
	s_cmp_gt_i32 s23, 25
	s_cbranch_scc0 .LBB174_18
; %bb.4:
	s_cmp_gt_i32 s23, 28
	s_cbranch_scc0 .LBB174_28
; %bb.5:
	;; [unrolled: 3-line block ×4, first 2 shown]
	s_cmp_eq_u32 s23, 46
	s_cbranch_scc0 .LBB174_37
; %bb.8:
	global_load_b32 v2, v[0:1], off
	s_mov_b32 s25, -1
	s_branch .LBB174_39
.LBB174_9:
                                        ; implicit-def: $vgpr2
	s_cbranch_execnz .LBB174_105
.LBB174_10:
	s_and_not1_b32 vcc_lo, exec_lo, s25
	s_cbranch_vccnz .LBB174_152
.LBB174_11:
	s_wait_xcnt 0x0
	v_mul_lo_u32 v0, v8, s14
	s_and_b32 s0, s17, 0xff
	s_delay_alu instid0(SALU_CYCLE_1) | instskip(NEXT) | instid1(VALU_DEP_1)
	s_cmp_lt_i32 s0, 11
	v_ashrrev_i32_e32 v1, 31, v0
	s_delay_alu instid0(VALU_DEP_1)
	v_add_nc_u64_e32 v[0:1], s[8:9], v[0:1]
	s_cbranch_scc1 .LBB174_19
; %bb.12:
	s_and_b32 s23, 0xffff, s0
	s_delay_alu instid0(SALU_CYCLE_1)
	s_cmp_gt_i32 s23, 25
	s_cbranch_scc0 .LBB174_29
; %bb.13:
	s_cmp_gt_i32 s23, 28
	s_cbranch_scc0 .LBB174_32
; %bb.14:
	;; [unrolled: 3-line block ×4, first 2 shown]
	s_cmp_eq_u32 s23, 46
	s_mov_b32 s30, 0
	s_cbranch_scc0 .LBB174_153
; %bb.17:
	global_load_b32 v3, v[0:1], off
	s_mov_b32 s25, -1
	s_mov_b32 s26, 0
	s_branch .LBB174_155
.LBB174_18:
                                        ; implicit-def: $vgpr2
	s_cbranch_execnz .LBB174_70
	s_branch .LBB174_104
.LBB174_19:
	s_mov_b32 s26, 0
	s_mov_b32 s25, 0
                                        ; implicit-def: $vgpr3
	s_cbranch_execnz .LBB174_221
.LBB174_20:
	s_and_not1_b32 vcc_lo, exec_lo, s25
	s_cbranch_vccnz .LBB174_269
.LBB174_21:
	s_wait_xcnt 0x0
	v_mul_lo_u32 v0, v8, s15
	s_and_b32 s0, 0xffff, s2
	s_delay_alu instid0(SALU_CYCLE_1) | instskip(NEXT) | instid1(VALU_DEP_1)
	s_cmp_lt_i32 s0, 11
	v_ashrrev_i32_e32 v1, 31, v0
	s_delay_alu instid0(VALU_DEP_1)
	v_add_nc_u64_e32 v[0:1], s[10:11], v[0:1]
	s_cbranch_scc1 .LBB174_30
; %bb.22:
	s_cmp_gt_i32 s0, 25
	s_cbranch_scc0 .LBB174_33
; %bb.23:
	s_cmp_gt_i32 s0, 28
	s_cbranch_scc0 .LBB174_36
	;; [unrolled: 3-line block ×4, first 2 shown]
; %bb.26:
	s_cmp_eq_u32 s0, 46
	s_mov_b32 s30, 0
	s_cbranch_scc0 .LBB174_270
; %bb.27:
	global_load_b32 v4, v[0:1], off
	s_mov_b32 s23, -1
	s_mov_b32 s25, 0
	s_branch .LBB174_272
.LBB174_28:
	s_mov_b32 s26, -1
                                        ; implicit-def: $vgpr2
	s_branch .LBB174_51
.LBB174_29:
	s_mov_b32 s30, -1
	s_mov_b32 s26, 0
	s_mov_b32 s25, 0
                                        ; implicit-def: $vgpr3
	s_branch .LBB174_185
.LBB174_30:
	s_mov_b32 s30, -1
	s_mov_b32 s25, 0
	s_mov_b32 s23, 0
                                        ; implicit-def: $vgpr4
	s_branch .LBB174_337
.LBB174_31:
	s_mov_b32 s26, -1
                                        ; implicit-def: $vgpr2
	s_branch .LBB174_46
.LBB174_32:
	s_mov_b32 s30, -1
	s_mov_b32 s26, 0
	s_mov_b32 s25, 0
                                        ; implicit-def: $vgpr3
	s_branch .LBB174_166
.LBB174_33:
	s_mov_b32 s30, -1
	s_mov_b32 s25, 0
	s_mov_b32 s23, 0
                                        ; implicit-def: $vgpr4
	s_branch .LBB174_301
.LBB174_34:
	s_mov_b32 s26, -1
	s_branch .LBB174_38
.LBB174_35:
	s_mov_b32 s30, -1
	s_mov_b32 s26, 0
	s_mov_b32 s25, 0
                                        ; implicit-def: $vgpr3
	s_branch .LBB174_161
.LBB174_36:
	s_mov_b32 s30, -1
	s_mov_b32 s25, 0
	s_mov_b32 s23, 0
                                        ; implicit-def: $vgpr4
	s_branch .LBB174_282
.LBB174_37:
	s_mov_b32 s27, -1
.LBB174_38:
                                        ; implicit-def: $vgpr2
.LBB174_39:
	s_and_b32 vcc_lo, exec_lo, s26
	s_cbranch_vccz .LBB174_45
; %bb.40:
	s_cmp_eq_u32 s23, 44
	s_cbranch_scc0 .LBB174_44
; %bb.41:
	s_wait_loadcnt 0x0
	global_load_u8 v2, v[0:1], off
	s_mov_b32 s27, 0
	s_mov_b32 s25, -1
	s_wait_loadcnt 0x0
	v_lshlrev_b32_e32 v3, 23, v2
	v_cmp_ne_u32_e32 vcc_lo, 0xff, v2
	s_delay_alu instid0(VALU_DEP_2) | instskip(SKIP_1) | instid1(VALU_DEP_2)
	v_cndmask_b32_e32 v3, 0x7f800001, v3, vcc_lo
	v_cmp_ne_u32_e32 vcc_lo, 0, v2
	v_cndmask_b32_e32 v2, 0x400000, v3, vcc_lo
	s_delay_alu instid0(VALU_DEP_1) | instskip(NEXT) | instid1(VALU_DEP_1)
	v_add_nc_u32_e32 v3, 0x7fff, v2
	v_lshrrev_b32_e32 v3, 16, v3
	v_cmp_o_f32_e32 vcc_lo, v2, v2
	s_delay_alu instid0(VALU_DEP_2)
	v_cndmask_b32_e32 v2, 0x7fc0, v3, vcc_lo
	s_branch .LBB174_45
.LBB174_42:
	s_mov_b32 s30, -1
	s_mov_b32 s26, 0
	s_branch .LBB174_154
.LBB174_43:
	s_mov_b32 s30, -1
	s_mov_b32 s25, 0
	s_mov_b32 s23, 0
                                        ; implicit-def: $vgpr4
	s_branch .LBB174_277
.LBB174_44:
	s_mov_b32 s27, -1
                                        ; implicit-def: $vgpr2
.LBB174_45:
	s_mov_b32 s26, 0
.LBB174_46:
	s_delay_alu instid0(SALU_CYCLE_1)
	s_and_b32 vcc_lo, exec_lo, s26
	s_cbranch_vccz .LBB174_50
; %bb.47:
	s_cmp_eq_u32 s23, 29
	s_cbranch_scc0 .LBB174_49
; %bb.48:
	s_wait_loadcnt 0x0
	global_load_b64 v[2:3], v[0:1], off
	s_mov_b32 s25, -1
	s_mov_b32 s27, 0
	s_mov_b32 s26, 0
	s_wait_loadcnt 0x0
	v_clz_i32_u32_e32 v4, v3
	s_delay_alu instid0(VALU_DEP_1) | instskip(NEXT) | instid1(VALU_DEP_1)
	v_min_u32_e32 v4, 32, v4
	v_lshlrev_b64_e32 v[2:3], v4, v[2:3]
	s_delay_alu instid0(VALU_DEP_1) | instskip(NEXT) | instid1(VALU_DEP_1)
	v_min_u32_e32 v2, 1, v2
	v_dual_sub_nc_u32 v3, 32, v4 :: v_dual_bitop2_b32 v2, v3, v2 bitop3:0x54
	s_delay_alu instid0(VALU_DEP_1) | instskip(NEXT) | instid1(VALU_DEP_1)
	v_cvt_f32_u32_e32 v2, v2
	v_ldexp_f32 v2, v2, v3
	s_delay_alu instid0(VALU_DEP_1) | instskip(NEXT) | instid1(VALU_DEP_1)
	v_bfe_u32 v3, v2, 16, 1
	v_add3_u32 v2, v2, v3, 0x7fff
	s_delay_alu instid0(VALU_DEP_1)
	v_lshrrev_b32_e32 v2, 16, v2
	s_branch .LBB174_51
.LBB174_49:
	s_mov_b32 s27, -1
                                        ; implicit-def: $vgpr2
.LBB174_50:
	s_mov_b32 s26, 0
.LBB174_51:
	s_delay_alu instid0(SALU_CYCLE_1)
	s_and_b32 vcc_lo, exec_lo, s26
	s_cbranch_vccz .LBB174_69
; %bb.52:
	s_cmp_lt_i32 s23, 27
	s_cbranch_scc1 .LBB174_55
; %bb.53:
	s_cmp_gt_i32 s23, 27
	s_cbranch_scc0 .LBB174_56
; %bb.54:
	s_wait_loadcnt 0x0
	global_load_b32 v2, v[0:1], off
	s_mov_b32 s25, 0
	s_wait_loadcnt 0x0
	v_cvt_f32_u32_e32 v2, v2
	s_delay_alu instid0(VALU_DEP_1) | instskip(NEXT) | instid1(VALU_DEP_1)
	v_bfe_u32 v3, v2, 16, 1
	v_add3_u32 v2, v2, v3, 0x7fff
	s_delay_alu instid0(VALU_DEP_1)
	v_lshrrev_b32_e32 v2, 16, v2
	s_branch .LBB174_57
.LBB174_55:
	s_mov_b32 s25, -1
                                        ; implicit-def: $vgpr2
	s_branch .LBB174_60
.LBB174_56:
	s_mov_b32 s25, -1
                                        ; implicit-def: $vgpr2
.LBB174_57:
	s_delay_alu instid0(SALU_CYCLE_1)
	s_and_not1_b32 vcc_lo, exec_lo, s25
	s_cbranch_vccnz .LBB174_59
; %bb.58:
	s_wait_loadcnt 0x0
	global_load_u16 v2, v[0:1], off
	s_wait_loadcnt 0x0
	v_cvt_f32_u32_e32 v2, v2
	s_delay_alu instid0(VALU_DEP_1) | instskip(NEXT) | instid1(VALU_DEP_1)
	v_bfe_u32 v3, v2, 16, 1
	v_add3_u32 v2, v2, v3, 0x7fff
	s_delay_alu instid0(VALU_DEP_1)
	v_lshrrev_b32_e32 v2, 16, v2
.LBB174_59:
	s_mov_b32 s25, 0
.LBB174_60:
	s_delay_alu instid0(SALU_CYCLE_1)
	s_and_not1_b32 vcc_lo, exec_lo, s25
	s_cbranch_vccnz .LBB174_68
; %bb.61:
	s_wait_loadcnt 0x0
	global_load_u8 v2, v[0:1], off
	s_mov_b32 s25, 0
	s_mov_b32 s26, exec_lo
	s_wait_loadcnt 0x0
	v_cmpx_lt_i16_e32 0x7f, v2
	s_xor_b32 s26, exec_lo, s26
	s_cbranch_execz .LBB174_81
; %bb.62:
	s_mov_b32 s25, -1
	s_mov_b32 s30, exec_lo
	v_cmpx_eq_u16_e32 0x80, v2
; %bb.63:
	s_xor_b32 s25, exec_lo, -1
; %bb.64:
	s_or_b32 exec_lo, exec_lo, s30
	s_delay_alu instid0(SALU_CYCLE_1)
	s_and_b32 s25, s25, exec_lo
	s_or_saveexec_b32 s26, s26
	v_mov_b32_e32 v3, 0x7f800001
	s_xor_b32 exec_lo, exec_lo, s26
	s_cbranch_execnz .LBB174_82
.LBB174_65:
	s_or_b32 exec_lo, exec_lo, s26
	s_and_saveexec_b32 s26, s25
	s_cbranch_execz .LBB174_67
.LBB174_66:
	v_and_b32_e32 v3, 0xffff, v2
	s_delay_alu instid0(VALU_DEP_1) | instskip(SKIP_1) | instid1(VALU_DEP_2)
	v_and_b32_e32 v4, 7, v3
	v_bfe_u32 v7, v3, 3, 4
	v_clz_i32_u32_e32 v5, v4
	s_delay_alu instid0(VALU_DEP_2) | instskip(NEXT) | instid1(VALU_DEP_2)
	v_cmp_eq_u32_e32 vcc_lo, 0, v7
	v_min_u32_e32 v5, 32, v5
	s_delay_alu instid0(VALU_DEP_1) | instskip(NEXT) | instid1(VALU_DEP_1)
	v_subrev_nc_u32_e32 v6, 28, v5
	v_dual_lshlrev_b32 v3, v6, v3 :: v_dual_sub_nc_u32 v5, 29, v5
	s_delay_alu instid0(VALU_DEP_1) | instskip(NEXT) | instid1(VALU_DEP_1)
	v_dual_lshlrev_b32 v2, 24, v2 :: v_dual_bitop2_b32 v3, 7, v3 bitop3:0x40
	v_dual_cndmask_b32 v5, v7, v5, vcc_lo :: v_dual_cndmask_b32 v3, v4, v3, vcc_lo
	s_delay_alu instid0(VALU_DEP_2) | instskip(NEXT) | instid1(VALU_DEP_2)
	v_and_b32_e32 v2, 0x80000000, v2
	v_lshl_add_u32 v4, v5, 23, 0x3b800000
	s_delay_alu instid0(VALU_DEP_3) | instskip(NEXT) | instid1(VALU_DEP_1)
	v_lshlrev_b32_e32 v3, 20, v3
	v_or3_b32 v3, v2, v4, v3
.LBB174_67:
	s_or_b32 exec_lo, exec_lo, s26
	s_delay_alu instid0(VALU_DEP_1) | instskip(SKIP_1) | instid1(VALU_DEP_2)
	v_bfe_u32 v2, v3, 16, 1
	v_cmp_o_f32_e32 vcc_lo, v3, v3
	v_add3_u32 v2, v3, v2, 0x7fff
	s_delay_alu instid0(VALU_DEP_1) | instskip(NEXT) | instid1(VALU_DEP_1)
	v_lshrrev_b32_e32 v2, 16, v2
	v_cndmask_b32_e32 v2, 0x7fc0, v2, vcc_lo
.LBB174_68:
	s_mov_b32 s25, -1
.LBB174_69:
	s_branch .LBB174_104
.LBB174_70:
	s_cmp_gt_i32 s23, 22
	s_cbranch_scc0 .LBB174_80
; %bb.71:
	s_cmp_lt_i32 s23, 24
	s_cbranch_scc1 .LBB174_83
; %bb.72:
	s_cmp_gt_i32 s23, 24
	s_cbranch_scc0 .LBB174_84
; %bb.73:
	s_wait_loadcnt 0x0
	global_load_u8 v2, v[0:1], off
	s_mov_b32 s25, 0
	s_mov_b32 s26, exec_lo
	s_wait_loadcnt 0x0
	v_cmpx_lt_i16_e32 0x7f, v2
	s_xor_b32 s26, exec_lo, s26
	s_cbranch_execz .LBB174_96
; %bb.74:
	s_mov_b32 s25, -1
	s_mov_b32 s30, exec_lo
	v_cmpx_eq_u16_e32 0x80, v2
; %bb.75:
	s_xor_b32 s25, exec_lo, -1
; %bb.76:
	s_or_b32 exec_lo, exec_lo, s30
	s_delay_alu instid0(SALU_CYCLE_1)
	s_and_b32 s25, s25, exec_lo
	s_or_saveexec_b32 s26, s26
	v_mov_b32_e32 v3, 0x7f800001
	s_xor_b32 exec_lo, exec_lo, s26
	s_cbranch_execnz .LBB174_97
.LBB174_77:
	s_or_b32 exec_lo, exec_lo, s26
	s_and_saveexec_b32 s26, s25
	s_cbranch_execz .LBB174_79
.LBB174_78:
	v_and_b32_e32 v3, 0xffff, v2
	s_delay_alu instid0(VALU_DEP_1) | instskip(SKIP_1) | instid1(VALU_DEP_2)
	v_and_b32_e32 v4, 3, v3
	v_bfe_u32 v7, v3, 2, 5
	v_clz_i32_u32_e32 v5, v4
	s_delay_alu instid0(VALU_DEP_2) | instskip(NEXT) | instid1(VALU_DEP_2)
	v_cmp_eq_u32_e32 vcc_lo, 0, v7
	v_min_u32_e32 v5, 32, v5
	s_delay_alu instid0(VALU_DEP_1) | instskip(NEXT) | instid1(VALU_DEP_1)
	v_subrev_nc_u32_e32 v6, 29, v5
	v_dual_lshlrev_b32 v3, v6, v3 :: v_dual_sub_nc_u32 v5, 30, v5
	s_delay_alu instid0(VALU_DEP_1) | instskip(NEXT) | instid1(VALU_DEP_1)
	v_dual_lshlrev_b32 v2, 24, v2 :: v_dual_bitop2_b32 v3, 3, v3 bitop3:0x40
	v_dual_cndmask_b32 v5, v7, v5, vcc_lo :: v_dual_cndmask_b32 v3, v4, v3, vcc_lo
	s_delay_alu instid0(VALU_DEP_2) | instskip(NEXT) | instid1(VALU_DEP_2)
	v_and_b32_e32 v2, 0x80000000, v2
	v_lshl_add_u32 v4, v5, 23, 0x37800000
	s_delay_alu instid0(VALU_DEP_3) | instskip(NEXT) | instid1(VALU_DEP_1)
	v_lshlrev_b32_e32 v3, 21, v3
	v_or3_b32 v3, v2, v4, v3
.LBB174_79:
	s_or_b32 exec_lo, exec_lo, s26
	s_delay_alu instid0(VALU_DEP_1) | instskip(SKIP_2) | instid1(VALU_DEP_2)
	v_bfe_u32 v2, v3, 16, 1
	v_cmp_o_f32_e32 vcc_lo, v3, v3
	s_mov_b32 s25, 0
	v_add3_u32 v2, v3, v2, 0x7fff
	s_delay_alu instid0(VALU_DEP_1) | instskip(NEXT) | instid1(VALU_DEP_1)
	v_lshrrev_b32_e32 v2, 16, v2
	v_cndmask_b32_e32 v2, 0x7fc0, v2, vcc_lo
	s_branch .LBB174_85
.LBB174_80:
	s_mov_b32 s26, -1
                                        ; implicit-def: $vgpr2
	s_branch .LBB174_91
.LBB174_81:
	s_or_saveexec_b32 s26, s26
	v_mov_b32_e32 v3, 0x7f800001
	s_xor_b32 exec_lo, exec_lo, s26
	s_cbranch_execz .LBB174_65
.LBB174_82:
	v_cmp_ne_u16_e32 vcc_lo, 0, v2
	v_mov_b32_e32 v3, 0
	s_and_not1_b32 s25, s25, exec_lo
	s_and_b32 s30, vcc_lo, exec_lo
	s_delay_alu instid0(SALU_CYCLE_1)
	s_or_b32 s25, s25, s30
	s_or_b32 exec_lo, exec_lo, s26
	s_and_saveexec_b32 s26, s25
	s_cbranch_execnz .LBB174_66
	s_branch .LBB174_67
.LBB174_83:
	s_mov_b32 s25, -1
                                        ; implicit-def: $vgpr2
	s_branch .LBB174_88
.LBB174_84:
	s_mov_b32 s25, -1
                                        ; implicit-def: $vgpr2
.LBB174_85:
	s_delay_alu instid0(SALU_CYCLE_1)
	s_and_b32 vcc_lo, exec_lo, s25
	s_cbranch_vccz .LBB174_87
; %bb.86:
	s_wait_loadcnt 0x0
	global_load_u8 v2, v[0:1], off
	s_wait_loadcnt 0x0
	v_lshlrev_b32_e32 v2, 24, v2
	s_delay_alu instid0(VALU_DEP_1) | instskip(NEXT) | instid1(VALU_DEP_1)
	v_and_b32_e32 v3, 0x7f000000, v2
	v_clz_i32_u32_e32 v4, v3
	v_cmp_ne_u32_e32 vcc_lo, 0, v3
	v_add_nc_u32_e32 v6, 0x1000000, v3
	s_delay_alu instid0(VALU_DEP_3) | instskip(NEXT) | instid1(VALU_DEP_1)
	v_min_u32_e32 v4, 32, v4
	v_sub_nc_u32_e64 v4, v4, 4 clamp
	s_delay_alu instid0(VALU_DEP_1) | instskip(NEXT) | instid1(VALU_DEP_1)
	v_dual_lshlrev_b32 v5, v4, v3 :: v_dual_lshlrev_b32 v4, 23, v4
	v_lshrrev_b32_e32 v5, 4, v5
	s_delay_alu instid0(VALU_DEP_1) | instskip(NEXT) | instid1(VALU_DEP_1)
	v_dual_sub_nc_u32 v4, v5, v4 :: v_dual_ashrrev_i32 v5, 8, v6
	v_add_nc_u32_e32 v4, 0x3c000000, v4
	s_delay_alu instid0(VALU_DEP_1) | instskip(NEXT) | instid1(VALU_DEP_1)
	v_and_or_b32 v4, 0x7f800000, v5, v4
	v_cndmask_b32_e32 v3, 0, v4, vcc_lo
	s_delay_alu instid0(VALU_DEP_1) | instskip(SKIP_1) | instid1(VALU_DEP_2)
	v_and_or_b32 v2, 0x80000000, v2, v3
	v_bfe_u32 v3, v3, 16, 1
	v_cmp_o_f32_e32 vcc_lo, v2, v2
	s_delay_alu instid0(VALU_DEP_2) | instskip(NEXT) | instid1(VALU_DEP_1)
	v_add3_u32 v3, v2, v3, 0x7fff
	v_lshrrev_b32_e32 v3, 16, v3
	s_delay_alu instid0(VALU_DEP_1)
	v_cndmask_b32_e32 v2, 0x7fc0, v3, vcc_lo
.LBB174_87:
	s_mov_b32 s25, 0
.LBB174_88:
	s_delay_alu instid0(SALU_CYCLE_1)
	s_and_not1_b32 vcc_lo, exec_lo, s25
	s_cbranch_vccnz .LBB174_90
; %bb.89:
	s_wait_loadcnt 0x0
	global_load_u8 v2, v[0:1], off
	s_wait_loadcnt 0x0
	v_lshlrev_b32_e32 v3, 25, v2
	v_lshlrev_b16 v2, 8, v2
	s_delay_alu instid0(VALU_DEP_1) | instskip(SKIP_1) | instid1(VALU_DEP_2)
	v_and_or_b32 v5, 0x7f00, v2, 0.5
	v_bfe_i32 v2, v2, 0, 16
	v_dual_add_f32 v5, -0.5, v5 :: v_dual_lshrrev_b32 v4, 4, v3
	v_cmp_gt_u32_e32 vcc_lo, 0x8000000, v3
	s_delay_alu instid0(VALU_DEP_2) | instskip(NEXT) | instid1(VALU_DEP_1)
	v_or_b32_e32 v4, 0x70000000, v4
	v_mul_f32_e32 v4, 0x7800000, v4
	s_delay_alu instid0(VALU_DEP_1) | instskip(NEXT) | instid1(VALU_DEP_1)
	v_cndmask_b32_e32 v3, v4, v5, vcc_lo
	v_and_or_b32 v2, 0x80000000, v2, v3
	v_bfe_u32 v3, v3, 16, 1
	s_delay_alu instid0(VALU_DEP_2) | instskip(NEXT) | instid1(VALU_DEP_2)
	v_cmp_o_f32_e32 vcc_lo, v2, v2
	v_add3_u32 v3, v2, v3, 0x7fff
	s_delay_alu instid0(VALU_DEP_1) | instskip(NEXT) | instid1(VALU_DEP_1)
	v_lshrrev_b32_e32 v3, 16, v3
	v_cndmask_b32_e32 v2, 0x7fc0, v3, vcc_lo
.LBB174_90:
	s_mov_b32 s26, 0
	s_mov_b32 s25, -1
.LBB174_91:
	s_and_not1_b32 vcc_lo, exec_lo, s26
	s_cbranch_vccnz .LBB174_104
; %bb.92:
	s_cmp_gt_i32 s23, 14
	s_cbranch_scc0 .LBB174_95
; %bb.93:
	s_cmp_eq_u32 s23, 15
	s_cbranch_scc0 .LBB174_98
; %bb.94:
	s_wait_loadcnt 0x0
	global_load_u16 v2, v[0:1], off
	s_mov_b32 s25, -1
	s_mov_b32 s27, 0
	s_branch .LBB174_99
.LBB174_95:
	s_mov_b32 s26, -1
                                        ; implicit-def: $vgpr2
	s_branch .LBB174_100
.LBB174_96:
	s_or_saveexec_b32 s26, s26
	v_mov_b32_e32 v3, 0x7f800001
	s_xor_b32 exec_lo, exec_lo, s26
	s_cbranch_execz .LBB174_77
.LBB174_97:
	v_cmp_ne_u16_e32 vcc_lo, 0, v2
	v_mov_b32_e32 v3, 0
	s_and_not1_b32 s25, s25, exec_lo
	s_and_b32 s30, vcc_lo, exec_lo
	s_delay_alu instid0(SALU_CYCLE_1)
	s_or_b32 s25, s25, s30
	s_or_b32 exec_lo, exec_lo, s26
	s_and_saveexec_b32 s26, s25
	s_cbranch_execnz .LBB174_78
	s_branch .LBB174_79
.LBB174_98:
	s_mov_b32 s27, -1
                                        ; implicit-def: $vgpr2
.LBB174_99:
	s_mov_b32 s26, 0
.LBB174_100:
	s_delay_alu instid0(SALU_CYCLE_1)
	s_and_b32 vcc_lo, exec_lo, s26
	s_cbranch_vccz .LBB174_104
; %bb.101:
	s_cmp_eq_u32 s23, 11
	s_cbranch_scc0 .LBB174_103
; %bb.102:
	s_wait_loadcnt 0x0
	global_load_u8 v2, v[0:1], off
	s_mov_b32 s27, 0
	s_mov_b32 s25, -1
	s_wait_loadcnt 0x0
	v_cmp_ne_u16_e32 vcc_lo, 0, v2
	v_cndmask_b32_e64 v2, 0, 1.0, vcc_lo
	s_delay_alu instid0(VALU_DEP_1)
	v_lshrrev_b32_e32 v2, 16, v2
	s_branch .LBB174_104
.LBB174_103:
	s_mov_b32 s27, -1
                                        ; implicit-def: $vgpr2
.LBB174_104:
	s_branch .LBB174_10
.LBB174_105:
	s_and_b32 s0, 0xffff, s0
	s_delay_alu instid0(SALU_CYCLE_1)
	s_cmp_lt_i32 s0, 5
	s_cbranch_scc1 .LBB174_110
; %bb.106:
	s_cmp_lt_i32 s0, 8
	s_cbranch_scc1 .LBB174_111
; %bb.107:
	;; [unrolled: 3-line block ×3, first 2 shown]
	s_cmp_gt_i32 s0, 9
	s_cbranch_scc0 .LBB174_113
; %bb.109:
	s_wait_loadcnt 0x0
	global_load_b64 v[2:3], v[0:1], off
	s_mov_b32 s23, 0
	s_wait_loadcnt 0x0
	v_cvt_f32_f64_e32 v2, v[2:3]
	s_delay_alu instid0(VALU_DEP_1) | instskip(SKIP_1) | instid1(VALU_DEP_2)
	v_bfe_u32 v3, v2, 16, 1
	v_cmp_o_f32_e32 vcc_lo, v2, v2
	v_add3_u32 v3, v2, v3, 0x7fff
	s_delay_alu instid0(VALU_DEP_1) | instskip(NEXT) | instid1(VALU_DEP_1)
	v_lshrrev_b32_e32 v3, 16, v3
	v_cndmask_b32_e32 v2, 0x7fc0, v3, vcc_lo
	s_branch .LBB174_114
.LBB174_110:
                                        ; implicit-def: $vgpr2
	s_branch .LBB174_132
.LBB174_111:
	s_mov_b32 s23, -1
                                        ; implicit-def: $vgpr2
	s_branch .LBB174_120
.LBB174_112:
	s_mov_b32 s23, -1
                                        ; implicit-def: $vgpr2
	s_branch .LBB174_117
.LBB174_113:
	s_mov_b32 s23, -1
                                        ; implicit-def: $vgpr2
.LBB174_114:
	s_delay_alu instid0(SALU_CYCLE_1)
	s_and_not1_b32 vcc_lo, exec_lo, s23
	s_cbranch_vccnz .LBB174_116
; %bb.115:
	s_wait_loadcnt 0x0
	global_load_b32 v2, v[0:1], off
	s_wait_loadcnt 0x0
	v_bfe_u32 v3, v2, 16, 1
	v_cmp_o_f32_e32 vcc_lo, v2, v2
	s_delay_alu instid0(VALU_DEP_2) | instskip(NEXT) | instid1(VALU_DEP_1)
	v_add3_u32 v3, v2, v3, 0x7fff
	v_lshrrev_b32_e32 v3, 16, v3
	s_delay_alu instid0(VALU_DEP_1)
	v_cndmask_b32_e32 v2, 0x7fc0, v3, vcc_lo
.LBB174_116:
	s_mov_b32 s23, 0
.LBB174_117:
	s_delay_alu instid0(SALU_CYCLE_1)
	s_and_not1_b32 vcc_lo, exec_lo, s23
	s_cbranch_vccnz .LBB174_119
; %bb.118:
	s_wait_loadcnt 0x0
	global_load_b32 v2, v[0:1], off
	s_wait_loadcnt 0x0
	v_cvt_f32_f16_e32 v3, v2
	v_cmp_o_f16_e32 vcc_lo, v2, v2
	s_delay_alu instid0(VALU_DEP_2) | instskip(NEXT) | instid1(VALU_DEP_1)
	v_bfe_u32 v4, v3, 16, 1
	v_add3_u32 v3, v3, v4, 0x7fff
	s_delay_alu instid0(VALU_DEP_1) | instskip(NEXT) | instid1(VALU_DEP_1)
	v_lshrrev_b32_e32 v3, 16, v3
	v_cndmask_b32_e32 v2, 0x7fc0, v3, vcc_lo
.LBB174_119:
	s_mov_b32 s23, 0
.LBB174_120:
	s_delay_alu instid0(SALU_CYCLE_1)
	s_and_not1_b32 vcc_lo, exec_lo, s23
	s_cbranch_vccnz .LBB174_131
; %bb.121:
	s_cmp_lt_i32 s0, 6
	s_cbranch_scc1 .LBB174_124
; %bb.122:
	s_cmp_gt_i32 s0, 6
	s_cbranch_scc0 .LBB174_125
; %bb.123:
	s_wait_loadcnt 0x0
	global_load_b64 v[2:3], v[0:1], off
	s_mov_b32 s23, 0
	s_wait_loadcnt 0x0
	v_cvt_f32_f64_e32 v2, v[2:3]
	s_delay_alu instid0(VALU_DEP_1) | instskip(SKIP_1) | instid1(VALU_DEP_2)
	v_bfe_u32 v3, v2, 16, 1
	v_cmp_o_f32_e32 vcc_lo, v2, v2
	v_add3_u32 v3, v2, v3, 0x7fff
	s_delay_alu instid0(VALU_DEP_1) | instskip(NEXT) | instid1(VALU_DEP_1)
	v_lshrrev_b32_e32 v3, 16, v3
	v_cndmask_b32_e32 v2, 0x7fc0, v3, vcc_lo
	s_branch .LBB174_126
.LBB174_124:
	s_mov_b32 s23, -1
                                        ; implicit-def: $vgpr2
	s_branch .LBB174_129
.LBB174_125:
	s_mov_b32 s23, -1
                                        ; implicit-def: $vgpr2
.LBB174_126:
	s_delay_alu instid0(SALU_CYCLE_1)
	s_and_not1_b32 vcc_lo, exec_lo, s23
	s_cbranch_vccnz .LBB174_128
; %bb.127:
	s_wait_loadcnt 0x0
	global_load_b32 v2, v[0:1], off
	s_wait_loadcnt 0x0
	v_bfe_u32 v3, v2, 16, 1
	v_cmp_o_f32_e32 vcc_lo, v2, v2
	s_delay_alu instid0(VALU_DEP_2) | instskip(NEXT) | instid1(VALU_DEP_1)
	v_add3_u32 v3, v2, v3, 0x7fff
	v_lshrrev_b32_e32 v3, 16, v3
	s_delay_alu instid0(VALU_DEP_1)
	v_cndmask_b32_e32 v2, 0x7fc0, v3, vcc_lo
.LBB174_128:
	s_mov_b32 s23, 0
.LBB174_129:
	s_delay_alu instid0(SALU_CYCLE_1)
	s_and_not1_b32 vcc_lo, exec_lo, s23
	s_cbranch_vccnz .LBB174_131
; %bb.130:
	s_wait_loadcnt 0x0
	global_load_u16 v2, v[0:1], off
	s_wait_loadcnt 0x0
	v_cvt_f32_f16_e32 v3, v2
	v_cmp_o_f16_e32 vcc_lo, v2, v2
	s_delay_alu instid0(VALU_DEP_2) | instskip(NEXT) | instid1(VALU_DEP_1)
	v_bfe_u32 v4, v3, 16, 1
	v_add3_u32 v3, v3, v4, 0x7fff
	s_delay_alu instid0(VALU_DEP_1) | instskip(NEXT) | instid1(VALU_DEP_1)
	v_lshrrev_b32_e32 v3, 16, v3
	v_cndmask_b32_e32 v2, 0x7fc0, v3, vcc_lo
.LBB174_131:
	s_cbranch_execnz .LBB174_151
.LBB174_132:
	s_cmp_lt_i32 s0, 2
	s_cbranch_scc1 .LBB174_136
; %bb.133:
	s_cmp_lt_i32 s0, 3
	s_cbranch_scc1 .LBB174_137
; %bb.134:
	s_cmp_gt_i32 s0, 3
	s_cbranch_scc0 .LBB174_138
; %bb.135:
	s_wait_loadcnt 0x0
	global_load_b64 v[2:3], v[0:1], off
	s_mov_b32 s23, 0
	s_wait_loadcnt 0x0
	v_xor_b32_e32 v4, v2, v3
	v_cls_i32_e32 v5, v3
	s_delay_alu instid0(VALU_DEP_2) | instskip(NEXT) | instid1(VALU_DEP_1)
	v_ashrrev_i32_e32 v4, 31, v4
	v_add_nc_u32_e32 v4, 32, v4
	s_delay_alu instid0(VALU_DEP_1) | instskip(NEXT) | instid1(VALU_DEP_1)
	v_add_min_u32_e64 v4, v5, -1, v4
	v_lshlrev_b64_e32 v[2:3], v4, v[2:3]
	s_delay_alu instid0(VALU_DEP_1) | instskip(NEXT) | instid1(VALU_DEP_1)
	v_min_u32_e32 v2, 1, v2
	v_dual_sub_nc_u32 v3, 32, v4 :: v_dual_bitop2_b32 v2, v3, v2 bitop3:0x54
	s_delay_alu instid0(VALU_DEP_1) | instskip(NEXT) | instid1(VALU_DEP_1)
	v_cvt_f32_i32_e32 v2, v2
	v_ldexp_f32 v2, v2, v3
	s_delay_alu instid0(VALU_DEP_1) | instskip(NEXT) | instid1(VALU_DEP_1)
	v_bfe_u32 v3, v2, 16, 1
	v_add3_u32 v2, v2, v3, 0x7fff
	s_delay_alu instid0(VALU_DEP_1)
	v_lshrrev_b32_e32 v2, 16, v2
	s_branch .LBB174_139
.LBB174_136:
	s_mov_b32 s23, -1
                                        ; implicit-def: $vgpr2
	s_branch .LBB174_145
.LBB174_137:
	s_mov_b32 s23, -1
                                        ; implicit-def: $vgpr2
	s_branch .LBB174_142
.LBB174_138:
	s_mov_b32 s23, -1
                                        ; implicit-def: $vgpr2
.LBB174_139:
	s_delay_alu instid0(SALU_CYCLE_1)
	s_and_not1_b32 vcc_lo, exec_lo, s23
	s_cbranch_vccnz .LBB174_141
; %bb.140:
	s_wait_loadcnt 0x0
	global_load_b32 v2, v[0:1], off
	s_wait_loadcnt 0x0
	v_cvt_f32_i32_e32 v2, v2
	s_delay_alu instid0(VALU_DEP_1) | instskip(NEXT) | instid1(VALU_DEP_1)
	v_bfe_u32 v3, v2, 16, 1
	v_add3_u32 v2, v2, v3, 0x7fff
	s_delay_alu instid0(VALU_DEP_1)
	v_lshrrev_b32_e32 v2, 16, v2
.LBB174_141:
	s_mov_b32 s23, 0
.LBB174_142:
	s_delay_alu instid0(SALU_CYCLE_1)
	s_and_not1_b32 vcc_lo, exec_lo, s23
	s_cbranch_vccnz .LBB174_144
; %bb.143:
	s_wait_loadcnt 0x0
	global_load_i16 v2, v[0:1], off
	s_wait_loadcnt 0x0
	v_cvt_f32_i32_e32 v2, v2
	s_delay_alu instid0(VALU_DEP_1) | instskip(NEXT) | instid1(VALU_DEP_1)
	v_bfe_u32 v3, v2, 16, 1
	v_add3_u32 v2, v2, v3, 0x7fff
	s_delay_alu instid0(VALU_DEP_1)
	v_lshrrev_b32_e32 v2, 16, v2
.LBB174_144:
	s_mov_b32 s23, 0
.LBB174_145:
	s_delay_alu instid0(SALU_CYCLE_1)
	s_and_not1_b32 vcc_lo, exec_lo, s23
	s_cbranch_vccnz .LBB174_151
; %bb.146:
	s_cmp_gt_i32 s0, 0
	s_mov_b32 s0, 0
	s_cbranch_scc0 .LBB174_148
; %bb.147:
	s_wait_loadcnt 0x0
	global_load_i8 v2, v[0:1], off
	s_wait_loadcnt 0x0
	v_cvt_f32_i32_e32 v2, v2
	s_delay_alu instid0(VALU_DEP_1) | instskip(NEXT) | instid1(VALU_DEP_1)
	v_bfe_u32 v3, v2, 16, 1
	v_add3_u32 v2, v2, v3, 0x7fff
	s_delay_alu instid0(VALU_DEP_1)
	v_lshrrev_b32_e32 v2, 16, v2
	s_branch .LBB174_149
.LBB174_148:
	s_mov_b32 s0, -1
                                        ; implicit-def: $vgpr2
.LBB174_149:
	s_delay_alu instid0(SALU_CYCLE_1)
	s_and_not1_b32 vcc_lo, exec_lo, s0
	s_cbranch_vccnz .LBB174_151
; %bb.150:
	global_load_u8 v0, v[0:1], off
	s_wait_loadcnt 0x0
	v_cvt_f32_ubyte0_e32 v0, v0
	s_delay_alu instid0(VALU_DEP_1) | instskip(NEXT) | instid1(VALU_DEP_1)
	v_bfe_u32 v1, v0, 16, 1
	v_add3_u32 v0, v0, v1, 0x7fff
	s_delay_alu instid0(VALU_DEP_1)
	v_lshrrev_b32_e32 v2, 16, v0
.LBB174_151:
	s_branch .LBB174_11
.LBB174_152:
	s_mov_b32 s0, 0
	s_mov_b32 s25, 0
	;; [unrolled: 1-line block ×3, first 2 shown]
	s_branch .LBB174_510
.LBB174_153:
	s_mov_b32 s26, -1
.LBB174_154:
	s_mov_b32 s25, 0
                                        ; implicit-def: $vgpr3
.LBB174_155:
	s_and_b32 vcc_lo, exec_lo, s30
	s_cbranch_vccz .LBB174_160
; %bb.156:
	s_cmp_eq_u32 s23, 44
	s_cbranch_scc0 .LBB174_159
; %bb.157:
	s_wait_loadcnt 0x0
	global_load_u8 v3, v[0:1], off
	s_mov_b32 s26, 0
	s_mov_b32 s25, -1
	s_wait_loadcnt 0x0
	v_lshlrev_b32_e32 v4, 23, v3
	v_cmp_ne_u32_e32 vcc_lo, 0xff, v3
	s_delay_alu instid0(VALU_DEP_2) | instskip(SKIP_1) | instid1(VALU_DEP_2)
	v_cndmask_b32_e32 v4, 0x7f800001, v4, vcc_lo
	v_cmp_ne_u32_e32 vcc_lo, 0, v3
	v_cndmask_b32_e32 v3, 0x400000, v4, vcc_lo
	s_delay_alu instid0(VALU_DEP_1) | instskip(NEXT) | instid1(VALU_DEP_1)
	v_add_nc_u32_e32 v4, 0x7fff, v3
	v_lshrrev_b32_e32 v4, 16, v4
	v_cmp_o_f32_e32 vcc_lo, v3, v3
	s_delay_alu instid0(VALU_DEP_2)
	v_cndmask_b32_e32 v3, 0x7fc0, v4, vcc_lo
	s_branch .LBB174_160
.LBB174_158:
	s_mov_b32 s30, -1
	s_mov_b32 s25, 0
	s_branch .LBB174_271
.LBB174_159:
	s_mov_b32 s26, -1
                                        ; implicit-def: $vgpr3
.LBB174_160:
	s_mov_b32 s30, 0
.LBB174_161:
	s_delay_alu instid0(SALU_CYCLE_1)
	s_and_b32 vcc_lo, exec_lo, s30
	s_cbranch_vccz .LBB174_165
; %bb.162:
	s_cmp_eq_u32 s23, 29
	s_cbranch_scc0 .LBB174_164
; %bb.163:
	global_load_b64 v[4:5], v[0:1], off
	s_mov_b32 s25, -1
	s_mov_b32 s26, 0
	s_mov_b32 s30, 0
	s_wait_loadcnt 0x0
	v_clz_i32_u32_e32 v3, v5
	s_delay_alu instid0(VALU_DEP_1) | instskip(NEXT) | instid1(VALU_DEP_1)
	v_min_u32_e32 v3, 32, v3
	v_lshlrev_b64_e32 v[4:5], v3, v[4:5]
	v_sub_nc_u32_e32 v3, 32, v3
	s_delay_alu instid0(VALU_DEP_2) | instskip(NEXT) | instid1(VALU_DEP_1)
	v_min_u32_e32 v4, 1, v4
	v_or_b32_e32 v4, v5, v4
	s_delay_alu instid0(VALU_DEP_1) | instskip(NEXT) | instid1(VALU_DEP_1)
	v_cvt_f32_u32_e32 v4, v4
	v_ldexp_f32 v3, v4, v3
	s_delay_alu instid0(VALU_DEP_1) | instskip(NEXT) | instid1(VALU_DEP_1)
	v_bfe_u32 v4, v3, 16, 1
	v_add3_u32 v3, v3, v4, 0x7fff
	s_delay_alu instid0(VALU_DEP_1)
	v_lshrrev_b32_e32 v3, 16, v3
	s_branch .LBB174_166
.LBB174_164:
	s_mov_b32 s26, -1
                                        ; implicit-def: $vgpr3
.LBB174_165:
	s_mov_b32 s30, 0
.LBB174_166:
	s_delay_alu instid0(SALU_CYCLE_1)
	s_and_b32 vcc_lo, exec_lo, s30
	s_cbranch_vccz .LBB174_184
; %bb.167:
	s_cmp_lt_i32 s23, 27
	s_cbranch_scc1 .LBB174_170
; %bb.168:
	s_cmp_gt_i32 s23, 27
	s_cbranch_scc0 .LBB174_171
; %bb.169:
	s_wait_loadcnt 0x0
	global_load_b32 v3, v[0:1], off
	s_mov_b32 s25, 0
	s_wait_loadcnt 0x0
	v_cvt_f32_u32_e32 v3, v3
	s_delay_alu instid0(VALU_DEP_1) | instskip(NEXT) | instid1(VALU_DEP_1)
	v_bfe_u32 v4, v3, 16, 1
	v_add3_u32 v3, v3, v4, 0x7fff
	s_delay_alu instid0(VALU_DEP_1)
	v_lshrrev_b32_e32 v3, 16, v3
	s_branch .LBB174_172
.LBB174_170:
	s_mov_b32 s25, -1
                                        ; implicit-def: $vgpr3
	s_branch .LBB174_175
.LBB174_171:
	s_mov_b32 s25, -1
                                        ; implicit-def: $vgpr3
.LBB174_172:
	s_delay_alu instid0(SALU_CYCLE_1)
	s_and_not1_b32 vcc_lo, exec_lo, s25
	s_cbranch_vccnz .LBB174_174
; %bb.173:
	s_wait_loadcnt 0x0
	global_load_u16 v3, v[0:1], off
	s_wait_loadcnt 0x0
	v_cvt_f32_u32_e32 v3, v3
	s_delay_alu instid0(VALU_DEP_1) | instskip(NEXT) | instid1(VALU_DEP_1)
	v_bfe_u32 v4, v3, 16, 1
	v_add3_u32 v3, v3, v4, 0x7fff
	s_delay_alu instid0(VALU_DEP_1)
	v_lshrrev_b32_e32 v3, 16, v3
.LBB174_174:
	s_mov_b32 s25, 0
.LBB174_175:
	s_delay_alu instid0(SALU_CYCLE_1)
	s_and_not1_b32 vcc_lo, exec_lo, s25
	s_cbranch_vccnz .LBB174_183
; %bb.176:
	s_wait_loadcnt 0x0
	global_load_u8 v3, v[0:1], off
	s_mov_b32 s25, 0
	s_mov_b32 s30, exec_lo
	s_wait_loadcnt 0x0
	v_cmpx_lt_i16_e32 0x7f, v3
	s_xor_b32 s30, exec_lo, s30
	s_cbranch_execz .LBB174_197
; %bb.177:
	s_mov_b32 s25, -1
	s_mov_b32 s31, exec_lo
	v_cmpx_eq_u16_e32 0x80, v3
; %bb.178:
	s_xor_b32 s25, exec_lo, -1
; %bb.179:
	s_or_b32 exec_lo, exec_lo, s31
	s_delay_alu instid0(SALU_CYCLE_1)
	s_and_b32 s25, s25, exec_lo
	s_or_saveexec_b32 s30, s30
	v_mov_b32_e32 v4, 0x7f800001
	s_xor_b32 exec_lo, exec_lo, s30
	s_cbranch_execnz .LBB174_198
.LBB174_180:
	s_or_b32 exec_lo, exec_lo, s30
	s_and_saveexec_b32 s30, s25
	s_cbranch_execz .LBB174_182
.LBB174_181:
	v_and_b32_e32 v4, 0xffff, v3
	s_delay_alu instid0(VALU_DEP_1) | instskip(SKIP_1) | instid1(VALU_DEP_2)
	v_and_b32_e32 v5, 7, v4
	v_bfe_u32 v9, v4, 3, 4
	v_clz_i32_u32_e32 v6, v5
	s_delay_alu instid0(VALU_DEP_2) | instskip(NEXT) | instid1(VALU_DEP_2)
	v_cmp_eq_u32_e32 vcc_lo, 0, v9
	v_min_u32_e32 v6, 32, v6
	s_delay_alu instid0(VALU_DEP_1) | instskip(NEXT) | instid1(VALU_DEP_1)
	v_subrev_nc_u32_e32 v7, 28, v6
	v_dual_lshlrev_b32 v4, v7, v4 :: v_dual_sub_nc_u32 v6, 29, v6
	s_delay_alu instid0(VALU_DEP_1) | instskip(NEXT) | instid1(VALU_DEP_2)
	v_dual_lshlrev_b32 v3, 24, v3 :: v_dual_bitop2_b32 v4, 7, v4 bitop3:0x40
	v_cndmask_b32_e32 v6, v9, v6, vcc_lo
	s_delay_alu instid0(VALU_DEP_2) | instskip(NEXT) | instid1(VALU_DEP_3)
	v_cndmask_b32_e32 v4, v5, v4, vcc_lo
	v_and_b32_e32 v3, 0x80000000, v3
	s_delay_alu instid0(VALU_DEP_3) | instskip(NEXT) | instid1(VALU_DEP_3)
	v_lshl_add_u32 v5, v6, 23, 0x3b800000
	v_lshlrev_b32_e32 v4, 20, v4
	s_delay_alu instid0(VALU_DEP_1)
	v_or3_b32 v4, v3, v5, v4
.LBB174_182:
	s_or_b32 exec_lo, exec_lo, s30
	s_delay_alu instid0(VALU_DEP_1) | instskip(SKIP_1) | instid1(VALU_DEP_2)
	v_bfe_u32 v3, v4, 16, 1
	v_cmp_o_f32_e32 vcc_lo, v4, v4
	v_add3_u32 v3, v4, v3, 0x7fff
	s_delay_alu instid0(VALU_DEP_1) | instskip(NEXT) | instid1(VALU_DEP_1)
	v_lshrrev_b32_e32 v3, 16, v3
	v_cndmask_b32_e32 v3, 0x7fc0, v3, vcc_lo
.LBB174_183:
	s_mov_b32 s25, -1
.LBB174_184:
	s_mov_b32 s30, 0
.LBB174_185:
	s_delay_alu instid0(SALU_CYCLE_1)
	s_and_b32 vcc_lo, exec_lo, s30
	s_cbranch_vccz .LBB174_220
; %bb.186:
	s_cmp_gt_i32 s23, 22
	s_cbranch_scc0 .LBB174_196
; %bb.187:
	s_cmp_lt_i32 s23, 24
	s_cbranch_scc1 .LBB174_199
; %bb.188:
	s_cmp_gt_i32 s23, 24
	s_cbranch_scc0 .LBB174_200
; %bb.189:
	s_wait_loadcnt 0x0
	global_load_u8 v3, v[0:1], off
	s_mov_b32 s25, 0
	s_mov_b32 s30, exec_lo
	s_wait_loadcnt 0x0
	v_cmpx_lt_i16_e32 0x7f, v3
	s_xor_b32 s30, exec_lo, s30
	s_cbranch_execz .LBB174_212
; %bb.190:
	s_mov_b32 s25, -1
	s_mov_b32 s31, exec_lo
	v_cmpx_eq_u16_e32 0x80, v3
; %bb.191:
	s_xor_b32 s25, exec_lo, -1
; %bb.192:
	s_or_b32 exec_lo, exec_lo, s31
	s_delay_alu instid0(SALU_CYCLE_1)
	s_and_b32 s25, s25, exec_lo
	s_or_saveexec_b32 s30, s30
	v_mov_b32_e32 v4, 0x7f800001
	s_xor_b32 exec_lo, exec_lo, s30
	s_cbranch_execnz .LBB174_213
.LBB174_193:
	s_or_b32 exec_lo, exec_lo, s30
	s_and_saveexec_b32 s30, s25
	s_cbranch_execz .LBB174_195
.LBB174_194:
	v_and_b32_e32 v4, 0xffff, v3
	s_delay_alu instid0(VALU_DEP_1) | instskip(SKIP_1) | instid1(VALU_DEP_2)
	v_and_b32_e32 v5, 3, v4
	v_bfe_u32 v9, v4, 2, 5
	v_clz_i32_u32_e32 v6, v5
	s_delay_alu instid0(VALU_DEP_2) | instskip(NEXT) | instid1(VALU_DEP_2)
	v_cmp_eq_u32_e32 vcc_lo, 0, v9
	v_min_u32_e32 v6, 32, v6
	s_delay_alu instid0(VALU_DEP_1) | instskip(NEXT) | instid1(VALU_DEP_1)
	v_subrev_nc_u32_e32 v7, 29, v6
	v_dual_lshlrev_b32 v4, v7, v4 :: v_dual_sub_nc_u32 v6, 30, v6
	s_delay_alu instid0(VALU_DEP_1) | instskip(NEXT) | instid1(VALU_DEP_2)
	v_dual_lshlrev_b32 v3, 24, v3 :: v_dual_bitop2_b32 v4, 3, v4 bitop3:0x40
	v_cndmask_b32_e32 v6, v9, v6, vcc_lo
	s_delay_alu instid0(VALU_DEP_2) | instskip(NEXT) | instid1(VALU_DEP_3)
	v_cndmask_b32_e32 v4, v5, v4, vcc_lo
	v_and_b32_e32 v3, 0x80000000, v3
	s_delay_alu instid0(VALU_DEP_3) | instskip(NEXT) | instid1(VALU_DEP_3)
	v_lshl_add_u32 v5, v6, 23, 0x37800000
	v_lshlrev_b32_e32 v4, 21, v4
	s_delay_alu instid0(VALU_DEP_1)
	v_or3_b32 v4, v3, v5, v4
.LBB174_195:
	s_or_b32 exec_lo, exec_lo, s30
	s_delay_alu instid0(VALU_DEP_1) | instskip(SKIP_2) | instid1(VALU_DEP_2)
	v_bfe_u32 v3, v4, 16, 1
	v_cmp_o_f32_e32 vcc_lo, v4, v4
	s_mov_b32 s25, 0
	v_add3_u32 v3, v4, v3, 0x7fff
	s_delay_alu instid0(VALU_DEP_1) | instskip(NEXT) | instid1(VALU_DEP_1)
	v_lshrrev_b32_e32 v3, 16, v3
	v_cndmask_b32_e32 v3, 0x7fc0, v3, vcc_lo
	s_branch .LBB174_201
.LBB174_196:
	s_mov_b32 s30, -1
                                        ; implicit-def: $vgpr3
	s_branch .LBB174_207
.LBB174_197:
	s_or_saveexec_b32 s30, s30
	v_mov_b32_e32 v4, 0x7f800001
	s_xor_b32 exec_lo, exec_lo, s30
	s_cbranch_execz .LBB174_180
.LBB174_198:
	v_cmp_ne_u16_e32 vcc_lo, 0, v3
	v_mov_b32_e32 v4, 0
	s_and_not1_b32 s25, s25, exec_lo
	s_and_b32 s31, vcc_lo, exec_lo
	s_delay_alu instid0(SALU_CYCLE_1)
	s_or_b32 s25, s25, s31
	s_or_b32 exec_lo, exec_lo, s30
	s_and_saveexec_b32 s30, s25
	s_cbranch_execnz .LBB174_181
	s_branch .LBB174_182
.LBB174_199:
	s_mov_b32 s25, -1
                                        ; implicit-def: $vgpr3
	s_branch .LBB174_204
.LBB174_200:
	s_mov_b32 s25, -1
                                        ; implicit-def: $vgpr3
.LBB174_201:
	s_delay_alu instid0(SALU_CYCLE_1)
	s_and_b32 vcc_lo, exec_lo, s25
	s_cbranch_vccz .LBB174_203
; %bb.202:
	s_wait_loadcnt 0x0
	global_load_u8 v3, v[0:1], off
	s_wait_loadcnt 0x0
	v_lshlrev_b32_e32 v3, 24, v3
	s_delay_alu instid0(VALU_DEP_1) | instskip(NEXT) | instid1(VALU_DEP_1)
	v_and_b32_e32 v4, 0x7f000000, v3
	v_clz_i32_u32_e32 v5, v4
	v_cmp_ne_u32_e32 vcc_lo, 0, v4
	v_add_nc_u32_e32 v7, 0x1000000, v4
	s_delay_alu instid0(VALU_DEP_3) | instskip(NEXT) | instid1(VALU_DEP_1)
	v_min_u32_e32 v5, 32, v5
	v_sub_nc_u32_e64 v5, v5, 4 clamp
	s_delay_alu instid0(VALU_DEP_1) | instskip(NEXT) | instid1(VALU_DEP_1)
	v_dual_lshlrev_b32 v6, v5, v4 :: v_dual_lshlrev_b32 v5, 23, v5
	v_lshrrev_b32_e32 v6, 4, v6
	s_delay_alu instid0(VALU_DEP_1) | instskip(NEXT) | instid1(VALU_DEP_1)
	v_dual_sub_nc_u32 v5, v6, v5 :: v_dual_ashrrev_i32 v6, 8, v7
	v_add_nc_u32_e32 v5, 0x3c000000, v5
	s_delay_alu instid0(VALU_DEP_1) | instskip(NEXT) | instid1(VALU_DEP_1)
	v_and_or_b32 v5, 0x7f800000, v6, v5
	v_cndmask_b32_e32 v4, 0, v5, vcc_lo
	s_delay_alu instid0(VALU_DEP_1) | instskip(SKIP_1) | instid1(VALU_DEP_2)
	v_and_or_b32 v3, 0x80000000, v3, v4
	v_bfe_u32 v4, v4, 16, 1
	v_cmp_o_f32_e32 vcc_lo, v3, v3
	s_delay_alu instid0(VALU_DEP_2) | instskip(NEXT) | instid1(VALU_DEP_1)
	v_add3_u32 v4, v3, v4, 0x7fff
	v_lshrrev_b32_e32 v4, 16, v4
	s_delay_alu instid0(VALU_DEP_1)
	v_cndmask_b32_e32 v3, 0x7fc0, v4, vcc_lo
.LBB174_203:
	s_mov_b32 s25, 0
.LBB174_204:
	s_delay_alu instid0(SALU_CYCLE_1)
	s_and_not1_b32 vcc_lo, exec_lo, s25
	s_cbranch_vccnz .LBB174_206
; %bb.205:
	s_wait_loadcnt 0x0
	global_load_u8 v3, v[0:1], off
	s_wait_loadcnt 0x0
	v_lshlrev_b32_e32 v4, 25, v3
	v_lshlrev_b16 v3, 8, v3
	s_delay_alu instid0(VALU_DEP_1) | instskip(SKIP_1) | instid1(VALU_DEP_2)
	v_and_or_b32 v6, 0x7f00, v3, 0.5
	v_bfe_i32 v3, v3, 0, 16
	v_dual_add_f32 v6, -0.5, v6 :: v_dual_lshrrev_b32 v5, 4, v4
	v_cmp_gt_u32_e32 vcc_lo, 0x8000000, v4
	s_delay_alu instid0(VALU_DEP_2) | instskip(NEXT) | instid1(VALU_DEP_1)
	v_or_b32_e32 v5, 0x70000000, v5
	v_mul_f32_e32 v5, 0x7800000, v5
	s_delay_alu instid0(VALU_DEP_1) | instskip(NEXT) | instid1(VALU_DEP_1)
	v_cndmask_b32_e32 v4, v5, v6, vcc_lo
	v_and_or_b32 v3, 0x80000000, v3, v4
	v_bfe_u32 v4, v4, 16, 1
	s_delay_alu instid0(VALU_DEP_2) | instskip(NEXT) | instid1(VALU_DEP_2)
	v_cmp_o_f32_e32 vcc_lo, v3, v3
	v_add3_u32 v4, v3, v4, 0x7fff
	s_delay_alu instid0(VALU_DEP_1) | instskip(NEXT) | instid1(VALU_DEP_1)
	v_lshrrev_b32_e32 v4, 16, v4
	v_cndmask_b32_e32 v3, 0x7fc0, v4, vcc_lo
.LBB174_206:
	s_mov_b32 s30, 0
	s_mov_b32 s25, -1
.LBB174_207:
	s_and_not1_b32 vcc_lo, exec_lo, s30
	s_cbranch_vccnz .LBB174_220
; %bb.208:
	s_cmp_gt_i32 s23, 14
	s_cbranch_scc0 .LBB174_211
; %bb.209:
	s_cmp_eq_u32 s23, 15
	s_cbranch_scc0 .LBB174_214
; %bb.210:
	s_wait_loadcnt 0x0
	global_load_u16 v3, v[0:1], off
	s_mov_b32 s25, -1
	s_mov_b32 s26, 0
	s_branch .LBB174_215
.LBB174_211:
	s_mov_b32 s30, -1
                                        ; implicit-def: $vgpr3
	s_branch .LBB174_216
.LBB174_212:
	s_or_saveexec_b32 s30, s30
	v_mov_b32_e32 v4, 0x7f800001
	s_xor_b32 exec_lo, exec_lo, s30
	s_cbranch_execz .LBB174_193
.LBB174_213:
	v_cmp_ne_u16_e32 vcc_lo, 0, v3
	v_mov_b32_e32 v4, 0
	s_and_not1_b32 s25, s25, exec_lo
	s_and_b32 s31, vcc_lo, exec_lo
	s_delay_alu instid0(SALU_CYCLE_1)
	s_or_b32 s25, s25, s31
	s_or_b32 exec_lo, exec_lo, s30
	s_and_saveexec_b32 s30, s25
	s_cbranch_execnz .LBB174_194
	s_branch .LBB174_195
.LBB174_214:
	s_mov_b32 s26, -1
                                        ; implicit-def: $vgpr3
.LBB174_215:
	s_mov_b32 s30, 0
.LBB174_216:
	s_delay_alu instid0(SALU_CYCLE_1)
	s_and_b32 vcc_lo, exec_lo, s30
	s_cbranch_vccz .LBB174_220
; %bb.217:
	s_cmp_eq_u32 s23, 11
	s_cbranch_scc0 .LBB174_219
; %bb.218:
	s_wait_loadcnt 0x0
	global_load_u8 v3, v[0:1], off
	s_mov_b32 s26, 0
	s_mov_b32 s25, -1
	s_wait_loadcnt 0x0
	v_cmp_ne_u16_e32 vcc_lo, 0, v3
	v_cndmask_b32_e64 v3, 0, 1.0, vcc_lo
	s_delay_alu instid0(VALU_DEP_1)
	v_lshrrev_b32_e32 v3, 16, v3
	s_branch .LBB174_220
.LBB174_219:
	s_mov_b32 s26, -1
                                        ; implicit-def: $vgpr3
.LBB174_220:
	s_branch .LBB174_20
.LBB174_221:
	s_and_b32 s0, 0xffff, s0
	s_delay_alu instid0(SALU_CYCLE_1)
	s_cmp_lt_i32 s0, 5
	s_cbranch_scc1 .LBB174_226
; %bb.222:
	s_cmp_lt_i32 s0, 8
	s_cbranch_scc1 .LBB174_227
; %bb.223:
	;; [unrolled: 3-line block ×3, first 2 shown]
	s_cmp_gt_i32 s0, 9
	s_cbranch_scc0 .LBB174_229
; %bb.225:
	global_load_b64 v[4:5], v[0:1], off
	s_mov_b32 s23, 0
	s_wait_loadcnt 0x0
	v_cvt_f32_f64_e32 v3, v[4:5]
	s_delay_alu instid0(VALU_DEP_1) | instskip(SKIP_1) | instid1(VALU_DEP_2)
	v_bfe_u32 v4, v3, 16, 1
	v_cmp_o_f32_e32 vcc_lo, v3, v3
	v_add3_u32 v4, v3, v4, 0x7fff
	s_delay_alu instid0(VALU_DEP_1) | instskip(NEXT) | instid1(VALU_DEP_1)
	v_lshrrev_b32_e32 v4, 16, v4
	v_cndmask_b32_e32 v3, 0x7fc0, v4, vcc_lo
	s_branch .LBB174_230
.LBB174_226:
	s_mov_b32 s23, -1
                                        ; implicit-def: $vgpr3
	s_branch .LBB174_248
.LBB174_227:
	s_mov_b32 s23, -1
                                        ; implicit-def: $vgpr3
	s_branch .LBB174_236
.LBB174_228:
	s_mov_b32 s23, -1
                                        ; implicit-def: $vgpr3
	s_branch .LBB174_233
.LBB174_229:
	s_mov_b32 s23, -1
                                        ; implicit-def: $vgpr3
.LBB174_230:
	s_delay_alu instid0(SALU_CYCLE_1)
	s_and_not1_b32 vcc_lo, exec_lo, s23
	s_cbranch_vccnz .LBB174_232
; %bb.231:
	s_wait_loadcnt 0x0
	global_load_b32 v3, v[0:1], off
	s_wait_loadcnt 0x0
	v_bfe_u32 v4, v3, 16, 1
	v_cmp_o_f32_e32 vcc_lo, v3, v3
	s_delay_alu instid0(VALU_DEP_2) | instskip(NEXT) | instid1(VALU_DEP_1)
	v_add3_u32 v4, v3, v4, 0x7fff
	v_lshrrev_b32_e32 v4, 16, v4
	s_delay_alu instid0(VALU_DEP_1)
	v_cndmask_b32_e32 v3, 0x7fc0, v4, vcc_lo
.LBB174_232:
	s_mov_b32 s23, 0
.LBB174_233:
	s_delay_alu instid0(SALU_CYCLE_1)
	s_and_not1_b32 vcc_lo, exec_lo, s23
	s_cbranch_vccnz .LBB174_235
; %bb.234:
	s_wait_loadcnt 0x0
	global_load_b32 v3, v[0:1], off
	s_wait_loadcnt 0x0
	v_cvt_f32_f16_e32 v4, v3
	v_cmp_o_f16_e32 vcc_lo, v3, v3
	s_delay_alu instid0(VALU_DEP_2) | instskip(NEXT) | instid1(VALU_DEP_1)
	v_bfe_u32 v5, v4, 16, 1
	v_add3_u32 v4, v4, v5, 0x7fff
	s_delay_alu instid0(VALU_DEP_1) | instskip(NEXT) | instid1(VALU_DEP_1)
	v_lshrrev_b32_e32 v4, 16, v4
	v_cndmask_b32_e32 v3, 0x7fc0, v4, vcc_lo
.LBB174_235:
	s_mov_b32 s23, 0
.LBB174_236:
	s_delay_alu instid0(SALU_CYCLE_1)
	s_and_not1_b32 vcc_lo, exec_lo, s23
	s_cbranch_vccnz .LBB174_247
; %bb.237:
	s_cmp_lt_i32 s0, 6
	s_cbranch_scc1 .LBB174_240
; %bb.238:
	s_cmp_gt_i32 s0, 6
	s_cbranch_scc0 .LBB174_241
; %bb.239:
	global_load_b64 v[4:5], v[0:1], off
	s_mov_b32 s23, 0
	s_wait_loadcnt 0x0
	v_cvt_f32_f64_e32 v3, v[4:5]
	s_delay_alu instid0(VALU_DEP_1) | instskip(SKIP_1) | instid1(VALU_DEP_2)
	v_bfe_u32 v4, v3, 16, 1
	v_cmp_o_f32_e32 vcc_lo, v3, v3
	v_add3_u32 v4, v3, v4, 0x7fff
	s_delay_alu instid0(VALU_DEP_1) | instskip(NEXT) | instid1(VALU_DEP_1)
	v_lshrrev_b32_e32 v4, 16, v4
	v_cndmask_b32_e32 v3, 0x7fc0, v4, vcc_lo
	s_branch .LBB174_242
.LBB174_240:
	s_mov_b32 s23, -1
                                        ; implicit-def: $vgpr3
	s_branch .LBB174_245
.LBB174_241:
	s_mov_b32 s23, -1
                                        ; implicit-def: $vgpr3
.LBB174_242:
	s_delay_alu instid0(SALU_CYCLE_1)
	s_and_not1_b32 vcc_lo, exec_lo, s23
	s_cbranch_vccnz .LBB174_244
; %bb.243:
	s_wait_loadcnt 0x0
	global_load_b32 v3, v[0:1], off
	s_wait_loadcnt 0x0
	v_bfe_u32 v4, v3, 16, 1
	v_cmp_o_f32_e32 vcc_lo, v3, v3
	s_delay_alu instid0(VALU_DEP_2) | instskip(NEXT) | instid1(VALU_DEP_1)
	v_add3_u32 v4, v3, v4, 0x7fff
	v_lshrrev_b32_e32 v4, 16, v4
	s_delay_alu instid0(VALU_DEP_1)
	v_cndmask_b32_e32 v3, 0x7fc0, v4, vcc_lo
.LBB174_244:
	s_mov_b32 s23, 0
.LBB174_245:
	s_delay_alu instid0(SALU_CYCLE_1)
	s_and_not1_b32 vcc_lo, exec_lo, s23
	s_cbranch_vccnz .LBB174_247
; %bb.246:
	s_wait_loadcnt 0x0
	global_load_u16 v3, v[0:1], off
	s_wait_loadcnt 0x0
	v_cvt_f32_f16_e32 v4, v3
	v_cmp_o_f16_e32 vcc_lo, v3, v3
	s_delay_alu instid0(VALU_DEP_2) | instskip(NEXT) | instid1(VALU_DEP_1)
	v_bfe_u32 v5, v4, 16, 1
	v_add3_u32 v4, v4, v5, 0x7fff
	s_delay_alu instid0(VALU_DEP_1) | instskip(NEXT) | instid1(VALU_DEP_1)
	v_lshrrev_b32_e32 v4, 16, v4
	v_cndmask_b32_e32 v3, 0x7fc0, v4, vcc_lo
.LBB174_247:
	s_mov_b32 s23, 0
.LBB174_248:
	s_delay_alu instid0(SALU_CYCLE_1)
	s_and_not1_b32 vcc_lo, exec_lo, s23
	s_cbranch_vccnz .LBB174_268
; %bb.249:
	s_cmp_lt_i32 s0, 2
	s_cbranch_scc1 .LBB174_253
; %bb.250:
	s_cmp_lt_i32 s0, 3
	s_cbranch_scc1 .LBB174_254
; %bb.251:
	s_cmp_gt_i32 s0, 3
	s_cbranch_scc0 .LBB174_255
; %bb.252:
	global_load_b64 v[4:5], v[0:1], off
	s_mov_b32 s23, 0
	s_wait_loadcnt 0x0
	v_xor_b32_e32 v3, v4, v5
	v_cls_i32_e32 v6, v5
	s_delay_alu instid0(VALU_DEP_2) | instskip(NEXT) | instid1(VALU_DEP_1)
	v_ashrrev_i32_e32 v3, 31, v3
	v_add_nc_u32_e32 v3, 32, v3
	s_delay_alu instid0(VALU_DEP_1) | instskip(NEXT) | instid1(VALU_DEP_1)
	v_add_min_u32_e64 v3, v6, -1, v3
	v_lshlrev_b64_e32 v[4:5], v3, v[4:5]
	v_sub_nc_u32_e32 v3, 32, v3
	s_delay_alu instid0(VALU_DEP_2) | instskip(NEXT) | instid1(VALU_DEP_1)
	v_min_u32_e32 v4, 1, v4
	v_or_b32_e32 v4, v5, v4
	s_delay_alu instid0(VALU_DEP_1) | instskip(NEXT) | instid1(VALU_DEP_1)
	v_cvt_f32_i32_e32 v4, v4
	v_ldexp_f32 v3, v4, v3
	s_delay_alu instid0(VALU_DEP_1) | instskip(NEXT) | instid1(VALU_DEP_1)
	v_bfe_u32 v4, v3, 16, 1
	v_add3_u32 v3, v3, v4, 0x7fff
	s_delay_alu instid0(VALU_DEP_1)
	v_lshrrev_b32_e32 v3, 16, v3
	s_branch .LBB174_256
.LBB174_253:
	s_mov_b32 s23, -1
                                        ; implicit-def: $vgpr3
	s_branch .LBB174_262
.LBB174_254:
	s_mov_b32 s23, -1
                                        ; implicit-def: $vgpr3
	s_branch .LBB174_259
.LBB174_255:
	s_mov_b32 s23, -1
                                        ; implicit-def: $vgpr3
.LBB174_256:
	s_delay_alu instid0(SALU_CYCLE_1)
	s_and_not1_b32 vcc_lo, exec_lo, s23
	s_cbranch_vccnz .LBB174_258
; %bb.257:
	s_wait_loadcnt 0x0
	global_load_b32 v3, v[0:1], off
	s_wait_loadcnt 0x0
	v_cvt_f32_i32_e32 v3, v3
	s_delay_alu instid0(VALU_DEP_1) | instskip(NEXT) | instid1(VALU_DEP_1)
	v_bfe_u32 v4, v3, 16, 1
	v_add3_u32 v3, v3, v4, 0x7fff
	s_delay_alu instid0(VALU_DEP_1)
	v_lshrrev_b32_e32 v3, 16, v3
.LBB174_258:
	s_mov_b32 s23, 0
.LBB174_259:
	s_delay_alu instid0(SALU_CYCLE_1)
	s_and_not1_b32 vcc_lo, exec_lo, s23
	s_cbranch_vccnz .LBB174_261
; %bb.260:
	s_wait_loadcnt 0x0
	global_load_i16 v3, v[0:1], off
	s_wait_loadcnt 0x0
	v_cvt_f32_i32_e32 v3, v3
	s_delay_alu instid0(VALU_DEP_1) | instskip(NEXT) | instid1(VALU_DEP_1)
	v_bfe_u32 v4, v3, 16, 1
	v_add3_u32 v3, v3, v4, 0x7fff
	s_delay_alu instid0(VALU_DEP_1)
	v_lshrrev_b32_e32 v3, 16, v3
.LBB174_261:
	s_mov_b32 s23, 0
.LBB174_262:
	s_delay_alu instid0(SALU_CYCLE_1)
	s_and_not1_b32 vcc_lo, exec_lo, s23
	s_cbranch_vccnz .LBB174_268
; %bb.263:
	s_cmp_gt_i32 s0, 0
	s_mov_b32 s0, 0
	s_cbranch_scc0 .LBB174_265
; %bb.264:
	s_wait_loadcnt 0x0
	global_load_i8 v3, v[0:1], off
	s_wait_loadcnt 0x0
	v_cvt_f32_i32_e32 v3, v3
	s_delay_alu instid0(VALU_DEP_1) | instskip(NEXT) | instid1(VALU_DEP_1)
	v_bfe_u32 v4, v3, 16, 1
	v_add3_u32 v3, v3, v4, 0x7fff
	s_delay_alu instid0(VALU_DEP_1)
	v_lshrrev_b32_e32 v3, 16, v3
	s_branch .LBB174_266
.LBB174_265:
	s_mov_b32 s0, -1
                                        ; implicit-def: $vgpr3
.LBB174_266:
	s_delay_alu instid0(SALU_CYCLE_1)
	s_and_not1_b32 vcc_lo, exec_lo, s0
	s_cbranch_vccnz .LBB174_268
; %bb.267:
	global_load_u8 v0, v[0:1], off
	s_wait_loadcnt 0x0
	v_cvt_f32_ubyte0_e32 v0, v0
	s_delay_alu instid0(VALU_DEP_1) | instskip(NEXT) | instid1(VALU_DEP_1)
	v_bfe_u32 v1, v0, 16, 1
	v_add3_u32 v0, v0, v1, 0x7fff
	s_delay_alu instid0(VALU_DEP_1)
	v_lshrrev_b32_e32 v3, 16, v0
.LBB174_268:
	s_branch .LBB174_21
.LBB174_269:
	s_mov_b32 s0, 0
	s_mov_b32 s25, 0
	s_branch .LBB174_510
.LBB174_270:
	s_mov_b32 s25, -1
.LBB174_271:
	s_mov_b32 s23, 0
                                        ; implicit-def: $vgpr4
.LBB174_272:
	s_and_b32 vcc_lo, exec_lo, s30
	s_cbranch_vccz .LBB174_276
; %bb.273:
	s_cmp_eq_u32 s0, 44
	s_cbranch_scc0 .LBB174_275
; %bb.274:
	s_wait_loadcnt 0x0
	global_load_u8 v4, v[0:1], off
	s_mov_b32 s25, 0
	s_mov_b32 s23, -1
	s_wait_loadcnt 0x0
	v_lshlrev_b32_e32 v5, 23, v4
	v_cmp_ne_u32_e32 vcc_lo, 0xff, v4
	s_delay_alu instid0(VALU_DEP_2) | instskip(SKIP_1) | instid1(VALU_DEP_2)
	v_cndmask_b32_e32 v5, 0x7f800001, v5, vcc_lo
	v_cmp_ne_u32_e32 vcc_lo, 0, v4
	v_cndmask_b32_e32 v4, 0x400000, v5, vcc_lo
	s_delay_alu instid0(VALU_DEP_1) | instskip(NEXT) | instid1(VALU_DEP_1)
	v_add_nc_u32_e32 v5, 0x7fff, v4
	v_lshrrev_b32_e32 v5, 16, v5
	v_cmp_o_f32_e32 vcc_lo, v4, v4
	s_delay_alu instid0(VALU_DEP_2)
	v_cndmask_b32_e32 v4, 0x7fc0, v5, vcc_lo
	s_branch .LBB174_276
.LBB174_275:
	s_mov_b32 s25, -1
                                        ; implicit-def: $vgpr4
.LBB174_276:
	s_mov_b32 s30, 0
.LBB174_277:
	s_delay_alu instid0(SALU_CYCLE_1)
	s_and_b32 vcc_lo, exec_lo, s30
	s_cbranch_vccz .LBB174_281
; %bb.278:
	s_cmp_eq_u32 s0, 29
	s_cbranch_scc0 .LBB174_280
; %bb.279:
	s_wait_loadcnt 0x0
	global_load_b64 v[4:5], v[0:1], off
	s_mov_b32 s23, -1
	s_mov_b32 s25, 0
	s_mov_b32 s30, 0
	s_wait_loadcnt 0x0
	v_clz_i32_u32_e32 v6, v5
	s_delay_alu instid0(VALU_DEP_1) | instskip(NEXT) | instid1(VALU_DEP_1)
	v_min_u32_e32 v6, 32, v6
	v_lshlrev_b64_e32 v[4:5], v6, v[4:5]
	s_delay_alu instid0(VALU_DEP_1) | instskip(NEXT) | instid1(VALU_DEP_1)
	v_min_u32_e32 v4, 1, v4
	v_dual_sub_nc_u32 v5, 32, v6 :: v_dual_bitop2_b32 v4, v5, v4 bitop3:0x54
	s_delay_alu instid0(VALU_DEP_1) | instskip(NEXT) | instid1(VALU_DEP_1)
	v_cvt_f32_u32_e32 v4, v4
	v_ldexp_f32 v4, v4, v5
	s_delay_alu instid0(VALU_DEP_1) | instskip(NEXT) | instid1(VALU_DEP_1)
	v_bfe_u32 v5, v4, 16, 1
	v_add3_u32 v4, v4, v5, 0x7fff
	s_delay_alu instid0(VALU_DEP_1)
	v_lshrrev_b32_e32 v4, 16, v4
	s_branch .LBB174_282
.LBB174_280:
	s_mov_b32 s25, -1
                                        ; implicit-def: $vgpr4
.LBB174_281:
	s_mov_b32 s30, 0
.LBB174_282:
	s_delay_alu instid0(SALU_CYCLE_1)
	s_and_b32 vcc_lo, exec_lo, s30
	s_cbranch_vccz .LBB174_300
; %bb.283:
	s_cmp_lt_i32 s0, 27
	s_cbranch_scc1 .LBB174_286
; %bb.284:
	s_cmp_gt_i32 s0, 27
	s_cbranch_scc0 .LBB174_287
; %bb.285:
	s_wait_loadcnt 0x0
	global_load_b32 v4, v[0:1], off
	s_mov_b32 s23, 0
	s_wait_loadcnt 0x0
	v_cvt_f32_u32_e32 v4, v4
	s_delay_alu instid0(VALU_DEP_1) | instskip(NEXT) | instid1(VALU_DEP_1)
	v_bfe_u32 v5, v4, 16, 1
	v_add3_u32 v4, v4, v5, 0x7fff
	s_delay_alu instid0(VALU_DEP_1)
	v_lshrrev_b32_e32 v4, 16, v4
	s_branch .LBB174_288
.LBB174_286:
	s_mov_b32 s23, -1
                                        ; implicit-def: $vgpr4
	s_branch .LBB174_291
.LBB174_287:
	s_mov_b32 s23, -1
                                        ; implicit-def: $vgpr4
.LBB174_288:
	s_delay_alu instid0(SALU_CYCLE_1)
	s_and_not1_b32 vcc_lo, exec_lo, s23
	s_cbranch_vccnz .LBB174_290
; %bb.289:
	s_wait_loadcnt 0x0
	global_load_u16 v4, v[0:1], off
	s_wait_loadcnt 0x0
	v_cvt_f32_u32_e32 v4, v4
	s_delay_alu instid0(VALU_DEP_1) | instskip(NEXT) | instid1(VALU_DEP_1)
	v_bfe_u32 v5, v4, 16, 1
	v_add3_u32 v4, v4, v5, 0x7fff
	s_delay_alu instid0(VALU_DEP_1)
	v_lshrrev_b32_e32 v4, 16, v4
.LBB174_290:
	s_mov_b32 s23, 0
.LBB174_291:
	s_delay_alu instid0(SALU_CYCLE_1)
	s_and_not1_b32 vcc_lo, exec_lo, s23
	s_cbranch_vccnz .LBB174_299
; %bb.292:
	s_wait_loadcnt 0x0
	global_load_u8 v4, v[0:1], off
	s_mov_b32 s23, 0
	s_mov_b32 s30, exec_lo
	s_wait_loadcnt 0x0
	v_cmpx_lt_i16_e32 0x7f, v4
	s_xor_b32 s30, exec_lo, s30
	s_cbranch_execz .LBB174_313
; %bb.293:
	s_mov_b32 s23, -1
	s_mov_b32 s31, exec_lo
	v_cmpx_eq_u16_e32 0x80, v4
; %bb.294:
	s_xor_b32 s23, exec_lo, -1
; %bb.295:
	s_or_b32 exec_lo, exec_lo, s31
	s_delay_alu instid0(SALU_CYCLE_1)
	s_and_b32 s23, s23, exec_lo
	s_or_saveexec_b32 s30, s30
	v_mov_b32_e32 v5, 0x7f800001
	s_xor_b32 exec_lo, exec_lo, s30
	s_cbranch_execnz .LBB174_314
.LBB174_296:
	s_or_b32 exec_lo, exec_lo, s30
	s_and_saveexec_b32 s30, s23
	s_cbranch_execz .LBB174_298
.LBB174_297:
	v_and_b32_e32 v5, 0xffff, v4
	s_delay_alu instid0(VALU_DEP_1) | instskip(SKIP_1) | instid1(VALU_DEP_2)
	v_and_b32_e32 v6, 7, v5
	v_bfe_u32 v10, v5, 3, 4
	v_clz_i32_u32_e32 v7, v6
	s_delay_alu instid0(VALU_DEP_2) | instskip(NEXT) | instid1(VALU_DEP_2)
	v_cmp_eq_u32_e32 vcc_lo, 0, v10
	v_min_u32_e32 v7, 32, v7
	s_delay_alu instid0(VALU_DEP_1) | instskip(NEXT) | instid1(VALU_DEP_1)
	v_subrev_nc_u32_e32 v9, 28, v7
	v_dual_lshlrev_b32 v5, v9, v5 :: v_dual_sub_nc_u32 v7, 29, v7
	s_delay_alu instid0(VALU_DEP_1) | instskip(NEXT) | instid1(VALU_DEP_2)
	v_dual_lshlrev_b32 v4, 24, v4 :: v_dual_bitop2_b32 v5, 7, v5 bitop3:0x40
	v_cndmask_b32_e32 v7, v10, v7, vcc_lo
	s_delay_alu instid0(VALU_DEP_2) | instskip(NEXT) | instid1(VALU_DEP_3)
	v_cndmask_b32_e32 v5, v6, v5, vcc_lo
	v_and_b32_e32 v4, 0x80000000, v4
	s_delay_alu instid0(VALU_DEP_3) | instskip(NEXT) | instid1(VALU_DEP_3)
	v_lshl_add_u32 v6, v7, 23, 0x3b800000
	v_lshlrev_b32_e32 v5, 20, v5
	s_delay_alu instid0(VALU_DEP_1)
	v_or3_b32 v5, v4, v6, v5
.LBB174_298:
	s_or_b32 exec_lo, exec_lo, s30
	s_delay_alu instid0(VALU_DEP_1) | instskip(SKIP_1) | instid1(VALU_DEP_2)
	v_bfe_u32 v4, v5, 16, 1
	v_cmp_o_f32_e32 vcc_lo, v5, v5
	v_add3_u32 v4, v5, v4, 0x7fff
	s_delay_alu instid0(VALU_DEP_1) | instskip(NEXT) | instid1(VALU_DEP_1)
	v_lshrrev_b32_e32 v4, 16, v4
	v_cndmask_b32_e32 v4, 0x7fc0, v4, vcc_lo
.LBB174_299:
	s_mov_b32 s23, -1
.LBB174_300:
	s_mov_b32 s30, 0
.LBB174_301:
	s_delay_alu instid0(SALU_CYCLE_1)
	s_and_b32 vcc_lo, exec_lo, s30
	s_cbranch_vccz .LBB174_336
; %bb.302:
	s_cmp_gt_i32 s0, 22
	s_cbranch_scc0 .LBB174_312
; %bb.303:
	s_cmp_lt_i32 s0, 24
	s_cbranch_scc1 .LBB174_315
; %bb.304:
	s_cmp_gt_i32 s0, 24
	s_cbranch_scc0 .LBB174_316
; %bb.305:
	s_wait_loadcnt 0x0
	global_load_u8 v4, v[0:1], off
	s_mov_b32 s23, 0
	s_mov_b32 s30, exec_lo
	s_wait_loadcnt 0x0
	v_cmpx_lt_i16_e32 0x7f, v4
	s_xor_b32 s30, exec_lo, s30
	s_cbranch_execz .LBB174_328
; %bb.306:
	s_mov_b32 s23, -1
	s_mov_b32 s31, exec_lo
	v_cmpx_eq_u16_e32 0x80, v4
; %bb.307:
	s_xor_b32 s23, exec_lo, -1
; %bb.308:
	s_or_b32 exec_lo, exec_lo, s31
	s_delay_alu instid0(SALU_CYCLE_1)
	s_and_b32 s23, s23, exec_lo
	s_or_saveexec_b32 s30, s30
	v_mov_b32_e32 v5, 0x7f800001
	s_xor_b32 exec_lo, exec_lo, s30
	s_cbranch_execnz .LBB174_329
.LBB174_309:
	s_or_b32 exec_lo, exec_lo, s30
	s_and_saveexec_b32 s30, s23
	s_cbranch_execz .LBB174_311
.LBB174_310:
	v_and_b32_e32 v5, 0xffff, v4
	s_delay_alu instid0(VALU_DEP_1) | instskip(SKIP_1) | instid1(VALU_DEP_2)
	v_and_b32_e32 v6, 3, v5
	v_bfe_u32 v10, v5, 2, 5
	v_clz_i32_u32_e32 v7, v6
	s_delay_alu instid0(VALU_DEP_2) | instskip(NEXT) | instid1(VALU_DEP_2)
	v_cmp_eq_u32_e32 vcc_lo, 0, v10
	v_min_u32_e32 v7, 32, v7
	s_delay_alu instid0(VALU_DEP_1) | instskip(NEXT) | instid1(VALU_DEP_1)
	v_subrev_nc_u32_e32 v9, 29, v7
	v_dual_lshlrev_b32 v5, v9, v5 :: v_dual_sub_nc_u32 v7, 30, v7
	s_delay_alu instid0(VALU_DEP_1) | instskip(NEXT) | instid1(VALU_DEP_2)
	v_dual_lshlrev_b32 v4, 24, v4 :: v_dual_bitop2_b32 v5, 3, v5 bitop3:0x40
	v_cndmask_b32_e32 v7, v10, v7, vcc_lo
	s_delay_alu instid0(VALU_DEP_2) | instskip(NEXT) | instid1(VALU_DEP_3)
	v_cndmask_b32_e32 v5, v6, v5, vcc_lo
	v_and_b32_e32 v4, 0x80000000, v4
	s_delay_alu instid0(VALU_DEP_3) | instskip(NEXT) | instid1(VALU_DEP_3)
	v_lshl_add_u32 v6, v7, 23, 0x37800000
	v_lshlrev_b32_e32 v5, 21, v5
	s_delay_alu instid0(VALU_DEP_1)
	v_or3_b32 v5, v4, v6, v5
.LBB174_311:
	s_or_b32 exec_lo, exec_lo, s30
	s_delay_alu instid0(VALU_DEP_1) | instskip(SKIP_2) | instid1(VALU_DEP_2)
	v_bfe_u32 v4, v5, 16, 1
	v_cmp_o_f32_e32 vcc_lo, v5, v5
	s_mov_b32 s23, 0
	v_add3_u32 v4, v5, v4, 0x7fff
	s_delay_alu instid0(VALU_DEP_1) | instskip(NEXT) | instid1(VALU_DEP_1)
	v_lshrrev_b32_e32 v4, 16, v4
	v_cndmask_b32_e32 v4, 0x7fc0, v4, vcc_lo
	s_branch .LBB174_317
.LBB174_312:
	s_mov_b32 s30, -1
                                        ; implicit-def: $vgpr4
	s_branch .LBB174_323
.LBB174_313:
	s_or_saveexec_b32 s30, s30
	v_mov_b32_e32 v5, 0x7f800001
	s_xor_b32 exec_lo, exec_lo, s30
	s_cbranch_execz .LBB174_296
.LBB174_314:
	v_cmp_ne_u16_e32 vcc_lo, 0, v4
	v_mov_b32_e32 v5, 0
	s_and_not1_b32 s23, s23, exec_lo
	s_and_b32 s31, vcc_lo, exec_lo
	s_delay_alu instid0(SALU_CYCLE_1)
	s_or_b32 s23, s23, s31
	s_or_b32 exec_lo, exec_lo, s30
	s_and_saveexec_b32 s30, s23
	s_cbranch_execnz .LBB174_297
	s_branch .LBB174_298
.LBB174_315:
	s_mov_b32 s23, -1
                                        ; implicit-def: $vgpr4
	s_branch .LBB174_320
.LBB174_316:
	s_mov_b32 s23, -1
                                        ; implicit-def: $vgpr4
.LBB174_317:
	s_delay_alu instid0(SALU_CYCLE_1)
	s_and_b32 vcc_lo, exec_lo, s23
	s_cbranch_vccz .LBB174_319
; %bb.318:
	s_wait_loadcnt 0x0
	global_load_u8 v4, v[0:1], off
	s_wait_loadcnt 0x0
	v_lshlrev_b32_e32 v4, 24, v4
	s_delay_alu instid0(VALU_DEP_1) | instskip(NEXT) | instid1(VALU_DEP_1)
	v_and_b32_e32 v5, 0x7f000000, v4
	v_clz_i32_u32_e32 v6, v5
	v_add_nc_u32_e32 v9, 0x1000000, v5
	v_cmp_ne_u32_e32 vcc_lo, 0, v5
	s_delay_alu instid0(VALU_DEP_3) | instskip(NEXT) | instid1(VALU_DEP_1)
	v_min_u32_e32 v6, 32, v6
	v_sub_nc_u32_e64 v6, v6, 4 clamp
	s_delay_alu instid0(VALU_DEP_1) | instskip(NEXT) | instid1(VALU_DEP_1)
	v_dual_lshlrev_b32 v7, v6, v5 :: v_dual_lshlrev_b32 v6, 23, v6
	v_lshrrev_b32_e32 v7, 4, v7
	s_delay_alu instid0(VALU_DEP_1) | instskip(NEXT) | instid1(VALU_DEP_1)
	v_dual_sub_nc_u32 v6, v7, v6 :: v_dual_ashrrev_i32 v7, 8, v9
	v_add_nc_u32_e32 v6, 0x3c000000, v6
	s_delay_alu instid0(VALU_DEP_1) | instskip(NEXT) | instid1(VALU_DEP_1)
	v_and_or_b32 v6, 0x7f800000, v7, v6
	v_cndmask_b32_e32 v5, 0, v6, vcc_lo
	s_delay_alu instid0(VALU_DEP_1) | instskip(SKIP_1) | instid1(VALU_DEP_2)
	v_and_or_b32 v4, 0x80000000, v4, v5
	v_bfe_u32 v5, v5, 16, 1
	v_cmp_o_f32_e32 vcc_lo, v4, v4
	s_delay_alu instid0(VALU_DEP_2) | instskip(NEXT) | instid1(VALU_DEP_1)
	v_add3_u32 v5, v4, v5, 0x7fff
	v_lshrrev_b32_e32 v5, 16, v5
	s_delay_alu instid0(VALU_DEP_1)
	v_cndmask_b32_e32 v4, 0x7fc0, v5, vcc_lo
.LBB174_319:
	s_mov_b32 s23, 0
.LBB174_320:
	s_delay_alu instid0(SALU_CYCLE_1)
	s_and_not1_b32 vcc_lo, exec_lo, s23
	s_cbranch_vccnz .LBB174_322
; %bb.321:
	s_wait_loadcnt 0x0
	global_load_u8 v4, v[0:1], off
	s_wait_loadcnt 0x0
	v_lshlrev_b32_e32 v5, 25, v4
	v_lshlrev_b16 v4, 8, v4
	s_delay_alu instid0(VALU_DEP_1) | instskip(SKIP_1) | instid1(VALU_DEP_2)
	v_and_or_b32 v7, 0x7f00, v4, 0.5
	v_bfe_i32 v4, v4, 0, 16
	v_dual_add_f32 v7, -0.5, v7 :: v_dual_lshrrev_b32 v6, 4, v5
	v_cmp_gt_u32_e32 vcc_lo, 0x8000000, v5
	s_delay_alu instid0(VALU_DEP_2) | instskip(NEXT) | instid1(VALU_DEP_1)
	v_or_b32_e32 v6, 0x70000000, v6
	v_mul_f32_e32 v6, 0x7800000, v6
	s_delay_alu instid0(VALU_DEP_1) | instskip(NEXT) | instid1(VALU_DEP_1)
	v_cndmask_b32_e32 v5, v6, v7, vcc_lo
	v_and_or_b32 v4, 0x80000000, v4, v5
	v_bfe_u32 v5, v5, 16, 1
	s_delay_alu instid0(VALU_DEP_2) | instskip(NEXT) | instid1(VALU_DEP_2)
	v_cmp_o_f32_e32 vcc_lo, v4, v4
	v_add3_u32 v5, v4, v5, 0x7fff
	s_delay_alu instid0(VALU_DEP_1) | instskip(NEXT) | instid1(VALU_DEP_1)
	v_lshrrev_b32_e32 v5, 16, v5
	v_cndmask_b32_e32 v4, 0x7fc0, v5, vcc_lo
.LBB174_322:
	s_mov_b32 s30, 0
	s_mov_b32 s23, -1
.LBB174_323:
	s_and_not1_b32 vcc_lo, exec_lo, s30
	s_cbranch_vccnz .LBB174_336
; %bb.324:
	s_cmp_gt_i32 s0, 14
	s_cbranch_scc0 .LBB174_327
; %bb.325:
	s_cmp_eq_u32 s0, 15
	s_cbranch_scc0 .LBB174_330
; %bb.326:
	s_wait_loadcnt 0x0
	global_load_u16 v4, v[0:1], off
	s_mov_b32 s23, -1
	s_mov_b32 s25, 0
	s_branch .LBB174_331
.LBB174_327:
	s_mov_b32 s30, -1
                                        ; implicit-def: $vgpr4
	s_branch .LBB174_332
.LBB174_328:
	s_or_saveexec_b32 s30, s30
	v_mov_b32_e32 v5, 0x7f800001
	s_xor_b32 exec_lo, exec_lo, s30
	s_cbranch_execz .LBB174_309
.LBB174_329:
	v_cmp_ne_u16_e32 vcc_lo, 0, v4
	v_mov_b32_e32 v5, 0
	s_and_not1_b32 s23, s23, exec_lo
	s_and_b32 s31, vcc_lo, exec_lo
	s_delay_alu instid0(SALU_CYCLE_1)
	s_or_b32 s23, s23, s31
	s_or_b32 exec_lo, exec_lo, s30
	s_and_saveexec_b32 s30, s23
	s_cbranch_execnz .LBB174_310
	s_branch .LBB174_311
.LBB174_330:
	s_mov_b32 s25, -1
                                        ; implicit-def: $vgpr4
.LBB174_331:
	s_mov_b32 s30, 0
.LBB174_332:
	s_delay_alu instid0(SALU_CYCLE_1)
	s_and_b32 vcc_lo, exec_lo, s30
	s_cbranch_vccz .LBB174_336
; %bb.333:
	s_cmp_eq_u32 s0, 11
	s_cbranch_scc0 .LBB174_335
; %bb.334:
	s_wait_loadcnt 0x0
	global_load_u8 v4, v[0:1], off
	s_mov_b32 s25, 0
	s_mov_b32 s23, -1
	s_wait_loadcnt 0x0
	v_cmp_ne_u16_e32 vcc_lo, 0, v4
	v_cndmask_b32_e64 v4, 0, 1.0, vcc_lo
	s_delay_alu instid0(VALU_DEP_1)
	v_lshrrev_b32_e32 v4, 16, v4
	s_branch .LBB174_336
.LBB174_335:
	s_mov_b32 s25, -1
                                        ; implicit-def: $vgpr4
.LBB174_336:
	s_mov_b32 s30, 0
.LBB174_337:
	s_delay_alu instid0(SALU_CYCLE_1)
	s_and_b32 vcc_lo, exec_lo, s30
	s_cbranch_vccz .LBB174_386
; %bb.338:
	s_cmp_lt_i32 s0, 5
	s_cbranch_scc1 .LBB174_343
; %bb.339:
	s_cmp_lt_i32 s0, 8
	s_cbranch_scc1 .LBB174_344
	;; [unrolled: 3-line block ×3, first 2 shown]
; %bb.341:
	s_cmp_gt_i32 s0, 9
	s_cbranch_scc0 .LBB174_346
; %bb.342:
	s_wait_loadcnt 0x0
	global_load_b64 v[4:5], v[0:1], off
	s_mov_b32 s23, 0
	s_wait_loadcnt 0x0
	v_cvt_f32_f64_e32 v4, v[4:5]
	s_delay_alu instid0(VALU_DEP_1) | instskip(SKIP_1) | instid1(VALU_DEP_2)
	v_bfe_u32 v5, v4, 16, 1
	v_cmp_o_f32_e32 vcc_lo, v4, v4
	v_add3_u32 v5, v4, v5, 0x7fff
	s_delay_alu instid0(VALU_DEP_1) | instskip(NEXT) | instid1(VALU_DEP_1)
	v_lshrrev_b32_e32 v5, 16, v5
	v_cndmask_b32_e32 v4, 0x7fc0, v5, vcc_lo
	s_branch .LBB174_347
.LBB174_343:
	s_mov_b32 s23, -1
                                        ; implicit-def: $vgpr4
	s_branch .LBB174_365
.LBB174_344:
	s_mov_b32 s23, -1
                                        ; implicit-def: $vgpr4
	s_branch .LBB174_353
.LBB174_345:
	s_mov_b32 s23, -1
                                        ; implicit-def: $vgpr4
	s_branch .LBB174_350
.LBB174_346:
	s_mov_b32 s23, -1
                                        ; implicit-def: $vgpr4
.LBB174_347:
	s_delay_alu instid0(SALU_CYCLE_1)
	s_and_not1_b32 vcc_lo, exec_lo, s23
	s_cbranch_vccnz .LBB174_349
; %bb.348:
	s_wait_loadcnt 0x0
	global_load_b32 v4, v[0:1], off
	s_wait_loadcnt 0x0
	v_bfe_u32 v5, v4, 16, 1
	v_cmp_o_f32_e32 vcc_lo, v4, v4
	s_delay_alu instid0(VALU_DEP_2) | instskip(NEXT) | instid1(VALU_DEP_1)
	v_add3_u32 v5, v4, v5, 0x7fff
	v_lshrrev_b32_e32 v5, 16, v5
	s_delay_alu instid0(VALU_DEP_1)
	v_cndmask_b32_e32 v4, 0x7fc0, v5, vcc_lo
.LBB174_349:
	s_mov_b32 s23, 0
.LBB174_350:
	s_delay_alu instid0(SALU_CYCLE_1)
	s_and_not1_b32 vcc_lo, exec_lo, s23
	s_cbranch_vccnz .LBB174_352
; %bb.351:
	s_wait_loadcnt 0x0
	global_load_b32 v4, v[0:1], off
	s_wait_loadcnt 0x0
	v_cvt_f32_f16_e32 v5, v4
	v_cmp_o_f16_e32 vcc_lo, v4, v4
	s_delay_alu instid0(VALU_DEP_2) | instskip(NEXT) | instid1(VALU_DEP_1)
	v_bfe_u32 v6, v5, 16, 1
	v_add3_u32 v5, v5, v6, 0x7fff
	s_delay_alu instid0(VALU_DEP_1) | instskip(NEXT) | instid1(VALU_DEP_1)
	v_lshrrev_b32_e32 v5, 16, v5
	v_cndmask_b32_e32 v4, 0x7fc0, v5, vcc_lo
.LBB174_352:
	s_mov_b32 s23, 0
.LBB174_353:
	s_delay_alu instid0(SALU_CYCLE_1)
	s_and_not1_b32 vcc_lo, exec_lo, s23
	s_cbranch_vccnz .LBB174_364
; %bb.354:
	s_cmp_lt_i32 s0, 6
	s_cbranch_scc1 .LBB174_357
; %bb.355:
	s_cmp_gt_i32 s0, 6
	s_cbranch_scc0 .LBB174_358
; %bb.356:
	s_wait_loadcnt 0x0
	global_load_b64 v[4:5], v[0:1], off
	s_mov_b32 s23, 0
	s_wait_loadcnt 0x0
	v_cvt_f32_f64_e32 v4, v[4:5]
	s_delay_alu instid0(VALU_DEP_1) | instskip(SKIP_1) | instid1(VALU_DEP_2)
	v_bfe_u32 v5, v4, 16, 1
	v_cmp_o_f32_e32 vcc_lo, v4, v4
	v_add3_u32 v5, v4, v5, 0x7fff
	s_delay_alu instid0(VALU_DEP_1) | instskip(NEXT) | instid1(VALU_DEP_1)
	v_lshrrev_b32_e32 v5, 16, v5
	v_cndmask_b32_e32 v4, 0x7fc0, v5, vcc_lo
	s_branch .LBB174_359
.LBB174_357:
	s_mov_b32 s23, -1
                                        ; implicit-def: $vgpr4
	s_branch .LBB174_362
.LBB174_358:
	s_mov_b32 s23, -1
                                        ; implicit-def: $vgpr4
.LBB174_359:
	s_delay_alu instid0(SALU_CYCLE_1)
	s_and_not1_b32 vcc_lo, exec_lo, s23
	s_cbranch_vccnz .LBB174_361
; %bb.360:
	s_wait_loadcnt 0x0
	global_load_b32 v4, v[0:1], off
	s_wait_loadcnt 0x0
	v_bfe_u32 v5, v4, 16, 1
	v_cmp_o_f32_e32 vcc_lo, v4, v4
	s_delay_alu instid0(VALU_DEP_2) | instskip(NEXT) | instid1(VALU_DEP_1)
	v_add3_u32 v5, v4, v5, 0x7fff
	v_lshrrev_b32_e32 v5, 16, v5
	s_delay_alu instid0(VALU_DEP_1)
	v_cndmask_b32_e32 v4, 0x7fc0, v5, vcc_lo
.LBB174_361:
	s_mov_b32 s23, 0
.LBB174_362:
	s_delay_alu instid0(SALU_CYCLE_1)
	s_and_not1_b32 vcc_lo, exec_lo, s23
	s_cbranch_vccnz .LBB174_364
; %bb.363:
	s_wait_loadcnt 0x0
	global_load_u16 v4, v[0:1], off
	s_wait_loadcnt 0x0
	v_cvt_f32_f16_e32 v5, v4
	v_cmp_o_f16_e32 vcc_lo, v4, v4
	s_delay_alu instid0(VALU_DEP_2) | instskip(NEXT) | instid1(VALU_DEP_1)
	v_bfe_u32 v6, v5, 16, 1
	v_add3_u32 v5, v5, v6, 0x7fff
	s_delay_alu instid0(VALU_DEP_1) | instskip(NEXT) | instid1(VALU_DEP_1)
	v_lshrrev_b32_e32 v5, 16, v5
	v_cndmask_b32_e32 v4, 0x7fc0, v5, vcc_lo
.LBB174_364:
	s_mov_b32 s23, 0
.LBB174_365:
	s_delay_alu instid0(SALU_CYCLE_1)
	s_and_not1_b32 vcc_lo, exec_lo, s23
	s_cbranch_vccnz .LBB174_385
; %bb.366:
	s_cmp_lt_i32 s0, 2
	s_cbranch_scc1 .LBB174_370
; %bb.367:
	s_cmp_lt_i32 s0, 3
	s_cbranch_scc1 .LBB174_371
; %bb.368:
	s_cmp_gt_i32 s0, 3
	s_cbranch_scc0 .LBB174_372
; %bb.369:
	s_wait_loadcnt 0x0
	global_load_b64 v[4:5], v[0:1], off
	s_mov_b32 s23, 0
	s_wait_loadcnt 0x0
	v_xor_b32_e32 v6, v4, v5
	v_cls_i32_e32 v7, v5
	s_delay_alu instid0(VALU_DEP_2) | instskip(NEXT) | instid1(VALU_DEP_1)
	v_ashrrev_i32_e32 v6, 31, v6
	v_add_nc_u32_e32 v6, 32, v6
	s_delay_alu instid0(VALU_DEP_1) | instskip(NEXT) | instid1(VALU_DEP_1)
	v_add_min_u32_e64 v6, v7, -1, v6
	v_lshlrev_b64_e32 v[4:5], v6, v[4:5]
	s_delay_alu instid0(VALU_DEP_1) | instskip(NEXT) | instid1(VALU_DEP_1)
	v_min_u32_e32 v4, 1, v4
	v_dual_sub_nc_u32 v5, 32, v6 :: v_dual_bitop2_b32 v4, v5, v4 bitop3:0x54
	s_delay_alu instid0(VALU_DEP_1) | instskip(NEXT) | instid1(VALU_DEP_1)
	v_cvt_f32_i32_e32 v4, v4
	v_ldexp_f32 v4, v4, v5
	s_delay_alu instid0(VALU_DEP_1) | instskip(NEXT) | instid1(VALU_DEP_1)
	v_bfe_u32 v5, v4, 16, 1
	v_add3_u32 v4, v4, v5, 0x7fff
	s_delay_alu instid0(VALU_DEP_1)
	v_lshrrev_b32_e32 v4, 16, v4
	s_branch .LBB174_373
.LBB174_370:
	s_mov_b32 s23, -1
                                        ; implicit-def: $vgpr4
	s_branch .LBB174_379
.LBB174_371:
	s_mov_b32 s23, -1
                                        ; implicit-def: $vgpr4
	s_branch .LBB174_376
.LBB174_372:
	s_mov_b32 s23, -1
                                        ; implicit-def: $vgpr4
.LBB174_373:
	s_delay_alu instid0(SALU_CYCLE_1)
	s_and_not1_b32 vcc_lo, exec_lo, s23
	s_cbranch_vccnz .LBB174_375
; %bb.374:
	s_wait_loadcnt 0x0
	global_load_b32 v4, v[0:1], off
	s_wait_loadcnt 0x0
	v_cvt_f32_i32_e32 v4, v4
	s_delay_alu instid0(VALU_DEP_1) | instskip(NEXT) | instid1(VALU_DEP_1)
	v_bfe_u32 v5, v4, 16, 1
	v_add3_u32 v4, v4, v5, 0x7fff
	s_delay_alu instid0(VALU_DEP_1)
	v_lshrrev_b32_e32 v4, 16, v4
.LBB174_375:
	s_mov_b32 s23, 0
.LBB174_376:
	s_delay_alu instid0(SALU_CYCLE_1)
	s_and_not1_b32 vcc_lo, exec_lo, s23
	s_cbranch_vccnz .LBB174_378
; %bb.377:
	s_wait_loadcnt 0x0
	global_load_i16 v4, v[0:1], off
	s_wait_loadcnt 0x0
	v_cvt_f32_i32_e32 v4, v4
	s_delay_alu instid0(VALU_DEP_1) | instskip(NEXT) | instid1(VALU_DEP_1)
	v_bfe_u32 v5, v4, 16, 1
	v_add3_u32 v4, v4, v5, 0x7fff
	s_delay_alu instid0(VALU_DEP_1)
	v_lshrrev_b32_e32 v4, 16, v4
.LBB174_378:
	s_mov_b32 s23, 0
.LBB174_379:
	s_delay_alu instid0(SALU_CYCLE_1)
	s_and_not1_b32 vcc_lo, exec_lo, s23
	s_cbranch_vccnz .LBB174_385
; %bb.380:
	s_cmp_gt_i32 s0, 0
	s_mov_b32 s0, 0
	s_cbranch_scc0 .LBB174_382
; %bb.381:
	s_wait_loadcnt 0x0
	global_load_i8 v4, v[0:1], off
	s_wait_loadcnt 0x0
	v_cvt_f32_i32_e32 v4, v4
	s_delay_alu instid0(VALU_DEP_1) | instskip(NEXT) | instid1(VALU_DEP_1)
	v_bfe_u32 v5, v4, 16, 1
	v_add3_u32 v4, v4, v5, 0x7fff
	s_delay_alu instid0(VALU_DEP_1)
	v_lshrrev_b32_e32 v4, 16, v4
	s_branch .LBB174_383
.LBB174_382:
	s_mov_b32 s0, -1
                                        ; implicit-def: $vgpr4
.LBB174_383:
	s_delay_alu instid0(SALU_CYCLE_1)
	s_and_not1_b32 vcc_lo, exec_lo, s0
	s_cbranch_vccnz .LBB174_385
; %bb.384:
	global_load_u8 v0, v[0:1], off
	s_wait_loadcnt 0x0
	v_cvt_f32_ubyte0_e32 v0, v0
	s_delay_alu instid0(VALU_DEP_1) | instskip(NEXT) | instid1(VALU_DEP_1)
	v_bfe_u32 v1, v0, 16, 1
	v_add3_u32 v0, v0, v1, 0x7fff
	s_delay_alu instid0(VALU_DEP_1)
	v_lshrrev_b32_e32 v4, 16, v0
.LBB174_385:
	s_mov_b32 s23, -1
.LBB174_386:
	s_delay_alu instid0(SALU_CYCLE_1)
	s_and_not1_b32 vcc_lo, exec_lo, s23
	s_cbranch_vccnz .LBB174_394
; %bb.387:
	s_wait_loadcnt 0x0
	v_dual_lshlrev_b32 v0, 16, v3 :: v_dual_lshlrev_b32 v1, 16, v4
	s_and_b32 s23, s3, 0xff
	s_delay_alu instid0(SALU_CYCLE_1) | instskip(NEXT) | instid1(VALU_DEP_1)
	s_cmp_lt_i32 s23, 11
	v_mul_f32_e32 v3, s22, v0
	s_delay_alu instid0(VALU_DEP_1) | instskip(NEXT) | instid1(VALU_DEP_1)
	v_bfe_u32 v0, v3, 16, 1
	v_add3_u32 v0, v3, v0, 0x7fff
	s_delay_alu instid0(VALU_DEP_1) | instskip(SKIP_3) | instid1(VALU_DEP_4)
	v_and_b32_e32 v5, 0xffff0000, v0
	v_lshlrev_b32_e32 v0, 16, v2
	v_cmp_o_f32_e32 vcc_lo, v3, v3
	v_mov_b32_e32 v2, s21
	v_cndmask_b32_e32 v3, 0x7fc00000, v5, vcc_lo
	s_delay_alu instid0(VALU_DEP_1) | instskip(NEXT) | instid1(VALU_DEP_1)
	v_pk_mul_f32 v[0:1], v[2:3], v[0:1]
	v_dual_lshrrev_b32 v3, 16, v0 :: v_dual_lshrrev_b32 v2, 16, v1
	v_cmp_o_f32_e32 vcc_lo, v1, v1
	s_delay_alu instid0(VALU_DEP_2) | instskip(NEXT) | instid1(VALU_DEP_3)
	v_and_b32_e32 v3, 1, v3
	v_and_b32_e32 v2, 1, v2
	s_delay_alu instid0(VALU_DEP_2) | instskip(NEXT) | instid1(VALU_DEP_2)
	v_add3_u32 v3, v0, v3, 0x7fff
	v_add3_u32 v2, v1, v2, 0x7fff
	s_delay_alu instid0(VALU_DEP_2) | instskip(NEXT) | instid1(VALU_DEP_2)
	v_and_b32_e32 v3, 0xffff0000, v3
	v_and_b32_e32 v2, 0xffff0000, v2
	s_delay_alu instid0(VALU_DEP_1) | instskip(SKIP_1) | instid1(VALU_DEP_4)
	v_cndmask_b32_e32 v1, 0x7fc00000, v2, vcc_lo
	v_cmp_o_f32_e32 vcc_lo, v0, v0
	v_cndmask_b32_e32 v0, 0x7fc00000, v3, vcc_lo
	s_delay_alu instid0(VALU_DEP_1) | instskip(SKIP_1) | instid1(VALU_DEP_2)
	v_add_f32_e32 v2, v0, v1
	v_mul_lo_u32 v0, v8, s12
	v_bfe_u32 v1, v2, 16, 1
	v_cmp_o_f32_e32 vcc_lo, v2, v2
	s_delay_alu instid0(VALU_DEP_2) | instskip(NEXT) | instid1(VALU_DEP_1)
	v_add3_u32 v3, v2, v1, 0x7fff
	v_dual_ashrrev_i32 v1, 31, v0 :: v_dual_lshrrev_b32 v3, 16, v3
	s_delay_alu instid0(VALU_DEP_1) | instskip(NEXT) | instid1(VALU_DEP_2)
	v_add_nc_u64_e32 v[0:1], s[4:5], v[0:1]
	v_cndmask_b32_e32 v2, 0x7fc0, v3, vcc_lo
	s_cbranch_scc1 .LBB174_395
; %bb.388:
	s_and_b32 s30, 0xffff, s23
	s_delay_alu instid0(SALU_CYCLE_1)
	s_cmp_gt_i32 s30, 25
	s_cbranch_scc0 .LBB174_396
; %bb.389:
	s_cmp_gt_i32 s30, 28
	s_cbranch_scc0 .LBB174_397
; %bb.390:
	;; [unrolled: 3-line block ×4, first 2 shown]
	s_mov_b32 s33, 0
	s_mov_b32 s0, -1
	s_cmp_eq_u32 s30, 46
	s_mov_b32 s31, 0
	s_cbranch_scc0 .LBB174_400
; %bb.393:
	v_and_b32_e32 v3, 0xffff, v2
	s_mov_b32 s31, -1
	s_mov_b32 s0, 0
	global_store_b32 v[0:1], v3, off
	s_branch .LBB174_400
.LBB174_394:
	s_mov_b32 s0, 0
	s_branch .LBB174_510
.LBB174_395:
	s_mov_b32 s30, -1
	s_mov_b32 s0, 0
	s_mov_b32 s31, 0
	s_branch .LBB174_469
.LBB174_396:
	s_mov_b32 s0, 0
	s_mov_b32 s31, 0
	s_branch .LBB174_427
.LBB174_397:
	s_mov_b32 s0, 0
	s_mov_b32 s31, 0
	s_branch .LBB174_410
.LBB174_398:
	s_mov_b32 s0, 0
	s_mov_b32 s31, 0
	s_branch .LBB174_406
.LBB174_399:
	s_mov_b32 s0, 0
	s_mov_b32 s31, 0
.LBB174_400:
	s_and_b32 vcc_lo, exec_lo, s33
	s_cbranch_vccz .LBB174_405
; %bb.401:
	s_cmp_eq_u32 s30, 44
	s_mov_b32 s0, -1
	s_cbranch_scc0 .LBB174_405
; %bb.402:
	s_wait_xcnt 0x0
	v_and_b32_e32 v3, 0xffff, v2
	v_mov_b32_e32 v4, 0xff
	s_mov_b32 s31, exec_lo
	s_delay_alu instid0(VALU_DEP_2) | instskip(NEXT) | instid1(VALU_DEP_1)
	v_bfe_u32 v5, v3, 7, 8
	v_cmpx_ne_u32_e32 0xff, v5
	s_cbranch_execz .LBB174_404
; %bb.403:
	v_dual_lshlrev_b32 v4, 16, v3 :: v_dual_bitop2_b32 v6, 64, v3 bitop3:0x40
	v_lshrrev_b32_e32 v3, 7, v3
	s_delay_alu instid0(VALU_DEP_2) | instskip(NEXT) | instid1(VALU_DEP_3)
	v_and_or_b32 v4, 0x3f0000, v4, v5
	v_cmp_ne_u32_e32 vcc_lo, 0, v6
	s_delay_alu instid0(VALU_DEP_2) | instskip(SKIP_1) | instid1(SALU_CYCLE_1)
	v_cmp_ne_u32_e64 s0, 0, v4
	s_and_b32 s0, vcc_lo, s0
	v_cndmask_b32_e64 v4, 0, 1, s0
	s_delay_alu instid0(VALU_DEP_1)
	v_add_nc_u32_e32 v4, v3, v4
.LBB174_404:
	s_or_b32 exec_lo, exec_lo, s31
	s_mov_b32 s31, -1
	s_mov_b32 s0, 0
	global_store_b8 v[0:1], v4, off
.LBB174_405:
	s_mov_b32 s33, 0
.LBB174_406:
	s_delay_alu instid0(SALU_CYCLE_1)
	s_and_b32 vcc_lo, exec_lo, s33
	s_cbranch_vccz .LBB174_409
; %bb.407:
	s_cmp_eq_u32 s30, 29
	s_mov_b32 s0, -1
	s_cbranch_scc0 .LBB174_409
; %bb.408:
	s_wait_xcnt 0x0
	v_lshlrev_b32_e32 v3, 16, v2
	s_mov_b32 s31, -1
	s_mov_b32 s0, 0
	s_mov_b32 s33, 0
	s_delay_alu instid0(VALU_DEP_1) | instskip(NEXT) | instid1(VALU_DEP_1)
	v_trunc_f32_e32 v3, v3
	v_mul_f32_e32 v4, 0x2f800000, v3
	s_delay_alu instid0(VALU_DEP_1) | instskip(NEXT) | instid1(VALU_DEP_1)
	v_floor_f32_e32 v4, v4
	v_fmamk_f32 v3, v4, 0xcf800000, v3
	v_cvt_u32_f32_e32 v5, v4
	s_delay_alu instid0(VALU_DEP_2)
	v_cvt_u32_f32_e32 v4, v3
	global_store_b64 v[0:1], v[4:5], off
	s_branch .LBB174_410
.LBB174_409:
	s_mov_b32 s33, 0
.LBB174_410:
	s_delay_alu instid0(SALU_CYCLE_1)
	s_and_b32 vcc_lo, exec_lo, s33
	s_cbranch_vccz .LBB174_426
; %bb.411:
	s_cmp_lt_i32 s30, 27
	s_mov_b32 s31, -1
	s_cbranch_scc1 .LBB174_417
; %bb.412:
	s_cmp_gt_i32 s30, 27
	s_cbranch_scc0 .LBB174_414
; %bb.413:
	s_wait_xcnt 0x0
	v_lshlrev_b32_e32 v3, 16, v2
	s_mov_b32 s31, 0
	s_delay_alu instid0(VALU_DEP_1)
	v_cvt_u32_f32_e32 v3, v3
	global_store_b32 v[0:1], v3, off
.LBB174_414:
	s_and_not1_b32 vcc_lo, exec_lo, s31
	s_cbranch_vccnz .LBB174_416
; %bb.415:
	s_wait_xcnt 0x0
	v_lshlrev_b32_e32 v3, 16, v2
	s_delay_alu instid0(VALU_DEP_1)
	v_cvt_u32_f32_e32 v3, v3
	global_store_b16 v[0:1], v3, off
.LBB174_416:
	s_mov_b32 s31, 0
.LBB174_417:
	s_delay_alu instid0(SALU_CYCLE_1)
	s_and_not1_b32 vcc_lo, exec_lo, s31
	s_cbranch_vccnz .LBB174_425
; %bb.418:
	s_wait_xcnt 0x0
	v_dual_mov_b32 v6, 0x80 :: v_dual_lshlrev_b32 v5, 16, v2
	s_mov_b32 s31, exec_lo
	s_delay_alu instid0(VALU_DEP_1) | instskip(NEXT) | instid1(VALU_DEP_1)
	v_and_b32_e32 v4, 0x7fffffff, v5
	v_cmpx_gt_u32_e32 0x43800000, v4
	s_cbranch_execz .LBB174_424
; %bb.419:
	v_and_b32_e32 v3, 0xffff, v2
	v_cmp_lt_u32_e32 vcc_lo, 0x3bffffff, v4
	s_mov_b32 s33, 0
                                        ; implicit-def: $vgpr4
	s_and_saveexec_b32 s34, vcc_lo
	s_delay_alu instid0(SALU_CYCLE_1)
	s_xor_b32 s34, exec_lo, s34
	s_cbranch_execz .LBB174_658
; %bb.420:
	v_bfe_u32 v4, v3, 4, 1
	s_mov_b32 s33, exec_lo
	s_delay_alu instid0(VALU_DEP_1) | instskip(NEXT) | instid1(VALU_DEP_1)
	v_add3_u32 v4, v5, v4, 0x487ffff
                                        ; implicit-def: $vgpr5
	v_lshrrev_b32_e32 v4, 20, v4
	s_and_not1_saveexec_b32 s34, s34
	s_cbranch_execnz .LBB174_659
.LBB174_421:
	s_or_b32 exec_lo, exec_lo, s34
	v_mov_b32_e32 v6, 0
	s_and_saveexec_b32 s34, s33
.LBB174_422:
	v_lshrrev_b32_e32 v3, 8, v3
	s_delay_alu instid0(VALU_DEP_1)
	v_and_or_b32 v6, 0x80, v3, v4
.LBB174_423:
	s_or_b32 exec_lo, exec_lo, s34
.LBB174_424:
	s_delay_alu instid0(SALU_CYCLE_1)
	s_or_b32 exec_lo, exec_lo, s31
	global_store_b8 v[0:1], v6, off
.LBB174_425:
	s_mov_b32 s31, -1
.LBB174_426:
	s_mov_b32 s33, 0
.LBB174_427:
	s_delay_alu instid0(SALU_CYCLE_1)
	s_and_b32 vcc_lo, exec_lo, s33
	s_cbranch_vccz .LBB174_468
; %bb.428:
	s_cmp_gt_i32 s30, 22
	s_mov_b32 s33, -1
	s_cbranch_scc0 .LBB174_460
; %bb.429:
	s_cmp_lt_i32 s30, 24
	s_mov_b32 s31, -1
	s_cbranch_scc1 .LBB174_449
; %bb.430:
	s_cmp_gt_i32 s30, 24
	s_cbranch_scc0 .LBB174_438
; %bb.431:
	s_wait_xcnt 0x0
	v_dual_mov_b32 v6, 0x80 :: v_dual_lshlrev_b32 v5, 16, v2
	s_mov_b32 s31, exec_lo
	s_delay_alu instid0(VALU_DEP_1) | instskip(NEXT) | instid1(VALU_DEP_1)
	v_and_b32_e32 v4, 0x7fffffff, v5
	v_cmpx_gt_u32_e32 0x47800000, v4
	s_cbranch_execz .LBB174_437
; %bb.432:
	v_and_b32_e32 v3, 0xffff, v2
	v_cmp_lt_u32_e32 vcc_lo, 0x37ffffff, v4
	s_mov_b32 s33, 0
                                        ; implicit-def: $vgpr4
	s_and_saveexec_b32 s34, vcc_lo
	s_delay_alu instid0(SALU_CYCLE_1)
	s_xor_b32 s34, exec_lo, s34
	s_cbranch_execz .LBB174_790
; %bb.433:
	v_bfe_u32 v4, v3, 5, 1
	s_mov_b32 s33, exec_lo
	s_delay_alu instid0(VALU_DEP_1) | instskip(NEXT) | instid1(VALU_DEP_1)
	v_add3_u32 v4, v5, v4, 0x88fffff
                                        ; implicit-def: $vgpr5
	v_lshrrev_b32_e32 v4, 21, v4
	s_and_not1_saveexec_b32 s34, s34
	s_cbranch_execnz .LBB174_791
.LBB174_434:
	s_or_b32 exec_lo, exec_lo, s34
	v_mov_b32_e32 v6, 0
	s_and_saveexec_b32 s34, s33
.LBB174_435:
	v_lshrrev_b32_e32 v3, 8, v3
	s_delay_alu instid0(VALU_DEP_1)
	v_and_or_b32 v6, 0x80, v3, v4
.LBB174_436:
	s_or_b32 exec_lo, exec_lo, s34
.LBB174_437:
	s_delay_alu instid0(SALU_CYCLE_1)
	s_or_b32 exec_lo, exec_lo, s31
	s_mov_b32 s31, 0
	global_store_b8 v[0:1], v6, off
.LBB174_438:
	s_and_b32 vcc_lo, exec_lo, s31
	s_cbranch_vccz .LBB174_448
; %bb.439:
	s_wait_xcnt 0x0
	v_lshlrev_b32_e32 v5, 16, v2
	v_and_b32_e32 v3, 0xffff, v2
	s_mov_b32 s31, exec_lo
                                        ; implicit-def: $vgpr4
	s_delay_alu instid0(VALU_DEP_2) | instskip(NEXT) | instid1(VALU_DEP_1)
	v_and_b32_e32 v6, 0x7fffffff, v5
	v_cmpx_gt_u32_e32 0x43f00000, v6
	s_xor_b32 s31, exec_lo, s31
	s_cbranch_execz .LBB174_445
; %bb.440:
	s_mov_b32 s33, exec_lo
                                        ; implicit-def: $vgpr4
	v_cmpx_lt_u32_e32 0x3c7fffff, v6
	s_xor_b32 s33, exec_lo, s33
; %bb.441:
	v_bfe_u32 v4, v3, 4, 1
	s_delay_alu instid0(VALU_DEP_1) | instskip(NEXT) | instid1(VALU_DEP_1)
	v_add3_u32 v4, v5, v4, 0x407ffff
	v_and_b32_e32 v5, 0xff00000, v4
	v_lshrrev_b32_e32 v4, 20, v4
	s_delay_alu instid0(VALU_DEP_2) | instskip(NEXT) | instid1(VALU_DEP_2)
	v_cmp_ne_u32_e32 vcc_lo, 0x7f00000, v5
                                        ; implicit-def: $vgpr5
	v_cndmask_b32_e32 v4, 0x7e, v4, vcc_lo
; %bb.442:
	s_and_not1_saveexec_b32 s33, s33
; %bb.443:
	v_add_f32_e64 v4, 0x46800000, |v5|
; %bb.444:
	s_or_b32 exec_lo, exec_lo, s33
                                        ; implicit-def: $vgpr6
.LBB174_445:
	s_and_not1_saveexec_b32 s31, s31
; %bb.446:
	v_mov_b32_e32 v4, 0x7f
	v_cmp_lt_u32_e32 vcc_lo, 0x7f800000, v6
	s_delay_alu instid0(VALU_DEP_2)
	v_cndmask_b32_e32 v4, 0x7e, v4, vcc_lo
; %bb.447:
	s_or_b32 exec_lo, exec_lo, s31
	v_lshrrev_b32_e32 v3, 8, v3
	s_delay_alu instid0(VALU_DEP_1)
	v_and_or_b32 v3, 0x80, v3, v4
	global_store_b8 v[0:1], v3, off
.LBB174_448:
	s_mov_b32 s31, 0
.LBB174_449:
	s_delay_alu instid0(SALU_CYCLE_1)
	s_and_not1_b32 vcc_lo, exec_lo, s31
	s_cbranch_vccnz .LBB174_459
; %bb.450:
	s_wait_xcnt 0x0
	v_lshlrev_b32_e32 v5, 16, v2
	v_and_b32_e32 v3, 0xffff, v2
	s_mov_b32 s31, exec_lo
                                        ; implicit-def: $vgpr4
	s_delay_alu instid0(VALU_DEP_2) | instskip(NEXT) | instid1(VALU_DEP_1)
	v_and_b32_e32 v6, 0x7fffffff, v5
	v_cmpx_gt_u32_e32 0x47800000, v6
	s_xor_b32 s31, exec_lo, s31
	s_cbranch_execz .LBB174_456
; %bb.451:
	s_mov_b32 s33, exec_lo
                                        ; implicit-def: $vgpr4
	v_cmpx_lt_u32_e32 0x387fffff, v6
	s_xor_b32 s33, exec_lo, s33
; %bb.452:
	v_bfe_u32 v4, v3, 5, 1
	s_delay_alu instid0(VALU_DEP_1) | instskip(NEXT) | instid1(VALU_DEP_1)
	v_add3_u32 v4, v5, v4, 0x80fffff
                                        ; implicit-def: $vgpr5
	v_lshrrev_b32_e32 v4, 21, v4
; %bb.453:
	s_and_not1_saveexec_b32 s33, s33
; %bb.454:
	v_add_f32_e64 v4, 0x43000000, |v5|
; %bb.455:
	s_or_b32 exec_lo, exec_lo, s33
                                        ; implicit-def: $vgpr6
.LBB174_456:
	s_and_not1_saveexec_b32 s31, s31
; %bb.457:
	v_mov_b32_e32 v4, 0x7f
	v_cmp_lt_u32_e32 vcc_lo, 0x7f800000, v6
	s_delay_alu instid0(VALU_DEP_2)
	v_cndmask_b32_e32 v4, 0x7c, v4, vcc_lo
; %bb.458:
	s_or_b32 exec_lo, exec_lo, s31
	v_lshrrev_b32_e32 v3, 8, v3
	s_delay_alu instid0(VALU_DEP_1)
	v_and_or_b32 v3, 0x80, v3, v4
	global_store_b8 v[0:1], v3, off
.LBB174_459:
	s_mov_b32 s33, 0
	s_mov_b32 s31, -1
.LBB174_460:
	s_and_not1_b32 vcc_lo, exec_lo, s33
	s_cbranch_vccnz .LBB174_468
; %bb.461:
	s_cmp_gt_i32 s30, 14
	s_mov_b32 s33, -1
	s_cbranch_scc0 .LBB174_465
; %bb.462:
	s_cmp_eq_u32 s30, 15
	s_mov_b32 s0, -1
	s_cbranch_scc0 .LBB174_464
; %bb.463:
	s_mov_b32 s31, -1
	s_mov_b32 s0, 0
	global_store_b16 v[0:1], v2, off
.LBB174_464:
	s_mov_b32 s33, 0
.LBB174_465:
	s_delay_alu instid0(SALU_CYCLE_1)
	s_and_b32 vcc_lo, exec_lo, s33
	s_cbranch_vccz .LBB174_468
; %bb.466:
	s_cmp_eq_u32 s30, 11
	s_mov_b32 s0, -1
	s_cbranch_scc0 .LBB174_468
; %bb.467:
	s_wait_xcnt 0x0
	v_and_b32_e32 v3, 0x7fff, v2
	s_mov_b32 s0, 0
	s_mov_b32 s31, -1
	s_delay_alu instid0(VALU_DEP_1)
	v_cmp_ne_u16_e32 vcc_lo, 0, v3
	v_cndmask_b32_e64 v3, 0, 1, vcc_lo
	global_store_b8 v[0:1], v3, off
.LBB174_468:
	s_mov_b32 s30, 0
.LBB174_469:
	s_delay_alu instid0(SALU_CYCLE_1)
	s_and_b32 vcc_lo, exec_lo, s30
	s_cbranch_vccz .LBB174_508
; %bb.470:
	s_and_b32 s23, 0xffff, s23
	s_mov_b32 s30, -1
	s_cmp_lt_i32 s23, 5
	s_cbranch_scc1 .LBB174_491
; %bb.471:
	s_cmp_lt_i32 s23, 8
	s_cbranch_scc1 .LBB174_481
; %bb.472:
	;; [unrolled: 3-line block ×3, first 2 shown]
	s_cmp_gt_i32 s23, 9
	s_cbranch_scc0 .LBB174_475
; %bb.474:
	s_wait_xcnt 0x0
	v_dual_mov_b32 v6, 0 :: v_dual_lshlrev_b32 v3, 16, v2
	s_mov_b32 s30, 0
	s_delay_alu instid0(VALU_DEP_1) | instskip(NEXT) | instid1(VALU_DEP_2)
	v_cvt_f64_f32_e32 v[4:5], v3
	v_mov_b32_e32 v7, v6
	global_store_b128 v[0:1], v[4:7], off
.LBB174_475:
	s_and_not1_b32 vcc_lo, exec_lo, s30
	s_cbranch_vccnz .LBB174_477
; %bb.476:
	s_wait_xcnt 0x0
	v_dual_mov_b32 v5, 0 :: v_dual_lshlrev_b32 v4, 16, v2
	global_store_b64 v[0:1], v[4:5], off
.LBB174_477:
	s_mov_b32 s30, 0
.LBB174_478:
	s_delay_alu instid0(SALU_CYCLE_1)
	s_and_not1_b32 vcc_lo, exec_lo, s30
	s_cbranch_vccnz .LBB174_480
; %bb.479:
	s_wait_xcnt 0x0
	v_lshlrev_b32_e32 v3, 16, v2
	s_delay_alu instid0(VALU_DEP_1) | instskip(NEXT) | instid1(VALU_DEP_1)
	v_cvt_f16_f32_e32 v3, v3
	v_and_b32_e32 v3, 0xffff, v3
	global_store_b32 v[0:1], v3, off
.LBB174_480:
	s_mov_b32 s30, 0
.LBB174_481:
	s_delay_alu instid0(SALU_CYCLE_1)
	s_and_not1_b32 vcc_lo, exec_lo, s30
	s_cbranch_vccnz .LBB174_490
; %bb.482:
	s_cmp_lt_i32 s23, 6
	s_mov_b32 s30, -1
	s_cbranch_scc1 .LBB174_488
; %bb.483:
	s_cmp_gt_i32 s23, 6
	s_cbranch_scc0 .LBB174_485
; %bb.484:
	s_wait_xcnt 0x0
	v_lshlrev_b32_e32 v3, 16, v2
	s_mov_b32 s30, 0
	s_delay_alu instid0(VALU_DEP_1)
	v_cvt_f64_f32_e32 v[4:5], v3
	global_store_b64 v[0:1], v[4:5], off
.LBB174_485:
	s_and_not1_b32 vcc_lo, exec_lo, s30
	s_cbranch_vccnz .LBB174_487
; %bb.486:
	s_wait_xcnt 0x0
	v_lshlrev_b32_e32 v3, 16, v2
	global_store_b32 v[0:1], v3, off
.LBB174_487:
	s_mov_b32 s30, 0
.LBB174_488:
	s_delay_alu instid0(SALU_CYCLE_1)
	s_and_not1_b32 vcc_lo, exec_lo, s30
	s_cbranch_vccnz .LBB174_490
; %bb.489:
	s_wait_xcnt 0x0
	v_lshlrev_b32_e32 v3, 16, v2
	s_delay_alu instid0(VALU_DEP_1)
	v_cvt_f16_f32_e32 v3, v3
	global_store_b16 v[0:1], v3, off
.LBB174_490:
	s_mov_b32 s30, 0
.LBB174_491:
	s_delay_alu instid0(SALU_CYCLE_1)
	s_and_not1_b32 vcc_lo, exec_lo, s30
	s_cbranch_vccnz .LBB174_507
; %bb.492:
	s_cmp_lt_i32 s23, 2
	s_mov_b32 s30, -1
	s_cbranch_scc1 .LBB174_502
; %bb.493:
	s_cmp_lt_i32 s23, 3
	s_cbranch_scc1 .LBB174_499
; %bb.494:
	s_cmp_gt_i32 s23, 3
	s_cbranch_scc0 .LBB174_496
; %bb.495:
	s_wait_xcnt 0x0
	v_lshlrev_b32_e32 v3, 16, v2
	s_mov_b32 s30, 0
	s_delay_alu instid0(VALU_DEP_1) | instskip(NEXT) | instid1(VALU_DEP_1)
	v_trunc_f32_e32 v3, v3
	v_mul_f32_e64 v4, 0x2f800000, |v3|
	s_delay_alu instid0(VALU_DEP_1) | instskip(SKIP_1) | instid1(VALU_DEP_2)
	v_floor_f32_e32 v5, v4
	v_ashrrev_i32_e32 v4, 31, v3
	v_fma_f32 v6, 0xcf800000, v5, |v3|
	v_cvt_u32_f32_e32 v3, v5
	s_delay_alu instid0(VALU_DEP_3) | instskip(NEXT) | instid1(VALU_DEP_3)
	v_mov_b32_e32 v5, v4
	v_cvt_u32_f32_e32 v6, v6
	s_delay_alu instid0(VALU_DEP_3) | instskip(NEXT) | instid1(VALU_DEP_2)
	v_xor_b32_e32 v7, v3, v4
	v_xor_b32_e32 v6, v6, v4
	s_delay_alu instid0(VALU_DEP_1)
	v_sub_nc_u64_e32 v[4:5], v[6:7], v[4:5]
	global_store_b64 v[0:1], v[4:5], off
.LBB174_496:
	s_and_not1_b32 vcc_lo, exec_lo, s30
	s_cbranch_vccnz .LBB174_498
; %bb.497:
	s_wait_xcnt 0x0
	v_lshlrev_b32_e32 v3, 16, v2
	s_delay_alu instid0(VALU_DEP_1)
	v_cvt_i32_f32_e32 v3, v3
	global_store_b32 v[0:1], v3, off
.LBB174_498:
	s_mov_b32 s30, 0
.LBB174_499:
	s_delay_alu instid0(SALU_CYCLE_1)
	s_and_not1_b32 vcc_lo, exec_lo, s30
	s_cbranch_vccnz .LBB174_501
; %bb.500:
	s_wait_xcnt 0x0
	v_lshlrev_b32_e32 v3, 16, v2
	s_delay_alu instid0(VALU_DEP_1)
	v_cvt_i32_f32_e32 v3, v3
	global_store_b16 v[0:1], v3, off
.LBB174_501:
	s_mov_b32 s30, 0
.LBB174_502:
	s_delay_alu instid0(SALU_CYCLE_1)
	s_and_not1_b32 vcc_lo, exec_lo, s30
	s_cbranch_vccnz .LBB174_507
; %bb.503:
	s_wait_xcnt 0x0
	v_lshlrev_b32_e32 v2, 16, v2
	s_cmp_gt_i32 s23, 0
	s_mov_b32 s23, -1
	s_cbranch_scc0 .LBB174_505
; %bb.504:
	s_delay_alu instid0(VALU_DEP_1)
	v_cvt_i32_f32_e32 v3, v2
	s_mov_b32 s23, 0
	global_store_b8 v[0:1], v3, off
.LBB174_505:
	s_and_not1_b32 vcc_lo, exec_lo, s23
	s_cbranch_vccnz .LBB174_507
; %bb.506:
	v_trunc_f32_e32 v2, v2
	s_wait_xcnt 0x0
	s_delay_alu instid0(VALU_DEP_1) | instskip(NEXT) | instid1(VALU_DEP_1)
	v_mul_f32_e64 v3, 0x2f800000, |v2|
	v_floor_f32_e32 v3, v3
	s_delay_alu instid0(VALU_DEP_1) | instskip(SKIP_1) | instid1(VALU_DEP_2)
	v_fma_f32 v3, 0xcf800000, v3, |v2|
	v_ashrrev_i32_e32 v2, 31, v2
	v_cvt_u32_f32_e32 v3, v3
	s_delay_alu instid0(VALU_DEP_1) | instskip(NEXT) | instid1(VALU_DEP_1)
	v_xor_b32_e32 v3, v3, v2
	v_sub_nc_u32_e32 v2, v3, v2
	global_store_b8 v[0:1], v2, off
.LBB174_507:
	s_mov_b32 s31, -1
.LBB174_508:
	s_delay_alu instid0(SALU_CYCLE_1)
	s_and_not1_b32 vcc_lo, exec_lo, s31
	s_cbranch_vccnz .LBB174_510
; %bb.509:
	v_add_nc_u32_e32 v8, 0x80, v8
	s_mov_b32 s30, -1
	s_branch .LBB174_511
.LBB174_510:
	s_mov_b32 s30, 0
                                        ; implicit-def: $vgpr8
.LBB174_511:
	s_and_b32 s23, s0, exec_lo
	s_and_b32 s25, s25, exec_lo
	;; [unrolled: 1-line block ×4, first 2 shown]
	s_or_not1_b32 s33, s30, exec_lo
.LBB174_512:
	s_wait_xcnt 0x0
	s_or_b32 exec_lo, exec_lo, s28
	s_mov_b32 s31, 0
	s_mov_b32 s30, 0
                                        ; implicit-def: $sgpr0
                                        ; implicit-def: $vgpr0_vgpr1
                                        ; implicit-def: $vgpr2
	s_and_saveexec_b32 s28, s33
	s_cbranch_execz .LBB174_521
; %bb.513:
	s_mov_b32 s36, -1
	s_mov_b32 s29, s27
	s_mov_b32 s33, s26
	;; [unrolled: 1-line block ×4, first 2 shown]
	s_mov_b32 s34, exec_lo
	v_cmpx_gt_i32_e64 s24, v8
	s_cbranch_execz .LBB174_1035
; %bb.514:
	v_mul_lo_u32 v0, v8, s13
	s_and_b32 s0, s19, 0xff
	s_delay_alu instid0(SALU_CYCLE_1) | instskip(NEXT) | instid1(VALU_DEP_1)
	s_cmp_lt_i32 s0, 11
	v_ashrrev_i32_e32 v1, 31, v0
	s_delay_alu instid0(VALU_DEP_1)
	v_add_nc_u64_e32 v[0:1], s[6:7], v[0:1]
	s_cbranch_scc1 .LBB174_524
; %bb.515:
	s_and_b32 s30, 0xffff, s0
	s_delay_alu instid0(SALU_CYCLE_1)
	s_cmp_gt_i32 s30, 25
	s_cbranch_scc0 .LBB174_533
; %bb.516:
	s_cmp_gt_i32 s30, 28
	s_cbranch_scc0 .LBB174_535
; %bb.517:
	;; [unrolled: 3-line block ×4, first 2 shown]
	s_cmp_eq_u32 s30, 46
	s_mov_b32 s33, 0
	s_cbranch_scc0 .LBB174_541
; %bb.520:
	s_wait_loadcnt 0x0
	global_load_b32 v2, v[0:1], off
	s_mov_b32 s31, -1
	s_mov_b32 s29, 0
	s_branch .LBB174_543
.LBB174_521:
	s_or_b32 exec_lo, exec_lo, s28
	s_mov_b32 s24, 0
	s_and_saveexec_b32 s28, s27
	s_cbranch_execnz .LBB174_1639
.LBB174_522:
	s_or_b32 exec_lo, exec_lo, s28
	s_and_saveexec_b32 s27, s29
	s_delay_alu instid0(SALU_CYCLE_1)
	s_xor_b32 s27, exec_lo, s27
	s_cbranch_execz .LBB174_1640
.LBB174_523:
	s_wait_loadcnt 0x0
	global_load_u8 v2, v[0:1], off
	s_or_b32 s30, s30, exec_lo
	s_wait_loadcnt 0x0
	v_cmp_ne_u16_e32 vcc_lo, 0, v2
	v_cndmask_b32_e64 v2, 0, 1.0, vcc_lo
	s_delay_alu instid0(VALU_DEP_1)
	v_lshrrev_b32_e32 v2, 16, v2
	s_wait_xcnt 0x0
	s_or_b32 exec_lo, exec_lo, s27
	s_and_saveexec_b32 s27, s31
	s_cbranch_execz .LBB174_1686
	s_branch .LBB174_1641
.LBB174_524:
	s_mov_b32 s31, 0
	s_mov_b32 s29, s27
                                        ; implicit-def: $vgpr2
	s_cbranch_execnz .LBB174_609
.LBB174_525:
	s_and_not1_b32 vcc_lo, exec_lo, s31
	s_cbranch_vccnz .LBB174_657
.LBB174_526:
	s_wait_xcnt 0x0
	v_mul_lo_u32 v0, v8, s14
	s_and_b32 s0, s17, 0xff
	s_delay_alu instid0(SALU_CYCLE_1) | instskip(NEXT) | instid1(VALU_DEP_1)
	s_cmp_lt_i32 s0, 11
	v_ashrrev_i32_e32 v1, 31, v0
	s_delay_alu instid0(VALU_DEP_1)
	v_add_nc_u64_e32 v[0:1], s[8:9], v[0:1]
	s_cbranch_scc1 .LBB174_534
; %bb.527:
	s_and_b32 s30, 0xffff, s0
	s_delay_alu instid0(SALU_CYCLE_1)
	s_cmp_gt_i32 s30, 25
	s_cbranch_scc0 .LBB174_536
; %bb.528:
	s_cmp_gt_i32 s30, 28
	s_cbranch_scc0 .LBB174_538
; %bb.529:
	;; [unrolled: 3-line block ×4, first 2 shown]
	s_cmp_eq_u32 s30, 46
	s_mov_b32 s35, 0
	s_cbranch_scc0 .LBB174_660
; %bb.532:
	s_wait_loadcnt 0x0
	global_load_b32 v3, v[0:1], off
	s_mov_b32 s31, -1
	s_mov_b32 s33, 0
	s_branch .LBB174_662
.LBB174_533:
	s_mov_b32 s33, -1
	s_mov_b32 s31, 0
	s_mov_b32 s29, s27
                                        ; implicit-def: $vgpr2
	s_branch .LBB174_573
.LBB174_534:
	s_mov_b32 s30, -1
	s_mov_b32 s31, 0
	s_mov_b32 s33, s26
                                        ; implicit-def: $vgpr3
	s_branch .LBB174_727
.LBB174_535:
	s_mov_b32 s33, -1
	s_mov_b32 s31, 0
	s_mov_b32 s29, s27
                                        ; implicit-def: $vgpr2
	s_branch .LBB174_554
.LBB174_536:
	s_mov_b32 s35, -1
	s_mov_b32 s31, 0
	s_mov_b32 s33, s26
                                        ; implicit-def: $vgpr3
	s_branch .LBB174_691
.LBB174_537:
	s_mov_b32 s33, -1
	s_mov_b32 s31, 0
	s_mov_b32 s29, s27
                                        ; implicit-def: $vgpr2
	s_branch .LBB174_549
.LBB174_538:
	s_mov_b32 s35, -1
	s_mov_b32 s31, 0
	s_mov_b32 s33, s26
                                        ; implicit-def: $vgpr3
	s_branch .LBB174_672
.LBB174_539:
	s_mov_b32 s33, -1
	s_mov_b32 s31, 0
	s_mov_b32 s29, s27
	s_branch .LBB174_542
.LBB174_540:
	s_mov_b32 s35, -1
	s_mov_b32 s31, 0
	s_mov_b32 s33, s26
                                        ; implicit-def: $vgpr3
	s_branch .LBB174_667
.LBB174_541:
	s_mov_b32 s29, -1
	s_mov_b32 s31, 0
.LBB174_542:
                                        ; implicit-def: $vgpr2
.LBB174_543:
	s_and_b32 vcc_lo, exec_lo, s33
	s_cbranch_vccz .LBB174_548
; %bb.544:
	s_cmp_eq_u32 s30, 44
	s_cbranch_scc0 .LBB174_547
; %bb.545:
	s_wait_loadcnt 0x0
	global_load_u8 v2, v[0:1], off
	s_mov_b32 s29, 0
	s_mov_b32 s31, -1
	s_wait_loadcnt 0x0
	v_lshlrev_b32_e32 v3, 23, v2
	v_cmp_ne_u32_e32 vcc_lo, 0xff, v2
	s_delay_alu instid0(VALU_DEP_2) | instskip(SKIP_1) | instid1(VALU_DEP_2)
	v_cndmask_b32_e32 v3, 0x7f800001, v3, vcc_lo
	v_cmp_ne_u32_e32 vcc_lo, 0, v2
	v_cndmask_b32_e32 v2, 0x400000, v3, vcc_lo
	s_delay_alu instid0(VALU_DEP_1) | instskip(NEXT) | instid1(VALU_DEP_1)
	v_add_nc_u32_e32 v3, 0x7fff, v2
	v_lshrrev_b32_e32 v3, 16, v3
	v_cmp_o_f32_e32 vcc_lo, v2, v2
	s_delay_alu instid0(VALU_DEP_2)
	v_cndmask_b32_e32 v2, 0x7fc0, v3, vcc_lo
	s_branch .LBB174_548
.LBB174_546:
	s_mov_b32 s35, -1
	s_mov_b32 s31, 0
	s_mov_b32 s33, s26
	s_branch .LBB174_661
.LBB174_547:
	s_mov_b32 s29, -1
                                        ; implicit-def: $vgpr2
.LBB174_548:
	s_mov_b32 s33, 0
.LBB174_549:
	s_delay_alu instid0(SALU_CYCLE_1)
	s_and_b32 vcc_lo, exec_lo, s33
	s_cbranch_vccz .LBB174_553
; %bb.550:
	s_cmp_eq_u32 s30, 29
	s_cbranch_scc0 .LBB174_552
; %bb.551:
	s_wait_loadcnt 0x0
	global_load_b64 v[2:3], v[0:1], off
	s_mov_b32 s31, -1
	s_mov_b32 s29, 0
	s_mov_b32 s33, 0
	s_wait_loadcnt 0x0
	v_clz_i32_u32_e32 v4, v3
	s_delay_alu instid0(VALU_DEP_1) | instskip(NEXT) | instid1(VALU_DEP_1)
	v_min_u32_e32 v4, 32, v4
	v_lshlrev_b64_e32 v[2:3], v4, v[2:3]
	s_delay_alu instid0(VALU_DEP_1) | instskip(NEXT) | instid1(VALU_DEP_1)
	v_min_u32_e32 v2, 1, v2
	v_dual_sub_nc_u32 v3, 32, v4 :: v_dual_bitop2_b32 v2, v3, v2 bitop3:0x54
	s_delay_alu instid0(VALU_DEP_1) | instskip(NEXT) | instid1(VALU_DEP_1)
	v_cvt_f32_u32_e32 v2, v2
	v_ldexp_f32 v2, v2, v3
	s_delay_alu instid0(VALU_DEP_1) | instskip(NEXT) | instid1(VALU_DEP_1)
	v_bfe_u32 v3, v2, 16, 1
	v_add3_u32 v2, v2, v3, 0x7fff
	s_delay_alu instid0(VALU_DEP_1)
	v_lshrrev_b32_e32 v2, 16, v2
	s_branch .LBB174_554
.LBB174_552:
	s_mov_b32 s29, -1
                                        ; implicit-def: $vgpr2
.LBB174_553:
	s_mov_b32 s33, 0
.LBB174_554:
	s_delay_alu instid0(SALU_CYCLE_1)
	s_and_b32 vcc_lo, exec_lo, s33
	s_cbranch_vccz .LBB174_572
; %bb.555:
	s_cmp_lt_i32 s30, 27
	s_cbranch_scc1 .LBB174_558
; %bb.556:
	s_cmp_gt_i32 s30, 27
	s_cbranch_scc0 .LBB174_559
; %bb.557:
	s_wait_loadcnt 0x0
	global_load_b32 v2, v[0:1], off
	s_mov_b32 s31, 0
	s_wait_loadcnt 0x0
	v_cvt_f32_u32_e32 v2, v2
	s_delay_alu instid0(VALU_DEP_1) | instskip(NEXT) | instid1(VALU_DEP_1)
	v_bfe_u32 v3, v2, 16, 1
	v_add3_u32 v2, v2, v3, 0x7fff
	s_delay_alu instid0(VALU_DEP_1)
	v_lshrrev_b32_e32 v2, 16, v2
	s_branch .LBB174_560
.LBB174_558:
	s_mov_b32 s31, -1
                                        ; implicit-def: $vgpr2
	s_branch .LBB174_563
.LBB174_559:
	s_mov_b32 s31, -1
                                        ; implicit-def: $vgpr2
.LBB174_560:
	s_delay_alu instid0(SALU_CYCLE_1)
	s_and_not1_b32 vcc_lo, exec_lo, s31
	s_cbranch_vccnz .LBB174_562
; %bb.561:
	s_wait_loadcnt 0x0
	global_load_u16 v2, v[0:1], off
	s_wait_loadcnt 0x0
	v_cvt_f32_u32_e32 v2, v2
	s_delay_alu instid0(VALU_DEP_1) | instskip(NEXT) | instid1(VALU_DEP_1)
	v_bfe_u32 v3, v2, 16, 1
	v_add3_u32 v2, v2, v3, 0x7fff
	s_delay_alu instid0(VALU_DEP_1)
	v_lshrrev_b32_e32 v2, 16, v2
.LBB174_562:
	s_mov_b32 s31, 0
.LBB174_563:
	s_delay_alu instid0(SALU_CYCLE_1)
	s_and_not1_b32 vcc_lo, exec_lo, s31
	s_cbranch_vccnz .LBB174_571
; %bb.564:
	s_wait_loadcnt 0x0
	global_load_u8 v2, v[0:1], off
	s_mov_b32 s31, 0
	s_mov_b32 s33, exec_lo
	s_wait_loadcnt 0x0
	v_cmpx_lt_i16_e32 0x7f, v2
	s_xor_b32 s33, exec_lo, s33
	s_cbranch_execz .LBB174_585
; %bb.565:
	s_mov_b32 s31, -1
	s_mov_b32 s35, exec_lo
	v_cmpx_eq_u16_e32 0x80, v2
; %bb.566:
	s_xor_b32 s31, exec_lo, -1
; %bb.567:
	s_or_b32 exec_lo, exec_lo, s35
	s_delay_alu instid0(SALU_CYCLE_1)
	s_and_b32 s31, s31, exec_lo
	s_or_saveexec_b32 s33, s33
	v_mov_b32_e32 v3, 0x7f800001
	s_xor_b32 exec_lo, exec_lo, s33
	s_cbranch_execnz .LBB174_586
.LBB174_568:
	s_or_b32 exec_lo, exec_lo, s33
	s_and_saveexec_b32 s33, s31
	s_cbranch_execz .LBB174_570
.LBB174_569:
	v_and_b32_e32 v3, 0xffff, v2
	s_delay_alu instid0(VALU_DEP_1) | instskip(SKIP_1) | instid1(VALU_DEP_2)
	v_and_b32_e32 v4, 7, v3
	v_bfe_u32 v7, v3, 3, 4
	v_clz_i32_u32_e32 v5, v4
	s_delay_alu instid0(VALU_DEP_2) | instskip(NEXT) | instid1(VALU_DEP_2)
	v_cmp_eq_u32_e32 vcc_lo, 0, v7
	v_min_u32_e32 v5, 32, v5
	s_delay_alu instid0(VALU_DEP_1) | instskip(NEXT) | instid1(VALU_DEP_1)
	v_subrev_nc_u32_e32 v6, 28, v5
	v_dual_lshlrev_b32 v3, v6, v3 :: v_dual_sub_nc_u32 v5, 29, v5
	s_delay_alu instid0(VALU_DEP_1) | instskip(NEXT) | instid1(VALU_DEP_1)
	v_dual_lshlrev_b32 v2, 24, v2 :: v_dual_bitop2_b32 v3, 7, v3 bitop3:0x40
	v_dual_cndmask_b32 v5, v7, v5, vcc_lo :: v_dual_cndmask_b32 v3, v4, v3, vcc_lo
	s_delay_alu instid0(VALU_DEP_2) | instskip(NEXT) | instid1(VALU_DEP_2)
	v_and_b32_e32 v2, 0x80000000, v2
	v_lshl_add_u32 v4, v5, 23, 0x3b800000
	s_delay_alu instid0(VALU_DEP_3) | instskip(NEXT) | instid1(VALU_DEP_1)
	v_lshlrev_b32_e32 v3, 20, v3
	v_or3_b32 v3, v2, v4, v3
.LBB174_570:
	s_or_b32 exec_lo, exec_lo, s33
	s_delay_alu instid0(VALU_DEP_1) | instskip(SKIP_1) | instid1(VALU_DEP_2)
	v_bfe_u32 v2, v3, 16, 1
	v_cmp_o_f32_e32 vcc_lo, v3, v3
	v_add3_u32 v2, v3, v2, 0x7fff
	s_delay_alu instid0(VALU_DEP_1) | instskip(NEXT) | instid1(VALU_DEP_1)
	v_lshrrev_b32_e32 v2, 16, v2
	v_cndmask_b32_e32 v2, 0x7fc0, v2, vcc_lo
.LBB174_571:
	s_mov_b32 s31, -1
.LBB174_572:
	s_mov_b32 s33, 0
.LBB174_573:
	s_delay_alu instid0(SALU_CYCLE_1)
	s_and_b32 vcc_lo, exec_lo, s33
	s_cbranch_vccz .LBB174_608
; %bb.574:
	s_cmp_gt_i32 s30, 22
	s_cbranch_scc0 .LBB174_584
; %bb.575:
	s_cmp_lt_i32 s30, 24
	s_cbranch_scc1 .LBB174_587
; %bb.576:
	s_cmp_gt_i32 s30, 24
	s_cbranch_scc0 .LBB174_588
; %bb.577:
	s_wait_loadcnt 0x0
	global_load_u8 v2, v[0:1], off
	s_mov_b32 s31, 0
	s_mov_b32 s33, exec_lo
	s_wait_loadcnt 0x0
	v_cmpx_lt_i16_e32 0x7f, v2
	s_xor_b32 s33, exec_lo, s33
	s_cbranch_execz .LBB174_600
; %bb.578:
	s_mov_b32 s31, -1
	s_mov_b32 s35, exec_lo
	v_cmpx_eq_u16_e32 0x80, v2
; %bb.579:
	s_xor_b32 s31, exec_lo, -1
; %bb.580:
	s_or_b32 exec_lo, exec_lo, s35
	s_delay_alu instid0(SALU_CYCLE_1)
	s_and_b32 s31, s31, exec_lo
	s_or_saveexec_b32 s33, s33
	v_mov_b32_e32 v3, 0x7f800001
	s_xor_b32 exec_lo, exec_lo, s33
	s_cbranch_execnz .LBB174_601
.LBB174_581:
	s_or_b32 exec_lo, exec_lo, s33
	s_and_saveexec_b32 s33, s31
	s_cbranch_execz .LBB174_583
.LBB174_582:
	v_and_b32_e32 v3, 0xffff, v2
	s_delay_alu instid0(VALU_DEP_1) | instskip(SKIP_1) | instid1(VALU_DEP_2)
	v_and_b32_e32 v4, 3, v3
	v_bfe_u32 v7, v3, 2, 5
	v_clz_i32_u32_e32 v5, v4
	s_delay_alu instid0(VALU_DEP_2) | instskip(NEXT) | instid1(VALU_DEP_2)
	v_cmp_eq_u32_e32 vcc_lo, 0, v7
	v_min_u32_e32 v5, 32, v5
	s_delay_alu instid0(VALU_DEP_1) | instskip(NEXT) | instid1(VALU_DEP_1)
	v_subrev_nc_u32_e32 v6, 29, v5
	v_dual_lshlrev_b32 v3, v6, v3 :: v_dual_sub_nc_u32 v5, 30, v5
	s_delay_alu instid0(VALU_DEP_1) | instskip(NEXT) | instid1(VALU_DEP_1)
	v_dual_lshlrev_b32 v2, 24, v2 :: v_dual_bitop2_b32 v3, 3, v3 bitop3:0x40
	v_dual_cndmask_b32 v5, v7, v5, vcc_lo :: v_dual_cndmask_b32 v3, v4, v3, vcc_lo
	s_delay_alu instid0(VALU_DEP_2) | instskip(NEXT) | instid1(VALU_DEP_2)
	v_and_b32_e32 v2, 0x80000000, v2
	v_lshl_add_u32 v4, v5, 23, 0x37800000
	s_delay_alu instid0(VALU_DEP_3) | instskip(NEXT) | instid1(VALU_DEP_1)
	v_lshlrev_b32_e32 v3, 21, v3
	v_or3_b32 v3, v2, v4, v3
.LBB174_583:
	s_or_b32 exec_lo, exec_lo, s33
	s_delay_alu instid0(VALU_DEP_1) | instskip(SKIP_2) | instid1(VALU_DEP_2)
	v_bfe_u32 v2, v3, 16, 1
	v_cmp_o_f32_e32 vcc_lo, v3, v3
	s_mov_b32 s31, 0
	v_add3_u32 v2, v3, v2, 0x7fff
	s_delay_alu instid0(VALU_DEP_1) | instskip(NEXT) | instid1(VALU_DEP_1)
	v_lshrrev_b32_e32 v2, 16, v2
	v_cndmask_b32_e32 v2, 0x7fc0, v2, vcc_lo
	s_branch .LBB174_589
.LBB174_584:
	s_mov_b32 s33, -1
                                        ; implicit-def: $vgpr2
	s_branch .LBB174_595
.LBB174_585:
	s_or_saveexec_b32 s33, s33
	v_mov_b32_e32 v3, 0x7f800001
	s_xor_b32 exec_lo, exec_lo, s33
	s_cbranch_execz .LBB174_568
.LBB174_586:
	v_cmp_ne_u16_e32 vcc_lo, 0, v2
	v_mov_b32_e32 v3, 0
	s_and_not1_b32 s31, s31, exec_lo
	s_and_b32 s35, vcc_lo, exec_lo
	s_delay_alu instid0(SALU_CYCLE_1)
	s_or_b32 s31, s31, s35
	s_or_b32 exec_lo, exec_lo, s33
	s_and_saveexec_b32 s33, s31
	s_cbranch_execnz .LBB174_569
	s_branch .LBB174_570
.LBB174_587:
	s_mov_b32 s31, -1
                                        ; implicit-def: $vgpr2
	s_branch .LBB174_592
.LBB174_588:
	s_mov_b32 s31, -1
                                        ; implicit-def: $vgpr2
.LBB174_589:
	s_delay_alu instid0(SALU_CYCLE_1)
	s_and_b32 vcc_lo, exec_lo, s31
	s_cbranch_vccz .LBB174_591
; %bb.590:
	s_wait_loadcnt 0x0
	global_load_u8 v2, v[0:1], off
	s_wait_loadcnt 0x0
	v_lshlrev_b32_e32 v2, 24, v2
	s_delay_alu instid0(VALU_DEP_1) | instskip(NEXT) | instid1(VALU_DEP_1)
	v_and_b32_e32 v3, 0x7f000000, v2
	v_clz_i32_u32_e32 v4, v3
	v_cmp_ne_u32_e32 vcc_lo, 0, v3
	v_add_nc_u32_e32 v6, 0x1000000, v3
	s_delay_alu instid0(VALU_DEP_3) | instskip(NEXT) | instid1(VALU_DEP_1)
	v_min_u32_e32 v4, 32, v4
	v_sub_nc_u32_e64 v4, v4, 4 clamp
	s_delay_alu instid0(VALU_DEP_1) | instskip(NEXT) | instid1(VALU_DEP_1)
	v_dual_lshlrev_b32 v5, v4, v3 :: v_dual_lshlrev_b32 v4, 23, v4
	v_lshrrev_b32_e32 v5, 4, v5
	s_delay_alu instid0(VALU_DEP_1) | instskip(NEXT) | instid1(VALU_DEP_1)
	v_dual_sub_nc_u32 v4, v5, v4 :: v_dual_ashrrev_i32 v5, 8, v6
	v_add_nc_u32_e32 v4, 0x3c000000, v4
	s_delay_alu instid0(VALU_DEP_1) | instskip(NEXT) | instid1(VALU_DEP_1)
	v_and_or_b32 v4, 0x7f800000, v5, v4
	v_cndmask_b32_e32 v3, 0, v4, vcc_lo
	s_delay_alu instid0(VALU_DEP_1) | instskip(SKIP_1) | instid1(VALU_DEP_2)
	v_and_or_b32 v2, 0x80000000, v2, v3
	v_bfe_u32 v3, v3, 16, 1
	v_cmp_o_f32_e32 vcc_lo, v2, v2
	s_delay_alu instid0(VALU_DEP_2) | instskip(NEXT) | instid1(VALU_DEP_1)
	v_add3_u32 v3, v2, v3, 0x7fff
	v_lshrrev_b32_e32 v3, 16, v3
	s_delay_alu instid0(VALU_DEP_1)
	v_cndmask_b32_e32 v2, 0x7fc0, v3, vcc_lo
.LBB174_591:
	s_mov_b32 s31, 0
.LBB174_592:
	s_delay_alu instid0(SALU_CYCLE_1)
	s_and_not1_b32 vcc_lo, exec_lo, s31
	s_cbranch_vccnz .LBB174_594
; %bb.593:
	s_wait_loadcnt 0x0
	global_load_u8 v2, v[0:1], off
	s_wait_loadcnt 0x0
	v_lshlrev_b32_e32 v3, 25, v2
	v_lshlrev_b16 v2, 8, v2
	s_delay_alu instid0(VALU_DEP_1) | instskip(SKIP_1) | instid1(VALU_DEP_2)
	v_and_or_b32 v5, 0x7f00, v2, 0.5
	v_bfe_i32 v2, v2, 0, 16
	v_dual_add_f32 v5, -0.5, v5 :: v_dual_lshrrev_b32 v4, 4, v3
	v_cmp_gt_u32_e32 vcc_lo, 0x8000000, v3
	s_delay_alu instid0(VALU_DEP_2) | instskip(NEXT) | instid1(VALU_DEP_1)
	v_or_b32_e32 v4, 0x70000000, v4
	v_mul_f32_e32 v4, 0x7800000, v4
	s_delay_alu instid0(VALU_DEP_1) | instskip(NEXT) | instid1(VALU_DEP_1)
	v_cndmask_b32_e32 v3, v4, v5, vcc_lo
	v_and_or_b32 v2, 0x80000000, v2, v3
	v_bfe_u32 v3, v3, 16, 1
	s_delay_alu instid0(VALU_DEP_2) | instskip(NEXT) | instid1(VALU_DEP_2)
	v_cmp_o_f32_e32 vcc_lo, v2, v2
	v_add3_u32 v3, v2, v3, 0x7fff
	s_delay_alu instid0(VALU_DEP_1) | instskip(NEXT) | instid1(VALU_DEP_1)
	v_lshrrev_b32_e32 v3, 16, v3
	v_cndmask_b32_e32 v2, 0x7fc0, v3, vcc_lo
.LBB174_594:
	s_mov_b32 s33, 0
	s_mov_b32 s31, -1
.LBB174_595:
	s_and_not1_b32 vcc_lo, exec_lo, s33
	s_cbranch_vccnz .LBB174_608
; %bb.596:
	s_cmp_gt_i32 s30, 14
	s_cbranch_scc0 .LBB174_599
; %bb.597:
	s_cmp_eq_u32 s30, 15
	s_cbranch_scc0 .LBB174_602
; %bb.598:
	s_wait_loadcnt 0x0
	global_load_u16 v2, v[0:1], off
	s_mov_b32 s31, -1
	s_mov_b32 s29, 0
	s_branch .LBB174_603
.LBB174_599:
	s_mov_b32 s33, -1
                                        ; implicit-def: $vgpr2
	s_branch .LBB174_604
.LBB174_600:
	s_or_saveexec_b32 s33, s33
	v_mov_b32_e32 v3, 0x7f800001
	s_xor_b32 exec_lo, exec_lo, s33
	s_cbranch_execz .LBB174_581
.LBB174_601:
	v_cmp_ne_u16_e32 vcc_lo, 0, v2
	v_mov_b32_e32 v3, 0
	s_and_not1_b32 s31, s31, exec_lo
	s_and_b32 s35, vcc_lo, exec_lo
	s_delay_alu instid0(SALU_CYCLE_1)
	s_or_b32 s31, s31, s35
	s_or_b32 exec_lo, exec_lo, s33
	s_and_saveexec_b32 s33, s31
	s_cbranch_execnz .LBB174_582
	s_branch .LBB174_583
.LBB174_602:
	s_mov_b32 s29, -1
                                        ; implicit-def: $vgpr2
.LBB174_603:
	s_mov_b32 s33, 0
.LBB174_604:
	s_delay_alu instid0(SALU_CYCLE_1)
	s_and_b32 vcc_lo, exec_lo, s33
	s_cbranch_vccz .LBB174_608
; %bb.605:
	s_cmp_eq_u32 s30, 11
	s_cbranch_scc0 .LBB174_607
; %bb.606:
	s_wait_loadcnt 0x0
	global_load_u8 v2, v[0:1], off
	s_mov_b32 s29, 0
	s_mov_b32 s31, -1
	s_wait_loadcnt 0x0
	v_cmp_ne_u16_e32 vcc_lo, 0, v2
	v_cndmask_b32_e64 v2, 0, 1.0, vcc_lo
	s_delay_alu instid0(VALU_DEP_1)
	v_lshrrev_b32_e32 v2, 16, v2
	s_branch .LBB174_608
.LBB174_607:
	s_mov_b32 s29, -1
                                        ; implicit-def: $vgpr2
.LBB174_608:
	s_branch .LBB174_525
.LBB174_609:
	s_and_b32 s0, 0xffff, s0
	s_delay_alu instid0(SALU_CYCLE_1)
	s_cmp_lt_i32 s0, 5
	s_cbranch_scc1 .LBB174_614
; %bb.610:
	s_cmp_lt_i32 s0, 8
	s_cbranch_scc1 .LBB174_615
; %bb.611:
	;; [unrolled: 3-line block ×3, first 2 shown]
	s_cmp_gt_i32 s0, 9
	s_cbranch_scc0 .LBB174_617
; %bb.613:
	s_wait_loadcnt 0x0
	global_load_b64 v[2:3], v[0:1], off
	s_mov_b32 s30, 0
	s_wait_loadcnt 0x0
	v_cvt_f32_f64_e32 v2, v[2:3]
	s_delay_alu instid0(VALU_DEP_1) | instskip(SKIP_1) | instid1(VALU_DEP_2)
	v_bfe_u32 v3, v2, 16, 1
	v_cmp_o_f32_e32 vcc_lo, v2, v2
	v_add3_u32 v3, v2, v3, 0x7fff
	s_delay_alu instid0(VALU_DEP_1) | instskip(NEXT) | instid1(VALU_DEP_1)
	v_lshrrev_b32_e32 v3, 16, v3
	v_cndmask_b32_e32 v2, 0x7fc0, v3, vcc_lo
	s_branch .LBB174_618
.LBB174_614:
	s_mov_b32 s30, -1
                                        ; implicit-def: $vgpr2
	s_branch .LBB174_636
.LBB174_615:
	s_mov_b32 s30, -1
                                        ; implicit-def: $vgpr2
	s_branch .LBB174_624
.LBB174_616:
	s_mov_b32 s30, -1
                                        ; implicit-def: $vgpr2
	s_branch .LBB174_621
.LBB174_617:
	s_mov_b32 s30, -1
                                        ; implicit-def: $vgpr2
.LBB174_618:
	s_delay_alu instid0(SALU_CYCLE_1)
	s_and_not1_b32 vcc_lo, exec_lo, s30
	s_cbranch_vccnz .LBB174_620
; %bb.619:
	s_wait_loadcnt 0x0
	global_load_b32 v2, v[0:1], off
	s_wait_loadcnt 0x0
	v_bfe_u32 v3, v2, 16, 1
	v_cmp_o_f32_e32 vcc_lo, v2, v2
	s_delay_alu instid0(VALU_DEP_2) | instskip(NEXT) | instid1(VALU_DEP_1)
	v_add3_u32 v3, v2, v3, 0x7fff
	v_lshrrev_b32_e32 v3, 16, v3
	s_delay_alu instid0(VALU_DEP_1)
	v_cndmask_b32_e32 v2, 0x7fc0, v3, vcc_lo
.LBB174_620:
	s_mov_b32 s30, 0
.LBB174_621:
	s_delay_alu instid0(SALU_CYCLE_1)
	s_and_not1_b32 vcc_lo, exec_lo, s30
	s_cbranch_vccnz .LBB174_623
; %bb.622:
	s_wait_loadcnt 0x0
	global_load_b32 v2, v[0:1], off
	s_wait_loadcnt 0x0
	v_cvt_f32_f16_e32 v3, v2
	v_cmp_o_f16_e32 vcc_lo, v2, v2
	s_delay_alu instid0(VALU_DEP_2) | instskip(NEXT) | instid1(VALU_DEP_1)
	v_bfe_u32 v4, v3, 16, 1
	v_add3_u32 v3, v3, v4, 0x7fff
	s_delay_alu instid0(VALU_DEP_1) | instskip(NEXT) | instid1(VALU_DEP_1)
	v_lshrrev_b32_e32 v3, 16, v3
	v_cndmask_b32_e32 v2, 0x7fc0, v3, vcc_lo
.LBB174_623:
	s_mov_b32 s30, 0
.LBB174_624:
	s_delay_alu instid0(SALU_CYCLE_1)
	s_and_not1_b32 vcc_lo, exec_lo, s30
	s_cbranch_vccnz .LBB174_635
; %bb.625:
	s_cmp_lt_i32 s0, 6
	s_cbranch_scc1 .LBB174_628
; %bb.626:
	s_cmp_gt_i32 s0, 6
	s_cbranch_scc0 .LBB174_629
; %bb.627:
	s_wait_loadcnt 0x0
	global_load_b64 v[2:3], v[0:1], off
	s_mov_b32 s30, 0
	s_wait_loadcnt 0x0
	v_cvt_f32_f64_e32 v2, v[2:3]
	s_delay_alu instid0(VALU_DEP_1) | instskip(SKIP_1) | instid1(VALU_DEP_2)
	v_bfe_u32 v3, v2, 16, 1
	v_cmp_o_f32_e32 vcc_lo, v2, v2
	v_add3_u32 v3, v2, v3, 0x7fff
	s_delay_alu instid0(VALU_DEP_1) | instskip(NEXT) | instid1(VALU_DEP_1)
	v_lshrrev_b32_e32 v3, 16, v3
	v_cndmask_b32_e32 v2, 0x7fc0, v3, vcc_lo
	s_branch .LBB174_630
.LBB174_628:
	s_mov_b32 s30, -1
                                        ; implicit-def: $vgpr2
	s_branch .LBB174_633
.LBB174_629:
	s_mov_b32 s30, -1
                                        ; implicit-def: $vgpr2
.LBB174_630:
	s_delay_alu instid0(SALU_CYCLE_1)
	s_and_not1_b32 vcc_lo, exec_lo, s30
	s_cbranch_vccnz .LBB174_632
; %bb.631:
	s_wait_loadcnt 0x0
	global_load_b32 v2, v[0:1], off
	s_wait_loadcnt 0x0
	v_bfe_u32 v3, v2, 16, 1
	v_cmp_o_f32_e32 vcc_lo, v2, v2
	s_delay_alu instid0(VALU_DEP_2) | instskip(NEXT) | instid1(VALU_DEP_1)
	v_add3_u32 v3, v2, v3, 0x7fff
	v_lshrrev_b32_e32 v3, 16, v3
	s_delay_alu instid0(VALU_DEP_1)
	v_cndmask_b32_e32 v2, 0x7fc0, v3, vcc_lo
.LBB174_632:
	s_mov_b32 s30, 0
.LBB174_633:
	s_delay_alu instid0(SALU_CYCLE_1)
	s_and_not1_b32 vcc_lo, exec_lo, s30
	s_cbranch_vccnz .LBB174_635
; %bb.634:
	s_wait_loadcnt 0x0
	global_load_u16 v2, v[0:1], off
	s_wait_loadcnt 0x0
	v_cvt_f32_f16_e32 v3, v2
	v_cmp_o_f16_e32 vcc_lo, v2, v2
	s_delay_alu instid0(VALU_DEP_2) | instskip(NEXT) | instid1(VALU_DEP_1)
	v_bfe_u32 v4, v3, 16, 1
	v_add3_u32 v3, v3, v4, 0x7fff
	s_delay_alu instid0(VALU_DEP_1) | instskip(NEXT) | instid1(VALU_DEP_1)
	v_lshrrev_b32_e32 v3, 16, v3
	v_cndmask_b32_e32 v2, 0x7fc0, v3, vcc_lo
.LBB174_635:
	s_mov_b32 s30, 0
.LBB174_636:
	s_delay_alu instid0(SALU_CYCLE_1)
	s_and_not1_b32 vcc_lo, exec_lo, s30
	s_cbranch_vccnz .LBB174_656
; %bb.637:
	s_cmp_lt_i32 s0, 2
	s_cbranch_scc1 .LBB174_641
; %bb.638:
	s_cmp_lt_i32 s0, 3
	s_cbranch_scc1 .LBB174_642
; %bb.639:
	s_cmp_gt_i32 s0, 3
	s_cbranch_scc0 .LBB174_643
; %bb.640:
	s_wait_loadcnt 0x0
	global_load_b64 v[2:3], v[0:1], off
	s_mov_b32 s30, 0
	s_wait_loadcnt 0x0
	v_xor_b32_e32 v4, v2, v3
	v_cls_i32_e32 v5, v3
	s_delay_alu instid0(VALU_DEP_2) | instskip(NEXT) | instid1(VALU_DEP_1)
	v_ashrrev_i32_e32 v4, 31, v4
	v_add_nc_u32_e32 v4, 32, v4
	s_delay_alu instid0(VALU_DEP_1) | instskip(NEXT) | instid1(VALU_DEP_1)
	v_add_min_u32_e64 v4, v5, -1, v4
	v_lshlrev_b64_e32 v[2:3], v4, v[2:3]
	s_delay_alu instid0(VALU_DEP_1) | instskip(NEXT) | instid1(VALU_DEP_1)
	v_min_u32_e32 v2, 1, v2
	v_dual_sub_nc_u32 v3, 32, v4 :: v_dual_bitop2_b32 v2, v3, v2 bitop3:0x54
	s_delay_alu instid0(VALU_DEP_1) | instskip(NEXT) | instid1(VALU_DEP_1)
	v_cvt_f32_i32_e32 v2, v2
	v_ldexp_f32 v2, v2, v3
	s_delay_alu instid0(VALU_DEP_1) | instskip(NEXT) | instid1(VALU_DEP_1)
	v_bfe_u32 v3, v2, 16, 1
	v_add3_u32 v2, v2, v3, 0x7fff
	s_delay_alu instid0(VALU_DEP_1)
	v_lshrrev_b32_e32 v2, 16, v2
	s_branch .LBB174_644
.LBB174_641:
	s_mov_b32 s30, -1
                                        ; implicit-def: $vgpr2
	s_branch .LBB174_650
.LBB174_642:
	s_mov_b32 s30, -1
                                        ; implicit-def: $vgpr2
	s_branch .LBB174_647
.LBB174_643:
	s_mov_b32 s30, -1
                                        ; implicit-def: $vgpr2
.LBB174_644:
	s_delay_alu instid0(SALU_CYCLE_1)
	s_and_not1_b32 vcc_lo, exec_lo, s30
	s_cbranch_vccnz .LBB174_646
; %bb.645:
	s_wait_loadcnt 0x0
	global_load_b32 v2, v[0:1], off
	s_wait_loadcnt 0x0
	v_cvt_f32_i32_e32 v2, v2
	s_delay_alu instid0(VALU_DEP_1) | instskip(NEXT) | instid1(VALU_DEP_1)
	v_bfe_u32 v3, v2, 16, 1
	v_add3_u32 v2, v2, v3, 0x7fff
	s_delay_alu instid0(VALU_DEP_1)
	v_lshrrev_b32_e32 v2, 16, v2
.LBB174_646:
	s_mov_b32 s30, 0
.LBB174_647:
	s_delay_alu instid0(SALU_CYCLE_1)
	s_and_not1_b32 vcc_lo, exec_lo, s30
	s_cbranch_vccnz .LBB174_649
; %bb.648:
	s_wait_loadcnt 0x0
	global_load_i16 v2, v[0:1], off
	s_wait_loadcnt 0x0
	v_cvt_f32_i32_e32 v2, v2
	s_delay_alu instid0(VALU_DEP_1) | instskip(NEXT) | instid1(VALU_DEP_1)
	v_bfe_u32 v3, v2, 16, 1
	v_add3_u32 v2, v2, v3, 0x7fff
	s_delay_alu instid0(VALU_DEP_1)
	v_lshrrev_b32_e32 v2, 16, v2
.LBB174_649:
	s_mov_b32 s30, 0
.LBB174_650:
	s_delay_alu instid0(SALU_CYCLE_1)
	s_and_not1_b32 vcc_lo, exec_lo, s30
	s_cbranch_vccnz .LBB174_656
; %bb.651:
	s_cmp_gt_i32 s0, 0
	s_mov_b32 s0, 0
	s_cbranch_scc0 .LBB174_653
; %bb.652:
	s_wait_loadcnt 0x0
	global_load_i8 v2, v[0:1], off
	s_wait_loadcnt 0x0
	v_cvt_f32_i32_e32 v2, v2
	s_delay_alu instid0(VALU_DEP_1) | instskip(NEXT) | instid1(VALU_DEP_1)
	v_bfe_u32 v3, v2, 16, 1
	v_add3_u32 v2, v2, v3, 0x7fff
	s_delay_alu instid0(VALU_DEP_1)
	v_lshrrev_b32_e32 v2, 16, v2
	s_branch .LBB174_654
.LBB174_653:
	s_mov_b32 s0, -1
                                        ; implicit-def: $vgpr2
.LBB174_654:
	s_delay_alu instid0(SALU_CYCLE_1)
	s_and_not1_b32 vcc_lo, exec_lo, s0
	s_cbranch_vccnz .LBB174_656
; %bb.655:
	global_load_u8 v0, v[0:1], off
	s_wait_loadcnt 0x0
	v_cvt_f32_ubyte0_e32 v0, v0
	s_delay_alu instid0(VALU_DEP_1) | instskip(NEXT) | instid1(VALU_DEP_1)
	v_bfe_u32 v1, v0, 16, 1
	v_add3_u32 v0, v0, v1, 0x7fff
	s_delay_alu instid0(VALU_DEP_1)
	v_lshrrev_b32_e32 v2, 16, v0
.LBB174_656:
	s_branch .LBB174_526
.LBB174_657:
	s_mov_b32 s35, 0
	s_mov_b32 s0, s23
	;; [unrolled: 1-line block ×4, first 2 shown]
	s_branch .LBB174_1033
.LBB174_658:
	s_and_not1_saveexec_b32 s34, s34
	s_cbranch_execz .LBB174_421
.LBB174_659:
	v_add_f32_e64 v4, 0x46000000, |v5|
	s_and_not1_b32 s33, s33, exec_lo
	s_delay_alu instid0(VALU_DEP_1) | instskip(NEXT) | instid1(VALU_DEP_1)
	v_and_b32_e32 v4, 0xff, v4
	v_cmp_ne_u32_e32 vcc_lo, 0, v4
	s_and_b32 s35, vcc_lo, exec_lo
	s_delay_alu instid0(SALU_CYCLE_1)
	s_or_b32 s33, s33, s35
	s_or_b32 exec_lo, exec_lo, s34
	v_mov_b32_e32 v6, 0
	s_and_saveexec_b32 s34, s33
	s_cbranch_execnz .LBB174_422
	s_branch .LBB174_423
.LBB174_660:
	s_mov_b32 s33, -1
	s_mov_b32 s31, 0
.LBB174_661:
                                        ; implicit-def: $vgpr3
.LBB174_662:
	s_and_b32 vcc_lo, exec_lo, s35
	s_cbranch_vccz .LBB174_666
; %bb.663:
	s_cmp_eq_u32 s30, 44
	s_cbranch_scc0 .LBB174_665
; %bb.664:
	s_wait_loadcnt 0x0
	global_load_u8 v3, v[0:1], off
	s_mov_b32 s33, 0
	s_mov_b32 s31, -1
	s_wait_loadcnt 0x0
	v_lshlrev_b32_e32 v4, 23, v3
	v_cmp_ne_u32_e32 vcc_lo, 0xff, v3
	s_delay_alu instid0(VALU_DEP_2) | instskip(SKIP_1) | instid1(VALU_DEP_2)
	v_cndmask_b32_e32 v4, 0x7f800001, v4, vcc_lo
	v_cmp_ne_u32_e32 vcc_lo, 0, v3
	v_cndmask_b32_e32 v3, 0x400000, v4, vcc_lo
	s_delay_alu instid0(VALU_DEP_1) | instskip(NEXT) | instid1(VALU_DEP_1)
	v_add_nc_u32_e32 v4, 0x7fff, v3
	v_lshrrev_b32_e32 v4, 16, v4
	v_cmp_o_f32_e32 vcc_lo, v3, v3
	s_delay_alu instid0(VALU_DEP_2)
	v_cndmask_b32_e32 v3, 0x7fc0, v4, vcc_lo
	s_branch .LBB174_666
.LBB174_665:
	s_mov_b32 s33, -1
                                        ; implicit-def: $vgpr3
.LBB174_666:
	s_mov_b32 s35, 0
.LBB174_667:
	s_delay_alu instid0(SALU_CYCLE_1)
	s_and_b32 vcc_lo, exec_lo, s35
	s_cbranch_vccz .LBB174_671
; %bb.668:
	s_cmp_eq_u32 s30, 29
	s_cbranch_scc0 .LBB174_670
; %bb.669:
	s_wait_loadcnt 0x0
	global_load_b64 v[4:5], v[0:1], off
	s_mov_b32 s31, -1
	s_mov_b32 s33, 0
	s_mov_b32 s35, 0
	s_wait_loadcnt 0x0
	v_clz_i32_u32_e32 v3, v5
	s_delay_alu instid0(VALU_DEP_1) | instskip(NEXT) | instid1(VALU_DEP_1)
	v_min_u32_e32 v3, 32, v3
	v_lshlrev_b64_e32 v[4:5], v3, v[4:5]
	v_sub_nc_u32_e32 v3, 32, v3
	s_delay_alu instid0(VALU_DEP_2) | instskip(NEXT) | instid1(VALU_DEP_1)
	v_min_u32_e32 v4, 1, v4
	v_or_b32_e32 v4, v5, v4
	s_delay_alu instid0(VALU_DEP_1) | instskip(NEXT) | instid1(VALU_DEP_1)
	v_cvt_f32_u32_e32 v4, v4
	v_ldexp_f32 v3, v4, v3
	s_delay_alu instid0(VALU_DEP_1) | instskip(NEXT) | instid1(VALU_DEP_1)
	v_bfe_u32 v4, v3, 16, 1
	v_add3_u32 v3, v3, v4, 0x7fff
	s_delay_alu instid0(VALU_DEP_1)
	v_lshrrev_b32_e32 v3, 16, v3
	s_branch .LBB174_672
.LBB174_670:
	s_mov_b32 s33, -1
                                        ; implicit-def: $vgpr3
.LBB174_671:
	s_mov_b32 s35, 0
.LBB174_672:
	s_delay_alu instid0(SALU_CYCLE_1)
	s_and_b32 vcc_lo, exec_lo, s35
	s_cbranch_vccz .LBB174_690
; %bb.673:
	s_cmp_lt_i32 s30, 27
	s_cbranch_scc1 .LBB174_676
; %bb.674:
	s_cmp_gt_i32 s30, 27
	s_cbranch_scc0 .LBB174_677
; %bb.675:
	s_wait_loadcnt 0x0
	global_load_b32 v3, v[0:1], off
	s_mov_b32 s31, 0
	s_wait_loadcnt 0x0
	v_cvt_f32_u32_e32 v3, v3
	s_delay_alu instid0(VALU_DEP_1) | instskip(NEXT) | instid1(VALU_DEP_1)
	v_bfe_u32 v4, v3, 16, 1
	v_add3_u32 v3, v3, v4, 0x7fff
	s_delay_alu instid0(VALU_DEP_1)
	v_lshrrev_b32_e32 v3, 16, v3
	s_branch .LBB174_678
.LBB174_676:
	s_mov_b32 s31, -1
                                        ; implicit-def: $vgpr3
	s_branch .LBB174_681
.LBB174_677:
	s_mov_b32 s31, -1
                                        ; implicit-def: $vgpr3
.LBB174_678:
	s_delay_alu instid0(SALU_CYCLE_1)
	s_and_not1_b32 vcc_lo, exec_lo, s31
	s_cbranch_vccnz .LBB174_680
; %bb.679:
	s_wait_loadcnt 0x0
	global_load_u16 v3, v[0:1], off
	s_wait_loadcnt 0x0
	v_cvt_f32_u32_e32 v3, v3
	s_delay_alu instid0(VALU_DEP_1) | instskip(NEXT) | instid1(VALU_DEP_1)
	v_bfe_u32 v4, v3, 16, 1
	v_add3_u32 v3, v3, v4, 0x7fff
	s_delay_alu instid0(VALU_DEP_1)
	v_lshrrev_b32_e32 v3, 16, v3
.LBB174_680:
	s_mov_b32 s31, 0
.LBB174_681:
	s_delay_alu instid0(SALU_CYCLE_1)
	s_and_not1_b32 vcc_lo, exec_lo, s31
	s_cbranch_vccnz .LBB174_689
; %bb.682:
	s_wait_loadcnt 0x0
	global_load_u8 v3, v[0:1], off
	s_mov_b32 s31, 0
	s_mov_b32 s35, exec_lo
	s_wait_loadcnt 0x0
	v_cmpx_lt_i16_e32 0x7f, v3
	s_xor_b32 s35, exec_lo, s35
	s_cbranch_execz .LBB174_703
; %bb.683:
	s_mov_b32 s31, -1
	s_mov_b32 s36, exec_lo
	v_cmpx_eq_u16_e32 0x80, v3
; %bb.684:
	s_xor_b32 s31, exec_lo, -1
; %bb.685:
	s_or_b32 exec_lo, exec_lo, s36
	s_delay_alu instid0(SALU_CYCLE_1)
	s_and_b32 s31, s31, exec_lo
	s_or_saveexec_b32 s35, s35
	v_mov_b32_e32 v4, 0x7f800001
	s_xor_b32 exec_lo, exec_lo, s35
	s_cbranch_execnz .LBB174_704
.LBB174_686:
	s_or_b32 exec_lo, exec_lo, s35
	s_and_saveexec_b32 s35, s31
	s_cbranch_execz .LBB174_688
.LBB174_687:
	v_and_b32_e32 v4, 0xffff, v3
	s_delay_alu instid0(VALU_DEP_1) | instskip(SKIP_1) | instid1(VALU_DEP_2)
	v_and_b32_e32 v5, 7, v4
	v_bfe_u32 v9, v4, 3, 4
	v_clz_i32_u32_e32 v6, v5
	s_delay_alu instid0(VALU_DEP_2) | instskip(NEXT) | instid1(VALU_DEP_2)
	v_cmp_eq_u32_e32 vcc_lo, 0, v9
	v_min_u32_e32 v6, 32, v6
	s_delay_alu instid0(VALU_DEP_1) | instskip(NEXT) | instid1(VALU_DEP_1)
	v_subrev_nc_u32_e32 v7, 28, v6
	v_dual_lshlrev_b32 v4, v7, v4 :: v_dual_sub_nc_u32 v6, 29, v6
	s_delay_alu instid0(VALU_DEP_1) | instskip(NEXT) | instid1(VALU_DEP_2)
	v_dual_lshlrev_b32 v3, 24, v3 :: v_dual_bitop2_b32 v4, 7, v4 bitop3:0x40
	v_cndmask_b32_e32 v6, v9, v6, vcc_lo
	s_delay_alu instid0(VALU_DEP_2) | instskip(NEXT) | instid1(VALU_DEP_3)
	v_cndmask_b32_e32 v4, v5, v4, vcc_lo
	v_and_b32_e32 v3, 0x80000000, v3
	s_delay_alu instid0(VALU_DEP_3) | instskip(NEXT) | instid1(VALU_DEP_3)
	v_lshl_add_u32 v5, v6, 23, 0x3b800000
	v_lshlrev_b32_e32 v4, 20, v4
	s_delay_alu instid0(VALU_DEP_1)
	v_or3_b32 v4, v3, v5, v4
.LBB174_688:
	s_or_b32 exec_lo, exec_lo, s35
	s_delay_alu instid0(VALU_DEP_1) | instskip(SKIP_1) | instid1(VALU_DEP_2)
	v_bfe_u32 v3, v4, 16, 1
	v_cmp_o_f32_e32 vcc_lo, v4, v4
	v_add3_u32 v3, v4, v3, 0x7fff
	s_delay_alu instid0(VALU_DEP_1) | instskip(NEXT) | instid1(VALU_DEP_1)
	v_lshrrev_b32_e32 v3, 16, v3
	v_cndmask_b32_e32 v3, 0x7fc0, v3, vcc_lo
.LBB174_689:
	s_mov_b32 s31, -1
.LBB174_690:
	s_mov_b32 s35, 0
.LBB174_691:
	s_delay_alu instid0(SALU_CYCLE_1)
	s_and_b32 vcc_lo, exec_lo, s35
	s_cbranch_vccz .LBB174_726
; %bb.692:
	s_cmp_gt_i32 s30, 22
	s_cbranch_scc0 .LBB174_702
; %bb.693:
	s_cmp_lt_i32 s30, 24
	s_cbranch_scc1 .LBB174_705
; %bb.694:
	s_cmp_gt_i32 s30, 24
	s_cbranch_scc0 .LBB174_706
; %bb.695:
	s_wait_loadcnt 0x0
	global_load_u8 v3, v[0:1], off
	s_mov_b32 s31, 0
	s_mov_b32 s35, exec_lo
	s_wait_loadcnt 0x0
	v_cmpx_lt_i16_e32 0x7f, v3
	s_xor_b32 s35, exec_lo, s35
	s_cbranch_execz .LBB174_718
; %bb.696:
	s_mov_b32 s31, -1
	s_mov_b32 s36, exec_lo
	v_cmpx_eq_u16_e32 0x80, v3
; %bb.697:
	s_xor_b32 s31, exec_lo, -1
; %bb.698:
	s_or_b32 exec_lo, exec_lo, s36
	s_delay_alu instid0(SALU_CYCLE_1)
	s_and_b32 s31, s31, exec_lo
	s_or_saveexec_b32 s35, s35
	v_mov_b32_e32 v4, 0x7f800001
	s_xor_b32 exec_lo, exec_lo, s35
	s_cbranch_execnz .LBB174_719
.LBB174_699:
	s_or_b32 exec_lo, exec_lo, s35
	s_and_saveexec_b32 s35, s31
	s_cbranch_execz .LBB174_701
.LBB174_700:
	v_and_b32_e32 v4, 0xffff, v3
	s_delay_alu instid0(VALU_DEP_1) | instskip(SKIP_1) | instid1(VALU_DEP_2)
	v_and_b32_e32 v5, 3, v4
	v_bfe_u32 v9, v4, 2, 5
	v_clz_i32_u32_e32 v6, v5
	s_delay_alu instid0(VALU_DEP_2) | instskip(NEXT) | instid1(VALU_DEP_2)
	v_cmp_eq_u32_e32 vcc_lo, 0, v9
	v_min_u32_e32 v6, 32, v6
	s_delay_alu instid0(VALU_DEP_1) | instskip(NEXT) | instid1(VALU_DEP_1)
	v_subrev_nc_u32_e32 v7, 29, v6
	v_dual_lshlrev_b32 v4, v7, v4 :: v_dual_sub_nc_u32 v6, 30, v6
	s_delay_alu instid0(VALU_DEP_1) | instskip(NEXT) | instid1(VALU_DEP_2)
	v_dual_lshlrev_b32 v3, 24, v3 :: v_dual_bitop2_b32 v4, 3, v4 bitop3:0x40
	v_cndmask_b32_e32 v6, v9, v6, vcc_lo
	s_delay_alu instid0(VALU_DEP_2) | instskip(NEXT) | instid1(VALU_DEP_3)
	v_cndmask_b32_e32 v4, v5, v4, vcc_lo
	v_and_b32_e32 v3, 0x80000000, v3
	s_delay_alu instid0(VALU_DEP_3) | instskip(NEXT) | instid1(VALU_DEP_3)
	v_lshl_add_u32 v5, v6, 23, 0x37800000
	v_lshlrev_b32_e32 v4, 21, v4
	s_delay_alu instid0(VALU_DEP_1)
	v_or3_b32 v4, v3, v5, v4
.LBB174_701:
	s_or_b32 exec_lo, exec_lo, s35
	s_delay_alu instid0(VALU_DEP_1) | instskip(SKIP_2) | instid1(VALU_DEP_2)
	v_bfe_u32 v3, v4, 16, 1
	v_cmp_o_f32_e32 vcc_lo, v4, v4
	s_mov_b32 s31, 0
	v_add3_u32 v3, v4, v3, 0x7fff
	s_delay_alu instid0(VALU_DEP_1) | instskip(NEXT) | instid1(VALU_DEP_1)
	v_lshrrev_b32_e32 v3, 16, v3
	v_cndmask_b32_e32 v3, 0x7fc0, v3, vcc_lo
	s_branch .LBB174_707
.LBB174_702:
	s_mov_b32 s35, -1
                                        ; implicit-def: $vgpr3
	s_branch .LBB174_713
.LBB174_703:
	s_or_saveexec_b32 s35, s35
	v_mov_b32_e32 v4, 0x7f800001
	s_xor_b32 exec_lo, exec_lo, s35
	s_cbranch_execz .LBB174_686
.LBB174_704:
	v_cmp_ne_u16_e32 vcc_lo, 0, v3
	v_mov_b32_e32 v4, 0
	s_and_not1_b32 s31, s31, exec_lo
	s_and_b32 s36, vcc_lo, exec_lo
	s_delay_alu instid0(SALU_CYCLE_1)
	s_or_b32 s31, s31, s36
	s_or_b32 exec_lo, exec_lo, s35
	s_and_saveexec_b32 s35, s31
	s_cbranch_execnz .LBB174_687
	s_branch .LBB174_688
.LBB174_705:
	s_mov_b32 s31, -1
                                        ; implicit-def: $vgpr3
	s_branch .LBB174_710
.LBB174_706:
	s_mov_b32 s31, -1
                                        ; implicit-def: $vgpr3
.LBB174_707:
	s_delay_alu instid0(SALU_CYCLE_1)
	s_and_b32 vcc_lo, exec_lo, s31
	s_cbranch_vccz .LBB174_709
; %bb.708:
	s_wait_loadcnt 0x0
	global_load_u8 v3, v[0:1], off
	s_wait_loadcnt 0x0
	v_lshlrev_b32_e32 v3, 24, v3
	s_delay_alu instid0(VALU_DEP_1) | instskip(NEXT) | instid1(VALU_DEP_1)
	v_and_b32_e32 v4, 0x7f000000, v3
	v_clz_i32_u32_e32 v5, v4
	v_cmp_ne_u32_e32 vcc_lo, 0, v4
	v_add_nc_u32_e32 v7, 0x1000000, v4
	s_delay_alu instid0(VALU_DEP_3) | instskip(NEXT) | instid1(VALU_DEP_1)
	v_min_u32_e32 v5, 32, v5
	v_sub_nc_u32_e64 v5, v5, 4 clamp
	s_delay_alu instid0(VALU_DEP_1) | instskip(NEXT) | instid1(VALU_DEP_1)
	v_dual_lshlrev_b32 v6, v5, v4 :: v_dual_lshlrev_b32 v5, 23, v5
	v_lshrrev_b32_e32 v6, 4, v6
	s_delay_alu instid0(VALU_DEP_1) | instskip(NEXT) | instid1(VALU_DEP_1)
	v_dual_sub_nc_u32 v5, v6, v5 :: v_dual_ashrrev_i32 v6, 8, v7
	v_add_nc_u32_e32 v5, 0x3c000000, v5
	s_delay_alu instid0(VALU_DEP_1) | instskip(NEXT) | instid1(VALU_DEP_1)
	v_and_or_b32 v5, 0x7f800000, v6, v5
	v_cndmask_b32_e32 v4, 0, v5, vcc_lo
	s_delay_alu instid0(VALU_DEP_1) | instskip(SKIP_1) | instid1(VALU_DEP_2)
	v_and_or_b32 v3, 0x80000000, v3, v4
	v_bfe_u32 v4, v4, 16, 1
	v_cmp_o_f32_e32 vcc_lo, v3, v3
	s_delay_alu instid0(VALU_DEP_2) | instskip(NEXT) | instid1(VALU_DEP_1)
	v_add3_u32 v4, v3, v4, 0x7fff
	v_lshrrev_b32_e32 v4, 16, v4
	s_delay_alu instid0(VALU_DEP_1)
	v_cndmask_b32_e32 v3, 0x7fc0, v4, vcc_lo
.LBB174_709:
	s_mov_b32 s31, 0
.LBB174_710:
	s_delay_alu instid0(SALU_CYCLE_1)
	s_and_not1_b32 vcc_lo, exec_lo, s31
	s_cbranch_vccnz .LBB174_712
; %bb.711:
	s_wait_loadcnt 0x0
	global_load_u8 v3, v[0:1], off
	s_wait_loadcnt 0x0
	v_lshlrev_b32_e32 v4, 25, v3
	v_lshlrev_b16 v3, 8, v3
	s_delay_alu instid0(VALU_DEP_1) | instskip(SKIP_1) | instid1(VALU_DEP_2)
	v_and_or_b32 v6, 0x7f00, v3, 0.5
	v_bfe_i32 v3, v3, 0, 16
	v_dual_add_f32 v6, -0.5, v6 :: v_dual_lshrrev_b32 v5, 4, v4
	v_cmp_gt_u32_e32 vcc_lo, 0x8000000, v4
	s_delay_alu instid0(VALU_DEP_2) | instskip(NEXT) | instid1(VALU_DEP_1)
	v_or_b32_e32 v5, 0x70000000, v5
	v_mul_f32_e32 v5, 0x7800000, v5
	s_delay_alu instid0(VALU_DEP_1) | instskip(NEXT) | instid1(VALU_DEP_1)
	v_cndmask_b32_e32 v4, v5, v6, vcc_lo
	v_and_or_b32 v3, 0x80000000, v3, v4
	v_bfe_u32 v4, v4, 16, 1
	s_delay_alu instid0(VALU_DEP_2) | instskip(NEXT) | instid1(VALU_DEP_2)
	v_cmp_o_f32_e32 vcc_lo, v3, v3
	v_add3_u32 v4, v3, v4, 0x7fff
	s_delay_alu instid0(VALU_DEP_1) | instskip(NEXT) | instid1(VALU_DEP_1)
	v_lshrrev_b32_e32 v4, 16, v4
	v_cndmask_b32_e32 v3, 0x7fc0, v4, vcc_lo
.LBB174_712:
	s_mov_b32 s35, 0
	s_mov_b32 s31, -1
.LBB174_713:
	s_and_not1_b32 vcc_lo, exec_lo, s35
	s_cbranch_vccnz .LBB174_726
; %bb.714:
	s_cmp_gt_i32 s30, 14
	s_cbranch_scc0 .LBB174_717
; %bb.715:
	s_cmp_eq_u32 s30, 15
	s_cbranch_scc0 .LBB174_720
; %bb.716:
	s_wait_loadcnt 0x0
	global_load_u16 v3, v[0:1], off
	s_mov_b32 s31, -1
	s_mov_b32 s33, 0
	s_branch .LBB174_721
.LBB174_717:
	s_mov_b32 s35, -1
                                        ; implicit-def: $vgpr3
	s_branch .LBB174_722
.LBB174_718:
	s_or_saveexec_b32 s35, s35
	v_mov_b32_e32 v4, 0x7f800001
	s_xor_b32 exec_lo, exec_lo, s35
	s_cbranch_execz .LBB174_699
.LBB174_719:
	v_cmp_ne_u16_e32 vcc_lo, 0, v3
	v_mov_b32_e32 v4, 0
	s_and_not1_b32 s31, s31, exec_lo
	s_and_b32 s36, vcc_lo, exec_lo
	s_delay_alu instid0(SALU_CYCLE_1)
	s_or_b32 s31, s31, s36
	s_or_b32 exec_lo, exec_lo, s35
	s_and_saveexec_b32 s35, s31
	s_cbranch_execnz .LBB174_700
	s_branch .LBB174_701
.LBB174_720:
	s_mov_b32 s33, -1
                                        ; implicit-def: $vgpr3
.LBB174_721:
	s_mov_b32 s35, 0
.LBB174_722:
	s_delay_alu instid0(SALU_CYCLE_1)
	s_and_b32 vcc_lo, exec_lo, s35
	s_cbranch_vccz .LBB174_726
; %bb.723:
	s_cmp_eq_u32 s30, 11
	s_cbranch_scc0 .LBB174_725
; %bb.724:
	s_wait_loadcnt 0x0
	global_load_u8 v3, v[0:1], off
	s_mov_b32 s33, 0
	s_mov_b32 s31, -1
	s_wait_loadcnt 0x0
	v_cmp_ne_u16_e32 vcc_lo, 0, v3
	v_cndmask_b32_e64 v3, 0, 1.0, vcc_lo
	s_delay_alu instid0(VALU_DEP_1)
	v_lshrrev_b32_e32 v3, 16, v3
	s_branch .LBB174_726
.LBB174_725:
	s_mov_b32 s33, -1
                                        ; implicit-def: $vgpr3
.LBB174_726:
	s_mov_b32 s30, 0
.LBB174_727:
	s_delay_alu instid0(SALU_CYCLE_1)
	s_and_b32 vcc_lo, exec_lo, s30
	s_cbranch_vccz .LBB174_776
; %bb.728:
	s_and_b32 s0, 0xffff, s0
	s_delay_alu instid0(SALU_CYCLE_1)
	s_cmp_lt_i32 s0, 5
	s_cbranch_scc1 .LBB174_733
; %bb.729:
	s_cmp_lt_i32 s0, 8
	s_cbranch_scc1 .LBB174_734
; %bb.730:
	;; [unrolled: 3-line block ×3, first 2 shown]
	s_cmp_gt_i32 s0, 9
	s_cbranch_scc0 .LBB174_736
; %bb.732:
	s_wait_loadcnt 0x0
	global_load_b64 v[4:5], v[0:1], off
	s_mov_b32 s30, 0
	s_wait_loadcnt 0x0
	v_cvt_f32_f64_e32 v3, v[4:5]
	s_delay_alu instid0(VALU_DEP_1) | instskip(SKIP_1) | instid1(VALU_DEP_2)
	v_bfe_u32 v4, v3, 16, 1
	v_cmp_o_f32_e32 vcc_lo, v3, v3
	v_add3_u32 v4, v3, v4, 0x7fff
	s_delay_alu instid0(VALU_DEP_1) | instskip(NEXT) | instid1(VALU_DEP_1)
	v_lshrrev_b32_e32 v4, 16, v4
	v_cndmask_b32_e32 v3, 0x7fc0, v4, vcc_lo
	s_branch .LBB174_737
.LBB174_733:
	s_mov_b32 s30, -1
                                        ; implicit-def: $vgpr3
	s_branch .LBB174_755
.LBB174_734:
	s_mov_b32 s30, -1
                                        ; implicit-def: $vgpr3
	s_branch .LBB174_743
.LBB174_735:
	s_mov_b32 s30, -1
                                        ; implicit-def: $vgpr3
	s_branch .LBB174_740
.LBB174_736:
	s_mov_b32 s30, -1
                                        ; implicit-def: $vgpr3
.LBB174_737:
	s_delay_alu instid0(SALU_CYCLE_1)
	s_and_not1_b32 vcc_lo, exec_lo, s30
	s_cbranch_vccnz .LBB174_739
; %bb.738:
	s_wait_loadcnt 0x0
	global_load_b32 v3, v[0:1], off
	s_wait_loadcnt 0x0
	v_bfe_u32 v4, v3, 16, 1
	v_cmp_o_f32_e32 vcc_lo, v3, v3
	s_delay_alu instid0(VALU_DEP_2) | instskip(NEXT) | instid1(VALU_DEP_1)
	v_add3_u32 v4, v3, v4, 0x7fff
	v_lshrrev_b32_e32 v4, 16, v4
	s_delay_alu instid0(VALU_DEP_1)
	v_cndmask_b32_e32 v3, 0x7fc0, v4, vcc_lo
.LBB174_739:
	s_mov_b32 s30, 0
.LBB174_740:
	s_delay_alu instid0(SALU_CYCLE_1)
	s_and_not1_b32 vcc_lo, exec_lo, s30
	s_cbranch_vccnz .LBB174_742
; %bb.741:
	s_wait_loadcnt 0x0
	global_load_b32 v3, v[0:1], off
	s_wait_loadcnt 0x0
	v_cvt_f32_f16_e32 v4, v3
	v_cmp_o_f16_e32 vcc_lo, v3, v3
	s_delay_alu instid0(VALU_DEP_2) | instskip(NEXT) | instid1(VALU_DEP_1)
	v_bfe_u32 v5, v4, 16, 1
	v_add3_u32 v4, v4, v5, 0x7fff
	s_delay_alu instid0(VALU_DEP_1) | instskip(NEXT) | instid1(VALU_DEP_1)
	v_lshrrev_b32_e32 v4, 16, v4
	v_cndmask_b32_e32 v3, 0x7fc0, v4, vcc_lo
.LBB174_742:
	s_mov_b32 s30, 0
.LBB174_743:
	s_delay_alu instid0(SALU_CYCLE_1)
	s_and_not1_b32 vcc_lo, exec_lo, s30
	s_cbranch_vccnz .LBB174_754
; %bb.744:
	s_cmp_lt_i32 s0, 6
	s_cbranch_scc1 .LBB174_747
; %bb.745:
	s_cmp_gt_i32 s0, 6
	s_cbranch_scc0 .LBB174_748
; %bb.746:
	s_wait_loadcnt 0x0
	global_load_b64 v[4:5], v[0:1], off
	s_mov_b32 s30, 0
	s_wait_loadcnt 0x0
	v_cvt_f32_f64_e32 v3, v[4:5]
	s_delay_alu instid0(VALU_DEP_1) | instskip(SKIP_1) | instid1(VALU_DEP_2)
	v_bfe_u32 v4, v3, 16, 1
	v_cmp_o_f32_e32 vcc_lo, v3, v3
	v_add3_u32 v4, v3, v4, 0x7fff
	s_delay_alu instid0(VALU_DEP_1) | instskip(NEXT) | instid1(VALU_DEP_1)
	v_lshrrev_b32_e32 v4, 16, v4
	v_cndmask_b32_e32 v3, 0x7fc0, v4, vcc_lo
	s_branch .LBB174_749
.LBB174_747:
	s_mov_b32 s30, -1
                                        ; implicit-def: $vgpr3
	s_branch .LBB174_752
.LBB174_748:
	s_mov_b32 s30, -1
                                        ; implicit-def: $vgpr3
.LBB174_749:
	s_delay_alu instid0(SALU_CYCLE_1)
	s_and_not1_b32 vcc_lo, exec_lo, s30
	s_cbranch_vccnz .LBB174_751
; %bb.750:
	s_wait_loadcnt 0x0
	global_load_b32 v3, v[0:1], off
	s_wait_loadcnt 0x0
	v_bfe_u32 v4, v3, 16, 1
	v_cmp_o_f32_e32 vcc_lo, v3, v3
	s_delay_alu instid0(VALU_DEP_2) | instskip(NEXT) | instid1(VALU_DEP_1)
	v_add3_u32 v4, v3, v4, 0x7fff
	v_lshrrev_b32_e32 v4, 16, v4
	s_delay_alu instid0(VALU_DEP_1)
	v_cndmask_b32_e32 v3, 0x7fc0, v4, vcc_lo
.LBB174_751:
	s_mov_b32 s30, 0
.LBB174_752:
	s_delay_alu instid0(SALU_CYCLE_1)
	s_and_not1_b32 vcc_lo, exec_lo, s30
	s_cbranch_vccnz .LBB174_754
; %bb.753:
	s_wait_loadcnt 0x0
	global_load_u16 v3, v[0:1], off
	s_wait_loadcnt 0x0
	v_cvt_f32_f16_e32 v4, v3
	v_cmp_o_f16_e32 vcc_lo, v3, v3
	s_delay_alu instid0(VALU_DEP_2) | instskip(NEXT) | instid1(VALU_DEP_1)
	v_bfe_u32 v5, v4, 16, 1
	v_add3_u32 v4, v4, v5, 0x7fff
	s_delay_alu instid0(VALU_DEP_1) | instskip(NEXT) | instid1(VALU_DEP_1)
	v_lshrrev_b32_e32 v4, 16, v4
	v_cndmask_b32_e32 v3, 0x7fc0, v4, vcc_lo
.LBB174_754:
	s_mov_b32 s30, 0
.LBB174_755:
	s_delay_alu instid0(SALU_CYCLE_1)
	s_and_not1_b32 vcc_lo, exec_lo, s30
	s_cbranch_vccnz .LBB174_775
; %bb.756:
	s_cmp_lt_i32 s0, 2
	s_cbranch_scc1 .LBB174_760
; %bb.757:
	s_cmp_lt_i32 s0, 3
	s_cbranch_scc1 .LBB174_761
; %bb.758:
	s_cmp_gt_i32 s0, 3
	s_cbranch_scc0 .LBB174_762
; %bb.759:
	s_wait_loadcnt 0x0
	global_load_b64 v[4:5], v[0:1], off
	s_mov_b32 s30, 0
	s_wait_loadcnt 0x0
	v_xor_b32_e32 v3, v4, v5
	v_cls_i32_e32 v6, v5
	s_delay_alu instid0(VALU_DEP_2) | instskip(NEXT) | instid1(VALU_DEP_1)
	v_ashrrev_i32_e32 v3, 31, v3
	v_add_nc_u32_e32 v3, 32, v3
	s_delay_alu instid0(VALU_DEP_1) | instskip(NEXT) | instid1(VALU_DEP_1)
	v_add_min_u32_e64 v3, v6, -1, v3
	v_lshlrev_b64_e32 v[4:5], v3, v[4:5]
	v_sub_nc_u32_e32 v3, 32, v3
	s_delay_alu instid0(VALU_DEP_2) | instskip(NEXT) | instid1(VALU_DEP_1)
	v_min_u32_e32 v4, 1, v4
	v_or_b32_e32 v4, v5, v4
	s_delay_alu instid0(VALU_DEP_1) | instskip(NEXT) | instid1(VALU_DEP_1)
	v_cvt_f32_i32_e32 v4, v4
	v_ldexp_f32 v3, v4, v3
	s_delay_alu instid0(VALU_DEP_1) | instskip(NEXT) | instid1(VALU_DEP_1)
	v_bfe_u32 v4, v3, 16, 1
	v_add3_u32 v3, v3, v4, 0x7fff
	s_delay_alu instid0(VALU_DEP_1)
	v_lshrrev_b32_e32 v3, 16, v3
	s_branch .LBB174_763
.LBB174_760:
	s_mov_b32 s30, -1
                                        ; implicit-def: $vgpr3
	s_branch .LBB174_769
.LBB174_761:
	s_mov_b32 s30, -1
                                        ; implicit-def: $vgpr3
	s_branch .LBB174_766
.LBB174_762:
	s_mov_b32 s30, -1
                                        ; implicit-def: $vgpr3
.LBB174_763:
	s_delay_alu instid0(SALU_CYCLE_1)
	s_and_not1_b32 vcc_lo, exec_lo, s30
	s_cbranch_vccnz .LBB174_765
; %bb.764:
	s_wait_loadcnt 0x0
	global_load_b32 v3, v[0:1], off
	s_wait_loadcnt 0x0
	v_cvt_f32_i32_e32 v3, v3
	s_delay_alu instid0(VALU_DEP_1) | instskip(NEXT) | instid1(VALU_DEP_1)
	v_bfe_u32 v4, v3, 16, 1
	v_add3_u32 v3, v3, v4, 0x7fff
	s_delay_alu instid0(VALU_DEP_1)
	v_lshrrev_b32_e32 v3, 16, v3
.LBB174_765:
	s_mov_b32 s30, 0
.LBB174_766:
	s_delay_alu instid0(SALU_CYCLE_1)
	s_and_not1_b32 vcc_lo, exec_lo, s30
	s_cbranch_vccnz .LBB174_768
; %bb.767:
	s_wait_loadcnt 0x0
	global_load_i16 v3, v[0:1], off
	s_wait_loadcnt 0x0
	v_cvt_f32_i32_e32 v3, v3
	s_delay_alu instid0(VALU_DEP_1) | instskip(NEXT) | instid1(VALU_DEP_1)
	v_bfe_u32 v4, v3, 16, 1
	v_add3_u32 v3, v3, v4, 0x7fff
	s_delay_alu instid0(VALU_DEP_1)
	v_lshrrev_b32_e32 v3, 16, v3
.LBB174_768:
	s_mov_b32 s30, 0
.LBB174_769:
	s_delay_alu instid0(SALU_CYCLE_1)
	s_and_not1_b32 vcc_lo, exec_lo, s30
	s_cbranch_vccnz .LBB174_775
; %bb.770:
	s_cmp_gt_i32 s0, 0
	s_mov_b32 s0, 0
	s_cbranch_scc0 .LBB174_772
; %bb.771:
	s_wait_loadcnt 0x0
	global_load_i8 v3, v[0:1], off
	s_wait_loadcnt 0x0
	v_cvt_f32_i32_e32 v3, v3
	s_delay_alu instid0(VALU_DEP_1) | instskip(NEXT) | instid1(VALU_DEP_1)
	v_bfe_u32 v4, v3, 16, 1
	v_add3_u32 v3, v3, v4, 0x7fff
	s_delay_alu instid0(VALU_DEP_1)
	v_lshrrev_b32_e32 v3, 16, v3
	s_branch .LBB174_773
.LBB174_772:
	s_mov_b32 s0, -1
                                        ; implicit-def: $vgpr3
.LBB174_773:
	s_delay_alu instid0(SALU_CYCLE_1)
	s_and_not1_b32 vcc_lo, exec_lo, s0
	s_cbranch_vccnz .LBB174_775
; %bb.774:
	global_load_u8 v0, v[0:1], off
	s_wait_loadcnt 0x0
	v_cvt_f32_ubyte0_e32 v0, v0
	s_delay_alu instid0(VALU_DEP_1) | instskip(NEXT) | instid1(VALU_DEP_1)
	v_bfe_u32 v1, v0, 16, 1
	v_add3_u32 v0, v0, v1, 0x7fff
	s_delay_alu instid0(VALU_DEP_1)
	v_lshrrev_b32_e32 v3, 16, v0
.LBB174_775:
	s_mov_b32 s31, -1
.LBB174_776:
	s_delay_alu instid0(SALU_CYCLE_1)
	s_and_not1_b32 vcc_lo, exec_lo, s31
	s_cbranch_vccnz .LBB174_784
; %bb.777:
	s_wait_xcnt 0x0
	v_mul_lo_u32 v0, v8, s15
	s_and_b32 s0, 0xffff, s2
	s_delay_alu instid0(SALU_CYCLE_1) | instskip(NEXT) | instid1(VALU_DEP_1)
	s_cmp_lt_i32 s0, 11
	v_ashrrev_i32_e32 v1, 31, v0
	s_delay_alu instid0(VALU_DEP_1)
	v_add_nc_u64_e32 v[0:1], s[10:11], v[0:1]
	s_cbranch_scc1 .LBB174_785
; %bb.778:
	s_cmp_gt_i32 s0, 25
	s_cbranch_scc0 .LBB174_786
; %bb.779:
	s_cmp_gt_i32 s0, 28
	s_cbranch_scc0 .LBB174_787
	;; [unrolled: 3-line block ×4, first 2 shown]
; %bb.782:
	s_cmp_eq_u32 s0, 46
	s_mov_b32 s35, 0
	s_cbranch_scc0 .LBB174_792
; %bb.783:
	s_wait_loadcnt 0x0
	global_load_b32 v4, v[0:1], off
	s_mov_b32 s31, -1
	s_mov_b32 s30, 0
	s_branch .LBB174_794
.LBB174_784:
	s_mov_b32 s35, 0
	s_mov_b32 s0, s23
	;; [unrolled: 1-line block ×3, first 2 shown]
	s_branch .LBB174_1033
.LBB174_785:
	s_mov_b32 s35, -1
	s_mov_b32 s31, 0
	s_mov_b32 s30, s25
                                        ; implicit-def: $vgpr4
	s_branch .LBB174_859
.LBB174_786:
	s_mov_b32 s35, -1
	s_mov_b32 s31, 0
	s_mov_b32 s30, s25
                                        ; implicit-def: $vgpr4
	s_branch .LBB174_823
.LBB174_787:
	s_mov_b32 s35, -1
	s_mov_b32 s31, 0
	s_mov_b32 s30, s25
                                        ; implicit-def: $vgpr4
	s_branch .LBB174_804
.LBB174_788:
	s_mov_b32 s35, -1
	s_mov_b32 s31, 0
	s_mov_b32 s30, s25
                                        ; implicit-def: $vgpr4
	s_branch .LBB174_799
.LBB174_789:
	s_mov_b32 s35, -1
	s_mov_b32 s31, 0
	s_mov_b32 s30, s25
	s_branch .LBB174_793
.LBB174_790:
	s_and_not1_saveexec_b32 s34, s34
	s_cbranch_execz .LBB174_434
.LBB174_791:
	v_add_f32_e64 v4, 0x42800000, |v5|
	s_and_not1_b32 s33, s33, exec_lo
	s_delay_alu instid0(VALU_DEP_1) | instskip(NEXT) | instid1(VALU_DEP_1)
	v_and_b32_e32 v4, 0xff, v4
	v_cmp_ne_u32_e32 vcc_lo, 0, v4
	s_and_b32 s35, vcc_lo, exec_lo
	s_delay_alu instid0(SALU_CYCLE_1)
	s_or_b32 s33, s33, s35
	s_or_b32 exec_lo, exec_lo, s34
	v_mov_b32_e32 v6, 0
	s_and_saveexec_b32 s34, s33
	s_cbranch_execnz .LBB174_435
	s_branch .LBB174_436
.LBB174_792:
	s_mov_b32 s30, -1
	s_mov_b32 s31, 0
.LBB174_793:
                                        ; implicit-def: $vgpr4
.LBB174_794:
	s_and_b32 vcc_lo, exec_lo, s35
	s_cbranch_vccz .LBB174_798
; %bb.795:
	s_cmp_eq_u32 s0, 44
	s_cbranch_scc0 .LBB174_797
; %bb.796:
	s_wait_loadcnt 0x0
	global_load_u8 v4, v[0:1], off
	s_mov_b32 s30, 0
	s_mov_b32 s31, -1
	s_wait_loadcnt 0x0
	v_lshlrev_b32_e32 v5, 23, v4
	v_cmp_ne_u32_e32 vcc_lo, 0xff, v4
	s_delay_alu instid0(VALU_DEP_2) | instskip(SKIP_1) | instid1(VALU_DEP_2)
	v_cndmask_b32_e32 v5, 0x7f800001, v5, vcc_lo
	v_cmp_ne_u32_e32 vcc_lo, 0, v4
	v_cndmask_b32_e32 v4, 0x400000, v5, vcc_lo
	s_delay_alu instid0(VALU_DEP_1) | instskip(NEXT) | instid1(VALU_DEP_1)
	v_add_nc_u32_e32 v5, 0x7fff, v4
	v_lshrrev_b32_e32 v5, 16, v5
	v_cmp_o_f32_e32 vcc_lo, v4, v4
	s_delay_alu instid0(VALU_DEP_2)
	v_cndmask_b32_e32 v4, 0x7fc0, v5, vcc_lo
	s_branch .LBB174_798
.LBB174_797:
	s_mov_b32 s30, -1
                                        ; implicit-def: $vgpr4
.LBB174_798:
	s_mov_b32 s35, 0
.LBB174_799:
	s_delay_alu instid0(SALU_CYCLE_1)
	s_and_b32 vcc_lo, exec_lo, s35
	s_cbranch_vccz .LBB174_803
; %bb.800:
	s_cmp_eq_u32 s0, 29
	s_cbranch_scc0 .LBB174_802
; %bb.801:
	s_wait_loadcnt 0x0
	global_load_b64 v[4:5], v[0:1], off
	s_mov_b32 s31, -1
	s_mov_b32 s30, 0
	s_mov_b32 s35, 0
	s_wait_loadcnt 0x0
	v_clz_i32_u32_e32 v6, v5
	s_delay_alu instid0(VALU_DEP_1) | instskip(NEXT) | instid1(VALU_DEP_1)
	v_min_u32_e32 v6, 32, v6
	v_lshlrev_b64_e32 v[4:5], v6, v[4:5]
	s_delay_alu instid0(VALU_DEP_1) | instskip(NEXT) | instid1(VALU_DEP_1)
	v_min_u32_e32 v4, 1, v4
	v_dual_sub_nc_u32 v5, 32, v6 :: v_dual_bitop2_b32 v4, v5, v4 bitop3:0x54
	s_delay_alu instid0(VALU_DEP_1) | instskip(NEXT) | instid1(VALU_DEP_1)
	v_cvt_f32_u32_e32 v4, v4
	v_ldexp_f32 v4, v4, v5
	s_delay_alu instid0(VALU_DEP_1) | instskip(NEXT) | instid1(VALU_DEP_1)
	v_bfe_u32 v5, v4, 16, 1
	v_add3_u32 v4, v4, v5, 0x7fff
	s_delay_alu instid0(VALU_DEP_1)
	v_lshrrev_b32_e32 v4, 16, v4
	s_branch .LBB174_804
.LBB174_802:
	s_mov_b32 s30, -1
                                        ; implicit-def: $vgpr4
.LBB174_803:
	s_mov_b32 s35, 0
.LBB174_804:
	s_delay_alu instid0(SALU_CYCLE_1)
	s_and_b32 vcc_lo, exec_lo, s35
	s_cbranch_vccz .LBB174_822
; %bb.805:
	s_cmp_lt_i32 s0, 27
	s_cbranch_scc1 .LBB174_808
; %bb.806:
	s_cmp_gt_i32 s0, 27
	s_cbranch_scc0 .LBB174_809
; %bb.807:
	s_wait_loadcnt 0x0
	global_load_b32 v4, v[0:1], off
	s_mov_b32 s31, 0
	s_wait_loadcnt 0x0
	v_cvt_f32_u32_e32 v4, v4
	s_delay_alu instid0(VALU_DEP_1) | instskip(NEXT) | instid1(VALU_DEP_1)
	v_bfe_u32 v5, v4, 16, 1
	v_add3_u32 v4, v4, v5, 0x7fff
	s_delay_alu instid0(VALU_DEP_1)
	v_lshrrev_b32_e32 v4, 16, v4
	s_branch .LBB174_810
.LBB174_808:
	s_mov_b32 s31, -1
                                        ; implicit-def: $vgpr4
	s_branch .LBB174_813
.LBB174_809:
	s_mov_b32 s31, -1
                                        ; implicit-def: $vgpr4
.LBB174_810:
	s_delay_alu instid0(SALU_CYCLE_1)
	s_and_not1_b32 vcc_lo, exec_lo, s31
	s_cbranch_vccnz .LBB174_812
; %bb.811:
	s_wait_loadcnt 0x0
	global_load_u16 v4, v[0:1], off
	s_wait_loadcnt 0x0
	v_cvt_f32_u32_e32 v4, v4
	s_delay_alu instid0(VALU_DEP_1) | instskip(NEXT) | instid1(VALU_DEP_1)
	v_bfe_u32 v5, v4, 16, 1
	v_add3_u32 v4, v4, v5, 0x7fff
	s_delay_alu instid0(VALU_DEP_1)
	v_lshrrev_b32_e32 v4, 16, v4
.LBB174_812:
	s_mov_b32 s31, 0
.LBB174_813:
	s_delay_alu instid0(SALU_CYCLE_1)
	s_and_not1_b32 vcc_lo, exec_lo, s31
	s_cbranch_vccnz .LBB174_821
; %bb.814:
	s_wait_loadcnt 0x0
	global_load_u8 v4, v[0:1], off
	s_mov_b32 s31, 0
	s_mov_b32 s35, exec_lo
	s_wait_loadcnt 0x0
	v_cmpx_lt_i16_e32 0x7f, v4
	s_xor_b32 s35, exec_lo, s35
	s_cbranch_execz .LBB174_835
; %bb.815:
	s_mov_b32 s31, -1
	s_mov_b32 s36, exec_lo
	v_cmpx_eq_u16_e32 0x80, v4
; %bb.816:
	s_xor_b32 s31, exec_lo, -1
; %bb.817:
	s_or_b32 exec_lo, exec_lo, s36
	s_delay_alu instid0(SALU_CYCLE_1)
	s_and_b32 s31, s31, exec_lo
	s_or_saveexec_b32 s35, s35
	v_mov_b32_e32 v5, 0x7f800001
	s_xor_b32 exec_lo, exec_lo, s35
	s_cbranch_execnz .LBB174_836
.LBB174_818:
	s_or_b32 exec_lo, exec_lo, s35
	s_and_saveexec_b32 s35, s31
	s_cbranch_execz .LBB174_820
.LBB174_819:
	v_and_b32_e32 v5, 0xffff, v4
	s_delay_alu instid0(VALU_DEP_1) | instskip(SKIP_1) | instid1(VALU_DEP_2)
	v_and_b32_e32 v6, 7, v5
	v_bfe_u32 v10, v5, 3, 4
	v_clz_i32_u32_e32 v7, v6
	s_delay_alu instid0(VALU_DEP_2) | instskip(NEXT) | instid1(VALU_DEP_2)
	v_cmp_eq_u32_e32 vcc_lo, 0, v10
	v_min_u32_e32 v7, 32, v7
	s_delay_alu instid0(VALU_DEP_1) | instskip(NEXT) | instid1(VALU_DEP_1)
	v_subrev_nc_u32_e32 v9, 28, v7
	v_dual_lshlrev_b32 v5, v9, v5 :: v_dual_sub_nc_u32 v7, 29, v7
	s_delay_alu instid0(VALU_DEP_1) | instskip(NEXT) | instid1(VALU_DEP_2)
	v_dual_lshlrev_b32 v4, 24, v4 :: v_dual_bitop2_b32 v5, 7, v5 bitop3:0x40
	v_cndmask_b32_e32 v7, v10, v7, vcc_lo
	s_delay_alu instid0(VALU_DEP_2) | instskip(NEXT) | instid1(VALU_DEP_3)
	v_cndmask_b32_e32 v5, v6, v5, vcc_lo
	v_and_b32_e32 v4, 0x80000000, v4
	s_delay_alu instid0(VALU_DEP_3) | instskip(NEXT) | instid1(VALU_DEP_3)
	v_lshl_add_u32 v6, v7, 23, 0x3b800000
	v_lshlrev_b32_e32 v5, 20, v5
	s_delay_alu instid0(VALU_DEP_1)
	v_or3_b32 v5, v4, v6, v5
.LBB174_820:
	s_or_b32 exec_lo, exec_lo, s35
	s_delay_alu instid0(VALU_DEP_1) | instskip(SKIP_1) | instid1(VALU_DEP_2)
	v_bfe_u32 v4, v5, 16, 1
	v_cmp_o_f32_e32 vcc_lo, v5, v5
	v_add3_u32 v4, v5, v4, 0x7fff
	s_delay_alu instid0(VALU_DEP_1) | instskip(NEXT) | instid1(VALU_DEP_1)
	v_lshrrev_b32_e32 v4, 16, v4
	v_cndmask_b32_e32 v4, 0x7fc0, v4, vcc_lo
.LBB174_821:
	s_mov_b32 s31, -1
.LBB174_822:
	s_mov_b32 s35, 0
.LBB174_823:
	s_delay_alu instid0(SALU_CYCLE_1)
	s_and_b32 vcc_lo, exec_lo, s35
	s_cbranch_vccz .LBB174_858
; %bb.824:
	s_cmp_gt_i32 s0, 22
	s_cbranch_scc0 .LBB174_834
; %bb.825:
	s_cmp_lt_i32 s0, 24
	s_cbranch_scc1 .LBB174_837
; %bb.826:
	s_cmp_gt_i32 s0, 24
	s_cbranch_scc0 .LBB174_838
; %bb.827:
	s_wait_loadcnt 0x0
	global_load_u8 v4, v[0:1], off
	s_mov_b32 s31, 0
	s_mov_b32 s35, exec_lo
	s_wait_loadcnt 0x0
	v_cmpx_lt_i16_e32 0x7f, v4
	s_xor_b32 s35, exec_lo, s35
	s_cbranch_execz .LBB174_850
; %bb.828:
	s_mov_b32 s31, -1
	s_mov_b32 s36, exec_lo
	v_cmpx_eq_u16_e32 0x80, v4
; %bb.829:
	s_xor_b32 s31, exec_lo, -1
; %bb.830:
	s_or_b32 exec_lo, exec_lo, s36
	s_delay_alu instid0(SALU_CYCLE_1)
	s_and_b32 s31, s31, exec_lo
	s_or_saveexec_b32 s35, s35
	v_mov_b32_e32 v5, 0x7f800001
	s_xor_b32 exec_lo, exec_lo, s35
	s_cbranch_execnz .LBB174_851
.LBB174_831:
	s_or_b32 exec_lo, exec_lo, s35
	s_and_saveexec_b32 s35, s31
	s_cbranch_execz .LBB174_833
.LBB174_832:
	v_and_b32_e32 v5, 0xffff, v4
	s_delay_alu instid0(VALU_DEP_1) | instskip(SKIP_1) | instid1(VALU_DEP_2)
	v_and_b32_e32 v6, 3, v5
	v_bfe_u32 v10, v5, 2, 5
	v_clz_i32_u32_e32 v7, v6
	s_delay_alu instid0(VALU_DEP_2) | instskip(NEXT) | instid1(VALU_DEP_2)
	v_cmp_eq_u32_e32 vcc_lo, 0, v10
	v_min_u32_e32 v7, 32, v7
	s_delay_alu instid0(VALU_DEP_1) | instskip(NEXT) | instid1(VALU_DEP_1)
	v_subrev_nc_u32_e32 v9, 29, v7
	v_dual_lshlrev_b32 v5, v9, v5 :: v_dual_sub_nc_u32 v7, 30, v7
	s_delay_alu instid0(VALU_DEP_1) | instskip(NEXT) | instid1(VALU_DEP_2)
	v_dual_lshlrev_b32 v4, 24, v4 :: v_dual_bitop2_b32 v5, 3, v5 bitop3:0x40
	v_cndmask_b32_e32 v7, v10, v7, vcc_lo
	s_delay_alu instid0(VALU_DEP_2) | instskip(NEXT) | instid1(VALU_DEP_3)
	v_cndmask_b32_e32 v5, v6, v5, vcc_lo
	v_and_b32_e32 v4, 0x80000000, v4
	s_delay_alu instid0(VALU_DEP_3) | instskip(NEXT) | instid1(VALU_DEP_3)
	v_lshl_add_u32 v6, v7, 23, 0x37800000
	v_lshlrev_b32_e32 v5, 21, v5
	s_delay_alu instid0(VALU_DEP_1)
	v_or3_b32 v5, v4, v6, v5
.LBB174_833:
	s_or_b32 exec_lo, exec_lo, s35
	s_delay_alu instid0(VALU_DEP_1) | instskip(SKIP_2) | instid1(VALU_DEP_2)
	v_bfe_u32 v4, v5, 16, 1
	v_cmp_o_f32_e32 vcc_lo, v5, v5
	s_mov_b32 s31, 0
	v_add3_u32 v4, v5, v4, 0x7fff
	s_delay_alu instid0(VALU_DEP_1) | instskip(NEXT) | instid1(VALU_DEP_1)
	v_lshrrev_b32_e32 v4, 16, v4
	v_cndmask_b32_e32 v4, 0x7fc0, v4, vcc_lo
	s_branch .LBB174_839
.LBB174_834:
	s_mov_b32 s35, -1
                                        ; implicit-def: $vgpr4
	s_branch .LBB174_845
.LBB174_835:
	s_or_saveexec_b32 s35, s35
	v_mov_b32_e32 v5, 0x7f800001
	s_xor_b32 exec_lo, exec_lo, s35
	s_cbranch_execz .LBB174_818
.LBB174_836:
	v_cmp_ne_u16_e32 vcc_lo, 0, v4
	v_mov_b32_e32 v5, 0
	s_and_not1_b32 s31, s31, exec_lo
	s_and_b32 s36, vcc_lo, exec_lo
	s_delay_alu instid0(SALU_CYCLE_1)
	s_or_b32 s31, s31, s36
	s_or_b32 exec_lo, exec_lo, s35
	s_and_saveexec_b32 s35, s31
	s_cbranch_execnz .LBB174_819
	s_branch .LBB174_820
.LBB174_837:
	s_mov_b32 s31, -1
                                        ; implicit-def: $vgpr4
	s_branch .LBB174_842
.LBB174_838:
	s_mov_b32 s31, -1
                                        ; implicit-def: $vgpr4
.LBB174_839:
	s_delay_alu instid0(SALU_CYCLE_1)
	s_and_b32 vcc_lo, exec_lo, s31
	s_cbranch_vccz .LBB174_841
; %bb.840:
	s_wait_loadcnt 0x0
	global_load_u8 v4, v[0:1], off
	s_wait_loadcnt 0x0
	v_lshlrev_b32_e32 v4, 24, v4
	s_delay_alu instid0(VALU_DEP_1) | instskip(NEXT) | instid1(VALU_DEP_1)
	v_and_b32_e32 v5, 0x7f000000, v4
	v_clz_i32_u32_e32 v6, v5
	v_add_nc_u32_e32 v9, 0x1000000, v5
	v_cmp_ne_u32_e32 vcc_lo, 0, v5
	s_delay_alu instid0(VALU_DEP_3) | instskip(NEXT) | instid1(VALU_DEP_1)
	v_min_u32_e32 v6, 32, v6
	v_sub_nc_u32_e64 v6, v6, 4 clamp
	s_delay_alu instid0(VALU_DEP_1) | instskip(NEXT) | instid1(VALU_DEP_1)
	v_dual_lshlrev_b32 v7, v6, v5 :: v_dual_lshlrev_b32 v6, 23, v6
	v_lshrrev_b32_e32 v7, 4, v7
	s_delay_alu instid0(VALU_DEP_1) | instskip(NEXT) | instid1(VALU_DEP_1)
	v_dual_sub_nc_u32 v6, v7, v6 :: v_dual_ashrrev_i32 v7, 8, v9
	v_add_nc_u32_e32 v6, 0x3c000000, v6
	s_delay_alu instid0(VALU_DEP_1) | instskip(NEXT) | instid1(VALU_DEP_1)
	v_and_or_b32 v6, 0x7f800000, v7, v6
	v_cndmask_b32_e32 v5, 0, v6, vcc_lo
	s_delay_alu instid0(VALU_DEP_1) | instskip(SKIP_1) | instid1(VALU_DEP_2)
	v_and_or_b32 v4, 0x80000000, v4, v5
	v_bfe_u32 v5, v5, 16, 1
	v_cmp_o_f32_e32 vcc_lo, v4, v4
	s_delay_alu instid0(VALU_DEP_2) | instskip(NEXT) | instid1(VALU_DEP_1)
	v_add3_u32 v5, v4, v5, 0x7fff
	v_lshrrev_b32_e32 v5, 16, v5
	s_delay_alu instid0(VALU_DEP_1)
	v_cndmask_b32_e32 v4, 0x7fc0, v5, vcc_lo
.LBB174_841:
	s_mov_b32 s31, 0
.LBB174_842:
	s_delay_alu instid0(SALU_CYCLE_1)
	s_and_not1_b32 vcc_lo, exec_lo, s31
	s_cbranch_vccnz .LBB174_844
; %bb.843:
	s_wait_loadcnt 0x0
	global_load_u8 v4, v[0:1], off
	s_wait_loadcnt 0x0
	v_lshlrev_b32_e32 v5, 25, v4
	v_lshlrev_b16 v4, 8, v4
	s_delay_alu instid0(VALU_DEP_1) | instskip(SKIP_1) | instid1(VALU_DEP_2)
	v_and_or_b32 v7, 0x7f00, v4, 0.5
	v_bfe_i32 v4, v4, 0, 16
	v_dual_add_f32 v7, -0.5, v7 :: v_dual_lshrrev_b32 v6, 4, v5
	v_cmp_gt_u32_e32 vcc_lo, 0x8000000, v5
	s_delay_alu instid0(VALU_DEP_2) | instskip(NEXT) | instid1(VALU_DEP_1)
	v_or_b32_e32 v6, 0x70000000, v6
	v_mul_f32_e32 v6, 0x7800000, v6
	s_delay_alu instid0(VALU_DEP_1) | instskip(NEXT) | instid1(VALU_DEP_1)
	v_cndmask_b32_e32 v5, v6, v7, vcc_lo
	v_and_or_b32 v4, 0x80000000, v4, v5
	v_bfe_u32 v5, v5, 16, 1
	s_delay_alu instid0(VALU_DEP_2) | instskip(NEXT) | instid1(VALU_DEP_2)
	v_cmp_o_f32_e32 vcc_lo, v4, v4
	v_add3_u32 v5, v4, v5, 0x7fff
	s_delay_alu instid0(VALU_DEP_1) | instskip(NEXT) | instid1(VALU_DEP_1)
	v_lshrrev_b32_e32 v5, 16, v5
	v_cndmask_b32_e32 v4, 0x7fc0, v5, vcc_lo
.LBB174_844:
	s_mov_b32 s35, 0
	s_mov_b32 s31, -1
.LBB174_845:
	s_and_not1_b32 vcc_lo, exec_lo, s35
	s_cbranch_vccnz .LBB174_858
; %bb.846:
	s_cmp_gt_i32 s0, 14
	s_cbranch_scc0 .LBB174_849
; %bb.847:
	s_cmp_eq_u32 s0, 15
	s_cbranch_scc0 .LBB174_852
; %bb.848:
	s_wait_loadcnt 0x0
	global_load_u16 v4, v[0:1], off
	s_mov_b32 s31, -1
	s_mov_b32 s30, 0
	s_branch .LBB174_853
.LBB174_849:
	s_mov_b32 s35, -1
                                        ; implicit-def: $vgpr4
	s_branch .LBB174_854
.LBB174_850:
	s_or_saveexec_b32 s35, s35
	v_mov_b32_e32 v5, 0x7f800001
	s_xor_b32 exec_lo, exec_lo, s35
	s_cbranch_execz .LBB174_831
.LBB174_851:
	v_cmp_ne_u16_e32 vcc_lo, 0, v4
	v_mov_b32_e32 v5, 0
	s_and_not1_b32 s31, s31, exec_lo
	s_and_b32 s36, vcc_lo, exec_lo
	s_delay_alu instid0(SALU_CYCLE_1)
	s_or_b32 s31, s31, s36
	s_or_b32 exec_lo, exec_lo, s35
	s_and_saveexec_b32 s35, s31
	s_cbranch_execnz .LBB174_832
	s_branch .LBB174_833
.LBB174_852:
	s_mov_b32 s30, -1
                                        ; implicit-def: $vgpr4
.LBB174_853:
	s_mov_b32 s35, 0
.LBB174_854:
	s_delay_alu instid0(SALU_CYCLE_1)
	s_and_b32 vcc_lo, exec_lo, s35
	s_cbranch_vccz .LBB174_858
; %bb.855:
	s_cmp_eq_u32 s0, 11
	s_cbranch_scc0 .LBB174_857
; %bb.856:
	s_wait_loadcnt 0x0
	global_load_u8 v4, v[0:1], off
	s_mov_b32 s30, 0
	s_mov_b32 s31, -1
	s_wait_loadcnt 0x0
	v_cmp_ne_u16_e32 vcc_lo, 0, v4
	v_cndmask_b32_e64 v4, 0, 1.0, vcc_lo
	s_delay_alu instid0(VALU_DEP_1)
	v_lshrrev_b32_e32 v4, 16, v4
	s_branch .LBB174_858
.LBB174_857:
	s_mov_b32 s30, -1
                                        ; implicit-def: $vgpr4
.LBB174_858:
	s_mov_b32 s35, 0
.LBB174_859:
	s_delay_alu instid0(SALU_CYCLE_1)
	s_and_b32 vcc_lo, exec_lo, s35
	s_cbranch_vccz .LBB174_908
; %bb.860:
	s_cmp_lt_i32 s0, 5
	s_cbranch_scc1 .LBB174_865
; %bb.861:
	s_cmp_lt_i32 s0, 8
	s_cbranch_scc1 .LBB174_866
	;; [unrolled: 3-line block ×3, first 2 shown]
; %bb.863:
	s_cmp_gt_i32 s0, 9
	s_cbranch_scc0 .LBB174_868
; %bb.864:
	s_wait_loadcnt 0x0
	global_load_b64 v[4:5], v[0:1], off
	s_mov_b32 s31, 0
	s_wait_loadcnt 0x0
	v_cvt_f32_f64_e32 v4, v[4:5]
	s_delay_alu instid0(VALU_DEP_1) | instskip(SKIP_1) | instid1(VALU_DEP_2)
	v_bfe_u32 v5, v4, 16, 1
	v_cmp_o_f32_e32 vcc_lo, v4, v4
	v_add3_u32 v5, v4, v5, 0x7fff
	s_delay_alu instid0(VALU_DEP_1) | instskip(NEXT) | instid1(VALU_DEP_1)
	v_lshrrev_b32_e32 v5, 16, v5
	v_cndmask_b32_e32 v4, 0x7fc0, v5, vcc_lo
	s_branch .LBB174_869
.LBB174_865:
	s_mov_b32 s31, -1
                                        ; implicit-def: $vgpr4
	s_branch .LBB174_887
.LBB174_866:
	s_mov_b32 s31, -1
                                        ; implicit-def: $vgpr4
	s_branch .LBB174_875
.LBB174_867:
	s_mov_b32 s31, -1
                                        ; implicit-def: $vgpr4
	s_branch .LBB174_872
.LBB174_868:
	s_mov_b32 s31, -1
                                        ; implicit-def: $vgpr4
.LBB174_869:
	s_delay_alu instid0(SALU_CYCLE_1)
	s_and_not1_b32 vcc_lo, exec_lo, s31
	s_cbranch_vccnz .LBB174_871
; %bb.870:
	s_wait_loadcnt 0x0
	global_load_b32 v4, v[0:1], off
	s_wait_loadcnt 0x0
	v_bfe_u32 v5, v4, 16, 1
	v_cmp_o_f32_e32 vcc_lo, v4, v4
	s_delay_alu instid0(VALU_DEP_2) | instskip(NEXT) | instid1(VALU_DEP_1)
	v_add3_u32 v5, v4, v5, 0x7fff
	v_lshrrev_b32_e32 v5, 16, v5
	s_delay_alu instid0(VALU_DEP_1)
	v_cndmask_b32_e32 v4, 0x7fc0, v5, vcc_lo
.LBB174_871:
	s_mov_b32 s31, 0
.LBB174_872:
	s_delay_alu instid0(SALU_CYCLE_1)
	s_and_not1_b32 vcc_lo, exec_lo, s31
	s_cbranch_vccnz .LBB174_874
; %bb.873:
	s_wait_loadcnt 0x0
	global_load_b32 v4, v[0:1], off
	s_wait_loadcnt 0x0
	v_cvt_f32_f16_e32 v5, v4
	v_cmp_o_f16_e32 vcc_lo, v4, v4
	s_delay_alu instid0(VALU_DEP_2) | instskip(NEXT) | instid1(VALU_DEP_1)
	v_bfe_u32 v6, v5, 16, 1
	v_add3_u32 v5, v5, v6, 0x7fff
	s_delay_alu instid0(VALU_DEP_1) | instskip(NEXT) | instid1(VALU_DEP_1)
	v_lshrrev_b32_e32 v5, 16, v5
	v_cndmask_b32_e32 v4, 0x7fc0, v5, vcc_lo
.LBB174_874:
	s_mov_b32 s31, 0
.LBB174_875:
	s_delay_alu instid0(SALU_CYCLE_1)
	s_and_not1_b32 vcc_lo, exec_lo, s31
	s_cbranch_vccnz .LBB174_886
; %bb.876:
	s_cmp_lt_i32 s0, 6
	s_cbranch_scc1 .LBB174_879
; %bb.877:
	s_cmp_gt_i32 s0, 6
	s_cbranch_scc0 .LBB174_880
; %bb.878:
	s_wait_loadcnt 0x0
	global_load_b64 v[4:5], v[0:1], off
	s_mov_b32 s31, 0
	s_wait_loadcnt 0x0
	v_cvt_f32_f64_e32 v4, v[4:5]
	s_delay_alu instid0(VALU_DEP_1) | instskip(SKIP_1) | instid1(VALU_DEP_2)
	v_bfe_u32 v5, v4, 16, 1
	v_cmp_o_f32_e32 vcc_lo, v4, v4
	v_add3_u32 v5, v4, v5, 0x7fff
	s_delay_alu instid0(VALU_DEP_1) | instskip(NEXT) | instid1(VALU_DEP_1)
	v_lshrrev_b32_e32 v5, 16, v5
	v_cndmask_b32_e32 v4, 0x7fc0, v5, vcc_lo
	s_branch .LBB174_881
.LBB174_879:
	s_mov_b32 s31, -1
                                        ; implicit-def: $vgpr4
	s_branch .LBB174_884
.LBB174_880:
	s_mov_b32 s31, -1
                                        ; implicit-def: $vgpr4
.LBB174_881:
	s_delay_alu instid0(SALU_CYCLE_1)
	s_and_not1_b32 vcc_lo, exec_lo, s31
	s_cbranch_vccnz .LBB174_883
; %bb.882:
	s_wait_loadcnt 0x0
	global_load_b32 v4, v[0:1], off
	s_wait_loadcnt 0x0
	v_bfe_u32 v5, v4, 16, 1
	v_cmp_o_f32_e32 vcc_lo, v4, v4
	s_delay_alu instid0(VALU_DEP_2) | instskip(NEXT) | instid1(VALU_DEP_1)
	v_add3_u32 v5, v4, v5, 0x7fff
	v_lshrrev_b32_e32 v5, 16, v5
	s_delay_alu instid0(VALU_DEP_1)
	v_cndmask_b32_e32 v4, 0x7fc0, v5, vcc_lo
.LBB174_883:
	s_mov_b32 s31, 0
.LBB174_884:
	s_delay_alu instid0(SALU_CYCLE_1)
	s_and_not1_b32 vcc_lo, exec_lo, s31
	s_cbranch_vccnz .LBB174_886
; %bb.885:
	s_wait_loadcnt 0x0
	global_load_u16 v4, v[0:1], off
	s_wait_loadcnt 0x0
	v_cvt_f32_f16_e32 v5, v4
	v_cmp_o_f16_e32 vcc_lo, v4, v4
	s_delay_alu instid0(VALU_DEP_2) | instskip(NEXT) | instid1(VALU_DEP_1)
	v_bfe_u32 v6, v5, 16, 1
	v_add3_u32 v5, v5, v6, 0x7fff
	s_delay_alu instid0(VALU_DEP_1) | instskip(NEXT) | instid1(VALU_DEP_1)
	v_lshrrev_b32_e32 v5, 16, v5
	v_cndmask_b32_e32 v4, 0x7fc0, v5, vcc_lo
.LBB174_886:
	s_mov_b32 s31, 0
.LBB174_887:
	s_delay_alu instid0(SALU_CYCLE_1)
	s_and_not1_b32 vcc_lo, exec_lo, s31
	s_cbranch_vccnz .LBB174_907
; %bb.888:
	s_cmp_lt_i32 s0, 2
	s_cbranch_scc1 .LBB174_892
; %bb.889:
	s_cmp_lt_i32 s0, 3
	s_cbranch_scc1 .LBB174_893
; %bb.890:
	s_cmp_gt_i32 s0, 3
	s_cbranch_scc0 .LBB174_894
; %bb.891:
	s_wait_loadcnt 0x0
	global_load_b64 v[4:5], v[0:1], off
	s_mov_b32 s31, 0
	s_wait_loadcnt 0x0
	v_xor_b32_e32 v6, v4, v5
	v_cls_i32_e32 v7, v5
	s_delay_alu instid0(VALU_DEP_2) | instskip(NEXT) | instid1(VALU_DEP_1)
	v_ashrrev_i32_e32 v6, 31, v6
	v_add_nc_u32_e32 v6, 32, v6
	s_delay_alu instid0(VALU_DEP_1) | instskip(NEXT) | instid1(VALU_DEP_1)
	v_add_min_u32_e64 v6, v7, -1, v6
	v_lshlrev_b64_e32 v[4:5], v6, v[4:5]
	s_delay_alu instid0(VALU_DEP_1) | instskip(NEXT) | instid1(VALU_DEP_1)
	v_min_u32_e32 v4, 1, v4
	v_dual_sub_nc_u32 v5, 32, v6 :: v_dual_bitop2_b32 v4, v5, v4 bitop3:0x54
	s_delay_alu instid0(VALU_DEP_1) | instskip(NEXT) | instid1(VALU_DEP_1)
	v_cvt_f32_i32_e32 v4, v4
	v_ldexp_f32 v4, v4, v5
	s_delay_alu instid0(VALU_DEP_1) | instskip(NEXT) | instid1(VALU_DEP_1)
	v_bfe_u32 v5, v4, 16, 1
	v_add3_u32 v4, v4, v5, 0x7fff
	s_delay_alu instid0(VALU_DEP_1)
	v_lshrrev_b32_e32 v4, 16, v4
	s_branch .LBB174_895
.LBB174_892:
	s_mov_b32 s31, -1
                                        ; implicit-def: $vgpr4
	s_branch .LBB174_901
.LBB174_893:
	s_mov_b32 s31, -1
                                        ; implicit-def: $vgpr4
	s_branch .LBB174_898
.LBB174_894:
	s_mov_b32 s31, -1
                                        ; implicit-def: $vgpr4
.LBB174_895:
	s_delay_alu instid0(SALU_CYCLE_1)
	s_and_not1_b32 vcc_lo, exec_lo, s31
	s_cbranch_vccnz .LBB174_897
; %bb.896:
	s_wait_loadcnt 0x0
	global_load_b32 v4, v[0:1], off
	s_wait_loadcnt 0x0
	v_cvt_f32_i32_e32 v4, v4
	s_delay_alu instid0(VALU_DEP_1) | instskip(NEXT) | instid1(VALU_DEP_1)
	v_bfe_u32 v5, v4, 16, 1
	v_add3_u32 v4, v4, v5, 0x7fff
	s_delay_alu instid0(VALU_DEP_1)
	v_lshrrev_b32_e32 v4, 16, v4
.LBB174_897:
	s_mov_b32 s31, 0
.LBB174_898:
	s_delay_alu instid0(SALU_CYCLE_1)
	s_and_not1_b32 vcc_lo, exec_lo, s31
	s_cbranch_vccnz .LBB174_900
; %bb.899:
	s_wait_loadcnt 0x0
	global_load_i16 v4, v[0:1], off
	s_wait_loadcnt 0x0
	v_cvt_f32_i32_e32 v4, v4
	s_delay_alu instid0(VALU_DEP_1) | instskip(NEXT) | instid1(VALU_DEP_1)
	v_bfe_u32 v5, v4, 16, 1
	v_add3_u32 v4, v4, v5, 0x7fff
	s_delay_alu instid0(VALU_DEP_1)
	v_lshrrev_b32_e32 v4, 16, v4
.LBB174_900:
	s_mov_b32 s31, 0
.LBB174_901:
	s_delay_alu instid0(SALU_CYCLE_1)
	s_and_not1_b32 vcc_lo, exec_lo, s31
	s_cbranch_vccnz .LBB174_907
; %bb.902:
	s_cmp_gt_i32 s0, 0
	s_mov_b32 s0, 0
	s_cbranch_scc0 .LBB174_904
; %bb.903:
	s_wait_loadcnt 0x0
	global_load_i8 v4, v[0:1], off
	s_wait_loadcnt 0x0
	v_cvt_f32_i32_e32 v4, v4
	s_delay_alu instid0(VALU_DEP_1) | instskip(NEXT) | instid1(VALU_DEP_1)
	v_bfe_u32 v5, v4, 16, 1
	v_add3_u32 v4, v4, v5, 0x7fff
	s_delay_alu instid0(VALU_DEP_1)
	v_lshrrev_b32_e32 v4, 16, v4
	s_branch .LBB174_905
.LBB174_904:
	s_mov_b32 s0, -1
                                        ; implicit-def: $vgpr4
.LBB174_905:
	s_delay_alu instid0(SALU_CYCLE_1)
	s_and_not1_b32 vcc_lo, exec_lo, s0
	s_cbranch_vccnz .LBB174_907
; %bb.906:
	global_load_u8 v0, v[0:1], off
	s_wait_loadcnt 0x0
	v_cvt_f32_ubyte0_e32 v0, v0
	s_delay_alu instid0(VALU_DEP_1) | instskip(NEXT) | instid1(VALU_DEP_1)
	v_bfe_u32 v1, v0, 16, 1
	v_add3_u32 v0, v0, v1, 0x7fff
	s_delay_alu instid0(VALU_DEP_1)
	v_lshrrev_b32_e32 v4, 16, v0
.LBB174_907:
	s_mov_b32 s31, -1
.LBB174_908:
	s_delay_alu instid0(SALU_CYCLE_1)
	s_and_not1_b32 vcc_lo, exec_lo, s31
	s_cbranch_vccnz .LBB174_916
; %bb.909:
	s_wait_loadcnt 0x0
	v_dual_lshlrev_b32 v0, 16, v3 :: v_dual_lshlrev_b32 v1, 16, v4
	s_and_b32 s31, s3, 0xff
	s_delay_alu instid0(SALU_CYCLE_1) | instskip(NEXT) | instid1(VALU_DEP_1)
	s_cmp_lt_i32 s31, 11
	v_mul_f32_e32 v3, s22, v0
	s_delay_alu instid0(VALU_DEP_1) | instskip(NEXT) | instid1(VALU_DEP_1)
	v_bfe_u32 v0, v3, 16, 1
	v_add3_u32 v0, v3, v0, 0x7fff
	s_delay_alu instid0(VALU_DEP_1) | instskip(SKIP_3) | instid1(VALU_DEP_4)
	v_and_b32_e32 v5, 0xffff0000, v0
	v_lshlrev_b32_e32 v0, 16, v2
	v_cmp_o_f32_e32 vcc_lo, v3, v3
	v_mov_b32_e32 v2, s21
	v_cndmask_b32_e32 v3, 0x7fc00000, v5, vcc_lo
	s_delay_alu instid0(VALU_DEP_1) | instskip(NEXT) | instid1(VALU_DEP_1)
	v_pk_mul_f32 v[0:1], v[2:3], v[0:1]
	v_dual_lshrrev_b32 v3, 16, v0 :: v_dual_lshrrev_b32 v2, 16, v1
	v_cmp_o_f32_e32 vcc_lo, v1, v1
	s_delay_alu instid0(VALU_DEP_2) | instskip(NEXT) | instid1(VALU_DEP_3)
	v_and_b32_e32 v3, 1, v3
	v_and_b32_e32 v2, 1, v2
	s_delay_alu instid0(VALU_DEP_2) | instskip(NEXT) | instid1(VALU_DEP_2)
	v_add3_u32 v3, v0, v3, 0x7fff
	v_add3_u32 v2, v1, v2, 0x7fff
	s_delay_alu instid0(VALU_DEP_2) | instskip(NEXT) | instid1(VALU_DEP_2)
	v_and_b32_e32 v3, 0xffff0000, v3
	v_and_b32_e32 v2, 0xffff0000, v2
	s_delay_alu instid0(VALU_DEP_1) | instskip(SKIP_1) | instid1(VALU_DEP_4)
	v_cndmask_b32_e32 v1, 0x7fc00000, v2, vcc_lo
	v_cmp_o_f32_e32 vcc_lo, v0, v0
	v_cndmask_b32_e32 v0, 0x7fc00000, v3, vcc_lo
	s_delay_alu instid0(VALU_DEP_1) | instskip(SKIP_1) | instid1(VALU_DEP_2)
	v_add_f32_e32 v2, v0, v1
	v_mul_lo_u32 v0, v8, s12
	v_bfe_u32 v1, v2, 16, 1
	v_cmp_o_f32_e32 vcc_lo, v2, v2
	s_delay_alu instid0(VALU_DEP_2) | instskip(NEXT) | instid1(VALU_DEP_1)
	v_add3_u32 v3, v2, v1, 0x7fff
	v_dual_ashrrev_i32 v1, 31, v0 :: v_dual_lshrrev_b32 v3, 16, v3
	s_delay_alu instid0(VALU_DEP_1) | instskip(NEXT) | instid1(VALU_DEP_2)
	v_add_nc_u64_e32 v[0:1], s[4:5], v[0:1]
	v_cndmask_b32_e32 v2, 0x7fc0, v3, vcc_lo
	s_cbranch_scc1 .LBB174_917
; %bb.910:
	s_and_b32 s35, 0xffff, s31
	s_delay_alu instid0(SALU_CYCLE_1)
	s_cmp_gt_i32 s35, 25
	s_cbranch_scc0 .LBB174_918
; %bb.911:
	s_cmp_gt_i32 s35, 28
	s_cbranch_scc0 .LBB174_919
; %bb.912:
	;; [unrolled: 3-line block ×4, first 2 shown]
	s_mov_b32 s37, 0
	s_mov_b32 s0, -1
	s_cmp_eq_u32 s35, 46
	s_mov_b32 s36, 0
	s_cbranch_scc0 .LBB174_922
; %bb.915:
	v_and_b32_e32 v3, 0xffff, v2
	s_mov_b32 s36, -1
	s_mov_b32 s0, 0
	global_store_b32 v[0:1], v3, off
	s_branch .LBB174_922
.LBB174_916:
	s_mov_b32 s35, 0
	s_mov_b32 s0, s23
	s_branch .LBB174_1033
.LBB174_917:
	s_mov_b32 s35, -1
	s_mov_b32 s36, 0
	s_mov_b32 s0, s23
	s_branch .LBB174_991
.LBB174_918:
	s_mov_b32 s37, -1
	s_mov_b32 s36, 0
	s_mov_b32 s0, s23
	s_branch .LBB174_949
.LBB174_919:
	s_mov_b32 s37, -1
	s_mov_b32 s36, 0
	s_mov_b32 s0, s23
	s_branch .LBB174_932
.LBB174_920:
	s_mov_b32 s37, -1
	s_mov_b32 s36, 0
	s_mov_b32 s0, s23
	s_branch .LBB174_928
.LBB174_921:
	s_mov_b32 s37, -1
	s_mov_b32 s36, 0
	s_mov_b32 s0, s23
.LBB174_922:
	s_and_b32 vcc_lo, exec_lo, s37
	s_cbranch_vccz .LBB174_927
; %bb.923:
	s_cmp_eq_u32 s35, 44
	s_mov_b32 s0, -1
	s_cbranch_scc0 .LBB174_927
; %bb.924:
	s_wait_xcnt 0x0
	v_and_b32_e32 v3, 0xffff, v2
	v_mov_b32_e32 v4, 0xff
	s_mov_b32 s36, exec_lo
	s_delay_alu instid0(VALU_DEP_2) | instskip(NEXT) | instid1(VALU_DEP_1)
	v_bfe_u32 v5, v3, 7, 8
	v_cmpx_ne_u32_e32 0xff, v5
	s_cbranch_execz .LBB174_926
; %bb.925:
	v_dual_lshlrev_b32 v4, 16, v3 :: v_dual_bitop2_b32 v6, 64, v3 bitop3:0x40
	v_lshrrev_b32_e32 v3, 7, v3
	s_delay_alu instid0(VALU_DEP_2) | instskip(NEXT) | instid1(VALU_DEP_3)
	v_and_or_b32 v4, 0x3f0000, v4, v5
	v_cmp_ne_u32_e32 vcc_lo, 0, v6
	s_delay_alu instid0(VALU_DEP_2) | instskip(SKIP_1) | instid1(SALU_CYCLE_1)
	v_cmp_ne_u32_e64 s0, 0, v4
	s_and_b32 s0, vcc_lo, s0
	v_cndmask_b32_e64 v4, 0, 1, s0
	s_delay_alu instid0(VALU_DEP_1)
	v_add_nc_u32_e32 v4, v3, v4
.LBB174_926:
	s_or_b32 exec_lo, exec_lo, s36
	s_mov_b32 s36, -1
	s_mov_b32 s0, 0
	global_store_b8 v[0:1], v4, off
.LBB174_927:
	s_mov_b32 s37, 0
.LBB174_928:
	s_delay_alu instid0(SALU_CYCLE_1)
	s_and_b32 vcc_lo, exec_lo, s37
	s_cbranch_vccz .LBB174_931
; %bb.929:
	s_cmp_eq_u32 s35, 29
	s_mov_b32 s0, -1
	s_cbranch_scc0 .LBB174_931
; %bb.930:
	s_wait_xcnt 0x0
	v_lshlrev_b32_e32 v3, 16, v2
	s_mov_b32 s36, -1
	s_mov_b32 s0, 0
	s_mov_b32 s37, 0
	s_delay_alu instid0(VALU_DEP_1) | instskip(NEXT) | instid1(VALU_DEP_1)
	v_trunc_f32_e32 v3, v3
	v_mul_f32_e32 v4, 0x2f800000, v3
	s_delay_alu instid0(VALU_DEP_1) | instskip(NEXT) | instid1(VALU_DEP_1)
	v_floor_f32_e32 v4, v4
	v_fmamk_f32 v3, v4, 0xcf800000, v3
	v_cvt_u32_f32_e32 v5, v4
	s_delay_alu instid0(VALU_DEP_2)
	v_cvt_u32_f32_e32 v4, v3
	global_store_b64 v[0:1], v[4:5], off
	s_branch .LBB174_932
.LBB174_931:
	s_mov_b32 s37, 0
.LBB174_932:
	s_delay_alu instid0(SALU_CYCLE_1)
	s_and_b32 vcc_lo, exec_lo, s37
	s_cbranch_vccz .LBB174_948
; %bb.933:
	s_cmp_lt_i32 s35, 27
	s_mov_b32 s36, -1
	s_cbranch_scc1 .LBB174_939
; %bb.934:
	s_cmp_gt_i32 s35, 27
	s_cbranch_scc0 .LBB174_936
; %bb.935:
	s_wait_xcnt 0x0
	v_lshlrev_b32_e32 v3, 16, v2
	s_mov_b32 s36, 0
	s_delay_alu instid0(VALU_DEP_1)
	v_cvt_u32_f32_e32 v3, v3
	global_store_b32 v[0:1], v3, off
.LBB174_936:
	s_and_not1_b32 vcc_lo, exec_lo, s36
	s_cbranch_vccnz .LBB174_938
; %bb.937:
	s_wait_xcnt 0x0
	v_lshlrev_b32_e32 v3, 16, v2
	s_delay_alu instid0(VALU_DEP_1)
	v_cvt_u32_f32_e32 v3, v3
	global_store_b16 v[0:1], v3, off
.LBB174_938:
	s_mov_b32 s36, 0
.LBB174_939:
	s_delay_alu instid0(SALU_CYCLE_1)
	s_and_not1_b32 vcc_lo, exec_lo, s36
	s_cbranch_vccnz .LBB174_947
; %bb.940:
	s_wait_xcnt 0x0
	v_dual_mov_b32 v6, 0x80 :: v_dual_lshlrev_b32 v5, 16, v2
	s_mov_b32 s36, exec_lo
	s_delay_alu instid0(VALU_DEP_1) | instskip(NEXT) | instid1(VALU_DEP_1)
	v_and_b32_e32 v4, 0x7fffffff, v5
	v_cmpx_gt_u32_e32 0x43800000, v4
	s_cbranch_execz .LBB174_946
; %bb.941:
	v_and_b32_e32 v3, 0xffff, v2
	v_cmp_lt_u32_e32 vcc_lo, 0x3bffffff, v4
	s_mov_b32 s37, 0
                                        ; implicit-def: $vgpr4
	s_and_saveexec_b32 s38, vcc_lo
	s_delay_alu instid0(SALU_CYCLE_1)
	s_xor_b32 s38, exec_lo, s38
	s_cbranch_execz .LBB174_1179
; %bb.942:
	v_bfe_u32 v4, v3, 4, 1
	s_mov_b32 s37, exec_lo
	s_delay_alu instid0(VALU_DEP_1) | instskip(NEXT) | instid1(VALU_DEP_1)
	v_add3_u32 v4, v5, v4, 0x487ffff
                                        ; implicit-def: $vgpr5
	v_lshrrev_b32_e32 v4, 20, v4
	s_and_not1_saveexec_b32 s38, s38
	s_cbranch_execnz .LBB174_1180
.LBB174_943:
	s_or_b32 exec_lo, exec_lo, s38
	v_mov_b32_e32 v6, 0
	s_and_saveexec_b32 s38, s37
.LBB174_944:
	v_lshrrev_b32_e32 v3, 8, v3
	s_delay_alu instid0(VALU_DEP_1)
	v_and_or_b32 v6, 0x80, v3, v4
.LBB174_945:
	s_or_b32 exec_lo, exec_lo, s38
.LBB174_946:
	s_delay_alu instid0(SALU_CYCLE_1)
	s_or_b32 exec_lo, exec_lo, s36
	global_store_b8 v[0:1], v6, off
.LBB174_947:
	s_mov_b32 s36, -1
.LBB174_948:
	s_mov_b32 s37, 0
.LBB174_949:
	s_delay_alu instid0(SALU_CYCLE_1)
	s_and_b32 vcc_lo, exec_lo, s37
	s_cbranch_vccz .LBB174_990
; %bb.950:
	s_cmp_gt_i32 s35, 22
	s_mov_b32 s37, -1
	s_cbranch_scc0 .LBB174_982
; %bb.951:
	s_cmp_lt_i32 s35, 24
	s_mov_b32 s36, -1
	s_cbranch_scc1 .LBB174_971
; %bb.952:
	s_cmp_gt_i32 s35, 24
	s_cbranch_scc0 .LBB174_960
; %bb.953:
	s_wait_xcnt 0x0
	v_dual_mov_b32 v6, 0x80 :: v_dual_lshlrev_b32 v5, 16, v2
	s_mov_b32 s36, exec_lo
	s_delay_alu instid0(VALU_DEP_1) | instskip(NEXT) | instid1(VALU_DEP_1)
	v_and_b32_e32 v4, 0x7fffffff, v5
	v_cmpx_gt_u32_e32 0x47800000, v4
	s_cbranch_execz .LBB174_959
; %bb.954:
	v_and_b32_e32 v3, 0xffff, v2
	v_cmp_lt_u32_e32 vcc_lo, 0x37ffffff, v4
	s_mov_b32 s37, 0
                                        ; implicit-def: $vgpr4
	s_and_saveexec_b32 s38, vcc_lo
	s_delay_alu instid0(SALU_CYCLE_1)
	s_xor_b32 s38, exec_lo, s38
	s_cbranch_execz .LBB174_1311
; %bb.955:
	v_bfe_u32 v4, v3, 5, 1
	s_mov_b32 s37, exec_lo
	s_delay_alu instid0(VALU_DEP_1) | instskip(NEXT) | instid1(VALU_DEP_1)
	v_add3_u32 v4, v5, v4, 0x88fffff
                                        ; implicit-def: $vgpr5
	v_lshrrev_b32_e32 v4, 21, v4
	s_and_not1_saveexec_b32 s38, s38
	s_cbranch_execnz .LBB174_1312
.LBB174_956:
	s_or_b32 exec_lo, exec_lo, s38
	v_mov_b32_e32 v6, 0
	s_and_saveexec_b32 s38, s37
.LBB174_957:
	v_lshrrev_b32_e32 v3, 8, v3
	s_delay_alu instid0(VALU_DEP_1)
	v_and_or_b32 v6, 0x80, v3, v4
.LBB174_958:
	s_or_b32 exec_lo, exec_lo, s38
.LBB174_959:
	s_delay_alu instid0(SALU_CYCLE_1)
	s_or_b32 exec_lo, exec_lo, s36
	s_mov_b32 s36, 0
	global_store_b8 v[0:1], v6, off
.LBB174_960:
	s_and_b32 vcc_lo, exec_lo, s36
	s_cbranch_vccz .LBB174_970
; %bb.961:
	s_wait_xcnt 0x0
	v_lshlrev_b32_e32 v5, 16, v2
	v_and_b32_e32 v3, 0xffff, v2
	s_mov_b32 s36, exec_lo
                                        ; implicit-def: $vgpr4
	s_delay_alu instid0(VALU_DEP_2) | instskip(NEXT) | instid1(VALU_DEP_1)
	v_and_b32_e32 v6, 0x7fffffff, v5
	v_cmpx_gt_u32_e32 0x43f00000, v6
	s_xor_b32 s36, exec_lo, s36
	s_cbranch_execz .LBB174_967
; %bb.962:
	s_mov_b32 s37, exec_lo
                                        ; implicit-def: $vgpr4
	v_cmpx_lt_u32_e32 0x3c7fffff, v6
	s_xor_b32 s37, exec_lo, s37
; %bb.963:
	v_bfe_u32 v4, v3, 4, 1
	s_delay_alu instid0(VALU_DEP_1) | instskip(NEXT) | instid1(VALU_DEP_1)
	v_add3_u32 v4, v5, v4, 0x407ffff
	v_and_b32_e32 v5, 0xff00000, v4
	v_lshrrev_b32_e32 v4, 20, v4
	s_delay_alu instid0(VALU_DEP_2) | instskip(NEXT) | instid1(VALU_DEP_2)
	v_cmp_ne_u32_e32 vcc_lo, 0x7f00000, v5
                                        ; implicit-def: $vgpr5
	v_cndmask_b32_e32 v4, 0x7e, v4, vcc_lo
; %bb.964:
	s_and_not1_saveexec_b32 s37, s37
; %bb.965:
	v_add_f32_e64 v4, 0x46800000, |v5|
; %bb.966:
	s_or_b32 exec_lo, exec_lo, s37
                                        ; implicit-def: $vgpr6
.LBB174_967:
	s_and_not1_saveexec_b32 s36, s36
; %bb.968:
	v_mov_b32_e32 v4, 0x7f
	v_cmp_lt_u32_e32 vcc_lo, 0x7f800000, v6
	s_delay_alu instid0(VALU_DEP_2)
	v_cndmask_b32_e32 v4, 0x7e, v4, vcc_lo
; %bb.969:
	s_or_b32 exec_lo, exec_lo, s36
	v_lshrrev_b32_e32 v3, 8, v3
	s_delay_alu instid0(VALU_DEP_1)
	v_and_or_b32 v3, 0x80, v3, v4
	global_store_b8 v[0:1], v3, off
.LBB174_970:
	s_mov_b32 s36, 0
.LBB174_971:
	s_delay_alu instid0(SALU_CYCLE_1)
	s_and_not1_b32 vcc_lo, exec_lo, s36
	s_cbranch_vccnz .LBB174_981
; %bb.972:
	s_wait_xcnt 0x0
	v_lshlrev_b32_e32 v5, 16, v2
	v_and_b32_e32 v3, 0xffff, v2
	s_mov_b32 s36, exec_lo
                                        ; implicit-def: $vgpr4
	s_delay_alu instid0(VALU_DEP_2) | instskip(NEXT) | instid1(VALU_DEP_1)
	v_and_b32_e32 v6, 0x7fffffff, v5
	v_cmpx_gt_u32_e32 0x47800000, v6
	s_xor_b32 s36, exec_lo, s36
	s_cbranch_execz .LBB174_978
; %bb.973:
	s_mov_b32 s37, exec_lo
                                        ; implicit-def: $vgpr4
	v_cmpx_lt_u32_e32 0x387fffff, v6
	s_xor_b32 s37, exec_lo, s37
; %bb.974:
	v_bfe_u32 v4, v3, 5, 1
	s_delay_alu instid0(VALU_DEP_1) | instskip(NEXT) | instid1(VALU_DEP_1)
	v_add3_u32 v4, v5, v4, 0x80fffff
                                        ; implicit-def: $vgpr5
	v_lshrrev_b32_e32 v4, 21, v4
; %bb.975:
	s_and_not1_saveexec_b32 s37, s37
; %bb.976:
	v_add_f32_e64 v4, 0x43000000, |v5|
; %bb.977:
	s_or_b32 exec_lo, exec_lo, s37
                                        ; implicit-def: $vgpr6
.LBB174_978:
	s_and_not1_saveexec_b32 s36, s36
; %bb.979:
	v_mov_b32_e32 v4, 0x7f
	v_cmp_lt_u32_e32 vcc_lo, 0x7f800000, v6
	s_delay_alu instid0(VALU_DEP_2)
	v_cndmask_b32_e32 v4, 0x7c, v4, vcc_lo
; %bb.980:
	s_or_b32 exec_lo, exec_lo, s36
	v_lshrrev_b32_e32 v3, 8, v3
	s_delay_alu instid0(VALU_DEP_1)
	v_and_or_b32 v3, 0x80, v3, v4
	global_store_b8 v[0:1], v3, off
.LBB174_981:
	s_mov_b32 s37, 0
	s_mov_b32 s36, -1
.LBB174_982:
	s_and_not1_b32 vcc_lo, exec_lo, s37
	s_cbranch_vccnz .LBB174_990
; %bb.983:
	s_cmp_gt_i32 s35, 14
	s_mov_b32 s37, -1
	s_cbranch_scc0 .LBB174_987
; %bb.984:
	s_cmp_eq_u32 s35, 15
	s_mov_b32 s0, -1
	s_cbranch_scc0 .LBB174_986
; %bb.985:
	s_mov_b32 s36, -1
	s_mov_b32 s0, 0
	global_store_b16 v[0:1], v2, off
.LBB174_986:
	s_mov_b32 s37, 0
.LBB174_987:
	s_delay_alu instid0(SALU_CYCLE_1)
	s_and_b32 vcc_lo, exec_lo, s37
	s_cbranch_vccz .LBB174_990
; %bb.988:
	s_cmp_eq_u32 s35, 11
	s_mov_b32 s0, -1
	s_cbranch_scc0 .LBB174_990
; %bb.989:
	s_wait_xcnt 0x0
	v_and_b32_e32 v3, 0x7fff, v2
	s_mov_b32 s0, 0
	s_mov_b32 s36, -1
	s_delay_alu instid0(VALU_DEP_1)
	v_cmp_ne_u16_e32 vcc_lo, 0, v3
	v_cndmask_b32_e64 v3, 0, 1, vcc_lo
	global_store_b8 v[0:1], v3, off
.LBB174_990:
	s_mov_b32 s35, 0
.LBB174_991:
	s_delay_alu instid0(SALU_CYCLE_1)
	s_and_b32 vcc_lo, exec_lo, s35
	s_cbranch_vccz .LBB174_1030
; %bb.992:
	s_and_b32 s31, 0xffff, s31
	s_mov_b32 s35, -1
	s_cmp_lt_i32 s31, 5
	s_cbranch_scc1 .LBB174_1013
; %bb.993:
	s_cmp_lt_i32 s31, 8
	s_cbranch_scc1 .LBB174_1003
; %bb.994:
	;; [unrolled: 3-line block ×3, first 2 shown]
	s_cmp_gt_i32 s31, 9
	s_cbranch_scc0 .LBB174_997
; %bb.996:
	s_wait_xcnt 0x0
	v_dual_mov_b32 v6, 0 :: v_dual_lshlrev_b32 v3, 16, v2
	s_mov_b32 s35, 0
	s_delay_alu instid0(VALU_DEP_1) | instskip(NEXT) | instid1(VALU_DEP_2)
	v_cvt_f64_f32_e32 v[4:5], v3
	v_mov_b32_e32 v7, v6
	global_store_b128 v[0:1], v[4:7], off
.LBB174_997:
	s_and_not1_b32 vcc_lo, exec_lo, s35
	s_cbranch_vccnz .LBB174_999
; %bb.998:
	s_wait_xcnt 0x0
	v_dual_mov_b32 v5, 0 :: v_dual_lshlrev_b32 v4, 16, v2
	global_store_b64 v[0:1], v[4:5], off
.LBB174_999:
	s_mov_b32 s35, 0
.LBB174_1000:
	s_delay_alu instid0(SALU_CYCLE_1)
	s_and_not1_b32 vcc_lo, exec_lo, s35
	s_cbranch_vccnz .LBB174_1002
; %bb.1001:
	s_wait_xcnt 0x0
	v_lshlrev_b32_e32 v3, 16, v2
	s_delay_alu instid0(VALU_DEP_1) | instskip(NEXT) | instid1(VALU_DEP_1)
	v_cvt_f16_f32_e32 v3, v3
	v_and_b32_e32 v3, 0xffff, v3
	global_store_b32 v[0:1], v3, off
.LBB174_1002:
	s_mov_b32 s35, 0
.LBB174_1003:
	s_delay_alu instid0(SALU_CYCLE_1)
	s_and_not1_b32 vcc_lo, exec_lo, s35
	s_cbranch_vccnz .LBB174_1012
; %bb.1004:
	s_cmp_lt_i32 s31, 6
	s_mov_b32 s35, -1
	s_cbranch_scc1 .LBB174_1010
; %bb.1005:
	s_cmp_gt_i32 s31, 6
	s_cbranch_scc0 .LBB174_1007
; %bb.1006:
	s_wait_xcnt 0x0
	v_lshlrev_b32_e32 v3, 16, v2
	s_mov_b32 s35, 0
	s_delay_alu instid0(VALU_DEP_1)
	v_cvt_f64_f32_e32 v[4:5], v3
	global_store_b64 v[0:1], v[4:5], off
.LBB174_1007:
	s_and_not1_b32 vcc_lo, exec_lo, s35
	s_cbranch_vccnz .LBB174_1009
; %bb.1008:
	s_wait_xcnt 0x0
	v_lshlrev_b32_e32 v3, 16, v2
	global_store_b32 v[0:1], v3, off
.LBB174_1009:
	s_mov_b32 s35, 0
.LBB174_1010:
	s_delay_alu instid0(SALU_CYCLE_1)
	s_and_not1_b32 vcc_lo, exec_lo, s35
	s_cbranch_vccnz .LBB174_1012
; %bb.1011:
	s_wait_xcnt 0x0
	v_lshlrev_b32_e32 v3, 16, v2
	s_delay_alu instid0(VALU_DEP_1)
	v_cvt_f16_f32_e32 v3, v3
	global_store_b16 v[0:1], v3, off
.LBB174_1012:
	s_mov_b32 s35, 0
.LBB174_1013:
	s_delay_alu instid0(SALU_CYCLE_1)
	s_and_not1_b32 vcc_lo, exec_lo, s35
	s_cbranch_vccnz .LBB174_1029
; %bb.1014:
	s_cmp_lt_i32 s31, 2
	s_mov_b32 s35, -1
	s_cbranch_scc1 .LBB174_1024
; %bb.1015:
	s_cmp_lt_i32 s31, 3
	s_cbranch_scc1 .LBB174_1021
; %bb.1016:
	s_cmp_gt_i32 s31, 3
	s_cbranch_scc0 .LBB174_1018
; %bb.1017:
	s_wait_xcnt 0x0
	v_lshlrev_b32_e32 v3, 16, v2
	s_mov_b32 s35, 0
	s_delay_alu instid0(VALU_DEP_1) | instskip(NEXT) | instid1(VALU_DEP_1)
	v_trunc_f32_e32 v3, v3
	v_mul_f32_e64 v4, 0x2f800000, |v3|
	s_delay_alu instid0(VALU_DEP_1) | instskip(SKIP_1) | instid1(VALU_DEP_2)
	v_floor_f32_e32 v5, v4
	v_ashrrev_i32_e32 v4, 31, v3
	v_fma_f32 v6, 0xcf800000, v5, |v3|
	v_cvt_u32_f32_e32 v3, v5
	s_delay_alu instid0(VALU_DEP_3) | instskip(NEXT) | instid1(VALU_DEP_3)
	v_mov_b32_e32 v5, v4
	v_cvt_u32_f32_e32 v6, v6
	s_delay_alu instid0(VALU_DEP_3) | instskip(NEXT) | instid1(VALU_DEP_2)
	v_xor_b32_e32 v7, v3, v4
	v_xor_b32_e32 v6, v6, v4
	s_delay_alu instid0(VALU_DEP_1)
	v_sub_nc_u64_e32 v[4:5], v[6:7], v[4:5]
	global_store_b64 v[0:1], v[4:5], off
.LBB174_1018:
	s_and_not1_b32 vcc_lo, exec_lo, s35
	s_cbranch_vccnz .LBB174_1020
; %bb.1019:
	s_wait_xcnt 0x0
	v_lshlrev_b32_e32 v3, 16, v2
	s_delay_alu instid0(VALU_DEP_1)
	v_cvt_i32_f32_e32 v3, v3
	global_store_b32 v[0:1], v3, off
.LBB174_1020:
	s_mov_b32 s35, 0
.LBB174_1021:
	s_delay_alu instid0(SALU_CYCLE_1)
	s_and_not1_b32 vcc_lo, exec_lo, s35
	s_cbranch_vccnz .LBB174_1023
; %bb.1022:
	s_wait_xcnt 0x0
	v_lshlrev_b32_e32 v3, 16, v2
	s_delay_alu instid0(VALU_DEP_1)
	v_cvt_i32_f32_e32 v3, v3
	global_store_b16 v[0:1], v3, off
.LBB174_1023:
	s_mov_b32 s35, 0
.LBB174_1024:
	s_delay_alu instid0(SALU_CYCLE_1)
	s_and_not1_b32 vcc_lo, exec_lo, s35
	s_cbranch_vccnz .LBB174_1029
; %bb.1025:
	s_wait_xcnt 0x0
	v_lshlrev_b32_e32 v2, 16, v2
	s_cmp_gt_i32 s31, 0
	s_mov_b32 s31, -1
	s_cbranch_scc0 .LBB174_1027
; %bb.1026:
	s_delay_alu instid0(VALU_DEP_1)
	v_cvt_i32_f32_e32 v3, v2
	s_mov_b32 s31, 0
	global_store_b8 v[0:1], v3, off
.LBB174_1027:
	s_and_not1_b32 vcc_lo, exec_lo, s31
	s_cbranch_vccnz .LBB174_1029
; %bb.1028:
	v_trunc_f32_e32 v2, v2
	s_wait_xcnt 0x0
	s_delay_alu instid0(VALU_DEP_1) | instskip(NEXT) | instid1(VALU_DEP_1)
	v_mul_f32_e64 v3, 0x2f800000, |v2|
	v_floor_f32_e32 v3, v3
	s_delay_alu instid0(VALU_DEP_1) | instskip(SKIP_1) | instid1(VALU_DEP_2)
	v_fma_f32 v3, 0xcf800000, v3, |v2|
	v_ashrrev_i32_e32 v2, 31, v2
	v_cvt_u32_f32_e32 v3, v3
	s_delay_alu instid0(VALU_DEP_1) | instskip(NEXT) | instid1(VALU_DEP_1)
	v_xor_b32_e32 v3, v3, v2
	v_sub_nc_u32_e32 v2, v3, v2
	global_store_b8 v[0:1], v2, off
.LBB174_1029:
	s_mov_b32 s36, -1
.LBB174_1030:
	s_delay_alu instid0(SALU_CYCLE_1)
	s_and_not1_b32 vcc_lo, exec_lo, s36
	s_cbranch_vccnz .LBB174_1032
; %bb.1031:
	v_add_nc_u32_e32 v8, 0x80, v8
	s_mov_b32 s35, -1
	s_branch .LBB174_1034
.LBB174_1032:
	s_mov_b32 s35, 0
.LBB174_1033:
                                        ; implicit-def: $vgpr8
.LBB174_1034:
	s_and_not1_b32 s31, s23, exec_lo
	s_and_b32 s0, s0, exec_lo
	s_and_not1_b32 s36, s25, exec_lo
	s_and_b32 s37, s30, exec_lo
	s_or_b32 s30, s31, s0
	s_or_b32 s31, s36, s37
	s_and_not1_b32 s0, s26, exec_lo
	s_and_b32 s33, s33, exec_lo
	s_and_not1_b32 s36, s27, exec_lo
	s_and_b32 s29, s29, exec_lo
	s_or_b32 s33, s0, s33
	s_or_b32 s29, s36, s29
	s_or_not1_b32 s36, s35, exec_lo
.LBB174_1035:
	s_wait_xcnt 0x0
	s_or_b32 exec_lo, exec_lo, s34
	s_mov_b32 s35, 0
	s_mov_b32 s37, 0
	;; [unrolled: 1-line block ×3, first 2 shown]
                                        ; implicit-def: $sgpr0
                                        ; implicit-def: $vgpr0_vgpr1
                                        ; implicit-def: $vgpr2
	s_and_saveexec_b32 s34, s36
	s_cbranch_execz .LBB174_1638
; %bb.1036:
	s_mov_b32 s43, -1
	s_mov_b32 s36, s29
	s_mov_b32 s37, s33
	;; [unrolled: 1-line block ×4, first 2 shown]
	s_mov_b32 s35, exec_lo
	v_cmpx_gt_i32_e64 s24, v8
	s_cbranch_execz .LBB174_1556
; %bb.1037:
	v_mul_lo_u32 v0, v8, s13
	s_and_b32 s0, s19, 0xff
	s_delay_alu instid0(SALU_CYCLE_1) | instskip(NEXT) | instid1(VALU_DEP_1)
	s_cmp_lt_i32 s0, 11
	v_ashrrev_i32_e32 v1, 31, v0
	s_delay_alu instid0(VALU_DEP_1)
	v_add_nc_u64_e32 v[0:1], s[6:7], v[0:1]
	s_cbranch_scc1 .LBB174_1044
; %bb.1038:
	s_and_b32 s37, 0xffff, s0
	s_delay_alu instid0(SALU_CYCLE_1)
	s_cmp_gt_i32 s37, 25
	s_cbranch_scc0 .LBB174_1045
; %bb.1039:
	s_cmp_gt_i32 s37, 28
	s_cbranch_scc0 .LBB174_1046
; %bb.1040:
	s_cmp_gt_i32 s37, 43
	s_cbranch_scc0 .LBB174_1047
; %bb.1041:
	s_cmp_gt_i32 s37, 45
	s_cbranch_scc0 .LBB174_1048
; %bb.1042:
	s_cmp_eq_u32 s37, 46
	s_mov_b32 s39, 0
	s_cbranch_scc0 .LBB174_1049
; %bb.1043:
	s_wait_loadcnt 0x0
	global_load_b32 v2, v[0:1], off
	s_mov_b32 s38, -1
	s_mov_b32 s36, 0
	s_branch .LBB174_1051
.LBB174_1044:
	s_mov_b32 s37, -1
	s_mov_b32 s38, 0
	s_mov_b32 s36, s29
                                        ; implicit-def: $vgpr2
	s_branch .LBB174_1116
.LBB174_1045:
	s_mov_b32 s39, -1
	s_mov_b32 s38, 0
	s_mov_b32 s36, s29
                                        ; implicit-def: $vgpr2
	s_branch .LBB174_1080
.LBB174_1046:
	s_mov_b32 s39, -1
	s_mov_b32 s38, 0
	s_mov_b32 s36, s29
                                        ; implicit-def: $vgpr2
	s_branch .LBB174_1061
.LBB174_1047:
	s_mov_b32 s39, -1
	s_mov_b32 s38, 0
	s_mov_b32 s36, s29
                                        ; implicit-def: $vgpr2
	s_branch .LBB174_1056
.LBB174_1048:
	s_mov_b32 s39, -1
	s_mov_b32 s38, 0
	s_mov_b32 s36, s29
	s_branch .LBB174_1050
.LBB174_1049:
	s_mov_b32 s36, -1
	s_mov_b32 s38, 0
.LBB174_1050:
                                        ; implicit-def: $vgpr2
.LBB174_1051:
	s_and_b32 vcc_lo, exec_lo, s39
	s_cbranch_vccz .LBB174_1055
; %bb.1052:
	s_cmp_eq_u32 s37, 44
	s_cbranch_scc0 .LBB174_1054
; %bb.1053:
	s_wait_loadcnt 0x0
	global_load_u8 v2, v[0:1], off
	s_mov_b32 s36, 0
	s_mov_b32 s38, -1
	s_wait_loadcnt 0x0
	v_lshlrev_b32_e32 v3, 23, v2
	v_cmp_ne_u32_e32 vcc_lo, 0xff, v2
	s_delay_alu instid0(VALU_DEP_2) | instskip(SKIP_1) | instid1(VALU_DEP_2)
	v_cndmask_b32_e32 v3, 0x7f800001, v3, vcc_lo
	v_cmp_ne_u32_e32 vcc_lo, 0, v2
	v_cndmask_b32_e32 v2, 0x400000, v3, vcc_lo
	s_delay_alu instid0(VALU_DEP_1) | instskip(NEXT) | instid1(VALU_DEP_1)
	v_add_nc_u32_e32 v3, 0x7fff, v2
	v_lshrrev_b32_e32 v3, 16, v3
	v_cmp_o_f32_e32 vcc_lo, v2, v2
	s_delay_alu instid0(VALU_DEP_2)
	v_cndmask_b32_e32 v2, 0x7fc0, v3, vcc_lo
	s_branch .LBB174_1055
.LBB174_1054:
	s_mov_b32 s36, -1
                                        ; implicit-def: $vgpr2
.LBB174_1055:
	s_mov_b32 s39, 0
.LBB174_1056:
	s_delay_alu instid0(SALU_CYCLE_1)
	s_and_b32 vcc_lo, exec_lo, s39
	s_cbranch_vccz .LBB174_1060
; %bb.1057:
	s_cmp_eq_u32 s37, 29
	s_cbranch_scc0 .LBB174_1059
; %bb.1058:
	s_wait_loadcnt 0x0
	global_load_b64 v[2:3], v[0:1], off
	s_mov_b32 s38, -1
	s_mov_b32 s36, 0
	s_mov_b32 s39, 0
	s_wait_loadcnt 0x0
	v_clz_i32_u32_e32 v4, v3
	s_delay_alu instid0(VALU_DEP_1) | instskip(NEXT) | instid1(VALU_DEP_1)
	v_min_u32_e32 v4, 32, v4
	v_lshlrev_b64_e32 v[2:3], v4, v[2:3]
	s_delay_alu instid0(VALU_DEP_1) | instskip(NEXT) | instid1(VALU_DEP_1)
	v_min_u32_e32 v2, 1, v2
	v_dual_sub_nc_u32 v3, 32, v4 :: v_dual_bitop2_b32 v2, v3, v2 bitop3:0x54
	s_delay_alu instid0(VALU_DEP_1) | instskip(NEXT) | instid1(VALU_DEP_1)
	v_cvt_f32_u32_e32 v2, v2
	v_ldexp_f32 v2, v2, v3
	s_delay_alu instid0(VALU_DEP_1) | instskip(NEXT) | instid1(VALU_DEP_1)
	v_bfe_u32 v3, v2, 16, 1
	v_add3_u32 v2, v2, v3, 0x7fff
	s_delay_alu instid0(VALU_DEP_1)
	v_lshrrev_b32_e32 v2, 16, v2
	s_branch .LBB174_1061
.LBB174_1059:
	s_mov_b32 s36, -1
                                        ; implicit-def: $vgpr2
.LBB174_1060:
	s_mov_b32 s39, 0
.LBB174_1061:
	s_delay_alu instid0(SALU_CYCLE_1)
	s_and_b32 vcc_lo, exec_lo, s39
	s_cbranch_vccz .LBB174_1079
; %bb.1062:
	s_cmp_lt_i32 s37, 27
	s_cbranch_scc1 .LBB174_1065
; %bb.1063:
	s_cmp_gt_i32 s37, 27
	s_cbranch_scc0 .LBB174_1066
; %bb.1064:
	s_wait_loadcnt 0x0
	global_load_b32 v2, v[0:1], off
	s_mov_b32 s38, 0
	s_wait_loadcnt 0x0
	v_cvt_f32_u32_e32 v2, v2
	s_delay_alu instid0(VALU_DEP_1) | instskip(NEXT) | instid1(VALU_DEP_1)
	v_bfe_u32 v3, v2, 16, 1
	v_add3_u32 v2, v2, v3, 0x7fff
	s_delay_alu instid0(VALU_DEP_1)
	v_lshrrev_b32_e32 v2, 16, v2
	s_branch .LBB174_1067
.LBB174_1065:
	s_mov_b32 s38, -1
                                        ; implicit-def: $vgpr2
	s_branch .LBB174_1070
.LBB174_1066:
	s_mov_b32 s38, -1
                                        ; implicit-def: $vgpr2
.LBB174_1067:
	s_delay_alu instid0(SALU_CYCLE_1)
	s_and_not1_b32 vcc_lo, exec_lo, s38
	s_cbranch_vccnz .LBB174_1069
; %bb.1068:
	s_wait_loadcnt 0x0
	global_load_u16 v2, v[0:1], off
	s_wait_loadcnt 0x0
	v_cvt_f32_u32_e32 v2, v2
	s_delay_alu instid0(VALU_DEP_1) | instskip(NEXT) | instid1(VALU_DEP_1)
	v_bfe_u32 v3, v2, 16, 1
	v_add3_u32 v2, v2, v3, 0x7fff
	s_delay_alu instid0(VALU_DEP_1)
	v_lshrrev_b32_e32 v2, 16, v2
.LBB174_1069:
	s_mov_b32 s38, 0
.LBB174_1070:
	s_delay_alu instid0(SALU_CYCLE_1)
	s_and_not1_b32 vcc_lo, exec_lo, s38
	s_cbranch_vccnz .LBB174_1078
; %bb.1071:
	s_wait_loadcnt 0x0
	global_load_u8 v2, v[0:1], off
	s_mov_b32 s38, 0
	s_mov_b32 s39, exec_lo
	s_wait_loadcnt 0x0
	v_cmpx_lt_i16_e32 0x7f, v2
	s_xor_b32 s39, exec_lo, s39
	s_cbranch_execz .LBB174_1092
; %bb.1072:
	s_mov_b32 s38, -1
	s_mov_b32 s40, exec_lo
	v_cmpx_eq_u16_e32 0x80, v2
; %bb.1073:
	s_xor_b32 s38, exec_lo, -1
; %bb.1074:
	s_or_b32 exec_lo, exec_lo, s40
	s_delay_alu instid0(SALU_CYCLE_1)
	s_and_b32 s38, s38, exec_lo
	s_or_saveexec_b32 s39, s39
	v_mov_b32_e32 v3, 0x7f800001
	s_xor_b32 exec_lo, exec_lo, s39
	s_cbranch_execnz .LBB174_1093
.LBB174_1075:
	s_or_b32 exec_lo, exec_lo, s39
	s_and_saveexec_b32 s39, s38
	s_cbranch_execz .LBB174_1077
.LBB174_1076:
	v_and_b32_e32 v3, 0xffff, v2
	s_delay_alu instid0(VALU_DEP_1) | instskip(SKIP_1) | instid1(VALU_DEP_2)
	v_and_b32_e32 v4, 7, v3
	v_bfe_u32 v7, v3, 3, 4
	v_clz_i32_u32_e32 v5, v4
	s_delay_alu instid0(VALU_DEP_2) | instskip(NEXT) | instid1(VALU_DEP_2)
	v_cmp_eq_u32_e32 vcc_lo, 0, v7
	v_min_u32_e32 v5, 32, v5
	s_delay_alu instid0(VALU_DEP_1) | instskip(NEXT) | instid1(VALU_DEP_1)
	v_subrev_nc_u32_e32 v6, 28, v5
	v_dual_lshlrev_b32 v3, v6, v3 :: v_dual_sub_nc_u32 v5, 29, v5
	s_delay_alu instid0(VALU_DEP_1) | instskip(NEXT) | instid1(VALU_DEP_1)
	v_dual_lshlrev_b32 v2, 24, v2 :: v_dual_bitop2_b32 v3, 7, v3 bitop3:0x40
	v_dual_cndmask_b32 v5, v7, v5, vcc_lo :: v_dual_cndmask_b32 v3, v4, v3, vcc_lo
	s_delay_alu instid0(VALU_DEP_2) | instskip(NEXT) | instid1(VALU_DEP_2)
	v_and_b32_e32 v2, 0x80000000, v2
	v_lshl_add_u32 v4, v5, 23, 0x3b800000
	s_delay_alu instid0(VALU_DEP_3) | instskip(NEXT) | instid1(VALU_DEP_1)
	v_lshlrev_b32_e32 v3, 20, v3
	v_or3_b32 v3, v2, v4, v3
.LBB174_1077:
	s_or_b32 exec_lo, exec_lo, s39
	s_delay_alu instid0(VALU_DEP_1) | instskip(SKIP_1) | instid1(VALU_DEP_2)
	v_bfe_u32 v2, v3, 16, 1
	v_cmp_o_f32_e32 vcc_lo, v3, v3
	v_add3_u32 v2, v3, v2, 0x7fff
	s_delay_alu instid0(VALU_DEP_1) | instskip(NEXT) | instid1(VALU_DEP_1)
	v_lshrrev_b32_e32 v2, 16, v2
	v_cndmask_b32_e32 v2, 0x7fc0, v2, vcc_lo
.LBB174_1078:
	s_mov_b32 s38, -1
.LBB174_1079:
	s_mov_b32 s39, 0
.LBB174_1080:
	s_delay_alu instid0(SALU_CYCLE_1)
	s_and_b32 vcc_lo, exec_lo, s39
	s_cbranch_vccz .LBB174_1115
; %bb.1081:
	s_cmp_gt_i32 s37, 22
	s_cbranch_scc0 .LBB174_1091
; %bb.1082:
	s_cmp_lt_i32 s37, 24
	s_cbranch_scc1 .LBB174_1094
; %bb.1083:
	s_cmp_gt_i32 s37, 24
	s_cbranch_scc0 .LBB174_1095
; %bb.1084:
	s_wait_loadcnt 0x0
	global_load_u8 v2, v[0:1], off
	s_mov_b32 s38, 0
	s_mov_b32 s39, exec_lo
	s_wait_loadcnt 0x0
	v_cmpx_lt_i16_e32 0x7f, v2
	s_xor_b32 s39, exec_lo, s39
	s_cbranch_execz .LBB174_1107
; %bb.1085:
	s_mov_b32 s38, -1
	s_mov_b32 s40, exec_lo
	v_cmpx_eq_u16_e32 0x80, v2
; %bb.1086:
	s_xor_b32 s38, exec_lo, -1
; %bb.1087:
	s_or_b32 exec_lo, exec_lo, s40
	s_delay_alu instid0(SALU_CYCLE_1)
	s_and_b32 s38, s38, exec_lo
	s_or_saveexec_b32 s39, s39
	v_mov_b32_e32 v3, 0x7f800001
	s_xor_b32 exec_lo, exec_lo, s39
	s_cbranch_execnz .LBB174_1108
.LBB174_1088:
	s_or_b32 exec_lo, exec_lo, s39
	s_and_saveexec_b32 s39, s38
	s_cbranch_execz .LBB174_1090
.LBB174_1089:
	v_and_b32_e32 v3, 0xffff, v2
	s_delay_alu instid0(VALU_DEP_1) | instskip(SKIP_1) | instid1(VALU_DEP_2)
	v_and_b32_e32 v4, 3, v3
	v_bfe_u32 v7, v3, 2, 5
	v_clz_i32_u32_e32 v5, v4
	s_delay_alu instid0(VALU_DEP_2) | instskip(NEXT) | instid1(VALU_DEP_2)
	v_cmp_eq_u32_e32 vcc_lo, 0, v7
	v_min_u32_e32 v5, 32, v5
	s_delay_alu instid0(VALU_DEP_1) | instskip(NEXT) | instid1(VALU_DEP_1)
	v_subrev_nc_u32_e32 v6, 29, v5
	v_dual_lshlrev_b32 v3, v6, v3 :: v_dual_sub_nc_u32 v5, 30, v5
	s_delay_alu instid0(VALU_DEP_1) | instskip(NEXT) | instid1(VALU_DEP_1)
	v_dual_lshlrev_b32 v2, 24, v2 :: v_dual_bitop2_b32 v3, 3, v3 bitop3:0x40
	v_dual_cndmask_b32 v5, v7, v5, vcc_lo :: v_dual_cndmask_b32 v3, v4, v3, vcc_lo
	s_delay_alu instid0(VALU_DEP_2) | instskip(NEXT) | instid1(VALU_DEP_2)
	v_and_b32_e32 v2, 0x80000000, v2
	v_lshl_add_u32 v4, v5, 23, 0x37800000
	s_delay_alu instid0(VALU_DEP_3) | instskip(NEXT) | instid1(VALU_DEP_1)
	v_lshlrev_b32_e32 v3, 21, v3
	v_or3_b32 v3, v2, v4, v3
.LBB174_1090:
	s_or_b32 exec_lo, exec_lo, s39
	s_delay_alu instid0(VALU_DEP_1) | instskip(SKIP_2) | instid1(VALU_DEP_2)
	v_bfe_u32 v2, v3, 16, 1
	v_cmp_o_f32_e32 vcc_lo, v3, v3
	s_mov_b32 s38, 0
	v_add3_u32 v2, v3, v2, 0x7fff
	s_delay_alu instid0(VALU_DEP_1) | instskip(NEXT) | instid1(VALU_DEP_1)
	v_lshrrev_b32_e32 v2, 16, v2
	v_cndmask_b32_e32 v2, 0x7fc0, v2, vcc_lo
	s_branch .LBB174_1096
.LBB174_1091:
	s_mov_b32 s39, -1
                                        ; implicit-def: $vgpr2
	s_branch .LBB174_1102
.LBB174_1092:
	s_or_saveexec_b32 s39, s39
	v_mov_b32_e32 v3, 0x7f800001
	s_xor_b32 exec_lo, exec_lo, s39
	s_cbranch_execz .LBB174_1075
.LBB174_1093:
	v_cmp_ne_u16_e32 vcc_lo, 0, v2
	v_mov_b32_e32 v3, 0
	s_and_not1_b32 s38, s38, exec_lo
	s_and_b32 s40, vcc_lo, exec_lo
	s_delay_alu instid0(SALU_CYCLE_1)
	s_or_b32 s38, s38, s40
	s_or_b32 exec_lo, exec_lo, s39
	s_and_saveexec_b32 s39, s38
	s_cbranch_execnz .LBB174_1076
	s_branch .LBB174_1077
.LBB174_1094:
	s_mov_b32 s38, -1
                                        ; implicit-def: $vgpr2
	s_branch .LBB174_1099
.LBB174_1095:
	s_mov_b32 s38, -1
                                        ; implicit-def: $vgpr2
.LBB174_1096:
	s_delay_alu instid0(SALU_CYCLE_1)
	s_and_b32 vcc_lo, exec_lo, s38
	s_cbranch_vccz .LBB174_1098
; %bb.1097:
	s_wait_loadcnt 0x0
	global_load_u8 v2, v[0:1], off
	s_wait_loadcnt 0x0
	v_lshlrev_b32_e32 v2, 24, v2
	s_delay_alu instid0(VALU_DEP_1) | instskip(NEXT) | instid1(VALU_DEP_1)
	v_and_b32_e32 v3, 0x7f000000, v2
	v_clz_i32_u32_e32 v4, v3
	v_cmp_ne_u32_e32 vcc_lo, 0, v3
	v_add_nc_u32_e32 v6, 0x1000000, v3
	s_delay_alu instid0(VALU_DEP_3) | instskip(NEXT) | instid1(VALU_DEP_1)
	v_min_u32_e32 v4, 32, v4
	v_sub_nc_u32_e64 v4, v4, 4 clamp
	s_delay_alu instid0(VALU_DEP_1) | instskip(NEXT) | instid1(VALU_DEP_1)
	v_dual_lshlrev_b32 v5, v4, v3 :: v_dual_lshlrev_b32 v4, 23, v4
	v_lshrrev_b32_e32 v5, 4, v5
	s_delay_alu instid0(VALU_DEP_1) | instskip(NEXT) | instid1(VALU_DEP_1)
	v_dual_sub_nc_u32 v4, v5, v4 :: v_dual_ashrrev_i32 v5, 8, v6
	v_add_nc_u32_e32 v4, 0x3c000000, v4
	s_delay_alu instid0(VALU_DEP_1) | instskip(NEXT) | instid1(VALU_DEP_1)
	v_and_or_b32 v4, 0x7f800000, v5, v4
	v_cndmask_b32_e32 v3, 0, v4, vcc_lo
	s_delay_alu instid0(VALU_DEP_1) | instskip(SKIP_1) | instid1(VALU_DEP_2)
	v_and_or_b32 v2, 0x80000000, v2, v3
	v_bfe_u32 v3, v3, 16, 1
	v_cmp_o_f32_e32 vcc_lo, v2, v2
	s_delay_alu instid0(VALU_DEP_2) | instskip(NEXT) | instid1(VALU_DEP_1)
	v_add3_u32 v3, v2, v3, 0x7fff
	v_lshrrev_b32_e32 v3, 16, v3
	s_delay_alu instid0(VALU_DEP_1)
	v_cndmask_b32_e32 v2, 0x7fc0, v3, vcc_lo
.LBB174_1098:
	s_mov_b32 s38, 0
.LBB174_1099:
	s_delay_alu instid0(SALU_CYCLE_1)
	s_and_not1_b32 vcc_lo, exec_lo, s38
	s_cbranch_vccnz .LBB174_1101
; %bb.1100:
	s_wait_loadcnt 0x0
	global_load_u8 v2, v[0:1], off
	s_wait_loadcnt 0x0
	v_lshlrev_b32_e32 v3, 25, v2
	v_lshlrev_b16 v2, 8, v2
	s_delay_alu instid0(VALU_DEP_1) | instskip(SKIP_1) | instid1(VALU_DEP_2)
	v_and_or_b32 v5, 0x7f00, v2, 0.5
	v_bfe_i32 v2, v2, 0, 16
	v_dual_add_f32 v5, -0.5, v5 :: v_dual_lshrrev_b32 v4, 4, v3
	v_cmp_gt_u32_e32 vcc_lo, 0x8000000, v3
	s_delay_alu instid0(VALU_DEP_2) | instskip(NEXT) | instid1(VALU_DEP_1)
	v_or_b32_e32 v4, 0x70000000, v4
	v_mul_f32_e32 v4, 0x7800000, v4
	s_delay_alu instid0(VALU_DEP_1) | instskip(NEXT) | instid1(VALU_DEP_1)
	v_cndmask_b32_e32 v3, v4, v5, vcc_lo
	v_and_or_b32 v2, 0x80000000, v2, v3
	v_bfe_u32 v3, v3, 16, 1
	s_delay_alu instid0(VALU_DEP_2) | instskip(NEXT) | instid1(VALU_DEP_2)
	v_cmp_o_f32_e32 vcc_lo, v2, v2
	v_add3_u32 v3, v2, v3, 0x7fff
	s_delay_alu instid0(VALU_DEP_1) | instskip(NEXT) | instid1(VALU_DEP_1)
	v_lshrrev_b32_e32 v3, 16, v3
	v_cndmask_b32_e32 v2, 0x7fc0, v3, vcc_lo
.LBB174_1101:
	s_mov_b32 s39, 0
	s_mov_b32 s38, -1
.LBB174_1102:
	s_and_not1_b32 vcc_lo, exec_lo, s39
	s_cbranch_vccnz .LBB174_1115
; %bb.1103:
	s_cmp_gt_i32 s37, 14
	s_cbranch_scc0 .LBB174_1106
; %bb.1104:
	s_cmp_eq_u32 s37, 15
	s_cbranch_scc0 .LBB174_1109
; %bb.1105:
	s_wait_loadcnt 0x0
	global_load_u16 v2, v[0:1], off
	s_mov_b32 s38, -1
	s_mov_b32 s36, 0
	s_branch .LBB174_1110
.LBB174_1106:
	s_mov_b32 s39, -1
                                        ; implicit-def: $vgpr2
	s_branch .LBB174_1111
.LBB174_1107:
	s_or_saveexec_b32 s39, s39
	v_mov_b32_e32 v3, 0x7f800001
	s_xor_b32 exec_lo, exec_lo, s39
	s_cbranch_execz .LBB174_1088
.LBB174_1108:
	v_cmp_ne_u16_e32 vcc_lo, 0, v2
	v_mov_b32_e32 v3, 0
	s_and_not1_b32 s38, s38, exec_lo
	s_and_b32 s40, vcc_lo, exec_lo
	s_delay_alu instid0(SALU_CYCLE_1)
	s_or_b32 s38, s38, s40
	s_or_b32 exec_lo, exec_lo, s39
	s_and_saveexec_b32 s39, s38
	s_cbranch_execnz .LBB174_1089
	s_branch .LBB174_1090
.LBB174_1109:
	s_mov_b32 s36, -1
                                        ; implicit-def: $vgpr2
.LBB174_1110:
	s_mov_b32 s39, 0
.LBB174_1111:
	s_delay_alu instid0(SALU_CYCLE_1)
	s_and_b32 vcc_lo, exec_lo, s39
	s_cbranch_vccz .LBB174_1115
; %bb.1112:
	s_cmp_eq_u32 s37, 11
	s_cbranch_scc0 .LBB174_1114
; %bb.1113:
	s_wait_loadcnt 0x0
	global_load_u8 v2, v[0:1], off
	s_mov_b32 s36, 0
	s_mov_b32 s38, -1
	s_wait_loadcnt 0x0
	v_cmp_ne_u16_e32 vcc_lo, 0, v2
	v_cndmask_b32_e64 v2, 0, 1.0, vcc_lo
	s_delay_alu instid0(VALU_DEP_1)
	v_lshrrev_b32_e32 v2, 16, v2
	s_branch .LBB174_1115
.LBB174_1114:
	s_mov_b32 s36, -1
                                        ; implicit-def: $vgpr2
.LBB174_1115:
	s_mov_b32 s37, 0
.LBB174_1116:
	s_delay_alu instid0(SALU_CYCLE_1)
	s_and_b32 vcc_lo, exec_lo, s37
	s_cbranch_vccz .LBB174_1165
; %bb.1117:
	s_and_b32 s0, 0xffff, s0
	s_delay_alu instid0(SALU_CYCLE_1)
	s_cmp_lt_i32 s0, 5
	s_cbranch_scc1 .LBB174_1122
; %bb.1118:
	s_cmp_lt_i32 s0, 8
	s_cbranch_scc1 .LBB174_1123
; %bb.1119:
	;; [unrolled: 3-line block ×3, first 2 shown]
	s_cmp_gt_i32 s0, 9
	s_cbranch_scc0 .LBB174_1125
; %bb.1121:
	s_wait_loadcnt 0x0
	global_load_b64 v[2:3], v[0:1], off
	s_mov_b32 s37, 0
	s_wait_loadcnt 0x0
	v_cvt_f32_f64_e32 v2, v[2:3]
	s_delay_alu instid0(VALU_DEP_1) | instskip(SKIP_1) | instid1(VALU_DEP_2)
	v_bfe_u32 v3, v2, 16, 1
	v_cmp_o_f32_e32 vcc_lo, v2, v2
	v_add3_u32 v3, v2, v3, 0x7fff
	s_delay_alu instid0(VALU_DEP_1) | instskip(NEXT) | instid1(VALU_DEP_1)
	v_lshrrev_b32_e32 v3, 16, v3
	v_cndmask_b32_e32 v2, 0x7fc0, v3, vcc_lo
	s_branch .LBB174_1126
.LBB174_1122:
	s_mov_b32 s37, -1
                                        ; implicit-def: $vgpr2
	s_branch .LBB174_1144
.LBB174_1123:
	s_mov_b32 s37, -1
                                        ; implicit-def: $vgpr2
	s_branch .LBB174_1132
.LBB174_1124:
	s_mov_b32 s37, -1
                                        ; implicit-def: $vgpr2
	s_branch .LBB174_1129
.LBB174_1125:
	s_mov_b32 s37, -1
                                        ; implicit-def: $vgpr2
.LBB174_1126:
	s_delay_alu instid0(SALU_CYCLE_1)
	s_and_not1_b32 vcc_lo, exec_lo, s37
	s_cbranch_vccnz .LBB174_1128
; %bb.1127:
	s_wait_loadcnt 0x0
	global_load_b32 v2, v[0:1], off
	s_wait_loadcnt 0x0
	v_bfe_u32 v3, v2, 16, 1
	v_cmp_o_f32_e32 vcc_lo, v2, v2
	s_delay_alu instid0(VALU_DEP_2) | instskip(NEXT) | instid1(VALU_DEP_1)
	v_add3_u32 v3, v2, v3, 0x7fff
	v_lshrrev_b32_e32 v3, 16, v3
	s_delay_alu instid0(VALU_DEP_1)
	v_cndmask_b32_e32 v2, 0x7fc0, v3, vcc_lo
.LBB174_1128:
	s_mov_b32 s37, 0
.LBB174_1129:
	s_delay_alu instid0(SALU_CYCLE_1)
	s_and_not1_b32 vcc_lo, exec_lo, s37
	s_cbranch_vccnz .LBB174_1131
; %bb.1130:
	s_wait_loadcnt 0x0
	global_load_b32 v2, v[0:1], off
	s_wait_loadcnt 0x0
	v_cvt_f32_f16_e32 v3, v2
	v_cmp_o_f16_e32 vcc_lo, v2, v2
	s_delay_alu instid0(VALU_DEP_2) | instskip(NEXT) | instid1(VALU_DEP_1)
	v_bfe_u32 v4, v3, 16, 1
	v_add3_u32 v3, v3, v4, 0x7fff
	s_delay_alu instid0(VALU_DEP_1) | instskip(NEXT) | instid1(VALU_DEP_1)
	v_lshrrev_b32_e32 v3, 16, v3
	v_cndmask_b32_e32 v2, 0x7fc0, v3, vcc_lo
.LBB174_1131:
	s_mov_b32 s37, 0
.LBB174_1132:
	s_delay_alu instid0(SALU_CYCLE_1)
	s_and_not1_b32 vcc_lo, exec_lo, s37
	s_cbranch_vccnz .LBB174_1143
; %bb.1133:
	s_cmp_lt_i32 s0, 6
	s_cbranch_scc1 .LBB174_1136
; %bb.1134:
	s_cmp_gt_i32 s0, 6
	s_cbranch_scc0 .LBB174_1137
; %bb.1135:
	s_wait_loadcnt 0x0
	global_load_b64 v[2:3], v[0:1], off
	s_mov_b32 s37, 0
	s_wait_loadcnt 0x0
	v_cvt_f32_f64_e32 v2, v[2:3]
	s_delay_alu instid0(VALU_DEP_1) | instskip(SKIP_1) | instid1(VALU_DEP_2)
	v_bfe_u32 v3, v2, 16, 1
	v_cmp_o_f32_e32 vcc_lo, v2, v2
	v_add3_u32 v3, v2, v3, 0x7fff
	s_delay_alu instid0(VALU_DEP_1) | instskip(NEXT) | instid1(VALU_DEP_1)
	v_lshrrev_b32_e32 v3, 16, v3
	v_cndmask_b32_e32 v2, 0x7fc0, v3, vcc_lo
	s_branch .LBB174_1138
.LBB174_1136:
	s_mov_b32 s37, -1
                                        ; implicit-def: $vgpr2
	s_branch .LBB174_1141
.LBB174_1137:
	s_mov_b32 s37, -1
                                        ; implicit-def: $vgpr2
.LBB174_1138:
	s_delay_alu instid0(SALU_CYCLE_1)
	s_and_not1_b32 vcc_lo, exec_lo, s37
	s_cbranch_vccnz .LBB174_1140
; %bb.1139:
	s_wait_loadcnt 0x0
	global_load_b32 v2, v[0:1], off
	s_wait_loadcnt 0x0
	v_bfe_u32 v3, v2, 16, 1
	v_cmp_o_f32_e32 vcc_lo, v2, v2
	s_delay_alu instid0(VALU_DEP_2) | instskip(NEXT) | instid1(VALU_DEP_1)
	v_add3_u32 v3, v2, v3, 0x7fff
	v_lshrrev_b32_e32 v3, 16, v3
	s_delay_alu instid0(VALU_DEP_1)
	v_cndmask_b32_e32 v2, 0x7fc0, v3, vcc_lo
.LBB174_1140:
	s_mov_b32 s37, 0
.LBB174_1141:
	s_delay_alu instid0(SALU_CYCLE_1)
	s_and_not1_b32 vcc_lo, exec_lo, s37
	s_cbranch_vccnz .LBB174_1143
; %bb.1142:
	s_wait_loadcnt 0x0
	global_load_u16 v2, v[0:1], off
	s_wait_loadcnt 0x0
	v_cvt_f32_f16_e32 v3, v2
	v_cmp_o_f16_e32 vcc_lo, v2, v2
	s_delay_alu instid0(VALU_DEP_2) | instskip(NEXT) | instid1(VALU_DEP_1)
	v_bfe_u32 v4, v3, 16, 1
	v_add3_u32 v3, v3, v4, 0x7fff
	s_delay_alu instid0(VALU_DEP_1) | instskip(NEXT) | instid1(VALU_DEP_1)
	v_lshrrev_b32_e32 v3, 16, v3
	v_cndmask_b32_e32 v2, 0x7fc0, v3, vcc_lo
.LBB174_1143:
	s_mov_b32 s37, 0
.LBB174_1144:
	s_delay_alu instid0(SALU_CYCLE_1)
	s_and_not1_b32 vcc_lo, exec_lo, s37
	s_cbranch_vccnz .LBB174_1164
; %bb.1145:
	s_cmp_lt_i32 s0, 2
	s_cbranch_scc1 .LBB174_1149
; %bb.1146:
	s_cmp_lt_i32 s0, 3
	s_cbranch_scc1 .LBB174_1150
; %bb.1147:
	s_cmp_gt_i32 s0, 3
	s_cbranch_scc0 .LBB174_1151
; %bb.1148:
	s_wait_loadcnt 0x0
	global_load_b64 v[2:3], v[0:1], off
	s_mov_b32 s37, 0
	s_wait_loadcnt 0x0
	v_xor_b32_e32 v4, v2, v3
	v_cls_i32_e32 v5, v3
	s_delay_alu instid0(VALU_DEP_2) | instskip(NEXT) | instid1(VALU_DEP_1)
	v_ashrrev_i32_e32 v4, 31, v4
	v_add_nc_u32_e32 v4, 32, v4
	s_delay_alu instid0(VALU_DEP_1) | instskip(NEXT) | instid1(VALU_DEP_1)
	v_add_min_u32_e64 v4, v5, -1, v4
	v_lshlrev_b64_e32 v[2:3], v4, v[2:3]
	s_delay_alu instid0(VALU_DEP_1) | instskip(NEXT) | instid1(VALU_DEP_1)
	v_min_u32_e32 v2, 1, v2
	v_dual_sub_nc_u32 v3, 32, v4 :: v_dual_bitop2_b32 v2, v3, v2 bitop3:0x54
	s_delay_alu instid0(VALU_DEP_1) | instskip(NEXT) | instid1(VALU_DEP_1)
	v_cvt_f32_i32_e32 v2, v2
	v_ldexp_f32 v2, v2, v3
	s_delay_alu instid0(VALU_DEP_1) | instskip(NEXT) | instid1(VALU_DEP_1)
	v_bfe_u32 v3, v2, 16, 1
	v_add3_u32 v2, v2, v3, 0x7fff
	s_delay_alu instid0(VALU_DEP_1)
	v_lshrrev_b32_e32 v2, 16, v2
	s_branch .LBB174_1152
.LBB174_1149:
	s_mov_b32 s37, -1
                                        ; implicit-def: $vgpr2
	s_branch .LBB174_1158
.LBB174_1150:
	s_mov_b32 s37, -1
                                        ; implicit-def: $vgpr2
	s_branch .LBB174_1155
.LBB174_1151:
	s_mov_b32 s37, -1
                                        ; implicit-def: $vgpr2
.LBB174_1152:
	s_delay_alu instid0(SALU_CYCLE_1)
	s_and_not1_b32 vcc_lo, exec_lo, s37
	s_cbranch_vccnz .LBB174_1154
; %bb.1153:
	s_wait_loadcnt 0x0
	global_load_b32 v2, v[0:1], off
	s_wait_loadcnt 0x0
	v_cvt_f32_i32_e32 v2, v2
	s_delay_alu instid0(VALU_DEP_1) | instskip(NEXT) | instid1(VALU_DEP_1)
	v_bfe_u32 v3, v2, 16, 1
	v_add3_u32 v2, v2, v3, 0x7fff
	s_delay_alu instid0(VALU_DEP_1)
	v_lshrrev_b32_e32 v2, 16, v2
.LBB174_1154:
	s_mov_b32 s37, 0
.LBB174_1155:
	s_delay_alu instid0(SALU_CYCLE_1)
	s_and_not1_b32 vcc_lo, exec_lo, s37
	s_cbranch_vccnz .LBB174_1157
; %bb.1156:
	s_wait_loadcnt 0x0
	global_load_i16 v2, v[0:1], off
	s_wait_loadcnt 0x0
	v_cvt_f32_i32_e32 v2, v2
	s_delay_alu instid0(VALU_DEP_1) | instskip(NEXT) | instid1(VALU_DEP_1)
	v_bfe_u32 v3, v2, 16, 1
	v_add3_u32 v2, v2, v3, 0x7fff
	s_delay_alu instid0(VALU_DEP_1)
	v_lshrrev_b32_e32 v2, 16, v2
.LBB174_1157:
	s_mov_b32 s37, 0
.LBB174_1158:
	s_delay_alu instid0(SALU_CYCLE_1)
	s_and_not1_b32 vcc_lo, exec_lo, s37
	s_cbranch_vccnz .LBB174_1164
; %bb.1159:
	s_cmp_gt_i32 s0, 0
	s_mov_b32 s0, 0
	s_cbranch_scc0 .LBB174_1161
; %bb.1160:
	s_wait_loadcnt 0x0
	global_load_i8 v2, v[0:1], off
	s_wait_loadcnt 0x0
	v_cvt_f32_i32_e32 v2, v2
	s_delay_alu instid0(VALU_DEP_1) | instskip(NEXT) | instid1(VALU_DEP_1)
	v_bfe_u32 v3, v2, 16, 1
	v_add3_u32 v2, v2, v3, 0x7fff
	s_delay_alu instid0(VALU_DEP_1)
	v_lshrrev_b32_e32 v2, 16, v2
	s_branch .LBB174_1162
.LBB174_1161:
	s_mov_b32 s0, -1
                                        ; implicit-def: $vgpr2
.LBB174_1162:
	s_delay_alu instid0(SALU_CYCLE_1)
	s_and_not1_b32 vcc_lo, exec_lo, s0
	s_cbranch_vccnz .LBB174_1164
; %bb.1163:
	global_load_u8 v0, v[0:1], off
	s_wait_loadcnt 0x0
	v_cvt_f32_ubyte0_e32 v0, v0
	s_delay_alu instid0(VALU_DEP_1) | instskip(NEXT) | instid1(VALU_DEP_1)
	v_bfe_u32 v1, v0, 16, 1
	v_add3_u32 v0, v0, v1, 0x7fff
	s_delay_alu instid0(VALU_DEP_1)
	v_lshrrev_b32_e32 v2, 16, v0
.LBB174_1164:
	s_mov_b32 s38, -1
.LBB174_1165:
	s_delay_alu instid0(SALU_CYCLE_1)
	s_and_not1_b32 vcc_lo, exec_lo, s38
	s_cbranch_vccnz .LBB174_1173
; %bb.1166:
	s_wait_xcnt 0x0
	v_mul_lo_u32 v0, v8, s14
	s_and_b32 s0, s17, 0xff
	s_delay_alu instid0(SALU_CYCLE_1) | instskip(NEXT) | instid1(VALU_DEP_1)
	s_cmp_lt_i32 s0, 11
	v_ashrrev_i32_e32 v1, 31, v0
	s_delay_alu instid0(VALU_DEP_1)
	v_add_nc_u64_e32 v[0:1], s[8:9], v[0:1]
	s_cbranch_scc1 .LBB174_1174
; %bb.1167:
	s_and_b32 s38, 0xffff, s0
	s_delay_alu instid0(SALU_CYCLE_1)
	s_cmp_gt_i32 s38, 25
	s_cbranch_scc0 .LBB174_1175
; %bb.1168:
	s_cmp_gt_i32 s38, 28
	s_cbranch_scc0 .LBB174_1176
; %bb.1169:
	s_cmp_gt_i32 s38, 43
	s_cbranch_scc0 .LBB174_1177
; %bb.1170:
	s_cmp_gt_i32 s38, 45
	s_cbranch_scc0 .LBB174_1178
; %bb.1171:
	s_cmp_eq_u32 s38, 46
	s_mov_b32 s40, 0
	s_cbranch_scc0 .LBB174_1181
; %bb.1172:
	s_wait_loadcnt 0x0
	global_load_b32 v3, v[0:1], off
	s_mov_b32 s39, -1
	s_mov_b32 s37, 0
	s_branch .LBB174_1183
.LBB174_1173:
	s_mov_b32 s40, 0
	s_mov_b32 s0, s30
	;; [unrolled: 1-line block ×4, first 2 shown]
	s_branch .LBB174_1554
.LBB174_1174:
	s_mov_b32 s38, -1
	s_mov_b32 s39, 0
	s_mov_b32 s37, s33
                                        ; implicit-def: $vgpr3
	s_branch .LBB174_1248
.LBB174_1175:
	s_mov_b32 s40, -1
	s_mov_b32 s39, 0
	s_mov_b32 s37, s33
                                        ; implicit-def: $vgpr3
	s_branch .LBB174_1212
.LBB174_1176:
	s_mov_b32 s40, -1
	s_mov_b32 s39, 0
	s_mov_b32 s37, s33
                                        ; implicit-def: $vgpr3
	s_branch .LBB174_1193
.LBB174_1177:
	s_mov_b32 s40, -1
	s_mov_b32 s39, 0
	s_mov_b32 s37, s33
                                        ; implicit-def: $vgpr3
	s_branch .LBB174_1188
.LBB174_1178:
	s_mov_b32 s40, -1
	s_mov_b32 s39, 0
	s_mov_b32 s37, s33
	s_branch .LBB174_1182
.LBB174_1179:
	s_and_not1_saveexec_b32 s38, s38
	s_cbranch_execz .LBB174_943
.LBB174_1180:
	v_add_f32_e64 v4, 0x46000000, |v5|
	s_and_not1_b32 s37, s37, exec_lo
	s_delay_alu instid0(VALU_DEP_1) | instskip(NEXT) | instid1(VALU_DEP_1)
	v_and_b32_e32 v4, 0xff, v4
	v_cmp_ne_u32_e32 vcc_lo, 0, v4
	s_and_b32 s39, vcc_lo, exec_lo
	s_delay_alu instid0(SALU_CYCLE_1)
	s_or_b32 s37, s37, s39
	s_or_b32 exec_lo, exec_lo, s38
	v_mov_b32_e32 v6, 0
	s_and_saveexec_b32 s38, s37
	s_cbranch_execnz .LBB174_944
	s_branch .LBB174_945
.LBB174_1181:
	s_mov_b32 s37, -1
	s_mov_b32 s39, 0
.LBB174_1182:
                                        ; implicit-def: $vgpr3
.LBB174_1183:
	s_and_b32 vcc_lo, exec_lo, s40
	s_cbranch_vccz .LBB174_1187
; %bb.1184:
	s_cmp_eq_u32 s38, 44
	s_cbranch_scc0 .LBB174_1186
; %bb.1185:
	s_wait_loadcnt 0x0
	global_load_u8 v3, v[0:1], off
	s_mov_b32 s37, 0
	s_mov_b32 s39, -1
	s_wait_loadcnt 0x0
	v_lshlrev_b32_e32 v4, 23, v3
	v_cmp_ne_u32_e32 vcc_lo, 0xff, v3
	s_delay_alu instid0(VALU_DEP_2) | instskip(SKIP_1) | instid1(VALU_DEP_2)
	v_cndmask_b32_e32 v4, 0x7f800001, v4, vcc_lo
	v_cmp_ne_u32_e32 vcc_lo, 0, v3
	v_cndmask_b32_e32 v3, 0x400000, v4, vcc_lo
	s_delay_alu instid0(VALU_DEP_1) | instskip(NEXT) | instid1(VALU_DEP_1)
	v_add_nc_u32_e32 v4, 0x7fff, v3
	v_lshrrev_b32_e32 v4, 16, v4
	v_cmp_o_f32_e32 vcc_lo, v3, v3
	s_delay_alu instid0(VALU_DEP_2)
	v_cndmask_b32_e32 v3, 0x7fc0, v4, vcc_lo
	s_branch .LBB174_1187
.LBB174_1186:
	s_mov_b32 s37, -1
                                        ; implicit-def: $vgpr3
.LBB174_1187:
	s_mov_b32 s40, 0
.LBB174_1188:
	s_delay_alu instid0(SALU_CYCLE_1)
	s_and_b32 vcc_lo, exec_lo, s40
	s_cbranch_vccz .LBB174_1192
; %bb.1189:
	s_cmp_eq_u32 s38, 29
	s_cbranch_scc0 .LBB174_1191
; %bb.1190:
	s_wait_loadcnt 0x0
	global_load_b64 v[4:5], v[0:1], off
	s_mov_b32 s39, -1
	s_mov_b32 s37, 0
	s_mov_b32 s40, 0
	s_wait_loadcnt 0x0
	v_clz_i32_u32_e32 v3, v5
	s_delay_alu instid0(VALU_DEP_1) | instskip(NEXT) | instid1(VALU_DEP_1)
	v_min_u32_e32 v3, 32, v3
	v_lshlrev_b64_e32 v[4:5], v3, v[4:5]
	v_sub_nc_u32_e32 v3, 32, v3
	s_delay_alu instid0(VALU_DEP_2) | instskip(NEXT) | instid1(VALU_DEP_1)
	v_min_u32_e32 v4, 1, v4
	v_or_b32_e32 v4, v5, v4
	s_delay_alu instid0(VALU_DEP_1) | instskip(NEXT) | instid1(VALU_DEP_1)
	v_cvt_f32_u32_e32 v4, v4
	v_ldexp_f32 v3, v4, v3
	s_delay_alu instid0(VALU_DEP_1) | instskip(NEXT) | instid1(VALU_DEP_1)
	v_bfe_u32 v4, v3, 16, 1
	v_add3_u32 v3, v3, v4, 0x7fff
	s_delay_alu instid0(VALU_DEP_1)
	v_lshrrev_b32_e32 v3, 16, v3
	s_branch .LBB174_1193
.LBB174_1191:
	s_mov_b32 s37, -1
                                        ; implicit-def: $vgpr3
.LBB174_1192:
	s_mov_b32 s40, 0
.LBB174_1193:
	s_delay_alu instid0(SALU_CYCLE_1)
	s_and_b32 vcc_lo, exec_lo, s40
	s_cbranch_vccz .LBB174_1211
; %bb.1194:
	s_cmp_lt_i32 s38, 27
	s_cbranch_scc1 .LBB174_1197
; %bb.1195:
	s_cmp_gt_i32 s38, 27
	s_cbranch_scc0 .LBB174_1198
; %bb.1196:
	s_wait_loadcnt 0x0
	global_load_b32 v3, v[0:1], off
	s_mov_b32 s39, 0
	s_wait_loadcnt 0x0
	v_cvt_f32_u32_e32 v3, v3
	s_delay_alu instid0(VALU_DEP_1) | instskip(NEXT) | instid1(VALU_DEP_1)
	v_bfe_u32 v4, v3, 16, 1
	v_add3_u32 v3, v3, v4, 0x7fff
	s_delay_alu instid0(VALU_DEP_1)
	v_lshrrev_b32_e32 v3, 16, v3
	s_branch .LBB174_1199
.LBB174_1197:
	s_mov_b32 s39, -1
                                        ; implicit-def: $vgpr3
	s_branch .LBB174_1202
.LBB174_1198:
	s_mov_b32 s39, -1
                                        ; implicit-def: $vgpr3
.LBB174_1199:
	s_delay_alu instid0(SALU_CYCLE_1)
	s_and_not1_b32 vcc_lo, exec_lo, s39
	s_cbranch_vccnz .LBB174_1201
; %bb.1200:
	s_wait_loadcnt 0x0
	global_load_u16 v3, v[0:1], off
	s_wait_loadcnt 0x0
	v_cvt_f32_u32_e32 v3, v3
	s_delay_alu instid0(VALU_DEP_1) | instskip(NEXT) | instid1(VALU_DEP_1)
	v_bfe_u32 v4, v3, 16, 1
	v_add3_u32 v3, v3, v4, 0x7fff
	s_delay_alu instid0(VALU_DEP_1)
	v_lshrrev_b32_e32 v3, 16, v3
.LBB174_1201:
	s_mov_b32 s39, 0
.LBB174_1202:
	s_delay_alu instid0(SALU_CYCLE_1)
	s_and_not1_b32 vcc_lo, exec_lo, s39
	s_cbranch_vccnz .LBB174_1210
; %bb.1203:
	s_wait_loadcnt 0x0
	global_load_u8 v3, v[0:1], off
	s_mov_b32 s39, 0
	s_mov_b32 s40, exec_lo
	s_wait_loadcnt 0x0
	v_cmpx_lt_i16_e32 0x7f, v3
	s_xor_b32 s40, exec_lo, s40
	s_cbranch_execz .LBB174_1224
; %bb.1204:
	s_mov_b32 s39, -1
	s_mov_b32 s41, exec_lo
	v_cmpx_eq_u16_e32 0x80, v3
; %bb.1205:
	s_xor_b32 s39, exec_lo, -1
; %bb.1206:
	s_or_b32 exec_lo, exec_lo, s41
	s_delay_alu instid0(SALU_CYCLE_1)
	s_and_b32 s39, s39, exec_lo
	s_or_saveexec_b32 s40, s40
	v_mov_b32_e32 v4, 0x7f800001
	s_xor_b32 exec_lo, exec_lo, s40
	s_cbranch_execnz .LBB174_1225
.LBB174_1207:
	s_or_b32 exec_lo, exec_lo, s40
	s_and_saveexec_b32 s40, s39
	s_cbranch_execz .LBB174_1209
.LBB174_1208:
	v_and_b32_e32 v4, 0xffff, v3
	s_delay_alu instid0(VALU_DEP_1) | instskip(SKIP_1) | instid1(VALU_DEP_2)
	v_and_b32_e32 v5, 7, v4
	v_bfe_u32 v9, v4, 3, 4
	v_clz_i32_u32_e32 v6, v5
	s_delay_alu instid0(VALU_DEP_2) | instskip(NEXT) | instid1(VALU_DEP_2)
	v_cmp_eq_u32_e32 vcc_lo, 0, v9
	v_min_u32_e32 v6, 32, v6
	s_delay_alu instid0(VALU_DEP_1) | instskip(NEXT) | instid1(VALU_DEP_1)
	v_subrev_nc_u32_e32 v7, 28, v6
	v_dual_lshlrev_b32 v4, v7, v4 :: v_dual_sub_nc_u32 v6, 29, v6
	s_delay_alu instid0(VALU_DEP_1) | instskip(NEXT) | instid1(VALU_DEP_2)
	v_dual_lshlrev_b32 v3, 24, v3 :: v_dual_bitop2_b32 v4, 7, v4 bitop3:0x40
	v_cndmask_b32_e32 v6, v9, v6, vcc_lo
	s_delay_alu instid0(VALU_DEP_2) | instskip(NEXT) | instid1(VALU_DEP_3)
	v_cndmask_b32_e32 v4, v5, v4, vcc_lo
	v_and_b32_e32 v3, 0x80000000, v3
	s_delay_alu instid0(VALU_DEP_3) | instskip(NEXT) | instid1(VALU_DEP_3)
	v_lshl_add_u32 v5, v6, 23, 0x3b800000
	v_lshlrev_b32_e32 v4, 20, v4
	s_delay_alu instid0(VALU_DEP_1)
	v_or3_b32 v4, v3, v5, v4
.LBB174_1209:
	s_or_b32 exec_lo, exec_lo, s40
	s_delay_alu instid0(VALU_DEP_1) | instskip(SKIP_1) | instid1(VALU_DEP_2)
	v_bfe_u32 v3, v4, 16, 1
	v_cmp_o_f32_e32 vcc_lo, v4, v4
	v_add3_u32 v3, v4, v3, 0x7fff
	s_delay_alu instid0(VALU_DEP_1) | instskip(NEXT) | instid1(VALU_DEP_1)
	v_lshrrev_b32_e32 v3, 16, v3
	v_cndmask_b32_e32 v3, 0x7fc0, v3, vcc_lo
.LBB174_1210:
	s_mov_b32 s39, -1
.LBB174_1211:
	s_mov_b32 s40, 0
.LBB174_1212:
	s_delay_alu instid0(SALU_CYCLE_1)
	s_and_b32 vcc_lo, exec_lo, s40
	s_cbranch_vccz .LBB174_1247
; %bb.1213:
	s_cmp_gt_i32 s38, 22
	s_cbranch_scc0 .LBB174_1223
; %bb.1214:
	s_cmp_lt_i32 s38, 24
	s_cbranch_scc1 .LBB174_1226
; %bb.1215:
	s_cmp_gt_i32 s38, 24
	s_cbranch_scc0 .LBB174_1227
; %bb.1216:
	s_wait_loadcnt 0x0
	global_load_u8 v3, v[0:1], off
	s_mov_b32 s39, 0
	s_mov_b32 s40, exec_lo
	s_wait_loadcnt 0x0
	v_cmpx_lt_i16_e32 0x7f, v3
	s_xor_b32 s40, exec_lo, s40
	s_cbranch_execz .LBB174_1239
; %bb.1217:
	s_mov_b32 s39, -1
	s_mov_b32 s41, exec_lo
	v_cmpx_eq_u16_e32 0x80, v3
; %bb.1218:
	s_xor_b32 s39, exec_lo, -1
; %bb.1219:
	s_or_b32 exec_lo, exec_lo, s41
	s_delay_alu instid0(SALU_CYCLE_1)
	s_and_b32 s39, s39, exec_lo
	s_or_saveexec_b32 s40, s40
	v_mov_b32_e32 v4, 0x7f800001
	s_xor_b32 exec_lo, exec_lo, s40
	s_cbranch_execnz .LBB174_1240
.LBB174_1220:
	s_or_b32 exec_lo, exec_lo, s40
	s_and_saveexec_b32 s40, s39
	s_cbranch_execz .LBB174_1222
.LBB174_1221:
	v_and_b32_e32 v4, 0xffff, v3
	s_delay_alu instid0(VALU_DEP_1) | instskip(SKIP_1) | instid1(VALU_DEP_2)
	v_and_b32_e32 v5, 3, v4
	v_bfe_u32 v9, v4, 2, 5
	v_clz_i32_u32_e32 v6, v5
	s_delay_alu instid0(VALU_DEP_2) | instskip(NEXT) | instid1(VALU_DEP_2)
	v_cmp_eq_u32_e32 vcc_lo, 0, v9
	v_min_u32_e32 v6, 32, v6
	s_delay_alu instid0(VALU_DEP_1) | instskip(NEXT) | instid1(VALU_DEP_1)
	v_subrev_nc_u32_e32 v7, 29, v6
	v_dual_lshlrev_b32 v4, v7, v4 :: v_dual_sub_nc_u32 v6, 30, v6
	s_delay_alu instid0(VALU_DEP_1) | instskip(NEXT) | instid1(VALU_DEP_2)
	v_dual_lshlrev_b32 v3, 24, v3 :: v_dual_bitop2_b32 v4, 3, v4 bitop3:0x40
	v_cndmask_b32_e32 v6, v9, v6, vcc_lo
	s_delay_alu instid0(VALU_DEP_2) | instskip(NEXT) | instid1(VALU_DEP_3)
	v_cndmask_b32_e32 v4, v5, v4, vcc_lo
	v_and_b32_e32 v3, 0x80000000, v3
	s_delay_alu instid0(VALU_DEP_3) | instskip(NEXT) | instid1(VALU_DEP_3)
	v_lshl_add_u32 v5, v6, 23, 0x37800000
	v_lshlrev_b32_e32 v4, 21, v4
	s_delay_alu instid0(VALU_DEP_1)
	v_or3_b32 v4, v3, v5, v4
.LBB174_1222:
	s_or_b32 exec_lo, exec_lo, s40
	s_delay_alu instid0(VALU_DEP_1) | instskip(SKIP_2) | instid1(VALU_DEP_2)
	v_bfe_u32 v3, v4, 16, 1
	v_cmp_o_f32_e32 vcc_lo, v4, v4
	s_mov_b32 s39, 0
	v_add3_u32 v3, v4, v3, 0x7fff
	s_delay_alu instid0(VALU_DEP_1) | instskip(NEXT) | instid1(VALU_DEP_1)
	v_lshrrev_b32_e32 v3, 16, v3
	v_cndmask_b32_e32 v3, 0x7fc0, v3, vcc_lo
	s_branch .LBB174_1228
.LBB174_1223:
	s_mov_b32 s40, -1
                                        ; implicit-def: $vgpr3
	s_branch .LBB174_1234
.LBB174_1224:
	s_or_saveexec_b32 s40, s40
	v_mov_b32_e32 v4, 0x7f800001
	s_xor_b32 exec_lo, exec_lo, s40
	s_cbranch_execz .LBB174_1207
.LBB174_1225:
	v_cmp_ne_u16_e32 vcc_lo, 0, v3
	v_mov_b32_e32 v4, 0
	s_and_not1_b32 s39, s39, exec_lo
	s_and_b32 s41, vcc_lo, exec_lo
	s_delay_alu instid0(SALU_CYCLE_1)
	s_or_b32 s39, s39, s41
	s_or_b32 exec_lo, exec_lo, s40
	s_and_saveexec_b32 s40, s39
	s_cbranch_execnz .LBB174_1208
	s_branch .LBB174_1209
.LBB174_1226:
	s_mov_b32 s39, -1
                                        ; implicit-def: $vgpr3
	s_branch .LBB174_1231
.LBB174_1227:
	s_mov_b32 s39, -1
                                        ; implicit-def: $vgpr3
.LBB174_1228:
	s_delay_alu instid0(SALU_CYCLE_1)
	s_and_b32 vcc_lo, exec_lo, s39
	s_cbranch_vccz .LBB174_1230
; %bb.1229:
	s_wait_loadcnt 0x0
	global_load_u8 v3, v[0:1], off
	s_wait_loadcnt 0x0
	v_lshlrev_b32_e32 v3, 24, v3
	s_delay_alu instid0(VALU_DEP_1) | instskip(NEXT) | instid1(VALU_DEP_1)
	v_and_b32_e32 v4, 0x7f000000, v3
	v_clz_i32_u32_e32 v5, v4
	v_cmp_ne_u32_e32 vcc_lo, 0, v4
	v_add_nc_u32_e32 v7, 0x1000000, v4
	s_delay_alu instid0(VALU_DEP_3) | instskip(NEXT) | instid1(VALU_DEP_1)
	v_min_u32_e32 v5, 32, v5
	v_sub_nc_u32_e64 v5, v5, 4 clamp
	s_delay_alu instid0(VALU_DEP_1) | instskip(NEXT) | instid1(VALU_DEP_1)
	v_dual_lshlrev_b32 v6, v5, v4 :: v_dual_lshlrev_b32 v5, 23, v5
	v_lshrrev_b32_e32 v6, 4, v6
	s_delay_alu instid0(VALU_DEP_1) | instskip(NEXT) | instid1(VALU_DEP_1)
	v_dual_sub_nc_u32 v5, v6, v5 :: v_dual_ashrrev_i32 v6, 8, v7
	v_add_nc_u32_e32 v5, 0x3c000000, v5
	s_delay_alu instid0(VALU_DEP_1) | instskip(NEXT) | instid1(VALU_DEP_1)
	v_and_or_b32 v5, 0x7f800000, v6, v5
	v_cndmask_b32_e32 v4, 0, v5, vcc_lo
	s_delay_alu instid0(VALU_DEP_1) | instskip(SKIP_1) | instid1(VALU_DEP_2)
	v_and_or_b32 v3, 0x80000000, v3, v4
	v_bfe_u32 v4, v4, 16, 1
	v_cmp_o_f32_e32 vcc_lo, v3, v3
	s_delay_alu instid0(VALU_DEP_2) | instskip(NEXT) | instid1(VALU_DEP_1)
	v_add3_u32 v4, v3, v4, 0x7fff
	v_lshrrev_b32_e32 v4, 16, v4
	s_delay_alu instid0(VALU_DEP_1)
	v_cndmask_b32_e32 v3, 0x7fc0, v4, vcc_lo
.LBB174_1230:
	s_mov_b32 s39, 0
.LBB174_1231:
	s_delay_alu instid0(SALU_CYCLE_1)
	s_and_not1_b32 vcc_lo, exec_lo, s39
	s_cbranch_vccnz .LBB174_1233
; %bb.1232:
	s_wait_loadcnt 0x0
	global_load_u8 v3, v[0:1], off
	s_wait_loadcnt 0x0
	v_lshlrev_b32_e32 v4, 25, v3
	v_lshlrev_b16 v3, 8, v3
	s_delay_alu instid0(VALU_DEP_1) | instskip(SKIP_1) | instid1(VALU_DEP_2)
	v_and_or_b32 v6, 0x7f00, v3, 0.5
	v_bfe_i32 v3, v3, 0, 16
	v_dual_add_f32 v6, -0.5, v6 :: v_dual_lshrrev_b32 v5, 4, v4
	v_cmp_gt_u32_e32 vcc_lo, 0x8000000, v4
	s_delay_alu instid0(VALU_DEP_2) | instskip(NEXT) | instid1(VALU_DEP_1)
	v_or_b32_e32 v5, 0x70000000, v5
	v_mul_f32_e32 v5, 0x7800000, v5
	s_delay_alu instid0(VALU_DEP_1) | instskip(NEXT) | instid1(VALU_DEP_1)
	v_cndmask_b32_e32 v4, v5, v6, vcc_lo
	v_and_or_b32 v3, 0x80000000, v3, v4
	v_bfe_u32 v4, v4, 16, 1
	s_delay_alu instid0(VALU_DEP_2) | instskip(NEXT) | instid1(VALU_DEP_2)
	v_cmp_o_f32_e32 vcc_lo, v3, v3
	v_add3_u32 v4, v3, v4, 0x7fff
	s_delay_alu instid0(VALU_DEP_1) | instskip(NEXT) | instid1(VALU_DEP_1)
	v_lshrrev_b32_e32 v4, 16, v4
	v_cndmask_b32_e32 v3, 0x7fc0, v4, vcc_lo
.LBB174_1233:
	s_mov_b32 s40, 0
	s_mov_b32 s39, -1
.LBB174_1234:
	s_and_not1_b32 vcc_lo, exec_lo, s40
	s_cbranch_vccnz .LBB174_1247
; %bb.1235:
	s_cmp_gt_i32 s38, 14
	s_cbranch_scc0 .LBB174_1238
; %bb.1236:
	s_cmp_eq_u32 s38, 15
	s_cbranch_scc0 .LBB174_1241
; %bb.1237:
	s_wait_loadcnt 0x0
	global_load_u16 v3, v[0:1], off
	s_mov_b32 s39, -1
	s_mov_b32 s37, 0
	s_branch .LBB174_1242
.LBB174_1238:
	s_mov_b32 s40, -1
                                        ; implicit-def: $vgpr3
	s_branch .LBB174_1243
.LBB174_1239:
	s_or_saveexec_b32 s40, s40
	v_mov_b32_e32 v4, 0x7f800001
	s_xor_b32 exec_lo, exec_lo, s40
	s_cbranch_execz .LBB174_1220
.LBB174_1240:
	v_cmp_ne_u16_e32 vcc_lo, 0, v3
	v_mov_b32_e32 v4, 0
	s_and_not1_b32 s39, s39, exec_lo
	s_and_b32 s41, vcc_lo, exec_lo
	s_delay_alu instid0(SALU_CYCLE_1)
	s_or_b32 s39, s39, s41
	s_or_b32 exec_lo, exec_lo, s40
	s_and_saveexec_b32 s40, s39
	s_cbranch_execnz .LBB174_1221
	s_branch .LBB174_1222
.LBB174_1241:
	s_mov_b32 s37, -1
                                        ; implicit-def: $vgpr3
.LBB174_1242:
	s_mov_b32 s40, 0
.LBB174_1243:
	s_delay_alu instid0(SALU_CYCLE_1)
	s_and_b32 vcc_lo, exec_lo, s40
	s_cbranch_vccz .LBB174_1247
; %bb.1244:
	s_cmp_eq_u32 s38, 11
	s_cbranch_scc0 .LBB174_1246
; %bb.1245:
	s_wait_loadcnt 0x0
	global_load_u8 v3, v[0:1], off
	s_mov_b32 s37, 0
	s_mov_b32 s39, -1
	s_wait_loadcnt 0x0
	v_cmp_ne_u16_e32 vcc_lo, 0, v3
	v_cndmask_b32_e64 v3, 0, 1.0, vcc_lo
	s_delay_alu instid0(VALU_DEP_1)
	v_lshrrev_b32_e32 v3, 16, v3
	s_branch .LBB174_1247
.LBB174_1246:
	s_mov_b32 s37, -1
                                        ; implicit-def: $vgpr3
.LBB174_1247:
	s_mov_b32 s38, 0
.LBB174_1248:
	s_delay_alu instid0(SALU_CYCLE_1)
	s_and_b32 vcc_lo, exec_lo, s38
	s_cbranch_vccz .LBB174_1297
; %bb.1249:
	s_and_b32 s0, 0xffff, s0
	s_delay_alu instid0(SALU_CYCLE_1)
	s_cmp_lt_i32 s0, 5
	s_cbranch_scc1 .LBB174_1254
; %bb.1250:
	s_cmp_lt_i32 s0, 8
	s_cbranch_scc1 .LBB174_1255
; %bb.1251:
	;; [unrolled: 3-line block ×3, first 2 shown]
	s_cmp_gt_i32 s0, 9
	s_cbranch_scc0 .LBB174_1257
; %bb.1253:
	s_wait_loadcnt 0x0
	global_load_b64 v[4:5], v[0:1], off
	s_mov_b32 s38, 0
	s_wait_loadcnt 0x0
	v_cvt_f32_f64_e32 v3, v[4:5]
	s_delay_alu instid0(VALU_DEP_1) | instskip(SKIP_1) | instid1(VALU_DEP_2)
	v_bfe_u32 v4, v3, 16, 1
	v_cmp_o_f32_e32 vcc_lo, v3, v3
	v_add3_u32 v4, v3, v4, 0x7fff
	s_delay_alu instid0(VALU_DEP_1) | instskip(NEXT) | instid1(VALU_DEP_1)
	v_lshrrev_b32_e32 v4, 16, v4
	v_cndmask_b32_e32 v3, 0x7fc0, v4, vcc_lo
	s_branch .LBB174_1258
.LBB174_1254:
	s_mov_b32 s38, -1
                                        ; implicit-def: $vgpr3
	s_branch .LBB174_1276
.LBB174_1255:
	s_mov_b32 s38, -1
                                        ; implicit-def: $vgpr3
	s_branch .LBB174_1264
.LBB174_1256:
	s_mov_b32 s38, -1
                                        ; implicit-def: $vgpr3
	s_branch .LBB174_1261
.LBB174_1257:
	s_mov_b32 s38, -1
                                        ; implicit-def: $vgpr3
.LBB174_1258:
	s_delay_alu instid0(SALU_CYCLE_1)
	s_and_not1_b32 vcc_lo, exec_lo, s38
	s_cbranch_vccnz .LBB174_1260
; %bb.1259:
	s_wait_loadcnt 0x0
	global_load_b32 v3, v[0:1], off
	s_wait_loadcnt 0x0
	v_bfe_u32 v4, v3, 16, 1
	v_cmp_o_f32_e32 vcc_lo, v3, v3
	s_delay_alu instid0(VALU_DEP_2) | instskip(NEXT) | instid1(VALU_DEP_1)
	v_add3_u32 v4, v3, v4, 0x7fff
	v_lshrrev_b32_e32 v4, 16, v4
	s_delay_alu instid0(VALU_DEP_1)
	v_cndmask_b32_e32 v3, 0x7fc0, v4, vcc_lo
.LBB174_1260:
	s_mov_b32 s38, 0
.LBB174_1261:
	s_delay_alu instid0(SALU_CYCLE_1)
	s_and_not1_b32 vcc_lo, exec_lo, s38
	s_cbranch_vccnz .LBB174_1263
; %bb.1262:
	s_wait_loadcnt 0x0
	global_load_b32 v3, v[0:1], off
	s_wait_loadcnt 0x0
	v_cvt_f32_f16_e32 v4, v3
	v_cmp_o_f16_e32 vcc_lo, v3, v3
	s_delay_alu instid0(VALU_DEP_2) | instskip(NEXT) | instid1(VALU_DEP_1)
	v_bfe_u32 v5, v4, 16, 1
	v_add3_u32 v4, v4, v5, 0x7fff
	s_delay_alu instid0(VALU_DEP_1) | instskip(NEXT) | instid1(VALU_DEP_1)
	v_lshrrev_b32_e32 v4, 16, v4
	v_cndmask_b32_e32 v3, 0x7fc0, v4, vcc_lo
.LBB174_1263:
	s_mov_b32 s38, 0
.LBB174_1264:
	s_delay_alu instid0(SALU_CYCLE_1)
	s_and_not1_b32 vcc_lo, exec_lo, s38
	s_cbranch_vccnz .LBB174_1275
; %bb.1265:
	s_cmp_lt_i32 s0, 6
	s_cbranch_scc1 .LBB174_1268
; %bb.1266:
	s_cmp_gt_i32 s0, 6
	s_cbranch_scc0 .LBB174_1269
; %bb.1267:
	s_wait_loadcnt 0x0
	global_load_b64 v[4:5], v[0:1], off
	s_mov_b32 s38, 0
	s_wait_loadcnt 0x0
	v_cvt_f32_f64_e32 v3, v[4:5]
	s_delay_alu instid0(VALU_DEP_1) | instskip(SKIP_1) | instid1(VALU_DEP_2)
	v_bfe_u32 v4, v3, 16, 1
	v_cmp_o_f32_e32 vcc_lo, v3, v3
	v_add3_u32 v4, v3, v4, 0x7fff
	s_delay_alu instid0(VALU_DEP_1) | instskip(NEXT) | instid1(VALU_DEP_1)
	v_lshrrev_b32_e32 v4, 16, v4
	v_cndmask_b32_e32 v3, 0x7fc0, v4, vcc_lo
	s_branch .LBB174_1270
.LBB174_1268:
	s_mov_b32 s38, -1
                                        ; implicit-def: $vgpr3
	s_branch .LBB174_1273
.LBB174_1269:
	s_mov_b32 s38, -1
                                        ; implicit-def: $vgpr3
.LBB174_1270:
	s_delay_alu instid0(SALU_CYCLE_1)
	s_and_not1_b32 vcc_lo, exec_lo, s38
	s_cbranch_vccnz .LBB174_1272
; %bb.1271:
	s_wait_loadcnt 0x0
	global_load_b32 v3, v[0:1], off
	s_wait_loadcnt 0x0
	v_bfe_u32 v4, v3, 16, 1
	v_cmp_o_f32_e32 vcc_lo, v3, v3
	s_delay_alu instid0(VALU_DEP_2) | instskip(NEXT) | instid1(VALU_DEP_1)
	v_add3_u32 v4, v3, v4, 0x7fff
	v_lshrrev_b32_e32 v4, 16, v4
	s_delay_alu instid0(VALU_DEP_1)
	v_cndmask_b32_e32 v3, 0x7fc0, v4, vcc_lo
.LBB174_1272:
	s_mov_b32 s38, 0
.LBB174_1273:
	s_delay_alu instid0(SALU_CYCLE_1)
	s_and_not1_b32 vcc_lo, exec_lo, s38
	s_cbranch_vccnz .LBB174_1275
; %bb.1274:
	s_wait_loadcnt 0x0
	global_load_u16 v3, v[0:1], off
	s_wait_loadcnt 0x0
	v_cvt_f32_f16_e32 v4, v3
	v_cmp_o_f16_e32 vcc_lo, v3, v3
	s_delay_alu instid0(VALU_DEP_2) | instskip(NEXT) | instid1(VALU_DEP_1)
	v_bfe_u32 v5, v4, 16, 1
	v_add3_u32 v4, v4, v5, 0x7fff
	s_delay_alu instid0(VALU_DEP_1) | instskip(NEXT) | instid1(VALU_DEP_1)
	v_lshrrev_b32_e32 v4, 16, v4
	v_cndmask_b32_e32 v3, 0x7fc0, v4, vcc_lo
.LBB174_1275:
	s_mov_b32 s38, 0
.LBB174_1276:
	s_delay_alu instid0(SALU_CYCLE_1)
	s_and_not1_b32 vcc_lo, exec_lo, s38
	s_cbranch_vccnz .LBB174_1296
; %bb.1277:
	s_cmp_lt_i32 s0, 2
	s_cbranch_scc1 .LBB174_1281
; %bb.1278:
	s_cmp_lt_i32 s0, 3
	s_cbranch_scc1 .LBB174_1282
; %bb.1279:
	s_cmp_gt_i32 s0, 3
	s_cbranch_scc0 .LBB174_1283
; %bb.1280:
	s_wait_loadcnt 0x0
	global_load_b64 v[4:5], v[0:1], off
	s_mov_b32 s38, 0
	s_wait_loadcnt 0x0
	v_xor_b32_e32 v3, v4, v5
	v_cls_i32_e32 v6, v5
	s_delay_alu instid0(VALU_DEP_2) | instskip(NEXT) | instid1(VALU_DEP_1)
	v_ashrrev_i32_e32 v3, 31, v3
	v_add_nc_u32_e32 v3, 32, v3
	s_delay_alu instid0(VALU_DEP_1) | instskip(NEXT) | instid1(VALU_DEP_1)
	v_add_min_u32_e64 v3, v6, -1, v3
	v_lshlrev_b64_e32 v[4:5], v3, v[4:5]
	v_sub_nc_u32_e32 v3, 32, v3
	s_delay_alu instid0(VALU_DEP_2) | instskip(NEXT) | instid1(VALU_DEP_1)
	v_min_u32_e32 v4, 1, v4
	v_or_b32_e32 v4, v5, v4
	s_delay_alu instid0(VALU_DEP_1) | instskip(NEXT) | instid1(VALU_DEP_1)
	v_cvt_f32_i32_e32 v4, v4
	v_ldexp_f32 v3, v4, v3
	s_delay_alu instid0(VALU_DEP_1) | instskip(NEXT) | instid1(VALU_DEP_1)
	v_bfe_u32 v4, v3, 16, 1
	v_add3_u32 v3, v3, v4, 0x7fff
	s_delay_alu instid0(VALU_DEP_1)
	v_lshrrev_b32_e32 v3, 16, v3
	s_branch .LBB174_1284
.LBB174_1281:
	s_mov_b32 s38, -1
                                        ; implicit-def: $vgpr3
	s_branch .LBB174_1290
.LBB174_1282:
	s_mov_b32 s38, -1
                                        ; implicit-def: $vgpr3
	s_branch .LBB174_1287
.LBB174_1283:
	s_mov_b32 s38, -1
                                        ; implicit-def: $vgpr3
.LBB174_1284:
	s_delay_alu instid0(SALU_CYCLE_1)
	s_and_not1_b32 vcc_lo, exec_lo, s38
	s_cbranch_vccnz .LBB174_1286
; %bb.1285:
	s_wait_loadcnt 0x0
	global_load_b32 v3, v[0:1], off
	s_wait_loadcnt 0x0
	v_cvt_f32_i32_e32 v3, v3
	s_delay_alu instid0(VALU_DEP_1) | instskip(NEXT) | instid1(VALU_DEP_1)
	v_bfe_u32 v4, v3, 16, 1
	v_add3_u32 v3, v3, v4, 0x7fff
	s_delay_alu instid0(VALU_DEP_1)
	v_lshrrev_b32_e32 v3, 16, v3
.LBB174_1286:
	s_mov_b32 s38, 0
.LBB174_1287:
	s_delay_alu instid0(SALU_CYCLE_1)
	s_and_not1_b32 vcc_lo, exec_lo, s38
	s_cbranch_vccnz .LBB174_1289
; %bb.1288:
	s_wait_loadcnt 0x0
	global_load_i16 v3, v[0:1], off
	s_wait_loadcnt 0x0
	v_cvt_f32_i32_e32 v3, v3
	s_delay_alu instid0(VALU_DEP_1) | instskip(NEXT) | instid1(VALU_DEP_1)
	v_bfe_u32 v4, v3, 16, 1
	v_add3_u32 v3, v3, v4, 0x7fff
	s_delay_alu instid0(VALU_DEP_1)
	v_lshrrev_b32_e32 v3, 16, v3
.LBB174_1289:
	s_mov_b32 s38, 0
.LBB174_1290:
	s_delay_alu instid0(SALU_CYCLE_1)
	s_and_not1_b32 vcc_lo, exec_lo, s38
	s_cbranch_vccnz .LBB174_1296
; %bb.1291:
	s_cmp_gt_i32 s0, 0
	s_mov_b32 s0, 0
	s_cbranch_scc0 .LBB174_1293
; %bb.1292:
	s_wait_loadcnt 0x0
	global_load_i8 v3, v[0:1], off
	s_wait_loadcnt 0x0
	v_cvt_f32_i32_e32 v3, v3
	s_delay_alu instid0(VALU_DEP_1) | instskip(NEXT) | instid1(VALU_DEP_1)
	v_bfe_u32 v4, v3, 16, 1
	v_add3_u32 v3, v3, v4, 0x7fff
	s_delay_alu instid0(VALU_DEP_1)
	v_lshrrev_b32_e32 v3, 16, v3
	s_branch .LBB174_1294
.LBB174_1293:
	s_mov_b32 s0, -1
                                        ; implicit-def: $vgpr3
.LBB174_1294:
	s_delay_alu instid0(SALU_CYCLE_1)
	s_and_not1_b32 vcc_lo, exec_lo, s0
	s_cbranch_vccnz .LBB174_1296
; %bb.1295:
	global_load_u8 v0, v[0:1], off
	s_wait_loadcnt 0x0
	v_cvt_f32_ubyte0_e32 v0, v0
	s_delay_alu instid0(VALU_DEP_1) | instskip(NEXT) | instid1(VALU_DEP_1)
	v_bfe_u32 v1, v0, 16, 1
	v_add3_u32 v0, v0, v1, 0x7fff
	s_delay_alu instid0(VALU_DEP_1)
	v_lshrrev_b32_e32 v3, 16, v0
.LBB174_1296:
	s_mov_b32 s39, -1
.LBB174_1297:
	s_delay_alu instid0(SALU_CYCLE_1)
	s_and_not1_b32 vcc_lo, exec_lo, s39
	s_cbranch_vccnz .LBB174_1305
; %bb.1298:
	s_wait_xcnt 0x0
	v_mul_lo_u32 v0, v8, s15
	s_and_b32 s0, 0xffff, s2
	s_delay_alu instid0(SALU_CYCLE_1) | instskip(NEXT) | instid1(VALU_DEP_1)
	s_cmp_lt_i32 s0, 11
	v_ashrrev_i32_e32 v1, 31, v0
	s_delay_alu instid0(VALU_DEP_1)
	v_add_nc_u64_e32 v[0:1], s[10:11], v[0:1]
	s_cbranch_scc1 .LBB174_1306
; %bb.1299:
	s_cmp_gt_i32 s0, 25
	s_cbranch_scc0 .LBB174_1307
; %bb.1300:
	s_cmp_gt_i32 s0, 28
	s_cbranch_scc0 .LBB174_1308
	;; [unrolled: 3-line block ×4, first 2 shown]
; %bb.1303:
	s_cmp_eq_u32 s0, 46
	s_mov_b32 s40, 0
	s_cbranch_scc0 .LBB174_1313
; %bb.1304:
	s_wait_loadcnt 0x0
	global_load_b32 v4, v[0:1], off
	s_mov_b32 s39, -1
	s_mov_b32 s38, 0
	s_branch .LBB174_1315
.LBB174_1305:
	s_mov_b32 s40, 0
	s_mov_b32 s0, s30
	;; [unrolled: 1-line block ×3, first 2 shown]
	s_branch .LBB174_1554
.LBB174_1306:
	s_mov_b32 s40, -1
	s_mov_b32 s39, 0
	s_mov_b32 s38, s31
                                        ; implicit-def: $vgpr4
	s_branch .LBB174_1380
.LBB174_1307:
	s_mov_b32 s40, -1
	s_mov_b32 s39, 0
	s_mov_b32 s38, s31
                                        ; implicit-def: $vgpr4
	s_branch .LBB174_1344
.LBB174_1308:
	s_mov_b32 s40, -1
	s_mov_b32 s39, 0
	s_mov_b32 s38, s31
                                        ; implicit-def: $vgpr4
	s_branch .LBB174_1325
.LBB174_1309:
	s_mov_b32 s40, -1
	s_mov_b32 s39, 0
	s_mov_b32 s38, s31
                                        ; implicit-def: $vgpr4
	s_branch .LBB174_1320
.LBB174_1310:
	s_mov_b32 s40, -1
	s_mov_b32 s39, 0
	s_mov_b32 s38, s31
	s_branch .LBB174_1314
.LBB174_1311:
	s_and_not1_saveexec_b32 s38, s38
	s_cbranch_execz .LBB174_956
.LBB174_1312:
	v_add_f32_e64 v4, 0x42800000, |v5|
	s_and_not1_b32 s37, s37, exec_lo
	s_delay_alu instid0(VALU_DEP_1) | instskip(NEXT) | instid1(VALU_DEP_1)
	v_and_b32_e32 v4, 0xff, v4
	v_cmp_ne_u32_e32 vcc_lo, 0, v4
	s_and_b32 s39, vcc_lo, exec_lo
	s_delay_alu instid0(SALU_CYCLE_1)
	s_or_b32 s37, s37, s39
	s_or_b32 exec_lo, exec_lo, s38
	v_mov_b32_e32 v6, 0
	s_and_saveexec_b32 s38, s37
	s_cbranch_execnz .LBB174_957
	s_branch .LBB174_958
.LBB174_1313:
	s_mov_b32 s38, -1
	s_mov_b32 s39, 0
.LBB174_1314:
                                        ; implicit-def: $vgpr4
.LBB174_1315:
	s_and_b32 vcc_lo, exec_lo, s40
	s_cbranch_vccz .LBB174_1319
; %bb.1316:
	s_cmp_eq_u32 s0, 44
	s_cbranch_scc0 .LBB174_1318
; %bb.1317:
	s_wait_loadcnt 0x0
	global_load_u8 v4, v[0:1], off
	s_mov_b32 s38, 0
	s_mov_b32 s39, -1
	s_wait_loadcnt 0x0
	v_lshlrev_b32_e32 v5, 23, v4
	v_cmp_ne_u32_e32 vcc_lo, 0xff, v4
	s_delay_alu instid0(VALU_DEP_2) | instskip(SKIP_1) | instid1(VALU_DEP_2)
	v_cndmask_b32_e32 v5, 0x7f800001, v5, vcc_lo
	v_cmp_ne_u32_e32 vcc_lo, 0, v4
	v_cndmask_b32_e32 v4, 0x400000, v5, vcc_lo
	s_delay_alu instid0(VALU_DEP_1) | instskip(NEXT) | instid1(VALU_DEP_1)
	v_add_nc_u32_e32 v5, 0x7fff, v4
	v_lshrrev_b32_e32 v5, 16, v5
	v_cmp_o_f32_e32 vcc_lo, v4, v4
	s_delay_alu instid0(VALU_DEP_2)
	v_cndmask_b32_e32 v4, 0x7fc0, v5, vcc_lo
	s_branch .LBB174_1319
.LBB174_1318:
	s_mov_b32 s38, -1
                                        ; implicit-def: $vgpr4
.LBB174_1319:
	s_mov_b32 s40, 0
.LBB174_1320:
	s_delay_alu instid0(SALU_CYCLE_1)
	s_and_b32 vcc_lo, exec_lo, s40
	s_cbranch_vccz .LBB174_1324
; %bb.1321:
	s_cmp_eq_u32 s0, 29
	s_cbranch_scc0 .LBB174_1323
; %bb.1322:
	s_wait_loadcnt 0x0
	global_load_b64 v[4:5], v[0:1], off
	s_mov_b32 s39, -1
	s_mov_b32 s38, 0
	s_mov_b32 s40, 0
	s_wait_loadcnt 0x0
	v_clz_i32_u32_e32 v6, v5
	s_delay_alu instid0(VALU_DEP_1) | instskip(NEXT) | instid1(VALU_DEP_1)
	v_min_u32_e32 v6, 32, v6
	v_lshlrev_b64_e32 v[4:5], v6, v[4:5]
	s_delay_alu instid0(VALU_DEP_1) | instskip(NEXT) | instid1(VALU_DEP_1)
	v_min_u32_e32 v4, 1, v4
	v_dual_sub_nc_u32 v5, 32, v6 :: v_dual_bitop2_b32 v4, v5, v4 bitop3:0x54
	s_delay_alu instid0(VALU_DEP_1) | instskip(NEXT) | instid1(VALU_DEP_1)
	v_cvt_f32_u32_e32 v4, v4
	v_ldexp_f32 v4, v4, v5
	s_delay_alu instid0(VALU_DEP_1) | instskip(NEXT) | instid1(VALU_DEP_1)
	v_bfe_u32 v5, v4, 16, 1
	v_add3_u32 v4, v4, v5, 0x7fff
	s_delay_alu instid0(VALU_DEP_1)
	v_lshrrev_b32_e32 v4, 16, v4
	s_branch .LBB174_1325
.LBB174_1323:
	s_mov_b32 s38, -1
                                        ; implicit-def: $vgpr4
.LBB174_1324:
	s_mov_b32 s40, 0
.LBB174_1325:
	s_delay_alu instid0(SALU_CYCLE_1)
	s_and_b32 vcc_lo, exec_lo, s40
	s_cbranch_vccz .LBB174_1343
; %bb.1326:
	s_cmp_lt_i32 s0, 27
	s_cbranch_scc1 .LBB174_1329
; %bb.1327:
	s_cmp_gt_i32 s0, 27
	s_cbranch_scc0 .LBB174_1330
; %bb.1328:
	s_wait_loadcnt 0x0
	global_load_b32 v4, v[0:1], off
	s_mov_b32 s39, 0
	s_wait_loadcnt 0x0
	v_cvt_f32_u32_e32 v4, v4
	s_delay_alu instid0(VALU_DEP_1) | instskip(NEXT) | instid1(VALU_DEP_1)
	v_bfe_u32 v5, v4, 16, 1
	v_add3_u32 v4, v4, v5, 0x7fff
	s_delay_alu instid0(VALU_DEP_1)
	v_lshrrev_b32_e32 v4, 16, v4
	s_branch .LBB174_1331
.LBB174_1329:
	s_mov_b32 s39, -1
                                        ; implicit-def: $vgpr4
	s_branch .LBB174_1334
.LBB174_1330:
	s_mov_b32 s39, -1
                                        ; implicit-def: $vgpr4
.LBB174_1331:
	s_delay_alu instid0(SALU_CYCLE_1)
	s_and_not1_b32 vcc_lo, exec_lo, s39
	s_cbranch_vccnz .LBB174_1333
; %bb.1332:
	s_wait_loadcnt 0x0
	global_load_u16 v4, v[0:1], off
	s_wait_loadcnt 0x0
	v_cvt_f32_u32_e32 v4, v4
	s_delay_alu instid0(VALU_DEP_1) | instskip(NEXT) | instid1(VALU_DEP_1)
	v_bfe_u32 v5, v4, 16, 1
	v_add3_u32 v4, v4, v5, 0x7fff
	s_delay_alu instid0(VALU_DEP_1)
	v_lshrrev_b32_e32 v4, 16, v4
.LBB174_1333:
	s_mov_b32 s39, 0
.LBB174_1334:
	s_delay_alu instid0(SALU_CYCLE_1)
	s_and_not1_b32 vcc_lo, exec_lo, s39
	s_cbranch_vccnz .LBB174_1342
; %bb.1335:
	s_wait_loadcnt 0x0
	global_load_u8 v4, v[0:1], off
	s_mov_b32 s39, 0
	s_mov_b32 s40, exec_lo
	s_wait_loadcnt 0x0
	v_cmpx_lt_i16_e32 0x7f, v4
	s_xor_b32 s40, exec_lo, s40
	s_cbranch_execz .LBB174_1356
; %bb.1336:
	s_mov_b32 s39, -1
	s_mov_b32 s41, exec_lo
	v_cmpx_eq_u16_e32 0x80, v4
; %bb.1337:
	s_xor_b32 s39, exec_lo, -1
; %bb.1338:
	s_or_b32 exec_lo, exec_lo, s41
	s_delay_alu instid0(SALU_CYCLE_1)
	s_and_b32 s39, s39, exec_lo
	s_or_saveexec_b32 s40, s40
	v_mov_b32_e32 v5, 0x7f800001
	s_xor_b32 exec_lo, exec_lo, s40
	s_cbranch_execnz .LBB174_1357
.LBB174_1339:
	s_or_b32 exec_lo, exec_lo, s40
	s_and_saveexec_b32 s40, s39
	s_cbranch_execz .LBB174_1341
.LBB174_1340:
	v_and_b32_e32 v5, 0xffff, v4
	s_delay_alu instid0(VALU_DEP_1) | instskip(SKIP_1) | instid1(VALU_DEP_2)
	v_and_b32_e32 v6, 7, v5
	v_bfe_u32 v10, v5, 3, 4
	v_clz_i32_u32_e32 v7, v6
	s_delay_alu instid0(VALU_DEP_2) | instskip(NEXT) | instid1(VALU_DEP_2)
	v_cmp_eq_u32_e32 vcc_lo, 0, v10
	v_min_u32_e32 v7, 32, v7
	s_delay_alu instid0(VALU_DEP_1) | instskip(NEXT) | instid1(VALU_DEP_1)
	v_subrev_nc_u32_e32 v9, 28, v7
	v_dual_lshlrev_b32 v5, v9, v5 :: v_dual_sub_nc_u32 v7, 29, v7
	s_delay_alu instid0(VALU_DEP_1) | instskip(NEXT) | instid1(VALU_DEP_2)
	v_dual_lshlrev_b32 v4, 24, v4 :: v_dual_bitop2_b32 v5, 7, v5 bitop3:0x40
	v_cndmask_b32_e32 v7, v10, v7, vcc_lo
	s_delay_alu instid0(VALU_DEP_2) | instskip(NEXT) | instid1(VALU_DEP_3)
	v_cndmask_b32_e32 v5, v6, v5, vcc_lo
	v_and_b32_e32 v4, 0x80000000, v4
	s_delay_alu instid0(VALU_DEP_3) | instskip(NEXT) | instid1(VALU_DEP_3)
	v_lshl_add_u32 v6, v7, 23, 0x3b800000
	v_lshlrev_b32_e32 v5, 20, v5
	s_delay_alu instid0(VALU_DEP_1)
	v_or3_b32 v5, v4, v6, v5
.LBB174_1341:
	s_or_b32 exec_lo, exec_lo, s40
	s_delay_alu instid0(VALU_DEP_1) | instskip(SKIP_1) | instid1(VALU_DEP_2)
	v_bfe_u32 v4, v5, 16, 1
	v_cmp_o_f32_e32 vcc_lo, v5, v5
	v_add3_u32 v4, v5, v4, 0x7fff
	s_delay_alu instid0(VALU_DEP_1) | instskip(NEXT) | instid1(VALU_DEP_1)
	v_lshrrev_b32_e32 v4, 16, v4
	v_cndmask_b32_e32 v4, 0x7fc0, v4, vcc_lo
.LBB174_1342:
	s_mov_b32 s39, -1
.LBB174_1343:
	s_mov_b32 s40, 0
.LBB174_1344:
	s_delay_alu instid0(SALU_CYCLE_1)
	s_and_b32 vcc_lo, exec_lo, s40
	s_cbranch_vccz .LBB174_1379
; %bb.1345:
	s_cmp_gt_i32 s0, 22
	s_cbranch_scc0 .LBB174_1355
; %bb.1346:
	s_cmp_lt_i32 s0, 24
	s_cbranch_scc1 .LBB174_1358
; %bb.1347:
	s_cmp_gt_i32 s0, 24
	s_cbranch_scc0 .LBB174_1359
; %bb.1348:
	s_wait_loadcnt 0x0
	global_load_u8 v4, v[0:1], off
	s_mov_b32 s39, 0
	s_mov_b32 s40, exec_lo
	s_wait_loadcnt 0x0
	v_cmpx_lt_i16_e32 0x7f, v4
	s_xor_b32 s40, exec_lo, s40
	s_cbranch_execz .LBB174_1371
; %bb.1349:
	s_mov_b32 s39, -1
	s_mov_b32 s41, exec_lo
	v_cmpx_eq_u16_e32 0x80, v4
; %bb.1350:
	s_xor_b32 s39, exec_lo, -1
; %bb.1351:
	s_or_b32 exec_lo, exec_lo, s41
	s_delay_alu instid0(SALU_CYCLE_1)
	s_and_b32 s39, s39, exec_lo
	s_or_saveexec_b32 s40, s40
	v_mov_b32_e32 v5, 0x7f800001
	s_xor_b32 exec_lo, exec_lo, s40
	s_cbranch_execnz .LBB174_1372
.LBB174_1352:
	s_or_b32 exec_lo, exec_lo, s40
	s_and_saveexec_b32 s40, s39
	s_cbranch_execz .LBB174_1354
.LBB174_1353:
	v_and_b32_e32 v5, 0xffff, v4
	s_delay_alu instid0(VALU_DEP_1) | instskip(SKIP_1) | instid1(VALU_DEP_2)
	v_and_b32_e32 v6, 3, v5
	v_bfe_u32 v10, v5, 2, 5
	v_clz_i32_u32_e32 v7, v6
	s_delay_alu instid0(VALU_DEP_2) | instskip(NEXT) | instid1(VALU_DEP_2)
	v_cmp_eq_u32_e32 vcc_lo, 0, v10
	v_min_u32_e32 v7, 32, v7
	s_delay_alu instid0(VALU_DEP_1) | instskip(NEXT) | instid1(VALU_DEP_1)
	v_subrev_nc_u32_e32 v9, 29, v7
	v_dual_lshlrev_b32 v5, v9, v5 :: v_dual_sub_nc_u32 v7, 30, v7
	s_delay_alu instid0(VALU_DEP_1) | instskip(NEXT) | instid1(VALU_DEP_2)
	v_dual_lshlrev_b32 v4, 24, v4 :: v_dual_bitop2_b32 v5, 3, v5 bitop3:0x40
	v_cndmask_b32_e32 v7, v10, v7, vcc_lo
	s_delay_alu instid0(VALU_DEP_2) | instskip(NEXT) | instid1(VALU_DEP_3)
	v_cndmask_b32_e32 v5, v6, v5, vcc_lo
	v_and_b32_e32 v4, 0x80000000, v4
	s_delay_alu instid0(VALU_DEP_3) | instskip(NEXT) | instid1(VALU_DEP_3)
	v_lshl_add_u32 v6, v7, 23, 0x37800000
	v_lshlrev_b32_e32 v5, 21, v5
	s_delay_alu instid0(VALU_DEP_1)
	v_or3_b32 v5, v4, v6, v5
.LBB174_1354:
	s_or_b32 exec_lo, exec_lo, s40
	s_delay_alu instid0(VALU_DEP_1) | instskip(SKIP_2) | instid1(VALU_DEP_2)
	v_bfe_u32 v4, v5, 16, 1
	v_cmp_o_f32_e32 vcc_lo, v5, v5
	s_mov_b32 s39, 0
	v_add3_u32 v4, v5, v4, 0x7fff
	s_delay_alu instid0(VALU_DEP_1) | instskip(NEXT) | instid1(VALU_DEP_1)
	v_lshrrev_b32_e32 v4, 16, v4
	v_cndmask_b32_e32 v4, 0x7fc0, v4, vcc_lo
	s_branch .LBB174_1360
.LBB174_1355:
	s_mov_b32 s40, -1
                                        ; implicit-def: $vgpr4
	s_branch .LBB174_1366
.LBB174_1356:
	s_or_saveexec_b32 s40, s40
	v_mov_b32_e32 v5, 0x7f800001
	s_xor_b32 exec_lo, exec_lo, s40
	s_cbranch_execz .LBB174_1339
.LBB174_1357:
	v_cmp_ne_u16_e32 vcc_lo, 0, v4
	v_mov_b32_e32 v5, 0
	s_and_not1_b32 s39, s39, exec_lo
	s_and_b32 s41, vcc_lo, exec_lo
	s_delay_alu instid0(SALU_CYCLE_1)
	s_or_b32 s39, s39, s41
	s_or_b32 exec_lo, exec_lo, s40
	s_and_saveexec_b32 s40, s39
	s_cbranch_execnz .LBB174_1340
	s_branch .LBB174_1341
.LBB174_1358:
	s_mov_b32 s39, -1
                                        ; implicit-def: $vgpr4
	s_branch .LBB174_1363
.LBB174_1359:
	s_mov_b32 s39, -1
                                        ; implicit-def: $vgpr4
.LBB174_1360:
	s_delay_alu instid0(SALU_CYCLE_1)
	s_and_b32 vcc_lo, exec_lo, s39
	s_cbranch_vccz .LBB174_1362
; %bb.1361:
	s_wait_loadcnt 0x0
	global_load_u8 v4, v[0:1], off
	s_wait_loadcnt 0x0
	v_lshlrev_b32_e32 v4, 24, v4
	s_delay_alu instid0(VALU_DEP_1) | instskip(NEXT) | instid1(VALU_DEP_1)
	v_and_b32_e32 v5, 0x7f000000, v4
	v_clz_i32_u32_e32 v6, v5
	v_add_nc_u32_e32 v9, 0x1000000, v5
	v_cmp_ne_u32_e32 vcc_lo, 0, v5
	s_delay_alu instid0(VALU_DEP_3) | instskip(NEXT) | instid1(VALU_DEP_1)
	v_min_u32_e32 v6, 32, v6
	v_sub_nc_u32_e64 v6, v6, 4 clamp
	s_delay_alu instid0(VALU_DEP_1) | instskip(NEXT) | instid1(VALU_DEP_1)
	v_dual_lshlrev_b32 v7, v6, v5 :: v_dual_lshlrev_b32 v6, 23, v6
	v_lshrrev_b32_e32 v7, 4, v7
	s_delay_alu instid0(VALU_DEP_1) | instskip(NEXT) | instid1(VALU_DEP_1)
	v_dual_sub_nc_u32 v6, v7, v6 :: v_dual_ashrrev_i32 v7, 8, v9
	v_add_nc_u32_e32 v6, 0x3c000000, v6
	s_delay_alu instid0(VALU_DEP_1) | instskip(NEXT) | instid1(VALU_DEP_1)
	v_and_or_b32 v6, 0x7f800000, v7, v6
	v_cndmask_b32_e32 v5, 0, v6, vcc_lo
	s_delay_alu instid0(VALU_DEP_1) | instskip(SKIP_1) | instid1(VALU_DEP_2)
	v_and_or_b32 v4, 0x80000000, v4, v5
	v_bfe_u32 v5, v5, 16, 1
	v_cmp_o_f32_e32 vcc_lo, v4, v4
	s_delay_alu instid0(VALU_DEP_2) | instskip(NEXT) | instid1(VALU_DEP_1)
	v_add3_u32 v5, v4, v5, 0x7fff
	v_lshrrev_b32_e32 v5, 16, v5
	s_delay_alu instid0(VALU_DEP_1)
	v_cndmask_b32_e32 v4, 0x7fc0, v5, vcc_lo
.LBB174_1362:
	s_mov_b32 s39, 0
.LBB174_1363:
	s_delay_alu instid0(SALU_CYCLE_1)
	s_and_not1_b32 vcc_lo, exec_lo, s39
	s_cbranch_vccnz .LBB174_1365
; %bb.1364:
	s_wait_loadcnt 0x0
	global_load_u8 v4, v[0:1], off
	s_wait_loadcnt 0x0
	v_lshlrev_b32_e32 v5, 25, v4
	v_lshlrev_b16 v4, 8, v4
	s_delay_alu instid0(VALU_DEP_1) | instskip(SKIP_1) | instid1(VALU_DEP_2)
	v_and_or_b32 v7, 0x7f00, v4, 0.5
	v_bfe_i32 v4, v4, 0, 16
	v_dual_add_f32 v7, -0.5, v7 :: v_dual_lshrrev_b32 v6, 4, v5
	v_cmp_gt_u32_e32 vcc_lo, 0x8000000, v5
	s_delay_alu instid0(VALU_DEP_2) | instskip(NEXT) | instid1(VALU_DEP_1)
	v_or_b32_e32 v6, 0x70000000, v6
	v_mul_f32_e32 v6, 0x7800000, v6
	s_delay_alu instid0(VALU_DEP_1) | instskip(NEXT) | instid1(VALU_DEP_1)
	v_cndmask_b32_e32 v5, v6, v7, vcc_lo
	v_and_or_b32 v4, 0x80000000, v4, v5
	v_bfe_u32 v5, v5, 16, 1
	s_delay_alu instid0(VALU_DEP_2) | instskip(NEXT) | instid1(VALU_DEP_2)
	v_cmp_o_f32_e32 vcc_lo, v4, v4
	v_add3_u32 v5, v4, v5, 0x7fff
	s_delay_alu instid0(VALU_DEP_1) | instskip(NEXT) | instid1(VALU_DEP_1)
	v_lshrrev_b32_e32 v5, 16, v5
	v_cndmask_b32_e32 v4, 0x7fc0, v5, vcc_lo
.LBB174_1365:
	s_mov_b32 s40, 0
	s_mov_b32 s39, -1
.LBB174_1366:
	s_and_not1_b32 vcc_lo, exec_lo, s40
	s_cbranch_vccnz .LBB174_1379
; %bb.1367:
	s_cmp_gt_i32 s0, 14
	s_cbranch_scc0 .LBB174_1370
; %bb.1368:
	s_cmp_eq_u32 s0, 15
	s_cbranch_scc0 .LBB174_1373
; %bb.1369:
	s_wait_loadcnt 0x0
	global_load_u16 v4, v[0:1], off
	s_mov_b32 s39, -1
	s_mov_b32 s38, 0
	s_branch .LBB174_1374
.LBB174_1370:
	s_mov_b32 s40, -1
                                        ; implicit-def: $vgpr4
	s_branch .LBB174_1375
.LBB174_1371:
	s_or_saveexec_b32 s40, s40
	v_mov_b32_e32 v5, 0x7f800001
	s_xor_b32 exec_lo, exec_lo, s40
	s_cbranch_execz .LBB174_1352
.LBB174_1372:
	v_cmp_ne_u16_e32 vcc_lo, 0, v4
	v_mov_b32_e32 v5, 0
	s_and_not1_b32 s39, s39, exec_lo
	s_and_b32 s41, vcc_lo, exec_lo
	s_delay_alu instid0(SALU_CYCLE_1)
	s_or_b32 s39, s39, s41
	s_or_b32 exec_lo, exec_lo, s40
	s_and_saveexec_b32 s40, s39
	s_cbranch_execnz .LBB174_1353
	s_branch .LBB174_1354
.LBB174_1373:
	s_mov_b32 s38, -1
                                        ; implicit-def: $vgpr4
.LBB174_1374:
	s_mov_b32 s40, 0
.LBB174_1375:
	s_delay_alu instid0(SALU_CYCLE_1)
	s_and_b32 vcc_lo, exec_lo, s40
	s_cbranch_vccz .LBB174_1379
; %bb.1376:
	s_cmp_eq_u32 s0, 11
	s_cbranch_scc0 .LBB174_1378
; %bb.1377:
	s_wait_loadcnt 0x0
	global_load_u8 v4, v[0:1], off
	s_mov_b32 s38, 0
	s_mov_b32 s39, -1
	s_wait_loadcnt 0x0
	v_cmp_ne_u16_e32 vcc_lo, 0, v4
	v_cndmask_b32_e64 v4, 0, 1.0, vcc_lo
	s_delay_alu instid0(VALU_DEP_1)
	v_lshrrev_b32_e32 v4, 16, v4
	s_branch .LBB174_1379
.LBB174_1378:
	s_mov_b32 s38, -1
                                        ; implicit-def: $vgpr4
.LBB174_1379:
	s_mov_b32 s40, 0
.LBB174_1380:
	s_delay_alu instid0(SALU_CYCLE_1)
	s_and_b32 vcc_lo, exec_lo, s40
	s_cbranch_vccz .LBB174_1429
; %bb.1381:
	s_cmp_lt_i32 s0, 5
	s_cbranch_scc1 .LBB174_1386
; %bb.1382:
	s_cmp_lt_i32 s0, 8
	s_cbranch_scc1 .LBB174_1387
	;; [unrolled: 3-line block ×3, first 2 shown]
; %bb.1384:
	s_cmp_gt_i32 s0, 9
	s_cbranch_scc0 .LBB174_1389
; %bb.1385:
	s_wait_loadcnt 0x0
	global_load_b64 v[4:5], v[0:1], off
	s_mov_b32 s39, 0
	s_wait_loadcnt 0x0
	v_cvt_f32_f64_e32 v4, v[4:5]
	s_delay_alu instid0(VALU_DEP_1) | instskip(SKIP_1) | instid1(VALU_DEP_2)
	v_bfe_u32 v5, v4, 16, 1
	v_cmp_o_f32_e32 vcc_lo, v4, v4
	v_add3_u32 v5, v4, v5, 0x7fff
	s_delay_alu instid0(VALU_DEP_1) | instskip(NEXT) | instid1(VALU_DEP_1)
	v_lshrrev_b32_e32 v5, 16, v5
	v_cndmask_b32_e32 v4, 0x7fc0, v5, vcc_lo
	s_branch .LBB174_1390
.LBB174_1386:
	s_mov_b32 s39, -1
                                        ; implicit-def: $vgpr4
	s_branch .LBB174_1408
.LBB174_1387:
	s_mov_b32 s39, -1
                                        ; implicit-def: $vgpr4
	s_branch .LBB174_1396
.LBB174_1388:
	s_mov_b32 s39, -1
                                        ; implicit-def: $vgpr4
	s_branch .LBB174_1393
.LBB174_1389:
	s_mov_b32 s39, -1
                                        ; implicit-def: $vgpr4
.LBB174_1390:
	s_delay_alu instid0(SALU_CYCLE_1)
	s_and_not1_b32 vcc_lo, exec_lo, s39
	s_cbranch_vccnz .LBB174_1392
; %bb.1391:
	s_wait_loadcnt 0x0
	global_load_b32 v4, v[0:1], off
	s_wait_loadcnt 0x0
	v_bfe_u32 v5, v4, 16, 1
	v_cmp_o_f32_e32 vcc_lo, v4, v4
	s_delay_alu instid0(VALU_DEP_2) | instskip(NEXT) | instid1(VALU_DEP_1)
	v_add3_u32 v5, v4, v5, 0x7fff
	v_lshrrev_b32_e32 v5, 16, v5
	s_delay_alu instid0(VALU_DEP_1)
	v_cndmask_b32_e32 v4, 0x7fc0, v5, vcc_lo
.LBB174_1392:
	s_mov_b32 s39, 0
.LBB174_1393:
	s_delay_alu instid0(SALU_CYCLE_1)
	s_and_not1_b32 vcc_lo, exec_lo, s39
	s_cbranch_vccnz .LBB174_1395
; %bb.1394:
	s_wait_loadcnt 0x0
	global_load_b32 v4, v[0:1], off
	s_wait_loadcnt 0x0
	v_cvt_f32_f16_e32 v5, v4
	v_cmp_o_f16_e32 vcc_lo, v4, v4
	s_delay_alu instid0(VALU_DEP_2) | instskip(NEXT) | instid1(VALU_DEP_1)
	v_bfe_u32 v6, v5, 16, 1
	v_add3_u32 v5, v5, v6, 0x7fff
	s_delay_alu instid0(VALU_DEP_1) | instskip(NEXT) | instid1(VALU_DEP_1)
	v_lshrrev_b32_e32 v5, 16, v5
	v_cndmask_b32_e32 v4, 0x7fc0, v5, vcc_lo
.LBB174_1395:
	s_mov_b32 s39, 0
.LBB174_1396:
	s_delay_alu instid0(SALU_CYCLE_1)
	s_and_not1_b32 vcc_lo, exec_lo, s39
	s_cbranch_vccnz .LBB174_1407
; %bb.1397:
	s_cmp_lt_i32 s0, 6
	s_cbranch_scc1 .LBB174_1400
; %bb.1398:
	s_cmp_gt_i32 s0, 6
	s_cbranch_scc0 .LBB174_1401
; %bb.1399:
	s_wait_loadcnt 0x0
	global_load_b64 v[4:5], v[0:1], off
	s_mov_b32 s39, 0
	s_wait_loadcnt 0x0
	v_cvt_f32_f64_e32 v4, v[4:5]
	s_delay_alu instid0(VALU_DEP_1) | instskip(SKIP_1) | instid1(VALU_DEP_2)
	v_bfe_u32 v5, v4, 16, 1
	v_cmp_o_f32_e32 vcc_lo, v4, v4
	v_add3_u32 v5, v4, v5, 0x7fff
	s_delay_alu instid0(VALU_DEP_1) | instskip(NEXT) | instid1(VALU_DEP_1)
	v_lshrrev_b32_e32 v5, 16, v5
	v_cndmask_b32_e32 v4, 0x7fc0, v5, vcc_lo
	s_branch .LBB174_1402
.LBB174_1400:
	s_mov_b32 s39, -1
                                        ; implicit-def: $vgpr4
	s_branch .LBB174_1405
.LBB174_1401:
	s_mov_b32 s39, -1
                                        ; implicit-def: $vgpr4
.LBB174_1402:
	s_delay_alu instid0(SALU_CYCLE_1)
	s_and_not1_b32 vcc_lo, exec_lo, s39
	s_cbranch_vccnz .LBB174_1404
; %bb.1403:
	s_wait_loadcnt 0x0
	global_load_b32 v4, v[0:1], off
	s_wait_loadcnt 0x0
	v_bfe_u32 v5, v4, 16, 1
	v_cmp_o_f32_e32 vcc_lo, v4, v4
	s_delay_alu instid0(VALU_DEP_2) | instskip(NEXT) | instid1(VALU_DEP_1)
	v_add3_u32 v5, v4, v5, 0x7fff
	v_lshrrev_b32_e32 v5, 16, v5
	s_delay_alu instid0(VALU_DEP_1)
	v_cndmask_b32_e32 v4, 0x7fc0, v5, vcc_lo
.LBB174_1404:
	s_mov_b32 s39, 0
.LBB174_1405:
	s_delay_alu instid0(SALU_CYCLE_1)
	s_and_not1_b32 vcc_lo, exec_lo, s39
	s_cbranch_vccnz .LBB174_1407
; %bb.1406:
	s_wait_loadcnt 0x0
	global_load_u16 v4, v[0:1], off
	s_wait_loadcnt 0x0
	v_cvt_f32_f16_e32 v5, v4
	v_cmp_o_f16_e32 vcc_lo, v4, v4
	s_delay_alu instid0(VALU_DEP_2) | instskip(NEXT) | instid1(VALU_DEP_1)
	v_bfe_u32 v6, v5, 16, 1
	v_add3_u32 v5, v5, v6, 0x7fff
	s_delay_alu instid0(VALU_DEP_1) | instskip(NEXT) | instid1(VALU_DEP_1)
	v_lshrrev_b32_e32 v5, 16, v5
	v_cndmask_b32_e32 v4, 0x7fc0, v5, vcc_lo
.LBB174_1407:
	s_mov_b32 s39, 0
.LBB174_1408:
	s_delay_alu instid0(SALU_CYCLE_1)
	s_and_not1_b32 vcc_lo, exec_lo, s39
	s_cbranch_vccnz .LBB174_1428
; %bb.1409:
	s_cmp_lt_i32 s0, 2
	s_cbranch_scc1 .LBB174_1413
; %bb.1410:
	s_cmp_lt_i32 s0, 3
	s_cbranch_scc1 .LBB174_1414
; %bb.1411:
	s_cmp_gt_i32 s0, 3
	s_cbranch_scc0 .LBB174_1415
; %bb.1412:
	s_wait_loadcnt 0x0
	global_load_b64 v[4:5], v[0:1], off
	s_mov_b32 s39, 0
	s_wait_loadcnt 0x0
	v_xor_b32_e32 v6, v4, v5
	v_cls_i32_e32 v7, v5
	s_delay_alu instid0(VALU_DEP_2) | instskip(NEXT) | instid1(VALU_DEP_1)
	v_ashrrev_i32_e32 v6, 31, v6
	v_add_nc_u32_e32 v6, 32, v6
	s_delay_alu instid0(VALU_DEP_1) | instskip(NEXT) | instid1(VALU_DEP_1)
	v_add_min_u32_e64 v6, v7, -1, v6
	v_lshlrev_b64_e32 v[4:5], v6, v[4:5]
	s_delay_alu instid0(VALU_DEP_1) | instskip(NEXT) | instid1(VALU_DEP_1)
	v_min_u32_e32 v4, 1, v4
	v_dual_sub_nc_u32 v5, 32, v6 :: v_dual_bitop2_b32 v4, v5, v4 bitop3:0x54
	s_delay_alu instid0(VALU_DEP_1) | instskip(NEXT) | instid1(VALU_DEP_1)
	v_cvt_f32_i32_e32 v4, v4
	v_ldexp_f32 v4, v4, v5
	s_delay_alu instid0(VALU_DEP_1) | instskip(NEXT) | instid1(VALU_DEP_1)
	v_bfe_u32 v5, v4, 16, 1
	v_add3_u32 v4, v4, v5, 0x7fff
	s_delay_alu instid0(VALU_DEP_1)
	v_lshrrev_b32_e32 v4, 16, v4
	s_branch .LBB174_1416
.LBB174_1413:
	s_mov_b32 s39, -1
                                        ; implicit-def: $vgpr4
	s_branch .LBB174_1422
.LBB174_1414:
	s_mov_b32 s39, -1
                                        ; implicit-def: $vgpr4
	s_branch .LBB174_1419
.LBB174_1415:
	s_mov_b32 s39, -1
                                        ; implicit-def: $vgpr4
.LBB174_1416:
	s_delay_alu instid0(SALU_CYCLE_1)
	s_and_not1_b32 vcc_lo, exec_lo, s39
	s_cbranch_vccnz .LBB174_1418
; %bb.1417:
	s_wait_loadcnt 0x0
	global_load_b32 v4, v[0:1], off
	s_wait_loadcnt 0x0
	v_cvt_f32_i32_e32 v4, v4
	s_delay_alu instid0(VALU_DEP_1) | instskip(NEXT) | instid1(VALU_DEP_1)
	v_bfe_u32 v5, v4, 16, 1
	v_add3_u32 v4, v4, v5, 0x7fff
	s_delay_alu instid0(VALU_DEP_1)
	v_lshrrev_b32_e32 v4, 16, v4
.LBB174_1418:
	s_mov_b32 s39, 0
.LBB174_1419:
	s_delay_alu instid0(SALU_CYCLE_1)
	s_and_not1_b32 vcc_lo, exec_lo, s39
	s_cbranch_vccnz .LBB174_1421
; %bb.1420:
	s_wait_loadcnt 0x0
	global_load_i16 v4, v[0:1], off
	s_wait_loadcnt 0x0
	v_cvt_f32_i32_e32 v4, v4
	s_delay_alu instid0(VALU_DEP_1) | instskip(NEXT) | instid1(VALU_DEP_1)
	v_bfe_u32 v5, v4, 16, 1
	v_add3_u32 v4, v4, v5, 0x7fff
	s_delay_alu instid0(VALU_DEP_1)
	v_lshrrev_b32_e32 v4, 16, v4
.LBB174_1421:
	s_mov_b32 s39, 0
.LBB174_1422:
	s_delay_alu instid0(SALU_CYCLE_1)
	s_and_not1_b32 vcc_lo, exec_lo, s39
	s_cbranch_vccnz .LBB174_1428
; %bb.1423:
	s_cmp_gt_i32 s0, 0
	s_mov_b32 s0, 0
	s_cbranch_scc0 .LBB174_1425
; %bb.1424:
	s_wait_loadcnt 0x0
	global_load_i8 v4, v[0:1], off
	s_wait_loadcnt 0x0
	v_cvt_f32_i32_e32 v4, v4
	s_delay_alu instid0(VALU_DEP_1) | instskip(NEXT) | instid1(VALU_DEP_1)
	v_bfe_u32 v5, v4, 16, 1
	v_add3_u32 v4, v4, v5, 0x7fff
	s_delay_alu instid0(VALU_DEP_1)
	v_lshrrev_b32_e32 v4, 16, v4
	s_branch .LBB174_1426
.LBB174_1425:
	s_mov_b32 s0, -1
                                        ; implicit-def: $vgpr4
.LBB174_1426:
	s_delay_alu instid0(SALU_CYCLE_1)
	s_and_not1_b32 vcc_lo, exec_lo, s0
	s_cbranch_vccnz .LBB174_1428
; %bb.1427:
	global_load_u8 v0, v[0:1], off
	s_wait_loadcnt 0x0
	v_cvt_f32_ubyte0_e32 v0, v0
	s_delay_alu instid0(VALU_DEP_1) | instskip(NEXT) | instid1(VALU_DEP_1)
	v_bfe_u32 v1, v0, 16, 1
	v_add3_u32 v0, v0, v1, 0x7fff
	s_delay_alu instid0(VALU_DEP_1)
	v_lshrrev_b32_e32 v4, 16, v0
.LBB174_1428:
	s_mov_b32 s39, -1
.LBB174_1429:
	s_delay_alu instid0(SALU_CYCLE_1)
	s_and_not1_b32 vcc_lo, exec_lo, s39
	s_cbranch_vccnz .LBB174_1437
; %bb.1430:
	s_wait_loadcnt 0x0
	v_dual_lshlrev_b32 v0, 16, v3 :: v_dual_lshlrev_b32 v1, 16, v4
	s_and_b32 s39, s3, 0xff
	s_delay_alu instid0(SALU_CYCLE_1) | instskip(NEXT) | instid1(VALU_DEP_1)
	s_cmp_lt_i32 s39, 11
	v_mul_f32_e32 v3, s22, v0
	s_delay_alu instid0(VALU_DEP_1) | instskip(NEXT) | instid1(VALU_DEP_1)
	v_bfe_u32 v0, v3, 16, 1
	v_add3_u32 v0, v3, v0, 0x7fff
	s_delay_alu instid0(VALU_DEP_1) | instskip(SKIP_3) | instid1(VALU_DEP_4)
	v_and_b32_e32 v5, 0xffff0000, v0
	v_lshlrev_b32_e32 v0, 16, v2
	v_cmp_o_f32_e32 vcc_lo, v3, v3
	v_mov_b32_e32 v2, s21
	v_cndmask_b32_e32 v3, 0x7fc00000, v5, vcc_lo
	s_delay_alu instid0(VALU_DEP_1) | instskip(NEXT) | instid1(VALU_DEP_1)
	v_pk_mul_f32 v[0:1], v[2:3], v[0:1]
	v_dual_lshrrev_b32 v3, 16, v0 :: v_dual_lshrrev_b32 v2, 16, v1
	v_cmp_o_f32_e32 vcc_lo, v1, v1
	s_delay_alu instid0(VALU_DEP_2) | instskip(NEXT) | instid1(VALU_DEP_3)
	v_and_b32_e32 v3, 1, v3
	v_and_b32_e32 v2, 1, v2
	s_delay_alu instid0(VALU_DEP_2) | instskip(NEXT) | instid1(VALU_DEP_2)
	v_add3_u32 v3, v0, v3, 0x7fff
	v_add3_u32 v2, v1, v2, 0x7fff
	s_delay_alu instid0(VALU_DEP_2) | instskip(NEXT) | instid1(VALU_DEP_2)
	v_and_b32_e32 v3, 0xffff0000, v3
	v_and_b32_e32 v2, 0xffff0000, v2
	s_delay_alu instid0(VALU_DEP_1) | instskip(SKIP_1) | instid1(VALU_DEP_4)
	v_cndmask_b32_e32 v1, 0x7fc00000, v2, vcc_lo
	v_cmp_o_f32_e32 vcc_lo, v0, v0
	v_cndmask_b32_e32 v0, 0x7fc00000, v3, vcc_lo
	s_delay_alu instid0(VALU_DEP_1) | instskip(SKIP_1) | instid1(VALU_DEP_2)
	v_add_f32_e32 v2, v0, v1
	v_mul_lo_u32 v0, v8, s12
	v_bfe_u32 v1, v2, 16, 1
	v_cmp_o_f32_e32 vcc_lo, v2, v2
	s_delay_alu instid0(VALU_DEP_2) | instskip(NEXT) | instid1(VALU_DEP_1)
	v_add3_u32 v3, v2, v1, 0x7fff
	v_dual_ashrrev_i32 v1, 31, v0 :: v_dual_lshrrev_b32 v3, 16, v3
	s_delay_alu instid0(VALU_DEP_1) | instskip(NEXT) | instid1(VALU_DEP_2)
	v_add_nc_u64_e32 v[0:1], s[4:5], v[0:1]
	v_cndmask_b32_e32 v2, 0x7fc0, v3, vcc_lo
	s_cbranch_scc1 .LBB174_1438
; %bb.1431:
	s_and_b32 s40, 0xffff, s39
	s_delay_alu instid0(SALU_CYCLE_1)
	s_cmp_gt_i32 s40, 25
	s_cbranch_scc0 .LBB174_1439
; %bb.1432:
	s_cmp_gt_i32 s40, 28
	s_cbranch_scc0 .LBB174_1440
; %bb.1433:
	;; [unrolled: 3-line block ×4, first 2 shown]
	s_mov_b32 s42, 0
	s_mov_b32 s0, -1
	s_cmp_eq_u32 s40, 46
	s_mov_b32 s41, 0
	s_cbranch_scc0 .LBB174_1443
; %bb.1436:
	v_and_b32_e32 v3, 0xffff, v2
	s_mov_b32 s41, -1
	s_mov_b32 s0, 0
	global_store_b32 v[0:1], v3, off
	s_branch .LBB174_1443
.LBB174_1437:
	s_mov_b32 s40, 0
	s_mov_b32 s0, s30
	s_branch .LBB174_1554
.LBB174_1438:
	s_mov_b32 s40, -1
	s_mov_b32 s41, 0
	s_mov_b32 s0, s30
	s_branch .LBB174_1512
.LBB174_1439:
	s_mov_b32 s42, -1
	s_mov_b32 s41, 0
	s_mov_b32 s0, s30
	s_branch .LBB174_1470
.LBB174_1440:
	s_mov_b32 s42, -1
	s_mov_b32 s41, 0
	s_mov_b32 s0, s30
	s_branch .LBB174_1453
.LBB174_1441:
	s_mov_b32 s42, -1
	s_mov_b32 s41, 0
	s_mov_b32 s0, s30
	s_branch .LBB174_1449
.LBB174_1442:
	s_mov_b32 s42, -1
	s_mov_b32 s41, 0
	s_mov_b32 s0, s30
.LBB174_1443:
	s_and_b32 vcc_lo, exec_lo, s42
	s_cbranch_vccz .LBB174_1448
; %bb.1444:
	s_cmp_eq_u32 s40, 44
	s_mov_b32 s0, -1
	s_cbranch_scc0 .LBB174_1448
; %bb.1445:
	s_wait_xcnt 0x0
	v_and_b32_e32 v3, 0xffff, v2
	v_mov_b32_e32 v4, 0xff
	s_mov_b32 s41, exec_lo
	s_delay_alu instid0(VALU_DEP_2) | instskip(NEXT) | instid1(VALU_DEP_1)
	v_bfe_u32 v5, v3, 7, 8
	v_cmpx_ne_u32_e32 0xff, v5
	s_cbranch_execz .LBB174_1447
; %bb.1446:
	v_dual_lshlrev_b32 v4, 16, v3 :: v_dual_bitop2_b32 v6, 64, v3 bitop3:0x40
	v_lshrrev_b32_e32 v3, 7, v3
	s_delay_alu instid0(VALU_DEP_2) | instskip(NEXT) | instid1(VALU_DEP_3)
	v_and_or_b32 v4, 0x3f0000, v4, v5
	v_cmp_ne_u32_e32 vcc_lo, 0, v6
	s_delay_alu instid0(VALU_DEP_2) | instskip(SKIP_1) | instid1(SALU_CYCLE_1)
	v_cmp_ne_u32_e64 s0, 0, v4
	s_and_b32 s0, vcc_lo, s0
	v_cndmask_b32_e64 v4, 0, 1, s0
	s_delay_alu instid0(VALU_DEP_1)
	v_add_nc_u32_e32 v4, v3, v4
.LBB174_1447:
	s_or_b32 exec_lo, exec_lo, s41
	s_mov_b32 s41, -1
	s_mov_b32 s0, 0
	global_store_b8 v[0:1], v4, off
.LBB174_1448:
	s_mov_b32 s42, 0
.LBB174_1449:
	s_delay_alu instid0(SALU_CYCLE_1)
	s_and_b32 vcc_lo, exec_lo, s42
	s_cbranch_vccz .LBB174_1452
; %bb.1450:
	s_cmp_eq_u32 s40, 29
	s_mov_b32 s0, -1
	s_cbranch_scc0 .LBB174_1452
; %bb.1451:
	s_wait_xcnt 0x0
	v_lshlrev_b32_e32 v3, 16, v2
	s_mov_b32 s41, -1
	s_mov_b32 s0, 0
	s_mov_b32 s42, 0
	s_delay_alu instid0(VALU_DEP_1) | instskip(NEXT) | instid1(VALU_DEP_1)
	v_trunc_f32_e32 v3, v3
	v_mul_f32_e32 v4, 0x2f800000, v3
	s_delay_alu instid0(VALU_DEP_1) | instskip(NEXT) | instid1(VALU_DEP_1)
	v_floor_f32_e32 v4, v4
	v_fmamk_f32 v3, v4, 0xcf800000, v3
	v_cvt_u32_f32_e32 v5, v4
	s_delay_alu instid0(VALU_DEP_2)
	v_cvt_u32_f32_e32 v4, v3
	global_store_b64 v[0:1], v[4:5], off
	s_branch .LBB174_1453
.LBB174_1452:
	s_mov_b32 s42, 0
.LBB174_1453:
	s_delay_alu instid0(SALU_CYCLE_1)
	s_and_b32 vcc_lo, exec_lo, s42
	s_cbranch_vccz .LBB174_1469
; %bb.1454:
	s_cmp_lt_i32 s40, 27
	s_mov_b32 s41, -1
	s_cbranch_scc1 .LBB174_1460
; %bb.1455:
	s_cmp_gt_i32 s40, 27
	s_cbranch_scc0 .LBB174_1457
; %bb.1456:
	s_wait_xcnt 0x0
	v_lshlrev_b32_e32 v3, 16, v2
	s_mov_b32 s41, 0
	s_delay_alu instid0(VALU_DEP_1)
	v_cvt_u32_f32_e32 v3, v3
	global_store_b32 v[0:1], v3, off
.LBB174_1457:
	s_and_not1_b32 vcc_lo, exec_lo, s41
	s_cbranch_vccnz .LBB174_1459
; %bb.1458:
	s_wait_xcnt 0x0
	v_lshlrev_b32_e32 v3, 16, v2
	s_delay_alu instid0(VALU_DEP_1)
	v_cvt_u32_f32_e32 v3, v3
	global_store_b16 v[0:1], v3, off
.LBB174_1459:
	s_mov_b32 s41, 0
.LBB174_1460:
	s_delay_alu instid0(SALU_CYCLE_1)
	s_and_not1_b32 vcc_lo, exec_lo, s41
	s_cbranch_vccnz .LBB174_1468
; %bb.1461:
	s_wait_xcnt 0x0
	v_dual_mov_b32 v6, 0x80 :: v_dual_lshlrev_b32 v5, 16, v2
	s_mov_b32 s41, exec_lo
	s_delay_alu instid0(VALU_DEP_1) | instskip(NEXT) | instid1(VALU_DEP_1)
	v_and_b32_e32 v4, 0x7fffffff, v5
	v_cmpx_gt_u32_e32 0x43800000, v4
	s_cbranch_execz .LBB174_1467
; %bb.1462:
	v_and_b32_e32 v3, 0xffff, v2
	v_cmp_lt_u32_e32 vcc_lo, 0x3bffffff, v4
	s_mov_b32 s42, 0
                                        ; implicit-def: $vgpr4
	s_and_saveexec_b32 s43, vcc_lo
	s_delay_alu instid0(SALU_CYCLE_1)
	s_xor_b32 s43, exec_lo, s43
	s_cbranch_execz .LBB174_2724
; %bb.1463:
	v_bfe_u32 v4, v3, 4, 1
	s_mov_b32 s42, exec_lo
	s_delay_alu instid0(VALU_DEP_1) | instskip(NEXT) | instid1(VALU_DEP_1)
	v_add3_u32 v4, v5, v4, 0x487ffff
                                        ; implicit-def: $vgpr5
	v_lshrrev_b32_e32 v4, 20, v4
	s_and_not1_saveexec_b32 s43, s43
	s_cbranch_execnz .LBB174_2725
.LBB174_1464:
	s_or_b32 exec_lo, exec_lo, s43
	v_mov_b32_e32 v6, 0
	s_and_saveexec_b32 s43, s42
.LBB174_1465:
	v_lshrrev_b32_e32 v3, 8, v3
	s_delay_alu instid0(VALU_DEP_1)
	v_and_or_b32 v6, 0x80, v3, v4
.LBB174_1466:
	s_or_b32 exec_lo, exec_lo, s43
.LBB174_1467:
	s_delay_alu instid0(SALU_CYCLE_1)
	s_or_b32 exec_lo, exec_lo, s41
	global_store_b8 v[0:1], v6, off
.LBB174_1468:
	s_mov_b32 s41, -1
.LBB174_1469:
	s_mov_b32 s42, 0
.LBB174_1470:
	s_delay_alu instid0(SALU_CYCLE_1)
	s_and_b32 vcc_lo, exec_lo, s42
	s_cbranch_vccz .LBB174_1511
; %bb.1471:
	s_cmp_gt_i32 s40, 22
	s_mov_b32 s42, -1
	s_cbranch_scc0 .LBB174_1503
; %bb.1472:
	s_cmp_lt_i32 s40, 24
	s_mov_b32 s41, -1
	s_cbranch_scc1 .LBB174_1492
; %bb.1473:
	s_cmp_gt_i32 s40, 24
	s_cbranch_scc0 .LBB174_1481
; %bb.1474:
	s_wait_xcnt 0x0
	v_dual_mov_b32 v6, 0x80 :: v_dual_lshlrev_b32 v5, 16, v2
	s_mov_b32 s41, exec_lo
	s_delay_alu instid0(VALU_DEP_1) | instskip(NEXT) | instid1(VALU_DEP_1)
	v_and_b32_e32 v4, 0x7fffffff, v5
	v_cmpx_gt_u32_e32 0x47800000, v4
	s_cbranch_execz .LBB174_1480
; %bb.1475:
	v_and_b32_e32 v3, 0xffff, v2
	v_cmp_lt_u32_e32 vcc_lo, 0x37ffffff, v4
	s_mov_b32 s42, 0
                                        ; implicit-def: $vgpr4
	s_and_saveexec_b32 s43, vcc_lo
	s_delay_alu instid0(SALU_CYCLE_1)
	s_xor_b32 s43, exec_lo, s43
	s_cbranch_execz .LBB174_2857
; %bb.1476:
	v_bfe_u32 v4, v3, 5, 1
	s_mov_b32 s42, exec_lo
	s_delay_alu instid0(VALU_DEP_1) | instskip(NEXT) | instid1(VALU_DEP_1)
	v_add3_u32 v4, v5, v4, 0x88fffff
                                        ; implicit-def: $vgpr5
	v_lshrrev_b32_e32 v4, 21, v4
	s_and_not1_saveexec_b32 s43, s43
	s_cbranch_execnz .LBB174_2858
.LBB174_1477:
	s_or_b32 exec_lo, exec_lo, s43
	v_mov_b32_e32 v6, 0
	s_and_saveexec_b32 s43, s42
.LBB174_1478:
	v_lshrrev_b32_e32 v3, 8, v3
	s_delay_alu instid0(VALU_DEP_1)
	v_and_or_b32 v6, 0x80, v3, v4
.LBB174_1479:
	s_or_b32 exec_lo, exec_lo, s43
.LBB174_1480:
	s_delay_alu instid0(SALU_CYCLE_1)
	s_or_b32 exec_lo, exec_lo, s41
	s_mov_b32 s41, 0
	global_store_b8 v[0:1], v6, off
.LBB174_1481:
	s_and_b32 vcc_lo, exec_lo, s41
	s_cbranch_vccz .LBB174_1491
; %bb.1482:
	s_wait_xcnt 0x0
	v_lshlrev_b32_e32 v5, 16, v2
	v_and_b32_e32 v3, 0xffff, v2
	s_mov_b32 s41, exec_lo
                                        ; implicit-def: $vgpr4
	s_delay_alu instid0(VALU_DEP_2) | instskip(NEXT) | instid1(VALU_DEP_1)
	v_and_b32_e32 v6, 0x7fffffff, v5
	v_cmpx_gt_u32_e32 0x43f00000, v6
	s_xor_b32 s41, exec_lo, s41
	s_cbranch_execz .LBB174_1488
; %bb.1483:
	s_mov_b32 s42, exec_lo
                                        ; implicit-def: $vgpr4
	v_cmpx_lt_u32_e32 0x3c7fffff, v6
	s_xor_b32 s42, exec_lo, s42
; %bb.1484:
	v_bfe_u32 v4, v3, 4, 1
	s_delay_alu instid0(VALU_DEP_1) | instskip(NEXT) | instid1(VALU_DEP_1)
	v_add3_u32 v4, v5, v4, 0x407ffff
	v_and_b32_e32 v5, 0xff00000, v4
	v_lshrrev_b32_e32 v4, 20, v4
	s_delay_alu instid0(VALU_DEP_2) | instskip(NEXT) | instid1(VALU_DEP_2)
	v_cmp_ne_u32_e32 vcc_lo, 0x7f00000, v5
                                        ; implicit-def: $vgpr5
	v_cndmask_b32_e32 v4, 0x7e, v4, vcc_lo
; %bb.1485:
	s_and_not1_saveexec_b32 s42, s42
; %bb.1486:
	v_add_f32_e64 v4, 0x46800000, |v5|
; %bb.1487:
	s_or_b32 exec_lo, exec_lo, s42
                                        ; implicit-def: $vgpr6
.LBB174_1488:
	s_and_not1_saveexec_b32 s41, s41
; %bb.1489:
	v_mov_b32_e32 v4, 0x7f
	v_cmp_lt_u32_e32 vcc_lo, 0x7f800000, v6
	s_delay_alu instid0(VALU_DEP_2)
	v_cndmask_b32_e32 v4, 0x7e, v4, vcc_lo
; %bb.1490:
	s_or_b32 exec_lo, exec_lo, s41
	v_lshrrev_b32_e32 v3, 8, v3
	s_delay_alu instid0(VALU_DEP_1)
	v_and_or_b32 v3, 0x80, v3, v4
	global_store_b8 v[0:1], v3, off
.LBB174_1491:
	s_mov_b32 s41, 0
.LBB174_1492:
	s_delay_alu instid0(SALU_CYCLE_1)
	s_and_not1_b32 vcc_lo, exec_lo, s41
	s_cbranch_vccnz .LBB174_1502
; %bb.1493:
	s_wait_xcnt 0x0
	v_lshlrev_b32_e32 v5, 16, v2
	v_and_b32_e32 v3, 0xffff, v2
	s_mov_b32 s41, exec_lo
                                        ; implicit-def: $vgpr4
	s_delay_alu instid0(VALU_DEP_2) | instskip(NEXT) | instid1(VALU_DEP_1)
	v_and_b32_e32 v6, 0x7fffffff, v5
	v_cmpx_gt_u32_e32 0x47800000, v6
	s_xor_b32 s41, exec_lo, s41
	s_cbranch_execz .LBB174_1499
; %bb.1494:
	s_mov_b32 s42, exec_lo
                                        ; implicit-def: $vgpr4
	v_cmpx_lt_u32_e32 0x387fffff, v6
	s_xor_b32 s42, exec_lo, s42
; %bb.1495:
	v_bfe_u32 v4, v3, 5, 1
	s_delay_alu instid0(VALU_DEP_1) | instskip(NEXT) | instid1(VALU_DEP_1)
	v_add3_u32 v4, v5, v4, 0x80fffff
                                        ; implicit-def: $vgpr5
	v_lshrrev_b32_e32 v4, 21, v4
; %bb.1496:
	s_and_not1_saveexec_b32 s42, s42
; %bb.1497:
	v_add_f32_e64 v4, 0x43000000, |v5|
; %bb.1498:
	s_or_b32 exec_lo, exec_lo, s42
                                        ; implicit-def: $vgpr6
.LBB174_1499:
	s_and_not1_saveexec_b32 s41, s41
; %bb.1500:
	v_mov_b32_e32 v4, 0x7f
	v_cmp_lt_u32_e32 vcc_lo, 0x7f800000, v6
	s_delay_alu instid0(VALU_DEP_2)
	v_cndmask_b32_e32 v4, 0x7c, v4, vcc_lo
; %bb.1501:
	s_or_b32 exec_lo, exec_lo, s41
	v_lshrrev_b32_e32 v3, 8, v3
	s_delay_alu instid0(VALU_DEP_1)
	v_and_or_b32 v3, 0x80, v3, v4
	global_store_b8 v[0:1], v3, off
.LBB174_1502:
	s_mov_b32 s42, 0
	s_mov_b32 s41, -1
.LBB174_1503:
	s_and_not1_b32 vcc_lo, exec_lo, s42
	s_cbranch_vccnz .LBB174_1511
; %bb.1504:
	s_cmp_gt_i32 s40, 14
	s_mov_b32 s42, -1
	s_cbranch_scc0 .LBB174_1508
; %bb.1505:
	s_cmp_eq_u32 s40, 15
	s_mov_b32 s0, -1
	s_cbranch_scc0 .LBB174_1507
; %bb.1506:
	s_mov_b32 s41, -1
	s_mov_b32 s0, 0
	global_store_b16 v[0:1], v2, off
.LBB174_1507:
	s_mov_b32 s42, 0
.LBB174_1508:
	s_delay_alu instid0(SALU_CYCLE_1)
	s_and_b32 vcc_lo, exec_lo, s42
	s_cbranch_vccz .LBB174_1511
; %bb.1509:
	s_cmp_eq_u32 s40, 11
	s_mov_b32 s0, -1
	s_cbranch_scc0 .LBB174_1511
; %bb.1510:
	s_wait_xcnt 0x0
	v_and_b32_e32 v3, 0x7fff, v2
	s_mov_b32 s0, 0
	s_mov_b32 s41, -1
	s_delay_alu instid0(VALU_DEP_1)
	v_cmp_ne_u16_e32 vcc_lo, 0, v3
	v_cndmask_b32_e64 v3, 0, 1, vcc_lo
	global_store_b8 v[0:1], v3, off
.LBB174_1511:
	s_mov_b32 s40, 0
.LBB174_1512:
	s_delay_alu instid0(SALU_CYCLE_1)
	s_and_b32 vcc_lo, exec_lo, s40
	s_cbranch_vccz .LBB174_1551
; %bb.1513:
	s_and_b32 s39, 0xffff, s39
	s_mov_b32 s40, -1
	s_cmp_lt_i32 s39, 5
	s_cbranch_scc1 .LBB174_1534
; %bb.1514:
	s_cmp_lt_i32 s39, 8
	s_cbranch_scc1 .LBB174_1524
; %bb.1515:
	;; [unrolled: 3-line block ×3, first 2 shown]
	s_cmp_gt_i32 s39, 9
	s_cbranch_scc0 .LBB174_1518
; %bb.1517:
	s_wait_xcnt 0x0
	v_dual_mov_b32 v6, 0 :: v_dual_lshlrev_b32 v3, 16, v2
	s_mov_b32 s40, 0
	s_delay_alu instid0(VALU_DEP_1) | instskip(NEXT) | instid1(VALU_DEP_2)
	v_cvt_f64_f32_e32 v[4:5], v3
	v_mov_b32_e32 v7, v6
	global_store_b128 v[0:1], v[4:7], off
.LBB174_1518:
	s_and_not1_b32 vcc_lo, exec_lo, s40
	s_cbranch_vccnz .LBB174_1520
; %bb.1519:
	s_wait_xcnt 0x0
	v_dual_mov_b32 v5, 0 :: v_dual_lshlrev_b32 v4, 16, v2
	global_store_b64 v[0:1], v[4:5], off
.LBB174_1520:
	s_mov_b32 s40, 0
.LBB174_1521:
	s_delay_alu instid0(SALU_CYCLE_1)
	s_and_not1_b32 vcc_lo, exec_lo, s40
	s_cbranch_vccnz .LBB174_1523
; %bb.1522:
	s_wait_xcnt 0x0
	v_lshlrev_b32_e32 v3, 16, v2
	s_delay_alu instid0(VALU_DEP_1) | instskip(NEXT) | instid1(VALU_DEP_1)
	v_cvt_f16_f32_e32 v3, v3
	v_and_b32_e32 v3, 0xffff, v3
	global_store_b32 v[0:1], v3, off
.LBB174_1523:
	s_mov_b32 s40, 0
.LBB174_1524:
	s_delay_alu instid0(SALU_CYCLE_1)
	s_and_not1_b32 vcc_lo, exec_lo, s40
	s_cbranch_vccnz .LBB174_1533
; %bb.1525:
	s_cmp_lt_i32 s39, 6
	s_mov_b32 s40, -1
	s_cbranch_scc1 .LBB174_1531
; %bb.1526:
	s_cmp_gt_i32 s39, 6
	s_cbranch_scc0 .LBB174_1528
; %bb.1527:
	s_wait_xcnt 0x0
	v_lshlrev_b32_e32 v3, 16, v2
	s_mov_b32 s40, 0
	s_delay_alu instid0(VALU_DEP_1)
	v_cvt_f64_f32_e32 v[4:5], v3
	global_store_b64 v[0:1], v[4:5], off
.LBB174_1528:
	s_and_not1_b32 vcc_lo, exec_lo, s40
	s_cbranch_vccnz .LBB174_1530
; %bb.1529:
	s_wait_xcnt 0x0
	v_lshlrev_b32_e32 v3, 16, v2
	global_store_b32 v[0:1], v3, off
.LBB174_1530:
	s_mov_b32 s40, 0
.LBB174_1531:
	s_delay_alu instid0(SALU_CYCLE_1)
	s_and_not1_b32 vcc_lo, exec_lo, s40
	s_cbranch_vccnz .LBB174_1533
; %bb.1532:
	s_wait_xcnt 0x0
	v_lshlrev_b32_e32 v3, 16, v2
	s_delay_alu instid0(VALU_DEP_1)
	v_cvt_f16_f32_e32 v3, v3
	global_store_b16 v[0:1], v3, off
.LBB174_1533:
	s_mov_b32 s40, 0
.LBB174_1534:
	s_delay_alu instid0(SALU_CYCLE_1)
	s_and_not1_b32 vcc_lo, exec_lo, s40
	s_cbranch_vccnz .LBB174_1550
; %bb.1535:
	s_cmp_lt_i32 s39, 2
	s_mov_b32 s40, -1
	s_cbranch_scc1 .LBB174_1545
; %bb.1536:
	s_cmp_lt_i32 s39, 3
	s_cbranch_scc1 .LBB174_1542
; %bb.1537:
	s_cmp_gt_i32 s39, 3
	s_cbranch_scc0 .LBB174_1539
; %bb.1538:
	s_wait_xcnt 0x0
	v_lshlrev_b32_e32 v3, 16, v2
	s_mov_b32 s40, 0
	s_delay_alu instid0(VALU_DEP_1) | instskip(NEXT) | instid1(VALU_DEP_1)
	v_trunc_f32_e32 v3, v3
	v_mul_f32_e64 v4, 0x2f800000, |v3|
	s_delay_alu instid0(VALU_DEP_1) | instskip(SKIP_1) | instid1(VALU_DEP_2)
	v_floor_f32_e32 v5, v4
	v_ashrrev_i32_e32 v4, 31, v3
	v_fma_f32 v6, 0xcf800000, v5, |v3|
	v_cvt_u32_f32_e32 v3, v5
	s_delay_alu instid0(VALU_DEP_3) | instskip(NEXT) | instid1(VALU_DEP_3)
	v_mov_b32_e32 v5, v4
	v_cvt_u32_f32_e32 v6, v6
	s_delay_alu instid0(VALU_DEP_3) | instskip(NEXT) | instid1(VALU_DEP_2)
	v_xor_b32_e32 v7, v3, v4
	v_xor_b32_e32 v6, v6, v4
	s_delay_alu instid0(VALU_DEP_1)
	v_sub_nc_u64_e32 v[4:5], v[6:7], v[4:5]
	global_store_b64 v[0:1], v[4:5], off
.LBB174_1539:
	s_and_not1_b32 vcc_lo, exec_lo, s40
	s_cbranch_vccnz .LBB174_1541
; %bb.1540:
	s_wait_xcnt 0x0
	v_lshlrev_b32_e32 v3, 16, v2
	s_delay_alu instid0(VALU_DEP_1)
	v_cvt_i32_f32_e32 v3, v3
	global_store_b32 v[0:1], v3, off
.LBB174_1541:
	s_mov_b32 s40, 0
.LBB174_1542:
	s_delay_alu instid0(SALU_CYCLE_1)
	s_and_not1_b32 vcc_lo, exec_lo, s40
	s_cbranch_vccnz .LBB174_1544
; %bb.1543:
	s_wait_xcnt 0x0
	v_lshlrev_b32_e32 v3, 16, v2
	s_delay_alu instid0(VALU_DEP_1)
	v_cvt_i32_f32_e32 v3, v3
	global_store_b16 v[0:1], v3, off
.LBB174_1544:
	s_mov_b32 s40, 0
.LBB174_1545:
	s_delay_alu instid0(SALU_CYCLE_1)
	s_and_not1_b32 vcc_lo, exec_lo, s40
	s_cbranch_vccnz .LBB174_1550
; %bb.1546:
	s_wait_xcnt 0x0
	v_lshlrev_b32_e32 v2, 16, v2
	s_cmp_gt_i32 s39, 0
	s_mov_b32 s39, -1
	s_cbranch_scc0 .LBB174_1548
; %bb.1547:
	s_delay_alu instid0(VALU_DEP_1)
	v_cvt_i32_f32_e32 v3, v2
	s_mov_b32 s39, 0
	global_store_b8 v[0:1], v3, off
.LBB174_1548:
	s_and_not1_b32 vcc_lo, exec_lo, s39
	s_cbranch_vccnz .LBB174_1550
; %bb.1549:
	v_trunc_f32_e32 v2, v2
	s_wait_xcnt 0x0
	s_delay_alu instid0(VALU_DEP_1) | instskip(NEXT) | instid1(VALU_DEP_1)
	v_mul_f32_e64 v3, 0x2f800000, |v2|
	v_floor_f32_e32 v3, v3
	s_delay_alu instid0(VALU_DEP_1) | instskip(SKIP_1) | instid1(VALU_DEP_2)
	v_fma_f32 v3, 0xcf800000, v3, |v2|
	v_ashrrev_i32_e32 v2, 31, v2
	v_cvt_u32_f32_e32 v3, v3
	s_delay_alu instid0(VALU_DEP_1) | instskip(NEXT) | instid1(VALU_DEP_1)
	v_xor_b32_e32 v3, v3, v2
	v_sub_nc_u32_e32 v2, v3, v2
	global_store_b8 v[0:1], v2, off
.LBB174_1550:
	s_mov_b32 s41, -1
.LBB174_1551:
	s_delay_alu instid0(SALU_CYCLE_1)
	s_and_not1_b32 vcc_lo, exec_lo, s41
	s_cbranch_vccnz .LBB174_1553
; %bb.1552:
	v_add_nc_u32_e32 v8, 0x80, v8
	s_mov_b32 s40, -1
	s_branch .LBB174_1555
.LBB174_1553:
	s_mov_b32 s40, 0
.LBB174_1554:
                                        ; implicit-def: $vgpr8
.LBB174_1555:
	s_and_not1_b32 s39, s30, exec_lo
	s_and_b32 s0, s0, exec_lo
	s_and_not1_b32 s41, s31, exec_lo
	s_and_b32 s38, s38, exec_lo
	s_or_b32 s39, s39, s0
	s_or_b32 s38, s41, s38
	s_and_not1_b32 s0, s33, exec_lo
	s_and_b32 s37, s37, exec_lo
	s_and_not1_b32 s41, s29, exec_lo
	s_and_b32 s36, s36, exec_lo
	s_or_b32 s37, s0, s37
	s_or_b32 s36, s41, s36
	s_or_not1_b32 s43, s40, exec_lo
.LBB174_1556:
	s_wait_xcnt 0x0
	s_or_b32 exec_lo, exec_lo, s35
	s_mov_b32 s40, 0
	s_mov_b32 s41, 0
	;; [unrolled: 1-line block ×3, first 2 shown]
                                        ; implicit-def: $sgpr0
                                        ; implicit-def: $vgpr0_vgpr1
                                        ; implicit-def: $vgpr2
	s_and_saveexec_b32 s35, s43
	s_cbranch_execz .LBB174_1637
; %bb.1557:
	v_cmp_gt_i32_e32 vcc_lo, s24, v8
	s_mov_b32 s44, s36
	s_mov_b32 s43, 0
	;; [unrolled: 1-line block ×3, first 2 shown]
                                        ; implicit-def: $sgpr0
                                        ; implicit-def: $vgpr0_vgpr1
                                        ; implicit-def: $vgpr2
	s_and_saveexec_b32 s24, vcc_lo
	s_cbranch_execz .LBB174_1636
; %bb.1558:
	v_mul_lo_u32 v0, v8, s13
	s_and_b32 s0, s19, 0xff
	s_delay_alu instid0(SALU_CYCLE_1) | instskip(NEXT) | instid1(VALU_DEP_1)
	s_cmp_lt_i32 s0, 11
	v_ashrrev_i32_e32 v1, 31, v0
	s_delay_alu instid0(VALU_DEP_1)
	v_add_nc_u64_e32 v[0:1], s[6:7], v[0:1]
	s_cbranch_scc1 .LBB174_1565
; %bb.1559:
	s_and_b32 s40, 0xffff, s0
	s_delay_alu instid0(SALU_CYCLE_1)
	s_cmp_gt_i32 s40, 25
	s_cbranch_scc0 .LBB174_1566
; %bb.1560:
	s_cmp_gt_i32 s40, 28
	s_cbranch_scc0 .LBB174_1567
; %bb.1561:
	;; [unrolled: 3-line block ×4, first 2 shown]
	s_cmp_eq_u32 s40, 46
	s_mov_b32 s44, 0
	s_cbranch_scc0 .LBB174_1570
; %bb.1564:
	s_wait_loadcnt 0x0
	global_load_b32 v2, v[0:1], off
	s_mov_b32 s43, -1
	s_branch .LBB174_1572
.LBB174_1565:
	s_mov_b32 s40, -1
	s_mov_b32 s41, s36
                                        ; implicit-def: $vgpr2
	s_branch .LBB174_1635
.LBB174_1566:
	s_mov_b32 s44, -1
	s_mov_b32 s41, s36
                                        ; implicit-def: $vgpr2
	s_branch .LBB174_1601
.LBB174_1567:
	s_mov_b32 s44, -1
	s_mov_b32 s41, s36
                                        ; implicit-def: $vgpr2
	s_branch .LBB174_1582
.LBB174_1568:
	s_mov_b32 s44, -1
	s_mov_b32 s41, s36
                                        ; implicit-def: $vgpr2
	s_branch .LBB174_1577
.LBB174_1569:
	s_mov_b32 s44, -1
	s_mov_b32 s41, s36
	s_branch .LBB174_1571
.LBB174_1570:
	s_mov_b32 s41, -1
.LBB174_1571:
                                        ; implicit-def: $vgpr2
.LBB174_1572:
	s_and_b32 vcc_lo, exec_lo, s44
	s_cbranch_vccz .LBB174_1576
; %bb.1573:
	s_cmp_eq_u32 s40, 44
	s_cbranch_scc0 .LBB174_1575
; %bb.1574:
	s_wait_loadcnt 0x0
	global_load_u8 v2, v[0:1], off
	s_mov_b32 s41, 0
	s_mov_b32 s43, -1
	s_wait_loadcnt 0x0
	v_lshlrev_b32_e32 v3, 23, v2
	v_cmp_ne_u32_e32 vcc_lo, 0xff, v2
	s_delay_alu instid0(VALU_DEP_2) | instskip(SKIP_1) | instid1(VALU_DEP_2)
	v_cndmask_b32_e32 v3, 0x7f800001, v3, vcc_lo
	v_cmp_ne_u32_e32 vcc_lo, 0, v2
	v_cndmask_b32_e32 v2, 0x400000, v3, vcc_lo
	s_delay_alu instid0(VALU_DEP_1) | instskip(NEXT) | instid1(VALU_DEP_1)
	v_add_nc_u32_e32 v3, 0x7fff, v2
	v_lshrrev_b32_e32 v3, 16, v3
	v_cmp_o_f32_e32 vcc_lo, v2, v2
	s_delay_alu instid0(VALU_DEP_2)
	v_cndmask_b32_e32 v2, 0x7fc0, v3, vcc_lo
	s_branch .LBB174_1576
.LBB174_1575:
	s_mov_b32 s41, -1
                                        ; implicit-def: $vgpr2
.LBB174_1576:
	s_mov_b32 s44, 0
.LBB174_1577:
	s_delay_alu instid0(SALU_CYCLE_1)
	s_and_b32 vcc_lo, exec_lo, s44
	s_cbranch_vccz .LBB174_1581
; %bb.1578:
	s_cmp_eq_u32 s40, 29
	s_cbranch_scc0 .LBB174_1580
; %bb.1579:
	s_wait_loadcnt 0x0
	global_load_b64 v[2:3], v[0:1], off
	s_mov_b32 s41, 0
	s_mov_b32 s43, -1
	s_mov_b32 s44, 0
	s_wait_loadcnt 0x0
	v_clz_i32_u32_e32 v4, v3
	s_delay_alu instid0(VALU_DEP_1) | instskip(NEXT) | instid1(VALU_DEP_1)
	v_min_u32_e32 v4, 32, v4
	v_lshlrev_b64_e32 v[2:3], v4, v[2:3]
	s_delay_alu instid0(VALU_DEP_1) | instskip(NEXT) | instid1(VALU_DEP_1)
	v_min_u32_e32 v2, 1, v2
	v_dual_sub_nc_u32 v3, 32, v4 :: v_dual_bitop2_b32 v2, v3, v2 bitop3:0x54
	s_delay_alu instid0(VALU_DEP_1) | instskip(NEXT) | instid1(VALU_DEP_1)
	v_cvt_f32_u32_e32 v2, v2
	v_ldexp_f32 v2, v2, v3
	s_delay_alu instid0(VALU_DEP_1) | instskip(NEXT) | instid1(VALU_DEP_1)
	v_bfe_u32 v3, v2, 16, 1
	v_add3_u32 v2, v2, v3, 0x7fff
	s_delay_alu instid0(VALU_DEP_1)
	v_lshrrev_b32_e32 v2, 16, v2
	s_branch .LBB174_1582
.LBB174_1580:
	s_mov_b32 s41, -1
                                        ; implicit-def: $vgpr2
.LBB174_1581:
	s_mov_b32 s44, 0
.LBB174_1582:
	s_delay_alu instid0(SALU_CYCLE_1)
	s_and_b32 vcc_lo, exec_lo, s44
	s_cbranch_vccz .LBB174_1600
; %bb.1583:
	s_cmp_lt_i32 s40, 27
	s_cbranch_scc1 .LBB174_1586
; %bb.1584:
	s_cmp_gt_i32 s40, 27
	s_cbranch_scc0 .LBB174_1587
; %bb.1585:
	s_wait_loadcnt 0x0
	global_load_b32 v2, v[0:1], off
	s_mov_b32 s43, 0
	s_wait_loadcnt 0x0
	v_cvt_f32_u32_e32 v2, v2
	s_delay_alu instid0(VALU_DEP_1) | instskip(NEXT) | instid1(VALU_DEP_1)
	v_bfe_u32 v3, v2, 16, 1
	v_add3_u32 v2, v2, v3, 0x7fff
	s_delay_alu instid0(VALU_DEP_1)
	v_lshrrev_b32_e32 v2, 16, v2
	s_branch .LBB174_1588
.LBB174_1586:
	s_mov_b32 s43, -1
                                        ; implicit-def: $vgpr2
	s_branch .LBB174_1591
.LBB174_1587:
	s_mov_b32 s43, -1
                                        ; implicit-def: $vgpr2
.LBB174_1588:
	s_delay_alu instid0(SALU_CYCLE_1)
	s_and_not1_b32 vcc_lo, exec_lo, s43
	s_cbranch_vccnz .LBB174_1590
; %bb.1589:
	s_wait_loadcnt 0x0
	global_load_u16 v2, v[0:1], off
	s_wait_loadcnt 0x0
	v_cvt_f32_u32_e32 v2, v2
	s_delay_alu instid0(VALU_DEP_1) | instskip(NEXT) | instid1(VALU_DEP_1)
	v_bfe_u32 v3, v2, 16, 1
	v_add3_u32 v2, v2, v3, 0x7fff
	s_delay_alu instid0(VALU_DEP_1)
	v_lshrrev_b32_e32 v2, 16, v2
.LBB174_1590:
	s_mov_b32 s43, 0
.LBB174_1591:
	s_delay_alu instid0(SALU_CYCLE_1)
	s_and_not1_b32 vcc_lo, exec_lo, s43
	s_cbranch_vccnz .LBB174_1599
; %bb.1592:
	s_wait_loadcnt 0x0
	global_load_u8 v2, v[0:1], off
	s_mov_b32 s43, 0
	s_mov_b32 s44, exec_lo
	s_wait_loadcnt 0x0
	v_cmpx_lt_i16_e32 0x7f, v2
	s_xor_b32 s44, exec_lo, s44
	s_cbranch_execz .LBB174_1613
; %bb.1593:
	s_mov_b32 s43, -1
	s_mov_b32 s45, exec_lo
	v_cmpx_eq_u16_e32 0x80, v2
; %bb.1594:
	s_xor_b32 s43, exec_lo, -1
; %bb.1595:
	s_or_b32 exec_lo, exec_lo, s45
	s_delay_alu instid0(SALU_CYCLE_1)
	s_and_b32 s43, s43, exec_lo
	s_or_saveexec_b32 s44, s44
	v_mov_b32_e32 v3, 0x7f800001
	s_xor_b32 exec_lo, exec_lo, s44
	s_cbranch_execnz .LBB174_1614
.LBB174_1596:
	s_or_b32 exec_lo, exec_lo, s44
	s_and_saveexec_b32 s44, s43
	s_cbranch_execz .LBB174_1598
.LBB174_1597:
	v_and_b32_e32 v3, 0xffff, v2
	s_delay_alu instid0(VALU_DEP_1) | instskip(SKIP_1) | instid1(VALU_DEP_2)
	v_and_b32_e32 v4, 7, v3
	v_bfe_u32 v7, v3, 3, 4
	v_clz_i32_u32_e32 v5, v4
	s_delay_alu instid0(VALU_DEP_2) | instskip(NEXT) | instid1(VALU_DEP_2)
	v_cmp_eq_u32_e32 vcc_lo, 0, v7
	v_min_u32_e32 v5, 32, v5
	s_delay_alu instid0(VALU_DEP_1) | instskip(NEXT) | instid1(VALU_DEP_1)
	v_subrev_nc_u32_e32 v6, 28, v5
	v_dual_lshlrev_b32 v3, v6, v3 :: v_dual_sub_nc_u32 v5, 29, v5
	s_delay_alu instid0(VALU_DEP_1) | instskip(NEXT) | instid1(VALU_DEP_1)
	v_dual_lshlrev_b32 v2, 24, v2 :: v_dual_bitop2_b32 v3, 7, v3 bitop3:0x40
	v_dual_cndmask_b32 v5, v7, v5, vcc_lo :: v_dual_cndmask_b32 v3, v4, v3, vcc_lo
	s_delay_alu instid0(VALU_DEP_2) | instskip(NEXT) | instid1(VALU_DEP_2)
	v_and_b32_e32 v2, 0x80000000, v2
	v_lshl_add_u32 v4, v5, 23, 0x3b800000
	s_delay_alu instid0(VALU_DEP_3) | instskip(NEXT) | instid1(VALU_DEP_1)
	v_lshlrev_b32_e32 v3, 20, v3
	v_or3_b32 v3, v2, v4, v3
.LBB174_1598:
	s_or_b32 exec_lo, exec_lo, s44
	s_delay_alu instid0(VALU_DEP_1) | instskip(SKIP_1) | instid1(VALU_DEP_2)
	v_bfe_u32 v2, v3, 16, 1
	v_cmp_o_f32_e32 vcc_lo, v3, v3
	v_add3_u32 v2, v3, v2, 0x7fff
	s_delay_alu instid0(VALU_DEP_1) | instskip(NEXT) | instid1(VALU_DEP_1)
	v_lshrrev_b32_e32 v2, 16, v2
	v_cndmask_b32_e32 v2, 0x7fc0, v2, vcc_lo
.LBB174_1599:
	s_mov_b32 s43, -1
.LBB174_1600:
	s_mov_b32 s44, 0
.LBB174_1601:
	s_delay_alu instid0(SALU_CYCLE_1)
	s_and_b32 vcc_lo, exec_lo, s44
	s_cbranch_vccz .LBB174_1634
; %bb.1602:
	s_cmp_gt_i32 s40, 22
	s_cbranch_scc0 .LBB174_1612
; %bb.1603:
	s_cmp_lt_i32 s40, 24
	s_cbranch_scc1 .LBB174_1615
; %bb.1604:
	s_cmp_gt_i32 s40, 24
	s_cbranch_scc0 .LBB174_1616
; %bb.1605:
	s_wait_loadcnt 0x0
	global_load_u8 v2, v[0:1], off
	s_mov_b32 s43, exec_lo
	s_wait_loadcnt 0x0
	v_cmpx_lt_i16_e32 0x7f, v2
	s_xor_b32 s43, exec_lo, s43
	s_cbranch_execz .LBB174_1628
; %bb.1606:
	s_mov_b32 s42, -1
	s_mov_b32 s44, exec_lo
	v_cmpx_eq_u16_e32 0x80, v2
; %bb.1607:
	s_xor_b32 s42, exec_lo, -1
; %bb.1608:
	s_or_b32 exec_lo, exec_lo, s44
	s_delay_alu instid0(SALU_CYCLE_1)
	s_and_b32 s42, s42, exec_lo
	s_or_saveexec_b32 s43, s43
	v_mov_b32_e32 v3, 0x7f800001
	s_xor_b32 exec_lo, exec_lo, s43
	s_cbranch_execnz .LBB174_1629
.LBB174_1609:
	s_or_b32 exec_lo, exec_lo, s43
	s_and_saveexec_b32 s43, s42
	s_cbranch_execz .LBB174_1611
.LBB174_1610:
	v_and_b32_e32 v3, 0xffff, v2
	s_delay_alu instid0(VALU_DEP_1) | instskip(SKIP_1) | instid1(VALU_DEP_2)
	v_and_b32_e32 v4, 3, v3
	v_bfe_u32 v7, v3, 2, 5
	v_clz_i32_u32_e32 v5, v4
	s_delay_alu instid0(VALU_DEP_2) | instskip(NEXT) | instid1(VALU_DEP_2)
	v_cmp_eq_u32_e32 vcc_lo, 0, v7
	v_min_u32_e32 v5, 32, v5
	s_delay_alu instid0(VALU_DEP_1) | instskip(NEXT) | instid1(VALU_DEP_1)
	v_subrev_nc_u32_e32 v6, 29, v5
	v_dual_lshlrev_b32 v3, v6, v3 :: v_dual_sub_nc_u32 v5, 30, v5
	s_delay_alu instid0(VALU_DEP_1) | instskip(NEXT) | instid1(VALU_DEP_1)
	v_dual_lshlrev_b32 v2, 24, v2 :: v_dual_bitop2_b32 v3, 3, v3 bitop3:0x40
	v_dual_cndmask_b32 v5, v7, v5, vcc_lo :: v_dual_cndmask_b32 v3, v4, v3, vcc_lo
	s_delay_alu instid0(VALU_DEP_2) | instskip(NEXT) | instid1(VALU_DEP_2)
	v_and_b32_e32 v2, 0x80000000, v2
	v_lshl_add_u32 v4, v5, 23, 0x37800000
	s_delay_alu instid0(VALU_DEP_3) | instskip(NEXT) | instid1(VALU_DEP_1)
	v_lshlrev_b32_e32 v3, 21, v3
	v_or3_b32 v3, v2, v4, v3
.LBB174_1611:
	s_or_b32 exec_lo, exec_lo, s43
	s_delay_alu instid0(VALU_DEP_1) | instskip(SKIP_2) | instid1(VALU_DEP_2)
	v_bfe_u32 v2, v3, 16, 1
	v_cmp_o_f32_e32 vcc_lo, v3, v3
	s_mov_b32 s42, 0
	v_add3_u32 v2, v3, v2, 0x7fff
	s_delay_alu instid0(VALU_DEP_1) | instskip(NEXT) | instid1(VALU_DEP_1)
	v_lshrrev_b32_e32 v2, 16, v2
	v_cndmask_b32_e32 v2, 0x7fc0, v2, vcc_lo
	s_branch .LBB174_1617
.LBB174_1612:
	s_mov_b32 s42, -1
                                        ; implicit-def: $vgpr2
	s_branch .LBB174_1623
.LBB174_1613:
	s_or_saveexec_b32 s44, s44
	v_mov_b32_e32 v3, 0x7f800001
	s_xor_b32 exec_lo, exec_lo, s44
	s_cbranch_execz .LBB174_1596
.LBB174_1614:
	v_cmp_ne_u16_e32 vcc_lo, 0, v2
	v_mov_b32_e32 v3, 0
	s_and_not1_b32 s43, s43, exec_lo
	s_and_b32 s45, vcc_lo, exec_lo
	s_delay_alu instid0(SALU_CYCLE_1)
	s_or_b32 s43, s43, s45
	s_or_b32 exec_lo, exec_lo, s44
	s_and_saveexec_b32 s44, s43
	s_cbranch_execnz .LBB174_1597
	s_branch .LBB174_1598
.LBB174_1615:
	s_mov_b32 s42, -1
                                        ; implicit-def: $vgpr2
	s_branch .LBB174_1620
.LBB174_1616:
	s_mov_b32 s42, -1
                                        ; implicit-def: $vgpr2
.LBB174_1617:
	s_delay_alu instid0(SALU_CYCLE_1)
	s_and_b32 vcc_lo, exec_lo, s42
	s_cbranch_vccz .LBB174_1619
; %bb.1618:
	s_wait_loadcnt 0x0
	global_load_u8 v2, v[0:1], off
	s_wait_loadcnt 0x0
	v_lshlrev_b32_e32 v2, 24, v2
	s_delay_alu instid0(VALU_DEP_1) | instskip(NEXT) | instid1(VALU_DEP_1)
	v_and_b32_e32 v3, 0x7f000000, v2
	v_clz_i32_u32_e32 v4, v3
	v_cmp_ne_u32_e32 vcc_lo, 0, v3
	v_add_nc_u32_e32 v6, 0x1000000, v3
	s_delay_alu instid0(VALU_DEP_3) | instskip(NEXT) | instid1(VALU_DEP_1)
	v_min_u32_e32 v4, 32, v4
	v_sub_nc_u32_e64 v4, v4, 4 clamp
	s_delay_alu instid0(VALU_DEP_1) | instskip(NEXT) | instid1(VALU_DEP_1)
	v_dual_lshlrev_b32 v5, v4, v3 :: v_dual_lshlrev_b32 v4, 23, v4
	v_lshrrev_b32_e32 v5, 4, v5
	s_delay_alu instid0(VALU_DEP_1) | instskip(NEXT) | instid1(VALU_DEP_1)
	v_dual_sub_nc_u32 v4, v5, v4 :: v_dual_ashrrev_i32 v5, 8, v6
	v_add_nc_u32_e32 v4, 0x3c000000, v4
	s_delay_alu instid0(VALU_DEP_1) | instskip(NEXT) | instid1(VALU_DEP_1)
	v_and_or_b32 v4, 0x7f800000, v5, v4
	v_cndmask_b32_e32 v3, 0, v4, vcc_lo
	s_delay_alu instid0(VALU_DEP_1) | instskip(SKIP_1) | instid1(VALU_DEP_2)
	v_and_or_b32 v2, 0x80000000, v2, v3
	v_bfe_u32 v3, v3, 16, 1
	v_cmp_o_f32_e32 vcc_lo, v2, v2
	s_delay_alu instid0(VALU_DEP_2) | instskip(NEXT) | instid1(VALU_DEP_1)
	v_add3_u32 v3, v2, v3, 0x7fff
	v_lshrrev_b32_e32 v3, 16, v3
	s_delay_alu instid0(VALU_DEP_1)
	v_cndmask_b32_e32 v2, 0x7fc0, v3, vcc_lo
.LBB174_1619:
	s_mov_b32 s42, 0
.LBB174_1620:
	s_delay_alu instid0(SALU_CYCLE_1)
	s_and_not1_b32 vcc_lo, exec_lo, s42
	s_cbranch_vccnz .LBB174_1622
; %bb.1621:
	s_wait_loadcnt 0x0
	global_load_u8 v2, v[0:1], off
	s_wait_loadcnt 0x0
	v_lshlrev_b32_e32 v3, 25, v2
	v_lshlrev_b16 v2, 8, v2
	s_delay_alu instid0(VALU_DEP_1) | instskip(SKIP_1) | instid1(VALU_DEP_2)
	v_and_or_b32 v5, 0x7f00, v2, 0.5
	v_bfe_i32 v2, v2, 0, 16
	v_dual_add_f32 v5, -0.5, v5 :: v_dual_lshrrev_b32 v4, 4, v3
	v_cmp_gt_u32_e32 vcc_lo, 0x8000000, v3
	s_delay_alu instid0(VALU_DEP_2) | instskip(NEXT) | instid1(VALU_DEP_1)
	v_or_b32_e32 v4, 0x70000000, v4
	v_mul_f32_e32 v4, 0x7800000, v4
	s_delay_alu instid0(VALU_DEP_1) | instskip(NEXT) | instid1(VALU_DEP_1)
	v_cndmask_b32_e32 v3, v4, v5, vcc_lo
	v_and_or_b32 v2, 0x80000000, v2, v3
	v_bfe_u32 v3, v3, 16, 1
	s_delay_alu instid0(VALU_DEP_2) | instskip(NEXT) | instid1(VALU_DEP_2)
	v_cmp_o_f32_e32 vcc_lo, v2, v2
	v_add3_u32 v3, v2, v3, 0x7fff
	s_delay_alu instid0(VALU_DEP_1) | instskip(NEXT) | instid1(VALU_DEP_1)
	v_lshrrev_b32_e32 v3, 16, v3
	v_cndmask_b32_e32 v2, 0x7fc0, v3, vcc_lo
.LBB174_1622:
	s_mov_b32 s42, 0
	s_mov_b32 s43, -1
.LBB174_1623:
	s_and_not1_b32 vcc_lo, exec_lo, s42
	s_mov_b32 s42, 0
	s_cbranch_vccnz .LBB174_1634
; %bb.1624:
	s_cmp_gt_i32 s40, 14
	s_cbranch_scc0 .LBB174_1627
; %bb.1625:
	s_cmp_eq_u32 s40, 15
	s_cbranch_scc0 .LBB174_1630
; %bb.1626:
	s_wait_loadcnt 0x0
	global_load_u16 v2, v[0:1], off
	s_mov_b32 s41, 0
	s_mov_b32 s43, -1
	s_branch .LBB174_1632
.LBB174_1627:
	s_mov_b32 s42, -1
	s_branch .LBB174_1631
.LBB174_1628:
	s_or_saveexec_b32 s43, s43
	v_mov_b32_e32 v3, 0x7f800001
	s_xor_b32 exec_lo, exec_lo, s43
	s_cbranch_execz .LBB174_1609
.LBB174_1629:
	v_cmp_ne_u16_e32 vcc_lo, 0, v2
	v_mov_b32_e32 v3, 0
	s_and_not1_b32 s42, s42, exec_lo
	s_and_b32 s44, vcc_lo, exec_lo
	s_delay_alu instid0(SALU_CYCLE_1)
	s_or_b32 s42, s42, s44
	s_or_b32 exec_lo, exec_lo, s43
	s_and_saveexec_b32 s43, s42
	s_cbranch_execnz .LBB174_1610
	s_branch .LBB174_1611
.LBB174_1630:
	s_mov_b32 s41, -1
.LBB174_1631:
                                        ; implicit-def: $vgpr2
.LBB174_1632:
	s_and_b32 vcc_lo, exec_lo, s42
	s_mov_b32 s42, 0
	s_cbranch_vccz .LBB174_1634
; %bb.1633:
	s_cmp_lg_u32 s40, 11
	s_mov_b32 s42, -1
	s_cselect_b32 s40, -1, 0
	s_and_not1_b32 s41, s41, exec_lo
	s_and_b32 s40, s40, exec_lo
	s_delay_alu instid0(SALU_CYCLE_1)
	s_or_b32 s41, s41, s40
.LBB174_1634:
	s_mov_b32 s40, 0
.LBB174_1635:
	s_and_not1_b32 s44, s36, exec_lo
	s_and_b32 s41, s41, exec_lo
	s_and_b32 s45, s43, exec_lo
	;; [unrolled: 1-line block ×4, first 2 shown]
	s_or_b32 s44, s44, s41
.LBB174_1636:
	s_wait_xcnt 0x0
	s_or_b32 exec_lo, exec_lo, s24
	s_delay_alu instid0(SALU_CYCLE_1)
	s_and_not1_b32 s24, s36, exec_lo
	s_and_b32 s36, s44, exec_lo
	s_and_b32 s42, s45, exec_lo
	;; [unrolled: 1-line block ×4, first 2 shown]
	s_or_b32 s36, s24, s36
.LBB174_1637:
	s_or_b32 exec_lo, exec_lo, s35
	s_delay_alu instid0(SALU_CYCLE_1)
	s_and_not1_b32 s24, s30, exec_lo
	s_and_b32 s30, s39, exec_lo
	s_and_not1_b32 s33, s33, exec_lo
	s_or_b32 s30, s24, s30
	s_and_not1_b32 s24, s31, exec_lo
	s_and_b32 s31, s38, exec_lo
	s_and_b32 s35, s37, exec_lo
	s_or_b32 s31, s24, s31
	s_and_not1_b32 s24, s29, exec_lo
	s_and_b32 s29, s36, exec_lo
	s_or_b32 s33, s33, s35
	s_and_b32 s38, s42, exec_lo
	s_and_b32 s37, s41, exec_lo
	;; [unrolled: 1-line block ×3, first 2 shown]
	s_or_b32 s29, s24, s29
.LBB174_1638:
	s_or_b32 exec_lo, exec_lo, s34
	s_delay_alu instid0(SALU_CYCLE_1)
	s_and_not1_b32 s23, s23, exec_lo
	s_and_b32 s24, s30, exec_lo
	s_and_not1_b32 s26, s26, exec_lo
	s_or_b32 s23, s23, s24
	s_and_not1_b32 s24, s25, exec_lo
	s_and_b32 s25, s31, exec_lo
	s_and_b32 s30, s33, exec_lo
	s_or_b32 s25, s24, s25
	s_and_not1_b32 s24, s27, exec_lo
	s_and_b32 s27, s29, exec_lo
	s_or_b32 s26, s26, s30
	s_and_b32 s30, s38, exec_lo
	s_and_b32 s31, s37, exec_lo
	;; [unrolled: 1-line block ×3, first 2 shown]
	s_or_b32 s27, s24, s27
	s_or_b32 exec_lo, exec_lo, s28
	s_mov_b32 s24, 0
	s_and_saveexec_b32 s28, s27
	s_cbranch_execz .LBB174_522
.LBB174_1639:
	s_mov_b32 s24, exec_lo
	s_and_not1_b32 s29, s29, exec_lo
	s_trap 2
	s_or_b32 exec_lo, exec_lo, s28
	s_and_saveexec_b32 s27, s29
	s_delay_alu instid0(SALU_CYCLE_1)
	s_xor_b32 s27, exec_lo, s27
	s_cbranch_execnz .LBB174_523
.LBB174_1640:
	s_or_b32 exec_lo, exec_lo, s27
	s_and_saveexec_b32 s27, s31
	s_cbranch_execz .LBB174_1686
.LBB174_1641:
	s_sext_i32_i16 s28, s0
	s_delay_alu instid0(SALU_CYCLE_1)
	s_cmp_lt_i32 s28, 5
	s_cbranch_scc1 .LBB174_1646
; %bb.1642:
	s_cmp_lt_i32 s28, 8
	s_cbranch_scc1 .LBB174_1647
; %bb.1643:
	;; [unrolled: 3-line block ×3, first 2 shown]
	s_cmp_gt_i32 s28, 9
	s_cbranch_scc0 .LBB174_1649
; %bb.1645:
	s_wait_loadcnt 0x0
	global_load_b64 v[2:3], v[0:1], off
	s_mov_b32 s28, 0
	s_wait_loadcnt 0x0
	v_cvt_f32_f64_e32 v2, v[2:3]
	s_delay_alu instid0(VALU_DEP_1) | instskip(SKIP_1) | instid1(VALU_DEP_2)
	v_bfe_u32 v3, v2, 16, 1
	v_cmp_o_f32_e32 vcc_lo, v2, v2
	v_add3_u32 v3, v2, v3, 0x7fff
	s_delay_alu instid0(VALU_DEP_1) | instskip(NEXT) | instid1(VALU_DEP_1)
	v_lshrrev_b32_e32 v3, 16, v3
	v_cndmask_b32_e32 v2, 0x7fc0, v3, vcc_lo
	s_branch .LBB174_1650
.LBB174_1646:
                                        ; implicit-def: $vgpr2
	s_branch .LBB174_1667
.LBB174_1647:
                                        ; implicit-def: $vgpr2
	s_branch .LBB174_1656
.LBB174_1648:
	s_mov_b32 s28, -1
                                        ; implicit-def: $vgpr2
	s_branch .LBB174_1653
.LBB174_1649:
	s_mov_b32 s28, -1
                                        ; implicit-def: $vgpr2
.LBB174_1650:
	s_delay_alu instid0(SALU_CYCLE_1)
	s_and_not1_b32 vcc_lo, exec_lo, s28
	s_cbranch_vccnz .LBB174_1652
; %bb.1651:
	s_wait_loadcnt 0x0
	global_load_b32 v2, v[0:1], off
	s_wait_loadcnt 0x0
	v_bfe_u32 v3, v2, 16, 1
	v_cmp_o_f32_e32 vcc_lo, v2, v2
	s_delay_alu instid0(VALU_DEP_2) | instskip(NEXT) | instid1(VALU_DEP_1)
	v_add3_u32 v3, v2, v3, 0x7fff
	v_lshrrev_b32_e32 v3, 16, v3
	s_delay_alu instid0(VALU_DEP_1)
	v_cndmask_b32_e32 v2, 0x7fc0, v3, vcc_lo
.LBB174_1652:
	s_mov_b32 s28, 0
.LBB174_1653:
	s_delay_alu instid0(SALU_CYCLE_1)
	s_and_not1_b32 vcc_lo, exec_lo, s28
	s_cbranch_vccnz .LBB174_1655
; %bb.1654:
	s_wait_loadcnt 0x0
	global_load_b32 v2, v[0:1], off
	s_wait_loadcnt 0x0
	v_cvt_f32_f16_e32 v3, v2
	v_cmp_o_f16_e32 vcc_lo, v2, v2
	s_delay_alu instid0(VALU_DEP_2) | instskip(NEXT) | instid1(VALU_DEP_1)
	v_bfe_u32 v4, v3, 16, 1
	v_add3_u32 v3, v3, v4, 0x7fff
	s_delay_alu instid0(VALU_DEP_1) | instskip(NEXT) | instid1(VALU_DEP_1)
	v_lshrrev_b32_e32 v3, 16, v3
	v_cndmask_b32_e32 v2, 0x7fc0, v3, vcc_lo
.LBB174_1655:
	s_cbranch_execnz .LBB174_1666
.LBB174_1656:
	s_sext_i32_i16 s28, s0
	s_delay_alu instid0(SALU_CYCLE_1)
	s_cmp_lt_i32 s28, 6
	s_cbranch_scc1 .LBB174_1659
; %bb.1657:
	s_cmp_gt_i32 s28, 6
	s_cbranch_scc0 .LBB174_1660
; %bb.1658:
	s_wait_loadcnt 0x0
	global_load_b64 v[2:3], v[0:1], off
	s_mov_b32 s28, 0
	s_wait_loadcnt 0x0
	v_cvt_f32_f64_e32 v2, v[2:3]
	s_delay_alu instid0(VALU_DEP_1) | instskip(SKIP_1) | instid1(VALU_DEP_2)
	v_bfe_u32 v3, v2, 16, 1
	v_cmp_o_f32_e32 vcc_lo, v2, v2
	v_add3_u32 v3, v2, v3, 0x7fff
	s_delay_alu instid0(VALU_DEP_1) | instskip(NEXT) | instid1(VALU_DEP_1)
	v_lshrrev_b32_e32 v3, 16, v3
	v_cndmask_b32_e32 v2, 0x7fc0, v3, vcc_lo
	s_branch .LBB174_1661
.LBB174_1659:
	s_mov_b32 s28, -1
                                        ; implicit-def: $vgpr2
	s_branch .LBB174_1664
.LBB174_1660:
	s_mov_b32 s28, -1
                                        ; implicit-def: $vgpr2
.LBB174_1661:
	s_delay_alu instid0(SALU_CYCLE_1)
	s_and_not1_b32 vcc_lo, exec_lo, s28
	s_cbranch_vccnz .LBB174_1663
; %bb.1662:
	s_wait_loadcnt 0x0
	global_load_b32 v2, v[0:1], off
	s_wait_loadcnt 0x0
	v_bfe_u32 v3, v2, 16, 1
	v_cmp_o_f32_e32 vcc_lo, v2, v2
	s_delay_alu instid0(VALU_DEP_2) | instskip(NEXT) | instid1(VALU_DEP_1)
	v_add3_u32 v3, v2, v3, 0x7fff
	v_lshrrev_b32_e32 v3, 16, v3
	s_delay_alu instid0(VALU_DEP_1)
	v_cndmask_b32_e32 v2, 0x7fc0, v3, vcc_lo
.LBB174_1663:
	s_mov_b32 s28, 0
.LBB174_1664:
	s_delay_alu instid0(SALU_CYCLE_1)
	s_and_not1_b32 vcc_lo, exec_lo, s28
	s_cbranch_vccnz .LBB174_1666
; %bb.1665:
	s_wait_loadcnt 0x0
	global_load_u16 v2, v[0:1], off
	s_wait_loadcnt 0x0
	v_cvt_f32_f16_e32 v3, v2
	v_cmp_o_f16_e32 vcc_lo, v2, v2
	s_delay_alu instid0(VALU_DEP_2) | instskip(NEXT) | instid1(VALU_DEP_1)
	v_bfe_u32 v4, v3, 16, 1
	v_add3_u32 v3, v3, v4, 0x7fff
	s_delay_alu instid0(VALU_DEP_1) | instskip(NEXT) | instid1(VALU_DEP_1)
	v_lshrrev_b32_e32 v3, 16, v3
	v_cndmask_b32_e32 v2, 0x7fc0, v3, vcc_lo
.LBB174_1666:
	s_cbranch_execnz .LBB174_1685
.LBB174_1667:
	s_sext_i32_i16 s28, s0
	s_delay_alu instid0(SALU_CYCLE_1)
	s_cmp_lt_i32 s28, 2
	s_cbranch_scc1 .LBB174_1671
; %bb.1668:
	s_cmp_lt_i32 s28, 3
	s_cbranch_scc1 .LBB174_1672
; %bb.1669:
	s_cmp_gt_i32 s28, 3
	s_cbranch_scc0 .LBB174_1673
; %bb.1670:
	s_wait_loadcnt 0x0
	global_load_b64 v[2:3], v[0:1], off
	s_mov_b32 s28, 0
	s_wait_loadcnt 0x0
	v_xor_b32_e32 v4, v2, v3
	v_cls_i32_e32 v5, v3
	s_delay_alu instid0(VALU_DEP_2) | instskip(NEXT) | instid1(VALU_DEP_1)
	v_ashrrev_i32_e32 v4, 31, v4
	v_add_nc_u32_e32 v4, 32, v4
	s_delay_alu instid0(VALU_DEP_1) | instskip(NEXT) | instid1(VALU_DEP_1)
	v_add_min_u32_e64 v4, v5, -1, v4
	v_lshlrev_b64_e32 v[2:3], v4, v[2:3]
	s_delay_alu instid0(VALU_DEP_1) | instskip(NEXT) | instid1(VALU_DEP_1)
	v_min_u32_e32 v2, 1, v2
	v_dual_sub_nc_u32 v3, 32, v4 :: v_dual_bitop2_b32 v2, v3, v2 bitop3:0x54
	s_delay_alu instid0(VALU_DEP_1) | instskip(NEXT) | instid1(VALU_DEP_1)
	v_cvt_f32_i32_e32 v2, v2
	v_ldexp_f32 v2, v2, v3
	s_delay_alu instid0(VALU_DEP_1) | instskip(NEXT) | instid1(VALU_DEP_1)
	v_bfe_u32 v3, v2, 16, 1
	v_add3_u32 v2, v2, v3, 0x7fff
	s_delay_alu instid0(VALU_DEP_1)
	v_lshrrev_b32_e32 v2, 16, v2
	s_branch .LBB174_1674
.LBB174_1671:
                                        ; implicit-def: $vgpr2
	s_branch .LBB174_1680
.LBB174_1672:
	s_mov_b32 s28, -1
                                        ; implicit-def: $vgpr2
	s_branch .LBB174_1677
.LBB174_1673:
	s_mov_b32 s28, -1
                                        ; implicit-def: $vgpr2
.LBB174_1674:
	s_delay_alu instid0(SALU_CYCLE_1)
	s_and_not1_b32 vcc_lo, exec_lo, s28
	s_cbranch_vccnz .LBB174_1676
; %bb.1675:
	s_wait_loadcnt 0x0
	global_load_b32 v2, v[0:1], off
	s_wait_loadcnt 0x0
	v_cvt_f32_i32_e32 v2, v2
	s_delay_alu instid0(VALU_DEP_1) | instskip(NEXT) | instid1(VALU_DEP_1)
	v_bfe_u32 v3, v2, 16, 1
	v_add3_u32 v2, v2, v3, 0x7fff
	s_delay_alu instid0(VALU_DEP_1)
	v_lshrrev_b32_e32 v2, 16, v2
.LBB174_1676:
	s_mov_b32 s28, 0
.LBB174_1677:
	s_delay_alu instid0(SALU_CYCLE_1)
	s_and_not1_b32 vcc_lo, exec_lo, s28
	s_cbranch_vccnz .LBB174_1679
; %bb.1678:
	s_wait_loadcnt 0x0
	global_load_i16 v2, v[0:1], off
	s_wait_loadcnt 0x0
	v_cvt_f32_i32_e32 v2, v2
	s_delay_alu instid0(VALU_DEP_1) | instskip(NEXT) | instid1(VALU_DEP_1)
	v_bfe_u32 v3, v2, 16, 1
	v_add3_u32 v2, v2, v3, 0x7fff
	s_delay_alu instid0(VALU_DEP_1)
	v_lshrrev_b32_e32 v2, 16, v2
.LBB174_1679:
	s_cbranch_execnz .LBB174_1685
.LBB174_1680:
	s_sext_i32_i16 s0, s0
	s_delay_alu instid0(SALU_CYCLE_1)
	s_cmp_gt_i32 s0, 0
	s_mov_b32 s0, 0
	s_cbranch_scc0 .LBB174_1682
; %bb.1681:
	s_wait_loadcnt 0x0
	global_load_i8 v2, v[0:1], off
	s_wait_loadcnt 0x0
	v_cvt_f32_i32_e32 v2, v2
	s_delay_alu instid0(VALU_DEP_1) | instskip(NEXT) | instid1(VALU_DEP_1)
	v_bfe_u32 v3, v2, 16, 1
	v_add3_u32 v2, v2, v3, 0x7fff
	s_delay_alu instid0(VALU_DEP_1)
	v_lshrrev_b32_e32 v2, 16, v2
	s_branch .LBB174_1683
.LBB174_1682:
	s_mov_b32 s0, -1
                                        ; implicit-def: $vgpr2
.LBB174_1683:
	s_delay_alu instid0(SALU_CYCLE_1)
	s_and_not1_b32 vcc_lo, exec_lo, s0
	s_cbranch_vccnz .LBB174_1685
; %bb.1684:
	global_load_u8 v0, v[0:1], off
	s_wait_loadcnt 0x0
	v_cvt_f32_ubyte0_e32 v0, v0
	s_delay_alu instid0(VALU_DEP_1) | instskip(NEXT) | instid1(VALU_DEP_1)
	v_bfe_u32 v1, v0, 16, 1
	v_add3_u32 v0, v0, v1, 0x7fff
	s_delay_alu instid0(VALU_DEP_1)
	v_lshrrev_b32_e32 v2, 16, v0
.LBB174_1685:
	s_or_b32 s30, s30, exec_lo
.LBB174_1686:
	s_wait_xcnt 0x0
	s_or_b32 exec_lo, exec_lo, s27
	s_mov_b32 s29, 0
	s_mov_b32 s31, 0
	;; [unrolled: 1-line block ×3, first 2 shown]
                                        ; implicit-def: $sgpr0
                                        ; implicit-def: $vgpr0_vgpr1
                                        ; implicit-def: $vgpr3
	s_and_saveexec_b32 s27, s30
	s_cbranch_execz .LBB174_1694
; %bb.1687:
	v_mul_lo_u32 v0, v8, s14
	s_and_b32 s0, s17, 0xff
	s_delay_alu instid0(SALU_CYCLE_1) | instskip(NEXT) | instid1(VALU_DEP_1)
	s_cmp_lt_i32 s0, 11
	v_ashrrev_i32_e32 v1, 31, v0
	s_delay_alu instid0(VALU_DEP_1)
	v_add_nc_u64_e32 v[0:1], s[8:9], v[0:1]
	s_cbranch_scc1 .LBB174_1697
; %bb.1688:
	s_and_b32 s28, 0xffff, s0
	s_mov_b32 s30, 0
	s_cmp_gt_i32 s28, 25
	s_cbranch_scc0 .LBB174_1698
; %bb.1689:
	s_cmp_gt_i32 s28, 28
	s_cbranch_scc0 .LBB174_1699
; %bb.1690:
	;; [unrolled: 3-line block ×4, first 2 shown]
	s_cmp_eq_u32 s28, 46
	s_mov_b32 s33, 0
	s_cbranch_scc0 .LBB174_1702
; %bb.1693:
	s_wait_loadcnt 0x0
	global_load_b32 v3, v[0:1], off
	s_mov_b32 s31, -1
	s_branch .LBB174_1704
.LBB174_1694:
	s_or_b32 exec_lo, exec_lo, s27
	s_and_saveexec_b32 s27, s26
	s_cbranch_execnz .LBB174_1767
.LBB174_1695:
	s_or_b32 exec_lo, exec_lo, s27
	s_and_saveexec_b32 s26, s29
	s_delay_alu instid0(SALU_CYCLE_1)
	s_xor_b32 s26, exec_lo, s26
	s_cbranch_execz .LBB174_1768
.LBB174_1696:
	s_wait_loadcnt 0x0
	global_load_u8 v3, v[0:1], off
	s_or_b32 s28, s28, exec_lo
	s_wait_loadcnt 0x0
	v_cmp_ne_u16_e32 vcc_lo, 0, v3
	v_cndmask_b32_e64 v3, 0, 1.0, vcc_lo
	s_delay_alu instid0(VALU_DEP_1)
	v_lshrrev_b32_e32 v3, 16, v3
	s_wait_xcnt 0x0
	s_or_b32 exec_lo, exec_lo, s26
	s_and_saveexec_b32 s26, s31
	s_cbranch_execz .LBB174_1814
	s_branch .LBB174_1769
.LBB174_1697:
	s_mov_b32 s33, -1
	s_mov_b32 s30, 0
	s_mov_b32 s29, s26
                                        ; implicit-def: $vgpr3
	s_branch .LBB174_1766
.LBB174_1698:
	s_mov_b32 s29, s26
                                        ; implicit-def: $vgpr3
	s_cbranch_execnz .LBB174_1733
	s_branch .LBB174_1765
.LBB174_1699:
	s_mov_b32 s33, -1
	s_mov_b32 s29, s26
                                        ; implicit-def: $vgpr3
	s_branch .LBB174_1714
.LBB174_1700:
	s_mov_b32 s33, -1
	s_mov_b32 s29, s26
                                        ; implicit-def: $vgpr3
	s_branch .LBB174_1709
.LBB174_1701:
	s_mov_b32 s33, -1
	s_mov_b32 s29, s26
	s_branch .LBB174_1703
.LBB174_1702:
	s_mov_b32 s29, -1
.LBB174_1703:
                                        ; implicit-def: $vgpr3
.LBB174_1704:
	s_and_b32 vcc_lo, exec_lo, s33
	s_cbranch_vccz .LBB174_1708
; %bb.1705:
	s_cmp_eq_u32 s28, 44
	s_cbranch_scc0 .LBB174_1707
; %bb.1706:
	s_wait_loadcnt 0x0
	global_load_u8 v3, v[0:1], off
	s_mov_b32 s29, 0
	s_mov_b32 s31, -1
	s_wait_loadcnt 0x0
	v_lshlrev_b32_e32 v4, 23, v3
	v_cmp_ne_u32_e32 vcc_lo, 0xff, v3
	s_delay_alu instid0(VALU_DEP_2) | instskip(SKIP_1) | instid1(VALU_DEP_2)
	v_cndmask_b32_e32 v4, 0x7f800001, v4, vcc_lo
	v_cmp_ne_u32_e32 vcc_lo, 0, v3
	v_cndmask_b32_e32 v3, 0x400000, v4, vcc_lo
	s_delay_alu instid0(VALU_DEP_1) | instskip(NEXT) | instid1(VALU_DEP_1)
	v_add_nc_u32_e32 v4, 0x7fff, v3
	v_lshrrev_b32_e32 v4, 16, v4
	v_cmp_o_f32_e32 vcc_lo, v3, v3
	s_delay_alu instid0(VALU_DEP_2)
	v_cndmask_b32_e32 v3, 0x7fc0, v4, vcc_lo
	s_branch .LBB174_1708
.LBB174_1707:
	s_mov_b32 s29, -1
                                        ; implicit-def: $vgpr3
.LBB174_1708:
	s_mov_b32 s33, 0
.LBB174_1709:
	s_delay_alu instid0(SALU_CYCLE_1)
	s_and_b32 vcc_lo, exec_lo, s33
	s_cbranch_vccz .LBB174_1713
; %bb.1710:
	s_cmp_eq_u32 s28, 29
	s_cbranch_scc0 .LBB174_1712
; %bb.1711:
	s_wait_loadcnt 0x0
	global_load_b64 v[4:5], v[0:1], off
	s_mov_b32 s29, 0
	s_mov_b32 s31, -1
	s_mov_b32 s33, 0
	s_wait_loadcnt 0x0
	v_clz_i32_u32_e32 v3, v5
	s_delay_alu instid0(VALU_DEP_1) | instskip(NEXT) | instid1(VALU_DEP_1)
	v_min_u32_e32 v3, 32, v3
	v_lshlrev_b64_e32 v[4:5], v3, v[4:5]
	v_sub_nc_u32_e32 v3, 32, v3
	s_delay_alu instid0(VALU_DEP_2) | instskip(NEXT) | instid1(VALU_DEP_1)
	v_min_u32_e32 v4, 1, v4
	v_or_b32_e32 v4, v5, v4
	s_delay_alu instid0(VALU_DEP_1) | instskip(NEXT) | instid1(VALU_DEP_1)
	v_cvt_f32_u32_e32 v4, v4
	v_ldexp_f32 v3, v4, v3
	s_delay_alu instid0(VALU_DEP_1) | instskip(NEXT) | instid1(VALU_DEP_1)
	v_bfe_u32 v4, v3, 16, 1
	v_add3_u32 v3, v3, v4, 0x7fff
	s_delay_alu instid0(VALU_DEP_1)
	v_lshrrev_b32_e32 v3, 16, v3
	s_branch .LBB174_1714
.LBB174_1712:
	s_mov_b32 s29, -1
                                        ; implicit-def: $vgpr3
.LBB174_1713:
	s_mov_b32 s33, 0
.LBB174_1714:
	s_delay_alu instid0(SALU_CYCLE_1)
	s_and_b32 vcc_lo, exec_lo, s33
	s_cbranch_vccz .LBB174_1732
; %bb.1715:
	s_cmp_lt_i32 s28, 27
	s_cbranch_scc1 .LBB174_1718
; %bb.1716:
	s_cmp_gt_i32 s28, 27
	s_cbranch_scc0 .LBB174_1719
; %bb.1717:
	s_wait_loadcnt 0x0
	global_load_b32 v3, v[0:1], off
	s_mov_b32 s31, 0
	s_wait_loadcnt 0x0
	v_cvt_f32_u32_e32 v3, v3
	s_delay_alu instid0(VALU_DEP_1) | instskip(NEXT) | instid1(VALU_DEP_1)
	v_bfe_u32 v4, v3, 16, 1
	v_add3_u32 v3, v3, v4, 0x7fff
	s_delay_alu instid0(VALU_DEP_1)
	v_lshrrev_b32_e32 v3, 16, v3
	s_branch .LBB174_1720
.LBB174_1718:
	s_mov_b32 s31, -1
                                        ; implicit-def: $vgpr3
	s_branch .LBB174_1723
.LBB174_1719:
	s_mov_b32 s31, -1
                                        ; implicit-def: $vgpr3
.LBB174_1720:
	s_delay_alu instid0(SALU_CYCLE_1)
	s_and_not1_b32 vcc_lo, exec_lo, s31
	s_cbranch_vccnz .LBB174_1722
; %bb.1721:
	s_wait_loadcnt 0x0
	global_load_u16 v3, v[0:1], off
	s_wait_loadcnt 0x0
	v_cvt_f32_u32_e32 v3, v3
	s_delay_alu instid0(VALU_DEP_1) | instskip(NEXT) | instid1(VALU_DEP_1)
	v_bfe_u32 v4, v3, 16, 1
	v_add3_u32 v3, v3, v4, 0x7fff
	s_delay_alu instid0(VALU_DEP_1)
	v_lshrrev_b32_e32 v3, 16, v3
.LBB174_1722:
	s_mov_b32 s31, 0
.LBB174_1723:
	s_delay_alu instid0(SALU_CYCLE_1)
	s_and_not1_b32 vcc_lo, exec_lo, s31
	s_cbranch_vccnz .LBB174_1731
; %bb.1724:
	s_wait_loadcnt 0x0
	global_load_u8 v3, v[0:1], off
	s_mov_b32 s31, 0
	s_mov_b32 s33, exec_lo
	s_wait_loadcnt 0x0
	v_cmpx_lt_i16_e32 0x7f, v3
	s_xor_b32 s33, exec_lo, s33
	s_cbranch_execz .LBB174_1744
; %bb.1725:
	s_mov_b32 s31, -1
	s_mov_b32 s34, exec_lo
	v_cmpx_eq_u16_e32 0x80, v3
; %bb.1726:
	s_xor_b32 s31, exec_lo, -1
; %bb.1727:
	s_or_b32 exec_lo, exec_lo, s34
	s_delay_alu instid0(SALU_CYCLE_1)
	s_and_b32 s31, s31, exec_lo
	s_or_saveexec_b32 s33, s33
	v_mov_b32_e32 v4, 0x7f800001
	s_xor_b32 exec_lo, exec_lo, s33
	s_cbranch_execnz .LBB174_1745
.LBB174_1728:
	s_or_b32 exec_lo, exec_lo, s33
	s_and_saveexec_b32 s33, s31
	s_cbranch_execz .LBB174_1730
.LBB174_1729:
	v_and_b32_e32 v4, 0xffff, v3
	s_delay_alu instid0(VALU_DEP_1) | instskip(SKIP_1) | instid1(VALU_DEP_2)
	v_and_b32_e32 v5, 7, v4
	v_bfe_u32 v9, v4, 3, 4
	v_clz_i32_u32_e32 v6, v5
	s_delay_alu instid0(VALU_DEP_2) | instskip(NEXT) | instid1(VALU_DEP_2)
	v_cmp_eq_u32_e32 vcc_lo, 0, v9
	v_min_u32_e32 v6, 32, v6
	s_delay_alu instid0(VALU_DEP_1) | instskip(NEXT) | instid1(VALU_DEP_1)
	v_subrev_nc_u32_e32 v7, 28, v6
	v_dual_lshlrev_b32 v4, v7, v4 :: v_dual_sub_nc_u32 v6, 29, v6
	s_delay_alu instid0(VALU_DEP_1) | instskip(NEXT) | instid1(VALU_DEP_2)
	v_dual_lshlrev_b32 v3, 24, v3 :: v_dual_bitop2_b32 v4, 7, v4 bitop3:0x40
	v_cndmask_b32_e32 v6, v9, v6, vcc_lo
	s_delay_alu instid0(VALU_DEP_2) | instskip(NEXT) | instid1(VALU_DEP_3)
	v_cndmask_b32_e32 v4, v5, v4, vcc_lo
	v_and_b32_e32 v3, 0x80000000, v3
	s_delay_alu instid0(VALU_DEP_3) | instskip(NEXT) | instid1(VALU_DEP_3)
	v_lshl_add_u32 v5, v6, 23, 0x3b800000
	v_lshlrev_b32_e32 v4, 20, v4
	s_delay_alu instid0(VALU_DEP_1)
	v_or3_b32 v4, v3, v5, v4
.LBB174_1730:
	s_or_b32 exec_lo, exec_lo, s33
	s_delay_alu instid0(VALU_DEP_1) | instskip(SKIP_1) | instid1(VALU_DEP_2)
	v_bfe_u32 v3, v4, 16, 1
	v_cmp_o_f32_e32 vcc_lo, v4, v4
	v_add3_u32 v3, v4, v3, 0x7fff
	s_delay_alu instid0(VALU_DEP_1) | instskip(NEXT) | instid1(VALU_DEP_1)
	v_lshrrev_b32_e32 v3, 16, v3
	v_cndmask_b32_e32 v3, 0x7fc0, v3, vcc_lo
.LBB174_1731:
	s_mov_b32 s31, -1
.LBB174_1732:
	s_branch .LBB174_1765
.LBB174_1733:
	s_cmp_gt_i32 s28, 22
	s_cbranch_scc0 .LBB174_1743
; %bb.1734:
	s_cmp_lt_i32 s28, 24
	s_cbranch_scc1 .LBB174_1746
; %bb.1735:
	s_cmp_gt_i32 s28, 24
	s_cbranch_scc0 .LBB174_1747
; %bb.1736:
	s_wait_loadcnt 0x0
	global_load_u8 v3, v[0:1], off
	s_mov_b32 s31, exec_lo
	s_wait_loadcnt 0x0
	v_cmpx_lt_i16_e32 0x7f, v3
	s_xor_b32 s31, exec_lo, s31
	s_cbranch_execz .LBB174_1759
; %bb.1737:
	s_mov_b32 s30, -1
	s_mov_b32 s33, exec_lo
	v_cmpx_eq_u16_e32 0x80, v3
; %bb.1738:
	s_xor_b32 s30, exec_lo, -1
; %bb.1739:
	s_or_b32 exec_lo, exec_lo, s33
	s_delay_alu instid0(SALU_CYCLE_1)
	s_and_b32 s30, s30, exec_lo
	s_or_saveexec_b32 s31, s31
	v_mov_b32_e32 v4, 0x7f800001
	s_xor_b32 exec_lo, exec_lo, s31
	s_cbranch_execnz .LBB174_1760
.LBB174_1740:
	s_or_b32 exec_lo, exec_lo, s31
	s_and_saveexec_b32 s31, s30
	s_cbranch_execz .LBB174_1742
.LBB174_1741:
	v_and_b32_e32 v4, 0xffff, v3
	s_delay_alu instid0(VALU_DEP_1) | instskip(SKIP_1) | instid1(VALU_DEP_2)
	v_and_b32_e32 v5, 3, v4
	v_bfe_u32 v9, v4, 2, 5
	v_clz_i32_u32_e32 v6, v5
	s_delay_alu instid0(VALU_DEP_2) | instskip(NEXT) | instid1(VALU_DEP_2)
	v_cmp_eq_u32_e32 vcc_lo, 0, v9
	v_min_u32_e32 v6, 32, v6
	s_delay_alu instid0(VALU_DEP_1) | instskip(NEXT) | instid1(VALU_DEP_1)
	v_subrev_nc_u32_e32 v7, 29, v6
	v_dual_lshlrev_b32 v4, v7, v4 :: v_dual_sub_nc_u32 v6, 30, v6
	s_delay_alu instid0(VALU_DEP_1) | instskip(NEXT) | instid1(VALU_DEP_2)
	v_dual_lshlrev_b32 v3, 24, v3 :: v_dual_bitop2_b32 v4, 3, v4 bitop3:0x40
	v_cndmask_b32_e32 v6, v9, v6, vcc_lo
	s_delay_alu instid0(VALU_DEP_2) | instskip(NEXT) | instid1(VALU_DEP_3)
	v_cndmask_b32_e32 v4, v5, v4, vcc_lo
	v_and_b32_e32 v3, 0x80000000, v3
	s_delay_alu instid0(VALU_DEP_3) | instskip(NEXT) | instid1(VALU_DEP_3)
	v_lshl_add_u32 v5, v6, 23, 0x37800000
	v_lshlrev_b32_e32 v4, 21, v4
	s_delay_alu instid0(VALU_DEP_1)
	v_or3_b32 v4, v3, v5, v4
.LBB174_1742:
	s_or_b32 exec_lo, exec_lo, s31
	s_delay_alu instid0(VALU_DEP_1) | instskip(SKIP_2) | instid1(VALU_DEP_2)
	v_bfe_u32 v3, v4, 16, 1
	v_cmp_o_f32_e32 vcc_lo, v4, v4
	s_mov_b32 s30, 0
	v_add3_u32 v3, v4, v3, 0x7fff
	s_delay_alu instid0(VALU_DEP_1) | instskip(NEXT) | instid1(VALU_DEP_1)
	v_lshrrev_b32_e32 v3, 16, v3
	v_cndmask_b32_e32 v3, 0x7fc0, v3, vcc_lo
	s_branch .LBB174_1748
.LBB174_1743:
	s_mov_b32 s30, -1
                                        ; implicit-def: $vgpr3
	s_branch .LBB174_1754
.LBB174_1744:
	s_or_saveexec_b32 s33, s33
	v_mov_b32_e32 v4, 0x7f800001
	s_xor_b32 exec_lo, exec_lo, s33
	s_cbranch_execz .LBB174_1728
.LBB174_1745:
	v_cmp_ne_u16_e32 vcc_lo, 0, v3
	v_mov_b32_e32 v4, 0
	s_and_not1_b32 s31, s31, exec_lo
	s_and_b32 s34, vcc_lo, exec_lo
	s_delay_alu instid0(SALU_CYCLE_1)
	s_or_b32 s31, s31, s34
	s_or_b32 exec_lo, exec_lo, s33
	s_and_saveexec_b32 s33, s31
	s_cbranch_execnz .LBB174_1729
	s_branch .LBB174_1730
.LBB174_1746:
	s_mov_b32 s30, -1
                                        ; implicit-def: $vgpr3
	s_branch .LBB174_1751
.LBB174_1747:
	s_mov_b32 s30, -1
                                        ; implicit-def: $vgpr3
.LBB174_1748:
	s_delay_alu instid0(SALU_CYCLE_1)
	s_and_b32 vcc_lo, exec_lo, s30
	s_cbranch_vccz .LBB174_1750
; %bb.1749:
	s_wait_loadcnt 0x0
	global_load_u8 v3, v[0:1], off
	s_wait_loadcnt 0x0
	v_lshlrev_b32_e32 v3, 24, v3
	s_delay_alu instid0(VALU_DEP_1) | instskip(NEXT) | instid1(VALU_DEP_1)
	v_and_b32_e32 v4, 0x7f000000, v3
	v_clz_i32_u32_e32 v5, v4
	v_cmp_ne_u32_e32 vcc_lo, 0, v4
	v_add_nc_u32_e32 v7, 0x1000000, v4
	s_delay_alu instid0(VALU_DEP_3) | instskip(NEXT) | instid1(VALU_DEP_1)
	v_min_u32_e32 v5, 32, v5
	v_sub_nc_u32_e64 v5, v5, 4 clamp
	s_delay_alu instid0(VALU_DEP_1) | instskip(NEXT) | instid1(VALU_DEP_1)
	v_dual_lshlrev_b32 v6, v5, v4 :: v_dual_lshlrev_b32 v5, 23, v5
	v_lshrrev_b32_e32 v6, 4, v6
	s_delay_alu instid0(VALU_DEP_1) | instskip(NEXT) | instid1(VALU_DEP_1)
	v_dual_sub_nc_u32 v5, v6, v5 :: v_dual_ashrrev_i32 v6, 8, v7
	v_add_nc_u32_e32 v5, 0x3c000000, v5
	s_delay_alu instid0(VALU_DEP_1) | instskip(NEXT) | instid1(VALU_DEP_1)
	v_and_or_b32 v5, 0x7f800000, v6, v5
	v_cndmask_b32_e32 v4, 0, v5, vcc_lo
	s_delay_alu instid0(VALU_DEP_1) | instskip(SKIP_1) | instid1(VALU_DEP_2)
	v_and_or_b32 v3, 0x80000000, v3, v4
	v_bfe_u32 v4, v4, 16, 1
	v_cmp_o_f32_e32 vcc_lo, v3, v3
	s_delay_alu instid0(VALU_DEP_2) | instskip(NEXT) | instid1(VALU_DEP_1)
	v_add3_u32 v4, v3, v4, 0x7fff
	v_lshrrev_b32_e32 v4, 16, v4
	s_delay_alu instid0(VALU_DEP_1)
	v_cndmask_b32_e32 v3, 0x7fc0, v4, vcc_lo
.LBB174_1750:
	s_mov_b32 s30, 0
.LBB174_1751:
	s_delay_alu instid0(SALU_CYCLE_1)
	s_and_not1_b32 vcc_lo, exec_lo, s30
	s_cbranch_vccnz .LBB174_1753
; %bb.1752:
	s_wait_loadcnt 0x0
	global_load_u8 v3, v[0:1], off
	s_wait_loadcnt 0x0
	v_lshlrev_b32_e32 v4, 25, v3
	v_lshlrev_b16 v3, 8, v3
	s_delay_alu instid0(VALU_DEP_1) | instskip(SKIP_1) | instid1(VALU_DEP_2)
	v_and_or_b32 v6, 0x7f00, v3, 0.5
	v_bfe_i32 v3, v3, 0, 16
	v_dual_add_f32 v6, -0.5, v6 :: v_dual_lshrrev_b32 v5, 4, v4
	v_cmp_gt_u32_e32 vcc_lo, 0x8000000, v4
	s_delay_alu instid0(VALU_DEP_2) | instskip(NEXT) | instid1(VALU_DEP_1)
	v_or_b32_e32 v5, 0x70000000, v5
	v_mul_f32_e32 v5, 0x7800000, v5
	s_delay_alu instid0(VALU_DEP_1) | instskip(NEXT) | instid1(VALU_DEP_1)
	v_cndmask_b32_e32 v4, v5, v6, vcc_lo
	v_and_or_b32 v3, 0x80000000, v3, v4
	v_bfe_u32 v4, v4, 16, 1
	s_delay_alu instid0(VALU_DEP_2) | instskip(NEXT) | instid1(VALU_DEP_2)
	v_cmp_o_f32_e32 vcc_lo, v3, v3
	v_add3_u32 v4, v3, v4, 0x7fff
	s_delay_alu instid0(VALU_DEP_1) | instskip(NEXT) | instid1(VALU_DEP_1)
	v_lshrrev_b32_e32 v4, 16, v4
	v_cndmask_b32_e32 v3, 0x7fc0, v4, vcc_lo
.LBB174_1753:
	s_mov_b32 s30, 0
	s_mov_b32 s31, -1
.LBB174_1754:
	s_and_not1_b32 vcc_lo, exec_lo, s30
	s_mov_b32 s30, 0
	s_cbranch_vccnz .LBB174_1765
; %bb.1755:
	s_cmp_gt_i32 s28, 14
	s_cbranch_scc0 .LBB174_1758
; %bb.1756:
	s_cmp_eq_u32 s28, 15
	s_cbranch_scc0 .LBB174_1761
; %bb.1757:
	s_wait_loadcnt 0x0
	global_load_u16 v3, v[0:1], off
	s_mov_b32 s29, 0
	s_mov_b32 s31, -1
	s_branch .LBB174_1763
.LBB174_1758:
	s_mov_b32 s30, -1
	s_branch .LBB174_1762
.LBB174_1759:
	s_or_saveexec_b32 s31, s31
	v_mov_b32_e32 v4, 0x7f800001
	s_xor_b32 exec_lo, exec_lo, s31
	s_cbranch_execz .LBB174_1740
.LBB174_1760:
	v_cmp_ne_u16_e32 vcc_lo, 0, v3
	v_mov_b32_e32 v4, 0
	s_and_not1_b32 s30, s30, exec_lo
	s_and_b32 s33, vcc_lo, exec_lo
	s_delay_alu instid0(SALU_CYCLE_1)
	s_or_b32 s30, s30, s33
	s_or_b32 exec_lo, exec_lo, s31
	s_and_saveexec_b32 s31, s30
	s_cbranch_execnz .LBB174_1741
	s_branch .LBB174_1742
.LBB174_1761:
	s_mov_b32 s29, -1
.LBB174_1762:
                                        ; implicit-def: $vgpr3
.LBB174_1763:
	s_and_b32 vcc_lo, exec_lo, s30
	s_mov_b32 s30, 0
	s_cbranch_vccz .LBB174_1765
; %bb.1764:
	s_cmp_lg_u32 s28, 11
	s_mov_b32 s30, -1
	s_cselect_b32 s28, -1, 0
	s_and_not1_b32 s29, s29, exec_lo
	s_and_b32 s28, s28, exec_lo
	s_delay_alu instid0(SALU_CYCLE_1)
	s_or_b32 s29, s29, s28
.LBB174_1765:
	s_mov_b32 s33, 0
.LBB174_1766:
	s_and_b32 s28, s31, exec_lo
	s_and_b32 s31, s33, exec_lo
	s_and_not1_b32 s26, s26, exec_lo
	s_and_b32 s33, s29, exec_lo
	s_and_b32 s29, s30, exec_lo
	s_or_b32 s26, s26, s33
	s_wait_xcnt 0x0
	s_or_b32 exec_lo, exec_lo, s27
	s_and_saveexec_b32 s27, s26
	s_cbranch_execz .LBB174_1695
.LBB174_1767:
	s_or_b32 s24, s24, exec_lo
	s_and_not1_b32 s29, s29, exec_lo
	s_trap 2
	s_or_b32 exec_lo, exec_lo, s27
	s_and_saveexec_b32 s26, s29
	s_delay_alu instid0(SALU_CYCLE_1)
	s_xor_b32 s26, exec_lo, s26
	s_cbranch_execnz .LBB174_1696
.LBB174_1768:
	s_or_b32 exec_lo, exec_lo, s26
	s_and_saveexec_b32 s26, s31
	s_cbranch_execz .LBB174_1814
.LBB174_1769:
	s_sext_i32_i16 s27, s0
	s_delay_alu instid0(SALU_CYCLE_1)
	s_cmp_lt_i32 s27, 5
	s_cbranch_scc1 .LBB174_1774
; %bb.1770:
	s_cmp_lt_i32 s27, 8
	s_cbranch_scc1 .LBB174_1775
; %bb.1771:
	;; [unrolled: 3-line block ×3, first 2 shown]
	s_cmp_gt_i32 s27, 9
	s_cbranch_scc0 .LBB174_1777
; %bb.1773:
	s_wait_loadcnt 0x0
	global_load_b64 v[4:5], v[0:1], off
	s_mov_b32 s27, 0
	s_wait_loadcnt 0x0
	v_cvt_f32_f64_e32 v3, v[4:5]
	s_delay_alu instid0(VALU_DEP_1) | instskip(SKIP_1) | instid1(VALU_DEP_2)
	v_bfe_u32 v4, v3, 16, 1
	v_cmp_o_f32_e32 vcc_lo, v3, v3
	v_add3_u32 v4, v3, v4, 0x7fff
	s_delay_alu instid0(VALU_DEP_1) | instskip(NEXT) | instid1(VALU_DEP_1)
	v_lshrrev_b32_e32 v4, 16, v4
	v_cndmask_b32_e32 v3, 0x7fc0, v4, vcc_lo
	s_branch .LBB174_1778
.LBB174_1774:
                                        ; implicit-def: $vgpr3
	s_branch .LBB174_1795
.LBB174_1775:
                                        ; implicit-def: $vgpr3
	s_branch .LBB174_1784
.LBB174_1776:
	s_mov_b32 s27, -1
                                        ; implicit-def: $vgpr3
	s_branch .LBB174_1781
.LBB174_1777:
	s_mov_b32 s27, -1
                                        ; implicit-def: $vgpr3
.LBB174_1778:
	s_delay_alu instid0(SALU_CYCLE_1)
	s_and_not1_b32 vcc_lo, exec_lo, s27
	s_cbranch_vccnz .LBB174_1780
; %bb.1779:
	s_wait_loadcnt 0x0
	global_load_b32 v3, v[0:1], off
	s_wait_loadcnt 0x0
	v_bfe_u32 v4, v3, 16, 1
	v_cmp_o_f32_e32 vcc_lo, v3, v3
	s_delay_alu instid0(VALU_DEP_2) | instskip(NEXT) | instid1(VALU_DEP_1)
	v_add3_u32 v4, v3, v4, 0x7fff
	v_lshrrev_b32_e32 v4, 16, v4
	s_delay_alu instid0(VALU_DEP_1)
	v_cndmask_b32_e32 v3, 0x7fc0, v4, vcc_lo
.LBB174_1780:
	s_mov_b32 s27, 0
.LBB174_1781:
	s_delay_alu instid0(SALU_CYCLE_1)
	s_and_not1_b32 vcc_lo, exec_lo, s27
	s_cbranch_vccnz .LBB174_1783
; %bb.1782:
	s_wait_loadcnt 0x0
	global_load_b32 v3, v[0:1], off
	s_wait_loadcnt 0x0
	v_cvt_f32_f16_e32 v4, v3
	v_cmp_o_f16_e32 vcc_lo, v3, v3
	s_delay_alu instid0(VALU_DEP_2) | instskip(NEXT) | instid1(VALU_DEP_1)
	v_bfe_u32 v5, v4, 16, 1
	v_add3_u32 v4, v4, v5, 0x7fff
	s_delay_alu instid0(VALU_DEP_1) | instskip(NEXT) | instid1(VALU_DEP_1)
	v_lshrrev_b32_e32 v4, 16, v4
	v_cndmask_b32_e32 v3, 0x7fc0, v4, vcc_lo
.LBB174_1783:
	s_cbranch_execnz .LBB174_1794
.LBB174_1784:
	s_sext_i32_i16 s27, s0
	s_delay_alu instid0(SALU_CYCLE_1)
	s_cmp_lt_i32 s27, 6
	s_cbranch_scc1 .LBB174_1787
; %bb.1785:
	s_cmp_gt_i32 s27, 6
	s_cbranch_scc0 .LBB174_1788
; %bb.1786:
	s_wait_loadcnt 0x0
	global_load_b64 v[4:5], v[0:1], off
	s_mov_b32 s27, 0
	s_wait_loadcnt 0x0
	v_cvt_f32_f64_e32 v3, v[4:5]
	s_delay_alu instid0(VALU_DEP_1) | instskip(SKIP_1) | instid1(VALU_DEP_2)
	v_bfe_u32 v4, v3, 16, 1
	v_cmp_o_f32_e32 vcc_lo, v3, v3
	v_add3_u32 v4, v3, v4, 0x7fff
	s_delay_alu instid0(VALU_DEP_1) | instskip(NEXT) | instid1(VALU_DEP_1)
	v_lshrrev_b32_e32 v4, 16, v4
	v_cndmask_b32_e32 v3, 0x7fc0, v4, vcc_lo
	s_branch .LBB174_1789
.LBB174_1787:
	s_mov_b32 s27, -1
                                        ; implicit-def: $vgpr3
	s_branch .LBB174_1792
.LBB174_1788:
	s_mov_b32 s27, -1
                                        ; implicit-def: $vgpr3
.LBB174_1789:
	s_delay_alu instid0(SALU_CYCLE_1)
	s_and_not1_b32 vcc_lo, exec_lo, s27
	s_cbranch_vccnz .LBB174_1791
; %bb.1790:
	s_wait_loadcnt 0x0
	global_load_b32 v3, v[0:1], off
	s_wait_loadcnt 0x0
	v_bfe_u32 v4, v3, 16, 1
	v_cmp_o_f32_e32 vcc_lo, v3, v3
	s_delay_alu instid0(VALU_DEP_2) | instskip(NEXT) | instid1(VALU_DEP_1)
	v_add3_u32 v4, v3, v4, 0x7fff
	v_lshrrev_b32_e32 v4, 16, v4
	s_delay_alu instid0(VALU_DEP_1)
	v_cndmask_b32_e32 v3, 0x7fc0, v4, vcc_lo
.LBB174_1791:
	s_mov_b32 s27, 0
.LBB174_1792:
	s_delay_alu instid0(SALU_CYCLE_1)
	s_and_not1_b32 vcc_lo, exec_lo, s27
	s_cbranch_vccnz .LBB174_1794
; %bb.1793:
	s_wait_loadcnt 0x0
	global_load_u16 v3, v[0:1], off
	s_wait_loadcnt 0x0
	v_cvt_f32_f16_e32 v4, v3
	v_cmp_o_f16_e32 vcc_lo, v3, v3
	s_delay_alu instid0(VALU_DEP_2) | instskip(NEXT) | instid1(VALU_DEP_1)
	v_bfe_u32 v5, v4, 16, 1
	v_add3_u32 v4, v4, v5, 0x7fff
	s_delay_alu instid0(VALU_DEP_1) | instskip(NEXT) | instid1(VALU_DEP_1)
	v_lshrrev_b32_e32 v4, 16, v4
	v_cndmask_b32_e32 v3, 0x7fc0, v4, vcc_lo
.LBB174_1794:
	s_cbranch_execnz .LBB174_1813
.LBB174_1795:
	s_sext_i32_i16 s27, s0
	s_delay_alu instid0(SALU_CYCLE_1)
	s_cmp_lt_i32 s27, 2
	s_cbranch_scc1 .LBB174_1799
; %bb.1796:
	s_cmp_lt_i32 s27, 3
	s_cbranch_scc1 .LBB174_1800
; %bb.1797:
	s_cmp_gt_i32 s27, 3
	s_cbranch_scc0 .LBB174_1801
; %bb.1798:
	s_wait_loadcnt 0x0
	global_load_b64 v[4:5], v[0:1], off
	s_mov_b32 s27, 0
	s_wait_loadcnt 0x0
	v_xor_b32_e32 v3, v4, v5
	v_cls_i32_e32 v6, v5
	s_delay_alu instid0(VALU_DEP_2) | instskip(NEXT) | instid1(VALU_DEP_1)
	v_ashrrev_i32_e32 v3, 31, v3
	v_add_nc_u32_e32 v3, 32, v3
	s_delay_alu instid0(VALU_DEP_1) | instskip(NEXT) | instid1(VALU_DEP_1)
	v_add_min_u32_e64 v3, v6, -1, v3
	v_lshlrev_b64_e32 v[4:5], v3, v[4:5]
	v_sub_nc_u32_e32 v3, 32, v3
	s_delay_alu instid0(VALU_DEP_2) | instskip(NEXT) | instid1(VALU_DEP_1)
	v_min_u32_e32 v4, 1, v4
	v_or_b32_e32 v4, v5, v4
	s_delay_alu instid0(VALU_DEP_1) | instskip(NEXT) | instid1(VALU_DEP_1)
	v_cvt_f32_i32_e32 v4, v4
	v_ldexp_f32 v3, v4, v3
	s_delay_alu instid0(VALU_DEP_1) | instskip(NEXT) | instid1(VALU_DEP_1)
	v_bfe_u32 v4, v3, 16, 1
	v_add3_u32 v3, v3, v4, 0x7fff
	s_delay_alu instid0(VALU_DEP_1)
	v_lshrrev_b32_e32 v3, 16, v3
	s_branch .LBB174_1802
.LBB174_1799:
                                        ; implicit-def: $vgpr3
	s_branch .LBB174_1808
.LBB174_1800:
	s_mov_b32 s27, -1
                                        ; implicit-def: $vgpr3
	s_branch .LBB174_1805
.LBB174_1801:
	s_mov_b32 s27, -1
                                        ; implicit-def: $vgpr3
.LBB174_1802:
	s_delay_alu instid0(SALU_CYCLE_1)
	s_and_not1_b32 vcc_lo, exec_lo, s27
	s_cbranch_vccnz .LBB174_1804
; %bb.1803:
	s_wait_loadcnt 0x0
	global_load_b32 v3, v[0:1], off
	s_wait_loadcnt 0x0
	v_cvt_f32_i32_e32 v3, v3
	s_delay_alu instid0(VALU_DEP_1) | instskip(NEXT) | instid1(VALU_DEP_1)
	v_bfe_u32 v4, v3, 16, 1
	v_add3_u32 v3, v3, v4, 0x7fff
	s_delay_alu instid0(VALU_DEP_1)
	v_lshrrev_b32_e32 v3, 16, v3
.LBB174_1804:
	s_mov_b32 s27, 0
.LBB174_1805:
	s_delay_alu instid0(SALU_CYCLE_1)
	s_and_not1_b32 vcc_lo, exec_lo, s27
	s_cbranch_vccnz .LBB174_1807
; %bb.1806:
	s_wait_loadcnt 0x0
	global_load_i16 v3, v[0:1], off
	s_wait_loadcnt 0x0
	v_cvt_f32_i32_e32 v3, v3
	s_delay_alu instid0(VALU_DEP_1) | instskip(NEXT) | instid1(VALU_DEP_1)
	v_bfe_u32 v4, v3, 16, 1
	v_add3_u32 v3, v3, v4, 0x7fff
	s_delay_alu instid0(VALU_DEP_1)
	v_lshrrev_b32_e32 v3, 16, v3
.LBB174_1807:
	s_cbranch_execnz .LBB174_1813
.LBB174_1808:
	s_sext_i32_i16 s0, s0
	s_delay_alu instid0(SALU_CYCLE_1)
	s_cmp_gt_i32 s0, 0
	s_mov_b32 s0, 0
	s_cbranch_scc0 .LBB174_1810
; %bb.1809:
	s_wait_loadcnt 0x0
	global_load_i8 v3, v[0:1], off
	s_wait_loadcnt 0x0
	v_cvt_f32_i32_e32 v3, v3
	s_delay_alu instid0(VALU_DEP_1) | instskip(NEXT) | instid1(VALU_DEP_1)
	v_bfe_u32 v4, v3, 16, 1
	v_add3_u32 v3, v3, v4, 0x7fff
	s_delay_alu instid0(VALU_DEP_1)
	v_lshrrev_b32_e32 v3, 16, v3
	s_branch .LBB174_1811
.LBB174_1810:
	s_mov_b32 s0, -1
                                        ; implicit-def: $vgpr3
.LBB174_1811:
	s_delay_alu instid0(SALU_CYCLE_1)
	s_and_not1_b32 vcc_lo, exec_lo, s0
	s_cbranch_vccnz .LBB174_1813
; %bb.1812:
	global_load_u8 v0, v[0:1], off
	s_wait_loadcnt 0x0
	v_cvt_f32_ubyte0_e32 v0, v0
	s_delay_alu instid0(VALU_DEP_1) | instskip(NEXT) | instid1(VALU_DEP_1)
	v_bfe_u32 v1, v0, 16, 1
	v_add3_u32 v0, v0, v1, 0x7fff
	s_delay_alu instid0(VALU_DEP_1)
	v_lshrrev_b32_e32 v3, 16, v0
.LBB174_1813:
	s_or_b32 s28, s28, exec_lo
.LBB174_1814:
	s_wait_xcnt 0x0
	s_or_b32 exec_lo, exec_lo, s26
	s_mov_b32 s27, 0
	s_mov_b32 s26, 0
	;; [unrolled: 1-line block ×3, first 2 shown]
                                        ; implicit-def: $vgpr0_vgpr1
                                        ; implicit-def: $vgpr5
	s_and_saveexec_b32 s0, s28
	s_cbranch_execz .LBB174_1822
; %bb.1815:
	v_mul_lo_u32 v0, v8, s15
	s_and_b32 s26, 0xffff, s2
	s_delay_alu instid0(SALU_CYCLE_1) | instskip(NEXT) | instid1(VALU_DEP_1)
	s_cmp_lt_i32 s26, 11
	v_ashrrev_i32_e32 v1, 31, v0
	s_delay_alu instid0(VALU_DEP_1)
	v_add_nc_u64_e32 v[0:1], s[10:11], v[0:1]
	s_cbranch_scc1 .LBB174_1825
; %bb.1816:
	s_cmp_gt_i32 s26, 25
	s_mov_b32 s28, 0
	s_cbranch_scc0 .LBB174_1826
; %bb.1817:
	s_cmp_gt_i32 s26, 28
	s_cbranch_scc0 .LBB174_1827
; %bb.1818:
	s_cmp_gt_i32 s26, 43
	;; [unrolled: 3-line block ×3, first 2 shown]
	s_cbranch_scc0 .LBB174_1829
; %bb.1820:
	s_cmp_eq_u32 s26, 46
	s_mov_b32 s30, 0
	s_cbranch_scc0 .LBB174_1830
; %bb.1821:
	global_load_b32 v5, v[0:1], off
	s_mov_b32 s29, -1
	s_branch .LBB174_1832
.LBB174_1822:
	s_or_b32 exec_lo, exec_lo, s0
	s_and_saveexec_b32 s0, s25
	s_cbranch_execnz .LBB174_1895
.LBB174_1823:
	s_or_b32 exec_lo, exec_lo, s0
	s_and_saveexec_b32 s0, s27
	s_delay_alu instid0(SALU_CYCLE_1)
	s_xor_b32 s0, exec_lo, s0
	s_cbranch_execz .LBB174_1896
.LBB174_1824:
	s_wait_loadcnt 0x0
	global_load_u8 v4, v[0:1], off
	s_or_b32 s29, s29, exec_lo
	s_wait_loadcnt 0x0
	v_cmp_ne_u16_e32 vcc_lo, 0, v4
	v_cndmask_b32_e64 v4, 0, 1.0, vcc_lo
	s_delay_alu instid0(VALU_DEP_1)
	v_lshrrev_b32_e32 v5, 16, v4
	s_wait_xcnt 0x0
	s_or_b32 exec_lo, exec_lo, s0
	s_and_saveexec_b32 s0, s26
	s_cbranch_execz .LBB174_1942
	s_branch .LBB174_1897
.LBB174_1825:
	s_mov_b32 s26, -1
	s_mov_b32 s28, 0
	s_mov_b32 s27, s25
                                        ; implicit-def: $vgpr5
	s_branch .LBB174_1894
.LBB174_1826:
	s_mov_b32 s27, s25
                                        ; implicit-def: $vgpr5
	s_cbranch_execnz .LBB174_1861
	s_branch .LBB174_1893
.LBB174_1827:
	s_mov_b32 s30, -1
	s_mov_b32 s27, s25
                                        ; implicit-def: $vgpr5
	s_branch .LBB174_1842
.LBB174_1828:
	s_mov_b32 s30, -1
	s_mov_b32 s27, s25
                                        ; implicit-def: $vgpr5
	s_branch .LBB174_1837
.LBB174_1829:
	s_mov_b32 s30, -1
	s_mov_b32 s27, s25
	s_branch .LBB174_1831
.LBB174_1830:
	s_mov_b32 s27, -1
.LBB174_1831:
                                        ; implicit-def: $vgpr5
.LBB174_1832:
	s_and_b32 vcc_lo, exec_lo, s30
	s_cbranch_vccz .LBB174_1836
; %bb.1833:
	s_cmp_eq_u32 s26, 44
	s_cbranch_scc0 .LBB174_1835
; %bb.1834:
	s_wait_loadcnt 0x0
	global_load_u8 v4, v[0:1], off
	s_mov_b32 s27, 0
	s_mov_b32 s29, -1
	s_wait_loadcnt 0x0
	v_lshlrev_b32_e32 v5, 23, v4
	v_cmp_ne_u32_e32 vcc_lo, 0xff, v4
	s_delay_alu instid0(VALU_DEP_2) | instskip(SKIP_1) | instid1(VALU_DEP_2)
	v_cndmask_b32_e32 v5, 0x7f800001, v5, vcc_lo
	v_cmp_ne_u32_e32 vcc_lo, 0, v4
	v_cndmask_b32_e32 v4, 0x400000, v5, vcc_lo
	s_delay_alu instid0(VALU_DEP_1) | instskip(NEXT) | instid1(VALU_DEP_1)
	v_add_nc_u32_e32 v5, 0x7fff, v4
	v_lshrrev_b32_e32 v5, 16, v5
	v_cmp_o_f32_e32 vcc_lo, v4, v4
	s_delay_alu instid0(VALU_DEP_2)
	v_cndmask_b32_e32 v5, 0x7fc0, v5, vcc_lo
	s_branch .LBB174_1836
.LBB174_1835:
	s_mov_b32 s27, -1
                                        ; implicit-def: $vgpr5
.LBB174_1836:
	s_mov_b32 s30, 0
.LBB174_1837:
	s_delay_alu instid0(SALU_CYCLE_1)
	s_and_b32 vcc_lo, exec_lo, s30
	s_cbranch_vccz .LBB174_1841
; %bb.1838:
	s_cmp_eq_u32 s26, 29
	s_cbranch_scc0 .LBB174_1840
; %bb.1839:
	s_wait_loadcnt 0x0
	global_load_b64 v[4:5], v[0:1], off
	s_mov_b32 s27, 0
	s_mov_b32 s29, -1
	s_mov_b32 s30, 0
	s_wait_loadcnt 0x0
	v_clz_i32_u32_e32 v6, v5
	s_delay_alu instid0(VALU_DEP_1) | instskip(NEXT) | instid1(VALU_DEP_1)
	v_min_u32_e32 v6, 32, v6
	v_lshlrev_b64_e32 v[4:5], v6, v[4:5]
	s_delay_alu instid0(VALU_DEP_1) | instskip(NEXT) | instid1(VALU_DEP_1)
	v_min_u32_e32 v4, 1, v4
	v_dual_sub_nc_u32 v5, 32, v6 :: v_dual_bitop2_b32 v4, v5, v4 bitop3:0x54
	s_delay_alu instid0(VALU_DEP_1) | instskip(NEXT) | instid1(VALU_DEP_1)
	v_cvt_f32_u32_e32 v4, v4
	v_ldexp_f32 v4, v4, v5
	s_delay_alu instid0(VALU_DEP_1) | instskip(NEXT) | instid1(VALU_DEP_1)
	v_bfe_u32 v5, v4, 16, 1
	v_add3_u32 v4, v4, v5, 0x7fff
	s_delay_alu instid0(VALU_DEP_1)
	v_lshrrev_b32_e32 v5, 16, v4
	s_branch .LBB174_1842
.LBB174_1840:
	s_mov_b32 s27, -1
                                        ; implicit-def: $vgpr5
.LBB174_1841:
	s_mov_b32 s30, 0
.LBB174_1842:
	s_delay_alu instid0(SALU_CYCLE_1)
	s_and_b32 vcc_lo, exec_lo, s30
	s_cbranch_vccz .LBB174_1860
; %bb.1843:
	s_cmp_lt_i32 s26, 27
	s_cbranch_scc1 .LBB174_1846
; %bb.1844:
	s_cmp_gt_i32 s26, 27
	s_cbranch_scc0 .LBB174_1847
; %bb.1845:
	s_wait_loadcnt 0x0
	global_load_b32 v4, v[0:1], off
	s_mov_b32 s29, 0
	s_wait_loadcnt 0x0
	v_cvt_f32_u32_e32 v4, v4
	s_delay_alu instid0(VALU_DEP_1) | instskip(NEXT) | instid1(VALU_DEP_1)
	v_bfe_u32 v5, v4, 16, 1
	v_add3_u32 v4, v4, v5, 0x7fff
	s_delay_alu instid0(VALU_DEP_1)
	v_lshrrev_b32_e32 v5, 16, v4
	s_branch .LBB174_1848
.LBB174_1846:
	s_mov_b32 s29, -1
                                        ; implicit-def: $vgpr5
	s_branch .LBB174_1851
.LBB174_1847:
	s_mov_b32 s29, -1
                                        ; implicit-def: $vgpr5
.LBB174_1848:
	s_delay_alu instid0(SALU_CYCLE_1)
	s_and_not1_b32 vcc_lo, exec_lo, s29
	s_cbranch_vccnz .LBB174_1850
; %bb.1849:
	s_wait_loadcnt 0x0
	global_load_u16 v4, v[0:1], off
	s_wait_loadcnt 0x0
	v_cvt_f32_u32_e32 v4, v4
	s_delay_alu instid0(VALU_DEP_1) | instskip(NEXT) | instid1(VALU_DEP_1)
	v_bfe_u32 v5, v4, 16, 1
	v_add3_u32 v4, v4, v5, 0x7fff
	s_delay_alu instid0(VALU_DEP_1)
	v_lshrrev_b32_e32 v5, 16, v4
.LBB174_1850:
	s_mov_b32 s29, 0
.LBB174_1851:
	s_delay_alu instid0(SALU_CYCLE_1)
	s_and_not1_b32 vcc_lo, exec_lo, s29
	s_cbranch_vccnz .LBB174_1859
; %bb.1852:
	s_wait_loadcnt 0x0
	global_load_u8 v4, v[0:1], off
	s_mov_b32 s29, 0
	s_mov_b32 s30, exec_lo
	s_wait_loadcnt 0x0
	v_cmpx_lt_i16_e32 0x7f, v4
	s_xor_b32 s30, exec_lo, s30
	s_cbranch_execz .LBB174_1872
; %bb.1853:
	s_mov_b32 s29, -1
	s_mov_b32 s31, exec_lo
	v_cmpx_eq_u16_e32 0x80, v4
; %bb.1854:
	s_xor_b32 s29, exec_lo, -1
; %bb.1855:
	s_or_b32 exec_lo, exec_lo, s31
	s_delay_alu instid0(SALU_CYCLE_1)
	s_and_b32 s29, s29, exec_lo
	s_or_saveexec_b32 s30, s30
	v_mov_b32_e32 v5, 0x7f800001
	s_xor_b32 exec_lo, exec_lo, s30
	s_cbranch_execnz .LBB174_1873
.LBB174_1856:
	s_or_b32 exec_lo, exec_lo, s30
	s_and_saveexec_b32 s30, s29
	s_cbranch_execz .LBB174_1858
.LBB174_1857:
	v_and_b32_e32 v5, 0xffff, v4
	s_delay_alu instid0(VALU_DEP_1) | instskip(SKIP_1) | instid1(VALU_DEP_2)
	v_and_b32_e32 v6, 7, v5
	v_bfe_u32 v10, v5, 3, 4
	v_clz_i32_u32_e32 v7, v6
	s_delay_alu instid0(VALU_DEP_2) | instskip(NEXT) | instid1(VALU_DEP_2)
	v_cmp_eq_u32_e32 vcc_lo, 0, v10
	v_min_u32_e32 v7, 32, v7
	s_delay_alu instid0(VALU_DEP_1) | instskip(NEXT) | instid1(VALU_DEP_1)
	v_subrev_nc_u32_e32 v9, 28, v7
	v_dual_lshlrev_b32 v5, v9, v5 :: v_dual_sub_nc_u32 v7, 29, v7
	s_delay_alu instid0(VALU_DEP_1) | instskip(NEXT) | instid1(VALU_DEP_2)
	v_dual_lshlrev_b32 v4, 24, v4 :: v_dual_bitop2_b32 v5, 7, v5 bitop3:0x40
	v_cndmask_b32_e32 v7, v10, v7, vcc_lo
	s_delay_alu instid0(VALU_DEP_2) | instskip(NEXT) | instid1(VALU_DEP_3)
	v_cndmask_b32_e32 v5, v6, v5, vcc_lo
	v_and_b32_e32 v4, 0x80000000, v4
	s_delay_alu instid0(VALU_DEP_3) | instskip(NEXT) | instid1(VALU_DEP_3)
	v_lshl_add_u32 v6, v7, 23, 0x3b800000
	v_lshlrev_b32_e32 v5, 20, v5
	s_delay_alu instid0(VALU_DEP_1)
	v_or3_b32 v5, v4, v6, v5
.LBB174_1858:
	s_or_b32 exec_lo, exec_lo, s30
	s_delay_alu instid0(VALU_DEP_1) | instskip(SKIP_1) | instid1(VALU_DEP_2)
	v_bfe_u32 v4, v5, 16, 1
	v_cmp_o_f32_e32 vcc_lo, v5, v5
	v_add3_u32 v4, v5, v4, 0x7fff
	s_delay_alu instid0(VALU_DEP_1) | instskip(NEXT) | instid1(VALU_DEP_1)
	v_lshrrev_b32_e32 v4, 16, v4
	v_cndmask_b32_e32 v5, 0x7fc0, v4, vcc_lo
.LBB174_1859:
	s_mov_b32 s29, -1
.LBB174_1860:
	s_branch .LBB174_1893
.LBB174_1861:
	s_cmp_gt_i32 s26, 22
	s_cbranch_scc0 .LBB174_1871
; %bb.1862:
	s_cmp_lt_i32 s26, 24
	s_cbranch_scc1 .LBB174_1874
; %bb.1863:
	s_cmp_gt_i32 s26, 24
	s_cbranch_scc0 .LBB174_1875
; %bb.1864:
	s_wait_loadcnt 0x0
	global_load_u8 v4, v[0:1], off
	s_mov_b32 s29, exec_lo
	s_wait_loadcnt 0x0
	v_cmpx_lt_i16_e32 0x7f, v4
	s_xor_b32 s29, exec_lo, s29
	s_cbranch_execz .LBB174_1887
; %bb.1865:
	s_mov_b32 s28, -1
	s_mov_b32 s30, exec_lo
	v_cmpx_eq_u16_e32 0x80, v4
; %bb.1866:
	s_xor_b32 s28, exec_lo, -1
; %bb.1867:
	s_or_b32 exec_lo, exec_lo, s30
	s_delay_alu instid0(SALU_CYCLE_1)
	s_and_b32 s28, s28, exec_lo
	s_or_saveexec_b32 s29, s29
	v_mov_b32_e32 v5, 0x7f800001
	s_xor_b32 exec_lo, exec_lo, s29
	s_cbranch_execnz .LBB174_1888
.LBB174_1868:
	s_or_b32 exec_lo, exec_lo, s29
	s_and_saveexec_b32 s29, s28
	s_cbranch_execz .LBB174_1870
.LBB174_1869:
	v_and_b32_e32 v5, 0xffff, v4
	s_delay_alu instid0(VALU_DEP_1) | instskip(SKIP_1) | instid1(VALU_DEP_2)
	v_and_b32_e32 v6, 3, v5
	v_bfe_u32 v10, v5, 2, 5
	v_clz_i32_u32_e32 v7, v6
	s_delay_alu instid0(VALU_DEP_2) | instskip(NEXT) | instid1(VALU_DEP_2)
	v_cmp_eq_u32_e32 vcc_lo, 0, v10
	v_min_u32_e32 v7, 32, v7
	s_delay_alu instid0(VALU_DEP_1) | instskip(NEXT) | instid1(VALU_DEP_1)
	v_subrev_nc_u32_e32 v9, 29, v7
	v_dual_lshlrev_b32 v5, v9, v5 :: v_dual_sub_nc_u32 v7, 30, v7
	s_delay_alu instid0(VALU_DEP_1) | instskip(NEXT) | instid1(VALU_DEP_2)
	v_dual_lshlrev_b32 v4, 24, v4 :: v_dual_bitop2_b32 v5, 3, v5 bitop3:0x40
	v_cndmask_b32_e32 v7, v10, v7, vcc_lo
	s_delay_alu instid0(VALU_DEP_2) | instskip(NEXT) | instid1(VALU_DEP_3)
	v_cndmask_b32_e32 v5, v6, v5, vcc_lo
	v_and_b32_e32 v4, 0x80000000, v4
	s_delay_alu instid0(VALU_DEP_3) | instskip(NEXT) | instid1(VALU_DEP_3)
	v_lshl_add_u32 v6, v7, 23, 0x37800000
	v_lshlrev_b32_e32 v5, 21, v5
	s_delay_alu instid0(VALU_DEP_1)
	v_or3_b32 v5, v4, v6, v5
.LBB174_1870:
	s_or_b32 exec_lo, exec_lo, s29
	s_delay_alu instid0(VALU_DEP_1) | instskip(SKIP_2) | instid1(VALU_DEP_2)
	v_bfe_u32 v4, v5, 16, 1
	v_cmp_o_f32_e32 vcc_lo, v5, v5
	s_mov_b32 s28, 0
	v_add3_u32 v4, v5, v4, 0x7fff
	s_delay_alu instid0(VALU_DEP_1) | instskip(NEXT) | instid1(VALU_DEP_1)
	v_lshrrev_b32_e32 v4, 16, v4
	v_cndmask_b32_e32 v5, 0x7fc0, v4, vcc_lo
	s_branch .LBB174_1876
.LBB174_1871:
	s_mov_b32 s28, -1
                                        ; implicit-def: $vgpr5
	s_branch .LBB174_1882
.LBB174_1872:
	s_or_saveexec_b32 s30, s30
	v_mov_b32_e32 v5, 0x7f800001
	s_xor_b32 exec_lo, exec_lo, s30
	s_cbranch_execz .LBB174_1856
.LBB174_1873:
	v_cmp_ne_u16_e32 vcc_lo, 0, v4
	v_mov_b32_e32 v5, 0
	s_and_not1_b32 s29, s29, exec_lo
	s_and_b32 s31, vcc_lo, exec_lo
	s_delay_alu instid0(SALU_CYCLE_1)
	s_or_b32 s29, s29, s31
	s_or_b32 exec_lo, exec_lo, s30
	s_and_saveexec_b32 s30, s29
	s_cbranch_execnz .LBB174_1857
	s_branch .LBB174_1858
.LBB174_1874:
	s_mov_b32 s28, -1
                                        ; implicit-def: $vgpr5
	s_branch .LBB174_1879
.LBB174_1875:
	s_mov_b32 s28, -1
                                        ; implicit-def: $vgpr5
.LBB174_1876:
	s_delay_alu instid0(SALU_CYCLE_1)
	s_and_b32 vcc_lo, exec_lo, s28
	s_cbranch_vccz .LBB174_1878
; %bb.1877:
	s_wait_loadcnt 0x0
	global_load_u8 v4, v[0:1], off
	s_wait_loadcnt 0x0
	v_lshlrev_b32_e32 v4, 24, v4
	s_delay_alu instid0(VALU_DEP_1) | instskip(NEXT) | instid1(VALU_DEP_1)
	v_and_b32_e32 v5, 0x7f000000, v4
	v_clz_i32_u32_e32 v6, v5
	v_add_nc_u32_e32 v9, 0x1000000, v5
	v_cmp_ne_u32_e32 vcc_lo, 0, v5
	s_delay_alu instid0(VALU_DEP_3) | instskip(NEXT) | instid1(VALU_DEP_1)
	v_min_u32_e32 v6, 32, v6
	v_sub_nc_u32_e64 v6, v6, 4 clamp
	s_delay_alu instid0(VALU_DEP_1) | instskip(NEXT) | instid1(VALU_DEP_1)
	v_dual_lshlrev_b32 v7, v6, v5 :: v_dual_lshlrev_b32 v6, 23, v6
	v_lshrrev_b32_e32 v7, 4, v7
	s_delay_alu instid0(VALU_DEP_1) | instskip(NEXT) | instid1(VALU_DEP_1)
	v_dual_sub_nc_u32 v6, v7, v6 :: v_dual_ashrrev_i32 v7, 8, v9
	v_add_nc_u32_e32 v6, 0x3c000000, v6
	s_delay_alu instid0(VALU_DEP_1) | instskip(NEXT) | instid1(VALU_DEP_1)
	v_and_or_b32 v6, 0x7f800000, v7, v6
	v_cndmask_b32_e32 v5, 0, v6, vcc_lo
	s_delay_alu instid0(VALU_DEP_1) | instskip(SKIP_1) | instid1(VALU_DEP_2)
	v_and_or_b32 v4, 0x80000000, v4, v5
	v_bfe_u32 v5, v5, 16, 1
	v_cmp_o_f32_e32 vcc_lo, v4, v4
	s_delay_alu instid0(VALU_DEP_2) | instskip(NEXT) | instid1(VALU_DEP_1)
	v_add3_u32 v5, v4, v5, 0x7fff
	v_lshrrev_b32_e32 v5, 16, v5
	s_delay_alu instid0(VALU_DEP_1)
	v_cndmask_b32_e32 v5, 0x7fc0, v5, vcc_lo
.LBB174_1878:
	s_mov_b32 s28, 0
.LBB174_1879:
	s_delay_alu instid0(SALU_CYCLE_1)
	s_and_not1_b32 vcc_lo, exec_lo, s28
	s_cbranch_vccnz .LBB174_1881
; %bb.1880:
	s_wait_loadcnt 0x0
	global_load_u8 v4, v[0:1], off
	s_wait_loadcnt 0x0
	v_lshlrev_b32_e32 v5, 25, v4
	v_lshlrev_b16 v4, 8, v4
	s_delay_alu instid0(VALU_DEP_1) | instskip(SKIP_1) | instid1(VALU_DEP_2)
	v_and_or_b32 v7, 0x7f00, v4, 0.5
	v_bfe_i32 v4, v4, 0, 16
	v_dual_add_f32 v7, -0.5, v7 :: v_dual_lshrrev_b32 v6, 4, v5
	v_cmp_gt_u32_e32 vcc_lo, 0x8000000, v5
	s_delay_alu instid0(VALU_DEP_2) | instskip(NEXT) | instid1(VALU_DEP_1)
	v_or_b32_e32 v6, 0x70000000, v6
	v_mul_f32_e32 v6, 0x7800000, v6
	s_delay_alu instid0(VALU_DEP_1) | instskip(NEXT) | instid1(VALU_DEP_1)
	v_cndmask_b32_e32 v5, v6, v7, vcc_lo
	v_and_or_b32 v4, 0x80000000, v4, v5
	v_bfe_u32 v5, v5, 16, 1
	s_delay_alu instid0(VALU_DEP_2) | instskip(NEXT) | instid1(VALU_DEP_2)
	v_cmp_o_f32_e32 vcc_lo, v4, v4
	v_add3_u32 v5, v4, v5, 0x7fff
	s_delay_alu instid0(VALU_DEP_1) | instskip(NEXT) | instid1(VALU_DEP_1)
	v_lshrrev_b32_e32 v5, 16, v5
	v_cndmask_b32_e32 v5, 0x7fc0, v5, vcc_lo
.LBB174_1881:
	s_mov_b32 s28, 0
	s_mov_b32 s29, -1
.LBB174_1882:
	s_and_not1_b32 vcc_lo, exec_lo, s28
	s_mov_b32 s28, 0
	s_cbranch_vccnz .LBB174_1893
; %bb.1883:
	s_cmp_gt_i32 s26, 14
	s_cbranch_scc0 .LBB174_1886
; %bb.1884:
	s_cmp_eq_u32 s26, 15
	s_cbranch_scc0 .LBB174_1889
; %bb.1885:
	s_wait_loadcnt 0x0
	global_load_u16 v5, v[0:1], off
	s_mov_b32 s27, 0
	s_mov_b32 s29, -1
	s_branch .LBB174_1891
.LBB174_1886:
	s_mov_b32 s28, -1
	s_branch .LBB174_1890
.LBB174_1887:
	s_or_saveexec_b32 s29, s29
	v_mov_b32_e32 v5, 0x7f800001
	s_xor_b32 exec_lo, exec_lo, s29
	s_cbranch_execz .LBB174_1868
.LBB174_1888:
	v_cmp_ne_u16_e32 vcc_lo, 0, v4
	v_mov_b32_e32 v5, 0
	s_and_not1_b32 s28, s28, exec_lo
	s_and_b32 s30, vcc_lo, exec_lo
	s_delay_alu instid0(SALU_CYCLE_1)
	s_or_b32 s28, s28, s30
	s_or_b32 exec_lo, exec_lo, s29
	s_and_saveexec_b32 s29, s28
	s_cbranch_execnz .LBB174_1869
	s_branch .LBB174_1870
.LBB174_1889:
	s_mov_b32 s27, -1
.LBB174_1890:
                                        ; implicit-def: $vgpr5
.LBB174_1891:
	s_and_b32 vcc_lo, exec_lo, s28
	s_mov_b32 s28, 0
	s_cbranch_vccz .LBB174_1893
; %bb.1892:
	s_cmp_lg_u32 s26, 11
	s_mov_b32 s28, -1
	s_cselect_b32 s26, -1, 0
	s_and_not1_b32 s27, s27, exec_lo
	s_and_b32 s26, s26, exec_lo
	s_delay_alu instid0(SALU_CYCLE_1)
	s_or_b32 s27, s27, s26
.LBB174_1893:
	s_mov_b32 s26, 0
.LBB174_1894:
	s_and_not1_b32 s25, s25, exec_lo
	s_and_b32 s30, s27, exec_lo
	s_and_b32 s29, s29, exec_lo
	;; [unrolled: 1-line block ×4, first 2 shown]
	s_or_b32 s25, s25, s30
	s_wait_xcnt 0x0
	s_or_b32 exec_lo, exec_lo, s0
	s_and_saveexec_b32 s0, s25
	s_cbranch_execz .LBB174_1823
.LBB174_1895:
	s_or_b32 s24, s24, exec_lo
	s_and_not1_b32 s27, s27, exec_lo
	s_trap 2
	s_or_b32 exec_lo, exec_lo, s0
	s_and_saveexec_b32 s0, s27
	s_delay_alu instid0(SALU_CYCLE_1)
	s_xor_b32 s0, exec_lo, s0
	s_cbranch_execnz .LBB174_1824
.LBB174_1896:
	s_or_b32 exec_lo, exec_lo, s0
	s_and_saveexec_b32 s0, s26
	s_cbranch_execz .LBB174_1942
.LBB174_1897:
	s_sext_i32_i16 s25, s2
	s_delay_alu instid0(SALU_CYCLE_1)
	s_cmp_lt_i32 s25, 5
	s_cbranch_scc1 .LBB174_1902
; %bb.1898:
	s_cmp_lt_i32 s25, 8
	s_cbranch_scc1 .LBB174_1903
; %bb.1899:
	;; [unrolled: 3-line block ×3, first 2 shown]
	s_cmp_gt_i32 s25, 9
	s_cbranch_scc0 .LBB174_1905
; %bb.1901:
	s_wait_loadcnt 0x0
	global_load_b64 v[4:5], v[0:1], off
	s_mov_b32 s25, 0
	s_wait_loadcnt 0x0
	v_cvt_f32_f64_e32 v4, v[4:5]
	s_delay_alu instid0(VALU_DEP_1) | instskip(SKIP_1) | instid1(VALU_DEP_2)
	v_bfe_u32 v5, v4, 16, 1
	v_cmp_o_f32_e32 vcc_lo, v4, v4
	v_add3_u32 v5, v4, v5, 0x7fff
	s_delay_alu instid0(VALU_DEP_1) | instskip(NEXT) | instid1(VALU_DEP_1)
	v_lshrrev_b32_e32 v5, 16, v5
	v_cndmask_b32_e32 v5, 0x7fc0, v5, vcc_lo
	s_branch .LBB174_1906
.LBB174_1902:
                                        ; implicit-def: $vgpr5
	s_branch .LBB174_1923
.LBB174_1903:
                                        ; implicit-def: $vgpr5
	s_branch .LBB174_1912
.LBB174_1904:
	s_mov_b32 s25, -1
                                        ; implicit-def: $vgpr5
	s_branch .LBB174_1909
.LBB174_1905:
	s_mov_b32 s25, -1
                                        ; implicit-def: $vgpr5
.LBB174_1906:
	s_delay_alu instid0(SALU_CYCLE_1)
	s_and_not1_b32 vcc_lo, exec_lo, s25
	s_cbranch_vccnz .LBB174_1908
; %bb.1907:
	s_wait_loadcnt 0x0
	global_load_b32 v4, v[0:1], off
	s_wait_loadcnt 0x0
	v_bfe_u32 v5, v4, 16, 1
	v_cmp_o_f32_e32 vcc_lo, v4, v4
	s_delay_alu instid0(VALU_DEP_2) | instskip(NEXT) | instid1(VALU_DEP_1)
	v_add3_u32 v5, v4, v5, 0x7fff
	v_lshrrev_b32_e32 v5, 16, v5
	s_delay_alu instid0(VALU_DEP_1)
	v_cndmask_b32_e32 v5, 0x7fc0, v5, vcc_lo
.LBB174_1908:
	s_mov_b32 s25, 0
.LBB174_1909:
	s_delay_alu instid0(SALU_CYCLE_1)
	s_and_not1_b32 vcc_lo, exec_lo, s25
	s_cbranch_vccnz .LBB174_1911
; %bb.1910:
	s_wait_loadcnt 0x0
	global_load_b32 v4, v[0:1], off
	s_wait_loadcnt 0x0
	v_cvt_f32_f16_e32 v5, v4
	v_cmp_o_f16_e32 vcc_lo, v4, v4
	s_delay_alu instid0(VALU_DEP_2) | instskip(NEXT) | instid1(VALU_DEP_1)
	v_bfe_u32 v6, v5, 16, 1
	v_add3_u32 v5, v5, v6, 0x7fff
	s_delay_alu instid0(VALU_DEP_1) | instskip(NEXT) | instid1(VALU_DEP_1)
	v_lshrrev_b32_e32 v5, 16, v5
	v_cndmask_b32_e32 v5, 0x7fc0, v5, vcc_lo
.LBB174_1911:
	s_cbranch_execnz .LBB174_1922
.LBB174_1912:
	s_sext_i32_i16 s25, s2
	s_delay_alu instid0(SALU_CYCLE_1)
	s_cmp_lt_i32 s25, 6
	s_cbranch_scc1 .LBB174_1915
; %bb.1913:
	s_cmp_gt_i32 s25, 6
	s_cbranch_scc0 .LBB174_1916
; %bb.1914:
	s_wait_loadcnt 0x0
	global_load_b64 v[4:5], v[0:1], off
	s_mov_b32 s25, 0
	s_wait_loadcnt 0x0
	v_cvt_f32_f64_e32 v4, v[4:5]
	s_delay_alu instid0(VALU_DEP_1) | instskip(SKIP_1) | instid1(VALU_DEP_2)
	v_bfe_u32 v5, v4, 16, 1
	v_cmp_o_f32_e32 vcc_lo, v4, v4
	v_add3_u32 v5, v4, v5, 0x7fff
	s_delay_alu instid0(VALU_DEP_1) | instskip(NEXT) | instid1(VALU_DEP_1)
	v_lshrrev_b32_e32 v5, 16, v5
	v_cndmask_b32_e32 v5, 0x7fc0, v5, vcc_lo
	s_branch .LBB174_1917
.LBB174_1915:
	s_mov_b32 s25, -1
                                        ; implicit-def: $vgpr5
	s_branch .LBB174_1920
.LBB174_1916:
	s_mov_b32 s25, -1
                                        ; implicit-def: $vgpr5
.LBB174_1917:
	s_delay_alu instid0(SALU_CYCLE_1)
	s_and_not1_b32 vcc_lo, exec_lo, s25
	s_cbranch_vccnz .LBB174_1919
; %bb.1918:
	s_wait_loadcnt 0x0
	global_load_b32 v4, v[0:1], off
	s_wait_loadcnt 0x0
	v_bfe_u32 v5, v4, 16, 1
	v_cmp_o_f32_e32 vcc_lo, v4, v4
	s_delay_alu instid0(VALU_DEP_2) | instskip(NEXT) | instid1(VALU_DEP_1)
	v_add3_u32 v5, v4, v5, 0x7fff
	v_lshrrev_b32_e32 v5, 16, v5
	s_delay_alu instid0(VALU_DEP_1)
	v_cndmask_b32_e32 v5, 0x7fc0, v5, vcc_lo
.LBB174_1919:
	s_mov_b32 s25, 0
.LBB174_1920:
	s_delay_alu instid0(SALU_CYCLE_1)
	s_and_not1_b32 vcc_lo, exec_lo, s25
	s_cbranch_vccnz .LBB174_1922
; %bb.1921:
	s_wait_loadcnt 0x0
	global_load_u16 v4, v[0:1], off
	s_wait_loadcnt 0x0
	v_cvt_f32_f16_e32 v5, v4
	v_cmp_o_f16_e32 vcc_lo, v4, v4
	s_delay_alu instid0(VALU_DEP_2) | instskip(NEXT) | instid1(VALU_DEP_1)
	v_bfe_u32 v6, v5, 16, 1
	v_add3_u32 v5, v5, v6, 0x7fff
	s_delay_alu instid0(VALU_DEP_1) | instskip(NEXT) | instid1(VALU_DEP_1)
	v_lshrrev_b32_e32 v5, 16, v5
	v_cndmask_b32_e32 v5, 0x7fc0, v5, vcc_lo
.LBB174_1922:
	s_cbranch_execnz .LBB174_1941
.LBB174_1923:
	s_sext_i32_i16 s25, s2
	s_delay_alu instid0(SALU_CYCLE_1)
	s_cmp_lt_i32 s25, 2
	s_cbranch_scc1 .LBB174_1927
; %bb.1924:
	s_cmp_lt_i32 s25, 3
	s_cbranch_scc1 .LBB174_1928
; %bb.1925:
	s_cmp_gt_i32 s25, 3
	s_cbranch_scc0 .LBB174_1929
; %bb.1926:
	s_wait_loadcnt 0x0
	global_load_b64 v[4:5], v[0:1], off
	s_mov_b32 s25, 0
	s_wait_loadcnt 0x0
	v_xor_b32_e32 v6, v4, v5
	v_cls_i32_e32 v7, v5
	s_delay_alu instid0(VALU_DEP_2) | instskip(NEXT) | instid1(VALU_DEP_1)
	v_ashrrev_i32_e32 v6, 31, v6
	v_add_nc_u32_e32 v6, 32, v6
	s_delay_alu instid0(VALU_DEP_1) | instskip(NEXT) | instid1(VALU_DEP_1)
	v_add_min_u32_e64 v6, v7, -1, v6
	v_lshlrev_b64_e32 v[4:5], v6, v[4:5]
	s_delay_alu instid0(VALU_DEP_1) | instskip(NEXT) | instid1(VALU_DEP_1)
	v_min_u32_e32 v4, 1, v4
	v_dual_sub_nc_u32 v5, 32, v6 :: v_dual_bitop2_b32 v4, v5, v4 bitop3:0x54
	s_delay_alu instid0(VALU_DEP_1) | instskip(NEXT) | instid1(VALU_DEP_1)
	v_cvt_f32_i32_e32 v4, v4
	v_ldexp_f32 v4, v4, v5
	s_delay_alu instid0(VALU_DEP_1) | instskip(NEXT) | instid1(VALU_DEP_1)
	v_bfe_u32 v5, v4, 16, 1
	v_add3_u32 v4, v4, v5, 0x7fff
	s_delay_alu instid0(VALU_DEP_1)
	v_lshrrev_b32_e32 v5, 16, v4
	s_branch .LBB174_1930
.LBB174_1927:
                                        ; implicit-def: $vgpr5
	s_branch .LBB174_1936
.LBB174_1928:
	s_mov_b32 s25, -1
                                        ; implicit-def: $vgpr5
	s_branch .LBB174_1933
.LBB174_1929:
	s_mov_b32 s25, -1
                                        ; implicit-def: $vgpr5
.LBB174_1930:
	s_delay_alu instid0(SALU_CYCLE_1)
	s_and_not1_b32 vcc_lo, exec_lo, s25
	s_cbranch_vccnz .LBB174_1932
; %bb.1931:
	s_wait_loadcnt 0x0
	global_load_b32 v4, v[0:1], off
	s_wait_loadcnt 0x0
	v_cvt_f32_i32_e32 v4, v4
	s_delay_alu instid0(VALU_DEP_1) | instskip(NEXT) | instid1(VALU_DEP_1)
	v_bfe_u32 v5, v4, 16, 1
	v_add3_u32 v4, v4, v5, 0x7fff
	s_delay_alu instid0(VALU_DEP_1)
	v_lshrrev_b32_e32 v5, 16, v4
.LBB174_1932:
	s_mov_b32 s25, 0
.LBB174_1933:
	s_delay_alu instid0(SALU_CYCLE_1)
	s_and_not1_b32 vcc_lo, exec_lo, s25
	s_cbranch_vccnz .LBB174_1935
; %bb.1934:
	s_wait_loadcnt 0x0
	global_load_i16 v4, v[0:1], off
	s_wait_loadcnt 0x0
	v_cvt_f32_i32_e32 v4, v4
	s_delay_alu instid0(VALU_DEP_1) | instskip(NEXT) | instid1(VALU_DEP_1)
	v_bfe_u32 v5, v4, 16, 1
	v_add3_u32 v4, v4, v5, 0x7fff
	s_delay_alu instid0(VALU_DEP_1)
	v_lshrrev_b32_e32 v5, 16, v4
.LBB174_1935:
	s_cbranch_execnz .LBB174_1941
.LBB174_1936:
	s_sext_i32_i16 s25, s2
	s_delay_alu instid0(SALU_CYCLE_1)
	s_cmp_gt_i32 s25, 0
	s_mov_b32 s25, 0
	s_cbranch_scc0 .LBB174_1938
; %bb.1937:
	s_wait_loadcnt 0x0
	global_load_i8 v4, v[0:1], off
	s_wait_loadcnt 0x0
	v_cvt_f32_i32_e32 v4, v4
	s_delay_alu instid0(VALU_DEP_1) | instskip(NEXT) | instid1(VALU_DEP_1)
	v_bfe_u32 v5, v4, 16, 1
	v_add3_u32 v4, v4, v5, 0x7fff
	s_delay_alu instid0(VALU_DEP_1)
	v_lshrrev_b32_e32 v5, 16, v4
	s_branch .LBB174_1939
.LBB174_1938:
	s_mov_b32 s25, -1
                                        ; implicit-def: $vgpr5
.LBB174_1939:
	s_delay_alu instid0(SALU_CYCLE_1)
	s_and_not1_b32 vcc_lo, exec_lo, s25
	s_cbranch_vccnz .LBB174_1941
; %bb.1940:
	global_load_u8 v0, v[0:1], off
	s_wait_loadcnt 0x0
	v_cvt_f32_ubyte0_e32 v0, v0
	s_delay_alu instid0(VALU_DEP_1) | instskip(NEXT) | instid1(VALU_DEP_1)
	v_bfe_u32 v1, v0, 16, 1
	v_add3_u32 v0, v0, v1, 0x7fff
	s_delay_alu instid0(VALU_DEP_1)
	v_lshrrev_b32_e32 v5, 16, v0
.LBB174_1941:
	s_or_b32 s29, s29, exec_lo
.LBB174_1942:
	s_wait_xcnt 0x0
	s_or_b32 exec_lo, exec_lo, s0
	s_mov_b32 s0, 0
	s_mov_b32 s27, 0
                                        ; implicit-def: $sgpr25
                                        ; implicit-def: $vgpr0_vgpr1
                                        ; implicit-def: $vgpr4
	s_and_saveexec_b32 s26, s29
	s_cbranch_execz .LBB174_1950
; %bb.1943:
	s_wait_loadcnt 0x0
	v_dual_lshlrev_b32 v0, 16, v3 :: v_dual_lshlrev_b32 v1, 16, v5
	s_and_b32 s25, s3, 0xff
	s_delay_alu instid0(SALU_CYCLE_1) | instskip(NEXT) | instid1(VALU_DEP_1)
	s_cmp_lt_i32 s25, 11
	v_mul_f32_e32 v3, s22, v0
	s_delay_alu instid0(VALU_DEP_1) | instskip(NEXT) | instid1(VALU_DEP_1)
	v_bfe_u32 v0, v3, 16, 1
	v_add3_u32 v0, v3, v0, 0x7fff
	s_delay_alu instid0(VALU_DEP_1) | instskip(SKIP_3) | instid1(VALU_DEP_4)
	v_and_b32_e32 v4, 0xffff0000, v0
	v_lshlrev_b32_e32 v0, 16, v2
	v_cmp_o_f32_e32 vcc_lo, v3, v3
	v_mov_b32_e32 v2, s21
	v_cndmask_b32_e32 v3, 0x7fc00000, v4, vcc_lo
	s_delay_alu instid0(VALU_DEP_1) | instskip(NEXT) | instid1(VALU_DEP_1)
	v_pk_mul_f32 v[0:1], v[2:3], v[0:1]
	v_dual_lshrrev_b32 v2, 16, v1 :: v_dual_lshrrev_b32 v3, 16, v0
	v_cmp_o_f32_e32 vcc_lo, v1, v1
	s_delay_alu instid0(VALU_DEP_2) | instskip(NEXT) | instid1(VALU_DEP_1)
	v_and_b32_e32 v2, 1, v2
	v_add3_u32 v2, v1, v2, 0x7fff
	s_delay_alu instid0(VALU_DEP_1) | instskip(NEXT) | instid1(VALU_DEP_1)
	v_and_b32_e32 v2, 0xffff0000, v2
	v_cndmask_b32_e32 v1, 0x7fc00000, v2, vcc_lo
	v_and_b32_e32 v3, 1, v3
	v_cmp_o_f32_e32 vcc_lo, v0, v0
	s_delay_alu instid0(VALU_DEP_2) | instskip(NEXT) | instid1(VALU_DEP_1)
	v_add3_u32 v3, v0, v3, 0x7fff
	v_and_b32_e32 v3, 0xffff0000, v3
	s_delay_alu instid0(VALU_DEP_1) | instskip(NEXT) | instid1(VALU_DEP_1)
	v_cndmask_b32_e32 v0, 0x7fc00000, v3, vcc_lo
	v_add_f32_e32 v2, v0, v1
	v_mul_lo_u32 v0, v8, s12
	s_delay_alu instid0(VALU_DEP_2) | instskip(SKIP_1) | instid1(VALU_DEP_2)
	v_bfe_u32 v1, v2, 16, 1
	v_cmp_o_f32_e32 vcc_lo, v2, v2
	v_add3_u32 v3, v2, v1, 0x7fff
	s_delay_alu instid0(VALU_DEP_1) | instskip(NEXT) | instid1(VALU_DEP_1)
	v_dual_ashrrev_i32 v1, 31, v0 :: v_dual_lshrrev_b32 v3, 16, v3
	v_add_nc_u64_e32 v[0:1], s[4:5], v[0:1]
	s_delay_alu instid0(VALU_DEP_2)
	v_cndmask_b32_e32 v4, 0x7fc0, v3, vcc_lo
	s_cbranch_scc1 .LBB174_1953
; %bb.1944:
	s_and_b32 s21, 0xffff, s25
	s_mov_b32 s22, -1
	s_cmp_gt_i32 s21, 25
	s_mov_b32 s0, s23
	s_cbranch_scc0 .LBB174_1981
; %bb.1945:
	s_cmp_gt_i32 s21, 28
	s_mov_b32 s0, s23
	s_cbranch_scc0 .LBB174_1965
; %bb.1946:
	;; [unrolled: 4-line block ×4, first 2 shown]
	s_cmp_eq_u32 s21, 46
	s_mov_b32 s0, -1
	s_cbranch_scc0 .LBB174_1954
; %bb.1949:
	v_and_b32_e32 v2, 0xffff, v4
	s_mov_b32 s0, 0
	s_mov_b32 s22, 0
	global_store_b32 v[0:1], v2, off
	s_branch .LBB174_1955
.LBB174_1950:
	s_or_b32 exec_lo, exec_lo, s26
	s_and_saveexec_b32 s21, s23
	s_cbranch_execnz .LBB174_2023
.LBB174_1951:
	s_or_b32 exec_lo, exec_lo, s21
	s_and_saveexec_b32 s21, s0
	s_delay_alu instid0(SALU_CYCLE_1)
	s_xor_b32 s0, exec_lo, s21
	s_cbranch_execz .LBB174_2024
.LBB174_1952:
	s_wait_loadcnt 0x0
	v_and_b32_e32 v2, 0x7fff, v4
	s_delay_alu instid0(VALU_DEP_1)
	v_cmp_ne_u16_e32 vcc_lo, 0, v2
	v_cndmask_b32_e64 v2, 0, 1, vcc_lo
	global_store_b8 v[0:1], v2, off
	s_wait_xcnt 0x0
	s_or_b32 exec_lo, exec_lo, s0
	s_and_saveexec_b32 s0, s27
	s_delay_alu instid0(SALU_CYCLE_1)
	s_xor_b32 s0, exec_lo, s0
	s_cbranch_execz .LBB174_2062
	s_branch .LBB174_2025
.LBB174_1953:
	s_mov_b32 s28, 0
	s_mov_b32 s22, -1
	s_mov_b32 s0, s23
	s_branch .LBB174_2022
.LBB174_1954:
	s_mov_b32 s22, 0
.LBB174_1955:
	s_delay_alu instid0(SALU_CYCLE_1)
	s_and_b32 vcc_lo, exec_lo, s22
	s_cbranch_vccz .LBB174_1960
; %bb.1956:
	s_cmp_eq_u32 s21, 44
	s_mov_b32 s0, -1
	s_cbranch_scc0 .LBB174_1960
; %bb.1957:
	s_wait_xcnt 0x0
	v_and_b32_e32 v2, 0xffff, v4
	v_mov_b32_e32 v3, 0xff
	s_mov_b32 s22, exec_lo
	s_delay_alu instid0(VALU_DEP_2) | instskip(NEXT) | instid1(VALU_DEP_1)
	v_bfe_u32 v5, v2, 7, 8
	v_cmpx_ne_u32_e32 0xff, v5
	s_cbranch_execz .LBB174_1959
; %bb.1958:
	v_dual_lshlrev_b32 v3, 16, v2 :: v_dual_bitop2_b32 v6, 64, v2 bitop3:0x40
	v_lshrrev_b32_e32 v2, 7, v2
	s_delay_alu instid0(VALU_DEP_2) | instskip(NEXT) | instid1(VALU_DEP_3)
	v_and_or_b32 v3, 0x3f0000, v3, v5
	v_cmp_ne_u32_e32 vcc_lo, 0, v6
	s_delay_alu instid0(VALU_DEP_2) | instskip(SKIP_1) | instid1(SALU_CYCLE_1)
	v_cmp_ne_u32_e64 s0, 0, v3
	s_and_b32 s0, vcc_lo, s0
	v_cndmask_b32_e64 v3, 0, 1, s0
	s_delay_alu instid0(VALU_DEP_1)
	v_add_nc_u32_e32 v3, v2, v3
.LBB174_1959:
	s_or_b32 exec_lo, exec_lo, s22
	s_mov_b32 s0, 0
	global_store_b8 v[0:1], v3, off
.LBB174_1960:
	s_mov_b32 s22, 0
.LBB174_1961:
	s_delay_alu instid0(SALU_CYCLE_1)
	s_and_b32 vcc_lo, exec_lo, s22
	s_cbranch_vccz .LBB174_1964
; %bb.1962:
	s_cmp_eq_u32 s21, 29
	s_mov_b32 s0, -1
	s_cbranch_scc0 .LBB174_1964
; %bb.1963:
	s_wait_xcnt 0x0
	v_lshlrev_b32_e32 v2, 16, v4
	s_mov_b32 s0, 0
	s_mov_b32 s22, 0
	s_delay_alu instid0(VALU_DEP_1) | instskip(NEXT) | instid1(VALU_DEP_1)
	v_trunc_f32_e32 v2, v2
	v_mul_f32_e32 v3, 0x2f800000, v2
	s_delay_alu instid0(VALU_DEP_1) | instskip(NEXT) | instid1(VALU_DEP_1)
	v_floor_f32_e32 v3, v3
	v_fmamk_f32 v2, v3, 0xcf800000, v2
	v_cvt_u32_f32_e32 v3, v3
	s_delay_alu instid0(VALU_DEP_2)
	v_cvt_u32_f32_e32 v2, v2
	global_store_b64 v[0:1], v[2:3], off
	s_branch .LBB174_1965
.LBB174_1964:
	s_mov_b32 s22, 0
.LBB174_1965:
	s_delay_alu instid0(SALU_CYCLE_1)
	s_and_b32 vcc_lo, exec_lo, s22
	s_cbranch_vccz .LBB174_1980
; %bb.1966:
	s_cmp_lt_i32 s21, 27
	s_mov_b32 s22, -1
	s_cbranch_scc1 .LBB174_1972
; %bb.1967:
	s_cmp_gt_i32 s21, 27
	s_cbranch_scc0 .LBB174_1969
; %bb.1968:
	s_wait_xcnt 0x0
	v_lshlrev_b32_e32 v2, 16, v4
	s_mov_b32 s22, 0
	s_delay_alu instid0(VALU_DEP_1)
	v_cvt_u32_f32_e32 v2, v2
	global_store_b32 v[0:1], v2, off
.LBB174_1969:
	s_and_not1_b32 vcc_lo, exec_lo, s22
	s_cbranch_vccnz .LBB174_1971
; %bb.1970:
	s_wait_xcnt 0x0
	v_lshlrev_b32_e32 v2, 16, v4
	s_delay_alu instid0(VALU_DEP_1)
	v_cvt_u32_f32_e32 v2, v2
	global_store_b16 v[0:1], v2, off
.LBB174_1971:
	s_mov_b32 s22, 0
.LBB174_1972:
	s_delay_alu instid0(SALU_CYCLE_1)
	s_and_not1_b32 vcc_lo, exec_lo, s22
	s_cbranch_vccnz .LBB174_1980
; %bb.1973:
	v_dual_mov_b32 v6, 0x80 :: v_dual_lshlrev_b32 v5, 16, v4
	s_mov_b32 s22, exec_lo
	s_wait_xcnt 0x0
	s_delay_alu instid0(VALU_DEP_1) | instskip(NEXT) | instid1(VALU_DEP_1)
	v_and_b32_e32 v3, 0x7fffffff, v5
	v_cmpx_gt_u32_e32 0x43800000, v3
	s_cbranch_execz .LBB174_1979
; %bb.1974:
	v_and_b32_e32 v2, 0xffff, v4
	v_cmp_lt_u32_e32 vcc_lo, 0x3bffffff, v3
                                        ; implicit-def: $vgpr3
	s_and_saveexec_b32 s28, vcc_lo
	s_delay_alu instid0(SALU_CYCLE_1)
	s_xor_b32 s28, exec_lo, s28
	s_cbranch_execz .LBB174_2077
; %bb.1975:
	v_bfe_u32 v3, v2, 4, 1
	s_mov_b32 s27, exec_lo
	s_delay_alu instid0(VALU_DEP_1) | instskip(NEXT) | instid1(VALU_DEP_1)
	v_add3_u32 v3, v5, v3, 0x487ffff
                                        ; implicit-def: $vgpr5
	v_lshrrev_b32_e32 v3, 20, v3
	s_and_not1_saveexec_b32 s28, s28
	s_cbranch_execnz .LBB174_2078
.LBB174_1976:
	s_or_b32 exec_lo, exec_lo, s28
	v_mov_b32_e32 v6, 0
	s_and_saveexec_b32 s28, s27
.LBB174_1977:
	v_lshrrev_b32_e32 v2, 8, v2
	s_delay_alu instid0(VALU_DEP_1)
	v_and_or_b32 v6, 0x80, v2, v3
.LBB174_1978:
	s_or_b32 exec_lo, exec_lo, s28
.LBB174_1979:
	s_delay_alu instid0(SALU_CYCLE_1)
	s_or_b32 exec_lo, exec_lo, s22
	global_store_b8 v[0:1], v6, off
.LBB174_1980:
	s_mov_b32 s22, 0
.LBB174_1981:
	s_delay_alu instid0(SALU_CYCLE_1)
	s_and_b32 vcc_lo, exec_lo, s22
	s_mov_b32 s22, 0
	s_cbranch_vccz .LBB174_2021
; %bb.1982:
	s_cmp_gt_i32 s21, 22
	s_mov_b32 s27, -1
	s_cbranch_scc0 .LBB174_2014
; %bb.1983:
	s_cmp_lt_i32 s21, 24
	s_cbranch_scc1 .LBB174_2003
; %bb.1984:
	s_cmp_gt_i32 s21, 24
	s_cbranch_scc0 .LBB174_1992
; %bb.1985:
	s_wait_xcnt 0x0
	v_dual_mov_b32 v6, 0x80 :: v_dual_lshlrev_b32 v5, 16, v4
	s_mov_b32 s27, exec_lo
	s_delay_alu instid0(VALU_DEP_1) | instskip(NEXT) | instid1(VALU_DEP_1)
	v_and_b32_e32 v3, 0x7fffffff, v5
	v_cmpx_gt_u32_e32 0x47800000, v3
	s_cbranch_execz .LBB174_1991
; %bb.1986:
	v_and_b32_e32 v2, 0xffff, v4
	v_cmp_lt_u32_e32 vcc_lo, 0x37ffffff, v3
	s_mov_b32 s28, 0
                                        ; implicit-def: $vgpr3
	s_and_saveexec_b32 s29, vcc_lo
	s_delay_alu instid0(SALU_CYCLE_1)
	s_xor_b32 s29, exec_lo, s29
	s_cbranch_execz .LBB174_2203
; %bb.1987:
	v_bfe_u32 v3, v2, 5, 1
	s_mov_b32 s28, exec_lo
	s_delay_alu instid0(VALU_DEP_1) | instskip(NEXT) | instid1(VALU_DEP_1)
	v_add3_u32 v3, v5, v3, 0x88fffff
                                        ; implicit-def: $vgpr5
	v_lshrrev_b32_e32 v3, 21, v3
	s_and_not1_saveexec_b32 s29, s29
	s_cbranch_execnz .LBB174_2204
.LBB174_1988:
	s_or_b32 exec_lo, exec_lo, s29
	v_mov_b32_e32 v6, 0
	s_and_saveexec_b32 s29, s28
.LBB174_1989:
	v_lshrrev_b32_e32 v2, 8, v2
	s_delay_alu instid0(VALU_DEP_1)
	v_and_or_b32 v6, 0x80, v2, v3
.LBB174_1990:
	s_or_b32 exec_lo, exec_lo, s29
.LBB174_1991:
	s_delay_alu instid0(SALU_CYCLE_1)
	s_or_b32 exec_lo, exec_lo, s27
	s_mov_b32 s27, 0
	global_store_b8 v[0:1], v6, off
.LBB174_1992:
	s_and_b32 vcc_lo, exec_lo, s27
	s_cbranch_vccz .LBB174_2002
; %bb.1993:
	v_lshlrev_b32_e32 v5, 16, v4
	s_wait_xcnt 0x0
	v_and_b32_e32 v2, 0xffff, v4
	s_mov_b32 s27, exec_lo
                                        ; implicit-def: $vgpr3
	s_delay_alu instid0(VALU_DEP_2) | instskip(NEXT) | instid1(VALU_DEP_1)
	v_and_b32_e32 v6, 0x7fffffff, v5
	v_cmpx_gt_u32_e32 0x43f00000, v6
	s_xor_b32 s27, exec_lo, s27
	s_cbranch_execz .LBB174_1999
; %bb.1994:
	s_mov_b32 s28, exec_lo
                                        ; implicit-def: $vgpr3
	v_cmpx_lt_u32_e32 0x3c7fffff, v6
	s_xor_b32 s28, exec_lo, s28
; %bb.1995:
	v_bfe_u32 v3, v2, 4, 1
	s_delay_alu instid0(VALU_DEP_1) | instskip(NEXT) | instid1(VALU_DEP_1)
	v_add3_u32 v3, v5, v3, 0x407ffff
	v_and_b32_e32 v5, 0xff00000, v3
	v_lshrrev_b32_e32 v3, 20, v3
	s_delay_alu instid0(VALU_DEP_2) | instskip(NEXT) | instid1(VALU_DEP_2)
	v_cmp_ne_u32_e32 vcc_lo, 0x7f00000, v5
                                        ; implicit-def: $vgpr5
	v_cndmask_b32_e32 v3, 0x7e, v3, vcc_lo
; %bb.1996:
	s_and_not1_saveexec_b32 s28, s28
; %bb.1997:
	v_add_f32_e64 v3, 0x46800000, |v5|
; %bb.1998:
	s_or_b32 exec_lo, exec_lo, s28
                                        ; implicit-def: $vgpr6
.LBB174_1999:
	s_and_not1_saveexec_b32 s27, s27
; %bb.2000:
	v_mov_b32_e32 v3, 0x7f
	v_cmp_lt_u32_e32 vcc_lo, 0x7f800000, v6
	s_delay_alu instid0(VALU_DEP_2)
	v_cndmask_b32_e32 v3, 0x7e, v3, vcc_lo
; %bb.2001:
	s_or_b32 exec_lo, exec_lo, s27
	v_lshrrev_b32_e32 v2, 8, v2
	s_delay_alu instid0(VALU_DEP_1)
	v_and_or_b32 v2, 0x80, v2, v3
	global_store_b8 v[0:1], v2, off
.LBB174_2002:
	s_mov_b32 s27, 0
.LBB174_2003:
	s_delay_alu instid0(SALU_CYCLE_1)
	s_and_not1_b32 vcc_lo, exec_lo, s27
	s_cbranch_vccnz .LBB174_2013
; %bb.2004:
	v_lshlrev_b32_e32 v5, 16, v4
	s_wait_xcnt 0x0
	v_and_b32_e32 v2, 0xffff, v4
	s_mov_b32 s27, exec_lo
                                        ; implicit-def: $vgpr3
	s_delay_alu instid0(VALU_DEP_2) | instskip(NEXT) | instid1(VALU_DEP_1)
	v_and_b32_e32 v6, 0x7fffffff, v5
	v_cmpx_gt_u32_e32 0x47800000, v6
	s_xor_b32 s27, exec_lo, s27
	s_cbranch_execz .LBB174_2010
; %bb.2005:
	s_mov_b32 s28, exec_lo
                                        ; implicit-def: $vgpr3
	v_cmpx_lt_u32_e32 0x387fffff, v6
	s_xor_b32 s28, exec_lo, s28
; %bb.2006:
	v_bfe_u32 v3, v2, 5, 1
	s_delay_alu instid0(VALU_DEP_1) | instskip(NEXT) | instid1(VALU_DEP_1)
	v_add3_u32 v3, v5, v3, 0x80fffff
                                        ; implicit-def: $vgpr5
	v_lshrrev_b32_e32 v3, 21, v3
; %bb.2007:
	s_and_not1_saveexec_b32 s28, s28
; %bb.2008:
	v_add_f32_e64 v3, 0x43000000, |v5|
; %bb.2009:
	s_or_b32 exec_lo, exec_lo, s28
                                        ; implicit-def: $vgpr6
.LBB174_2010:
	s_and_not1_saveexec_b32 s27, s27
; %bb.2011:
	v_mov_b32_e32 v3, 0x7f
	v_cmp_lt_u32_e32 vcc_lo, 0x7f800000, v6
	s_delay_alu instid0(VALU_DEP_2)
	v_cndmask_b32_e32 v3, 0x7c, v3, vcc_lo
; %bb.2012:
	s_or_b32 exec_lo, exec_lo, s27
	v_lshrrev_b32_e32 v2, 8, v2
	s_delay_alu instid0(VALU_DEP_1)
	v_and_or_b32 v2, 0x80, v2, v3
	global_store_b8 v[0:1], v2, off
.LBB174_2013:
	s_mov_b32 s27, 0
.LBB174_2014:
	s_delay_alu instid0(SALU_CYCLE_1)
	s_and_not1_b32 vcc_lo, exec_lo, s27
	s_mov_b32 s28, 0
	s_cbranch_vccnz .LBB174_2022
; %bb.2015:
	s_cmp_gt_i32 s21, 14
	s_mov_b32 s27, -1
	s_cbranch_scc0 .LBB174_2019
; %bb.2016:
	s_cmp_eq_u32 s21, 15
	s_mov_b32 s0, -1
	s_cbranch_scc0 .LBB174_2018
; %bb.2017:
	s_mov_b32 s0, 0
	global_store_b16 v[0:1], v4, off
.LBB174_2018:
	s_mov_b32 s27, 0
.LBB174_2019:
	s_delay_alu instid0(SALU_CYCLE_1)
	s_and_b32 vcc_lo, exec_lo, s27
	s_cbranch_vccz .LBB174_2022
; %bb.2020:
	s_cmp_lg_u32 s21, 11
	s_mov_b32 s28, -1
	s_cselect_b32 s21, -1, 0
	s_and_not1_b32 s0, s0, exec_lo
	s_and_b32 s21, s21, exec_lo
	s_delay_alu instid0(SALU_CYCLE_1)
	s_or_b32 s0, s0, s21
	s_branch .LBB174_2022
.LBB174_2021:
	s_mov_b32 s28, 0
.LBB174_2022:
	s_and_b32 s27, s22, exec_lo
	s_and_not1_b32 s21, s23, exec_lo
	s_and_b32 s22, s0, exec_lo
	s_and_b32 s0, s28, exec_lo
	s_or_b32 s23, s21, s22
	s_wait_xcnt 0x0
	s_or_b32 exec_lo, exec_lo, s26
	s_and_saveexec_b32 s21, s23
	s_cbranch_execz .LBB174_1951
.LBB174_2023:
	s_or_b32 s24, s24, exec_lo
	s_and_not1_b32 s0, s0, exec_lo
	s_trap 2
	s_or_b32 exec_lo, exec_lo, s21
	s_and_saveexec_b32 s21, s0
	s_delay_alu instid0(SALU_CYCLE_1)
	s_xor_b32 s0, exec_lo, s21
	s_cbranch_execnz .LBB174_1952
.LBB174_2024:
	s_or_b32 exec_lo, exec_lo, s0
	s_and_saveexec_b32 s0, s27
	s_delay_alu instid0(SALU_CYCLE_1)
	s_xor_b32 s0, exec_lo, s0
	s_cbranch_execz .LBB174_2062
.LBB174_2025:
	s_sext_i32_i16 s22, s25
	s_mov_b32 s21, -1
	s_cmp_lt_i32 s22, 5
	s_cbranch_scc1 .LBB174_2046
; %bb.2026:
	s_cmp_lt_i32 s22, 8
	s_cbranch_scc1 .LBB174_2036
; %bb.2027:
	;; [unrolled: 3-line block ×3, first 2 shown]
	s_cmp_gt_i32 s22, 9
	s_cbranch_scc0 .LBB174_2030
; %bb.2029:
	s_wait_loadcnt 0x0
	v_dual_lshlrev_b32 v2, 16, v4 :: v_dual_mov_b32 v8, 0
	s_mov_b32 s21, 0
	s_delay_alu instid0(VALU_DEP_1) | instskip(NEXT) | instid1(VALU_DEP_2)
	v_cvt_f64_f32_e32 v[6:7], v2
	v_mov_b32_e32 v9, v8
	global_store_b128 v[0:1], v[6:9], off
.LBB174_2030:
	s_and_not1_b32 vcc_lo, exec_lo, s21
	s_cbranch_vccnz .LBB174_2032
; %bb.2031:
	s_wait_loadcnt 0x0
	v_dual_mov_b32 v3, 0 :: v_dual_lshlrev_b32 v2, 16, v4
	global_store_b64 v[0:1], v[2:3], off
.LBB174_2032:
	s_mov_b32 s21, 0
.LBB174_2033:
	s_delay_alu instid0(SALU_CYCLE_1)
	s_and_not1_b32 vcc_lo, exec_lo, s21
	s_cbranch_vccnz .LBB174_2035
; %bb.2034:
	s_wait_loadcnt 0x0
	v_lshlrev_b32_e32 v2, 16, v4
	s_delay_alu instid0(VALU_DEP_1) | instskip(NEXT) | instid1(VALU_DEP_1)
	v_cvt_f16_f32_e32 v2, v2
	v_and_b32_e32 v2, 0xffff, v2
	global_store_b32 v[0:1], v2, off
.LBB174_2035:
	s_mov_b32 s21, 0
.LBB174_2036:
	s_delay_alu instid0(SALU_CYCLE_1)
	s_and_not1_b32 vcc_lo, exec_lo, s21
	s_cbranch_vccnz .LBB174_2045
; %bb.2037:
	s_sext_i32_i16 s22, s25
	s_mov_b32 s21, -1
	s_cmp_lt_i32 s22, 6
	s_cbranch_scc1 .LBB174_2043
; %bb.2038:
	s_cmp_gt_i32 s22, 6
	s_cbranch_scc0 .LBB174_2040
; %bb.2039:
	s_wait_loadcnt 0x0
	v_lshlrev_b32_e32 v2, 16, v4
	s_mov_b32 s21, 0
	s_delay_alu instid0(VALU_DEP_1)
	v_cvt_f64_f32_e32 v[2:3], v2
	global_store_b64 v[0:1], v[2:3], off
.LBB174_2040:
	s_and_not1_b32 vcc_lo, exec_lo, s21
	s_cbranch_vccnz .LBB174_2042
; %bb.2041:
	s_wait_loadcnt 0x0
	v_lshlrev_b32_e32 v2, 16, v4
	global_store_b32 v[0:1], v2, off
.LBB174_2042:
	s_mov_b32 s21, 0
.LBB174_2043:
	s_delay_alu instid0(SALU_CYCLE_1)
	s_and_not1_b32 vcc_lo, exec_lo, s21
	s_cbranch_vccnz .LBB174_2045
; %bb.2044:
	s_wait_loadcnt 0x0
	v_lshlrev_b32_e32 v2, 16, v4
	s_delay_alu instid0(VALU_DEP_1)
	v_cvt_f16_f32_e32 v2, v2
	global_store_b16 v[0:1], v2, off
.LBB174_2045:
	s_mov_b32 s21, 0
.LBB174_2046:
	s_delay_alu instid0(SALU_CYCLE_1)
	s_and_not1_b32 vcc_lo, exec_lo, s21
	s_cbranch_vccnz .LBB174_2062
; %bb.2047:
	s_sext_i32_i16 s22, s25
	s_mov_b32 s21, -1
	s_cmp_lt_i32 s22, 2
	s_cbranch_scc1 .LBB174_2057
; %bb.2048:
	s_cmp_lt_i32 s22, 3
	s_cbranch_scc1 .LBB174_2054
; %bb.2049:
	s_cmp_gt_i32 s22, 3
	s_cbranch_scc0 .LBB174_2051
; %bb.2050:
	s_wait_loadcnt 0x0
	v_lshlrev_b32_e32 v2, 16, v4
	s_mov_b32 s21, 0
	s_delay_alu instid0(VALU_DEP_1) | instskip(NEXT) | instid1(VALU_DEP_1)
	v_trunc_f32_e32 v2, v2
	v_mul_f32_e64 v3, 0x2f800000, |v2|
	s_delay_alu instid0(VALU_DEP_1) | instskip(NEXT) | instid1(VALU_DEP_1)
	v_floor_f32_e32 v3, v3
	v_fma_f32 v5, 0xcf800000, v3, |v2|
	v_ashrrev_i32_e32 v2, 31, v2
	v_cvt_u32_f32_e32 v6, v3
	s_delay_alu instid0(VALU_DEP_3) | instskip(NEXT) | instid1(VALU_DEP_3)
	v_cvt_u32_f32_e32 v5, v5
	v_mov_b32_e32 v3, v2
	s_delay_alu instid0(VALU_DEP_3) | instskip(NEXT) | instid1(VALU_DEP_3)
	v_xor_b32_e32 v7, v6, v2
	v_xor_b32_e32 v6, v5, v2
	s_delay_alu instid0(VALU_DEP_1)
	v_sub_nc_u64_e32 v[2:3], v[6:7], v[2:3]
	global_store_b64 v[0:1], v[2:3], off
.LBB174_2051:
	s_and_not1_b32 vcc_lo, exec_lo, s21
	s_cbranch_vccnz .LBB174_2053
; %bb.2052:
	s_wait_loadcnt 0x0
	v_lshlrev_b32_e32 v2, 16, v4
	s_delay_alu instid0(VALU_DEP_1)
	v_cvt_i32_f32_e32 v2, v2
	global_store_b32 v[0:1], v2, off
.LBB174_2053:
	s_mov_b32 s21, 0
.LBB174_2054:
	s_delay_alu instid0(SALU_CYCLE_1)
	s_and_not1_b32 vcc_lo, exec_lo, s21
	s_cbranch_vccnz .LBB174_2056
; %bb.2055:
	s_wait_loadcnt 0x0
	v_lshlrev_b32_e32 v2, 16, v4
	s_delay_alu instid0(VALU_DEP_1)
	v_cvt_i32_f32_e32 v2, v2
	global_store_b16 v[0:1], v2, off
.LBB174_2056:
	s_mov_b32 s21, 0
.LBB174_2057:
	s_delay_alu instid0(SALU_CYCLE_1)
	s_and_not1_b32 vcc_lo, exec_lo, s21
	s_cbranch_vccnz .LBB174_2062
; %bb.2058:
	s_wait_loadcnt 0x0
	v_lshlrev_b32_e32 v2, 16, v4
	s_sext_i32_i16 s21, s25
	s_delay_alu instid0(SALU_CYCLE_1)
	s_cmp_gt_i32 s21, 0
	s_mov_b32 s21, -1
	s_cbranch_scc0 .LBB174_2060
; %bb.2059:
	v_cvt_i32_f32_e32 v3, v2
	s_mov_b32 s21, 0
	global_store_b8 v[0:1], v3, off
.LBB174_2060:
	s_and_not1_b32 vcc_lo, exec_lo, s21
	s_cbranch_vccnz .LBB174_2062
; %bb.2061:
	v_trunc_f32_e32 v2, v2
	s_wait_xcnt 0x0
	s_delay_alu instid0(VALU_DEP_1) | instskip(NEXT) | instid1(VALU_DEP_1)
	v_mul_f32_e64 v3, 0x2f800000, |v2|
	v_floor_f32_e32 v3, v3
	s_delay_alu instid0(VALU_DEP_1) | instskip(SKIP_1) | instid1(VALU_DEP_2)
	v_fma_f32 v3, 0xcf800000, v3, |v2|
	v_ashrrev_i32_e32 v2, 31, v2
	v_cvt_u32_f32_e32 v3, v3
	s_delay_alu instid0(VALU_DEP_1) | instskip(NEXT) | instid1(VALU_DEP_1)
	v_xor_b32_e32 v3, v3, v2
	v_sub_nc_u32_e32 v2, v3, v2
	global_store_b8 v[0:1], v2, off
.LBB174_2062:
	s_wait_xcnt 0x0
	s_or_b32 exec_lo, exec_lo, s0
	s_delay_alu instid0(SALU_CYCLE_1)
	s_and_b32 s21, s24, exec_lo
                                        ; implicit-def: $vgpr8
.LBB174_2063:
	s_or_saveexec_b32 s20, s20
	s_mov_b32 s0, 0
                                        ; implicit-def: $sgpr22
                                        ; implicit-def: $vgpr0_vgpr1
                                        ; implicit-def: $vgpr4
	s_xor_b32 exec_lo, exec_lo, s20
	s_cbranch_execz .LBB174_4067
; %bb.2064:
	v_mul_lo_u32 v0, s13, v8
	s_and_b32 s19, s19, 0xff
	s_delay_alu instid0(SALU_CYCLE_1) | instskip(NEXT) | instid1(VALU_DEP_1)
	s_cmp_lt_i32 s19, 11
	v_ashrrev_i32_e32 v1, 31, v0
	s_wait_loadcnt 0x0
	s_delay_alu instid0(VALU_DEP_1)
	v_add_nc_u64_e32 v[2:3], s[6:7], v[0:1]
	s_cbranch_scc1 .LBB174_2071
; %bb.2065:
	s_and_b32 s0, 0xffff, s19
	s_mov_b32 s22, 0
	s_cmp_gt_i32 s0, 25
	s_cbranch_scc0 .LBB174_2073
; %bb.2066:
	s_cmp_gt_i32 s0, 28
	s_cbranch_scc0 .LBB174_2074
; %bb.2067:
	;; [unrolled: 3-line block ×4, first 2 shown]
	s_cmp_eq_u32 s0, 46
	s_mov_b32 s24, 0
	s_cbranch_scc0 .LBB174_2079
; %bb.2070:
	global_load_b32 v9, v[2:3], off
	s_mov_b32 s23, -1
	s_branch .LBB174_2081
.LBB174_2071:
	s_mov_b32 s23, 0
	s_mov_b32 s18, s21
                                        ; implicit-def: $vgpr9
	s_cbranch_execnz .LBB174_2144
.LBB174_2072:
	s_and_not1_b32 vcc_lo, exec_lo, s23
	s_cbranch_vccz .LBB174_2189
	s_branch .LBB174_4065
.LBB174_2073:
	s_mov_b32 s23, 0
                                        ; implicit-def: $vgpr9
	s_cbranch_execnz .LBB174_2109
	s_branch .LBB174_2140
.LBB174_2074:
	s_mov_b32 s24, -1
	s_mov_b32 s23, 0
                                        ; implicit-def: $vgpr9
	s_branch .LBB174_2090
.LBB174_2075:
	s_mov_b32 s23, 0
                                        ; implicit-def: $vgpr9
	s_cbranch_execnz .LBB174_2086
	s_branch .LBB174_2089
.LBB174_2076:
	s_mov_b32 s24, -1
	s_branch .LBB174_2080
.LBB174_2077:
	s_and_not1_saveexec_b32 s28, s28
	s_cbranch_execz .LBB174_1976
.LBB174_2078:
	v_add_f32_e64 v3, 0x46000000, |v5|
	s_and_not1_b32 s27, s27, exec_lo
	s_delay_alu instid0(VALU_DEP_1) | instskip(NEXT) | instid1(VALU_DEP_1)
	v_and_b32_e32 v3, 0xff, v3
	v_cmp_ne_u32_e32 vcc_lo, 0, v3
	s_and_b32 s29, vcc_lo, exec_lo
	s_delay_alu instid0(SALU_CYCLE_1)
	s_or_b32 s27, s27, s29
	s_or_b32 exec_lo, exec_lo, s28
	v_mov_b32_e32 v6, 0
	s_and_saveexec_b32 s28, s27
	s_cbranch_execnz .LBB174_1977
	s_branch .LBB174_1978
.LBB174_2079:
	s_mov_b32 s18, -1
.LBB174_2080:
	s_mov_b32 s23, 0
                                        ; implicit-def: $vgpr9
.LBB174_2081:
	s_and_b32 vcc_lo, exec_lo, s24
	s_cbranch_vccz .LBB174_2084
; %bb.2082:
	s_cmp_eq_u32 s0, 44
	s_cbranch_scc0 .LBB174_2085
; %bb.2083:
	global_load_u8 v1, v[2:3], off
	s_mov_b32 s18, 0
	s_mov_b32 s23, -1
	s_wait_loadcnt 0x0
	v_lshlrev_b32_e32 v4, 23, v1
	v_cmp_ne_u32_e32 vcc_lo, 0xff, v1
	s_delay_alu instid0(VALU_DEP_2) | instskip(SKIP_1) | instid1(VALU_DEP_2)
	v_cndmask_b32_e32 v4, 0x7f800001, v4, vcc_lo
	v_cmp_ne_u32_e32 vcc_lo, 0, v1
	v_cndmask_b32_e32 v1, 0x400000, v4, vcc_lo
	s_delay_alu instid0(VALU_DEP_1) | instskip(NEXT) | instid1(VALU_DEP_1)
	v_add_nc_u32_e32 v4, 0x7fff, v1
	v_lshrrev_b32_e32 v4, 16, v4
	v_cmp_o_f32_e32 vcc_lo, v1, v1
	s_delay_alu instid0(VALU_DEP_2)
	v_cndmask_b32_e32 v9, 0x7fc0, v4, vcc_lo
.LBB174_2084:
	s_branch .LBB174_2089
.LBB174_2085:
	s_mov_b32 s18, -1
                                        ; implicit-def: $vgpr9
	s_branch .LBB174_2089
.LBB174_2086:
	s_cmp_eq_u32 s0, 29
	s_cbranch_scc0 .LBB174_2088
; %bb.2087:
	global_load_b64 v[4:5], v[2:3], off
	s_mov_b32 s18, 0
	s_mov_b32 s23, -1
	s_mov_b32 s24, 0
	s_wait_loadcnt 0x0
	v_clz_i32_u32_e32 v1, v5
	s_delay_alu instid0(VALU_DEP_1) | instskip(NEXT) | instid1(VALU_DEP_1)
	v_min_u32_e32 v1, 32, v1
	v_lshlrev_b64_e32 v[4:5], v1, v[4:5]
	v_sub_nc_u32_e32 v1, 32, v1
	s_delay_alu instid0(VALU_DEP_2) | instskip(NEXT) | instid1(VALU_DEP_1)
	v_min_u32_e32 v4, 1, v4
	v_or_b32_e32 v4, v5, v4
	s_delay_alu instid0(VALU_DEP_1) | instskip(NEXT) | instid1(VALU_DEP_1)
	v_cvt_f32_u32_e32 v4, v4
	v_ldexp_f32 v1, v4, v1
	s_delay_alu instid0(VALU_DEP_1) | instskip(NEXT) | instid1(VALU_DEP_1)
	v_bfe_u32 v4, v1, 16, 1
	v_add3_u32 v1, v1, v4, 0x7fff
	s_delay_alu instid0(VALU_DEP_1)
	v_lshrrev_b32_e32 v9, 16, v1
	s_branch .LBB174_2090
.LBB174_2088:
	s_mov_b32 s18, -1
                                        ; implicit-def: $vgpr9
.LBB174_2089:
	s_mov_b32 s24, 0
.LBB174_2090:
	s_delay_alu instid0(SALU_CYCLE_1)
	s_and_b32 vcc_lo, exec_lo, s24
	s_cbranch_vccz .LBB174_2108
; %bb.2091:
	s_cmp_lt_i32 s0, 27
	s_cbranch_scc1 .LBB174_2094
; %bb.2092:
	s_cmp_gt_i32 s0, 27
	s_cbranch_scc0 .LBB174_2095
; %bb.2093:
	global_load_b32 v1, v[2:3], off
	s_mov_b32 s23, 0
	s_wait_loadcnt 0x0
	v_cvt_f32_u32_e32 v1, v1
	s_delay_alu instid0(VALU_DEP_1) | instskip(NEXT) | instid1(VALU_DEP_1)
	v_bfe_u32 v4, v1, 16, 1
	v_add3_u32 v1, v1, v4, 0x7fff
	s_delay_alu instid0(VALU_DEP_1)
	v_lshrrev_b32_e32 v9, 16, v1
	s_branch .LBB174_2096
.LBB174_2094:
	s_mov_b32 s23, -1
                                        ; implicit-def: $vgpr9
	s_branch .LBB174_2099
.LBB174_2095:
	s_mov_b32 s23, -1
                                        ; implicit-def: $vgpr9
.LBB174_2096:
	s_delay_alu instid0(SALU_CYCLE_1)
	s_and_not1_b32 vcc_lo, exec_lo, s23
	s_cbranch_vccnz .LBB174_2098
; %bb.2097:
	global_load_u16 v1, v[2:3], off
	s_wait_loadcnt 0x0
	v_cvt_f32_u32_e32 v1, v1
	s_delay_alu instid0(VALU_DEP_1) | instskip(NEXT) | instid1(VALU_DEP_1)
	v_bfe_u32 v4, v1, 16, 1
	v_add3_u32 v1, v1, v4, 0x7fff
	s_delay_alu instid0(VALU_DEP_1)
	v_lshrrev_b32_e32 v9, 16, v1
.LBB174_2098:
	s_mov_b32 s23, 0
.LBB174_2099:
	s_delay_alu instid0(SALU_CYCLE_1)
	s_and_not1_b32 vcc_lo, exec_lo, s23
	s_cbranch_vccnz .LBB174_2107
; %bb.2100:
	global_load_u8 v1, v[2:3], off
	s_mov_b32 s23, 0
	s_mov_b32 s24, exec_lo
	s_wait_loadcnt 0x0
	v_cmpx_lt_i16_e32 0x7f, v1
	s_xor_b32 s24, exec_lo, s24
	s_cbranch_execz .LBB174_2120
; %bb.2101:
	s_mov_b32 s23, -1
	s_mov_b32 s25, exec_lo
	v_cmpx_eq_u16_e32 0x80, v1
; %bb.2102:
	s_xor_b32 s23, exec_lo, -1
; %bb.2103:
	s_or_b32 exec_lo, exec_lo, s25
	s_delay_alu instid0(SALU_CYCLE_1)
	s_and_b32 s23, s23, exec_lo
	s_or_saveexec_b32 s24, s24
	v_mov_b32_e32 v4, 0x7f800001
	s_xor_b32 exec_lo, exec_lo, s24
	s_cbranch_execnz .LBB174_2121
.LBB174_2104:
	s_or_b32 exec_lo, exec_lo, s24
	s_and_saveexec_b32 s24, s23
	s_cbranch_execz .LBB174_2106
.LBB174_2105:
	v_and_b32_e32 v4, 0xffff, v1
	s_delay_alu instid0(VALU_DEP_1) | instskip(SKIP_1) | instid1(VALU_DEP_2)
	v_and_b32_e32 v5, 7, v4
	v_bfe_u32 v9, v4, 3, 4
	v_clz_i32_u32_e32 v6, v5
	s_delay_alu instid0(VALU_DEP_2) | instskip(NEXT) | instid1(VALU_DEP_2)
	v_cmp_eq_u32_e32 vcc_lo, 0, v9
	v_min_u32_e32 v6, 32, v6
	s_delay_alu instid0(VALU_DEP_1) | instskip(NEXT) | instid1(VALU_DEP_1)
	v_subrev_nc_u32_e32 v7, 28, v6
	v_dual_lshlrev_b32 v4, v7, v4 :: v_dual_sub_nc_u32 v6, 29, v6
	s_delay_alu instid0(VALU_DEP_1) | instskip(NEXT) | instid1(VALU_DEP_2)
	v_dual_lshlrev_b32 v1, 24, v1 :: v_dual_bitop2_b32 v4, 7, v4 bitop3:0x40
	v_cndmask_b32_e32 v6, v9, v6, vcc_lo
	s_delay_alu instid0(VALU_DEP_2) | instskip(NEXT) | instid1(VALU_DEP_3)
	v_cndmask_b32_e32 v4, v5, v4, vcc_lo
	v_and_b32_e32 v1, 0x80000000, v1
	s_delay_alu instid0(VALU_DEP_3) | instskip(NEXT) | instid1(VALU_DEP_3)
	v_lshl_add_u32 v5, v6, 23, 0x3b800000
	v_lshlrev_b32_e32 v4, 20, v4
	s_delay_alu instid0(VALU_DEP_1)
	v_or3_b32 v4, v1, v5, v4
.LBB174_2106:
	s_or_b32 exec_lo, exec_lo, s24
	s_delay_alu instid0(VALU_DEP_1) | instskip(SKIP_1) | instid1(VALU_DEP_2)
	v_bfe_u32 v1, v4, 16, 1
	v_cmp_o_f32_e32 vcc_lo, v4, v4
	v_add3_u32 v1, v4, v1, 0x7fff
	s_delay_alu instid0(VALU_DEP_1) | instskip(NEXT) | instid1(VALU_DEP_1)
	v_lshrrev_b32_e32 v1, 16, v1
	v_cndmask_b32_e32 v9, 0x7fc0, v1, vcc_lo
.LBB174_2107:
	s_mov_b32 s23, -1
.LBB174_2108:
	s_branch .LBB174_2140
.LBB174_2109:
	s_cmp_gt_i32 s0, 22
	s_cbranch_scc0 .LBB174_2119
; %bb.2110:
	s_cmp_lt_i32 s0, 24
	s_cbranch_scc1 .LBB174_2122
; %bb.2111:
	s_cmp_gt_i32 s0, 24
	s_cbranch_scc0 .LBB174_2123
; %bb.2112:
	global_load_u8 v1, v[2:3], off
	s_mov_b32 s23, exec_lo
	s_wait_loadcnt 0x0
	v_cmpx_lt_i16_e32 0x7f, v1
	s_xor_b32 s23, exec_lo, s23
	s_cbranch_execz .LBB174_2134
; %bb.2113:
	s_mov_b32 s22, -1
	s_mov_b32 s24, exec_lo
	v_cmpx_eq_u16_e32 0x80, v1
; %bb.2114:
	s_xor_b32 s22, exec_lo, -1
; %bb.2115:
	s_or_b32 exec_lo, exec_lo, s24
	s_delay_alu instid0(SALU_CYCLE_1)
	s_and_b32 s22, s22, exec_lo
	s_or_saveexec_b32 s23, s23
	v_mov_b32_e32 v4, 0x7f800001
	s_xor_b32 exec_lo, exec_lo, s23
	s_cbranch_execnz .LBB174_2135
.LBB174_2116:
	s_or_b32 exec_lo, exec_lo, s23
	s_and_saveexec_b32 s23, s22
	s_cbranch_execz .LBB174_2118
.LBB174_2117:
	v_and_b32_e32 v4, 0xffff, v1
	s_delay_alu instid0(VALU_DEP_1) | instskip(SKIP_1) | instid1(VALU_DEP_2)
	v_and_b32_e32 v5, 3, v4
	v_bfe_u32 v9, v4, 2, 5
	v_clz_i32_u32_e32 v6, v5
	s_delay_alu instid0(VALU_DEP_2) | instskip(NEXT) | instid1(VALU_DEP_2)
	v_cmp_eq_u32_e32 vcc_lo, 0, v9
	v_min_u32_e32 v6, 32, v6
	s_delay_alu instid0(VALU_DEP_1) | instskip(NEXT) | instid1(VALU_DEP_1)
	v_subrev_nc_u32_e32 v7, 29, v6
	v_dual_lshlrev_b32 v4, v7, v4 :: v_dual_sub_nc_u32 v6, 30, v6
	s_delay_alu instid0(VALU_DEP_1) | instskip(NEXT) | instid1(VALU_DEP_2)
	v_dual_lshlrev_b32 v1, 24, v1 :: v_dual_bitop2_b32 v4, 3, v4 bitop3:0x40
	v_cndmask_b32_e32 v6, v9, v6, vcc_lo
	s_delay_alu instid0(VALU_DEP_2) | instskip(NEXT) | instid1(VALU_DEP_3)
	v_cndmask_b32_e32 v4, v5, v4, vcc_lo
	v_and_b32_e32 v1, 0x80000000, v1
	s_delay_alu instid0(VALU_DEP_3) | instskip(NEXT) | instid1(VALU_DEP_3)
	v_lshl_add_u32 v5, v6, 23, 0x37800000
	v_lshlrev_b32_e32 v4, 21, v4
	s_delay_alu instid0(VALU_DEP_1)
	v_or3_b32 v4, v1, v5, v4
.LBB174_2118:
	s_or_b32 exec_lo, exec_lo, s23
	s_delay_alu instid0(VALU_DEP_1) | instskip(SKIP_2) | instid1(VALU_DEP_2)
	v_bfe_u32 v1, v4, 16, 1
	v_cmp_o_f32_e32 vcc_lo, v4, v4
	s_mov_b32 s22, 0
	v_add3_u32 v1, v4, v1, 0x7fff
	s_delay_alu instid0(VALU_DEP_1) | instskip(NEXT) | instid1(VALU_DEP_1)
	v_lshrrev_b32_e32 v1, 16, v1
	v_cndmask_b32_e32 v9, 0x7fc0, v1, vcc_lo
	s_branch .LBB174_2124
.LBB174_2119:
                                        ; implicit-def: $vgpr9
	s_mov_b32 s22, 0
	s_branch .LBB174_2130
.LBB174_2120:
	s_or_saveexec_b32 s24, s24
	v_mov_b32_e32 v4, 0x7f800001
	s_xor_b32 exec_lo, exec_lo, s24
	s_cbranch_execz .LBB174_2104
.LBB174_2121:
	v_cmp_ne_u16_e32 vcc_lo, 0, v1
	v_mov_b32_e32 v4, 0
	s_and_not1_b32 s23, s23, exec_lo
	s_and_b32 s25, vcc_lo, exec_lo
	s_delay_alu instid0(SALU_CYCLE_1)
	s_or_b32 s23, s23, s25
	s_or_b32 exec_lo, exec_lo, s24
	s_and_saveexec_b32 s24, s23
	s_cbranch_execnz .LBB174_2105
	s_branch .LBB174_2106
.LBB174_2122:
	s_mov_b32 s22, -1
                                        ; implicit-def: $vgpr9
	s_branch .LBB174_2127
.LBB174_2123:
	s_mov_b32 s22, -1
                                        ; implicit-def: $vgpr9
.LBB174_2124:
	s_delay_alu instid0(SALU_CYCLE_1)
	s_and_b32 vcc_lo, exec_lo, s22
	s_cbranch_vccz .LBB174_2126
; %bb.2125:
	global_load_u8 v1, v[2:3], off
	s_wait_loadcnt 0x0
	v_lshlrev_b32_e32 v1, 24, v1
	s_delay_alu instid0(VALU_DEP_1) | instskip(NEXT) | instid1(VALU_DEP_1)
	v_and_b32_e32 v4, 0x7f000000, v1
	v_clz_i32_u32_e32 v5, v4
	v_cmp_ne_u32_e32 vcc_lo, 0, v4
	v_add_nc_u32_e32 v7, 0x1000000, v4
	s_delay_alu instid0(VALU_DEP_3) | instskip(NEXT) | instid1(VALU_DEP_1)
	v_min_u32_e32 v5, 32, v5
	v_sub_nc_u32_e64 v5, v5, 4 clamp
	s_delay_alu instid0(VALU_DEP_1) | instskip(NEXT) | instid1(VALU_DEP_1)
	v_dual_lshlrev_b32 v6, v5, v4 :: v_dual_lshlrev_b32 v5, 23, v5
	v_lshrrev_b32_e32 v6, 4, v6
	s_delay_alu instid0(VALU_DEP_1) | instskip(NEXT) | instid1(VALU_DEP_1)
	v_dual_sub_nc_u32 v5, v6, v5 :: v_dual_ashrrev_i32 v6, 8, v7
	v_add_nc_u32_e32 v5, 0x3c000000, v5
	s_delay_alu instid0(VALU_DEP_1) | instskip(NEXT) | instid1(VALU_DEP_1)
	v_and_or_b32 v5, 0x7f800000, v6, v5
	v_cndmask_b32_e32 v4, 0, v5, vcc_lo
	s_delay_alu instid0(VALU_DEP_1) | instskip(SKIP_1) | instid1(VALU_DEP_2)
	v_and_or_b32 v1, 0x80000000, v1, v4
	v_bfe_u32 v4, v4, 16, 1
	v_cmp_o_f32_e32 vcc_lo, v1, v1
	s_delay_alu instid0(VALU_DEP_2) | instskip(NEXT) | instid1(VALU_DEP_1)
	v_add3_u32 v4, v1, v4, 0x7fff
	v_lshrrev_b32_e32 v4, 16, v4
	s_delay_alu instid0(VALU_DEP_1)
	v_cndmask_b32_e32 v9, 0x7fc0, v4, vcc_lo
.LBB174_2126:
	s_mov_b32 s22, 0
.LBB174_2127:
	s_delay_alu instid0(SALU_CYCLE_1)
	s_and_not1_b32 vcc_lo, exec_lo, s22
	s_cbranch_vccnz .LBB174_2129
; %bb.2128:
	global_load_u8 v1, v[2:3], off
	s_wait_loadcnt 0x0
	v_lshlrev_b32_e32 v4, 25, v1
	v_lshlrev_b16 v1, 8, v1
	s_delay_alu instid0(VALU_DEP_1) | instskip(SKIP_1) | instid1(VALU_DEP_2)
	v_and_or_b32 v6, 0x7f00, v1, 0.5
	v_bfe_i32 v1, v1, 0, 16
	v_dual_add_f32 v6, -0.5, v6 :: v_dual_lshrrev_b32 v5, 4, v4
	v_cmp_gt_u32_e32 vcc_lo, 0x8000000, v4
	s_delay_alu instid0(VALU_DEP_2) | instskip(NEXT) | instid1(VALU_DEP_1)
	v_or_b32_e32 v5, 0x70000000, v5
	v_mul_f32_e32 v5, 0x7800000, v5
	s_delay_alu instid0(VALU_DEP_1) | instskip(NEXT) | instid1(VALU_DEP_1)
	v_cndmask_b32_e32 v4, v5, v6, vcc_lo
	v_and_or_b32 v1, 0x80000000, v1, v4
	v_bfe_u32 v4, v4, 16, 1
	s_delay_alu instid0(VALU_DEP_2) | instskip(NEXT) | instid1(VALU_DEP_2)
	v_cmp_o_f32_e32 vcc_lo, v1, v1
	v_add3_u32 v4, v1, v4, 0x7fff
	s_delay_alu instid0(VALU_DEP_1) | instskip(NEXT) | instid1(VALU_DEP_1)
	v_lshrrev_b32_e32 v4, 16, v4
	v_cndmask_b32_e32 v9, 0x7fc0, v4, vcc_lo
.LBB174_2129:
	s_mov_b32 s23, -1
	s_mov_b32 s22, 0
	s_cbranch_execnz .LBB174_2140
.LBB174_2130:
	s_cmp_gt_i32 s0, 14
	s_cbranch_scc0 .LBB174_2133
; %bb.2131:
	s_cmp_eq_u32 s0, 15
	s_cbranch_scc0 .LBB174_2136
; %bb.2132:
	s_wait_loadcnt 0x0
	global_load_u16 v9, v[2:3], off
	s_mov_b32 s18, 0
	s_mov_b32 s23, -1
	s_branch .LBB174_2138
.LBB174_2133:
	s_mov_b32 s22, -1
	s_branch .LBB174_2137
.LBB174_2134:
	s_or_saveexec_b32 s23, s23
	v_mov_b32_e32 v4, 0x7f800001
	s_xor_b32 exec_lo, exec_lo, s23
	s_cbranch_execz .LBB174_2116
.LBB174_2135:
	v_cmp_ne_u16_e32 vcc_lo, 0, v1
	v_mov_b32_e32 v4, 0
	s_and_not1_b32 s22, s22, exec_lo
	s_and_b32 s24, vcc_lo, exec_lo
	s_delay_alu instid0(SALU_CYCLE_1)
	s_or_b32 s22, s22, s24
	s_or_b32 exec_lo, exec_lo, s23
	s_and_saveexec_b32 s23, s22
	s_cbranch_execnz .LBB174_2117
	s_branch .LBB174_2118
.LBB174_2136:
	s_mov_b32 s18, -1
.LBB174_2137:
                                        ; implicit-def: $vgpr9
.LBB174_2138:
	s_and_b32 vcc_lo, exec_lo, s22
	s_mov_b32 s22, 0
	s_cbranch_vccz .LBB174_2140
; %bb.2139:
	s_cmp_lg_u32 s0, 11
	s_mov_b32 s22, -1
	s_cselect_b32 s18, -1, 0
.LBB174_2140:
	s_delay_alu instid0(SALU_CYCLE_1)
	s_and_b32 vcc_lo, exec_lo, s18
	s_mov_b32 s18, s21
	s_cbranch_vccnz .LBB174_2201
; %bb.2141:
	s_and_not1_b32 vcc_lo, exec_lo, s22
	s_cbranch_vccnz .LBB174_2143
.LBB174_2142:
	global_load_u8 v1, v[2:3], off
	s_mov_b32 s23, -1
	s_wait_loadcnt 0x0
	v_cmp_ne_u16_e32 vcc_lo, 0, v1
	v_cndmask_b32_e64 v1, 0, 1.0, vcc_lo
	s_delay_alu instid0(VALU_DEP_1)
	v_lshrrev_b32_e32 v9, 16, v1
.LBB174_2143:
	s_branch .LBB174_2072
.LBB174_2144:
	s_and_b32 s0, 0xffff, s19
	s_delay_alu instid0(SALU_CYCLE_1)
	s_cmp_lt_i32 s0, 5
	s_cbranch_scc1 .LBB174_2149
; %bb.2145:
	s_cmp_lt_i32 s0, 8
	s_cbranch_scc1 .LBB174_2150
; %bb.2146:
	;; [unrolled: 3-line block ×3, first 2 shown]
	s_cmp_gt_i32 s0, 9
	s_cbranch_scc0 .LBB174_2152
; %bb.2148:
	global_load_b64 v[4:5], v[2:3], off
	s_mov_b32 s22, 0
	s_wait_loadcnt 0x0
	v_cvt_f32_f64_e32 v1, v[4:5]
	s_delay_alu instid0(VALU_DEP_1) | instskip(SKIP_1) | instid1(VALU_DEP_2)
	v_bfe_u32 v4, v1, 16, 1
	v_cmp_o_f32_e32 vcc_lo, v1, v1
	v_add3_u32 v4, v1, v4, 0x7fff
	s_delay_alu instid0(VALU_DEP_1) | instskip(NEXT) | instid1(VALU_DEP_1)
	v_lshrrev_b32_e32 v4, 16, v4
	v_cndmask_b32_e32 v9, 0x7fc0, v4, vcc_lo
	s_branch .LBB174_2153
.LBB174_2149:
                                        ; implicit-def: $vgpr9
	s_branch .LBB174_2170
.LBB174_2150:
                                        ; implicit-def: $vgpr9
	s_branch .LBB174_2159
.LBB174_2151:
	s_mov_b32 s22, -1
                                        ; implicit-def: $vgpr9
	s_branch .LBB174_2156
.LBB174_2152:
	s_mov_b32 s22, -1
                                        ; implicit-def: $vgpr9
.LBB174_2153:
	s_delay_alu instid0(SALU_CYCLE_1)
	s_and_not1_b32 vcc_lo, exec_lo, s22
	s_cbranch_vccnz .LBB174_2155
; %bb.2154:
	global_load_b32 v1, v[2:3], off
	s_wait_loadcnt 0x0
	v_bfe_u32 v4, v1, 16, 1
	v_cmp_o_f32_e32 vcc_lo, v1, v1
	s_delay_alu instid0(VALU_DEP_2) | instskip(NEXT) | instid1(VALU_DEP_1)
	v_add3_u32 v4, v1, v4, 0x7fff
	v_lshrrev_b32_e32 v4, 16, v4
	s_delay_alu instid0(VALU_DEP_1)
	v_cndmask_b32_e32 v9, 0x7fc0, v4, vcc_lo
.LBB174_2155:
	s_mov_b32 s22, 0
.LBB174_2156:
	s_delay_alu instid0(SALU_CYCLE_1)
	s_and_not1_b32 vcc_lo, exec_lo, s22
	s_cbranch_vccnz .LBB174_2158
; %bb.2157:
	global_load_b32 v1, v[2:3], off
	s_wait_loadcnt 0x0
	v_cvt_f32_f16_e32 v4, v1
	v_cmp_o_f16_e32 vcc_lo, v1, v1
	s_delay_alu instid0(VALU_DEP_2) | instskip(NEXT) | instid1(VALU_DEP_1)
	v_bfe_u32 v5, v4, 16, 1
	v_add3_u32 v4, v4, v5, 0x7fff
	s_delay_alu instid0(VALU_DEP_1) | instskip(NEXT) | instid1(VALU_DEP_1)
	v_lshrrev_b32_e32 v4, 16, v4
	v_cndmask_b32_e32 v9, 0x7fc0, v4, vcc_lo
.LBB174_2158:
	s_cbranch_execnz .LBB174_2169
.LBB174_2159:
	s_cmp_lt_i32 s0, 6
	s_cbranch_scc1 .LBB174_2162
; %bb.2160:
	s_cmp_gt_i32 s0, 6
	s_cbranch_scc0 .LBB174_2163
; %bb.2161:
	global_load_b64 v[4:5], v[2:3], off
	s_mov_b32 s22, 0
	s_wait_loadcnt 0x0
	v_cvt_f32_f64_e32 v1, v[4:5]
	s_delay_alu instid0(VALU_DEP_1) | instskip(SKIP_1) | instid1(VALU_DEP_2)
	v_bfe_u32 v4, v1, 16, 1
	v_cmp_o_f32_e32 vcc_lo, v1, v1
	v_add3_u32 v4, v1, v4, 0x7fff
	s_delay_alu instid0(VALU_DEP_1) | instskip(NEXT) | instid1(VALU_DEP_1)
	v_lshrrev_b32_e32 v4, 16, v4
	v_cndmask_b32_e32 v9, 0x7fc0, v4, vcc_lo
	s_branch .LBB174_2164
.LBB174_2162:
	s_mov_b32 s22, -1
                                        ; implicit-def: $vgpr9
	s_branch .LBB174_2167
.LBB174_2163:
	s_mov_b32 s22, -1
                                        ; implicit-def: $vgpr9
.LBB174_2164:
	s_delay_alu instid0(SALU_CYCLE_1)
	s_and_not1_b32 vcc_lo, exec_lo, s22
	s_cbranch_vccnz .LBB174_2166
; %bb.2165:
	global_load_b32 v1, v[2:3], off
	s_wait_loadcnt 0x0
	v_bfe_u32 v4, v1, 16, 1
	v_cmp_o_f32_e32 vcc_lo, v1, v1
	s_delay_alu instid0(VALU_DEP_2) | instskip(NEXT) | instid1(VALU_DEP_1)
	v_add3_u32 v4, v1, v4, 0x7fff
	v_lshrrev_b32_e32 v4, 16, v4
	s_delay_alu instid0(VALU_DEP_1)
	v_cndmask_b32_e32 v9, 0x7fc0, v4, vcc_lo
.LBB174_2166:
	s_mov_b32 s22, 0
.LBB174_2167:
	s_delay_alu instid0(SALU_CYCLE_1)
	s_and_not1_b32 vcc_lo, exec_lo, s22
	s_cbranch_vccnz .LBB174_2169
; %bb.2168:
	global_load_u16 v1, v[2:3], off
	s_wait_loadcnt 0x0
	v_cvt_f32_f16_e32 v4, v1
	v_cmp_o_f16_e32 vcc_lo, v1, v1
	s_delay_alu instid0(VALU_DEP_2) | instskip(NEXT) | instid1(VALU_DEP_1)
	v_bfe_u32 v5, v4, 16, 1
	v_add3_u32 v4, v4, v5, 0x7fff
	s_delay_alu instid0(VALU_DEP_1) | instskip(NEXT) | instid1(VALU_DEP_1)
	v_lshrrev_b32_e32 v4, 16, v4
	v_cndmask_b32_e32 v9, 0x7fc0, v4, vcc_lo
.LBB174_2169:
	s_cbranch_execnz .LBB174_2188
.LBB174_2170:
	s_cmp_lt_i32 s0, 2
	s_cbranch_scc1 .LBB174_2174
; %bb.2171:
	s_cmp_lt_i32 s0, 3
	s_cbranch_scc1 .LBB174_2175
; %bb.2172:
	s_cmp_gt_i32 s0, 3
	s_cbranch_scc0 .LBB174_2176
; %bb.2173:
	global_load_b64 v[4:5], v[2:3], off
	s_mov_b32 s22, 0
	s_wait_loadcnt 0x0
	v_xor_b32_e32 v1, v4, v5
	v_cls_i32_e32 v6, v5
	s_delay_alu instid0(VALU_DEP_2) | instskip(NEXT) | instid1(VALU_DEP_1)
	v_ashrrev_i32_e32 v1, 31, v1
	v_add_nc_u32_e32 v1, 32, v1
	s_delay_alu instid0(VALU_DEP_1) | instskip(NEXT) | instid1(VALU_DEP_1)
	v_add_min_u32_e64 v1, v6, -1, v1
	v_lshlrev_b64_e32 v[4:5], v1, v[4:5]
	v_sub_nc_u32_e32 v1, 32, v1
	s_delay_alu instid0(VALU_DEP_2) | instskip(NEXT) | instid1(VALU_DEP_1)
	v_min_u32_e32 v4, 1, v4
	v_or_b32_e32 v4, v5, v4
	s_delay_alu instid0(VALU_DEP_1) | instskip(NEXT) | instid1(VALU_DEP_1)
	v_cvt_f32_i32_e32 v4, v4
	v_ldexp_f32 v1, v4, v1
	s_delay_alu instid0(VALU_DEP_1) | instskip(NEXT) | instid1(VALU_DEP_1)
	v_bfe_u32 v4, v1, 16, 1
	v_add3_u32 v1, v1, v4, 0x7fff
	s_delay_alu instid0(VALU_DEP_1)
	v_lshrrev_b32_e32 v9, 16, v1
	s_branch .LBB174_2177
.LBB174_2174:
                                        ; implicit-def: $vgpr9
	s_branch .LBB174_2183
.LBB174_2175:
	s_mov_b32 s22, -1
                                        ; implicit-def: $vgpr9
	s_branch .LBB174_2180
.LBB174_2176:
	s_mov_b32 s22, -1
                                        ; implicit-def: $vgpr9
.LBB174_2177:
	s_delay_alu instid0(SALU_CYCLE_1)
	s_and_not1_b32 vcc_lo, exec_lo, s22
	s_cbranch_vccnz .LBB174_2179
; %bb.2178:
	global_load_b32 v1, v[2:3], off
	s_wait_loadcnt 0x0
	v_cvt_f32_i32_e32 v1, v1
	s_delay_alu instid0(VALU_DEP_1) | instskip(NEXT) | instid1(VALU_DEP_1)
	v_bfe_u32 v4, v1, 16, 1
	v_add3_u32 v1, v1, v4, 0x7fff
	s_delay_alu instid0(VALU_DEP_1)
	v_lshrrev_b32_e32 v9, 16, v1
.LBB174_2179:
	s_mov_b32 s22, 0
.LBB174_2180:
	s_delay_alu instid0(SALU_CYCLE_1)
	s_and_not1_b32 vcc_lo, exec_lo, s22
	s_cbranch_vccnz .LBB174_2182
; %bb.2181:
	global_load_i16 v1, v[2:3], off
	s_wait_loadcnt 0x0
	v_cvt_f32_i32_e32 v1, v1
	s_delay_alu instid0(VALU_DEP_1) | instskip(NEXT) | instid1(VALU_DEP_1)
	v_bfe_u32 v4, v1, 16, 1
	v_add3_u32 v1, v1, v4, 0x7fff
	s_delay_alu instid0(VALU_DEP_1)
	v_lshrrev_b32_e32 v9, 16, v1
.LBB174_2182:
	s_cbranch_execnz .LBB174_2188
.LBB174_2183:
	s_cmp_gt_i32 s0, 0
	s_mov_b32 s0, 0
	s_cbranch_scc0 .LBB174_2185
; %bb.2184:
	global_load_i8 v1, v[2:3], off
	s_wait_loadcnt 0x0
	v_cvt_f32_i32_e32 v1, v1
	s_delay_alu instid0(VALU_DEP_1) | instskip(NEXT) | instid1(VALU_DEP_1)
	v_bfe_u32 v4, v1, 16, 1
	v_add3_u32 v1, v1, v4, 0x7fff
	s_delay_alu instid0(VALU_DEP_1)
	v_lshrrev_b32_e32 v9, 16, v1
	s_branch .LBB174_2186
.LBB174_2185:
	s_mov_b32 s0, -1
                                        ; implicit-def: $vgpr9
.LBB174_2186:
	s_delay_alu instid0(SALU_CYCLE_1)
	s_and_not1_b32 vcc_lo, exec_lo, s0
	s_cbranch_vccnz .LBB174_2188
; %bb.2187:
	global_load_u8 v1, v[2:3], off
	s_wait_loadcnt 0x0
	v_cvt_f32_ubyte0_e32 v1, v1
	s_wait_xcnt 0x0
	s_delay_alu instid0(VALU_DEP_1) | instskip(NEXT) | instid1(VALU_DEP_1)
	v_bfe_u32 v2, v1, 16, 1
	v_add3_u32 v1, v1, v2, 0x7fff
	s_delay_alu instid0(VALU_DEP_1)
	v_lshrrev_b32_e32 v9, 16, v1
.LBB174_2188:
.LBB174_2189:
	s_wait_xcnt 0x0
	v_mul_lo_u32 v2, s14, v8
	s_and_b32 s17, s17, 0xff
	s_delay_alu instid0(SALU_CYCLE_1) | instskip(NEXT) | instid1(VALU_DEP_1)
	s_cmp_lt_i32 s17, 11
	v_ashrrev_i32_e32 v3, 31, v2
	s_delay_alu instid0(VALU_DEP_1)
	v_add_nc_u64_e32 v[4:5], s[8:9], v[2:3]
	s_cbranch_scc1 .LBB174_2196
; %bb.2190:
	s_and_b32 s0, 0xffff, s17
	s_mov_b32 s23, 0
	s_cmp_gt_i32 s0, 25
	s_cbranch_scc0 .LBB174_2198
; %bb.2191:
	s_cmp_gt_i32 s0, 28
	s_cbranch_scc0 .LBB174_2199
; %bb.2192:
	;; [unrolled: 3-line block ×4, first 2 shown]
	s_cmp_eq_u32 s0, 46
	s_mov_b32 s25, 0
	s_cbranch_scc0 .LBB174_2205
; %bb.2195:
	global_load_b32 v10, v[4:5], off
	s_mov_b32 s22, 0
	s_mov_b32 s24, -1
	s_branch .LBB174_2207
.LBB174_2196:
	s_mov_b32 s24, 0
                                        ; implicit-def: $vgpr10
	s_cbranch_execnz .LBB174_2272
.LBB174_2197:
	s_and_not1_b32 vcc_lo, exec_lo, s24
	s_cbranch_vccnz .LBB174_4065
	s_branch .LBB174_2319
.LBB174_2198:
	s_mov_b32 s24, 0
	s_mov_b32 s22, 0
                                        ; implicit-def: $vgpr10
	s_cbranch_execnz .LBB174_2236
	s_branch .LBB174_2268
.LBB174_2199:
	s_mov_b32 s25, -1
	s_mov_b32 s24, 0
	s_mov_b32 s22, 0
                                        ; implicit-def: $vgpr10
	s_branch .LBB174_2217
.LBB174_2200:
	s_mov_b32 s25, -1
	s_mov_b32 s24, 0
	s_mov_b32 s22, 0
                                        ; implicit-def: $vgpr10
	s_branch .LBB174_2212
.LBB174_2201:
	s_or_b32 s18, s21, exec_lo
	s_trap 2
	s_cbranch_execz .LBB174_2142
	s_branch .LBB174_2143
.LBB174_2202:
	s_mov_b32 s25, -1
	s_mov_b32 s24, 0
	s_mov_b32 s22, 0
	s_branch .LBB174_2206
.LBB174_2203:
	s_and_not1_saveexec_b32 s29, s29
	s_cbranch_execz .LBB174_1988
.LBB174_2204:
	v_add_f32_e64 v3, 0x42800000, |v5|
	s_and_not1_b32 s28, s28, exec_lo
	s_delay_alu instid0(VALU_DEP_1) | instskip(NEXT) | instid1(VALU_DEP_1)
	v_and_b32_e32 v3, 0xff, v3
	v_cmp_ne_u32_e32 vcc_lo, 0, v3
	s_and_b32 s30, vcc_lo, exec_lo
	s_delay_alu instid0(SALU_CYCLE_1)
	s_or_b32 s28, s28, s30
	s_or_b32 exec_lo, exec_lo, s29
	v_mov_b32_e32 v6, 0
	s_and_saveexec_b32 s29, s28
	s_cbranch_execnz .LBB174_1989
	s_branch .LBB174_1990
.LBB174_2205:
	s_mov_b32 s22, -1
	s_mov_b32 s24, 0
.LBB174_2206:
                                        ; implicit-def: $vgpr10
.LBB174_2207:
	s_and_b32 vcc_lo, exec_lo, s25
	s_cbranch_vccz .LBB174_2211
; %bb.2208:
	s_cmp_eq_u32 s0, 44
	s_cbranch_scc0 .LBB174_2210
; %bb.2209:
	global_load_u8 v1, v[4:5], off
	s_mov_b32 s22, 0
	s_mov_b32 s24, -1
	s_wait_loadcnt 0x0
	v_lshlrev_b32_e32 v3, 23, v1
	v_cmp_ne_u32_e32 vcc_lo, 0xff, v1
	s_delay_alu instid0(VALU_DEP_2) | instskip(SKIP_1) | instid1(VALU_DEP_2)
	v_cndmask_b32_e32 v3, 0x7f800001, v3, vcc_lo
	v_cmp_ne_u32_e32 vcc_lo, 0, v1
	v_cndmask_b32_e32 v1, 0x400000, v3, vcc_lo
	s_delay_alu instid0(VALU_DEP_1) | instskip(SKIP_1) | instid1(VALU_DEP_2)
	v_add_nc_u32_e32 v3, 0x7fff, v1
	v_cmp_o_f32_e32 vcc_lo, v1, v1
	v_lshrrev_b32_e32 v3, 16, v3
	s_delay_alu instid0(VALU_DEP_1)
	v_cndmask_b32_e32 v10, 0x7fc0, v3, vcc_lo
	s_branch .LBB174_2211
.LBB174_2210:
	s_mov_b32 s22, -1
                                        ; implicit-def: $vgpr10
.LBB174_2211:
	s_mov_b32 s25, 0
.LBB174_2212:
	s_delay_alu instid0(SALU_CYCLE_1)
	s_and_b32 vcc_lo, exec_lo, s25
	s_cbranch_vccz .LBB174_2216
; %bb.2213:
	s_cmp_eq_u32 s0, 29
	s_cbranch_scc0 .LBB174_2215
; %bb.2214:
	global_load_b64 v[6:7], v[4:5], off
	s_mov_b32 s22, 0
	s_mov_b32 s24, -1
	s_mov_b32 s25, 0
	s_wait_loadcnt 0x0
	v_clz_i32_u32_e32 v1, v7
	s_delay_alu instid0(VALU_DEP_1) | instskip(NEXT) | instid1(VALU_DEP_1)
	v_min_u32_e32 v1, 32, v1
	v_lshlrev_b64_e32 v[6:7], v1, v[6:7]
	v_sub_nc_u32_e32 v1, 32, v1
	s_delay_alu instid0(VALU_DEP_2) | instskip(NEXT) | instid1(VALU_DEP_1)
	v_min_u32_e32 v3, 1, v6
	v_or_b32_e32 v3, v7, v3
	s_delay_alu instid0(VALU_DEP_1) | instskip(NEXT) | instid1(VALU_DEP_1)
	v_cvt_f32_u32_e32 v3, v3
	v_ldexp_f32 v1, v3, v1
	s_delay_alu instid0(VALU_DEP_1) | instskip(NEXT) | instid1(VALU_DEP_1)
	v_bfe_u32 v3, v1, 16, 1
	v_add3_u32 v1, v1, v3, 0x7fff
	s_delay_alu instid0(VALU_DEP_1)
	v_lshrrev_b32_e32 v10, 16, v1
	s_branch .LBB174_2217
.LBB174_2215:
	s_mov_b32 s22, -1
                                        ; implicit-def: $vgpr10
.LBB174_2216:
	s_mov_b32 s25, 0
.LBB174_2217:
	s_delay_alu instid0(SALU_CYCLE_1)
	s_and_b32 vcc_lo, exec_lo, s25
	s_cbranch_vccz .LBB174_2235
; %bb.2218:
	s_cmp_lt_i32 s0, 27
	s_cbranch_scc1 .LBB174_2221
; %bb.2219:
	s_cmp_gt_i32 s0, 27
	s_cbranch_scc0 .LBB174_2222
; %bb.2220:
	global_load_b32 v1, v[4:5], off
	s_mov_b32 s24, 0
	s_wait_loadcnt 0x0
	v_cvt_f32_u32_e32 v1, v1
	s_delay_alu instid0(VALU_DEP_1) | instskip(NEXT) | instid1(VALU_DEP_1)
	v_bfe_u32 v3, v1, 16, 1
	v_add3_u32 v1, v1, v3, 0x7fff
	s_delay_alu instid0(VALU_DEP_1)
	v_lshrrev_b32_e32 v10, 16, v1
	s_branch .LBB174_2223
.LBB174_2221:
	s_mov_b32 s24, -1
                                        ; implicit-def: $vgpr10
	s_branch .LBB174_2226
.LBB174_2222:
	s_mov_b32 s24, -1
                                        ; implicit-def: $vgpr10
.LBB174_2223:
	s_delay_alu instid0(SALU_CYCLE_1)
	s_and_not1_b32 vcc_lo, exec_lo, s24
	s_cbranch_vccnz .LBB174_2225
; %bb.2224:
	global_load_u16 v1, v[4:5], off
	s_wait_loadcnt 0x0
	v_cvt_f32_u32_e32 v1, v1
	s_delay_alu instid0(VALU_DEP_1) | instskip(NEXT) | instid1(VALU_DEP_1)
	v_bfe_u32 v3, v1, 16, 1
	v_add3_u32 v1, v1, v3, 0x7fff
	s_delay_alu instid0(VALU_DEP_1)
	v_lshrrev_b32_e32 v10, 16, v1
.LBB174_2225:
	s_mov_b32 s24, 0
.LBB174_2226:
	s_delay_alu instid0(SALU_CYCLE_1)
	s_and_not1_b32 vcc_lo, exec_lo, s24
	s_cbranch_vccnz .LBB174_2234
; %bb.2227:
	global_load_u8 v1, v[4:5], off
	s_mov_b32 s24, 0
	s_mov_b32 s25, exec_lo
	s_wait_loadcnt 0x0
	v_cmpx_lt_i16_e32 0x7f, v1
	s_xor_b32 s25, exec_lo, s25
	s_cbranch_execz .LBB174_2247
; %bb.2228:
	s_mov_b32 s24, -1
	s_mov_b32 s26, exec_lo
	v_cmpx_eq_u16_e32 0x80, v1
; %bb.2229:
	s_xor_b32 s24, exec_lo, -1
; %bb.2230:
	s_or_b32 exec_lo, exec_lo, s26
	s_delay_alu instid0(SALU_CYCLE_1)
	s_and_b32 s24, s24, exec_lo
	s_or_saveexec_b32 s25, s25
	v_mov_b32_e32 v3, 0x7f800001
	s_xor_b32 exec_lo, exec_lo, s25
	s_cbranch_execnz .LBB174_2248
.LBB174_2231:
	s_or_b32 exec_lo, exec_lo, s25
	s_and_saveexec_b32 s25, s24
	s_cbranch_execz .LBB174_2233
.LBB174_2232:
	v_and_b32_e32 v3, 0xffff, v1
	s_delay_alu instid0(VALU_DEP_1) | instskip(SKIP_1) | instid1(VALU_DEP_2)
	v_dual_lshlrev_b32 v1, 24, v1 :: v_dual_bitop2_b32 v6, 7, v3 bitop3:0x40
	v_bfe_u32 v11, v3, 3, 4
	v_and_b32_e32 v1, 0x80000000, v1
	s_delay_alu instid0(VALU_DEP_3) | instskip(NEXT) | instid1(VALU_DEP_3)
	v_clz_i32_u32_e32 v7, v6
	v_cmp_eq_u32_e32 vcc_lo, 0, v11
	s_delay_alu instid0(VALU_DEP_2) | instskip(NEXT) | instid1(VALU_DEP_1)
	v_min_u32_e32 v7, 32, v7
	v_subrev_nc_u32_e32 v10, 28, v7
	v_sub_nc_u32_e32 v7, 29, v7
	s_delay_alu instid0(VALU_DEP_2) | instskip(NEXT) | instid1(VALU_DEP_2)
	v_lshlrev_b32_e32 v3, v10, v3
	v_cndmask_b32_e32 v7, v11, v7, vcc_lo
	s_delay_alu instid0(VALU_DEP_2) | instskip(NEXT) | instid1(VALU_DEP_1)
	v_and_b32_e32 v3, 7, v3
	v_cndmask_b32_e32 v3, v6, v3, vcc_lo
	s_delay_alu instid0(VALU_DEP_3) | instskip(NEXT) | instid1(VALU_DEP_2)
	v_lshl_add_u32 v6, v7, 23, 0x3b800000
	v_lshlrev_b32_e32 v3, 20, v3
	s_delay_alu instid0(VALU_DEP_1)
	v_or3_b32 v3, v1, v6, v3
.LBB174_2233:
	s_or_b32 exec_lo, exec_lo, s25
	s_delay_alu instid0(VALU_DEP_1) | instskip(SKIP_1) | instid1(VALU_DEP_2)
	v_bfe_u32 v1, v3, 16, 1
	v_cmp_o_f32_e32 vcc_lo, v3, v3
	v_add3_u32 v1, v3, v1, 0x7fff
	s_delay_alu instid0(VALU_DEP_1) | instskip(NEXT) | instid1(VALU_DEP_1)
	v_lshrrev_b32_e32 v1, 16, v1
	v_cndmask_b32_e32 v10, 0x7fc0, v1, vcc_lo
.LBB174_2234:
	s_mov_b32 s24, -1
.LBB174_2235:
	s_branch .LBB174_2268
.LBB174_2236:
	s_cmp_gt_i32 s0, 22
	s_cbranch_scc0 .LBB174_2246
; %bb.2237:
	s_cmp_lt_i32 s0, 24
	s_cbranch_scc1 .LBB174_2249
; %bb.2238:
	s_cmp_gt_i32 s0, 24
	s_cbranch_scc0 .LBB174_2250
; %bb.2239:
	global_load_u8 v1, v[4:5], off
	s_mov_b32 s24, exec_lo
	s_wait_loadcnt 0x0
	v_cmpx_lt_i16_e32 0x7f, v1
	s_xor_b32 s24, exec_lo, s24
	s_cbranch_execz .LBB174_2262
; %bb.2240:
	s_mov_b32 s23, -1
	s_mov_b32 s25, exec_lo
	v_cmpx_eq_u16_e32 0x80, v1
; %bb.2241:
	s_xor_b32 s23, exec_lo, -1
; %bb.2242:
	s_or_b32 exec_lo, exec_lo, s25
	s_delay_alu instid0(SALU_CYCLE_1)
	s_and_b32 s23, s23, exec_lo
	s_or_saveexec_b32 s24, s24
	v_mov_b32_e32 v3, 0x7f800001
	s_xor_b32 exec_lo, exec_lo, s24
	s_cbranch_execnz .LBB174_2263
.LBB174_2243:
	s_or_b32 exec_lo, exec_lo, s24
	s_and_saveexec_b32 s24, s23
	s_cbranch_execz .LBB174_2245
.LBB174_2244:
	v_and_b32_e32 v3, 0xffff, v1
	s_delay_alu instid0(VALU_DEP_1) | instskip(SKIP_1) | instid1(VALU_DEP_2)
	v_dual_lshlrev_b32 v1, 24, v1 :: v_dual_bitop2_b32 v6, 3, v3 bitop3:0x40
	v_bfe_u32 v11, v3, 2, 5
	v_and_b32_e32 v1, 0x80000000, v1
	s_delay_alu instid0(VALU_DEP_3) | instskip(NEXT) | instid1(VALU_DEP_3)
	v_clz_i32_u32_e32 v7, v6
	v_cmp_eq_u32_e32 vcc_lo, 0, v11
	s_delay_alu instid0(VALU_DEP_2) | instskip(NEXT) | instid1(VALU_DEP_1)
	v_min_u32_e32 v7, 32, v7
	v_subrev_nc_u32_e32 v10, 29, v7
	v_sub_nc_u32_e32 v7, 30, v7
	s_delay_alu instid0(VALU_DEP_2) | instskip(NEXT) | instid1(VALU_DEP_2)
	v_lshlrev_b32_e32 v3, v10, v3
	v_cndmask_b32_e32 v7, v11, v7, vcc_lo
	s_delay_alu instid0(VALU_DEP_2) | instskip(NEXT) | instid1(VALU_DEP_1)
	v_and_b32_e32 v3, 3, v3
	v_cndmask_b32_e32 v3, v6, v3, vcc_lo
	s_delay_alu instid0(VALU_DEP_3) | instskip(NEXT) | instid1(VALU_DEP_2)
	v_lshl_add_u32 v6, v7, 23, 0x37800000
	v_lshlrev_b32_e32 v3, 21, v3
	s_delay_alu instid0(VALU_DEP_1)
	v_or3_b32 v3, v1, v6, v3
.LBB174_2245:
	s_or_b32 exec_lo, exec_lo, s24
	s_delay_alu instid0(VALU_DEP_1) | instskip(SKIP_2) | instid1(VALU_DEP_2)
	v_bfe_u32 v1, v3, 16, 1
	v_cmp_o_f32_e32 vcc_lo, v3, v3
	s_mov_b32 s23, 0
	v_add3_u32 v1, v3, v1, 0x7fff
	s_delay_alu instid0(VALU_DEP_1) | instskip(NEXT) | instid1(VALU_DEP_1)
	v_lshrrev_b32_e32 v1, 16, v1
	v_cndmask_b32_e32 v10, 0x7fc0, v1, vcc_lo
	s_branch .LBB174_2251
.LBB174_2246:
	s_mov_b32 s23, -1
                                        ; implicit-def: $vgpr10
	s_branch .LBB174_2257
.LBB174_2247:
	s_or_saveexec_b32 s25, s25
	v_mov_b32_e32 v3, 0x7f800001
	s_xor_b32 exec_lo, exec_lo, s25
	s_cbranch_execz .LBB174_2231
.LBB174_2248:
	v_cmp_ne_u16_e32 vcc_lo, 0, v1
	v_mov_b32_e32 v3, 0
	s_and_not1_b32 s24, s24, exec_lo
	s_and_b32 s26, vcc_lo, exec_lo
	s_delay_alu instid0(SALU_CYCLE_1)
	s_or_b32 s24, s24, s26
	s_or_b32 exec_lo, exec_lo, s25
	s_and_saveexec_b32 s25, s24
	s_cbranch_execnz .LBB174_2232
	s_branch .LBB174_2233
.LBB174_2249:
	s_mov_b32 s23, -1
                                        ; implicit-def: $vgpr10
	s_branch .LBB174_2254
.LBB174_2250:
	s_mov_b32 s23, -1
                                        ; implicit-def: $vgpr10
.LBB174_2251:
	s_delay_alu instid0(SALU_CYCLE_1)
	s_and_b32 vcc_lo, exec_lo, s23
	s_cbranch_vccz .LBB174_2253
; %bb.2252:
	global_load_u8 v1, v[4:5], off
	s_wait_loadcnt 0x0
	v_lshlrev_b32_e32 v1, 24, v1
	s_delay_alu instid0(VALU_DEP_1) | instskip(NEXT) | instid1(VALU_DEP_1)
	v_and_b32_e32 v3, 0x7f000000, v1
	v_clz_i32_u32_e32 v6, v3
	v_cmp_ne_u32_e32 vcc_lo, 0, v3
	v_add_nc_u32_e32 v10, 0x1000000, v3
	s_delay_alu instid0(VALU_DEP_3) | instskip(NEXT) | instid1(VALU_DEP_1)
	v_min_u32_e32 v6, 32, v6
	v_sub_nc_u32_e64 v6, v6, 4 clamp
	s_delay_alu instid0(VALU_DEP_1) | instskip(NEXT) | instid1(VALU_DEP_1)
	v_dual_lshlrev_b32 v7, v6, v3 :: v_dual_lshlrev_b32 v6, 23, v6
	v_lshrrev_b32_e32 v7, 4, v7
	s_delay_alu instid0(VALU_DEP_1) | instskip(SKIP_1) | instid1(VALU_DEP_2)
	v_sub_nc_u32_e32 v6, v7, v6
	v_ashrrev_i32_e32 v7, 8, v10
	v_add_nc_u32_e32 v6, 0x3c000000, v6
	s_delay_alu instid0(VALU_DEP_1) | instskip(NEXT) | instid1(VALU_DEP_1)
	v_and_or_b32 v6, 0x7f800000, v7, v6
	v_cndmask_b32_e32 v3, 0, v6, vcc_lo
	s_delay_alu instid0(VALU_DEP_1) | instskip(SKIP_1) | instid1(VALU_DEP_2)
	v_and_or_b32 v1, 0x80000000, v1, v3
	v_bfe_u32 v3, v3, 16, 1
	v_cmp_o_f32_e32 vcc_lo, v1, v1
	s_delay_alu instid0(VALU_DEP_2) | instskip(NEXT) | instid1(VALU_DEP_1)
	v_add3_u32 v3, v1, v3, 0x7fff
	v_lshrrev_b32_e32 v3, 16, v3
	s_delay_alu instid0(VALU_DEP_1)
	v_cndmask_b32_e32 v10, 0x7fc0, v3, vcc_lo
.LBB174_2253:
	s_mov_b32 s23, 0
.LBB174_2254:
	s_delay_alu instid0(SALU_CYCLE_1)
	s_and_not1_b32 vcc_lo, exec_lo, s23
	s_cbranch_vccnz .LBB174_2256
; %bb.2255:
	global_load_u8 v1, v[4:5], off
	s_wait_loadcnt 0x0
	v_lshlrev_b32_e32 v3, 25, v1
	v_lshlrev_b16 v1, 8, v1
	s_delay_alu instid0(VALU_DEP_1) | instskip(SKIP_1) | instid1(VALU_DEP_2)
	v_and_or_b32 v7, 0x7f00, v1, 0.5
	v_bfe_i32 v1, v1, 0, 16
	v_add_f32_e32 v7, -0.5, v7
	v_lshrrev_b32_e32 v6, 4, v3
	v_cmp_gt_u32_e32 vcc_lo, 0x8000000, v3
	s_delay_alu instid0(VALU_DEP_2) | instskip(NEXT) | instid1(VALU_DEP_1)
	v_or_b32_e32 v6, 0x70000000, v6
	v_mul_f32_e32 v6, 0x7800000, v6
	s_delay_alu instid0(VALU_DEP_1) | instskip(NEXT) | instid1(VALU_DEP_1)
	v_cndmask_b32_e32 v3, v6, v7, vcc_lo
	v_and_or_b32 v1, 0x80000000, v1, v3
	v_bfe_u32 v3, v3, 16, 1
	s_delay_alu instid0(VALU_DEP_2) | instskip(NEXT) | instid1(VALU_DEP_2)
	v_cmp_o_f32_e32 vcc_lo, v1, v1
	v_add3_u32 v3, v1, v3, 0x7fff
	s_delay_alu instid0(VALU_DEP_1) | instskip(NEXT) | instid1(VALU_DEP_1)
	v_lshrrev_b32_e32 v3, 16, v3
	v_cndmask_b32_e32 v10, 0x7fc0, v3, vcc_lo
.LBB174_2256:
	s_mov_b32 s23, 0
	s_mov_b32 s24, -1
.LBB174_2257:
	s_and_not1_b32 vcc_lo, exec_lo, s23
	s_mov_b32 s23, 0
	s_cbranch_vccnz .LBB174_2268
; %bb.2258:
	s_cmp_gt_i32 s0, 14
	s_cbranch_scc0 .LBB174_2261
; %bb.2259:
	s_cmp_eq_u32 s0, 15
	s_cbranch_scc0 .LBB174_2264
; %bb.2260:
	s_wait_loadcnt 0x0
	global_load_u16 v10, v[4:5], off
	s_mov_b32 s22, 0
	s_mov_b32 s24, -1
	s_branch .LBB174_2266
.LBB174_2261:
	s_mov_b32 s23, -1
	s_branch .LBB174_2265
.LBB174_2262:
	s_or_saveexec_b32 s24, s24
	v_mov_b32_e32 v3, 0x7f800001
	s_xor_b32 exec_lo, exec_lo, s24
	s_cbranch_execz .LBB174_2243
.LBB174_2263:
	v_cmp_ne_u16_e32 vcc_lo, 0, v1
	v_mov_b32_e32 v3, 0
	s_and_not1_b32 s23, s23, exec_lo
	s_and_b32 s25, vcc_lo, exec_lo
	s_delay_alu instid0(SALU_CYCLE_1)
	s_or_b32 s23, s23, s25
	s_or_b32 exec_lo, exec_lo, s24
	s_and_saveexec_b32 s24, s23
	s_cbranch_execnz .LBB174_2244
	s_branch .LBB174_2245
.LBB174_2264:
	s_mov_b32 s22, -1
.LBB174_2265:
                                        ; implicit-def: $vgpr10
.LBB174_2266:
	s_and_b32 vcc_lo, exec_lo, s23
	s_mov_b32 s23, 0
	s_cbranch_vccz .LBB174_2268
; %bb.2267:
	s_cmp_lg_u32 s0, 11
	s_mov_b32 s23, -1
	s_cselect_b32 s22, -1, 0
.LBB174_2268:
	s_delay_alu instid0(SALU_CYCLE_1)
	s_and_b32 vcc_lo, exec_lo, s22
	s_cbranch_vccnz .LBB174_2331
; %bb.2269:
	s_and_not1_b32 vcc_lo, exec_lo, s23
	s_cbranch_vccnz .LBB174_2271
.LBB174_2270:
	global_load_u8 v1, v[4:5], off
	s_mov_b32 s24, -1
	s_wait_loadcnt 0x0
	v_cmp_ne_u16_e32 vcc_lo, 0, v1
	v_cndmask_b32_e64 v1, 0, 1.0, vcc_lo
	s_delay_alu instid0(VALU_DEP_1)
	v_lshrrev_b32_e32 v10, 16, v1
.LBB174_2271:
	s_branch .LBB174_2197
.LBB174_2272:
	s_and_b32 s0, 0xffff, s17
	s_delay_alu instid0(SALU_CYCLE_1)
	s_cmp_lt_i32 s0, 5
	s_cbranch_scc1 .LBB174_2277
; %bb.2273:
	s_cmp_lt_i32 s0, 8
	s_cbranch_scc1 .LBB174_2278
; %bb.2274:
	;; [unrolled: 3-line block ×3, first 2 shown]
	s_cmp_gt_i32 s0, 9
	s_cbranch_scc0 .LBB174_2280
; %bb.2276:
	global_load_b64 v[6:7], v[4:5], off
	s_mov_b32 s22, 0
	s_wait_loadcnt 0x0
	v_cvt_f32_f64_e32 v1, v[6:7]
	s_delay_alu instid0(VALU_DEP_1) | instskip(SKIP_1) | instid1(VALU_DEP_2)
	v_bfe_u32 v3, v1, 16, 1
	v_cmp_o_f32_e32 vcc_lo, v1, v1
	v_add3_u32 v3, v1, v3, 0x7fff
	s_delay_alu instid0(VALU_DEP_1) | instskip(NEXT) | instid1(VALU_DEP_1)
	v_lshrrev_b32_e32 v3, 16, v3
	v_cndmask_b32_e32 v10, 0x7fc0, v3, vcc_lo
	s_branch .LBB174_2281
.LBB174_2277:
                                        ; implicit-def: $vgpr10
	s_branch .LBB174_2299
.LBB174_2278:
	s_mov_b32 s22, -1
                                        ; implicit-def: $vgpr10
	s_branch .LBB174_2287
.LBB174_2279:
	s_mov_b32 s22, -1
                                        ; implicit-def: $vgpr10
	s_branch .LBB174_2284
.LBB174_2280:
	s_mov_b32 s22, -1
                                        ; implicit-def: $vgpr10
.LBB174_2281:
	s_delay_alu instid0(SALU_CYCLE_1)
	s_and_not1_b32 vcc_lo, exec_lo, s22
	s_cbranch_vccnz .LBB174_2283
; %bb.2282:
	global_load_b32 v1, v[4:5], off
	s_wait_loadcnt 0x0
	v_bfe_u32 v3, v1, 16, 1
	v_cmp_o_f32_e32 vcc_lo, v1, v1
	s_delay_alu instid0(VALU_DEP_2) | instskip(NEXT) | instid1(VALU_DEP_1)
	v_add3_u32 v3, v1, v3, 0x7fff
	v_lshrrev_b32_e32 v3, 16, v3
	s_delay_alu instid0(VALU_DEP_1)
	v_cndmask_b32_e32 v10, 0x7fc0, v3, vcc_lo
.LBB174_2283:
	s_mov_b32 s22, 0
.LBB174_2284:
	s_delay_alu instid0(SALU_CYCLE_1)
	s_and_not1_b32 vcc_lo, exec_lo, s22
	s_cbranch_vccnz .LBB174_2286
; %bb.2285:
	global_load_b32 v1, v[4:5], off
	s_wait_loadcnt 0x0
	v_cvt_f32_f16_e32 v3, v1
	v_cmp_o_f16_e32 vcc_lo, v1, v1
	s_delay_alu instid0(VALU_DEP_2) | instskip(NEXT) | instid1(VALU_DEP_1)
	v_bfe_u32 v6, v3, 16, 1
	v_add3_u32 v3, v3, v6, 0x7fff
	s_delay_alu instid0(VALU_DEP_1) | instskip(NEXT) | instid1(VALU_DEP_1)
	v_lshrrev_b32_e32 v3, 16, v3
	v_cndmask_b32_e32 v10, 0x7fc0, v3, vcc_lo
.LBB174_2286:
	s_mov_b32 s22, 0
.LBB174_2287:
	s_delay_alu instid0(SALU_CYCLE_1)
	s_and_not1_b32 vcc_lo, exec_lo, s22
	s_cbranch_vccnz .LBB174_2298
; %bb.2288:
	s_cmp_lt_i32 s0, 6
	s_cbranch_scc1 .LBB174_2291
; %bb.2289:
	s_cmp_gt_i32 s0, 6
	s_cbranch_scc0 .LBB174_2292
; %bb.2290:
	global_load_b64 v[6:7], v[4:5], off
	s_mov_b32 s22, 0
	s_wait_loadcnt 0x0
	v_cvt_f32_f64_e32 v1, v[6:7]
	s_delay_alu instid0(VALU_DEP_1) | instskip(SKIP_1) | instid1(VALU_DEP_2)
	v_bfe_u32 v3, v1, 16, 1
	v_cmp_o_f32_e32 vcc_lo, v1, v1
	v_add3_u32 v3, v1, v3, 0x7fff
	s_delay_alu instid0(VALU_DEP_1) | instskip(NEXT) | instid1(VALU_DEP_1)
	v_lshrrev_b32_e32 v3, 16, v3
	v_cndmask_b32_e32 v10, 0x7fc0, v3, vcc_lo
	s_branch .LBB174_2293
.LBB174_2291:
	s_mov_b32 s22, -1
                                        ; implicit-def: $vgpr10
	s_branch .LBB174_2296
.LBB174_2292:
	s_mov_b32 s22, -1
                                        ; implicit-def: $vgpr10
.LBB174_2293:
	s_delay_alu instid0(SALU_CYCLE_1)
	s_and_not1_b32 vcc_lo, exec_lo, s22
	s_cbranch_vccnz .LBB174_2295
; %bb.2294:
	global_load_b32 v1, v[4:5], off
	s_wait_loadcnt 0x0
	v_bfe_u32 v3, v1, 16, 1
	v_cmp_o_f32_e32 vcc_lo, v1, v1
	s_delay_alu instid0(VALU_DEP_2) | instskip(NEXT) | instid1(VALU_DEP_1)
	v_add3_u32 v3, v1, v3, 0x7fff
	v_lshrrev_b32_e32 v3, 16, v3
	s_delay_alu instid0(VALU_DEP_1)
	v_cndmask_b32_e32 v10, 0x7fc0, v3, vcc_lo
.LBB174_2295:
	s_mov_b32 s22, 0
.LBB174_2296:
	s_delay_alu instid0(SALU_CYCLE_1)
	s_and_not1_b32 vcc_lo, exec_lo, s22
	s_cbranch_vccnz .LBB174_2298
; %bb.2297:
	global_load_u16 v1, v[4:5], off
	s_wait_loadcnt 0x0
	v_cvt_f32_f16_e32 v3, v1
	v_cmp_o_f16_e32 vcc_lo, v1, v1
	s_delay_alu instid0(VALU_DEP_2) | instskip(NEXT) | instid1(VALU_DEP_1)
	v_bfe_u32 v6, v3, 16, 1
	v_add3_u32 v3, v3, v6, 0x7fff
	s_delay_alu instid0(VALU_DEP_1) | instskip(NEXT) | instid1(VALU_DEP_1)
	v_lshrrev_b32_e32 v3, 16, v3
	v_cndmask_b32_e32 v10, 0x7fc0, v3, vcc_lo
.LBB174_2298:
	s_cbranch_execnz .LBB174_2318
.LBB174_2299:
	s_cmp_lt_i32 s0, 2
	s_cbranch_scc1 .LBB174_2303
; %bb.2300:
	s_cmp_lt_i32 s0, 3
	s_cbranch_scc1 .LBB174_2304
; %bb.2301:
	s_cmp_gt_i32 s0, 3
	s_cbranch_scc0 .LBB174_2305
; %bb.2302:
	global_load_b64 v[6:7], v[4:5], off
	s_mov_b32 s22, 0
	s_wait_loadcnt 0x0
	v_xor_b32_e32 v1, v6, v7
	v_cls_i32_e32 v3, v7
	s_delay_alu instid0(VALU_DEP_2) | instskip(NEXT) | instid1(VALU_DEP_1)
	v_ashrrev_i32_e32 v1, 31, v1
	v_add_nc_u32_e32 v1, 32, v1
	s_delay_alu instid0(VALU_DEP_1) | instskip(NEXT) | instid1(VALU_DEP_1)
	v_add_min_u32_e64 v1, v3, -1, v1
	v_lshlrev_b64_e32 v[6:7], v1, v[6:7]
	v_sub_nc_u32_e32 v1, 32, v1
	s_delay_alu instid0(VALU_DEP_2) | instskip(NEXT) | instid1(VALU_DEP_1)
	v_min_u32_e32 v3, 1, v6
	v_or_b32_e32 v3, v7, v3
	s_delay_alu instid0(VALU_DEP_1) | instskip(NEXT) | instid1(VALU_DEP_1)
	v_cvt_f32_i32_e32 v3, v3
	v_ldexp_f32 v1, v3, v1
	s_delay_alu instid0(VALU_DEP_1) | instskip(NEXT) | instid1(VALU_DEP_1)
	v_bfe_u32 v3, v1, 16, 1
	v_add3_u32 v1, v1, v3, 0x7fff
	s_delay_alu instid0(VALU_DEP_1)
	v_lshrrev_b32_e32 v10, 16, v1
	s_branch .LBB174_2306
.LBB174_2303:
	s_mov_b32 s22, -1
                                        ; implicit-def: $vgpr10
	s_branch .LBB174_2312
.LBB174_2304:
	s_mov_b32 s22, -1
                                        ; implicit-def: $vgpr10
	s_branch .LBB174_2309
.LBB174_2305:
	s_mov_b32 s22, -1
                                        ; implicit-def: $vgpr10
.LBB174_2306:
	s_delay_alu instid0(SALU_CYCLE_1)
	s_and_not1_b32 vcc_lo, exec_lo, s22
	s_cbranch_vccnz .LBB174_2308
; %bb.2307:
	global_load_b32 v1, v[4:5], off
	s_wait_loadcnt 0x0
	v_cvt_f32_i32_e32 v1, v1
	s_delay_alu instid0(VALU_DEP_1) | instskip(NEXT) | instid1(VALU_DEP_1)
	v_bfe_u32 v3, v1, 16, 1
	v_add3_u32 v1, v1, v3, 0x7fff
	s_delay_alu instid0(VALU_DEP_1)
	v_lshrrev_b32_e32 v10, 16, v1
.LBB174_2308:
	s_mov_b32 s22, 0
.LBB174_2309:
	s_delay_alu instid0(SALU_CYCLE_1)
	s_and_not1_b32 vcc_lo, exec_lo, s22
	s_cbranch_vccnz .LBB174_2311
; %bb.2310:
	global_load_i16 v1, v[4:5], off
	s_wait_loadcnt 0x0
	v_cvt_f32_i32_e32 v1, v1
	s_delay_alu instid0(VALU_DEP_1) | instskip(NEXT) | instid1(VALU_DEP_1)
	v_bfe_u32 v3, v1, 16, 1
	v_add3_u32 v1, v1, v3, 0x7fff
	s_delay_alu instid0(VALU_DEP_1)
	v_lshrrev_b32_e32 v10, 16, v1
.LBB174_2311:
	s_mov_b32 s22, 0
.LBB174_2312:
	s_delay_alu instid0(SALU_CYCLE_1)
	s_and_not1_b32 vcc_lo, exec_lo, s22
	s_cbranch_vccnz .LBB174_2318
; %bb.2313:
	s_cmp_gt_i32 s0, 0
	s_mov_b32 s0, 0
	s_cbranch_scc0 .LBB174_2315
; %bb.2314:
	global_load_i8 v1, v[4:5], off
	s_wait_loadcnt 0x0
	v_cvt_f32_i32_e32 v1, v1
	s_delay_alu instid0(VALU_DEP_1) | instskip(NEXT) | instid1(VALU_DEP_1)
	v_bfe_u32 v3, v1, 16, 1
	v_add3_u32 v1, v1, v3, 0x7fff
	s_delay_alu instid0(VALU_DEP_1)
	v_lshrrev_b32_e32 v10, 16, v1
	s_branch .LBB174_2316
.LBB174_2315:
	s_mov_b32 s0, -1
                                        ; implicit-def: $vgpr10
.LBB174_2316:
	s_delay_alu instid0(SALU_CYCLE_1)
	s_and_not1_b32 vcc_lo, exec_lo, s0
	s_cbranch_vccnz .LBB174_2318
; %bb.2317:
	global_load_u8 v1, v[4:5], off
	s_wait_loadcnt 0x0
	v_cvt_f32_ubyte0_e32 v1, v1
	s_delay_alu instid0(VALU_DEP_1) | instskip(NEXT) | instid1(VALU_DEP_1)
	v_bfe_u32 v3, v1, 16, 1
	v_add3_u32 v1, v1, v3, 0x7fff
	s_delay_alu instid0(VALU_DEP_1)
	v_lshrrev_b32_e32 v10, 16, v1
.LBB174_2318:
.LBB174_2319:
	s_wait_xcnt 0x0
	v_mul_lo_u32 v4, s15, v8
	s_and_b32 s0, 0xffff, s2
	s_delay_alu instid0(SALU_CYCLE_1) | instskip(NEXT) | instid1(VALU_DEP_1)
	s_cmp_lt_i32 s0, 11
	v_ashrrev_i32_e32 v5, 31, v4
	s_delay_alu instid0(VALU_DEP_1)
	v_add_nc_u64_e32 v[6:7], s[10:11], v[4:5]
	s_cbranch_scc1 .LBB174_2326
; %bb.2320:
	s_cmp_gt_i32 s0, 25
	s_mov_b32 s22, 0
	s_cbranch_scc0 .LBB174_2328
; %bb.2321:
	s_cmp_gt_i32 s0, 28
	s_cbranch_scc0 .LBB174_2329
; %bb.2322:
	s_cmp_gt_i32 s0, 43
	;; [unrolled: 3-line block ×3, first 2 shown]
	s_cbranch_scc0 .LBB174_2332
; %bb.2324:
	s_cmp_eq_u32 s0, 46
	s_mov_b32 s24, 0
	s_cbranch_scc0 .LBB174_2333
; %bb.2325:
	global_load_b32 v11, v[6:7], off
	s_mov_b32 s2, 0
	s_mov_b32 s23, -1
	s_branch .LBB174_2335
.LBB174_2326:
	s_mov_b32 s23, 0
                                        ; implicit-def: $vgpr11
	s_cbranch_execnz .LBB174_2401
.LBB174_2327:
	s_and_not1_b32 vcc_lo, exec_lo, s23
	s_cbranch_vccnz .LBB174_4065
	s_branch .LBB174_2449
.LBB174_2328:
	s_mov_b32 s24, -1
	s_mov_b32 s23, 0
	s_mov_b32 s2, 0
                                        ; implicit-def: $vgpr11
	s_branch .LBB174_2364
.LBB174_2329:
	s_mov_b32 s24, -1
	s_mov_b32 s23, 0
	s_mov_b32 s2, 0
                                        ; implicit-def: $vgpr11
	s_branch .LBB174_2345
.LBB174_2330:
	s_mov_b32 s24, -1
	s_mov_b32 s23, 0
	s_mov_b32 s2, 0
                                        ; implicit-def: $vgpr11
	s_branch .LBB174_2340
.LBB174_2331:
	s_or_b32 s18, s18, exec_lo
	s_trap 2
	s_cbranch_execz .LBB174_2270
	s_branch .LBB174_2271
.LBB174_2332:
	s_mov_b32 s24, -1
	s_mov_b32 s23, 0
	s_mov_b32 s2, 0
	s_branch .LBB174_2334
.LBB174_2333:
	s_mov_b32 s2, -1
	s_mov_b32 s23, 0
.LBB174_2334:
                                        ; implicit-def: $vgpr11
.LBB174_2335:
	s_and_b32 vcc_lo, exec_lo, s24
	s_cbranch_vccz .LBB174_2339
; %bb.2336:
	s_cmp_eq_u32 s0, 44
	s_cbranch_scc0 .LBB174_2338
; %bb.2337:
	global_load_u8 v1, v[6:7], off
	s_mov_b32 s2, 0
	s_mov_b32 s23, -1
	s_wait_loadcnt 0x0
	v_lshlrev_b32_e32 v3, 23, v1
	v_cmp_ne_u32_e32 vcc_lo, 0xff, v1
	s_delay_alu instid0(VALU_DEP_2) | instskip(SKIP_1) | instid1(VALU_DEP_2)
	v_cndmask_b32_e32 v3, 0x7f800001, v3, vcc_lo
	v_cmp_ne_u32_e32 vcc_lo, 0, v1
	v_cndmask_b32_e32 v1, 0x400000, v3, vcc_lo
	s_delay_alu instid0(VALU_DEP_1) | instskip(SKIP_1) | instid1(VALU_DEP_2)
	v_add_nc_u32_e32 v3, 0x7fff, v1
	v_cmp_o_f32_e32 vcc_lo, v1, v1
	v_lshrrev_b32_e32 v3, 16, v3
	s_delay_alu instid0(VALU_DEP_1)
	v_cndmask_b32_e32 v11, 0x7fc0, v3, vcc_lo
	s_branch .LBB174_2339
.LBB174_2338:
	s_mov_b32 s2, -1
                                        ; implicit-def: $vgpr11
.LBB174_2339:
	s_mov_b32 s24, 0
.LBB174_2340:
	s_delay_alu instid0(SALU_CYCLE_1)
	s_and_b32 vcc_lo, exec_lo, s24
	s_cbranch_vccz .LBB174_2344
; %bb.2341:
	s_cmp_eq_u32 s0, 29
	s_cbranch_scc0 .LBB174_2343
; %bb.2342:
	global_load_b64 v[12:13], v[6:7], off
	s_mov_b32 s2, 0
	s_mov_b32 s23, -1
	s_mov_b32 s24, 0
	s_wait_loadcnt 0x0
	v_clz_i32_u32_e32 v1, v13
	s_delay_alu instid0(VALU_DEP_1) | instskip(NEXT) | instid1(VALU_DEP_1)
	v_min_u32_e32 v1, 32, v1
	v_lshlrev_b64_e32 v[12:13], v1, v[12:13]
	v_sub_nc_u32_e32 v1, 32, v1
	s_delay_alu instid0(VALU_DEP_2) | instskip(NEXT) | instid1(VALU_DEP_1)
	v_min_u32_e32 v3, 1, v12
	v_or_b32_e32 v3, v13, v3
	s_delay_alu instid0(VALU_DEP_1) | instskip(NEXT) | instid1(VALU_DEP_1)
	v_cvt_f32_u32_e32 v3, v3
	v_ldexp_f32 v1, v3, v1
	s_delay_alu instid0(VALU_DEP_1) | instskip(NEXT) | instid1(VALU_DEP_1)
	v_bfe_u32 v3, v1, 16, 1
	v_add3_u32 v1, v1, v3, 0x7fff
	s_delay_alu instid0(VALU_DEP_1)
	v_lshrrev_b32_e32 v11, 16, v1
	s_branch .LBB174_2345
.LBB174_2343:
	s_mov_b32 s2, -1
                                        ; implicit-def: $vgpr11
.LBB174_2344:
	s_mov_b32 s24, 0
.LBB174_2345:
	s_delay_alu instid0(SALU_CYCLE_1)
	s_and_b32 vcc_lo, exec_lo, s24
	s_cbranch_vccz .LBB174_2363
; %bb.2346:
	s_cmp_lt_i32 s0, 27
	s_cbranch_scc1 .LBB174_2349
; %bb.2347:
	s_cmp_gt_i32 s0, 27
	s_cbranch_scc0 .LBB174_2350
; %bb.2348:
	global_load_b32 v1, v[6:7], off
	s_mov_b32 s23, 0
	s_wait_loadcnt 0x0
	v_cvt_f32_u32_e32 v1, v1
	s_delay_alu instid0(VALU_DEP_1) | instskip(NEXT) | instid1(VALU_DEP_1)
	v_bfe_u32 v3, v1, 16, 1
	v_add3_u32 v1, v1, v3, 0x7fff
	s_delay_alu instid0(VALU_DEP_1)
	v_lshrrev_b32_e32 v11, 16, v1
	s_branch .LBB174_2351
.LBB174_2349:
	s_mov_b32 s23, -1
                                        ; implicit-def: $vgpr11
	s_branch .LBB174_2354
.LBB174_2350:
	s_mov_b32 s23, -1
                                        ; implicit-def: $vgpr11
.LBB174_2351:
	s_delay_alu instid0(SALU_CYCLE_1)
	s_and_not1_b32 vcc_lo, exec_lo, s23
	s_cbranch_vccnz .LBB174_2353
; %bb.2352:
	global_load_u16 v1, v[6:7], off
	s_wait_loadcnt 0x0
	v_cvt_f32_u32_e32 v1, v1
	s_delay_alu instid0(VALU_DEP_1) | instskip(NEXT) | instid1(VALU_DEP_1)
	v_bfe_u32 v3, v1, 16, 1
	v_add3_u32 v1, v1, v3, 0x7fff
	s_delay_alu instid0(VALU_DEP_1)
	v_lshrrev_b32_e32 v11, 16, v1
.LBB174_2353:
	s_mov_b32 s23, 0
.LBB174_2354:
	s_delay_alu instid0(SALU_CYCLE_1)
	s_and_not1_b32 vcc_lo, exec_lo, s23
	s_cbranch_vccnz .LBB174_2362
; %bb.2355:
	global_load_u8 v1, v[6:7], off
	s_mov_b32 s23, 0
	s_mov_b32 s24, exec_lo
	s_wait_loadcnt 0x0
	v_cmpx_lt_i16_e32 0x7f, v1
	s_xor_b32 s24, exec_lo, s24
	s_cbranch_execz .LBB174_2376
; %bb.2356:
	s_mov_b32 s23, -1
	s_mov_b32 s25, exec_lo
	v_cmpx_eq_u16_e32 0x80, v1
; %bb.2357:
	s_xor_b32 s23, exec_lo, -1
; %bb.2358:
	s_or_b32 exec_lo, exec_lo, s25
	s_delay_alu instid0(SALU_CYCLE_1)
	s_and_b32 s23, s23, exec_lo
	s_or_saveexec_b32 s24, s24
	v_mov_b32_e32 v3, 0x7f800001
	s_xor_b32 exec_lo, exec_lo, s24
	s_cbranch_execnz .LBB174_2377
.LBB174_2359:
	s_or_b32 exec_lo, exec_lo, s24
	s_and_saveexec_b32 s24, s23
	s_cbranch_execz .LBB174_2361
.LBB174_2360:
	v_and_b32_e32 v3, 0xffff, v1
	s_delay_alu instid0(VALU_DEP_1) | instskip(SKIP_1) | instid1(VALU_DEP_2)
	v_dual_lshlrev_b32 v1, 24, v1 :: v_dual_bitop2_b32 v5, 7, v3 bitop3:0x40
	v_bfe_u32 v13, v3, 3, 4
	v_and_b32_e32 v1, 0x80000000, v1
	s_delay_alu instid0(VALU_DEP_3) | instskip(NEXT) | instid1(VALU_DEP_3)
	v_clz_i32_u32_e32 v11, v5
	v_cmp_eq_u32_e32 vcc_lo, 0, v13
	s_delay_alu instid0(VALU_DEP_2) | instskip(NEXT) | instid1(VALU_DEP_1)
	v_min_u32_e32 v11, 32, v11
	v_subrev_nc_u32_e32 v12, 28, v11
	v_sub_nc_u32_e32 v11, 29, v11
	s_delay_alu instid0(VALU_DEP_2) | instskip(NEXT) | instid1(VALU_DEP_2)
	v_lshlrev_b32_e32 v3, v12, v3
	v_cndmask_b32_e32 v11, v13, v11, vcc_lo
	s_delay_alu instid0(VALU_DEP_2) | instskip(NEXT) | instid1(VALU_DEP_1)
	v_and_b32_e32 v3, 7, v3
	v_cndmask_b32_e32 v3, v5, v3, vcc_lo
	s_delay_alu instid0(VALU_DEP_3) | instskip(NEXT) | instid1(VALU_DEP_2)
	v_lshl_add_u32 v5, v11, 23, 0x3b800000
	v_lshlrev_b32_e32 v3, 20, v3
	s_delay_alu instid0(VALU_DEP_1)
	v_or3_b32 v3, v1, v5, v3
.LBB174_2361:
	s_or_b32 exec_lo, exec_lo, s24
	s_delay_alu instid0(VALU_DEP_1) | instskip(SKIP_1) | instid1(VALU_DEP_2)
	v_bfe_u32 v1, v3, 16, 1
	v_cmp_o_f32_e32 vcc_lo, v3, v3
	v_add3_u32 v1, v3, v1, 0x7fff
	s_delay_alu instid0(VALU_DEP_1) | instskip(NEXT) | instid1(VALU_DEP_1)
	v_lshrrev_b32_e32 v1, 16, v1
	v_cndmask_b32_e32 v11, 0x7fc0, v1, vcc_lo
.LBB174_2362:
	s_mov_b32 s23, -1
.LBB174_2363:
	s_mov_b32 s24, 0
.LBB174_2364:
	s_delay_alu instid0(SALU_CYCLE_1)
	s_and_b32 vcc_lo, exec_lo, s24
	s_cbranch_vccz .LBB174_2397
; %bb.2365:
	s_cmp_gt_i32 s0, 22
	s_cbranch_scc0 .LBB174_2375
; %bb.2366:
	s_cmp_lt_i32 s0, 24
	s_cbranch_scc1 .LBB174_2378
; %bb.2367:
	s_cmp_gt_i32 s0, 24
	s_cbranch_scc0 .LBB174_2379
; %bb.2368:
	global_load_u8 v1, v[6:7], off
	s_mov_b32 s23, exec_lo
	s_wait_loadcnt 0x0
	v_cmpx_lt_i16_e32 0x7f, v1
	s_xor_b32 s23, exec_lo, s23
	s_cbranch_execz .LBB174_2391
; %bb.2369:
	s_mov_b32 s22, -1
	s_mov_b32 s24, exec_lo
	v_cmpx_eq_u16_e32 0x80, v1
; %bb.2370:
	s_xor_b32 s22, exec_lo, -1
; %bb.2371:
	s_or_b32 exec_lo, exec_lo, s24
	s_delay_alu instid0(SALU_CYCLE_1)
	s_and_b32 s22, s22, exec_lo
	s_or_saveexec_b32 s23, s23
	v_mov_b32_e32 v3, 0x7f800001
	s_xor_b32 exec_lo, exec_lo, s23
	s_cbranch_execnz .LBB174_2392
.LBB174_2372:
	s_or_b32 exec_lo, exec_lo, s23
	s_and_saveexec_b32 s23, s22
	s_cbranch_execz .LBB174_2374
.LBB174_2373:
	v_and_b32_e32 v3, 0xffff, v1
	s_delay_alu instid0(VALU_DEP_1) | instskip(SKIP_1) | instid1(VALU_DEP_2)
	v_dual_lshlrev_b32 v1, 24, v1 :: v_dual_bitop2_b32 v5, 3, v3 bitop3:0x40
	v_bfe_u32 v13, v3, 2, 5
	v_and_b32_e32 v1, 0x80000000, v1
	s_delay_alu instid0(VALU_DEP_3) | instskip(NEXT) | instid1(VALU_DEP_3)
	v_clz_i32_u32_e32 v11, v5
	v_cmp_eq_u32_e32 vcc_lo, 0, v13
	s_delay_alu instid0(VALU_DEP_2) | instskip(NEXT) | instid1(VALU_DEP_1)
	v_min_u32_e32 v11, 32, v11
	v_subrev_nc_u32_e32 v12, 29, v11
	v_sub_nc_u32_e32 v11, 30, v11
	s_delay_alu instid0(VALU_DEP_2) | instskip(NEXT) | instid1(VALU_DEP_2)
	v_lshlrev_b32_e32 v3, v12, v3
	v_cndmask_b32_e32 v11, v13, v11, vcc_lo
	s_delay_alu instid0(VALU_DEP_2) | instskip(NEXT) | instid1(VALU_DEP_1)
	v_and_b32_e32 v3, 3, v3
	v_cndmask_b32_e32 v3, v5, v3, vcc_lo
	s_delay_alu instid0(VALU_DEP_3) | instskip(NEXT) | instid1(VALU_DEP_2)
	v_lshl_add_u32 v5, v11, 23, 0x37800000
	v_lshlrev_b32_e32 v3, 21, v3
	s_delay_alu instid0(VALU_DEP_1)
	v_or3_b32 v3, v1, v5, v3
.LBB174_2374:
	s_or_b32 exec_lo, exec_lo, s23
	s_delay_alu instid0(VALU_DEP_1) | instskip(SKIP_2) | instid1(VALU_DEP_2)
	v_bfe_u32 v1, v3, 16, 1
	v_cmp_o_f32_e32 vcc_lo, v3, v3
	s_mov_b32 s22, 0
	v_add3_u32 v1, v3, v1, 0x7fff
	s_delay_alu instid0(VALU_DEP_1) | instskip(NEXT) | instid1(VALU_DEP_1)
	v_lshrrev_b32_e32 v1, 16, v1
	v_cndmask_b32_e32 v11, 0x7fc0, v1, vcc_lo
	s_branch .LBB174_2380
.LBB174_2375:
	s_mov_b32 s22, -1
                                        ; implicit-def: $vgpr11
	s_branch .LBB174_2386
.LBB174_2376:
	s_or_saveexec_b32 s24, s24
	v_mov_b32_e32 v3, 0x7f800001
	s_xor_b32 exec_lo, exec_lo, s24
	s_cbranch_execz .LBB174_2359
.LBB174_2377:
	v_cmp_ne_u16_e32 vcc_lo, 0, v1
	v_mov_b32_e32 v3, 0
	s_and_not1_b32 s23, s23, exec_lo
	s_and_b32 s25, vcc_lo, exec_lo
	s_delay_alu instid0(SALU_CYCLE_1)
	s_or_b32 s23, s23, s25
	s_or_b32 exec_lo, exec_lo, s24
	s_and_saveexec_b32 s24, s23
	s_cbranch_execnz .LBB174_2360
	s_branch .LBB174_2361
.LBB174_2378:
	s_mov_b32 s22, -1
                                        ; implicit-def: $vgpr11
	s_branch .LBB174_2383
.LBB174_2379:
	s_mov_b32 s22, -1
                                        ; implicit-def: $vgpr11
.LBB174_2380:
	s_delay_alu instid0(SALU_CYCLE_1)
	s_and_b32 vcc_lo, exec_lo, s22
	s_cbranch_vccz .LBB174_2382
; %bb.2381:
	global_load_u8 v1, v[6:7], off
	s_wait_loadcnt 0x0
	v_lshlrev_b32_e32 v1, 24, v1
	s_delay_alu instid0(VALU_DEP_1) | instskip(NEXT) | instid1(VALU_DEP_1)
	v_and_b32_e32 v3, 0x7f000000, v1
	v_clz_i32_u32_e32 v5, v3
	v_cmp_ne_u32_e32 vcc_lo, 0, v3
	v_add_nc_u32_e32 v12, 0x1000000, v3
	s_delay_alu instid0(VALU_DEP_3) | instskip(NEXT) | instid1(VALU_DEP_1)
	v_min_u32_e32 v5, 32, v5
	v_sub_nc_u32_e64 v5, v5, 4 clamp
	s_delay_alu instid0(VALU_DEP_1) | instskip(NEXT) | instid1(VALU_DEP_1)
	v_dual_lshlrev_b32 v11, v5, v3 :: v_dual_lshlrev_b32 v5, 23, v5
	v_lshrrev_b32_e32 v11, 4, v11
	s_delay_alu instid0(VALU_DEP_1) | instskip(NEXT) | instid1(VALU_DEP_1)
	v_dual_sub_nc_u32 v5, v11, v5 :: v_dual_ashrrev_i32 v11, 8, v12
	v_add_nc_u32_e32 v5, 0x3c000000, v5
	s_delay_alu instid0(VALU_DEP_1) | instskip(NEXT) | instid1(VALU_DEP_1)
	v_and_or_b32 v5, 0x7f800000, v11, v5
	v_cndmask_b32_e32 v3, 0, v5, vcc_lo
	s_delay_alu instid0(VALU_DEP_1) | instskip(SKIP_1) | instid1(VALU_DEP_2)
	v_and_or_b32 v1, 0x80000000, v1, v3
	v_bfe_u32 v3, v3, 16, 1
	v_cmp_o_f32_e32 vcc_lo, v1, v1
	s_delay_alu instid0(VALU_DEP_2) | instskip(NEXT) | instid1(VALU_DEP_1)
	v_add3_u32 v3, v1, v3, 0x7fff
	v_lshrrev_b32_e32 v3, 16, v3
	s_delay_alu instid0(VALU_DEP_1)
	v_cndmask_b32_e32 v11, 0x7fc0, v3, vcc_lo
.LBB174_2382:
	s_mov_b32 s22, 0
.LBB174_2383:
	s_delay_alu instid0(SALU_CYCLE_1)
	s_and_not1_b32 vcc_lo, exec_lo, s22
	s_cbranch_vccnz .LBB174_2385
; %bb.2384:
	global_load_u8 v1, v[6:7], off
	s_wait_loadcnt 0x0
	v_lshlrev_b32_e32 v3, 25, v1
	v_lshlrev_b16 v1, 8, v1
	s_delay_alu instid0(VALU_DEP_1) | instskip(SKIP_1) | instid1(VALU_DEP_2)
	v_and_or_b32 v11, 0x7f00, v1, 0.5
	v_bfe_i32 v1, v1, 0, 16
	v_add_f32_e32 v11, -0.5, v11
	v_lshrrev_b32_e32 v5, 4, v3
	v_cmp_gt_u32_e32 vcc_lo, 0x8000000, v3
	s_delay_alu instid0(VALU_DEP_2) | instskip(NEXT) | instid1(VALU_DEP_1)
	v_or_b32_e32 v5, 0x70000000, v5
	v_mul_f32_e32 v5, 0x7800000, v5
	s_delay_alu instid0(VALU_DEP_1) | instskip(NEXT) | instid1(VALU_DEP_1)
	v_cndmask_b32_e32 v3, v5, v11, vcc_lo
	v_and_or_b32 v1, 0x80000000, v1, v3
	v_bfe_u32 v3, v3, 16, 1
	s_delay_alu instid0(VALU_DEP_2) | instskip(NEXT) | instid1(VALU_DEP_2)
	v_cmp_o_f32_e32 vcc_lo, v1, v1
	v_add3_u32 v3, v1, v3, 0x7fff
	s_delay_alu instid0(VALU_DEP_1) | instskip(NEXT) | instid1(VALU_DEP_1)
	v_lshrrev_b32_e32 v3, 16, v3
	v_cndmask_b32_e32 v11, 0x7fc0, v3, vcc_lo
.LBB174_2385:
	s_mov_b32 s22, 0
	s_mov_b32 s23, -1
.LBB174_2386:
	s_and_not1_b32 vcc_lo, exec_lo, s22
	s_mov_b32 s22, 0
	s_cbranch_vccnz .LBB174_2397
; %bb.2387:
	s_cmp_gt_i32 s0, 14
	s_cbranch_scc0 .LBB174_2390
; %bb.2388:
	s_cmp_eq_u32 s0, 15
	s_cbranch_scc0 .LBB174_2393
; %bb.2389:
	s_wait_loadcnt 0x0
	global_load_u16 v11, v[6:7], off
	s_mov_b32 s2, 0
	s_mov_b32 s23, -1
	s_branch .LBB174_2395
.LBB174_2390:
	s_mov_b32 s22, -1
	s_branch .LBB174_2394
.LBB174_2391:
	s_or_saveexec_b32 s23, s23
	v_mov_b32_e32 v3, 0x7f800001
	s_xor_b32 exec_lo, exec_lo, s23
	s_cbranch_execz .LBB174_2372
.LBB174_2392:
	v_cmp_ne_u16_e32 vcc_lo, 0, v1
	v_mov_b32_e32 v3, 0
	s_and_not1_b32 s22, s22, exec_lo
	s_and_b32 s24, vcc_lo, exec_lo
	s_delay_alu instid0(SALU_CYCLE_1)
	s_or_b32 s22, s22, s24
	s_or_b32 exec_lo, exec_lo, s23
	s_and_saveexec_b32 s23, s22
	s_cbranch_execnz .LBB174_2373
	s_branch .LBB174_2374
.LBB174_2393:
	s_mov_b32 s2, -1
.LBB174_2394:
                                        ; implicit-def: $vgpr11
.LBB174_2395:
	s_and_b32 vcc_lo, exec_lo, s22
	s_mov_b32 s22, 0
	s_cbranch_vccz .LBB174_2397
; %bb.2396:
	s_cmp_lg_u32 s0, 11
	s_mov_b32 s22, -1
	s_cselect_b32 s2, -1, 0
.LBB174_2397:
	s_delay_alu instid0(SALU_CYCLE_1)
	s_and_b32 vcc_lo, exec_lo, s2
	s_cbranch_vccnz .LBB174_2460
; %bb.2398:
	s_and_not1_b32 vcc_lo, exec_lo, s22
	s_cbranch_vccnz .LBB174_2400
.LBB174_2399:
	global_load_u8 v1, v[6:7], off
	s_mov_b32 s23, -1
	s_wait_loadcnt 0x0
	v_cmp_ne_u16_e32 vcc_lo, 0, v1
	v_cndmask_b32_e64 v1, 0, 1.0, vcc_lo
	s_delay_alu instid0(VALU_DEP_1)
	v_lshrrev_b32_e32 v11, 16, v1
.LBB174_2400:
	s_branch .LBB174_2327
.LBB174_2401:
	s_cmp_lt_i32 s0, 5
	s_cbranch_scc1 .LBB174_2406
; %bb.2402:
	s_cmp_lt_i32 s0, 8
	s_cbranch_scc1 .LBB174_2407
; %bb.2403:
	;; [unrolled: 3-line block ×3, first 2 shown]
	s_cmp_gt_i32 s0, 9
	s_cbranch_scc0 .LBB174_2409
; %bb.2405:
	global_load_b64 v[12:13], v[6:7], off
	s_mov_b32 s2, 0
	s_wait_loadcnt 0x0
	v_cvt_f32_f64_e32 v1, v[12:13]
	s_delay_alu instid0(VALU_DEP_1) | instskip(SKIP_1) | instid1(VALU_DEP_2)
	v_bfe_u32 v3, v1, 16, 1
	v_cmp_o_f32_e32 vcc_lo, v1, v1
	v_add3_u32 v3, v1, v3, 0x7fff
	s_delay_alu instid0(VALU_DEP_1) | instskip(NEXT) | instid1(VALU_DEP_1)
	v_lshrrev_b32_e32 v3, 16, v3
	v_cndmask_b32_e32 v11, 0x7fc0, v3, vcc_lo
	s_branch .LBB174_2410
.LBB174_2406:
	s_mov_b32 s2, -1
                                        ; implicit-def: $vgpr11
	s_branch .LBB174_2428
.LBB174_2407:
	s_mov_b32 s2, -1
                                        ; implicit-def: $vgpr11
	s_branch .LBB174_2416
.LBB174_2408:
	s_mov_b32 s2, -1
                                        ; implicit-def: $vgpr11
	s_branch .LBB174_2413
.LBB174_2409:
	s_mov_b32 s2, -1
                                        ; implicit-def: $vgpr11
.LBB174_2410:
	s_delay_alu instid0(SALU_CYCLE_1)
	s_and_not1_b32 vcc_lo, exec_lo, s2
	s_cbranch_vccnz .LBB174_2412
; %bb.2411:
	global_load_b32 v1, v[6:7], off
	s_wait_loadcnt 0x0
	v_bfe_u32 v3, v1, 16, 1
	v_cmp_o_f32_e32 vcc_lo, v1, v1
	s_delay_alu instid0(VALU_DEP_2) | instskip(NEXT) | instid1(VALU_DEP_1)
	v_add3_u32 v3, v1, v3, 0x7fff
	v_lshrrev_b32_e32 v3, 16, v3
	s_delay_alu instid0(VALU_DEP_1)
	v_cndmask_b32_e32 v11, 0x7fc0, v3, vcc_lo
.LBB174_2412:
	s_mov_b32 s2, 0
.LBB174_2413:
	s_delay_alu instid0(SALU_CYCLE_1)
	s_and_not1_b32 vcc_lo, exec_lo, s2
	s_cbranch_vccnz .LBB174_2415
; %bb.2414:
	global_load_b32 v1, v[6:7], off
	s_wait_loadcnt 0x0
	v_cvt_f32_f16_e32 v3, v1
	v_cmp_o_f16_e32 vcc_lo, v1, v1
	s_delay_alu instid0(VALU_DEP_2) | instskip(NEXT) | instid1(VALU_DEP_1)
	v_bfe_u32 v5, v3, 16, 1
	v_add3_u32 v3, v3, v5, 0x7fff
	s_delay_alu instid0(VALU_DEP_1) | instskip(NEXT) | instid1(VALU_DEP_1)
	v_lshrrev_b32_e32 v3, 16, v3
	v_cndmask_b32_e32 v11, 0x7fc0, v3, vcc_lo
.LBB174_2415:
	s_mov_b32 s2, 0
.LBB174_2416:
	s_delay_alu instid0(SALU_CYCLE_1)
	s_and_not1_b32 vcc_lo, exec_lo, s2
	s_cbranch_vccnz .LBB174_2427
; %bb.2417:
	s_cmp_lt_i32 s0, 6
	s_cbranch_scc1 .LBB174_2420
; %bb.2418:
	s_cmp_gt_i32 s0, 6
	s_cbranch_scc0 .LBB174_2421
; %bb.2419:
	global_load_b64 v[12:13], v[6:7], off
	s_mov_b32 s2, 0
	s_wait_loadcnt 0x0
	v_cvt_f32_f64_e32 v1, v[12:13]
	s_delay_alu instid0(VALU_DEP_1) | instskip(SKIP_1) | instid1(VALU_DEP_2)
	v_bfe_u32 v3, v1, 16, 1
	v_cmp_o_f32_e32 vcc_lo, v1, v1
	v_add3_u32 v3, v1, v3, 0x7fff
	s_delay_alu instid0(VALU_DEP_1) | instskip(NEXT) | instid1(VALU_DEP_1)
	v_lshrrev_b32_e32 v3, 16, v3
	v_cndmask_b32_e32 v11, 0x7fc0, v3, vcc_lo
	s_branch .LBB174_2422
.LBB174_2420:
	s_mov_b32 s2, -1
                                        ; implicit-def: $vgpr11
	s_branch .LBB174_2425
.LBB174_2421:
	s_mov_b32 s2, -1
                                        ; implicit-def: $vgpr11
.LBB174_2422:
	s_delay_alu instid0(SALU_CYCLE_1)
	s_and_not1_b32 vcc_lo, exec_lo, s2
	s_cbranch_vccnz .LBB174_2424
; %bb.2423:
	global_load_b32 v1, v[6:7], off
	s_wait_loadcnt 0x0
	v_bfe_u32 v3, v1, 16, 1
	v_cmp_o_f32_e32 vcc_lo, v1, v1
	s_delay_alu instid0(VALU_DEP_2) | instskip(NEXT) | instid1(VALU_DEP_1)
	v_add3_u32 v3, v1, v3, 0x7fff
	v_lshrrev_b32_e32 v3, 16, v3
	s_delay_alu instid0(VALU_DEP_1)
	v_cndmask_b32_e32 v11, 0x7fc0, v3, vcc_lo
.LBB174_2424:
	s_mov_b32 s2, 0
.LBB174_2425:
	s_delay_alu instid0(SALU_CYCLE_1)
	s_and_not1_b32 vcc_lo, exec_lo, s2
	s_cbranch_vccnz .LBB174_2427
; %bb.2426:
	global_load_u16 v1, v[6:7], off
	s_wait_loadcnt 0x0
	v_cvt_f32_f16_e32 v3, v1
	v_cmp_o_f16_e32 vcc_lo, v1, v1
	s_delay_alu instid0(VALU_DEP_2) | instskip(NEXT) | instid1(VALU_DEP_1)
	v_bfe_u32 v5, v3, 16, 1
	v_add3_u32 v3, v3, v5, 0x7fff
	s_delay_alu instid0(VALU_DEP_1) | instskip(NEXT) | instid1(VALU_DEP_1)
	v_lshrrev_b32_e32 v3, 16, v3
	v_cndmask_b32_e32 v11, 0x7fc0, v3, vcc_lo
.LBB174_2427:
	s_mov_b32 s2, 0
.LBB174_2428:
	s_delay_alu instid0(SALU_CYCLE_1)
	s_and_not1_b32 vcc_lo, exec_lo, s2
	s_cbranch_vccnz .LBB174_2448
; %bb.2429:
	s_cmp_lt_i32 s0, 2
	s_cbranch_scc1 .LBB174_2433
; %bb.2430:
	s_cmp_lt_i32 s0, 3
	s_cbranch_scc1 .LBB174_2434
; %bb.2431:
	s_cmp_gt_i32 s0, 3
	s_cbranch_scc0 .LBB174_2435
; %bb.2432:
	global_load_b64 v[12:13], v[6:7], off
	s_mov_b32 s2, 0
	s_wait_loadcnt 0x0
	v_xor_b32_e32 v1, v12, v13
	v_cls_i32_e32 v3, v13
	s_delay_alu instid0(VALU_DEP_2) | instskip(NEXT) | instid1(VALU_DEP_1)
	v_ashrrev_i32_e32 v1, 31, v1
	v_add_nc_u32_e32 v1, 32, v1
	s_delay_alu instid0(VALU_DEP_1) | instskip(NEXT) | instid1(VALU_DEP_1)
	v_add_min_u32_e64 v1, v3, -1, v1
	v_lshlrev_b64_e32 v[12:13], v1, v[12:13]
	v_sub_nc_u32_e32 v1, 32, v1
	s_delay_alu instid0(VALU_DEP_2) | instskip(NEXT) | instid1(VALU_DEP_1)
	v_min_u32_e32 v3, 1, v12
	v_or_b32_e32 v3, v13, v3
	s_delay_alu instid0(VALU_DEP_1) | instskip(NEXT) | instid1(VALU_DEP_1)
	v_cvt_f32_i32_e32 v3, v3
	v_ldexp_f32 v1, v3, v1
	s_delay_alu instid0(VALU_DEP_1) | instskip(NEXT) | instid1(VALU_DEP_1)
	v_bfe_u32 v3, v1, 16, 1
	v_add3_u32 v1, v1, v3, 0x7fff
	s_delay_alu instid0(VALU_DEP_1)
	v_lshrrev_b32_e32 v11, 16, v1
	s_branch .LBB174_2436
.LBB174_2433:
	s_mov_b32 s2, -1
                                        ; implicit-def: $vgpr11
	s_branch .LBB174_2442
.LBB174_2434:
	s_mov_b32 s2, -1
                                        ; implicit-def: $vgpr11
	s_branch .LBB174_2439
.LBB174_2435:
	s_mov_b32 s2, -1
                                        ; implicit-def: $vgpr11
.LBB174_2436:
	s_delay_alu instid0(SALU_CYCLE_1)
	s_and_not1_b32 vcc_lo, exec_lo, s2
	s_cbranch_vccnz .LBB174_2438
; %bb.2437:
	global_load_b32 v1, v[6:7], off
	s_wait_loadcnt 0x0
	v_cvt_f32_i32_e32 v1, v1
	s_delay_alu instid0(VALU_DEP_1) | instskip(NEXT) | instid1(VALU_DEP_1)
	v_bfe_u32 v3, v1, 16, 1
	v_add3_u32 v1, v1, v3, 0x7fff
	s_delay_alu instid0(VALU_DEP_1)
	v_lshrrev_b32_e32 v11, 16, v1
.LBB174_2438:
	s_mov_b32 s2, 0
.LBB174_2439:
	s_delay_alu instid0(SALU_CYCLE_1)
	s_and_not1_b32 vcc_lo, exec_lo, s2
	s_cbranch_vccnz .LBB174_2441
; %bb.2440:
	global_load_i16 v1, v[6:7], off
	s_wait_loadcnt 0x0
	v_cvt_f32_i32_e32 v1, v1
	s_delay_alu instid0(VALU_DEP_1) | instskip(NEXT) | instid1(VALU_DEP_1)
	v_bfe_u32 v3, v1, 16, 1
	v_add3_u32 v1, v1, v3, 0x7fff
	s_delay_alu instid0(VALU_DEP_1)
	v_lshrrev_b32_e32 v11, 16, v1
.LBB174_2441:
	s_mov_b32 s2, 0
.LBB174_2442:
	s_delay_alu instid0(SALU_CYCLE_1)
	s_and_not1_b32 vcc_lo, exec_lo, s2
	s_cbranch_vccnz .LBB174_2448
; %bb.2443:
	s_cmp_gt_i32 s0, 0
	s_mov_b32 s2, 0
	s_cbranch_scc0 .LBB174_2445
; %bb.2444:
	global_load_i8 v1, v[6:7], off
	s_wait_loadcnt 0x0
	v_cvt_f32_i32_e32 v1, v1
	s_delay_alu instid0(VALU_DEP_1) | instskip(NEXT) | instid1(VALU_DEP_1)
	v_bfe_u32 v3, v1, 16, 1
	v_add3_u32 v1, v1, v3, 0x7fff
	s_delay_alu instid0(VALU_DEP_1)
	v_lshrrev_b32_e32 v11, 16, v1
	s_branch .LBB174_2446
.LBB174_2445:
	s_mov_b32 s2, -1
                                        ; implicit-def: $vgpr11
.LBB174_2446:
	s_delay_alu instid0(SALU_CYCLE_1)
	s_and_not1_b32 vcc_lo, exec_lo, s2
	s_cbranch_vccnz .LBB174_2448
; %bb.2447:
	global_load_u8 v1, v[6:7], off
	s_wait_loadcnt 0x0
	v_cvt_f32_ubyte0_e32 v1, v1
	s_delay_alu instid0(VALU_DEP_1) | instskip(NEXT) | instid1(VALU_DEP_1)
	v_bfe_u32 v3, v1, 16, 1
	v_add3_u32 v1, v1, v3, 0x7fff
	s_delay_alu instid0(VALU_DEP_1)
	v_lshrrev_b32_e32 v11, 16, v1
.LBB174_2448:
.LBB174_2449:
	s_lshl_b32 s2, s13, 7
	s_cmp_lt_i32 s19, 11
	v_add_nc_u32_e32 v0, s2, v0
	s_delay_alu instid0(VALU_DEP_1) | instskip(SKIP_1) | instid1(VALU_DEP_1)
	v_ashrrev_i32_e32 v1, 31, v0
	s_wait_xcnt 0x0
	v_add_nc_u64_e32 v[6:7], s[6:7], v[0:1]
	s_cbranch_scc1 .LBB174_2456
; %bb.2450:
	s_and_b32 s13, 0xffff, s19
	s_mov_b32 s23, 0
	s_cmp_gt_i32 s13, 25
	s_cbranch_scc0 .LBB174_2457
; %bb.2451:
	s_cmp_gt_i32 s13, 28
	s_cbranch_scc0 .LBB174_2458
; %bb.2452:
	;; [unrolled: 3-line block ×4, first 2 shown]
	s_cmp_eq_u32 s13, 46
	s_mov_b32 s25, 0
	s_cbranch_scc0 .LBB174_2462
; %bb.2455:
	global_load_b32 v12, v[6:7], off
	s_mov_b32 s22, 0
	s_mov_b32 s24, -1
	s_branch .LBB174_2464
.LBB174_2456:
	s_mov_b32 s13, -1
	s_mov_b32 s24, 0
                                        ; implicit-def: $vgpr12
	s_branch .LBB174_2530
.LBB174_2457:
	s_mov_b32 s25, -1
	s_mov_b32 s24, 0
	s_mov_b32 s22, 0
                                        ; implicit-def: $vgpr12
	s_branch .LBB174_2493
.LBB174_2458:
	s_mov_b32 s25, -1
	s_mov_b32 s24, 0
	s_mov_b32 s22, 0
                                        ; implicit-def: $vgpr12
	s_branch .LBB174_2474
.LBB174_2459:
	s_mov_b32 s25, -1
	s_mov_b32 s24, 0
	s_mov_b32 s22, 0
                                        ; implicit-def: $vgpr12
	s_branch .LBB174_2469
.LBB174_2460:
	s_or_b32 s18, s18, exec_lo
	s_trap 2
	s_cbranch_execz .LBB174_2399
	s_branch .LBB174_2400
.LBB174_2461:
	s_mov_b32 s25, -1
	s_mov_b32 s24, 0
	s_mov_b32 s22, 0
	s_branch .LBB174_2463
.LBB174_2462:
	s_mov_b32 s22, -1
	s_mov_b32 s24, 0
.LBB174_2463:
                                        ; implicit-def: $vgpr12
.LBB174_2464:
	s_and_b32 vcc_lo, exec_lo, s25
	s_cbranch_vccz .LBB174_2468
; %bb.2465:
	s_cmp_eq_u32 s13, 44
	s_cbranch_scc0 .LBB174_2467
; %bb.2466:
	global_load_u8 v1, v[6:7], off
	s_mov_b32 s22, 0
	s_mov_b32 s24, -1
	s_wait_loadcnt 0x0
	v_lshlrev_b32_e32 v3, 23, v1
	v_cmp_ne_u32_e32 vcc_lo, 0xff, v1
	s_delay_alu instid0(VALU_DEP_2) | instskip(SKIP_1) | instid1(VALU_DEP_2)
	v_cndmask_b32_e32 v3, 0x7f800001, v3, vcc_lo
	v_cmp_ne_u32_e32 vcc_lo, 0, v1
	v_cndmask_b32_e32 v1, 0x400000, v3, vcc_lo
	s_delay_alu instid0(VALU_DEP_1) | instskip(SKIP_1) | instid1(VALU_DEP_2)
	v_add_nc_u32_e32 v3, 0x7fff, v1
	v_cmp_o_f32_e32 vcc_lo, v1, v1
	v_lshrrev_b32_e32 v3, 16, v3
	s_delay_alu instid0(VALU_DEP_1)
	v_cndmask_b32_e32 v12, 0x7fc0, v3, vcc_lo
	s_branch .LBB174_2468
.LBB174_2467:
	s_mov_b32 s22, -1
                                        ; implicit-def: $vgpr12
.LBB174_2468:
	s_mov_b32 s25, 0
.LBB174_2469:
	s_delay_alu instid0(SALU_CYCLE_1)
	s_and_b32 vcc_lo, exec_lo, s25
	s_cbranch_vccz .LBB174_2473
; %bb.2470:
	s_cmp_eq_u32 s13, 29
	s_cbranch_scc0 .LBB174_2472
; %bb.2471:
	s_wait_loadcnt 0x0
	global_load_b64 v[12:13], v[6:7], off
	s_mov_b32 s22, 0
	s_mov_b32 s24, -1
	s_mov_b32 s25, 0
	s_wait_loadcnt 0x0
	v_clz_i32_u32_e32 v1, v13
	s_delay_alu instid0(VALU_DEP_1) | instskip(NEXT) | instid1(VALU_DEP_1)
	v_min_u32_e32 v1, 32, v1
	v_lshlrev_b64_e32 v[12:13], v1, v[12:13]
	v_sub_nc_u32_e32 v1, 32, v1
	s_delay_alu instid0(VALU_DEP_2) | instskip(NEXT) | instid1(VALU_DEP_1)
	v_min_u32_e32 v3, 1, v12
	v_or_b32_e32 v3, v13, v3
	s_delay_alu instid0(VALU_DEP_1) | instskip(NEXT) | instid1(VALU_DEP_1)
	v_cvt_f32_u32_e32 v3, v3
	v_ldexp_f32 v1, v3, v1
	s_delay_alu instid0(VALU_DEP_1) | instskip(NEXT) | instid1(VALU_DEP_1)
	v_bfe_u32 v3, v1, 16, 1
	v_add3_u32 v1, v1, v3, 0x7fff
	s_delay_alu instid0(VALU_DEP_1)
	v_lshrrev_b32_e32 v12, 16, v1
	s_branch .LBB174_2474
.LBB174_2472:
	s_mov_b32 s22, -1
                                        ; implicit-def: $vgpr12
.LBB174_2473:
	s_mov_b32 s25, 0
.LBB174_2474:
	s_delay_alu instid0(SALU_CYCLE_1)
	s_and_b32 vcc_lo, exec_lo, s25
	s_cbranch_vccz .LBB174_2492
; %bb.2475:
	s_cmp_lt_i32 s13, 27
	s_cbranch_scc1 .LBB174_2478
; %bb.2476:
	s_cmp_gt_i32 s13, 27
	s_cbranch_scc0 .LBB174_2479
; %bb.2477:
	global_load_b32 v1, v[6:7], off
	s_mov_b32 s24, 0
	s_wait_loadcnt 0x0
	v_cvt_f32_u32_e32 v1, v1
	s_delay_alu instid0(VALU_DEP_1) | instskip(NEXT) | instid1(VALU_DEP_1)
	v_bfe_u32 v3, v1, 16, 1
	v_add3_u32 v1, v1, v3, 0x7fff
	s_delay_alu instid0(VALU_DEP_1)
	v_lshrrev_b32_e32 v12, 16, v1
	s_branch .LBB174_2480
.LBB174_2478:
	s_mov_b32 s24, -1
                                        ; implicit-def: $vgpr12
	s_branch .LBB174_2483
.LBB174_2479:
	s_mov_b32 s24, -1
                                        ; implicit-def: $vgpr12
.LBB174_2480:
	s_delay_alu instid0(SALU_CYCLE_1)
	s_and_not1_b32 vcc_lo, exec_lo, s24
	s_cbranch_vccnz .LBB174_2482
; %bb.2481:
	global_load_u16 v1, v[6:7], off
	s_wait_loadcnt 0x0
	v_cvt_f32_u32_e32 v1, v1
	s_delay_alu instid0(VALU_DEP_1) | instskip(NEXT) | instid1(VALU_DEP_1)
	v_bfe_u32 v3, v1, 16, 1
	v_add3_u32 v1, v1, v3, 0x7fff
	s_delay_alu instid0(VALU_DEP_1)
	v_lshrrev_b32_e32 v12, 16, v1
.LBB174_2482:
	s_mov_b32 s24, 0
.LBB174_2483:
	s_delay_alu instid0(SALU_CYCLE_1)
	s_and_not1_b32 vcc_lo, exec_lo, s24
	s_cbranch_vccnz .LBB174_2491
; %bb.2484:
	global_load_u8 v1, v[6:7], off
	s_mov_b32 s24, 0
	s_mov_b32 s25, exec_lo
	s_wait_loadcnt 0x0
	v_cmpx_lt_i16_e32 0x7f, v1
	s_xor_b32 s25, exec_lo, s25
	s_cbranch_execz .LBB174_2505
; %bb.2485:
	s_mov_b32 s24, -1
	s_mov_b32 s26, exec_lo
	v_cmpx_eq_u16_e32 0x80, v1
; %bb.2486:
	s_xor_b32 s24, exec_lo, -1
; %bb.2487:
	s_or_b32 exec_lo, exec_lo, s26
	s_delay_alu instid0(SALU_CYCLE_1)
	s_and_b32 s24, s24, exec_lo
	s_or_saveexec_b32 s25, s25
	v_mov_b32_e32 v3, 0x7f800001
	s_xor_b32 exec_lo, exec_lo, s25
	s_cbranch_execnz .LBB174_2506
.LBB174_2488:
	s_or_b32 exec_lo, exec_lo, s25
	s_and_saveexec_b32 s25, s24
	s_cbranch_execz .LBB174_2490
.LBB174_2489:
	v_and_b32_e32 v3, 0xffff, v1
	s_delay_alu instid0(VALU_DEP_1) | instskip(SKIP_1) | instid1(VALU_DEP_2)
	v_and_b32_e32 v5, 7, v3
	v_bfe_u32 v14, v3, 3, 4
	v_clz_i32_u32_e32 v12, v5
	s_delay_alu instid0(VALU_DEP_2) | instskip(NEXT) | instid1(VALU_DEP_2)
	v_cmp_eq_u32_e32 vcc_lo, 0, v14
	v_min_u32_e32 v12, 32, v12
	s_delay_alu instid0(VALU_DEP_1) | instskip(NEXT) | instid1(VALU_DEP_1)
	v_subrev_nc_u32_e32 v13, 28, v12
	v_dual_lshlrev_b32 v3, v13, v3 :: v_dual_sub_nc_u32 v12, 29, v12
	s_delay_alu instid0(VALU_DEP_1) | instskip(NEXT) | instid1(VALU_DEP_1)
	v_dual_lshlrev_b32 v1, 24, v1 :: v_dual_bitop2_b32 v3, 7, v3 bitop3:0x40
	v_dual_cndmask_b32 v12, v14, v12 :: v_dual_cndmask_b32 v3, v5, v3
	s_delay_alu instid0(VALU_DEP_2) | instskip(NEXT) | instid1(VALU_DEP_2)
	v_and_b32_e32 v1, 0x80000000, v1
	v_lshl_add_u32 v5, v12, 23, 0x3b800000
	s_delay_alu instid0(VALU_DEP_3) | instskip(NEXT) | instid1(VALU_DEP_1)
	v_lshlrev_b32_e32 v3, 20, v3
	v_or3_b32 v3, v1, v5, v3
.LBB174_2490:
	s_or_b32 exec_lo, exec_lo, s25
	s_delay_alu instid0(VALU_DEP_1) | instskip(SKIP_1) | instid1(VALU_DEP_2)
	v_bfe_u32 v1, v3, 16, 1
	v_cmp_o_f32_e32 vcc_lo, v3, v3
	v_add3_u32 v1, v3, v1, 0x7fff
	s_delay_alu instid0(VALU_DEP_1) | instskip(NEXT) | instid1(VALU_DEP_1)
	v_lshrrev_b32_e32 v1, 16, v1
	v_cndmask_b32_e32 v12, 0x7fc0, v1, vcc_lo
.LBB174_2491:
	s_mov_b32 s24, -1
.LBB174_2492:
	s_mov_b32 s25, 0
.LBB174_2493:
	s_delay_alu instid0(SALU_CYCLE_1)
	s_and_b32 vcc_lo, exec_lo, s25
	s_cbranch_vccz .LBB174_2526
; %bb.2494:
	s_cmp_gt_i32 s13, 22
	s_cbranch_scc0 .LBB174_2504
; %bb.2495:
	s_cmp_lt_i32 s13, 24
	s_cbranch_scc1 .LBB174_2507
; %bb.2496:
	s_cmp_gt_i32 s13, 24
	s_cbranch_scc0 .LBB174_2508
; %bb.2497:
	global_load_u8 v1, v[6:7], off
	s_mov_b32 s24, exec_lo
	s_wait_loadcnt 0x0
	v_cmpx_lt_i16_e32 0x7f, v1
	s_xor_b32 s24, exec_lo, s24
	s_cbranch_execz .LBB174_2520
; %bb.2498:
	s_mov_b32 s23, -1
	s_mov_b32 s25, exec_lo
	v_cmpx_eq_u16_e32 0x80, v1
; %bb.2499:
	s_xor_b32 s23, exec_lo, -1
; %bb.2500:
	s_or_b32 exec_lo, exec_lo, s25
	s_delay_alu instid0(SALU_CYCLE_1)
	s_and_b32 s23, s23, exec_lo
	s_or_saveexec_b32 s24, s24
	v_mov_b32_e32 v3, 0x7f800001
	s_xor_b32 exec_lo, exec_lo, s24
	s_cbranch_execnz .LBB174_2521
.LBB174_2501:
	s_or_b32 exec_lo, exec_lo, s24
	s_and_saveexec_b32 s24, s23
	s_cbranch_execz .LBB174_2503
.LBB174_2502:
	v_and_b32_e32 v3, 0xffff, v1
	s_delay_alu instid0(VALU_DEP_1) | instskip(SKIP_1) | instid1(VALU_DEP_2)
	v_and_b32_e32 v5, 3, v3
	v_bfe_u32 v14, v3, 2, 5
	v_clz_i32_u32_e32 v12, v5
	s_delay_alu instid0(VALU_DEP_2) | instskip(NEXT) | instid1(VALU_DEP_2)
	v_cmp_eq_u32_e32 vcc_lo, 0, v14
	v_min_u32_e32 v12, 32, v12
	s_delay_alu instid0(VALU_DEP_1) | instskip(NEXT) | instid1(VALU_DEP_1)
	v_subrev_nc_u32_e32 v13, 29, v12
	v_dual_lshlrev_b32 v3, v13, v3 :: v_dual_sub_nc_u32 v12, 30, v12
	s_delay_alu instid0(VALU_DEP_1) | instskip(NEXT) | instid1(VALU_DEP_1)
	v_dual_lshlrev_b32 v1, 24, v1 :: v_dual_bitop2_b32 v3, 3, v3 bitop3:0x40
	v_dual_cndmask_b32 v12, v14, v12 :: v_dual_cndmask_b32 v3, v5, v3
	s_delay_alu instid0(VALU_DEP_2) | instskip(NEXT) | instid1(VALU_DEP_2)
	v_and_b32_e32 v1, 0x80000000, v1
	v_lshl_add_u32 v5, v12, 23, 0x37800000
	s_delay_alu instid0(VALU_DEP_3) | instskip(NEXT) | instid1(VALU_DEP_1)
	v_lshlrev_b32_e32 v3, 21, v3
	v_or3_b32 v3, v1, v5, v3
.LBB174_2503:
	s_or_b32 exec_lo, exec_lo, s24
	s_delay_alu instid0(VALU_DEP_1) | instskip(SKIP_2) | instid1(VALU_DEP_2)
	v_bfe_u32 v1, v3, 16, 1
	v_cmp_o_f32_e32 vcc_lo, v3, v3
	s_mov_b32 s23, 0
	v_add3_u32 v1, v3, v1, 0x7fff
	s_delay_alu instid0(VALU_DEP_1) | instskip(NEXT) | instid1(VALU_DEP_1)
	v_lshrrev_b32_e32 v1, 16, v1
	v_cndmask_b32_e32 v12, 0x7fc0, v1, vcc_lo
	s_branch .LBB174_2509
.LBB174_2504:
	s_mov_b32 s23, -1
                                        ; implicit-def: $vgpr12
	s_branch .LBB174_2515
.LBB174_2505:
	s_or_saveexec_b32 s25, s25
	v_mov_b32_e32 v3, 0x7f800001
	s_xor_b32 exec_lo, exec_lo, s25
	s_cbranch_execz .LBB174_2488
.LBB174_2506:
	v_cmp_ne_u16_e32 vcc_lo, 0, v1
	v_mov_b32_e32 v3, 0
	s_and_not1_b32 s24, s24, exec_lo
	s_and_b32 s26, vcc_lo, exec_lo
	s_delay_alu instid0(SALU_CYCLE_1)
	s_or_b32 s24, s24, s26
	s_or_b32 exec_lo, exec_lo, s25
	s_and_saveexec_b32 s25, s24
	s_cbranch_execnz .LBB174_2489
	s_branch .LBB174_2490
.LBB174_2507:
	s_mov_b32 s23, -1
                                        ; implicit-def: $vgpr12
	s_branch .LBB174_2512
.LBB174_2508:
	s_mov_b32 s23, -1
                                        ; implicit-def: $vgpr12
.LBB174_2509:
	s_delay_alu instid0(SALU_CYCLE_1)
	s_and_b32 vcc_lo, exec_lo, s23
	s_cbranch_vccz .LBB174_2511
; %bb.2510:
	global_load_u8 v1, v[6:7], off
	s_wait_loadcnt 0x0
	v_lshlrev_b32_e32 v1, 24, v1
	s_delay_alu instid0(VALU_DEP_1) | instskip(NEXT) | instid1(VALU_DEP_1)
	v_and_b32_e32 v3, 0x7f000000, v1
	v_clz_i32_u32_e32 v5, v3
	v_add_nc_u32_e32 v13, 0x1000000, v3
	v_cmp_ne_u32_e32 vcc_lo, 0, v3
	s_delay_alu instid0(VALU_DEP_3) | instskip(NEXT) | instid1(VALU_DEP_1)
	v_min_u32_e32 v5, 32, v5
	v_sub_nc_u32_e64 v5, v5, 4 clamp
	s_delay_alu instid0(VALU_DEP_1) | instskip(NEXT) | instid1(VALU_DEP_1)
	v_dual_lshlrev_b32 v12, v5, v3 :: v_dual_lshlrev_b32 v5, 23, v5
	v_lshrrev_b32_e32 v12, 4, v12
	s_delay_alu instid0(VALU_DEP_1) | instskip(SKIP_1) | instid1(VALU_DEP_2)
	v_sub_nc_u32_e32 v5, v12, v5
	v_ashrrev_i32_e32 v12, 8, v13
	v_add_nc_u32_e32 v5, 0x3c000000, v5
	s_delay_alu instid0(VALU_DEP_1) | instskip(NEXT) | instid1(VALU_DEP_1)
	v_and_or_b32 v5, 0x7f800000, v12, v5
	v_cndmask_b32_e32 v3, 0, v5, vcc_lo
	s_delay_alu instid0(VALU_DEP_1) | instskip(SKIP_1) | instid1(VALU_DEP_2)
	v_and_or_b32 v1, 0x80000000, v1, v3
	v_bfe_u32 v3, v3, 16, 1
	v_cmp_o_f32_e32 vcc_lo, v1, v1
	s_delay_alu instid0(VALU_DEP_2) | instskip(NEXT) | instid1(VALU_DEP_1)
	v_add3_u32 v3, v1, v3, 0x7fff
	v_lshrrev_b32_e32 v3, 16, v3
	s_delay_alu instid0(VALU_DEP_1)
	v_cndmask_b32_e32 v12, 0x7fc0, v3, vcc_lo
.LBB174_2511:
	s_mov_b32 s23, 0
.LBB174_2512:
	s_delay_alu instid0(SALU_CYCLE_1)
	s_and_not1_b32 vcc_lo, exec_lo, s23
	s_cbranch_vccnz .LBB174_2514
; %bb.2513:
	global_load_u8 v1, v[6:7], off
	s_wait_loadcnt 0x0
	v_lshlrev_b32_e32 v3, 25, v1
	v_lshlrev_b16 v1, 8, v1
	s_delay_alu instid0(VALU_DEP_1) | instskip(SKIP_1) | instid1(VALU_DEP_2)
	v_and_or_b32 v12, 0x7f00, v1, 0.5
	v_bfe_i32 v1, v1, 0, 16
	v_dual_add_f32 v12, -0.5, v12 :: v_dual_lshrrev_b32 v5, 4, v3
	v_cmp_gt_u32_e32 vcc_lo, 0x8000000, v3
	s_delay_alu instid0(VALU_DEP_2) | instskip(NEXT) | instid1(VALU_DEP_1)
	v_or_b32_e32 v5, 0x70000000, v5
	v_mul_f32_e32 v5, 0x7800000, v5
	s_delay_alu instid0(VALU_DEP_1) | instskip(NEXT) | instid1(VALU_DEP_1)
	v_cndmask_b32_e32 v3, v5, v12, vcc_lo
	v_and_or_b32 v1, 0x80000000, v1, v3
	v_bfe_u32 v3, v3, 16, 1
	s_delay_alu instid0(VALU_DEP_2) | instskip(NEXT) | instid1(VALU_DEP_2)
	v_cmp_o_f32_e32 vcc_lo, v1, v1
	v_add3_u32 v3, v1, v3, 0x7fff
	s_delay_alu instid0(VALU_DEP_1) | instskip(NEXT) | instid1(VALU_DEP_1)
	v_lshrrev_b32_e32 v3, 16, v3
	v_cndmask_b32_e32 v12, 0x7fc0, v3, vcc_lo
.LBB174_2514:
	s_mov_b32 s23, 0
	s_mov_b32 s24, -1
.LBB174_2515:
	s_and_not1_b32 vcc_lo, exec_lo, s23
	s_mov_b32 s23, 0
	s_cbranch_vccnz .LBB174_2526
; %bb.2516:
	s_cmp_gt_i32 s13, 14
	s_cbranch_scc0 .LBB174_2519
; %bb.2517:
	s_cmp_eq_u32 s13, 15
	s_cbranch_scc0 .LBB174_2522
; %bb.2518:
	s_wait_loadcnt 0x0
	global_load_u16 v12, v[6:7], off
	s_mov_b32 s22, 0
	s_mov_b32 s24, -1
	s_branch .LBB174_2524
.LBB174_2519:
	s_mov_b32 s23, -1
	s_branch .LBB174_2523
.LBB174_2520:
	s_or_saveexec_b32 s24, s24
	v_mov_b32_e32 v3, 0x7f800001
	s_xor_b32 exec_lo, exec_lo, s24
	s_cbranch_execz .LBB174_2501
.LBB174_2521:
	v_cmp_ne_u16_e32 vcc_lo, 0, v1
	v_mov_b32_e32 v3, 0
	s_and_not1_b32 s23, s23, exec_lo
	s_and_b32 s25, vcc_lo, exec_lo
	s_delay_alu instid0(SALU_CYCLE_1)
	s_or_b32 s23, s23, s25
	s_or_b32 exec_lo, exec_lo, s24
	s_and_saveexec_b32 s24, s23
	s_cbranch_execnz .LBB174_2502
	s_branch .LBB174_2503
.LBB174_2522:
	s_mov_b32 s22, -1
.LBB174_2523:
                                        ; implicit-def: $vgpr12
.LBB174_2524:
	s_and_b32 vcc_lo, exec_lo, s23
	s_mov_b32 s23, 0
	s_cbranch_vccz .LBB174_2526
; %bb.2525:
	s_cmp_lg_u32 s13, 11
	s_mov_b32 s23, -1
	s_cselect_b32 s22, -1, 0
.LBB174_2526:
	s_delay_alu instid0(SALU_CYCLE_1)
	s_and_b32 vcc_lo, exec_lo, s22
	s_cbranch_vccnz .LBB174_2591
; %bb.2527:
	s_and_not1_b32 vcc_lo, exec_lo, s23
	s_cbranch_vccnz .LBB174_2529
.LBB174_2528:
	global_load_u8 v1, v[6:7], off
	s_mov_b32 s24, -1
	s_wait_loadcnt 0x0
	v_cmp_ne_u16_e32 vcc_lo, 0, v1
	v_cndmask_b32_e64 v1, 0, 1.0, vcc_lo
	s_delay_alu instid0(VALU_DEP_1)
	v_lshrrev_b32_e32 v12, 16, v1
.LBB174_2529:
	s_mov_b32 s13, 0
.LBB174_2530:
	s_delay_alu instid0(SALU_CYCLE_1)
	s_and_b32 vcc_lo, exec_lo, s13
	s_cbranch_vccz .LBB174_2579
; %bb.2531:
	s_and_b32 s13, 0xffff, s19
	s_delay_alu instid0(SALU_CYCLE_1)
	s_cmp_lt_i32 s13, 5
	s_cbranch_scc1 .LBB174_2536
; %bb.2532:
	s_cmp_lt_i32 s13, 8
	s_cbranch_scc1 .LBB174_2537
; %bb.2533:
	;; [unrolled: 3-line block ×3, first 2 shown]
	s_cmp_gt_i32 s13, 9
	s_cbranch_scc0 .LBB174_2539
; %bb.2535:
	s_wait_loadcnt 0x0
	global_load_b64 v[12:13], v[6:7], off
	s_mov_b32 s22, 0
	s_wait_loadcnt 0x0
	v_cvt_f32_f64_e32 v1, v[12:13]
	s_delay_alu instid0(VALU_DEP_1) | instskip(SKIP_1) | instid1(VALU_DEP_2)
	v_bfe_u32 v3, v1, 16, 1
	v_cmp_o_f32_e32 vcc_lo, v1, v1
	v_add3_u32 v3, v1, v3, 0x7fff
	s_delay_alu instid0(VALU_DEP_1) | instskip(NEXT) | instid1(VALU_DEP_1)
	v_lshrrev_b32_e32 v3, 16, v3
	v_cndmask_b32_e32 v12, 0x7fc0, v3, vcc_lo
	s_branch .LBB174_2540
.LBB174_2536:
	s_mov_b32 s22, -1
                                        ; implicit-def: $vgpr12
	s_branch .LBB174_2558
.LBB174_2537:
	s_mov_b32 s22, -1
                                        ; implicit-def: $vgpr12
	s_branch .LBB174_2546
.LBB174_2538:
	s_mov_b32 s22, -1
                                        ; implicit-def: $vgpr12
	s_branch .LBB174_2543
.LBB174_2539:
	s_mov_b32 s22, -1
                                        ; implicit-def: $vgpr12
.LBB174_2540:
	s_delay_alu instid0(SALU_CYCLE_1)
	s_and_not1_b32 vcc_lo, exec_lo, s22
	s_cbranch_vccnz .LBB174_2542
; %bb.2541:
	global_load_b32 v1, v[6:7], off
	s_wait_loadcnt 0x0
	v_bfe_u32 v3, v1, 16, 1
	v_cmp_o_f32_e32 vcc_lo, v1, v1
	s_delay_alu instid0(VALU_DEP_2) | instskip(NEXT) | instid1(VALU_DEP_1)
	v_add3_u32 v3, v1, v3, 0x7fff
	v_lshrrev_b32_e32 v3, 16, v3
	s_delay_alu instid0(VALU_DEP_1)
	v_cndmask_b32_e32 v12, 0x7fc0, v3, vcc_lo
.LBB174_2542:
	s_mov_b32 s22, 0
.LBB174_2543:
	s_delay_alu instid0(SALU_CYCLE_1)
	s_and_not1_b32 vcc_lo, exec_lo, s22
	s_cbranch_vccnz .LBB174_2545
; %bb.2544:
	global_load_b32 v1, v[6:7], off
	s_wait_loadcnt 0x0
	v_cvt_f32_f16_e32 v3, v1
	v_cmp_o_f16_e32 vcc_lo, v1, v1
	s_delay_alu instid0(VALU_DEP_2) | instskip(NEXT) | instid1(VALU_DEP_1)
	v_bfe_u32 v5, v3, 16, 1
	v_add3_u32 v3, v3, v5, 0x7fff
	s_delay_alu instid0(VALU_DEP_1) | instskip(NEXT) | instid1(VALU_DEP_1)
	v_lshrrev_b32_e32 v3, 16, v3
	v_cndmask_b32_e32 v12, 0x7fc0, v3, vcc_lo
.LBB174_2545:
	s_mov_b32 s22, 0
.LBB174_2546:
	s_delay_alu instid0(SALU_CYCLE_1)
	s_and_not1_b32 vcc_lo, exec_lo, s22
	s_cbranch_vccnz .LBB174_2557
; %bb.2547:
	s_cmp_lt_i32 s13, 6
	s_cbranch_scc1 .LBB174_2550
; %bb.2548:
	s_cmp_gt_i32 s13, 6
	s_cbranch_scc0 .LBB174_2551
; %bb.2549:
	s_wait_loadcnt 0x0
	global_load_b64 v[12:13], v[6:7], off
	s_mov_b32 s22, 0
	s_wait_loadcnt 0x0
	v_cvt_f32_f64_e32 v1, v[12:13]
	s_delay_alu instid0(VALU_DEP_1) | instskip(SKIP_1) | instid1(VALU_DEP_2)
	v_bfe_u32 v3, v1, 16, 1
	v_cmp_o_f32_e32 vcc_lo, v1, v1
	v_add3_u32 v3, v1, v3, 0x7fff
	s_delay_alu instid0(VALU_DEP_1) | instskip(NEXT) | instid1(VALU_DEP_1)
	v_lshrrev_b32_e32 v3, 16, v3
	v_cndmask_b32_e32 v12, 0x7fc0, v3, vcc_lo
	s_branch .LBB174_2552
.LBB174_2550:
	s_mov_b32 s22, -1
                                        ; implicit-def: $vgpr12
	s_branch .LBB174_2555
.LBB174_2551:
	s_mov_b32 s22, -1
                                        ; implicit-def: $vgpr12
.LBB174_2552:
	s_delay_alu instid0(SALU_CYCLE_1)
	s_and_not1_b32 vcc_lo, exec_lo, s22
	s_cbranch_vccnz .LBB174_2554
; %bb.2553:
	global_load_b32 v1, v[6:7], off
	s_wait_loadcnt 0x0
	v_bfe_u32 v3, v1, 16, 1
	v_cmp_o_f32_e32 vcc_lo, v1, v1
	s_delay_alu instid0(VALU_DEP_2) | instskip(NEXT) | instid1(VALU_DEP_1)
	v_add3_u32 v3, v1, v3, 0x7fff
	v_lshrrev_b32_e32 v3, 16, v3
	s_delay_alu instid0(VALU_DEP_1)
	v_cndmask_b32_e32 v12, 0x7fc0, v3, vcc_lo
.LBB174_2554:
	s_mov_b32 s22, 0
.LBB174_2555:
	s_delay_alu instid0(SALU_CYCLE_1)
	s_and_not1_b32 vcc_lo, exec_lo, s22
	s_cbranch_vccnz .LBB174_2557
; %bb.2556:
	global_load_u16 v1, v[6:7], off
	s_wait_loadcnt 0x0
	v_cvt_f32_f16_e32 v3, v1
	v_cmp_o_f16_e32 vcc_lo, v1, v1
	s_delay_alu instid0(VALU_DEP_2) | instskip(NEXT) | instid1(VALU_DEP_1)
	v_bfe_u32 v5, v3, 16, 1
	v_add3_u32 v3, v3, v5, 0x7fff
	s_delay_alu instid0(VALU_DEP_1) | instskip(NEXT) | instid1(VALU_DEP_1)
	v_lshrrev_b32_e32 v3, 16, v3
	v_cndmask_b32_e32 v12, 0x7fc0, v3, vcc_lo
.LBB174_2557:
	s_mov_b32 s22, 0
.LBB174_2558:
	s_delay_alu instid0(SALU_CYCLE_1)
	s_and_not1_b32 vcc_lo, exec_lo, s22
	s_cbranch_vccnz .LBB174_2578
; %bb.2559:
	s_cmp_lt_i32 s13, 2
	s_cbranch_scc1 .LBB174_2563
; %bb.2560:
	s_cmp_lt_i32 s13, 3
	s_cbranch_scc1 .LBB174_2564
; %bb.2561:
	s_cmp_gt_i32 s13, 3
	s_cbranch_scc0 .LBB174_2565
; %bb.2562:
	s_wait_loadcnt 0x0
	global_load_b64 v[12:13], v[6:7], off
	s_mov_b32 s22, 0
	s_wait_loadcnt 0x0
	v_xor_b32_e32 v1, v12, v13
	v_cls_i32_e32 v3, v13
	s_delay_alu instid0(VALU_DEP_2) | instskip(NEXT) | instid1(VALU_DEP_1)
	v_ashrrev_i32_e32 v1, 31, v1
	v_add_nc_u32_e32 v1, 32, v1
	s_delay_alu instid0(VALU_DEP_1) | instskip(NEXT) | instid1(VALU_DEP_1)
	v_add_min_u32_e64 v1, v3, -1, v1
	v_lshlrev_b64_e32 v[12:13], v1, v[12:13]
	v_sub_nc_u32_e32 v1, 32, v1
	s_delay_alu instid0(VALU_DEP_2) | instskip(NEXT) | instid1(VALU_DEP_1)
	v_min_u32_e32 v3, 1, v12
	v_or_b32_e32 v3, v13, v3
	s_delay_alu instid0(VALU_DEP_1) | instskip(NEXT) | instid1(VALU_DEP_1)
	v_cvt_f32_i32_e32 v3, v3
	v_ldexp_f32 v1, v3, v1
	s_delay_alu instid0(VALU_DEP_1) | instskip(NEXT) | instid1(VALU_DEP_1)
	v_bfe_u32 v3, v1, 16, 1
	v_add3_u32 v1, v1, v3, 0x7fff
	s_delay_alu instid0(VALU_DEP_1)
	v_lshrrev_b32_e32 v12, 16, v1
	s_branch .LBB174_2566
.LBB174_2563:
	s_mov_b32 s22, -1
                                        ; implicit-def: $vgpr12
	s_branch .LBB174_2572
.LBB174_2564:
	s_mov_b32 s22, -1
                                        ; implicit-def: $vgpr12
	s_branch .LBB174_2569
.LBB174_2565:
	s_mov_b32 s22, -1
                                        ; implicit-def: $vgpr12
.LBB174_2566:
	s_delay_alu instid0(SALU_CYCLE_1)
	s_and_not1_b32 vcc_lo, exec_lo, s22
	s_cbranch_vccnz .LBB174_2568
; %bb.2567:
	global_load_b32 v1, v[6:7], off
	s_wait_loadcnt 0x0
	v_cvt_f32_i32_e32 v1, v1
	s_delay_alu instid0(VALU_DEP_1) | instskip(NEXT) | instid1(VALU_DEP_1)
	v_bfe_u32 v3, v1, 16, 1
	v_add3_u32 v1, v1, v3, 0x7fff
	s_delay_alu instid0(VALU_DEP_1)
	v_lshrrev_b32_e32 v12, 16, v1
.LBB174_2568:
	s_mov_b32 s22, 0
.LBB174_2569:
	s_delay_alu instid0(SALU_CYCLE_1)
	s_and_not1_b32 vcc_lo, exec_lo, s22
	s_cbranch_vccnz .LBB174_2571
; %bb.2570:
	global_load_i16 v1, v[6:7], off
	s_wait_loadcnt 0x0
	v_cvt_f32_i32_e32 v1, v1
	s_delay_alu instid0(VALU_DEP_1) | instskip(NEXT) | instid1(VALU_DEP_1)
	v_bfe_u32 v3, v1, 16, 1
	v_add3_u32 v1, v1, v3, 0x7fff
	s_delay_alu instid0(VALU_DEP_1)
	v_lshrrev_b32_e32 v12, 16, v1
.LBB174_2571:
	s_mov_b32 s22, 0
.LBB174_2572:
	s_delay_alu instid0(SALU_CYCLE_1)
	s_and_not1_b32 vcc_lo, exec_lo, s22
	s_cbranch_vccnz .LBB174_2578
; %bb.2573:
	s_cmp_gt_i32 s13, 0
	s_mov_b32 s13, 0
	s_cbranch_scc0 .LBB174_2575
; %bb.2574:
	global_load_i8 v1, v[6:7], off
	s_wait_loadcnt 0x0
	v_cvt_f32_i32_e32 v1, v1
	s_delay_alu instid0(VALU_DEP_1) | instskip(NEXT) | instid1(VALU_DEP_1)
	v_bfe_u32 v3, v1, 16, 1
	v_add3_u32 v1, v1, v3, 0x7fff
	s_delay_alu instid0(VALU_DEP_1)
	v_lshrrev_b32_e32 v12, 16, v1
	s_branch .LBB174_2576
.LBB174_2575:
	s_mov_b32 s13, -1
                                        ; implicit-def: $vgpr12
.LBB174_2576:
	s_delay_alu instid0(SALU_CYCLE_1)
	s_and_not1_b32 vcc_lo, exec_lo, s13
	s_cbranch_vccnz .LBB174_2578
; %bb.2577:
	global_load_u8 v1, v[6:7], off
	s_wait_loadcnt 0x0
	v_cvt_f32_ubyte0_e32 v1, v1
	s_delay_alu instid0(VALU_DEP_1) | instskip(NEXT) | instid1(VALU_DEP_1)
	v_bfe_u32 v3, v1, 16, 1
	v_add3_u32 v1, v1, v3, 0x7fff
	s_delay_alu instid0(VALU_DEP_1)
	v_lshrrev_b32_e32 v12, 16, v1
.LBB174_2578:
	s_mov_b32 s24, -1
.LBB174_2579:
	s_delay_alu instid0(SALU_CYCLE_1)
	s_and_not1_b32 vcc_lo, exec_lo, s24
	s_cbranch_vccnz .LBB174_4065
; %bb.2580:
	s_lshl_b32 s13, s14, 7
	s_cmp_lt_i32 s17, 11
	v_add_nc_u32_e32 v2, s13, v2
	s_delay_alu instid0(VALU_DEP_1) | instskip(SKIP_1) | instid1(VALU_DEP_1)
	v_ashrrev_i32_e32 v3, 31, v2
	s_wait_xcnt 0x0
	v_add_nc_u64_e32 v[6:7], s[8:9], v[2:3]
	s_cbranch_scc1 .LBB174_2587
; %bb.2581:
	s_and_b32 s14, 0xffff, s17
	s_mov_b32 s23, 0
	s_cmp_gt_i32 s14, 25
	s_cbranch_scc0 .LBB174_2588
; %bb.2582:
	s_cmp_gt_i32 s14, 28
	s_cbranch_scc0 .LBB174_2589
; %bb.2583:
	;; [unrolled: 3-line block ×4, first 2 shown]
	s_cmp_eq_u32 s14, 46
	s_mov_b32 s25, 0
	s_cbranch_scc0 .LBB174_2593
; %bb.2586:
	global_load_b32 v13, v[6:7], off
	s_mov_b32 s22, 0
	s_mov_b32 s24, -1
	s_branch .LBB174_2595
.LBB174_2587:
	s_mov_b32 s14, -1
	s_mov_b32 s24, 0
                                        ; implicit-def: $vgpr13
	s_branch .LBB174_2661
.LBB174_2588:
	s_mov_b32 s25, -1
	s_mov_b32 s24, 0
	s_mov_b32 s22, 0
                                        ; implicit-def: $vgpr13
	s_branch .LBB174_2624
.LBB174_2589:
	s_mov_b32 s25, -1
	s_mov_b32 s24, 0
	s_mov_b32 s22, 0
                                        ; implicit-def: $vgpr13
	s_branch .LBB174_2605
.LBB174_2590:
	s_mov_b32 s25, -1
	s_mov_b32 s24, 0
	s_mov_b32 s22, 0
                                        ; implicit-def: $vgpr13
	s_branch .LBB174_2600
.LBB174_2591:
	s_or_b32 s18, s18, exec_lo
	s_trap 2
	s_cbranch_execz .LBB174_2528
	s_branch .LBB174_2529
.LBB174_2592:
	s_mov_b32 s25, -1
	s_mov_b32 s24, 0
	s_mov_b32 s22, 0
	s_branch .LBB174_2594
.LBB174_2593:
	s_mov_b32 s22, -1
	s_mov_b32 s24, 0
.LBB174_2594:
                                        ; implicit-def: $vgpr13
.LBB174_2595:
	s_and_b32 vcc_lo, exec_lo, s25
	s_cbranch_vccz .LBB174_2599
; %bb.2596:
	s_cmp_eq_u32 s14, 44
	s_cbranch_scc0 .LBB174_2598
; %bb.2597:
	global_load_u8 v1, v[6:7], off
	s_mov_b32 s22, 0
	s_mov_b32 s24, -1
	s_wait_loadcnt 0x0
	v_lshlrev_b32_e32 v3, 23, v1
	v_cmp_ne_u32_e32 vcc_lo, 0xff, v1
	s_delay_alu instid0(VALU_DEP_2) | instskip(SKIP_1) | instid1(VALU_DEP_2)
	v_cndmask_b32_e32 v3, 0x7f800001, v3, vcc_lo
	v_cmp_ne_u32_e32 vcc_lo, 0, v1
	v_cndmask_b32_e32 v1, 0x400000, v3, vcc_lo
	s_delay_alu instid0(VALU_DEP_1) | instskip(SKIP_1) | instid1(VALU_DEP_2)
	v_add_nc_u32_e32 v3, 0x7fff, v1
	v_cmp_o_f32_e32 vcc_lo, v1, v1
	v_lshrrev_b32_e32 v3, 16, v3
	s_delay_alu instid0(VALU_DEP_1)
	v_cndmask_b32_e32 v13, 0x7fc0, v3, vcc_lo
	s_branch .LBB174_2599
.LBB174_2598:
	s_mov_b32 s22, -1
                                        ; implicit-def: $vgpr13
.LBB174_2599:
	s_mov_b32 s25, 0
.LBB174_2600:
	s_delay_alu instid0(SALU_CYCLE_1)
	s_and_b32 vcc_lo, exec_lo, s25
	s_cbranch_vccz .LBB174_2604
; %bb.2601:
	s_cmp_eq_u32 s14, 29
	s_cbranch_scc0 .LBB174_2603
; %bb.2602:
	global_load_b64 v[14:15], v[6:7], off
	s_mov_b32 s22, 0
	s_mov_b32 s24, -1
	s_mov_b32 s25, 0
	s_wait_loadcnt 0x0
	v_clz_i32_u32_e32 v1, v15
	s_delay_alu instid0(VALU_DEP_1) | instskip(NEXT) | instid1(VALU_DEP_1)
	v_min_u32_e32 v1, 32, v1
	v_lshlrev_b64_e32 v[14:15], v1, v[14:15]
	v_sub_nc_u32_e32 v1, 32, v1
	s_delay_alu instid0(VALU_DEP_2) | instskip(NEXT) | instid1(VALU_DEP_1)
	v_min_u32_e32 v3, 1, v14
	v_or_b32_e32 v3, v15, v3
	s_delay_alu instid0(VALU_DEP_1) | instskip(NEXT) | instid1(VALU_DEP_1)
	v_cvt_f32_u32_e32 v3, v3
	v_ldexp_f32 v1, v3, v1
	s_delay_alu instid0(VALU_DEP_1) | instskip(NEXT) | instid1(VALU_DEP_1)
	v_bfe_u32 v3, v1, 16, 1
	v_add3_u32 v1, v1, v3, 0x7fff
	s_delay_alu instid0(VALU_DEP_1)
	v_lshrrev_b32_e32 v13, 16, v1
	s_branch .LBB174_2605
.LBB174_2603:
	s_mov_b32 s22, -1
                                        ; implicit-def: $vgpr13
.LBB174_2604:
	s_mov_b32 s25, 0
.LBB174_2605:
	s_delay_alu instid0(SALU_CYCLE_1)
	s_and_b32 vcc_lo, exec_lo, s25
	s_cbranch_vccz .LBB174_2623
; %bb.2606:
	s_cmp_lt_i32 s14, 27
	s_cbranch_scc1 .LBB174_2609
; %bb.2607:
	s_cmp_gt_i32 s14, 27
	s_cbranch_scc0 .LBB174_2610
; %bb.2608:
	global_load_b32 v1, v[6:7], off
	s_mov_b32 s24, 0
	s_wait_loadcnt 0x0
	v_cvt_f32_u32_e32 v1, v1
	s_delay_alu instid0(VALU_DEP_1) | instskip(NEXT) | instid1(VALU_DEP_1)
	v_bfe_u32 v3, v1, 16, 1
	v_add3_u32 v1, v1, v3, 0x7fff
	s_delay_alu instid0(VALU_DEP_1)
	v_lshrrev_b32_e32 v13, 16, v1
	s_branch .LBB174_2611
.LBB174_2609:
	s_mov_b32 s24, -1
                                        ; implicit-def: $vgpr13
	s_branch .LBB174_2614
.LBB174_2610:
	s_mov_b32 s24, -1
                                        ; implicit-def: $vgpr13
.LBB174_2611:
	s_delay_alu instid0(SALU_CYCLE_1)
	s_and_not1_b32 vcc_lo, exec_lo, s24
	s_cbranch_vccnz .LBB174_2613
; %bb.2612:
	global_load_u16 v1, v[6:7], off
	s_wait_loadcnt 0x0
	v_cvt_f32_u32_e32 v1, v1
	s_delay_alu instid0(VALU_DEP_1) | instskip(NEXT) | instid1(VALU_DEP_1)
	v_bfe_u32 v3, v1, 16, 1
	v_add3_u32 v1, v1, v3, 0x7fff
	s_delay_alu instid0(VALU_DEP_1)
	v_lshrrev_b32_e32 v13, 16, v1
.LBB174_2613:
	s_mov_b32 s24, 0
.LBB174_2614:
	s_delay_alu instid0(SALU_CYCLE_1)
	s_and_not1_b32 vcc_lo, exec_lo, s24
	s_cbranch_vccnz .LBB174_2622
; %bb.2615:
	global_load_u8 v1, v[6:7], off
	s_mov_b32 s24, 0
	s_mov_b32 s25, exec_lo
	s_wait_loadcnt 0x0
	v_cmpx_lt_i16_e32 0x7f, v1
	s_xor_b32 s25, exec_lo, s25
	s_cbranch_execz .LBB174_2636
; %bb.2616:
	s_mov_b32 s24, -1
	s_mov_b32 s26, exec_lo
	v_cmpx_eq_u16_e32 0x80, v1
; %bb.2617:
	s_xor_b32 s24, exec_lo, -1
; %bb.2618:
	s_or_b32 exec_lo, exec_lo, s26
	s_delay_alu instid0(SALU_CYCLE_1)
	s_and_b32 s24, s24, exec_lo
	s_or_saveexec_b32 s25, s25
	v_mov_b32_e32 v3, 0x7f800001
	s_xor_b32 exec_lo, exec_lo, s25
	s_cbranch_execnz .LBB174_2637
.LBB174_2619:
	s_or_b32 exec_lo, exec_lo, s25
	s_and_saveexec_b32 s25, s24
	s_cbranch_execz .LBB174_2621
.LBB174_2620:
	v_and_b32_e32 v3, 0xffff, v1
	s_delay_alu instid0(VALU_DEP_1) | instskip(SKIP_1) | instid1(VALU_DEP_2)
	v_and_b32_e32 v5, 7, v3
	v_bfe_u32 v15, v3, 3, 4
	v_clz_i32_u32_e32 v13, v5
	s_delay_alu instid0(VALU_DEP_2) | instskip(NEXT) | instid1(VALU_DEP_2)
	v_cmp_eq_u32_e32 vcc_lo, 0, v15
	v_min_u32_e32 v13, 32, v13
	s_delay_alu instid0(VALU_DEP_1) | instskip(NEXT) | instid1(VALU_DEP_1)
	v_subrev_nc_u32_e32 v14, 28, v13
	v_dual_lshlrev_b32 v3, v14, v3 :: v_dual_sub_nc_u32 v13, 29, v13
	s_delay_alu instid0(VALU_DEP_1) | instskip(NEXT) | instid1(VALU_DEP_1)
	v_dual_lshlrev_b32 v1, 24, v1 :: v_dual_bitop2_b32 v3, 7, v3 bitop3:0x40
	v_dual_cndmask_b32 v3, v5, v3, vcc_lo :: v_dual_cndmask_b32 v13, v15, v13, vcc_lo
	s_delay_alu instid0(VALU_DEP_2) | instskip(NEXT) | instid1(VALU_DEP_2)
	v_and_b32_e32 v1, 0x80000000, v1
	v_lshlrev_b32_e32 v3, 20, v3
	s_delay_alu instid0(VALU_DEP_3) | instskip(NEXT) | instid1(VALU_DEP_1)
	v_lshl_add_u32 v5, v13, 23, 0x3b800000
	v_or3_b32 v3, v1, v5, v3
.LBB174_2621:
	s_or_b32 exec_lo, exec_lo, s25
	s_delay_alu instid0(VALU_DEP_1) | instskip(SKIP_1) | instid1(VALU_DEP_2)
	v_bfe_u32 v1, v3, 16, 1
	v_cmp_o_f32_e32 vcc_lo, v3, v3
	v_add3_u32 v1, v3, v1, 0x7fff
	s_delay_alu instid0(VALU_DEP_1) | instskip(NEXT) | instid1(VALU_DEP_1)
	v_lshrrev_b32_e32 v1, 16, v1
	v_cndmask_b32_e32 v13, 0x7fc0, v1, vcc_lo
.LBB174_2622:
	s_mov_b32 s24, -1
.LBB174_2623:
	s_mov_b32 s25, 0
.LBB174_2624:
	s_delay_alu instid0(SALU_CYCLE_1)
	s_and_b32 vcc_lo, exec_lo, s25
	s_cbranch_vccz .LBB174_2657
; %bb.2625:
	s_cmp_gt_i32 s14, 22
	s_cbranch_scc0 .LBB174_2635
; %bb.2626:
	s_cmp_lt_i32 s14, 24
	s_cbranch_scc1 .LBB174_2638
; %bb.2627:
	s_cmp_gt_i32 s14, 24
	s_cbranch_scc0 .LBB174_2639
; %bb.2628:
	global_load_u8 v1, v[6:7], off
	s_mov_b32 s24, exec_lo
	s_wait_loadcnt 0x0
	v_cmpx_lt_i16_e32 0x7f, v1
	s_xor_b32 s24, exec_lo, s24
	s_cbranch_execz .LBB174_2651
; %bb.2629:
	s_mov_b32 s23, -1
	s_mov_b32 s25, exec_lo
	v_cmpx_eq_u16_e32 0x80, v1
; %bb.2630:
	s_xor_b32 s23, exec_lo, -1
; %bb.2631:
	s_or_b32 exec_lo, exec_lo, s25
	s_delay_alu instid0(SALU_CYCLE_1)
	s_and_b32 s23, s23, exec_lo
	s_or_saveexec_b32 s24, s24
	v_mov_b32_e32 v3, 0x7f800001
	s_xor_b32 exec_lo, exec_lo, s24
	s_cbranch_execnz .LBB174_2652
.LBB174_2632:
	s_or_b32 exec_lo, exec_lo, s24
	s_and_saveexec_b32 s24, s23
	s_cbranch_execz .LBB174_2634
.LBB174_2633:
	v_and_b32_e32 v3, 0xffff, v1
	s_delay_alu instid0(VALU_DEP_1) | instskip(SKIP_1) | instid1(VALU_DEP_2)
	v_and_b32_e32 v5, 3, v3
	v_bfe_u32 v15, v3, 2, 5
	v_clz_i32_u32_e32 v13, v5
	s_delay_alu instid0(VALU_DEP_2) | instskip(NEXT) | instid1(VALU_DEP_2)
	v_cmp_eq_u32_e32 vcc_lo, 0, v15
	v_min_u32_e32 v13, 32, v13
	s_delay_alu instid0(VALU_DEP_1) | instskip(NEXT) | instid1(VALU_DEP_1)
	v_subrev_nc_u32_e32 v14, 29, v13
	v_dual_lshlrev_b32 v3, v14, v3 :: v_dual_sub_nc_u32 v13, 30, v13
	s_delay_alu instid0(VALU_DEP_1) | instskip(NEXT) | instid1(VALU_DEP_1)
	v_dual_lshlrev_b32 v1, 24, v1 :: v_dual_bitop2_b32 v3, 3, v3 bitop3:0x40
	v_dual_cndmask_b32 v3, v5, v3, vcc_lo :: v_dual_cndmask_b32 v13, v15, v13, vcc_lo
	s_delay_alu instid0(VALU_DEP_2) | instskip(NEXT) | instid1(VALU_DEP_2)
	v_and_b32_e32 v1, 0x80000000, v1
	v_lshlrev_b32_e32 v3, 21, v3
	s_delay_alu instid0(VALU_DEP_3) | instskip(NEXT) | instid1(VALU_DEP_1)
	v_lshl_add_u32 v5, v13, 23, 0x37800000
	v_or3_b32 v3, v1, v5, v3
.LBB174_2634:
	s_or_b32 exec_lo, exec_lo, s24
	s_delay_alu instid0(VALU_DEP_1) | instskip(SKIP_2) | instid1(VALU_DEP_2)
	v_bfe_u32 v1, v3, 16, 1
	v_cmp_o_f32_e32 vcc_lo, v3, v3
	s_mov_b32 s23, 0
	v_add3_u32 v1, v3, v1, 0x7fff
	s_delay_alu instid0(VALU_DEP_1) | instskip(NEXT) | instid1(VALU_DEP_1)
	v_lshrrev_b32_e32 v1, 16, v1
	v_cndmask_b32_e32 v13, 0x7fc0, v1, vcc_lo
	s_branch .LBB174_2640
.LBB174_2635:
	s_mov_b32 s23, -1
                                        ; implicit-def: $vgpr13
	s_branch .LBB174_2646
.LBB174_2636:
	s_or_saveexec_b32 s25, s25
	v_mov_b32_e32 v3, 0x7f800001
	s_xor_b32 exec_lo, exec_lo, s25
	s_cbranch_execz .LBB174_2619
.LBB174_2637:
	v_cmp_ne_u16_e32 vcc_lo, 0, v1
	v_mov_b32_e32 v3, 0
	s_and_not1_b32 s24, s24, exec_lo
	s_and_b32 s26, vcc_lo, exec_lo
	s_delay_alu instid0(SALU_CYCLE_1)
	s_or_b32 s24, s24, s26
	s_or_b32 exec_lo, exec_lo, s25
	s_and_saveexec_b32 s25, s24
	s_cbranch_execnz .LBB174_2620
	s_branch .LBB174_2621
.LBB174_2638:
	s_mov_b32 s23, -1
                                        ; implicit-def: $vgpr13
	s_branch .LBB174_2643
.LBB174_2639:
	s_mov_b32 s23, -1
                                        ; implicit-def: $vgpr13
.LBB174_2640:
	s_delay_alu instid0(SALU_CYCLE_1)
	s_and_b32 vcc_lo, exec_lo, s23
	s_cbranch_vccz .LBB174_2642
; %bb.2641:
	global_load_u8 v1, v[6:7], off
	s_wait_loadcnt 0x0
	v_lshlrev_b32_e32 v1, 24, v1
	s_delay_alu instid0(VALU_DEP_1) | instskip(NEXT) | instid1(VALU_DEP_1)
	v_and_b32_e32 v3, 0x7f000000, v1
	v_clz_i32_u32_e32 v5, v3
	v_cmp_ne_u32_e32 vcc_lo, 0, v3
	v_add_nc_u32_e32 v14, 0x1000000, v3
	s_delay_alu instid0(VALU_DEP_3) | instskip(NEXT) | instid1(VALU_DEP_1)
	v_min_u32_e32 v5, 32, v5
	v_sub_nc_u32_e64 v5, v5, 4 clamp
	s_delay_alu instid0(VALU_DEP_1) | instskip(NEXT) | instid1(VALU_DEP_1)
	v_dual_lshlrev_b32 v13, v5, v3 :: v_dual_lshlrev_b32 v5, 23, v5
	v_lshrrev_b32_e32 v13, 4, v13
	s_delay_alu instid0(VALU_DEP_1) | instskip(NEXT) | instid1(VALU_DEP_1)
	v_dual_sub_nc_u32 v5, v13, v5 :: v_dual_ashrrev_i32 v13, 8, v14
	v_add_nc_u32_e32 v5, 0x3c000000, v5
	s_delay_alu instid0(VALU_DEP_1) | instskip(NEXT) | instid1(VALU_DEP_1)
	v_and_or_b32 v5, 0x7f800000, v13, v5
	v_cndmask_b32_e32 v3, 0, v5, vcc_lo
	s_delay_alu instid0(VALU_DEP_1) | instskip(SKIP_1) | instid1(VALU_DEP_2)
	v_and_or_b32 v1, 0x80000000, v1, v3
	v_bfe_u32 v3, v3, 16, 1
	v_cmp_o_f32_e32 vcc_lo, v1, v1
	s_delay_alu instid0(VALU_DEP_2) | instskip(NEXT) | instid1(VALU_DEP_1)
	v_add3_u32 v3, v1, v3, 0x7fff
	v_lshrrev_b32_e32 v3, 16, v3
	s_delay_alu instid0(VALU_DEP_1)
	v_cndmask_b32_e32 v13, 0x7fc0, v3, vcc_lo
.LBB174_2642:
	s_mov_b32 s23, 0
.LBB174_2643:
	s_delay_alu instid0(SALU_CYCLE_1)
	s_and_not1_b32 vcc_lo, exec_lo, s23
	s_cbranch_vccnz .LBB174_2645
; %bb.2644:
	global_load_u8 v1, v[6:7], off
	s_wait_loadcnt 0x0
	v_lshlrev_b32_e32 v3, 25, v1
	v_lshlrev_b16 v1, 8, v1
	s_delay_alu instid0(VALU_DEP_2) | instskip(NEXT) | instid1(VALU_DEP_2)
	v_cmp_gt_u32_e32 vcc_lo, 0x8000000, v3
	v_and_or_b32 v13, 0x7f00, v1, 0.5
	v_lshrrev_b32_e32 v5, 4, v3
	v_bfe_i32 v1, v1, 0, 16
	s_delay_alu instid0(VALU_DEP_3) | instskip(NEXT) | instid1(VALU_DEP_3)
	v_add_f32_e32 v13, -0.5, v13
	v_or_b32_e32 v5, 0x70000000, v5
	s_delay_alu instid0(VALU_DEP_1) | instskip(NEXT) | instid1(VALU_DEP_1)
	v_mul_f32_e32 v5, 0x7800000, v5
	v_cndmask_b32_e32 v3, v5, v13, vcc_lo
	s_delay_alu instid0(VALU_DEP_1) | instskip(SKIP_1) | instid1(VALU_DEP_2)
	v_and_or_b32 v1, 0x80000000, v1, v3
	v_bfe_u32 v3, v3, 16, 1
	v_cmp_o_f32_e32 vcc_lo, v1, v1
	s_delay_alu instid0(VALU_DEP_2) | instskip(NEXT) | instid1(VALU_DEP_1)
	v_add3_u32 v3, v1, v3, 0x7fff
	v_lshrrev_b32_e32 v3, 16, v3
	s_delay_alu instid0(VALU_DEP_1)
	v_cndmask_b32_e32 v13, 0x7fc0, v3, vcc_lo
.LBB174_2645:
	s_mov_b32 s23, 0
	s_mov_b32 s24, -1
.LBB174_2646:
	s_and_not1_b32 vcc_lo, exec_lo, s23
	s_mov_b32 s23, 0
	s_cbranch_vccnz .LBB174_2657
; %bb.2647:
	s_cmp_gt_i32 s14, 14
	s_cbranch_scc0 .LBB174_2650
; %bb.2648:
	s_cmp_eq_u32 s14, 15
	s_cbranch_scc0 .LBB174_2653
; %bb.2649:
	s_wait_loadcnt 0x0
	global_load_u16 v13, v[6:7], off
	s_mov_b32 s22, 0
	s_mov_b32 s24, -1
	s_branch .LBB174_2655
.LBB174_2650:
	s_mov_b32 s23, -1
	s_branch .LBB174_2654
.LBB174_2651:
	s_or_saveexec_b32 s24, s24
	v_mov_b32_e32 v3, 0x7f800001
	s_xor_b32 exec_lo, exec_lo, s24
	s_cbranch_execz .LBB174_2632
.LBB174_2652:
	v_cmp_ne_u16_e32 vcc_lo, 0, v1
	v_mov_b32_e32 v3, 0
	s_and_not1_b32 s23, s23, exec_lo
	s_and_b32 s25, vcc_lo, exec_lo
	s_delay_alu instid0(SALU_CYCLE_1)
	s_or_b32 s23, s23, s25
	s_or_b32 exec_lo, exec_lo, s24
	s_and_saveexec_b32 s24, s23
	s_cbranch_execnz .LBB174_2633
	s_branch .LBB174_2634
.LBB174_2653:
	s_mov_b32 s22, -1
.LBB174_2654:
                                        ; implicit-def: $vgpr13
.LBB174_2655:
	s_and_b32 vcc_lo, exec_lo, s23
	s_mov_b32 s23, 0
	s_cbranch_vccz .LBB174_2657
; %bb.2656:
	s_cmp_lg_u32 s14, 11
	s_mov_b32 s23, -1
	s_cselect_b32 s22, -1, 0
.LBB174_2657:
	s_delay_alu instid0(SALU_CYCLE_1)
	s_and_b32 vcc_lo, exec_lo, s22
	s_cbranch_vccnz .LBB174_2722
; %bb.2658:
	s_and_not1_b32 vcc_lo, exec_lo, s23
	s_cbranch_vccnz .LBB174_2660
.LBB174_2659:
	global_load_u8 v1, v[6:7], off
	s_mov_b32 s24, -1
	s_wait_loadcnt 0x0
	v_cmp_ne_u16_e32 vcc_lo, 0, v1
	v_cndmask_b32_e64 v1, 0, 1.0, vcc_lo
	s_delay_alu instid0(VALU_DEP_1)
	v_lshrrev_b32_e32 v13, 16, v1
.LBB174_2660:
	s_mov_b32 s14, 0
.LBB174_2661:
	s_delay_alu instid0(SALU_CYCLE_1)
	s_and_b32 vcc_lo, exec_lo, s14
	s_cbranch_vccz .LBB174_2710
; %bb.2662:
	s_and_b32 s14, 0xffff, s17
	s_delay_alu instid0(SALU_CYCLE_1)
	s_cmp_lt_i32 s14, 5
	s_cbranch_scc1 .LBB174_2667
; %bb.2663:
	s_cmp_lt_i32 s14, 8
	s_cbranch_scc1 .LBB174_2668
; %bb.2664:
	;; [unrolled: 3-line block ×3, first 2 shown]
	s_cmp_gt_i32 s14, 9
	s_cbranch_scc0 .LBB174_2670
; %bb.2666:
	global_load_b64 v[14:15], v[6:7], off
	s_mov_b32 s22, 0
	s_wait_loadcnt 0x0
	v_cvt_f32_f64_e32 v1, v[14:15]
	s_delay_alu instid0(VALU_DEP_1) | instskip(SKIP_1) | instid1(VALU_DEP_2)
	v_bfe_u32 v3, v1, 16, 1
	v_cmp_o_f32_e32 vcc_lo, v1, v1
	v_add3_u32 v3, v1, v3, 0x7fff
	s_delay_alu instid0(VALU_DEP_1) | instskip(NEXT) | instid1(VALU_DEP_1)
	v_lshrrev_b32_e32 v3, 16, v3
	v_cndmask_b32_e32 v13, 0x7fc0, v3, vcc_lo
	s_branch .LBB174_2671
.LBB174_2667:
	s_mov_b32 s22, -1
                                        ; implicit-def: $vgpr13
	s_branch .LBB174_2689
.LBB174_2668:
	s_mov_b32 s22, -1
                                        ; implicit-def: $vgpr13
	s_branch .LBB174_2677
.LBB174_2669:
	s_mov_b32 s22, -1
                                        ; implicit-def: $vgpr13
	s_branch .LBB174_2674
.LBB174_2670:
	s_mov_b32 s22, -1
                                        ; implicit-def: $vgpr13
.LBB174_2671:
	s_delay_alu instid0(SALU_CYCLE_1)
	s_and_not1_b32 vcc_lo, exec_lo, s22
	s_cbranch_vccnz .LBB174_2673
; %bb.2672:
	global_load_b32 v1, v[6:7], off
	s_wait_loadcnt 0x0
	v_bfe_u32 v3, v1, 16, 1
	v_cmp_o_f32_e32 vcc_lo, v1, v1
	s_delay_alu instid0(VALU_DEP_2) | instskip(NEXT) | instid1(VALU_DEP_1)
	v_add3_u32 v3, v1, v3, 0x7fff
	v_lshrrev_b32_e32 v3, 16, v3
	s_delay_alu instid0(VALU_DEP_1)
	v_cndmask_b32_e32 v13, 0x7fc0, v3, vcc_lo
.LBB174_2673:
	s_mov_b32 s22, 0
.LBB174_2674:
	s_delay_alu instid0(SALU_CYCLE_1)
	s_and_not1_b32 vcc_lo, exec_lo, s22
	s_cbranch_vccnz .LBB174_2676
; %bb.2675:
	global_load_b32 v1, v[6:7], off
	s_wait_loadcnt 0x0
	v_cvt_f32_f16_e32 v3, v1
	v_cmp_o_f16_e32 vcc_lo, v1, v1
	s_delay_alu instid0(VALU_DEP_2) | instskip(NEXT) | instid1(VALU_DEP_1)
	v_bfe_u32 v5, v3, 16, 1
	v_add3_u32 v3, v3, v5, 0x7fff
	s_delay_alu instid0(VALU_DEP_1) | instskip(NEXT) | instid1(VALU_DEP_1)
	v_lshrrev_b32_e32 v3, 16, v3
	v_cndmask_b32_e32 v13, 0x7fc0, v3, vcc_lo
.LBB174_2676:
	s_mov_b32 s22, 0
.LBB174_2677:
	s_delay_alu instid0(SALU_CYCLE_1)
	s_and_not1_b32 vcc_lo, exec_lo, s22
	s_cbranch_vccnz .LBB174_2688
; %bb.2678:
	s_cmp_lt_i32 s14, 6
	s_cbranch_scc1 .LBB174_2681
; %bb.2679:
	s_cmp_gt_i32 s14, 6
	s_cbranch_scc0 .LBB174_2682
; %bb.2680:
	global_load_b64 v[14:15], v[6:7], off
	s_mov_b32 s22, 0
	s_wait_loadcnt 0x0
	v_cvt_f32_f64_e32 v1, v[14:15]
	s_delay_alu instid0(VALU_DEP_1) | instskip(SKIP_1) | instid1(VALU_DEP_2)
	v_bfe_u32 v3, v1, 16, 1
	v_cmp_o_f32_e32 vcc_lo, v1, v1
	v_add3_u32 v3, v1, v3, 0x7fff
	s_delay_alu instid0(VALU_DEP_1) | instskip(NEXT) | instid1(VALU_DEP_1)
	v_lshrrev_b32_e32 v3, 16, v3
	v_cndmask_b32_e32 v13, 0x7fc0, v3, vcc_lo
	s_branch .LBB174_2683
.LBB174_2681:
	s_mov_b32 s22, -1
                                        ; implicit-def: $vgpr13
	s_branch .LBB174_2686
.LBB174_2682:
	s_mov_b32 s22, -1
                                        ; implicit-def: $vgpr13
.LBB174_2683:
	s_delay_alu instid0(SALU_CYCLE_1)
	s_and_not1_b32 vcc_lo, exec_lo, s22
	s_cbranch_vccnz .LBB174_2685
; %bb.2684:
	global_load_b32 v1, v[6:7], off
	s_wait_loadcnt 0x0
	v_bfe_u32 v3, v1, 16, 1
	v_cmp_o_f32_e32 vcc_lo, v1, v1
	s_delay_alu instid0(VALU_DEP_2) | instskip(NEXT) | instid1(VALU_DEP_1)
	v_add3_u32 v3, v1, v3, 0x7fff
	v_lshrrev_b32_e32 v3, 16, v3
	s_delay_alu instid0(VALU_DEP_1)
	v_cndmask_b32_e32 v13, 0x7fc0, v3, vcc_lo
.LBB174_2685:
	s_mov_b32 s22, 0
.LBB174_2686:
	s_delay_alu instid0(SALU_CYCLE_1)
	s_and_not1_b32 vcc_lo, exec_lo, s22
	s_cbranch_vccnz .LBB174_2688
; %bb.2687:
	global_load_u16 v1, v[6:7], off
	s_wait_loadcnt 0x0
	v_cvt_f32_f16_e32 v3, v1
	v_cmp_o_f16_e32 vcc_lo, v1, v1
	s_delay_alu instid0(VALU_DEP_2) | instskip(NEXT) | instid1(VALU_DEP_1)
	v_bfe_u32 v5, v3, 16, 1
	v_add3_u32 v3, v3, v5, 0x7fff
	s_delay_alu instid0(VALU_DEP_1) | instskip(NEXT) | instid1(VALU_DEP_1)
	v_lshrrev_b32_e32 v3, 16, v3
	v_cndmask_b32_e32 v13, 0x7fc0, v3, vcc_lo
.LBB174_2688:
	s_mov_b32 s22, 0
.LBB174_2689:
	s_delay_alu instid0(SALU_CYCLE_1)
	s_and_not1_b32 vcc_lo, exec_lo, s22
	s_cbranch_vccnz .LBB174_2709
; %bb.2690:
	s_cmp_lt_i32 s14, 2
	s_cbranch_scc1 .LBB174_2694
; %bb.2691:
	s_cmp_lt_i32 s14, 3
	s_cbranch_scc1 .LBB174_2695
; %bb.2692:
	s_cmp_gt_i32 s14, 3
	s_cbranch_scc0 .LBB174_2696
; %bb.2693:
	global_load_b64 v[14:15], v[6:7], off
	s_mov_b32 s22, 0
	s_wait_loadcnt 0x0
	v_xor_b32_e32 v1, v14, v15
	v_cls_i32_e32 v3, v15
	s_delay_alu instid0(VALU_DEP_2) | instskip(NEXT) | instid1(VALU_DEP_1)
	v_ashrrev_i32_e32 v1, 31, v1
	v_add_nc_u32_e32 v1, 32, v1
	s_delay_alu instid0(VALU_DEP_1) | instskip(NEXT) | instid1(VALU_DEP_1)
	v_add_min_u32_e64 v1, v3, -1, v1
	v_lshlrev_b64_e32 v[14:15], v1, v[14:15]
	v_sub_nc_u32_e32 v1, 32, v1
	s_delay_alu instid0(VALU_DEP_2) | instskip(NEXT) | instid1(VALU_DEP_1)
	v_min_u32_e32 v3, 1, v14
	v_or_b32_e32 v3, v15, v3
	s_delay_alu instid0(VALU_DEP_1) | instskip(NEXT) | instid1(VALU_DEP_1)
	v_cvt_f32_i32_e32 v3, v3
	v_ldexp_f32 v1, v3, v1
	s_delay_alu instid0(VALU_DEP_1) | instskip(NEXT) | instid1(VALU_DEP_1)
	v_bfe_u32 v3, v1, 16, 1
	v_add3_u32 v1, v1, v3, 0x7fff
	s_delay_alu instid0(VALU_DEP_1)
	v_lshrrev_b32_e32 v13, 16, v1
	s_branch .LBB174_2697
.LBB174_2694:
	s_mov_b32 s22, -1
                                        ; implicit-def: $vgpr13
	s_branch .LBB174_2703
.LBB174_2695:
	s_mov_b32 s22, -1
                                        ; implicit-def: $vgpr13
	s_branch .LBB174_2700
.LBB174_2696:
	s_mov_b32 s22, -1
                                        ; implicit-def: $vgpr13
.LBB174_2697:
	s_delay_alu instid0(SALU_CYCLE_1)
	s_and_not1_b32 vcc_lo, exec_lo, s22
	s_cbranch_vccnz .LBB174_2699
; %bb.2698:
	global_load_b32 v1, v[6:7], off
	s_wait_loadcnt 0x0
	v_cvt_f32_i32_e32 v1, v1
	s_delay_alu instid0(VALU_DEP_1) | instskip(NEXT) | instid1(VALU_DEP_1)
	v_bfe_u32 v3, v1, 16, 1
	v_add3_u32 v1, v1, v3, 0x7fff
	s_delay_alu instid0(VALU_DEP_1)
	v_lshrrev_b32_e32 v13, 16, v1
.LBB174_2699:
	s_mov_b32 s22, 0
.LBB174_2700:
	s_delay_alu instid0(SALU_CYCLE_1)
	s_and_not1_b32 vcc_lo, exec_lo, s22
	s_cbranch_vccnz .LBB174_2702
; %bb.2701:
	global_load_i16 v1, v[6:7], off
	s_wait_loadcnt 0x0
	v_cvt_f32_i32_e32 v1, v1
	s_delay_alu instid0(VALU_DEP_1) | instskip(NEXT) | instid1(VALU_DEP_1)
	v_bfe_u32 v3, v1, 16, 1
	v_add3_u32 v1, v1, v3, 0x7fff
	s_delay_alu instid0(VALU_DEP_1)
	v_lshrrev_b32_e32 v13, 16, v1
.LBB174_2702:
	s_mov_b32 s22, 0
.LBB174_2703:
	s_delay_alu instid0(SALU_CYCLE_1)
	s_and_not1_b32 vcc_lo, exec_lo, s22
	s_cbranch_vccnz .LBB174_2709
; %bb.2704:
	s_cmp_gt_i32 s14, 0
	s_mov_b32 s14, 0
	s_cbranch_scc0 .LBB174_2706
; %bb.2705:
	global_load_i8 v1, v[6:7], off
	s_wait_loadcnt 0x0
	v_cvt_f32_i32_e32 v1, v1
	s_delay_alu instid0(VALU_DEP_1) | instskip(NEXT) | instid1(VALU_DEP_1)
	v_bfe_u32 v3, v1, 16, 1
	v_add3_u32 v1, v1, v3, 0x7fff
	s_delay_alu instid0(VALU_DEP_1)
	v_lshrrev_b32_e32 v13, 16, v1
	s_branch .LBB174_2707
.LBB174_2706:
	s_mov_b32 s14, -1
                                        ; implicit-def: $vgpr13
.LBB174_2707:
	s_delay_alu instid0(SALU_CYCLE_1)
	s_and_not1_b32 vcc_lo, exec_lo, s14
	s_cbranch_vccnz .LBB174_2709
; %bb.2708:
	global_load_u8 v1, v[6:7], off
	s_wait_loadcnt 0x0
	v_cvt_f32_ubyte0_e32 v1, v1
	s_delay_alu instid0(VALU_DEP_1) | instskip(NEXT) | instid1(VALU_DEP_1)
	v_bfe_u32 v3, v1, 16, 1
	v_add3_u32 v1, v1, v3, 0x7fff
	s_delay_alu instid0(VALU_DEP_1)
	v_lshrrev_b32_e32 v13, 16, v1
.LBB174_2709:
	s_mov_b32 s24, -1
.LBB174_2710:
	s_delay_alu instid0(SALU_CYCLE_1)
	s_and_not1_b32 vcc_lo, exec_lo, s24
	s_cbranch_vccnz .LBB174_4065
; %bb.2711:
	s_lshl_b32 s14, s15, 7
	s_cmp_lt_i32 s0, 11
	v_add_nc_u32_e32 v4, s14, v4
	s_delay_alu instid0(VALU_DEP_1) | instskip(SKIP_1) | instid1(VALU_DEP_1)
	v_ashrrev_i32_e32 v5, 31, v4
	s_wait_xcnt 0x0
	v_add_nc_u64_e32 v[6:7], s[10:11], v[4:5]
	s_cbranch_scc1 .LBB174_2718
; %bb.2712:
	s_cmp_gt_i32 s0, 25
	s_mov_b32 s22, 0
	s_cbranch_scc0 .LBB174_2719
; %bb.2713:
	s_cmp_gt_i32 s0, 28
	s_cbranch_scc0 .LBB174_2720
; %bb.2714:
	s_cmp_gt_i32 s0, 43
	;; [unrolled: 3-line block ×3, first 2 shown]
	s_cbranch_scc0 .LBB174_2723
; %bb.2716:
	s_cmp_eq_u32 s0, 46
	s_mov_b32 s24, 0
	s_cbranch_scc0 .LBB174_2726
; %bb.2717:
	global_load_b32 v14, v[6:7], off
	s_mov_b32 s15, 0
	s_mov_b32 s23, -1
	s_branch .LBB174_2728
.LBB174_2718:
	s_mov_b32 s15, -1
	s_mov_b32 s23, 0
                                        ; implicit-def: $vgpr14
	s_branch .LBB174_2794
.LBB174_2719:
	s_mov_b32 s24, -1
	s_mov_b32 s23, 0
	s_mov_b32 s15, 0
                                        ; implicit-def: $vgpr14
	s_branch .LBB174_2757
.LBB174_2720:
	s_mov_b32 s24, -1
	s_mov_b32 s23, 0
	s_mov_b32 s15, 0
                                        ; implicit-def: $vgpr14
	s_branch .LBB174_2738
.LBB174_2721:
	s_mov_b32 s24, -1
	s_mov_b32 s23, 0
	s_mov_b32 s15, 0
                                        ; implicit-def: $vgpr14
	s_branch .LBB174_2733
.LBB174_2722:
	s_or_b32 s18, s18, exec_lo
	s_trap 2
	s_cbranch_execz .LBB174_2659
	s_branch .LBB174_2660
.LBB174_2723:
	s_mov_b32 s24, -1
	s_mov_b32 s23, 0
	s_mov_b32 s15, 0
	s_branch .LBB174_2727
.LBB174_2724:
	s_and_not1_saveexec_b32 s43, s43
	s_cbranch_execz .LBB174_1464
.LBB174_2725:
	v_add_f32_e64 v4, 0x46000000, |v5|
	s_and_not1_b32 s42, s42, exec_lo
	s_delay_alu instid0(VALU_DEP_1) | instskip(NEXT) | instid1(VALU_DEP_1)
	v_and_b32_e32 v4, 0xff, v4
	v_cmp_ne_u32_e32 vcc_lo, 0, v4
	s_and_b32 s44, vcc_lo, exec_lo
	s_delay_alu instid0(SALU_CYCLE_1)
	s_or_b32 s42, s42, s44
	s_or_b32 exec_lo, exec_lo, s43
	v_mov_b32_e32 v6, 0
	s_and_saveexec_b32 s43, s42
	s_cbranch_execnz .LBB174_1465
	s_branch .LBB174_1466
.LBB174_2726:
	s_mov_b32 s15, -1
	s_mov_b32 s23, 0
.LBB174_2727:
                                        ; implicit-def: $vgpr14
.LBB174_2728:
	s_and_b32 vcc_lo, exec_lo, s24
	s_cbranch_vccz .LBB174_2732
; %bb.2729:
	s_cmp_eq_u32 s0, 44
	s_cbranch_scc0 .LBB174_2731
; %bb.2730:
	global_load_u8 v1, v[6:7], off
	s_mov_b32 s15, 0
	s_mov_b32 s23, -1
	s_wait_loadcnt 0x0
	v_lshlrev_b32_e32 v3, 23, v1
	v_cmp_ne_u32_e32 vcc_lo, 0xff, v1
	s_delay_alu instid0(VALU_DEP_2) | instskip(SKIP_1) | instid1(VALU_DEP_2)
	v_cndmask_b32_e32 v3, 0x7f800001, v3, vcc_lo
	v_cmp_ne_u32_e32 vcc_lo, 0, v1
	v_cndmask_b32_e32 v1, 0x400000, v3, vcc_lo
	s_delay_alu instid0(VALU_DEP_1) | instskip(SKIP_1) | instid1(VALU_DEP_2)
	v_add_nc_u32_e32 v3, 0x7fff, v1
	v_cmp_o_f32_e32 vcc_lo, v1, v1
	v_lshrrev_b32_e32 v3, 16, v3
	s_delay_alu instid0(VALU_DEP_1)
	v_cndmask_b32_e32 v14, 0x7fc0, v3, vcc_lo
	s_branch .LBB174_2732
.LBB174_2731:
	s_mov_b32 s15, -1
                                        ; implicit-def: $vgpr14
.LBB174_2732:
	s_mov_b32 s24, 0
.LBB174_2733:
	s_delay_alu instid0(SALU_CYCLE_1)
	s_and_b32 vcc_lo, exec_lo, s24
	s_cbranch_vccz .LBB174_2737
; %bb.2734:
	s_cmp_eq_u32 s0, 29
	s_cbranch_scc0 .LBB174_2736
; %bb.2735:
	s_wait_loadcnt 0x0
	global_load_b64 v[14:15], v[6:7], off
	s_mov_b32 s15, 0
	s_mov_b32 s23, -1
	s_mov_b32 s24, 0
	s_wait_loadcnt 0x0
	v_clz_i32_u32_e32 v1, v15
	s_delay_alu instid0(VALU_DEP_1) | instskip(NEXT) | instid1(VALU_DEP_1)
	v_min_u32_e32 v1, 32, v1
	v_lshlrev_b64_e32 v[14:15], v1, v[14:15]
	v_sub_nc_u32_e32 v1, 32, v1
	s_delay_alu instid0(VALU_DEP_2) | instskip(NEXT) | instid1(VALU_DEP_1)
	v_min_u32_e32 v3, 1, v14
	v_or_b32_e32 v3, v15, v3
	s_delay_alu instid0(VALU_DEP_1) | instskip(NEXT) | instid1(VALU_DEP_1)
	v_cvt_f32_u32_e32 v3, v3
	v_ldexp_f32 v1, v3, v1
	s_delay_alu instid0(VALU_DEP_1) | instskip(NEXT) | instid1(VALU_DEP_1)
	v_bfe_u32 v3, v1, 16, 1
	v_add3_u32 v1, v1, v3, 0x7fff
	s_delay_alu instid0(VALU_DEP_1)
	v_lshrrev_b32_e32 v14, 16, v1
	s_branch .LBB174_2738
.LBB174_2736:
	s_mov_b32 s15, -1
                                        ; implicit-def: $vgpr14
.LBB174_2737:
	s_mov_b32 s24, 0
.LBB174_2738:
	s_delay_alu instid0(SALU_CYCLE_1)
	s_and_b32 vcc_lo, exec_lo, s24
	s_cbranch_vccz .LBB174_2756
; %bb.2739:
	s_cmp_lt_i32 s0, 27
	s_cbranch_scc1 .LBB174_2742
; %bb.2740:
	s_cmp_gt_i32 s0, 27
	s_cbranch_scc0 .LBB174_2743
; %bb.2741:
	global_load_b32 v1, v[6:7], off
	s_mov_b32 s23, 0
	s_wait_loadcnt 0x0
	v_cvt_f32_u32_e32 v1, v1
	s_delay_alu instid0(VALU_DEP_1) | instskip(NEXT) | instid1(VALU_DEP_1)
	v_bfe_u32 v3, v1, 16, 1
	v_add3_u32 v1, v1, v3, 0x7fff
	s_delay_alu instid0(VALU_DEP_1)
	v_lshrrev_b32_e32 v14, 16, v1
	s_branch .LBB174_2744
.LBB174_2742:
	s_mov_b32 s23, -1
                                        ; implicit-def: $vgpr14
	s_branch .LBB174_2747
.LBB174_2743:
	s_mov_b32 s23, -1
                                        ; implicit-def: $vgpr14
.LBB174_2744:
	s_delay_alu instid0(SALU_CYCLE_1)
	s_and_not1_b32 vcc_lo, exec_lo, s23
	s_cbranch_vccnz .LBB174_2746
; %bb.2745:
	global_load_u16 v1, v[6:7], off
	s_wait_loadcnt 0x0
	v_cvt_f32_u32_e32 v1, v1
	s_delay_alu instid0(VALU_DEP_1) | instskip(NEXT) | instid1(VALU_DEP_1)
	v_bfe_u32 v3, v1, 16, 1
	v_add3_u32 v1, v1, v3, 0x7fff
	s_delay_alu instid0(VALU_DEP_1)
	v_lshrrev_b32_e32 v14, 16, v1
.LBB174_2746:
	s_mov_b32 s23, 0
.LBB174_2747:
	s_delay_alu instid0(SALU_CYCLE_1)
	s_and_not1_b32 vcc_lo, exec_lo, s23
	s_cbranch_vccnz .LBB174_2755
; %bb.2748:
	global_load_u8 v1, v[6:7], off
	s_mov_b32 s23, 0
	s_mov_b32 s24, exec_lo
	s_wait_loadcnt 0x0
	v_cmpx_lt_i16_e32 0x7f, v1
	s_xor_b32 s24, exec_lo, s24
	s_cbranch_execz .LBB174_2769
; %bb.2749:
	s_mov_b32 s23, -1
	s_mov_b32 s25, exec_lo
	v_cmpx_eq_u16_e32 0x80, v1
; %bb.2750:
	s_xor_b32 s23, exec_lo, -1
; %bb.2751:
	s_or_b32 exec_lo, exec_lo, s25
	s_delay_alu instid0(SALU_CYCLE_1)
	s_and_b32 s23, s23, exec_lo
	s_or_saveexec_b32 s24, s24
	v_mov_b32_e32 v3, 0x7f800001
	s_xor_b32 exec_lo, exec_lo, s24
	s_cbranch_execnz .LBB174_2770
.LBB174_2752:
	s_or_b32 exec_lo, exec_lo, s24
	s_and_saveexec_b32 s24, s23
	s_cbranch_execz .LBB174_2754
.LBB174_2753:
	v_and_b32_e32 v3, 0xffff, v1
	s_delay_alu instid0(VALU_DEP_1) | instskip(SKIP_1) | instid1(VALU_DEP_2)
	v_and_b32_e32 v5, 7, v3
	v_bfe_u32 v16, v3, 3, 4
	v_clz_i32_u32_e32 v14, v5
	s_delay_alu instid0(VALU_DEP_2) | instskip(NEXT) | instid1(VALU_DEP_2)
	v_cmp_eq_u32_e32 vcc_lo, 0, v16
	v_min_u32_e32 v14, 32, v14
	s_delay_alu instid0(VALU_DEP_1) | instskip(NEXT) | instid1(VALU_DEP_1)
	v_subrev_nc_u32_e32 v15, 28, v14
	v_dual_lshlrev_b32 v3, v15, v3 :: v_dual_sub_nc_u32 v14, 29, v14
	s_delay_alu instid0(VALU_DEP_1) | instskip(NEXT) | instid1(VALU_DEP_1)
	v_dual_lshlrev_b32 v1, 24, v1 :: v_dual_bitop2_b32 v3, 7, v3 bitop3:0x40
	v_dual_cndmask_b32 v14, v16, v14 :: v_dual_cndmask_b32 v3, v5, v3
	s_delay_alu instid0(VALU_DEP_2) | instskip(NEXT) | instid1(VALU_DEP_2)
	v_and_b32_e32 v1, 0x80000000, v1
	v_lshl_add_u32 v5, v14, 23, 0x3b800000
	s_delay_alu instid0(VALU_DEP_3) | instskip(NEXT) | instid1(VALU_DEP_1)
	v_lshlrev_b32_e32 v3, 20, v3
	v_or3_b32 v3, v1, v5, v3
.LBB174_2754:
	s_or_b32 exec_lo, exec_lo, s24
	s_delay_alu instid0(VALU_DEP_1) | instskip(SKIP_1) | instid1(VALU_DEP_2)
	v_bfe_u32 v1, v3, 16, 1
	v_cmp_o_f32_e32 vcc_lo, v3, v3
	v_add3_u32 v1, v3, v1, 0x7fff
	s_delay_alu instid0(VALU_DEP_1) | instskip(NEXT) | instid1(VALU_DEP_1)
	v_lshrrev_b32_e32 v1, 16, v1
	v_cndmask_b32_e32 v14, 0x7fc0, v1, vcc_lo
.LBB174_2755:
	s_mov_b32 s23, -1
.LBB174_2756:
	s_mov_b32 s24, 0
.LBB174_2757:
	s_delay_alu instid0(SALU_CYCLE_1)
	s_and_b32 vcc_lo, exec_lo, s24
	s_cbranch_vccz .LBB174_2790
; %bb.2758:
	s_cmp_gt_i32 s0, 22
	s_cbranch_scc0 .LBB174_2768
; %bb.2759:
	s_cmp_lt_i32 s0, 24
	s_cbranch_scc1 .LBB174_2771
; %bb.2760:
	s_cmp_gt_i32 s0, 24
	s_cbranch_scc0 .LBB174_2772
; %bb.2761:
	global_load_u8 v1, v[6:7], off
	s_mov_b32 s23, exec_lo
	s_wait_loadcnt 0x0
	v_cmpx_lt_i16_e32 0x7f, v1
	s_xor_b32 s23, exec_lo, s23
	s_cbranch_execz .LBB174_2784
; %bb.2762:
	s_mov_b32 s22, -1
	s_mov_b32 s24, exec_lo
	v_cmpx_eq_u16_e32 0x80, v1
; %bb.2763:
	s_xor_b32 s22, exec_lo, -1
; %bb.2764:
	s_or_b32 exec_lo, exec_lo, s24
	s_delay_alu instid0(SALU_CYCLE_1)
	s_and_b32 s22, s22, exec_lo
	s_or_saveexec_b32 s23, s23
	v_mov_b32_e32 v3, 0x7f800001
	s_xor_b32 exec_lo, exec_lo, s23
	s_cbranch_execnz .LBB174_2785
.LBB174_2765:
	s_or_b32 exec_lo, exec_lo, s23
	s_and_saveexec_b32 s23, s22
	s_cbranch_execz .LBB174_2767
.LBB174_2766:
	v_and_b32_e32 v3, 0xffff, v1
	s_delay_alu instid0(VALU_DEP_1) | instskip(SKIP_1) | instid1(VALU_DEP_2)
	v_and_b32_e32 v5, 3, v3
	v_bfe_u32 v16, v3, 2, 5
	v_clz_i32_u32_e32 v14, v5
	s_delay_alu instid0(VALU_DEP_2) | instskip(NEXT) | instid1(VALU_DEP_2)
	v_cmp_eq_u32_e32 vcc_lo, 0, v16
	v_min_u32_e32 v14, 32, v14
	s_delay_alu instid0(VALU_DEP_1) | instskip(NEXT) | instid1(VALU_DEP_1)
	v_subrev_nc_u32_e32 v15, 29, v14
	v_dual_lshlrev_b32 v3, v15, v3 :: v_dual_sub_nc_u32 v14, 30, v14
	s_delay_alu instid0(VALU_DEP_1) | instskip(NEXT) | instid1(VALU_DEP_1)
	v_dual_lshlrev_b32 v1, 24, v1 :: v_dual_bitop2_b32 v3, 3, v3 bitop3:0x40
	v_dual_cndmask_b32 v14, v16, v14 :: v_dual_cndmask_b32 v3, v5, v3
	s_delay_alu instid0(VALU_DEP_2) | instskip(NEXT) | instid1(VALU_DEP_2)
	v_and_b32_e32 v1, 0x80000000, v1
	v_lshl_add_u32 v5, v14, 23, 0x37800000
	s_delay_alu instid0(VALU_DEP_3) | instskip(NEXT) | instid1(VALU_DEP_1)
	v_lshlrev_b32_e32 v3, 21, v3
	v_or3_b32 v3, v1, v5, v3
.LBB174_2767:
	s_or_b32 exec_lo, exec_lo, s23
	s_delay_alu instid0(VALU_DEP_1) | instskip(SKIP_2) | instid1(VALU_DEP_2)
	v_bfe_u32 v1, v3, 16, 1
	v_cmp_o_f32_e32 vcc_lo, v3, v3
	s_mov_b32 s22, 0
	v_add3_u32 v1, v3, v1, 0x7fff
	s_delay_alu instid0(VALU_DEP_1) | instskip(NEXT) | instid1(VALU_DEP_1)
	v_lshrrev_b32_e32 v1, 16, v1
	v_cndmask_b32_e32 v14, 0x7fc0, v1, vcc_lo
	s_branch .LBB174_2773
.LBB174_2768:
	s_mov_b32 s22, -1
                                        ; implicit-def: $vgpr14
	s_branch .LBB174_2779
.LBB174_2769:
	s_or_saveexec_b32 s24, s24
	v_mov_b32_e32 v3, 0x7f800001
	s_xor_b32 exec_lo, exec_lo, s24
	s_cbranch_execz .LBB174_2752
.LBB174_2770:
	v_cmp_ne_u16_e32 vcc_lo, 0, v1
	v_mov_b32_e32 v3, 0
	s_and_not1_b32 s23, s23, exec_lo
	s_and_b32 s25, vcc_lo, exec_lo
	s_delay_alu instid0(SALU_CYCLE_1)
	s_or_b32 s23, s23, s25
	s_or_b32 exec_lo, exec_lo, s24
	s_and_saveexec_b32 s24, s23
	s_cbranch_execnz .LBB174_2753
	s_branch .LBB174_2754
.LBB174_2771:
	s_mov_b32 s22, -1
                                        ; implicit-def: $vgpr14
	s_branch .LBB174_2776
.LBB174_2772:
	s_mov_b32 s22, -1
                                        ; implicit-def: $vgpr14
.LBB174_2773:
	s_delay_alu instid0(SALU_CYCLE_1)
	s_and_b32 vcc_lo, exec_lo, s22
	s_cbranch_vccz .LBB174_2775
; %bb.2774:
	global_load_u8 v1, v[6:7], off
	s_wait_loadcnt 0x0
	v_lshlrev_b32_e32 v1, 24, v1
	s_delay_alu instid0(VALU_DEP_1) | instskip(NEXT) | instid1(VALU_DEP_1)
	v_and_b32_e32 v3, 0x7f000000, v1
	v_clz_i32_u32_e32 v5, v3
	v_add_nc_u32_e32 v15, 0x1000000, v3
	v_cmp_ne_u32_e32 vcc_lo, 0, v3
	s_delay_alu instid0(VALU_DEP_3) | instskip(NEXT) | instid1(VALU_DEP_1)
	v_min_u32_e32 v5, 32, v5
	v_sub_nc_u32_e64 v5, v5, 4 clamp
	s_delay_alu instid0(VALU_DEP_1) | instskip(NEXT) | instid1(VALU_DEP_1)
	v_dual_lshlrev_b32 v14, v5, v3 :: v_dual_lshlrev_b32 v5, 23, v5
	v_lshrrev_b32_e32 v14, 4, v14
	s_delay_alu instid0(VALU_DEP_1) | instskip(NEXT) | instid1(VALU_DEP_1)
	v_dual_sub_nc_u32 v5, v14, v5 :: v_dual_ashrrev_i32 v14, 8, v15
	v_add_nc_u32_e32 v5, 0x3c000000, v5
	s_delay_alu instid0(VALU_DEP_1) | instskip(NEXT) | instid1(VALU_DEP_1)
	v_and_or_b32 v5, 0x7f800000, v14, v5
	v_cndmask_b32_e32 v3, 0, v5, vcc_lo
	s_delay_alu instid0(VALU_DEP_1) | instskip(SKIP_1) | instid1(VALU_DEP_2)
	v_and_or_b32 v1, 0x80000000, v1, v3
	v_bfe_u32 v3, v3, 16, 1
	v_cmp_o_f32_e32 vcc_lo, v1, v1
	s_delay_alu instid0(VALU_DEP_2) | instskip(NEXT) | instid1(VALU_DEP_1)
	v_add3_u32 v3, v1, v3, 0x7fff
	v_lshrrev_b32_e32 v3, 16, v3
	s_delay_alu instid0(VALU_DEP_1)
	v_cndmask_b32_e32 v14, 0x7fc0, v3, vcc_lo
.LBB174_2775:
	s_mov_b32 s22, 0
.LBB174_2776:
	s_delay_alu instid0(SALU_CYCLE_1)
	s_and_not1_b32 vcc_lo, exec_lo, s22
	s_cbranch_vccnz .LBB174_2778
; %bb.2777:
	global_load_u8 v1, v[6:7], off
	s_wait_loadcnt 0x0
	v_lshlrev_b32_e32 v3, 25, v1
	v_lshlrev_b16 v1, 8, v1
	s_delay_alu instid0(VALU_DEP_1) | instskip(SKIP_1) | instid1(VALU_DEP_2)
	v_and_or_b32 v14, 0x7f00, v1, 0.5
	v_bfe_i32 v1, v1, 0, 16
	v_dual_add_f32 v14, -0.5, v14 :: v_dual_lshrrev_b32 v5, 4, v3
	v_cmp_gt_u32_e32 vcc_lo, 0x8000000, v3
	s_delay_alu instid0(VALU_DEP_2) | instskip(NEXT) | instid1(VALU_DEP_1)
	v_or_b32_e32 v5, 0x70000000, v5
	v_mul_f32_e32 v5, 0x7800000, v5
	s_delay_alu instid0(VALU_DEP_1) | instskip(NEXT) | instid1(VALU_DEP_1)
	v_cndmask_b32_e32 v3, v5, v14, vcc_lo
	v_and_or_b32 v1, 0x80000000, v1, v3
	v_bfe_u32 v3, v3, 16, 1
	s_delay_alu instid0(VALU_DEP_2) | instskip(NEXT) | instid1(VALU_DEP_2)
	v_cmp_o_f32_e32 vcc_lo, v1, v1
	v_add3_u32 v3, v1, v3, 0x7fff
	s_delay_alu instid0(VALU_DEP_1) | instskip(NEXT) | instid1(VALU_DEP_1)
	v_lshrrev_b32_e32 v3, 16, v3
	v_cndmask_b32_e32 v14, 0x7fc0, v3, vcc_lo
.LBB174_2778:
	s_mov_b32 s22, 0
	s_mov_b32 s23, -1
.LBB174_2779:
	s_and_not1_b32 vcc_lo, exec_lo, s22
	s_mov_b32 s22, 0
	s_cbranch_vccnz .LBB174_2790
; %bb.2780:
	s_cmp_gt_i32 s0, 14
	s_cbranch_scc0 .LBB174_2783
; %bb.2781:
	s_cmp_eq_u32 s0, 15
	s_cbranch_scc0 .LBB174_2786
; %bb.2782:
	s_wait_loadcnt 0x0
	global_load_u16 v14, v[6:7], off
	s_mov_b32 s15, 0
	s_mov_b32 s23, -1
	s_branch .LBB174_2788
.LBB174_2783:
	s_mov_b32 s22, -1
	s_branch .LBB174_2787
.LBB174_2784:
	s_or_saveexec_b32 s23, s23
	v_mov_b32_e32 v3, 0x7f800001
	s_xor_b32 exec_lo, exec_lo, s23
	s_cbranch_execz .LBB174_2765
.LBB174_2785:
	v_cmp_ne_u16_e32 vcc_lo, 0, v1
	v_mov_b32_e32 v3, 0
	s_and_not1_b32 s22, s22, exec_lo
	s_and_b32 s24, vcc_lo, exec_lo
	s_delay_alu instid0(SALU_CYCLE_1)
	s_or_b32 s22, s22, s24
	s_or_b32 exec_lo, exec_lo, s23
	s_and_saveexec_b32 s23, s22
	s_cbranch_execnz .LBB174_2766
	s_branch .LBB174_2767
.LBB174_2786:
	s_mov_b32 s15, -1
.LBB174_2787:
                                        ; implicit-def: $vgpr14
.LBB174_2788:
	s_and_b32 vcc_lo, exec_lo, s22
	s_mov_b32 s22, 0
	s_cbranch_vccz .LBB174_2790
; %bb.2789:
	s_cmp_lg_u32 s0, 11
	s_mov_b32 s22, -1
	s_cselect_b32 s15, -1, 0
.LBB174_2790:
	s_delay_alu instid0(SALU_CYCLE_1)
	s_and_b32 vcc_lo, exec_lo, s15
	s_cbranch_vccnz .LBB174_2855
; %bb.2791:
	s_and_not1_b32 vcc_lo, exec_lo, s22
	s_cbranch_vccnz .LBB174_2793
.LBB174_2792:
	global_load_u8 v1, v[6:7], off
	s_mov_b32 s23, -1
	s_wait_loadcnt 0x0
	v_cmp_ne_u16_e32 vcc_lo, 0, v1
	v_cndmask_b32_e64 v1, 0, 1.0, vcc_lo
	s_delay_alu instid0(VALU_DEP_1)
	v_lshrrev_b32_e32 v14, 16, v1
.LBB174_2793:
	s_mov_b32 s15, 0
.LBB174_2794:
	s_delay_alu instid0(SALU_CYCLE_1)
	s_and_b32 vcc_lo, exec_lo, s15
	s_cbranch_vccz .LBB174_2843
; %bb.2795:
	s_cmp_lt_i32 s0, 5
	s_cbranch_scc1 .LBB174_2800
; %bb.2796:
	s_cmp_lt_i32 s0, 8
	s_cbranch_scc1 .LBB174_2801
	;; [unrolled: 3-line block ×3, first 2 shown]
; %bb.2798:
	s_cmp_gt_i32 s0, 9
	s_cbranch_scc0 .LBB174_2803
; %bb.2799:
	s_wait_loadcnt 0x0
	global_load_b64 v[14:15], v[6:7], off
	s_mov_b32 s15, 0
	s_wait_loadcnt 0x0
	v_cvt_f32_f64_e32 v1, v[14:15]
	s_delay_alu instid0(VALU_DEP_1) | instskip(SKIP_1) | instid1(VALU_DEP_2)
	v_bfe_u32 v3, v1, 16, 1
	v_cmp_o_f32_e32 vcc_lo, v1, v1
	v_add3_u32 v3, v1, v3, 0x7fff
	s_delay_alu instid0(VALU_DEP_1) | instskip(NEXT) | instid1(VALU_DEP_1)
	v_lshrrev_b32_e32 v3, 16, v3
	v_cndmask_b32_e32 v14, 0x7fc0, v3, vcc_lo
	s_branch .LBB174_2804
.LBB174_2800:
	s_mov_b32 s15, -1
                                        ; implicit-def: $vgpr14
	s_branch .LBB174_2822
.LBB174_2801:
	s_mov_b32 s15, -1
                                        ; implicit-def: $vgpr14
	s_branch .LBB174_2810
.LBB174_2802:
	s_mov_b32 s15, -1
                                        ; implicit-def: $vgpr14
	s_branch .LBB174_2807
.LBB174_2803:
	s_mov_b32 s15, -1
                                        ; implicit-def: $vgpr14
.LBB174_2804:
	s_delay_alu instid0(SALU_CYCLE_1)
	s_and_not1_b32 vcc_lo, exec_lo, s15
	s_cbranch_vccnz .LBB174_2806
; %bb.2805:
	global_load_b32 v1, v[6:7], off
	s_wait_loadcnt 0x0
	v_bfe_u32 v3, v1, 16, 1
	v_cmp_o_f32_e32 vcc_lo, v1, v1
	s_delay_alu instid0(VALU_DEP_2) | instskip(NEXT) | instid1(VALU_DEP_1)
	v_add3_u32 v3, v1, v3, 0x7fff
	v_lshrrev_b32_e32 v3, 16, v3
	s_delay_alu instid0(VALU_DEP_1)
	v_cndmask_b32_e32 v14, 0x7fc0, v3, vcc_lo
.LBB174_2806:
	s_mov_b32 s15, 0
.LBB174_2807:
	s_delay_alu instid0(SALU_CYCLE_1)
	s_and_not1_b32 vcc_lo, exec_lo, s15
	s_cbranch_vccnz .LBB174_2809
; %bb.2808:
	global_load_b32 v1, v[6:7], off
	s_wait_loadcnt 0x0
	v_cvt_f32_f16_e32 v3, v1
	v_cmp_o_f16_e32 vcc_lo, v1, v1
	s_delay_alu instid0(VALU_DEP_2) | instskip(NEXT) | instid1(VALU_DEP_1)
	v_bfe_u32 v5, v3, 16, 1
	v_add3_u32 v3, v3, v5, 0x7fff
	s_delay_alu instid0(VALU_DEP_1) | instskip(NEXT) | instid1(VALU_DEP_1)
	v_lshrrev_b32_e32 v3, 16, v3
	v_cndmask_b32_e32 v14, 0x7fc0, v3, vcc_lo
.LBB174_2809:
	s_mov_b32 s15, 0
.LBB174_2810:
	s_delay_alu instid0(SALU_CYCLE_1)
	s_and_not1_b32 vcc_lo, exec_lo, s15
	s_cbranch_vccnz .LBB174_2821
; %bb.2811:
	s_cmp_lt_i32 s0, 6
	s_cbranch_scc1 .LBB174_2814
; %bb.2812:
	s_cmp_gt_i32 s0, 6
	s_cbranch_scc0 .LBB174_2815
; %bb.2813:
	s_wait_loadcnt 0x0
	global_load_b64 v[14:15], v[6:7], off
	s_mov_b32 s15, 0
	s_wait_loadcnt 0x0
	v_cvt_f32_f64_e32 v1, v[14:15]
	s_delay_alu instid0(VALU_DEP_1) | instskip(SKIP_1) | instid1(VALU_DEP_2)
	v_bfe_u32 v3, v1, 16, 1
	v_cmp_o_f32_e32 vcc_lo, v1, v1
	v_add3_u32 v3, v1, v3, 0x7fff
	s_delay_alu instid0(VALU_DEP_1) | instskip(NEXT) | instid1(VALU_DEP_1)
	v_lshrrev_b32_e32 v3, 16, v3
	v_cndmask_b32_e32 v14, 0x7fc0, v3, vcc_lo
	s_branch .LBB174_2816
.LBB174_2814:
	s_mov_b32 s15, -1
                                        ; implicit-def: $vgpr14
	s_branch .LBB174_2819
.LBB174_2815:
	s_mov_b32 s15, -1
                                        ; implicit-def: $vgpr14
.LBB174_2816:
	s_delay_alu instid0(SALU_CYCLE_1)
	s_and_not1_b32 vcc_lo, exec_lo, s15
	s_cbranch_vccnz .LBB174_2818
; %bb.2817:
	global_load_b32 v1, v[6:7], off
	s_wait_loadcnt 0x0
	v_bfe_u32 v3, v1, 16, 1
	v_cmp_o_f32_e32 vcc_lo, v1, v1
	s_delay_alu instid0(VALU_DEP_2) | instskip(NEXT) | instid1(VALU_DEP_1)
	v_add3_u32 v3, v1, v3, 0x7fff
	v_lshrrev_b32_e32 v3, 16, v3
	s_delay_alu instid0(VALU_DEP_1)
	v_cndmask_b32_e32 v14, 0x7fc0, v3, vcc_lo
.LBB174_2818:
	s_mov_b32 s15, 0
.LBB174_2819:
	s_delay_alu instid0(SALU_CYCLE_1)
	s_and_not1_b32 vcc_lo, exec_lo, s15
	s_cbranch_vccnz .LBB174_2821
; %bb.2820:
	global_load_u16 v1, v[6:7], off
	s_wait_loadcnt 0x0
	v_cvt_f32_f16_e32 v3, v1
	v_cmp_o_f16_e32 vcc_lo, v1, v1
	s_delay_alu instid0(VALU_DEP_2) | instskip(NEXT) | instid1(VALU_DEP_1)
	v_bfe_u32 v5, v3, 16, 1
	v_add3_u32 v3, v3, v5, 0x7fff
	s_delay_alu instid0(VALU_DEP_1) | instskip(NEXT) | instid1(VALU_DEP_1)
	v_lshrrev_b32_e32 v3, 16, v3
	v_cndmask_b32_e32 v14, 0x7fc0, v3, vcc_lo
.LBB174_2821:
	s_mov_b32 s15, 0
.LBB174_2822:
	s_delay_alu instid0(SALU_CYCLE_1)
	s_and_not1_b32 vcc_lo, exec_lo, s15
	s_cbranch_vccnz .LBB174_2842
; %bb.2823:
	s_cmp_lt_i32 s0, 2
	s_cbranch_scc1 .LBB174_2827
; %bb.2824:
	s_cmp_lt_i32 s0, 3
	s_cbranch_scc1 .LBB174_2828
; %bb.2825:
	s_cmp_gt_i32 s0, 3
	s_cbranch_scc0 .LBB174_2829
; %bb.2826:
	s_wait_loadcnt 0x0
	global_load_b64 v[14:15], v[6:7], off
	s_mov_b32 s15, 0
	s_wait_loadcnt 0x0
	v_xor_b32_e32 v1, v14, v15
	v_cls_i32_e32 v3, v15
	s_delay_alu instid0(VALU_DEP_2) | instskip(NEXT) | instid1(VALU_DEP_1)
	v_ashrrev_i32_e32 v1, 31, v1
	v_add_nc_u32_e32 v1, 32, v1
	s_delay_alu instid0(VALU_DEP_1) | instskip(NEXT) | instid1(VALU_DEP_1)
	v_add_min_u32_e64 v1, v3, -1, v1
	v_lshlrev_b64_e32 v[14:15], v1, v[14:15]
	v_sub_nc_u32_e32 v1, 32, v1
	s_delay_alu instid0(VALU_DEP_2) | instskip(NEXT) | instid1(VALU_DEP_1)
	v_min_u32_e32 v3, 1, v14
	v_or_b32_e32 v3, v15, v3
	s_delay_alu instid0(VALU_DEP_1) | instskip(NEXT) | instid1(VALU_DEP_1)
	v_cvt_f32_i32_e32 v3, v3
	v_ldexp_f32 v1, v3, v1
	s_delay_alu instid0(VALU_DEP_1) | instskip(NEXT) | instid1(VALU_DEP_1)
	v_bfe_u32 v3, v1, 16, 1
	v_add3_u32 v1, v1, v3, 0x7fff
	s_delay_alu instid0(VALU_DEP_1)
	v_lshrrev_b32_e32 v14, 16, v1
	s_branch .LBB174_2830
.LBB174_2827:
	s_mov_b32 s15, -1
                                        ; implicit-def: $vgpr14
	s_branch .LBB174_2836
.LBB174_2828:
	s_mov_b32 s15, -1
                                        ; implicit-def: $vgpr14
	s_branch .LBB174_2833
.LBB174_2829:
	s_mov_b32 s15, -1
                                        ; implicit-def: $vgpr14
.LBB174_2830:
	s_delay_alu instid0(SALU_CYCLE_1)
	s_and_not1_b32 vcc_lo, exec_lo, s15
	s_cbranch_vccnz .LBB174_2832
; %bb.2831:
	global_load_b32 v1, v[6:7], off
	s_wait_loadcnt 0x0
	v_cvt_f32_i32_e32 v1, v1
	s_delay_alu instid0(VALU_DEP_1) | instskip(NEXT) | instid1(VALU_DEP_1)
	v_bfe_u32 v3, v1, 16, 1
	v_add3_u32 v1, v1, v3, 0x7fff
	s_delay_alu instid0(VALU_DEP_1)
	v_lshrrev_b32_e32 v14, 16, v1
.LBB174_2832:
	s_mov_b32 s15, 0
.LBB174_2833:
	s_delay_alu instid0(SALU_CYCLE_1)
	s_and_not1_b32 vcc_lo, exec_lo, s15
	s_cbranch_vccnz .LBB174_2835
; %bb.2834:
	global_load_i16 v1, v[6:7], off
	s_wait_loadcnt 0x0
	v_cvt_f32_i32_e32 v1, v1
	s_delay_alu instid0(VALU_DEP_1) | instskip(NEXT) | instid1(VALU_DEP_1)
	v_bfe_u32 v3, v1, 16, 1
	v_add3_u32 v1, v1, v3, 0x7fff
	s_delay_alu instid0(VALU_DEP_1)
	v_lshrrev_b32_e32 v14, 16, v1
.LBB174_2835:
	s_mov_b32 s15, 0
.LBB174_2836:
	s_delay_alu instid0(SALU_CYCLE_1)
	s_and_not1_b32 vcc_lo, exec_lo, s15
	s_cbranch_vccnz .LBB174_2842
; %bb.2837:
	s_cmp_gt_i32 s0, 0
	s_mov_b32 s15, 0
	s_cbranch_scc0 .LBB174_2839
; %bb.2838:
	global_load_i8 v1, v[6:7], off
	s_wait_loadcnt 0x0
	v_cvt_f32_i32_e32 v1, v1
	s_delay_alu instid0(VALU_DEP_1) | instskip(NEXT) | instid1(VALU_DEP_1)
	v_bfe_u32 v3, v1, 16, 1
	v_add3_u32 v1, v1, v3, 0x7fff
	s_delay_alu instid0(VALU_DEP_1)
	v_lshrrev_b32_e32 v14, 16, v1
	s_branch .LBB174_2840
.LBB174_2839:
	s_mov_b32 s15, -1
                                        ; implicit-def: $vgpr14
.LBB174_2840:
	s_delay_alu instid0(SALU_CYCLE_1)
	s_and_not1_b32 vcc_lo, exec_lo, s15
	s_cbranch_vccnz .LBB174_2842
; %bb.2841:
	global_load_u8 v1, v[6:7], off
	s_wait_loadcnt 0x0
	v_cvt_f32_ubyte0_e32 v1, v1
	s_delay_alu instid0(VALU_DEP_1) | instskip(NEXT) | instid1(VALU_DEP_1)
	v_bfe_u32 v3, v1, 16, 1
	v_add3_u32 v1, v1, v3, 0x7fff
	s_delay_alu instid0(VALU_DEP_1)
	v_lshrrev_b32_e32 v14, 16, v1
.LBB174_2842:
	s_mov_b32 s23, -1
.LBB174_2843:
	s_delay_alu instid0(SALU_CYCLE_1)
	s_and_not1_b32 vcc_lo, exec_lo, s23
	s_cbranch_vccnz .LBB174_4065
; %bb.2844:
	v_add_nc_u32_e32 v0, s2, v0
	s_cmp_lt_i32 s19, 11
	s_delay_alu instid0(VALU_DEP_1) | instskip(SKIP_1) | instid1(VALU_DEP_1)
	v_ashrrev_i32_e32 v1, 31, v0
	s_wait_xcnt 0x0
	v_add_nc_u64_e32 v[6:7], s[6:7], v[0:1]
	s_cbranch_scc1 .LBB174_2851
; %bb.2845:
	s_and_b32 s15, 0xffff, s19
	s_mov_b32 s23, 0
	s_cmp_gt_i32 s15, 25
	s_cbranch_scc0 .LBB174_2852
; %bb.2846:
	s_cmp_gt_i32 s15, 28
	s_cbranch_scc0 .LBB174_2853
; %bb.2847:
	;; [unrolled: 3-line block ×4, first 2 shown]
	s_cmp_eq_u32 s15, 46
	s_mov_b32 s25, 0
	s_cbranch_scc0 .LBB174_2859
; %bb.2850:
	global_load_b32 v15, v[6:7], off
	s_mov_b32 s22, 0
	s_mov_b32 s24, -1
	s_branch .LBB174_2861
.LBB174_2851:
	s_mov_b32 s15, -1
	s_mov_b32 s24, 0
                                        ; implicit-def: $vgpr15
	s_branch .LBB174_2927
.LBB174_2852:
	s_mov_b32 s25, -1
	s_mov_b32 s24, 0
	s_mov_b32 s22, 0
                                        ; implicit-def: $vgpr15
	s_branch .LBB174_2890
.LBB174_2853:
	s_mov_b32 s25, -1
	s_mov_b32 s24, 0
	s_mov_b32 s22, 0
                                        ; implicit-def: $vgpr15
	s_branch .LBB174_2871
.LBB174_2854:
	s_mov_b32 s25, -1
	s_mov_b32 s24, 0
	s_mov_b32 s22, 0
                                        ; implicit-def: $vgpr15
	s_branch .LBB174_2866
.LBB174_2855:
	s_or_b32 s18, s18, exec_lo
	s_trap 2
	s_cbranch_execz .LBB174_2792
	s_branch .LBB174_2793
.LBB174_2856:
	s_mov_b32 s25, -1
	s_mov_b32 s24, 0
	s_mov_b32 s22, 0
	s_branch .LBB174_2860
.LBB174_2857:
	s_and_not1_saveexec_b32 s43, s43
	s_cbranch_execz .LBB174_1477
.LBB174_2858:
	v_add_f32_e64 v4, 0x42800000, |v5|
	s_and_not1_b32 s42, s42, exec_lo
	s_delay_alu instid0(VALU_DEP_1) | instskip(NEXT) | instid1(VALU_DEP_1)
	v_and_b32_e32 v4, 0xff, v4
	v_cmp_ne_u32_e32 vcc_lo, 0, v4
	s_and_b32 s44, vcc_lo, exec_lo
	s_delay_alu instid0(SALU_CYCLE_1)
	s_or_b32 s42, s42, s44
	s_or_b32 exec_lo, exec_lo, s43
	v_mov_b32_e32 v6, 0
	s_and_saveexec_b32 s43, s42
	s_cbranch_execnz .LBB174_1478
	s_branch .LBB174_1479
.LBB174_2859:
	s_mov_b32 s22, -1
	s_mov_b32 s24, 0
.LBB174_2860:
                                        ; implicit-def: $vgpr15
.LBB174_2861:
	s_and_b32 vcc_lo, exec_lo, s25
	s_cbranch_vccz .LBB174_2865
; %bb.2862:
	s_cmp_eq_u32 s15, 44
	s_cbranch_scc0 .LBB174_2864
; %bb.2863:
	global_load_u8 v1, v[6:7], off
	s_mov_b32 s22, 0
	s_mov_b32 s24, -1
	s_wait_loadcnt 0x0
	v_lshlrev_b32_e32 v3, 23, v1
	v_cmp_ne_u32_e32 vcc_lo, 0xff, v1
	s_delay_alu instid0(VALU_DEP_2) | instskip(SKIP_1) | instid1(VALU_DEP_2)
	v_cndmask_b32_e32 v3, 0x7f800001, v3, vcc_lo
	v_cmp_ne_u32_e32 vcc_lo, 0, v1
	v_cndmask_b32_e32 v1, 0x400000, v3, vcc_lo
	s_delay_alu instid0(VALU_DEP_1) | instskip(SKIP_1) | instid1(VALU_DEP_2)
	v_add_nc_u32_e32 v3, 0x7fff, v1
	v_cmp_o_f32_e32 vcc_lo, v1, v1
	v_lshrrev_b32_e32 v3, 16, v3
	s_delay_alu instid0(VALU_DEP_1)
	v_cndmask_b32_e32 v15, 0x7fc0, v3, vcc_lo
	s_branch .LBB174_2865
.LBB174_2864:
	s_mov_b32 s22, -1
                                        ; implicit-def: $vgpr15
.LBB174_2865:
	s_mov_b32 s25, 0
.LBB174_2866:
	s_delay_alu instid0(SALU_CYCLE_1)
	s_and_b32 vcc_lo, exec_lo, s25
	s_cbranch_vccz .LBB174_2870
; %bb.2867:
	s_cmp_eq_u32 s15, 29
	s_cbranch_scc0 .LBB174_2869
; %bb.2868:
	global_load_b64 v[16:17], v[6:7], off
	s_mov_b32 s22, 0
	s_mov_b32 s24, -1
	s_mov_b32 s25, 0
	s_wait_loadcnt 0x0
	v_clz_i32_u32_e32 v1, v17
	s_delay_alu instid0(VALU_DEP_1) | instskip(NEXT) | instid1(VALU_DEP_1)
	v_min_u32_e32 v1, 32, v1
	v_lshlrev_b64_e32 v[16:17], v1, v[16:17]
	v_sub_nc_u32_e32 v1, 32, v1
	s_delay_alu instid0(VALU_DEP_2) | instskip(NEXT) | instid1(VALU_DEP_1)
	v_min_u32_e32 v3, 1, v16
	v_or_b32_e32 v3, v17, v3
	s_delay_alu instid0(VALU_DEP_1) | instskip(NEXT) | instid1(VALU_DEP_1)
	v_cvt_f32_u32_e32 v3, v3
	v_ldexp_f32 v1, v3, v1
	s_delay_alu instid0(VALU_DEP_1) | instskip(NEXT) | instid1(VALU_DEP_1)
	v_bfe_u32 v3, v1, 16, 1
	v_add3_u32 v1, v1, v3, 0x7fff
	s_delay_alu instid0(VALU_DEP_1)
	v_lshrrev_b32_e32 v15, 16, v1
	s_branch .LBB174_2871
.LBB174_2869:
	s_mov_b32 s22, -1
                                        ; implicit-def: $vgpr15
.LBB174_2870:
	s_mov_b32 s25, 0
.LBB174_2871:
	s_delay_alu instid0(SALU_CYCLE_1)
	s_and_b32 vcc_lo, exec_lo, s25
	s_cbranch_vccz .LBB174_2889
; %bb.2872:
	s_cmp_lt_i32 s15, 27
	s_cbranch_scc1 .LBB174_2875
; %bb.2873:
	s_cmp_gt_i32 s15, 27
	s_cbranch_scc0 .LBB174_2876
; %bb.2874:
	global_load_b32 v1, v[6:7], off
	s_mov_b32 s24, 0
	s_wait_loadcnt 0x0
	v_cvt_f32_u32_e32 v1, v1
	s_delay_alu instid0(VALU_DEP_1) | instskip(NEXT) | instid1(VALU_DEP_1)
	v_bfe_u32 v3, v1, 16, 1
	v_add3_u32 v1, v1, v3, 0x7fff
	s_delay_alu instid0(VALU_DEP_1)
	v_lshrrev_b32_e32 v15, 16, v1
	s_branch .LBB174_2877
.LBB174_2875:
	s_mov_b32 s24, -1
                                        ; implicit-def: $vgpr15
	s_branch .LBB174_2880
.LBB174_2876:
	s_mov_b32 s24, -1
                                        ; implicit-def: $vgpr15
.LBB174_2877:
	s_delay_alu instid0(SALU_CYCLE_1)
	s_and_not1_b32 vcc_lo, exec_lo, s24
	s_cbranch_vccnz .LBB174_2879
; %bb.2878:
	global_load_u16 v1, v[6:7], off
	s_wait_loadcnt 0x0
	v_cvt_f32_u32_e32 v1, v1
	s_delay_alu instid0(VALU_DEP_1) | instskip(NEXT) | instid1(VALU_DEP_1)
	v_bfe_u32 v3, v1, 16, 1
	v_add3_u32 v1, v1, v3, 0x7fff
	s_delay_alu instid0(VALU_DEP_1)
	v_lshrrev_b32_e32 v15, 16, v1
.LBB174_2879:
	s_mov_b32 s24, 0
.LBB174_2880:
	s_delay_alu instid0(SALU_CYCLE_1)
	s_and_not1_b32 vcc_lo, exec_lo, s24
	s_cbranch_vccnz .LBB174_2888
; %bb.2881:
	global_load_u8 v1, v[6:7], off
	s_mov_b32 s24, 0
	s_mov_b32 s25, exec_lo
	s_wait_loadcnt 0x0
	v_cmpx_lt_i16_e32 0x7f, v1
	s_xor_b32 s25, exec_lo, s25
	s_cbranch_execz .LBB174_2902
; %bb.2882:
	s_mov_b32 s24, -1
	s_mov_b32 s26, exec_lo
	v_cmpx_eq_u16_e32 0x80, v1
; %bb.2883:
	s_xor_b32 s24, exec_lo, -1
; %bb.2884:
	s_or_b32 exec_lo, exec_lo, s26
	s_delay_alu instid0(SALU_CYCLE_1)
	s_and_b32 s24, s24, exec_lo
	s_or_saveexec_b32 s25, s25
	v_mov_b32_e32 v3, 0x7f800001
	s_xor_b32 exec_lo, exec_lo, s25
	s_cbranch_execnz .LBB174_2903
.LBB174_2885:
	s_or_b32 exec_lo, exec_lo, s25
	s_and_saveexec_b32 s25, s24
	s_cbranch_execz .LBB174_2887
.LBB174_2886:
	v_and_b32_e32 v3, 0xffff, v1
	s_delay_alu instid0(VALU_DEP_1) | instskip(SKIP_1) | instid1(VALU_DEP_2)
	v_dual_lshlrev_b32 v1, 24, v1 :: v_dual_bitop2_b32 v5, 7, v3 bitop3:0x40
	v_bfe_u32 v17, v3, 3, 4
	v_and_b32_e32 v1, 0x80000000, v1
	s_delay_alu instid0(VALU_DEP_3) | instskip(NEXT) | instid1(VALU_DEP_3)
	v_clz_i32_u32_e32 v15, v5
	v_cmp_eq_u32_e32 vcc_lo, 0, v17
	s_delay_alu instid0(VALU_DEP_2) | instskip(NEXT) | instid1(VALU_DEP_1)
	v_min_u32_e32 v15, 32, v15
	v_subrev_nc_u32_e32 v16, 28, v15
	v_sub_nc_u32_e32 v15, 29, v15
	s_delay_alu instid0(VALU_DEP_2) | instskip(NEXT) | instid1(VALU_DEP_2)
	v_lshlrev_b32_e32 v3, v16, v3
	v_cndmask_b32_e32 v15, v17, v15, vcc_lo
	s_delay_alu instid0(VALU_DEP_2) | instskip(NEXT) | instid1(VALU_DEP_1)
	v_and_b32_e32 v3, 7, v3
	v_cndmask_b32_e32 v3, v5, v3, vcc_lo
	s_delay_alu instid0(VALU_DEP_3) | instskip(NEXT) | instid1(VALU_DEP_2)
	v_lshl_add_u32 v5, v15, 23, 0x3b800000
	v_lshlrev_b32_e32 v3, 20, v3
	s_delay_alu instid0(VALU_DEP_1)
	v_or3_b32 v3, v1, v5, v3
.LBB174_2887:
	s_or_b32 exec_lo, exec_lo, s25
	s_delay_alu instid0(VALU_DEP_1) | instskip(SKIP_1) | instid1(VALU_DEP_2)
	v_bfe_u32 v1, v3, 16, 1
	v_cmp_o_f32_e32 vcc_lo, v3, v3
	v_add3_u32 v1, v3, v1, 0x7fff
	s_delay_alu instid0(VALU_DEP_1) | instskip(NEXT) | instid1(VALU_DEP_1)
	v_lshrrev_b32_e32 v1, 16, v1
	v_cndmask_b32_e32 v15, 0x7fc0, v1, vcc_lo
.LBB174_2888:
	s_mov_b32 s24, -1
.LBB174_2889:
	s_mov_b32 s25, 0
.LBB174_2890:
	s_delay_alu instid0(SALU_CYCLE_1)
	s_and_b32 vcc_lo, exec_lo, s25
	s_cbranch_vccz .LBB174_2923
; %bb.2891:
	s_cmp_gt_i32 s15, 22
	s_cbranch_scc0 .LBB174_2901
; %bb.2892:
	s_cmp_lt_i32 s15, 24
	s_cbranch_scc1 .LBB174_2904
; %bb.2893:
	s_cmp_gt_i32 s15, 24
	s_cbranch_scc0 .LBB174_2905
; %bb.2894:
	global_load_u8 v1, v[6:7], off
	s_mov_b32 s24, exec_lo
	s_wait_loadcnt 0x0
	v_cmpx_lt_i16_e32 0x7f, v1
	s_xor_b32 s24, exec_lo, s24
	s_cbranch_execz .LBB174_2917
; %bb.2895:
	s_mov_b32 s23, -1
	s_mov_b32 s25, exec_lo
	v_cmpx_eq_u16_e32 0x80, v1
; %bb.2896:
	s_xor_b32 s23, exec_lo, -1
; %bb.2897:
	s_or_b32 exec_lo, exec_lo, s25
	s_delay_alu instid0(SALU_CYCLE_1)
	s_and_b32 s23, s23, exec_lo
	s_or_saveexec_b32 s24, s24
	v_mov_b32_e32 v3, 0x7f800001
	s_xor_b32 exec_lo, exec_lo, s24
	s_cbranch_execnz .LBB174_2918
.LBB174_2898:
	s_or_b32 exec_lo, exec_lo, s24
	s_and_saveexec_b32 s24, s23
	s_cbranch_execz .LBB174_2900
.LBB174_2899:
	v_and_b32_e32 v3, 0xffff, v1
	s_delay_alu instid0(VALU_DEP_1) | instskip(SKIP_1) | instid1(VALU_DEP_2)
	v_dual_lshlrev_b32 v1, 24, v1 :: v_dual_bitop2_b32 v5, 3, v3 bitop3:0x40
	v_bfe_u32 v17, v3, 2, 5
	v_and_b32_e32 v1, 0x80000000, v1
	s_delay_alu instid0(VALU_DEP_3) | instskip(NEXT) | instid1(VALU_DEP_3)
	v_clz_i32_u32_e32 v15, v5
	v_cmp_eq_u32_e32 vcc_lo, 0, v17
	s_delay_alu instid0(VALU_DEP_2) | instskip(NEXT) | instid1(VALU_DEP_1)
	v_min_u32_e32 v15, 32, v15
	v_subrev_nc_u32_e32 v16, 29, v15
	v_sub_nc_u32_e32 v15, 30, v15
	s_delay_alu instid0(VALU_DEP_2) | instskip(NEXT) | instid1(VALU_DEP_2)
	v_lshlrev_b32_e32 v3, v16, v3
	v_cndmask_b32_e32 v15, v17, v15, vcc_lo
	s_delay_alu instid0(VALU_DEP_2) | instskip(NEXT) | instid1(VALU_DEP_1)
	v_and_b32_e32 v3, 3, v3
	v_cndmask_b32_e32 v3, v5, v3, vcc_lo
	s_delay_alu instid0(VALU_DEP_3) | instskip(NEXT) | instid1(VALU_DEP_2)
	v_lshl_add_u32 v5, v15, 23, 0x37800000
	v_lshlrev_b32_e32 v3, 21, v3
	s_delay_alu instid0(VALU_DEP_1)
	v_or3_b32 v3, v1, v5, v3
.LBB174_2900:
	s_or_b32 exec_lo, exec_lo, s24
	s_delay_alu instid0(VALU_DEP_1) | instskip(SKIP_2) | instid1(VALU_DEP_2)
	v_bfe_u32 v1, v3, 16, 1
	v_cmp_o_f32_e32 vcc_lo, v3, v3
	s_mov_b32 s23, 0
	v_add3_u32 v1, v3, v1, 0x7fff
	s_delay_alu instid0(VALU_DEP_1) | instskip(NEXT) | instid1(VALU_DEP_1)
	v_lshrrev_b32_e32 v1, 16, v1
	v_cndmask_b32_e32 v15, 0x7fc0, v1, vcc_lo
	s_branch .LBB174_2906
.LBB174_2901:
	s_mov_b32 s23, -1
                                        ; implicit-def: $vgpr15
	s_branch .LBB174_2912
.LBB174_2902:
	s_or_saveexec_b32 s25, s25
	v_mov_b32_e32 v3, 0x7f800001
	s_xor_b32 exec_lo, exec_lo, s25
	s_cbranch_execz .LBB174_2885
.LBB174_2903:
	v_cmp_ne_u16_e32 vcc_lo, 0, v1
	v_mov_b32_e32 v3, 0
	s_and_not1_b32 s24, s24, exec_lo
	s_and_b32 s26, vcc_lo, exec_lo
	s_delay_alu instid0(SALU_CYCLE_1)
	s_or_b32 s24, s24, s26
	s_or_b32 exec_lo, exec_lo, s25
	s_and_saveexec_b32 s25, s24
	s_cbranch_execnz .LBB174_2886
	s_branch .LBB174_2887
.LBB174_2904:
	s_mov_b32 s23, -1
                                        ; implicit-def: $vgpr15
	s_branch .LBB174_2909
.LBB174_2905:
	s_mov_b32 s23, -1
                                        ; implicit-def: $vgpr15
.LBB174_2906:
	s_delay_alu instid0(SALU_CYCLE_1)
	s_and_b32 vcc_lo, exec_lo, s23
	s_cbranch_vccz .LBB174_2908
; %bb.2907:
	global_load_u8 v1, v[6:7], off
	s_wait_loadcnt 0x0
	v_lshlrev_b32_e32 v1, 24, v1
	s_delay_alu instid0(VALU_DEP_1) | instskip(NEXT) | instid1(VALU_DEP_1)
	v_and_b32_e32 v3, 0x7f000000, v1
	v_clz_i32_u32_e32 v5, v3
	v_cmp_ne_u32_e32 vcc_lo, 0, v3
	v_add_nc_u32_e32 v16, 0x1000000, v3
	s_delay_alu instid0(VALU_DEP_3) | instskip(NEXT) | instid1(VALU_DEP_1)
	v_min_u32_e32 v5, 32, v5
	v_sub_nc_u32_e64 v5, v5, 4 clamp
	s_delay_alu instid0(VALU_DEP_1) | instskip(NEXT) | instid1(VALU_DEP_1)
	v_dual_lshlrev_b32 v15, v5, v3 :: v_dual_lshlrev_b32 v5, 23, v5
	v_lshrrev_b32_e32 v15, 4, v15
	s_delay_alu instid0(VALU_DEP_1) | instskip(NEXT) | instid1(VALU_DEP_1)
	v_dual_sub_nc_u32 v5, v15, v5 :: v_dual_ashrrev_i32 v15, 8, v16
	v_add_nc_u32_e32 v5, 0x3c000000, v5
	s_delay_alu instid0(VALU_DEP_1) | instskip(NEXT) | instid1(VALU_DEP_1)
	v_and_or_b32 v5, 0x7f800000, v15, v5
	v_cndmask_b32_e32 v3, 0, v5, vcc_lo
	s_delay_alu instid0(VALU_DEP_1) | instskip(SKIP_1) | instid1(VALU_DEP_2)
	v_and_or_b32 v1, 0x80000000, v1, v3
	v_bfe_u32 v3, v3, 16, 1
	v_cmp_o_f32_e32 vcc_lo, v1, v1
	s_delay_alu instid0(VALU_DEP_2) | instskip(NEXT) | instid1(VALU_DEP_1)
	v_add3_u32 v3, v1, v3, 0x7fff
	v_lshrrev_b32_e32 v3, 16, v3
	s_delay_alu instid0(VALU_DEP_1)
	v_cndmask_b32_e32 v15, 0x7fc0, v3, vcc_lo
.LBB174_2908:
	s_mov_b32 s23, 0
.LBB174_2909:
	s_delay_alu instid0(SALU_CYCLE_1)
	s_and_not1_b32 vcc_lo, exec_lo, s23
	s_cbranch_vccnz .LBB174_2911
; %bb.2910:
	global_load_u8 v1, v[6:7], off
	s_wait_loadcnt 0x0
	v_lshlrev_b32_e32 v3, 25, v1
	v_lshlrev_b16 v1, 8, v1
	s_delay_alu instid0(VALU_DEP_1) | instskip(SKIP_1) | instid1(VALU_DEP_2)
	v_and_or_b32 v15, 0x7f00, v1, 0.5
	v_bfe_i32 v1, v1, 0, 16
	v_add_f32_e32 v15, -0.5, v15
	v_lshrrev_b32_e32 v5, 4, v3
	v_cmp_gt_u32_e32 vcc_lo, 0x8000000, v3
	s_delay_alu instid0(VALU_DEP_2) | instskip(NEXT) | instid1(VALU_DEP_1)
	v_or_b32_e32 v5, 0x70000000, v5
	v_mul_f32_e32 v5, 0x7800000, v5
	s_delay_alu instid0(VALU_DEP_1) | instskip(NEXT) | instid1(VALU_DEP_1)
	v_cndmask_b32_e32 v3, v5, v15, vcc_lo
	v_and_or_b32 v1, 0x80000000, v1, v3
	v_bfe_u32 v3, v3, 16, 1
	s_delay_alu instid0(VALU_DEP_2) | instskip(NEXT) | instid1(VALU_DEP_2)
	v_cmp_o_f32_e32 vcc_lo, v1, v1
	v_add3_u32 v3, v1, v3, 0x7fff
	s_delay_alu instid0(VALU_DEP_1) | instskip(NEXT) | instid1(VALU_DEP_1)
	v_lshrrev_b32_e32 v3, 16, v3
	v_cndmask_b32_e32 v15, 0x7fc0, v3, vcc_lo
.LBB174_2911:
	s_mov_b32 s23, 0
	s_mov_b32 s24, -1
.LBB174_2912:
	s_and_not1_b32 vcc_lo, exec_lo, s23
	s_mov_b32 s23, 0
	s_cbranch_vccnz .LBB174_2923
; %bb.2913:
	s_cmp_gt_i32 s15, 14
	s_cbranch_scc0 .LBB174_2916
; %bb.2914:
	s_cmp_eq_u32 s15, 15
	s_cbranch_scc0 .LBB174_2919
; %bb.2915:
	s_wait_loadcnt 0x0
	global_load_u16 v15, v[6:7], off
	s_mov_b32 s22, 0
	s_mov_b32 s24, -1
	s_branch .LBB174_2921
.LBB174_2916:
	s_mov_b32 s23, -1
	s_branch .LBB174_2920
.LBB174_2917:
	s_or_saveexec_b32 s24, s24
	v_mov_b32_e32 v3, 0x7f800001
	s_xor_b32 exec_lo, exec_lo, s24
	s_cbranch_execz .LBB174_2898
.LBB174_2918:
	v_cmp_ne_u16_e32 vcc_lo, 0, v1
	v_mov_b32_e32 v3, 0
	s_and_not1_b32 s23, s23, exec_lo
	s_and_b32 s25, vcc_lo, exec_lo
	s_delay_alu instid0(SALU_CYCLE_1)
	s_or_b32 s23, s23, s25
	s_or_b32 exec_lo, exec_lo, s24
	s_and_saveexec_b32 s24, s23
	s_cbranch_execnz .LBB174_2899
	s_branch .LBB174_2900
.LBB174_2919:
	s_mov_b32 s22, -1
.LBB174_2920:
                                        ; implicit-def: $vgpr15
.LBB174_2921:
	s_and_b32 vcc_lo, exec_lo, s23
	s_mov_b32 s23, 0
	s_cbranch_vccz .LBB174_2923
; %bb.2922:
	s_cmp_lg_u32 s15, 11
	s_mov_b32 s23, -1
	s_cselect_b32 s22, -1, 0
.LBB174_2923:
	s_delay_alu instid0(SALU_CYCLE_1)
	s_and_b32 vcc_lo, exec_lo, s22
	s_cbranch_vccnz .LBB174_2988
; %bb.2924:
	s_and_not1_b32 vcc_lo, exec_lo, s23
	s_cbranch_vccnz .LBB174_2926
.LBB174_2925:
	global_load_u8 v1, v[6:7], off
	s_mov_b32 s24, -1
	s_wait_loadcnt 0x0
	v_cmp_ne_u16_e32 vcc_lo, 0, v1
	v_cndmask_b32_e64 v1, 0, 1.0, vcc_lo
	s_delay_alu instid0(VALU_DEP_1)
	v_lshrrev_b32_e32 v15, 16, v1
.LBB174_2926:
	s_mov_b32 s15, 0
.LBB174_2927:
	s_delay_alu instid0(SALU_CYCLE_1)
	s_and_b32 vcc_lo, exec_lo, s15
	s_cbranch_vccz .LBB174_2976
; %bb.2928:
	s_and_b32 s15, 0xffff, s19
	s_delay_alu instid0(SALU_CYCLE_1)
	s_cmp_lt_i32 s15, 5
	s_cbranch_scc1 .LBB174_2933
; %bb.2929:
	s_cmp_lt_i32 s15, 8
	s_cbranch_scc1 .LBB174_2934
; %bb.2930:
	;; [unrolled: 3-line block ×3, first 2 shown]
	s_cmp_gt_i32 s15, 9
	s_cbranch_scc0 .LBB174_2936
; %bb.2932:
	global_load_b64 v[16:17], v[6:7], off
	s_mov_b32 s22, 0
	s_wait_loadcnt 0x0
	v_cvt_f32_f64_e32 v1, v[16:17]
	s_delay_alu instid0(VALU_DEP_1) | instskip(SKIP_1) | instid1(VALU_DEP_2)
	v_bfe_u32 v3, v1, 16, 1
	v_cmp_o_f32_e32 vcc_lo, v1, v1
	v_add3_u32 v3, v1, v3, 0x7fff
	s_delay_alu instid0(VALU_DEP_1) | instskip(NEXT) | instid1(VALU_DEP_1)
	v_lshrrev_b32_e32 v3, 16, v3
	v_cndmask_b32_e32 v15, 0x7fc0, v3, vcc_lo
	s_branch .LBB174_2937
.LBB174_2933:
	s_mov_b32 s22, -1
                                        ; implicit-def: $vgpr15
	s_branch .LBB174_2955
.LBB174_2934:
	s_mov_b32 s22, -1
                                        ; implicit-def: $vgpr15
	s_branch .LBB174_2943
.LBB174_2935:
	s_mov_b32 s22, -1
                                        ; implicit-def: $vgpr15
	s_branch .LBB174_2940
.LBB174_2936:
	s_mov_b32 s22, -1
                                        ; implicit-def: $vgpr15
.LBB174_2937:
	s_delay_alu instid0(SALU_CYCLE_1)
	s_and_not1_b32 vcc_lo, exec_lo, s22
	s_cbranch_vccnz .LBB174_2939
; %bb.2938:
	global_load_b32 v1, v[6:7], off
	s_wait_loadcnt 0x0
	v_bfe_u32 v3, v1, 16, 1
	v_cmp_o_f32_e32 vcc_lo, v1, v1
	s_delay_alu instid0(VALU_DEP_2) | instskip(NEXT) | instid1(VALU_DEP_1)
	v_add3_u32 v3, v1, v3, 0x7fff
	v_lshrrev_b32_e32 v3, 16, v3
	s_delay_alu instid0(VALU_DEP_1)
	v_cndmask_b32_e32 v15, 0x7fc0, v3, vcc_lo
.LBB174_2939:
	s_mov_b32 s22, 0
.LBB174_2940:
	s_delay_alu instid0(SALU_CYCLE_1)
	s_and_not1_b32 vcc_lo, exec_lo, s22
	s_cbranch_vccnz .LBB174_2942
; %bb.2941:
	global_load_b32 v1, v[6:7], off
	s_wait_loadcnt 0x0
	v_cvt_f32_f16_e32 v3, v1
	v_cmp_o_f16_e32 vcc_lo, v1, v1
	s_delay_alu instid0(VALU_DEP_2) | instskip(NEXT) | instid1(VALU_DEP_1)
	v_bfe_u32 v5, v3, 16, 1
	v_add3_u32 v3, v3, v5, 0x7fff
	s_delay_alu instid0(VALU_DEP_1) | instskip(NEXT) | instid1(VALU_DEP_1)
	v_lshrrev_b32_e32 v3, 16, v3
	v_cndmask_b32_e32 v15, 0x7fc0, v3, vcc_lo
.LBB174_2942:
	s_mov_b32 s22, 0
.LBB174_2943:
	s_delay_alu instid0(SALU_CYCLE_1)
	s_and_not1_b32 vcc_lo, exec_lo, s22
	s_cbranch_vccnz .LBB174_2954
; %bb.2944:
	s_cmp_lt_i32 s15, 6
	s_cbranch_scc1 .LBB174_2947
; %bb.2945:
	s_cmp_gt_i32 s15, 6
	s_cbranch_scc0 .LBB174_2948
; %bb.2946:
	global_load_b64 v[16:17], v[6:7], off
	s_mov_b32 s22, 0
	s_wait_loadcnt 0x0
	v_cvt_f32_f64_e32 v1, v[16:17]
	s_delay_alu instid0(VALU_DEP_1) | instskip(SKIP_1) | instid1(VALU_DEP_2)
	v_bfe_u32 v3, v1, 16, 1
	v_cmp_o_f32_e32 vcc_lo, v1, v1
	v_add3_u32 v3, v1, v3, 0x7fff
	s_delay_alu instid0(VALU_DEP_1) | instskip(NEXT) | instid1(VALU_DEP_1)
	v_lshrrev_b32_e32 v3, 16, v3
	v_cndmask_b32_e32 v15, 0x7fc0, v3, vcc_lo
	s_branch .LBB174_2949
.LBB174_2947:
	s_mov_b32 s22, -1
                                        ; implicit-def: $vgpr15
	s_branch .LBB174_2952
.LBB174_2948:
	s_mov_b32 s22, -1
                                        ; implicit-def: $vgpr15
.LBB174_2949:
	s_delay_alu instid0(SALU_CYCLE_1)
	s_and_not1_b32 vcc_lo, exec_lo, s22
	s_cbranch_vccnz .LBB174_2951
; %bb.2950:
	global_load_b32 v1, v[6:7], off
	s_wait_loadcnt 0x0
	v_bfe_u32 v3, v1, 16, 1
	v_cmp_o_f32_e32 vcc_lo, v1, v1
	s_delay_alu instid0(VALU_DEP_2) | instskip(NEXT) | instid1(VALU_DEP_1)
	v_add3_u32 v3, v1, v3, 0x7fff
	v_lshrrev_b32_e32 v3, 16, v3
	s_delay_alu instid0(VALU_DEP_1)
	v_cndmask_b32_e32 v15, 0x7fc0, v3, vcc_lo
.LBB174_2951:
	s_mov_b32 s22, 0
.LBB174_2952:
	s_delay_alu instid0(SALU_CYCLE_1)
	s_and_not1_b32 vcc_lo, exec_lo, s22
	s_cbranch_vccnz .LBB174_2954
; %bb.2953:
	global_load_u16 v1, v[6:7], off
	s_wait_loadcnt 0x0
	v_cvt_f32_f16_e32 v3, v1
	v_cmp_o_f16_e32 vcc_lo, v1, v1
	s_delay_alu instid0(VALU_DEP_2) | instskip(NEXT) | instid1(VALU_DEP_1)
	v_bfe_u32 v5, v3, 16, 1
	v_add3_u32 v3, v3, v5, 0x7fff
	s_delay_alu instid0(VALU_DEP_1) | instskip(NEXT) | instid1(VALU_DEP_1)
	v_lshrrev_b32_e32 v3, 16, v3
	v_cndmask_b32_e32 v15, 0x7fc0, v3, vcc_lo
.LBB174_2954:
	s_mov_b32 s22, 0
.LBB174_2955:
	s_delay_alu instid0(SALU_CYCLE_1)
	s_and_not1_b32 vcc_lo, exec_lo, s22
	s_cbranch_vccnz .LBB174_2975
; %bb.2956:
	s_cmp_lt_i32 s15, 2
	s_cbranch_scc1 .LBB174_2960
; %bb.2957:
	s_cmp_lt_i32 s15, 3
	s_cbranch_scc1 .LBB174_2961
; %bb.2958:
	s_cmp_gt_i32 s15, 3
	s_cbranch_scc0 .LBB174_2962
; %bb.2959:
	global_load_b64 v[16:17], v[6:7], off
	s_mov_b32 s22, 0
	s_wait_loadcnt 0x0
	v_xor_b32_e32 v1, v16, v17
	v_cls_i32_e32 v3, v17
	s_delay_alu instid0(VALU_DEP_2) | instskip(NEXT) | instid1(VALU_DEP_1)
	v_ashrrev_i32_e32 v1, 31, v1
	v_add_nc_u32_e32 v1, 32, v1
	s_delay_alu instid0(VALU_DEP_1) | instskip(NEXT) | instid1(VALU_DEP_1)
	v_add_min_u32_e64 v1, v3, -1, v1
	v_lshlrev_b64_e32 v[16:17], v1, v[16:17]
	v_sub_nc_u32_e32 v1, 32, v1
	s_delay_alu instid0(VALU_DEP_2) | instskip(NEXT) | instid1(VALU_DEP_1)
	v_min_u32_e32 v3, 1, v16
	v_or_b32_e32 v3, v17, v3
	s_delay_alu instid0(VALU_DEP_1) | instskip(NEXT) | instid1(VALU_DEP_1)
	v_cvt_f32_i32_e32 v3, v3
	v_ldexp_f32 v1, v3, v1
	s_delay_alu instid0(VALU_DEP_1) | instskip(NEXT) | instid1(VALU_DEP_1)
	v_bfe_u32 v3, v1, 16, 1
	v_add3_u32 v1, v1, v3, 0x7fff
	s_delay_alu instid0(VALU_DEP_1)
	v_lshrrev_b32_e32 v15, 16, v1
	s_branch .LBB174_2963
.LBB174_2960:
	s_mov_b32 s22, -1
                                        ; implicit-def: $vgpr15
	s_branch .LBB174_2969
.LBB174_2961:
	s_mov_b32 s22, -1
                                        ; implicit-def: $vgpr15
	s_branch .LBB174_2966
.LBB174_2962:
	s_mov_b32 s22, -1
                                        ; implicit-def: $vgpr15
.LBB174_2963:
	s_delay_alu instid0(SALU_CYCLE_1)
	s_and_not1_b32 vcc_lo, exec_lo, s22
	s_cbranch_vccnz .LBB174_2965
; %bb.2964:
	global_load_b32 v1, v[6:7], off
	s_wait_loadcnt 0x0
	v_cvt_f32_i32_e32 v1, v1
	s_delay_alu instid0(VALU_DEP_1) | instskip(NEXT) | instid1(VALU_DEP_1)
	v_bfe_u32 v3, v1, 16, 1
	v_add3_u32 v1, v1, v3, 0x7fff
	s_delay_alu instid0(VALU_DEP_1)
	v_lshrrev_b32_e32 v15, 16, v1
.LBB174_2965:
	s_mov_b32 s22, 0
.LBB174_2966:
	s_delay_alu instid0(SALU_CYCLE_1)
	s_and_not1_b32 vcc_lo, exec_lo, s22
	s_cbranch_vccnz .LBB174_2968
; %bb.2967:
	global_load_i16 v1, v[6:7], off
	s_wait_loadcnt 0x0
	v_cvt_f32_i32_e32 v1, v1
	s_delay_alu instid0(VALU_DEP_1) | instskip(NEXT) | instid1(VALU_DEP_1)
	v_bfe_u32 v3, v1, 16, 1
	v_add3_u32 v1, v1, v3, 0x7fff
	s_delay_alu instid0(VALU_DEP_1)
	v_lshrrev_b32_e32 v15, 16, v1
.LBB174_2968:
	s_mov_b32 s22, 0
.LBB174_2969:
	s_delay_alu instid0(SALU_CYCLE_1)
	s_and_not1_b32 vcc_lo, exec_lo, s22
	s_cbranch_vccnz .LBB174_2975
; %bb.2970:
	s_cmp_gt_i32 s15, 0
	s_mov_b32 s15, 0
	s_cbranch_scc0 .LBB174_2972
; %bb.2971:
	global_load_i8 v1, v[6:7], off
	s_wait_loadcnt 0x0
	v_cvt_f32_i32_e32 v1, v1
	s_delay_alu instid0(VALU_DEP_1) | instskip(NEXT) | instid1(VALU_DEP_1)
	v_bfe_u32 v3, v1, 16, 1
	v_add3_u32 v1, v1, v3, 0x7fff
	s_delay_alu instid0(VALU_DEP_1)
	v_lshrrev_b32_e32 v15, 16, v1
	s_branch .LBB174_2973
.LBB174_2972:
	s_mov_b32 s15, -1
                                        ; implicit-def: $vgpr15
.LBB174_2973:
	s_delay_alu instid0(SALU_CYCLE_1)
	s_and_not1_b32 vcc_lo, exec_lo, s15
	s_cbranch_vccnz .LBB174_2975
; %bb.2974:
	global_load_u8 v1, v[6:7], off
	s_wait_loadcnt 0x0
	v_cvt_f32_ubyte0_e32 v1, v1
	s_delay_alu instid0(VALU_DEP_1) | instskip(NEXT) | instid1(VALU_DEP_1)
	v_bfe_u32 v3, v1, 16, 1
	v_add3_u32 v1, v1, v3, 0x7fff
	s_delay_alu instid0(VALU_DEP_1)
	v_lshrrev_b32_e32 v15, 16, v1
.LBB174_2975:
	s_mov_b32 s24, -1
.LBB174_2976:
	s_delay_alu instid0(SALU_CYCLE_1)
	s_and_not1_b32 vcc_lo, exec_lo, s24
	s_cbranch_vccnz .LBB174_4065
; %bb.2977:
	v_add_nc_u32_e32 v2, s13, v2
	s_cmp_lt_i32 s17, 11
	s_delay_alu instid0(VALU_DEP_1) | instskip(SKIP_1) | instid1(VALU_DEP_1)
	v_ashrrev_i32_e32 v3, 31, v2
	s_wait_xcnt 0x0
	v_add_nc_u64_e32 v[6:7], s[8:9], v[2:3]
	s_cbranch_scc1 .LBB174_2984
; %bb.2978:
	s_and_b32 s15, 0xffff, s17
	s_mov_b32 s23, 0
	s_cmp_gt_i32 s15, 25
	s_cbranch_scc0 .LBB174_2985
; %bb.2979:
	s_cmp_gt_i32 s15, 28
	s_cbranch_scc0 .LBB174_2986
; %bb.2980:
	;; [unrolled: 3-line block ×4, first 2 shown]
	s_cmp_eq_u32 s15, 46
	s_mov_b32 s25, 0
	s_cbranch_scc0 .LBB174_2990
; %bb.2983:
	global_load_b32 v16, v[6:7], off
	s_mov_b32 s22, 0
	s_mov_b32 s24, -1
	s_branch .LBB174_2992
.LBB174_2984:
	s_mov_b32 s15, -1
	s_mov_b32 s24, 0
                                        ; implicit-def: $vgpr16
	s_branch .LBB174_3058
.LBB174_2985:
	s_mov_b32 s25, -1
	s_mov_b32 s24, 0
	s_mov_b32 s22, 0
                                        ; implicit-def: $vgpr16
	s_branch .LBB174_3021
.LBB174_2986:
	s_mov_b32 s25, -1
	s_mov_b32 s24, 0
	s_mov_b32 s22, 0
                                        ; implicit-def: $vgpr16
	s_branch .LBB174_3002
.LBB174_2987:
	s_mov_b32 s25, -1
	s_mov_b32 s24, 0
	s_mov_b32 s22, 0
                                        ; implicit-def: $vgpr16
	s_branch .LBB174_2997
.LBB174_2988:
	s_or_b32 s18, s18, exec_lo
	s_trap 2
	s_cbranch_execz .LBB174_2925
	s_branch .LBB174_2926
.LBB174_2989:
	s_mov_b32 s25, -1
	s_mov_b32 s24, 0
	s_mov_b32 s22, 0
	s_branch .LBB174_2991
.LBB174_2990:
	s_mov_b32 s22, -1
	s_mov_b32 s24, 0
.LBB174_2991:
                                        ; implicit-def: $vgpr16
.LBB174_2992:
	s_and_b32 vcc_lo, exec_lo, s25
	s_cbranch_vccz .LBB174_2996
; %bb.2993:
	s_cmp_eq_u32 s15, 44
	s_cbranch_scc0 .LBB174_2995
; %bb.2994:
	global_load_u8 v1, v[6:7], off
	s_mov_b32 s22, 0
	s_mov_b32 s24, -1
	s_wait_loadcnt 0x0
	v_lshlrev_b32_e32 v3, 23, v1
	v_cmp_ne_u32_e32 vcc_lo, 0xff, v1
	s_delay_alu instid0(VALU_DEP_2) | instskip(SKIP_1) | instid1(VALU_DEP_2)
	v_cndmask_b32_e32 v3, 0x7f800001, v3, vcc_lo
	v_cmp_ne_u32_e32 vcc_lo, 0, v1
	v_cndmask_b32_e32 v1, 0x400000, v3, vcc_lo
	s_delay_alu instid0(VALU_DEP_1) | instskip(SKIP_1) | instid1(VALU_DEP_2)
	v_add_nc_u32_e32 v3, 0x7fff, v1
	v_cmp_o_f32_e32 vcc_lo, v1, v1
	v_lshrrev_b32_e32 v3, 16, v3
	s_delay_alu instid0(VALU_DEP_1)
	v_cndmask_b32_e32 v16, 0x7fc0, v3, vcc_lo
	s_branch .LBB174_2996
.LBB174_2995:
	s_mov_b32 s22, -1
                                        ; implicit-def: $vgpr16
.LBB174_2996:
	s_mov_b32 s25, 0
.LBB174_2997:
	s_delay_alu instid0(SALU_CYCLE_1)
	s_and_b32 vcc_lo, exec_lo, s25
	s_cbranch_vccz .LBB174_3001
; %bb.2998:
	s_cmp_eq_u32 s15, 29
	s_cbranch_scc0 .LBB174_3000
; %bb.2999:
	s_wait_loadcnt 0x0
	global_load_b64 v[16:17], v[6:7], off
	s_mov_b32 s22, 0
	s_mov_b32 s24, -1
	s_mov_b32 s25, 0
	s_wait_loadcnt 0x0
	v_clz_i32_u32_e32 v1, v17
	s_delay_alu instid0(VALU_DEP_1) | instskip(NEXT) | instid1(VALU_DEP_1)
	v_min_u32_e32 v1, 32, v1
	v_lshlrev_b64_e32 v[16:17], v1, v[16:17]
	v_sub_nc_u32_e32 v1, 32, v1
	s_delay_alu instid0(VALU_DEP_2) | instskip(NEXT) | instid1(VALU_DEP_1)
	v_min_u32_e32 v3, 1, v16
	v_or_b32_e32 v3, v17, v3
	s_delay_alu instid0(VALU_DEP_1) | instskip(NEXT) | instid1(VALU_DEP_1)
	v_cvt_f32_u32_e32 v3, v3
	v_ldexp_f32 v1, v3, v1
	s_delay_alu instid0(VALU_DEP_1) | instskip(NEXT) | instid1(VALU_DEP_1)
	v_bfe_u32 v3, v1, 16, 1
	v_add3_u32 v1, v1, v3, 0x7fff
	s_delay_alu instid0(VALU_DEP_1)
	v_lshrrev_b32_e32 v16, 16, v1
	s_branch .LBB174_3002
.LBB174_3000:
	s_mov_b32 s22, -1
                                        ; implicit-def: $vgpr16
.LBB174_3001:
	s_mov_b32 s25, 0
.LBB174_3002:
	s_delay_alu instid0(SALU_CYCLE_1)
	s_and_b32 vcc_lo, exec_lo, s25
	s_cbranch_vccz .LBB174_3020
; %bb.3003:
	s_cmp_lt_i32 s15, 27
	s_cbranch_scc1 .LBB174_3006
; %bb.3004:
	s_cmp_gt_i32 s15, 27
	s_cbranch_scc0 .LBB174_3007
; %bb.3005:
	global_load_b32 v1, v[6:7], off
	s_mov_b32 s24, 0
	s_wait_loadcnt 0x0
	v_cvt_f32_u32_e32 v1, v1
	s_delay_alu instid0(VALU_DEP_1) | instskip(NEXT) | instid1(VALU_DEP_1)
	v_bfe_u32 v3, v1, 16, 1
	v_add3_u32 v1, v1, v3, 0x7fff
	s_delay_alu instid0(VALU_DEP_1)
	v_lshrrev_b32_e32 v16, 16, v1
	s_branch .LBB174_3008
.LBB174_3006:
	s_mov_b32 s24, -1
                                        ; implicit-def: $vgpr16
	s_branch .LBB174_3011
.LBB174_3007:
	s_mov_b32 s24, -1
                                        ; implicit-def: $vgpr16
.LBB174_3008:
	s_delay_alu instid0(SALU_CYCLE_1)
	s_and_not1_b32 vcc_lo, exec_lo, s24
	s_cbranch_vccnz .LBB174_3010
; %bb.3009:
	global_load_u16 v1, v[6:7], off
	s_wait_loadcnt 0x0
	v_cvt_f32_u32_e32 v1, v1
	s_delay_alu instid0(VALU_DEP_1) | instskip(NEXT) | instid1(VALU_DEP_1)
	v_bfe_u32 v3, v1, 16, 1
	v_add3_u32 v1, v1, v3, 0x7fff
	s_delay_alu instid0(VALU_DEP_1)
	v_lshrrev_b32_e32 v16, 16, v1
.LBB174_3010:
	s_mov_b32 s24, 0
.LBB174_3011:
	s_delay_alu instid0(SALU_CYCLE_1)
	s_and_not1_b32 vcc_lo, exec_lo, s24
	s_cbranch_vccnz .LBB174_3019
; %bb.3012:
	global_load_u8 v1, v[6:7], off
	s_mov_b32 s24, 0
	s_mov_b32 s25, exec_lo
	s_wait_loadcnt 0x0
	v_cmpx_lt_i16_e32 0x7f, v1
	s_xor_b32 s25, exec_lo, s25
	s_cbranch_execz .LBB174_3033
; %bb.3013:
	s_mov_b32 s24, -1
	s_mov_b32 s26, exec_lo
	v_cmpx_eq_u16_e32 0x80, v1
; %bb.3014:
	s_xor_b32 s24, exec_lo, -1
; %bb.3015:
	s_or_b32 exec_lo, exec_lo, s26
	s_delay_alu instid0(SALU_CYCLE_1)
	s_and_b32 s24, s24, exec_lo
	s_or_saveexec_b32 s25, s25
	v_mov_b32_e32 v3, 0x7f800001
	s_xor_b32 exec_lo, exec_lo, s25
	s_cbranch_execnz .LBB174_3034
.LBB174_3016:
	s_or_b32 exec_lo, exec_lo, s25
	s_and_saveexec_b32 s25, s24
	s_cbranch_execz .LBB174_3018
.LBB174_3017:
	v_and_b32_e32 v3, 0xffff, v1
	s_delay_alu instid0(VALU_DEP_1) | instskip(SKIP_1) | instid1(VALU_DEP_2)
	v_and_b32_e32 v5, 7, v3
	v_bfe_u32 v18, v3, 3, 4
	v_clz_i32_u32_e32 v16, v5
	s_delay_alu instid0(VALU_DEP_2) | instskip(NEXT) | instid1(VALU_DEP_2)
	v_cmp_eq_u32_e32 vcc_lo, 0, v18
	v_min_u32_e32 v16, 32, v16
	s_delay_alu instid0(VALU_DEP_1) | instskip(NEXT) | instid1(VALU_DEP_1)
	v_subrev_nc_u32_e32 v17, 28, v16
	v_dual_lshlrev_b32 v3, v17, v3 :: v_dual_sub_nc_u32 v16, 29, v16
	s_delay_alu instid0(VALU_DEP_1) | instskip(NEXT) | instid1(VALU_DEP_1)
	v_dual_lshlrev_b32 v1, 24, v1 :: v_dual_bitop2_b32 v3, 7, v3 bitop3:0x40
	v_dual_cndmask_b32 v16, v18, v16 :: v_dual_cndmask_b32 v3, v5, v3
	s_delay_alu instid0(VALU_DEP_2) | instskip(NEXT) | instid1(VALU_DEP_2)
	v_and_b32_e32 v1, 0x80000000, v1
	v_lshl_add_u32 v5, v16, 23, 0x3b800000
	s_delay_alu instid0(VALU_DEP_3) | instskip(NEXT) | instid1(VALU_DEP_1)
	v_lshlrev_b32_e32 v3, 20, v3
	v_or3_b32 v3, v1, v5, v3
.LBB174_3018:
	s_or_b32 exec_lo, exec_lo, s25
	s_delay_alu instid0(VALU_DEP_1) | instskip(SKIP_1) | instid1(VALU_DEP_2)
	v_bfe_u32 v1, v3, 16, 1
	v_cmp_o_f32_e32 vcc_lo, v3, v3
	v_add3_u32 v1, v3, v1, 0x7fff
	s_delay_alu instid0(VALU_DEP_1) | instskip(NEXT) | instid1(VALU_DEP_1)
	v_lshrrev_b32_e32 v1, 16, v1
	v_cndmask_b32_e32 v16, 0x7fc0, v1, vcc_lo
.LBB174_3019:
	s_mov_b32 s24, -1
.LBB174_3020:
	s_mov_b32 s25, 0
.LBB174_3021:
	s_delay_alu instid0(SALU_CYCLE_1)
	s_and_b32 vcc_lo, exec_lo, s25
	s_cbranch_vccz .LBB174_3054
; %bb.3022:
	s_cmp_gt_i32 s15, 22
	s_cbranch_scc0 .LBB174_3032
; %bb.3023:
	s_cmp_lt_i32 s15, 24
	s_cbranch_scc1 .LBB174_3035
; %bb.3024:
	s_cmp_gt_i32 s15, 24
	s_cbranch_scc0 .LBB174_3036
; %bb.3025:
	global_load_u8 v1, v[6:7], off
	s_mov_b32 s24, exec_lo
	s_wait_loadcnt 0x0
	v_cmpx_lt_i16_e32 0x7f, v1
	s_xor_b32 s24, exec_lo, s24
	s_cbranch_execz .LBB174_3048
; %bb.3026:
	s_mov_b32 s23, -1
	s_mov_b32 s25, exec_lo
	v_cmpx_eq_u16_e32 0x80, v1
; %bb.3027:
	s_xor_b32 s23, exec_lo, -1
; %bb.3028:
	s_or_b32 exec_lo, exec_lo, s25
	s_delay_alu instid0(SALU_CYCLE_1)
	s_and_b32 s23, s23, exec_lo
	s_or_saveexec_b32 s24, s24
	v_mov_b32_e32 v3, 0x7f800001
	s_xor_b32 exec_lo, exec_lo, s24
	s_cbranch_execnz .LBB174_3049
.LBB174_3029:
	s_or_b32 exec_lo, exec_lo, s24
	s_and_saveexec_b32 s24, s23
	s_cbranch_execz .LBB174_3031
.LBB174_3030:
	v_and_b32_e32 v3, 0xffff, v1
	s_delay_alu instid0(VALU_DEP_1) | instskip(SKIP_1) | instid1(VALU_DEP_2)
	v_and_b32_e32 v5, 3, v3
	v_bfe_u32 v18, v3, 2, 5
	v_clz_i32_u32_e32 v16, v5
	s_delay_alu instid0(VALU_DEP_2) | instskip(NEXT) | instid1(VALU_DEP_2)
	v_cmp_eq_u32_e32 vcc_lo, 0, v18
	v_min_u32_e32 v16, 32, v16
	s_delay_alu instid0(VALU_DEP_1) | instskip(NEXT) | instid1(VALU_DEP_1)
	v_subrev_nc_u32_e32 v17, 29, v16
	v_dual_lshlrev_b32 v3, v17, v3 :: v_dual_sub_nc_u32 v16, 30, v16
	s_delay_alu instid0(VALU_DEP_1) | instskip(NEXT) | instid1(VALU_DEP_1)
	v_dual_lshlrev_b32 v1, 24, v1 :: v_dual_bitop2_b32 v3, 3, v3 bitop3:0x40
	v_dual_cndmask_b32 v16, v18, v16 :: v_dual_cndmask_b32 v3, v5, v3
	s_delay_alu instid0(VALU_DEP_2) | instskip(NEXT) | instid1(VALU_DEP_2)
	v_and_b32_e32 v1, 0x80000000, v1
	v_lshl_add_u32 v5, v16, 23, 0x37800000
	s_delay_alu instid0(VALU_DEP_3) | instskip(NEXT) | instid1(VALU_DEP_1)
	v_lshlrev_b32_e32 v3, 21, v3
	v_or3_b32 v3, v1, v5, v3
.LBB174_3031:
	s_or_b32 exec_lo, exec_lo, s24
	s_delay_alu instid0(VALU_DEP_1) | instskip(SKIP_2) | instid1(VALU_DEP_2)
	v_bfe_u32 v1, v3, 16, 1
	v_cmp_o_f32_e32 vcc_lo, v3, v3
	s_mov_b32 s23, 0
	v_add3_u32 v1, v3, v1, 0x7fff
	s_delay_alu instid0(VALU_DEP_1) | instskip(NEXT) | instid1(VALU_DEP_1)
	v_lshrrev_b32_e32 v1, 16, v1
	v_cndmask_b32_e32 v16, 0x7fc0, v1, vcc_lo
	s_branch .LBB174_3037
.LBB174_3032:
	s_mov_b32 s23, -1
                                        ; implicit-def: $vgpr16
	s_branch .LBB174_3043
.LBB174_3033:
	s_or_saveexec_b32 s25, s25
	v_mov_b32_e32 v3, 0x7f800001
	s_xor_b32 exec_lo, exec_lo, s25
	s_cbranch_execz .LBB174_3016
.LBB174_3034:
	v_cmp_ne_u16_e32 vcc_lo, 0, v1
	v_mov_b32_e32 v3, 0
	s_and_not1_b32 s24, s24, exec_lo
	s_and_b32 s26, vcc_lo, exec_lo
	s_delay_alu instid0(SALU_CYCLE_1)
	s_or_b32 s24, s24, s26
	s_or_b32 exec_lo, exec_lo, s25
	s_and_saveexec_b32 s25, s24
	s_cbranch_execnz .LBB174_3017
	s_branch .LBB174_3018
.LBB174_3035:
	s_mov_b32 s23, -1
                                        ; implicit-def: $vgpr16
	s_branch .LBB174_3040
.LBB174_3036:
	s_mov_b32 s23, -1
                                        ; implicit-def: $vgpr16
.LBB174_3037:
	s_delay_alu instid0(SALU_CYCLE_1)
	s_and_b32 vcc_lo, exec_lo, s23
	s_cbranch_vccz .LBB174_3039
; %bb.3038:
	global_load_u8 v1, v[6:7], off
	s_wait_loadcnt 0x0
	v_lshlrev_b32_e32 v1, 24, v1
	s_delay_alu instid0(VALU_DEP_1) | instskip(NEXT) | instid1(VALU_DEP_1)
	v_and_b32_e32 v3, 0x7f000000, v1
	v_clz_i32_u32_e32 v5, v3
	v_add_nc_u32_e32 v17, 0x1000000, v3
	v_cmp_ne_u32_e32 vcc_lo, 0, v3
	s_delay_alu instid0(VALU_DEP_3) | instskip(NEXT) | instid1(VALU_DEP_1)
	v_min_u32_e32 v5, 32, v5
	v_sub_nc_u32_e64 v5, v5, 4 clamp
	s_delay_alu instid0(VALU_DEP_1) | instskip(NEXT) | instid1(VALU_DEP_1)
	v_dual_lshlrev_b32 v16, v5, v3 :: v_dual_lshlrev_b32 v5, 23, v5
	v_lshrrev_b32_e32 v16, 4, v16
	s_delay_alu instid0(VALU_DEP_1) | instskip(SKIP_1) | instid1(VALU_DEP_2)
	v_sub_nc_u32_e32 v5, v16, v5
	v_ashrrev_i32_e32 v16, 8, v17
	v_add_nc_u32_e32 v5, 0x3c000000, v5
	s_delay_alu instid0(VALU_DEP_1) | instskip(NEXT) | instid1(VALU_DEP_1)
	v_and_or_b32 v5, 0x7f800000, v16, v5
	v_cndmask_b32_e32 v3, 0, v5, vcc_lo
	s_delay_alu instid0(VALU_DEP_1) | instskip(SKIP_1) | instid1(VALU_DEP_2)
	v_and_or_b32 v1, 0x80000000, v1, v3
	v_bfe_u32 v3, v3, 16, 1
	v_cmp_o_f32_e32 vcc_lo, v1, v1
	s_delay_alu instid0(VALU_DEP_2) | instskip(NEXT) | instid1(VALU_DEP_1)
	v_add3_u32 v3, v1, v3, 0x7fff
	v_lshrrev_b32_e32 v3, 16, v3
	s_delay_alu instid0(VALU_DEP_1)
	v_cndmask_b32_e32 v16, 0x7fc0, v3, vcc_lo
.LBB174_3039:
	s_mov_b32 s23, 0
.LBB174_3040:
	s_delay_alu instid0(SALU_CYCLE_1)
	s_and_not1_b32 vcc_lo, exec_lo, s23
	s_cbranch_vccnz .LBB174_3042
; %bb.3041:
	global_load_u8 v1, v[6:7], off
	s_wait_loadcnt 0x0
	v_lshlrev_b32_e32 v3, 25, v1
	v_lshlrev_b16 v1, 8, v1
	s_delay_alu instid0(VALU_DEP_1) | instskip(SKIP_1) | instid1(VALU_DEP_2)
	v_and_or_b32 v16, 0x7f00, v1, 0.5
	v_bfe_i32 v1, v1, 0, 16
	v_dual_add_f32 v16, -0.5, v16 :: v_dual_lshrrev_b32 v5, 4, v3
	v_cmp_gt_u32_e32 vcc_lo, 0x8000000, v3
	s_delay_alu instid0(VALU_DEP_2) | instskip(NEXT) | instid1(VALU_DEP_1)
	v_or_b32_e32 v5, 0x70000000, v5
	v_mul_f32_e32 v5, 0x7800000, v5
	s_delay_alu instid0(VALU_DEP_1) | instskip(NEXT) | instid1(VALU_DEP_1)
	v_cndmask_b32_e32 v3, v5, v16, vcc_lo
	v_and_or_b32 v1, 0x80000000, v1, v3
	v_bfe_u32 v3, v3, 16, 1
	s_delay_alu instid0(VALU_DEP_2) | instskip(NEXT) | instid1(VALU_DEP_2)
	v_cmp_o_f32_e32 vcc_lo, v1, v1
	v_add3_u32 v3, v1, v3, 0x7fff
	s_delay_alu instid0(VALU_DEP_1) | instskip(NEXT) | instid1(VALU_DEP_1)
	v_lshrrev_b32_e32 v3, 16, v3
	v_cndmask_b32_e32 v16, 0x7fc0, v3, vcc_lo
.LBB174_3042:
	s_mov_b32 s23, 0
	s_mov_b32 s24, -1
.LBB174_3043:
	s_and_not1_b32 vcc_lo, exec_lo, s23
	s_mov_b32 s23, 0
	s_cbranch_vccnz .LBB174_3054
; %bb.3044:
	s_cmp_gt_i32 s15, 14
	s_cbranch_scc0 .LBB174_3047
; %bb.3045:
	s_cmp_eq_u32 s15, 15
	s_cbranch_scc0 .LBB174_3050
; %bb.3046:
	s_wait_loadcnt 0x0
	global_load_u16 v16, v[6:7], off
	s_mov_b32 s22, 0
	s_mov_b32 s24, -1
	s_branch .LBB174_3052
.LBB174_3047:
	s_mov_b32 s23, -1
	s_branch .LBB174_3051
.LBB174_3048:
	s_or_saveexec_b32 s24, s24
	v_mov_b32_e32 v3, 0x7f800001
	s_xor_b32 exec_lo, exec_lo, s24
	s_cbranch_execz .LBB174_3029
.LBB174_3049:
	v_cmp_ne_u16_e32 vcc_lo, 0, v1
	v_mov_b32_e32 v3, 0
	s_and_not1_b32 s23, s23, exec_lo
	s_and_b32 s25, vcc_lo, exec_lo
	s_delay_alu instid0(SALU_CYCLE_1)
	s_or_b32 s23, s23, s25
	s_or_b32 exec_lo, exec_lo, s24
	s_and_saveexec_b32 s24, s23
	s_cbranch_execnz .LBB174_3030
	s_branch .LBB174_3031
.LBB174_3050:
	s_mov_b32 s22, -1
.LBB174_3051:
                                        ; implicit-def: $vgpr16
.LBB174_3052:
	s_and_b32 vcc_lo, exec_lo, s23
	s_mov_b32 s23, 0
	s_cbranch_vccz .LBB174_3054
; %bb.3053:
	s_cmp_lg_u32 s15, 11
	s_mov_b32 s23, -1
	s_cselect_b32 s22, -1, 0
.LBB174_3054:
	s_delay_alu instid0(SALU_CYCLE_1)
	s_and_b32 vcc_lo, exec_lo, s22
	s_cbranch_vccnz .LBB174_3119
; %bb.3055:
	s_and_not1_b32 vcc_lo, exec_lo, s23
	s_cbranch_vccnz .LBB174_3057
.LBB174_3056:
	global_load_u8 v1, v[6:7], off
	s_mov_b32 s24, -1
	s_wait_loadcnt 0x0
	v_cmp_ne_u16_e32 vcc_lo, 0, v1
	v_cndmask_b32_e64 v1, 0, 1.0, vcc_lo
	s_delay_alu instid0(VALU_DEP_1)
	v_lshrrev_b32_e32 v16, 16, v1
.LBB174_3057:
	s_mov_b32 s15, 0
.LBB174_3058:
	s_delay_alu instid0(SALU_CYCLE_1)
	s_and_b32 vcc_lo, exec_lo, s15
	s_cbranch_vccz .LBB174_3107
; %bb.3059:
	s_and_b32 s15, 0xffff, s17
	s_delay_alu instid0(SALU_CYCLE_1)
	s_cmp_lt_i32 s15, 5
	s_cbranch_scc1 .LBB174_3064
; %bb.3060:
	s_cmp_lt_i32 s15, 8
	s_cbranch_scc1 .LBB174_3065
; %bb.3061:
	;; [unrolled: 3-line block ×3, first 2 shown]
	s_cmp_gt_i32 s15, 9
	s_cbranch_scc0 .LBB174_3067
; %bb.3063:
	s_wait_loadcnt 0x0
	global_load_b64 v[16:17], v[6:7], off
	s_mov_b32 s22, 0
	s_wait_loadcnt 0x0
	v_cvt_f32_f64_e32 v1, v[16:17]
	s_delay_alu instid0(VALU_DEP_1) | instskip(SKIP_1) | instid1(VALU_DEP_2)
	v_bfe_u32 v3, v1, 16, 1
	v_cmp_o_f32_e32 vcc_lo, v1, v1
	v_add3_u32 v3, v1, v3, 0x7fff
	s_delay_alu instid0(VALU_DEP_1) | instskip(NEXT) | instid1(VALU_DEP_1)
	v_lshrrev_b32_e32 v3, 16, v3
	v_cndmask_b32_e32 v16, 0x7fc0, v3, vcc_lo
	s_branch .LBB174_3068
.LBB174_3064:
	s_mov_b32 s22, -1
                                        ; implicit-def: $vgpr16
	s_branch .LBB174_3086
.LBB174_3065:
	s_mov_b32 s22, -1
                                        ; implicit-def: $vgpr16
	s_branch .LBB174_3074
.LBB174_3066:
	s_mov_b32 s22, -1
                                        ; implicit-def: $vgpr16
	s_branch .LBB174_3071
.LBB174_3067:
	s_mov_b32 s22, -1
                                        ; implicit-def: $vgpr16
.LBB174_3068:
	s_delay_alu instid0(SALU_CYCLE_1)
	s_and_not1_b32 vcc_lo, exec_lo, s22
	s_cbranch_vccnz .LBB174_3070
; %bb.3069:
	global_load_b32 v1, v[6:7], off
	s_wait_loadcnt 0x0
	v_bfe_u32 v3, v1, 16, 1
	v_cmp_o_f32_e32 vcc_lo, v1, v1
	s_delay_alu instid0(VALU_DEP_2) | instskip(NEXT) | instid1(VALU_DEP_1)
	v_add3_u32 v3, v1, v3, 0x7fff
	v_lshrrev_b32_e32 v3, 16, v3
	s_delay_alu instid0(VALU_DEP_1)
	v_cndmask_b32_e32 v16, 0x7fc0, v3, vcc_lo
.LBB174_3070:
	s_mov_b32 s22, 0
.LBB174_3071:
	s_delay_alu instid0(SALU_CYCLE_1)
	s_and_not1_b32 vcc_lo, exec_lo, s22
	s_cbranch_vccnz .LBB174_3073
; %bb.3072:
	global_load_b32 v1, v[6:7], off
	s_wait_loadcnt 0x0
	v_cvt_f32_f16_e32 v3, v1
	v_cmp_o_f16_e32 vcc_lo, v1, v1
	s_delay_alu instid0(VALU_DEP_2) | instskip(NEXT) | instid1(VALU_DEP_1)
	v_bfe_u32 v5, v3, 16, 1
	v_add3_u32 v3, v3, v5, 0x7fff
	s_delay_alu instid0(VALU_DEP_1) | instskip(NEXT) | instid1(VALU_DEP_1)
	v_lshrrev_b32_e32 v3, 16, v3
	v_cndmask_b32_e32 v16, 0x7fc0, v3, vcc_lo
.LBB174_3073:
	s_mov_b32 s22, 0
.LBB174_3074:
	s_delay_alu instid0(SALU_CYCLE_1)
	s_and_not1_b32 vcc_lo, exec_lo, s22
	s_cbranch_vccnz .LBB174_3085
; %bb.3075:
	s_cmp_lt_i32 s15, 6
	s_cbranch_scc1 .LBB174_3078
; %bb.3076:
	s_cmp_gt_i32 s15, 6
	s_cbranch_scc0 .LBB174_3079
; %bb.3077:
	s_wait_loadcnt 0x0
	global_load_b64 v[16:17], v[6:7], off
	s_mov_b32 s22, 0
	s_wait_loadcnt 0x0
	v_cvt_f32_f64_e32 v1, v[16:17]
	s_delay_alu instid0(VALU_DEP_1) | instskip(SKIP_1) | instid1(VALU_DEP_2)
	v_bfe_u32 v3, v1, 16, 1
	v_cmp_o_f32_e32 vcc_lo, v1, v1
	v_add3_u32 v3, v1, v3, 0x7fff
	s_delay_alu instid0(VALU_DEP_1) | instskip(NEXT) | instid1(VALU_DEP_1)
	v_lshrrev_b32_e32 v3, 16, v3
	v_cndmask_b32_e32 v16, 0x7fc0, v3, vcc_lo
	s_branch .LBB174_3080
.LBB174_3078:
	s_mov_b32 s22, -1
                                        ; implicit-def: $vgpr16
	s_branch .LBB174_3083
.LBB174_3079:
	s_mov_b32 s22, -1
                                        ; implicit-def: $vgpr16
.LBB174_3080:
	s_delay_alu instid0(SALU_CYCLE_1)
	s_and_not1_b32 vcc_lo, exec_lo, s22
	s_cbranch_vccnz .LBB174_3082
; %bb.3081:
	global_load_b32 v1, v[6:7], off
	s_wait_loadcnt 0x0
	v_bfe_u32 v3, v1, 16, 1
	v_cmp_o_f32_e32 vcc_lo, v1, v1
	s_delay_alu instid0(VALU_DEP_2) | instskip(NEXT) | instid1(VALU_DEP_1)
	v_add3_u32 v3, v1, v3, 0x7fff
	v_lshrrev_b32_e32 v3, 16, v3
	s_delay_alu instid0(VALU_DEP_1)
	v_cndmask_b32_e32 v16, 0x7fc0, v3, vcc_lo
.LBB174_3082:
	s_mov_b32 s22, 0
.LBB174_3083:
	s_delay_alu instid0(SALU_CYCLE_1)
	s_and_not1_b32 vcc_lo, exec_lo, s22
	s_cbranch_vccnz .LBB174_3085
; %bb.3084:
	global_load_u16 v1, v[6:7], off
	s_wait_loadcnt 0x0
	v_cvt_f32_f16_e32 v3, v1
	v_cmp_o_f16_e32 vcc_lo, v1, v1
	s_delay_alu instid0(VALU_DEP_2) | instskip(NEXT) | instid1(VALU_DEP_1)
	v_bfe_u32 v5, v3, 16, 1
	v_add3_u32 v3, v3, v5, 0x7fff
	s_delay_alu instid0(VALU_DEP_1) | instskip(NEXT) | instid1(VALU_DEP_1)
	v_lshrrev_b32_e32 v3, 16, v3
	v_cndmask_b32_e32 v16, 0x7fc0, v3, vcc_lo
.LBB174_3085:
	s_mov_b32 s22, 0
.LBB174_3086:
	s_delay_alu instid0(SALU_CYCLE_1)
	s_and_not1_b32 vcc_lo, exec_lo, s22
	s_cbranch_vccnz .LBB174_3106
; %bb.3087:
	s_cmp_lt_i32 s15, 2
	s_cbranch_scc1 .LBB174_3091
; %bb.3088:
	s_cmp_lt_i32 s15, 3
	s_cbranch_scc1 .LBB174_3092
; %bb.3089:
	s_cmp_gt_i32 s15, 3
	s_cbranch_scc0 .LBB174_3093
; %bb.3090:
	s_wait_loadcnt 0x0
	global_load_b64 v[16:17], v[6:7], off
	s_mov_b32 s22, 0
	s_wait_loadcnt 0x0
	v_xor_b32_e32 v1, v16, v17
	v_cls_i32_e32 v3, v17
	s_delay_alu instid0(VALU_DEP_2) | instskip(NEXT) | instid1(VALU_DEP_1)
	v_ashrrev_i32_e32 v1, 31, v1
	v_add_nc_u32_e32 v1, 32, v1
	s_delay_alu instid0(VALU_DEP_1) | instskip(NEXT) | instid1(VALU_DEP_1)
	v_add_min_u32_e64 v1, v3, -1, v1
	v_lshlrev_b64_e32 v[16:17], v1, v[16:17]
	v_sub_nc_u32_e32 v1, 32, v1
	s_delay_alu instid0(VALU_DEP_2) | instskip(NEXT) | instid1(VALU_DEP_1)
	v_min_u32_e32 v3, 1, v16
	v_or_b32_e32 v3, v17, v3
	s_delay_alu instid0(VALU_DEP_1) | instskip(NEXT) | instid1(VALU_DEP_1)
	v_cvt_f32_i32_e32 v3, v3
	v_ldexp_f32 v1, v3, v1
	s_delay_alu instid0(VALU_DEP_1) | instskip(NEXT) | instid1(VALU_DEP_1)
	v_bfe_u32 v3, v1, 16, 1
	v_add3_u32 v1, v1, v3, 0x7fff
	s_delay_alu instid0(VALU_DEP_1)
	v_lshrrev_b32_e32 v16, 16, v1
	s_branch .LBB174_3094
.LBB174_3091:
	s_mov_b32 s22, -1
                                        ; implicit-def: $vgpr16
	s_branch .LBB174_3100
.LBB174_3092:
	s_mov_b32 s22, -1
                                        ; implicit-def: $vgpr16
	s_branch .LBB174_3097
.LBB174_3093:
	s_mov_b32 s22, -1
                                        ; implicit-def: $vgpr16
.LBB174_3094:
	s_delay_alu instid0(SALU_CYCLE_1)
	s_and_not1_b32 vcc_lo, exec_lo, s22
	s_cbranch_vccnz .LBB174_3096
; %bb.3095:
	global_load_b32 v1, v[6:7], off
	s_wait_loadcnt 0x0
	v_cvt_f32_i32_e32 v1, v1
	s_delay_alu instid0(VALU_DEP_1) | instskip(NEXT) | instid1(VALU_DEP_1)
	v_bfe_u32 v3, v1, 16, 1
	v_add3_u32 v1, v1, v3, 0x7fff
	s_delay_alu instid0(VALU_DEP_1)
	v_lshrrev_b32_e32 v16, 16, v1
.LBB174_3096:
	s_mov_b32 s22, 0
.LBB174_3097:
	s_delay_alu instid0(SALU_CYCLE_1)
	s_and_not1_b32 vcc_lo, exec_lo, s22
	s_cbranch_vccnz .LBB174_3099
; %bb.3098:
	global_load_i16 v1, v[6:7], off
	s_wait_loadcnt 0x0
	v_cvt_f32_i32_e32 v1, v1
	s_delay_alu instid0(VALU_DEP_1) | instskip(NEXT) | instid1(VALU_DEP_1)
	v_bfe_u32 v3, v1, 16, 1
	v_add3_u32 v1, v1, v3, 0x7fff
	s_delay_alu instid0(VALU_DEP_1)
	v_lshrrev_b32_e32 v16, 16, v1
.LBB174_3099:
	s_mov_b32 s22, 0
.LBB174_3100:
	s_delay_alu instid0(SALU_CYCLE_1)
	s_and_not1_b32 vcc_lo, exec_lo, s22
	s_cbranch_vccnz .LBB174_3106
; %bb.3101:
	s_cmp_gt_i32 s15, 0
	s_mov_b32 s15, 0
	s_cbranch_scc0 .LBB174_3103
; %bb.3102:
	global_load_i8 v1, v[6:7], off
	s_wait_loadcnt 0x0
	v_cvt_f32_i32_e32 v1, v1
	s_delay_alu instid0(VALU_DEP_1) | instskip(NEXT) | instid1(VALU_DEP_1)
	v_bfe_u32 v3, v1, 16, 1
	v_add3_u32 v1, v1, v3, 0x7fff
	s_delay_alu instid0(VALU_DEP_1)
	v_lshrrev_b32_e32 v16, 16, v1
	s_branch .LBB174_3104
.LBB174_3103:
	s_mov_b32 s15, -1
                                        ; implicit-def: $vgpr16
.LBB174_3104:
	s_delay_alu instid0(SALU_CYCLE_1)
	s_and_not1_b32 vcc_lo, exec_lo, s15
	s_cbranch_vccnz .LBB174_3106
; %bb.3105:
	global_load_u8 v1, v[6:7], off
	s_wait_loadcnt 0x0
	v_cvt_f32_ubyte0_e32 v1, v1
	s_delay_alu instid0(VALU_DEP_1) | instskip(NEXT) | instid1(VALU_DEP_1)
	v_bfe_u32 v3, v1, 16, 1
	v_add3_u32 v1, v1, v3, 0x7fff
	s_delay_alu instid0(VALU_DEP_1)
	v_lshrrev_b32_e32 v16, 16, v1
.LBB174_3106:
	s_mov_b32 s24, -1
.LBB174_3107:
	s_delay_alu instid0(SALU_CYCLE_1)
	s_and_not1_b32 vcc_lo, exec_lo, s24
	s_cbranch_vccnz .LBB174_4065
; %bb.3108:
	v_add_nc_u32_e32 v4, s14, v4
	s_cmp_lt_i32 s0, 11
	s_delay_alu instid0(VALU_DEP_1) | instskip(SKIP_1) | instid1(VALU_DEP_1)
	v_ashrrev_i32_e32 v5, 31, v4
	s_wait_xcnt 0x0
	v_add_nc_u64_e32 v[6:7], s[10:11], v[4:5]
	s_cbranch_scc1 .LBB174_3115
; %bb.3109:
	s_cmp_gt_i32 s0, 25
	s_mov_b32 s22, 0
	s_cbranch_scc0 .LBB174_3116
; %bb.3110:
	s_cmp_gt_i32 s0, 28
	s_cbranch_scc0 .LBB174_3117
; %bb.3111:
	s_cmp_gt_i32 s0, 43
	;; [unrolled: 3-line block ×3, first 2 shown]
	s_cbranch_scc0 .LBB174_3120
; %bb.3113:
	s_cmp_eq_u32 s0, 46
	s_mov_b32 s24, 0
	s_cbranch_scc0 .LBB174_3121
; %bb.3114:
	global_load_b32 v5, v[6:7], off
	s_mov_b32 s15, 0
	s_mov_b32 s23, -1
	s_branch .LBB174_3123
.LBB174_3115:
	s_mov_b32 s15, -1
	s_mov_b32 s23, 0
                                        ; implicit-def: $vgpr5
	s_branch .LBB174_3189
.LBB174_3116:
	s_mov_b32 s24, -1
	s_mov_b32 s23, 0
	s_mov_b32 s15, 0
                                        ; implicit-def: $vgpr5
	s_branch .LBB174_3152
.LBB174_3117:
	s_mov_b32 s24, -1
	s_mov_b32 s23, 0
	s_mov_b32 s15, 0
                                        ; implicit-def: $vgpr5
	s_branch .LBB174_3133
.LBB174_3118:
	s_mov_b32 s24, -1
	s_mov_b32 s23, 0
	s_mov_b32 s15, 0
                                        ; implicit-def: $vgpr5
	s_branch .LBB174_3128
.LBB174_3119:
	s_or_b32 s18, s18, exec_lo
	s_trap 2
	s_cbranch_execz .LBB174_3056
	s_branch .LBB174_3057
.LBB174_3120:
	s_mov_b32 s24, -1
	s_mov_b32 s23, 0
	s_mov_b32 s15, 0
	s_branch .LBB174_3122
.LBB174_3121:
	s_mov_b32 s15, -1
	s_mov_b32 s23, 0
.LBB174_3122:
                                        ; implicit-def: $vgpr5
.LBB174_3123:
	s_and_b32 vcc_lo, exec_lo, s24
	s_cbranch_vccz .LBB174_3127
; %bb.3124:
	s_cmp_eq_u32 s0, 44
	s_cbranch_scc0 .LBB174_3126
; %bb.3125:
	global_load_u8 v1, v[6:7], off
	s_mov_b32 s15, 0
	s_mov_b32 s23, -1
	s_wait_loadcnt 0x0
	v_lshlrev_b32_e32 v3, 23, v1
	v_cmp_ne_u32_e32 vcc_lo, 0xff, v1
	s_delay_alu instid0(VALU_DEP_2) | instskip(SKIP_1) | instid1(VALU_DEP_2)
	v_cndmask_b32_e32 v3, 0x7f800001, v3, vcc_lo
	v_cmp_ne_u32_e32 vcc_lo, 0, v1
	v_cndmask_b32_e32 v1, 0x400000, v3, vcc_lo
	s_delay_alu instid0(VALU_DEP_1) | instskip(SKIP_1) | instid1(VALU_DEP_2)
	v_add_nc_u32_e32 v3, 0x7fff, v1
	v_cmp_o_f32_e32 vcc_lo, v1, v1
	v_lshrrev_b32_e32 v3, 16, v3
	s_delay_alu instid0(VALU_DEP_1)
	v_cndmask_b32_e32 v5, 0x7fc0, v3, vcc_lo
	s_branch .LBB174_3127
.LBB174_3126:
	s_mov_b32 s15, -1
                                        ; implicit-def: $vgpr5
.LBB174_3127:
	s_mov_b32 s24, 0
.LBB174_3128:
	s_delay_alu instid0(SALU_CYCLE_1)
	s_and_b32 vcc_lo, exec_lo, s24
	s_cbranch_vccz .LBB174_3132
; %bb.3129:
	s_cmp_eq_u32 s0, 29
	s_cbranch_scc0 .LBB174_3131
; %bb.3130:
	global_load_b64 v[18:19], v[6:7], off
	s_mov_b32 s15, 0
	s_mov_b32 s23, -1
	s_mov_b32 s24, 0
	s_wait_loadcnt 0x0
	v_clz_i32_u32_e32 v1, v19
	s_delay_alu instid0(VALU_DEP_1) | instskip(NEXT) | instid1(VALU_DEP_1)
	v_min_u32_e32 v1, 32, v1
	v_lshlrev_b64_e32 v[18:19], v1, v[18:19]
	v_sub_nc_u32_e32 v1, 32, v1
	s_delay_alu instid0(VALU_DEP_2) | instskip(NEXT) | instid1(VALU_DEP_1)
	v_min_u32_e32 v3, 1, v18
	v_or_b32_e32 v3, v19, v3
	s_delay_alu instid0(VALU_DEP_1) | instskip(NEXT) | instid1(VALU_DEP_1)
	v_cvt_f32_u32_e32 v3, v3
	v_ldexp_f32 v1, v3, v1
	s_delay_alu instid0(VALU_DEP_1) | instskip(NEXT) | instid1(VALU_DEP_1)
	v_bfe_u32 v3, v1, 16, 1
	v_add3_u32 v1, v1, v3, 0x7fff
	s_delay_alu instid0(VALU_DEP_1)
	v_lshrrev_b32_e32 v5, 16, v1
	s_branch .LBB174_3133
.LBB174_3131:
	s_mov_b32 s15, -1
                                        ; implicit-def: $vgpr5
.LBB174_3132:
	s_mov_b32 s24, 0
.LBB174_3133:
	s_delay_alu instid0(SALU_CYCLE_1)
	s_and_b32 vcc_lo, exec_lo, s24
	s_cbranch_vccz .LBB174_3151
; %bb.3134:
	s_cmp_lt_i32 s0, 27
	s_cbranch_scc1 .LBB174_3137
; %bb.3135:
	s_cmp_gt_i32 s0, 27
	s_cbranch_scc0 .LBB174_3138
; %bb.3136:
	global_load_b32 v1, v[6:7], off
	s_mov_b32 s23, 0
	s_wait_loadcnt 0x0
	v_cvt_f32_u32_e32 v1, v1
	s_delay_alu instid0(VALU_DEP_1) | instskip(NEXT) | instid1(VALU_DEP_1)
	v_bfe_u32 v3, v1, 16, 1
	v_add3_u32 v1, v1, v3, 0x7fff
	s_delay_alu instid0(VALU_DEP_1)
	v_lshrrev_b32_e32 v5, 16, v1
	s_branch .LBB174_3139
.LBB174_3137:
	s_mov_b32 s23, -1
                                        ; implicit-def: $vgpr5
	s_branch .LBB174_3142
.LBB174_3138:
	s_mov_b32 s23, -1
                                        ; implicit-def: $vgpr5
.LBB174_3139:
	s_delay_alu instid0(SALU_CYCLE_1)
	s_and_not1_b32 vcc_lo, exec_lo, s23
	s_cbranch_vccnz .LBB174_3141
; %bb.3140:
	global_load_u16 v1, v[6:7], off
	s_wait_loadcnt 0x0
	v_cvt_f32_u32_e32 v1, v1
	s_delay_alu instid0(VALU_DEP_1) | instskip(NEXT) | instid1(VALU_DEP_1)
	v_bfe_u32 v3, v1, 16, 1
	v_add3_u32 v1, v1, v3, 0x7fff
	s_delay_alu instid0(VALU_DEP_1)
	v_lshrrev_b32_e32 v5, 16, v1
.LBB174_3141:
	s_mov_b32 s23, 0
.LBB174_3142:
	s_delay_alu instid0(SALU_CYCLE_1)
	s_and_not1_b32 vcc_lo, exec_lo, s23
	s_cbranch_vccnz .LBB174_3150
; %bb.3143:
	global_load_u8 v1, v[6:7], off
	s_mov_b32 s23, 0
	s_mov_b32 s24, exec_lo
	s_wait_loadcnt 0x0
	v_cmpx_lt_i16_e32 0x7f, v1
	s_xor_b32 s24, exec_lo, s24
	s_cbranch_execz .LBB174_3164
; %bb.3144:
	s_mov_b32 s23, -1
	s_mov_b32 s25, exec_lo
	v_cmpx_eq_u16_e32 0x80, v1
; %bb.3145:
	s_xor_b32 s23, exec_lo, -1
; %bb.3146:
	s_or_b32 exec_lo, exec_lo, s25
	s_delay_alu instid0(SALU_CYCLE_1)
	s_and_b32 s23, s23, exec_lo
	s_or_saveexec_b32 s24, s24
	v_mov_b32_e32 v3, 0x7f800001
	s_xor_b32 exec_lo, exec_lo, s24
	s_cbranch_execnz .LBB174_3165
.LBB174_3147:
	s_or_b32 exec_lo, exec_lo, s24
	s_and_saveexec_b32 s24, s23
	s_cbranch_execz .LBB174_3149
.LBB174_3148:
	v_and_b32_e32 v3, 0xffff, v1
	s_delay_alu instid0(VALU_DEP_1) | instskip(SKIP_1) | instid1(VALU_DEP_2)
	v_and_b32_e32 v5, 7, v3
	v_bfe_u32 v19, v3, 3, 4
	v_clz_i32_u32_e32 v17, v5
	s_delay_alu instid0(VALU_DEP_2) | instskip(NEXT) | instid1(VALU_DEP_2)
	v_cmp_eq_u32_e32 vcc_lo, 0, v19
	v_min_u32_e32 v17, 32, v17
	s_delay_alu instid0(VALU_DEP_1) | instskip(NEXT) | instid1(VALU_DEP_1)
	v_subrev_nc_u32_e32 v18, 28, v17
	v_dual_lshlrev_b32 v3, v18, v3 :: v_dual_sub_nc_u32 v17, 29, v17
	s_delay_alu instid0(VALU_DEP_1) | instskip(NEXT) | instid1(VALU_DEP_1)
	v_dual_lshlrev_b32 v1, 24, v1 :: v_dual_bitop2_b32 v3, 7, v3 bitop3:0x40
	v_dual_cndmask_b32 v3, v5, v3, vcc_lo :: v_dual_cndmask_b32 v17, v19, v17, vcc_lo
	s_delay_alu instid0(VALU_DEP_2) | instskip(NEXT) | instid1(VALU_DEP_2)
	v_and_b32_e32 v1, 0x80000000, v1
	v_lshlrev_b32_e32 v3, 20, v3
	s_delay_alu instid0(VALU_DEP_3) | instskip(NEXT) | instid1(VALU_DEP_1)
	v_lshl_add_u32 v5, v17, 23, 0x3b800000
	v_or3_b32 v3, v1, v5, v3
.LBB174_3149:
	s_or_b32 exec_lo, exec_lo, s24
	s_delay_alu instid0(VALU_DEP_1) | instskip(SKIP_1) | instid1(VALU_DEP_2)
	v_bfe_u32 v1, v3, 16, 1
	v_cmp_o_f32_e32 vcc_lo, v3, v3
	v_add3_u32 v1, v3, v1, 0x7fff
	s_delay_alu instid0(VALU_DEP_1) | instskip(NEXT) | instid1(VALU_DEP_1)
	v_lshrrev_b32_e32 v1, 16, v1
	v_cndmask_b32_e32 v5, 0x7fc0, v1, vcc_lo
.LBB174_3150:
	s_mov_b32 s23, -1
.LBB174_3151:
	s_mov_b32 s24, 0
.LBB174_3152:
	s_delay_alu instid0(SALU_CYCLE_1)
	s_and_b32 vcc_lo, exec_lo, s24
	s_cbranch_vccz .LBB174_3185
; %bb.3153:
	s_cmp_gt_i32 s0, 22
	s_cbranch_scc0 .LBB174_3163
; %bb.3154:
	s_cmp_lt_i32 s0, 24
	s_cbranch_scc1 .LBB174_3166
; %bb.3155:
	s_cmp_gt_i32 s0, 24
	s_cbranch_scc0 .LBB174_3167
; %bb.3156:
	global_load_u8 v1, v[6:7], off
	s_mov_b32 s23, exec_lo
	s_wait_loadcnt 0x0
	v_cmpx_lt_i16_e32 0x7f, v1
	s_xor_b32 s23, exec_lo, s23
	s_cbranch_execz .LBB174_3179
; %bb.3157:
	s_mov_b32 s22, -1
	s_mov_b32 s24, exec_lo
	v_cmpx_eq_u16_e32 0x80, v1
; %bb.3158:
	s_xor_b32 s22, exec_lo, -1
; %bb.3159:
	s_or_b32 exec_lo, exec_lo, s24
	s_delay_alu instid0(SALU_CYCLE_1)
	s_and_b32 s22, s22, exec_lo
	s_or_saveexec_b32 s23, s23
	v_mov_b32_e32 v3, 0x7f800001
	s_xor_b32 exec_lo, exec_lo, s23
	s_cbranch_execnz .LBB174_3180
.LBB174_3160:
	s_or_b32 exec_lo, exec_lo, s23
	s_and_saveexec_b32 s23, s22
	s_cbranch_execz .LBB174_3162
.LBB174_3161:
	v_and_b32_e32 v3, 0xffff, v1
	s_delay_alu instid0(VALU_DEP_1) | instskip(SKIP_1) | instid1(VALU_DEP_2)
	v_and_b32_e32 v5, 3, v3
	v_bfe_u32 v19, v3, 2, 5
	v_clz_i32_u32_e32 v17, v5
	s_delay_alu instid0(VALU_DEP_2) | instskip(NEXT) | instid1(VALU_DEP_2)
	v_cmp_eq_u32_e32 vcc_lo, 0, v19
	v_min_u32_e32 v17, 32, v17
	s_delay_alu instid0(VALU_DEP_1) | instskip(NEXT) | instid1(VALU_DEP_1)
	v_subrev_nc_u32_e32 v18, 29, v17
	v_dual_lshlrev_b32 v3, v18, v3 :: v_dual_sub_nc_u32 v17, 30, v17
	s_delay_alu instid0(VALU_DEP_1) | instskip(NEXT) | instid1(VALU_DEP_1)
	v_dual_lshlrev_b32 v1, 24, v1 :: v_dual_bitop2_b32 v3, 3, v3 bitop3:0x40
	v_dual_cndmask_b32 v3, v5, v3, vcc_lo :: v_dual_cndmask_b32 v17, v19, v17, vcc_lo
	s_delay_alu instid0(VALU_DEP_2) | instskip(NEXT) | instid1(VALU_DEP_2)
	v_and_b32_e32 v1, 0x80000000, v1
	v_lshlrev_b32_e32 v3, 21, v3
	s_delay_alu instid0(VALU_DEP_3) | instskip(NEXT) | instid1(VALU_DEP_1)
	v_lshl_add_u32 v5, v17, 23, 0x37800000
	v_or3_b32 v3, v1, v5, v3
.LBB174_3162:
	s_or_b32 exec_lo, exec_lo, s23
	s_delay_alu instid0(VALU_DEP_1) | instskip(SKIP_2) | instid1(VALU_DEP_2)
	v_bfe_u32 v1, v3, 16, 1
	v_cmp_o_f32_e32 vcc_lo, v3, v3
	s_mov_b32 s22, 0
	v_add3_u32 v1, v3, v1, 0x7fff
	s_delay_alu instid0(VALU_DEP_1) | instskip(NEXT) | instid1(VALU_DEP_1)
	v_lshrrev_b32_e32 v1, 16, v1
	v_cndmask_b32_e32 v5, 0x7fc0, v1, vcc_lo
	s_branch .LBB174_3168
.LBB174_3163:
	s_mov_b32 s22, -1
                                        ; implicit-def: $vgpr5
	s_branch .LBB174_3174
.LBB174_3164:
	s_or_saveexec_b32 s24, s24
	v_mov_b32_e32 v3, 0x7f800001
	s_xor_b32 exec_lo, exec_lo, s24
	s_cbranch_execz .LBB174_3147
.LBB174_3165:
	v_cmp_ne_u16_e32 vcc_lo, 0, v1
	v_mov_b32_e32 v3, 0
	s_and_not1_b32 s23, s23, exec_lo
	s_and_b32 s25, vcc_lo, exec_lo
	s_delay_alu instid0(SALU_CYCLE_1)
	s_or_b32 s23, s23, s25
	s_or_b32 exec_lo, exec_lo, s24
	s_and_saveexec_b32 s24, s23
	s_cbranch_execnz .LBB174_3148
	s_branch .LBB174_3149
.LBB174_3166:
	s_mov_b32 s22, -1
                                        ; implicit-def: $vgpr5
	s_branch .LBB174_3171
.LBB174_3167:
	s_mov_b32 s22, -1
                                        ; implicit-def: $vgpr5
.LBB174_3168:
	s_delay_alu instid0(SALU_CYCLE_1)
	s_and_b32 vcc_lo, exec_lo, s22
	s_cbranch_vccz .LBB174_3170
; %bb.3169:
	global_load_u8 v1, v[6:7], off
	s_wait_loadcnt 0x0
	v_lshlrev_b32_e32 v1, 24, v1
	s_delay_alu instid0(VALU_DEP_1) | instskip(NEXT) | instid1(VALU_DEP_1)
	v_and_b32_e32 v3, 0x7f000000, v1
	v_clz_i32_u32_e32 v5, v3
	v_cmp_ne_u32_e32 vcc_lo, 0, v3
	v_add_nc_u32_e32 v18, 0x1000000, v3
	s_delay_alu instid0(VALU_DEP_3) | instskip(NEXT) | instid1(VALU_DEP_1)
	v_min_u32_e32 v5, 32, v5
	v_sub_nc_u32_e64 v5, v5, 4 clamp
	s_delay_alu instid0(VALU_DEP_1) | instskip(NEXT) | instid1(VALU_DEP_1)
	v_dual_lshlrev_b32 v17, v5, v3 :: v_dual_lshlrev_b32 v5, 23, v5
	v_lshrrev_b32_e32 v17, 4, v17
	s_delay_alu instid0(VALU_DEP_1) | instskip(NEXT) | instid1(VALU_DEP_1)
	v_dual_sub_nc_u32 v5, v17, v5 :: v_dual_ashrrev_i32 v17, 8, v18
	v_add_nc_u32_e32 v5, 0x3c000000, v5
	s_delay_alu instid0(VALU_DEP_1) | instskip(NEXT) | instid1(VALU_DEP_1)
	v_and_or_b32 v5, 0x7f800000, v17, v5
	v_cndmask_b32_e32 v3, 0, v5, vcc_lo
	s_delay_alu instid0(VALU_DEP_1) | instskip(SKIP_1) | instid1(VALU_DEP_2)
	v_and_or_b32 v1, 0x80000000, v1, v3
	v_bfe_u32 v3, v3, 16, 1
	v_cmp_o_f32_e32 vcc_lo, v1, v1
	s_delay_alu instid0(VALU_DEP_2) | instskip(NEXT) | instid1(VALU_DEP_1)
	v_add3_u32 v3, v1, v3, 0x7fff
	v_lshrrev_b32_e32 v3, 16, v3
	s_delay_alu instid0(VALU_DEP_1)
	v_cndmask_b32_e32 v5, 0x7fc0, v3, vcc_lo
.LBB174_3170:
	s_mov_b32 s22, 0
.LBB174_3171:
	s_delay_alu instid0(SALU_CYCLE_1)
	s_and_not1_b32 vcc_lo, exec_lo, s22
	s_cbranch_vccnz .LBB174_3173
; %bb.3172:
	global_load_u8 v1, v[6:7], off
	s_wait_loadcnt 0x0
	v_lshlrev_b32_e32 v3, 25, v1
	v_lshlrev_b16 v1, 8, v1
	s_delay_alu instid0(VALU_DEP_2) | instskip(NEXT) | instid1(VALU_DEP_2)
	v_cmp_gt_u32_e32 vcc_lo, 0x8000000, v3
	v_and_or_b32 v17, 0x7f00, v1, 0.5
	v_lshrrev_b32_e32 v5, 4, v3
	v_bfe_i32 v1, v1, 0, 16
	s_delay_alu instid0(VALU_DEP_3) | instskip(NEXT) | instid1(VALU_DEP_3)
	v_add_f32_e32 v17, -0.5, v17
	v_or_b32_e32 v5, 0x70000000, v5
	s_delay_alu instid0(VALU_DEP_1) | instskip(NEXT) | instid1(VALU_DEP_1)
	v_mul_f32_e32 v5, 0x7800000, v5
	v_cndmask_b32_e32 v3, v5, v17, vcc_lo
	s_delay_alu instid0(VALU_DEP_1) | instskip(SKIP_1) | instid1(VALU_DEP_2)
	v_and_or_b32 v1, 0x80000000, v1, v3
	v_bfe_u32 v3, v3, 16, 1
	v_cmp_o_f32_e32 vcc_lo, v1, v1
	s_delay_alu instid0(VALU_DEP_2) | instskip(NEXT) | instid1(VALU_DEP_1)
	v_add3_u32 v3, v1, v3, 0x7fff
	v_lshrrev_b32_e32 v3, 16, v3
	s_delay_alu instid0(VALU_DEP_1)
	v_cndmask_b32_e32 v5, 0x7fc0, v3, vcc_lo
.LBB174_3173:
	s_mov_b32 s22, 0
	s_mov_b32 s23, -1
.LBB174_3174:
	s_and_not1_b32 vcc_lo, exec_lo, s22
	s_mov_b32 s22, 0
	s_cbranch_vccnz .LBB174_3185
; %bb.3175:
	s_cmp_gt_i32 s0, 14
	s_cbranch_scc0 .LBB174_3178
; %bb.3176:
	s_cmp_eq_u32 s0, 15
	s_cbranch_scc0 .LBB174_3181
; %bb.3177:
	s_wait_loadcnt 0x0
	global_load_u16 v5, v[6:7], off
	s_mov_b32 s15, 0
	s_mov_b32 s23, -1
	s_branch .LBB174_3183
.LBB174_3178:
	s_mov_b32 s22, -1
	s_branch .LBB174_3182
.LBB174_3179:
	s_or_saveexec_b32 s23, s23
	v_mov_b32_e32 v3, 0x7f800001
	s_xor_b32 exec_lo, exec_lo, s23
	s_cbranch_execz .LBB174_3160
.LBB174_3180:
	v_cmp_ne_u16_e32 vcc_lo, 0, v1
	v_mov_b32_e32 v3, 0
	s_and_not1_b32 s22, s22, exec_lo
	s_and_b32 s24, vcc_lo, exec_lo
	s_delay_alu instid0(SALU_CYCLE_1)
	s_or_b32 s22, s22, s24
	s_or_b32 exec_lo, exec_lo, s23
	s_and_saveexec_b32 s23, s22
	s_cbranch_execnz .LBB174_3161
	s_branch .LBB174_3162
.LBB174_3181:
	s_mov_b32 s15, -1
.LBB174_3182:
                                        ; implicit-def: $vgpr5
.LBB174_3183:
	s_and_b32 vcc_lo, exec_lo, s22
	s_mov_b32 s22, 0
	s_cbranch_vccz .LBB174_3185
; %bb.3184:
	s_cmp_lg_u32 s0, 11
	s_mov_b32 s22, -1
	s_cselect_b32 s15, -1, 0
.LBB174_3185:
	s_delay_alu instid0(SALU_CYCLE_1)
	s_and_b32 vcc_lo, exec_lo, s15
	s_cbranch_vccnz .LBB174_3250
; %bb.3186:
	s_and_not1_b32 vcc_lo, exec_lo, s22
	s_cbranch_vccnz .LBB174_3188
.LBB174_3187:
	global_load_u8 v1, v[6:7], off
	s_mov_b32 s23, -1
	s_wait_loadcnt 0x0
	v_cmp_ne_u16_e32 vcc_lo, 0, v1
	v_cndmask_b32_e64 v1, 0, 1.0, vcc_lo
	s_delay_alu instid0(VALU_DEP_1)
	v_lshrrev_b32_e32 v5, 16, v1
.LBB174_3188:
	s_mov_b32 s15, 0
.LBB174_3189:
	s_delay_alu instid0(SALU_CYCLE_1)
	s_and_b32 vcc_lo, exec_lo, s15
	s_cbranch_vccz .LBB174_3238
; %bb.3190:
	s_cmp_lt_i32 s0, 5
	s_cbranch_scc1 .LBB174_3195
; %bb.3191:
	s_cmp_lt_i32 s0, 8
	s_cbranch_scc1 .LBB174_3196
	;; [unrolled: 3-line block ×3, first 2 shown]
; %bb.3193:
	s_cmp_gt_i32 s0, 9
	s_cbranch_scc0 .LBB174_3198
; %bb.3194:
	global_load_b64 v[18:19], v[6:7], off
	s_mov_b32 s15, 0
	s_wait_loadcnt 0x0
	v_cvt_f32_f64_e32 v1, v[18:19]
	s_delay_alu instid0(VALU_DEP_1) | instskip(SKIP_1) | instid1(VALU_DEP_2)
	v_bfe_u32 v3, v1, 16, 1
	v_cmp_o_f32_e32 vcc_lo, v1, v1
	v_add3_u32 v3, v1, v3, 0x7fff
	s_delay_alu instid0(VALU_DEP_1) | instskip(NEXT) | instid1(VALU_DEP_1)
	v_lshrrev_b32_e32 v3, 16, v3
	v_cndmask_b32_e32 v5, 0x7fc0, v3, vcc_lo
	s_branch .LBB174_3199
.LBB174_3195:
	s_mov_b32 s15, -1
                                        ; implicit-def: $vgpr5
	s_branch .LBB174_3217
.LBB174_3196:
	s_mov_b32 s15, -1
                                        ; implicit-def: $vgpr5
	s_branch .LBB174_3205
.LBB174_3197:
	s_mov_b32 s15, -1
                                        ; implicit-def: $vgpr5
	s_branch .LBB174_3202
.LBB174_3198:
	s_mov_b32 s15, -1
                                        ; implicit-def: $vgpr5
.LBB174_3199:
	s_delay_alu instid0(SALU_CYCLE_1)
	s_and_not1_b32 vcc_lo, exec_lo, s15
	s_cbranch_vccnz .LBB174_3201
; %bb.3200:
	global_load_b32 v1, v[6:7], off
	s_wait_loadcnt 0x0
	v_bfe_u32 v3, v1, 16, 1
	v_cmp_o_f32_e32 vcc_lo, v1, v1
	s_delay_alu instid0(VALU_DEP_2) | instskip(NEXT) | instid1(VALU_DEP_1)
	v_add3_u32 v3, v1, v3, 0x7fff
	v_lshrrev_b32_e32 v3, 16, v3
	s_delay_alu instid0(VALU_DEP_1)
	v_cndmask_b32_e32 v5, 0x7fc0, v3, vcc_lo
.LBB174_3201:
	s_mov_b32 s15, 0
.LBB174_3202:
	s_delay_alu instid0(SALU_CYCLE_1)
	s_and_not1_b32 vcc_lo, exec_lo, s15
	s_cbranch_vccnz .LBB174_3204
; %bb.3203:
	global_load_b32 v1, v[6:7], off
	s_wait_loadcnt 0x0
	v_cvt_f32_f16_e32 v3, v1
	v_cmp_o_f16_e32 vcc_lo, v1, v1
	s_delay_alu instid0(VALU_DEP_2) | instskip(NEXT) | instid1(VALU_DEP_1)
	v_bfe_u32 v5, v3, 16, 1
	v_add3_u32 v3, v3, v5, 0x7fff
	s_delay_alu instid0(VALU_DEP_1) | instskip(NEXT) | instid1(VALU_DEP_1)
	v_lshrrev_b32_e32 v3, 16, v3
	v_cndmask_b32_e32 v5, 0x7fc0, v3, vcc_lo
.LBB174_3204:
	s_mov_b32 s15, 0
.LBB174_3205:
	s_delay_alu instid0(SALU_CYCLE_1)
	s_and_not1_b32 vcc_lo, exec_lo, s15
	s_cbranch_vccnz .LBB174_3216
; %bb.3206:
	s_cmp_lt_i32 s0, 6
	s_cbranch_scc1 .LBB174_3209
; %bb.3207:
	s_cmp_gt_i32 s0, 6
	s_cbranch_scc0 .LBB174_3210
; %bb.3208:
	global_load_b64 v[18:19], v[6:7], off
	s_mov_b32 s15, 0
	s_wait_loadcnt 0x0
	v_cvt_f32_f64_e32 v1, v[18:19]
	s_delay_alu instid0(VALU_DEP_1) | instskip(SKIP_1) | instid1(VALU_DEP_2)
	v_bfe_u32 v3, v1, 16, 1
	v_cmp_o_f32_e32 vcc_lo, v1, v1
	v_add3_u32 v3, v1, v3, 0x7fff
	s_delay_alu instid0(VALU_DEP_1) | instskip(NEXT) | instid1(VALU_DEP_1)
	v_lshrrev_b32_e32 v3, 16, v3
	v_cndmask_b32_e32 v5, 0x7fc0, v3, vcc_lo
	s_branch .LBB174_3211
.LBB174_3209:
	s_mov_b32 s15, -1
                                        ; implicit-def: $vgpr5
	s_branch .LBB174_3214
.LBB174_3210:
	s_mov_b32 s15, -1
                                        ; implicit-def: $vgpr5
.LBB174_3211:
	s_delay_alu instid0(SALU_CYCLE_1)
	s_and_not1_b32 vcc_lo, exec_lo, s15
	s_cbranch_vccnz .LBB174_3213
; %bb.3212:
	global_load_b32 v1, v[6:7], off
	s_wait_loadcnt 0x0
	v_bfe_u32 v3, v1, 16, 1
	v_cmp_o_f32_e32 vcc_lo, v1, v1
	s_delay_alu instid0(VALU_DEP_2) | instskip(NEXT) | instid1(VALU_DEP_1)
	v_add3_u32 v3, v1, v3, 0x7fff
	v_lshrrev_b32_e32 v3, 16, v3
	s_delay_alu instid0(VALU_DEP_1)
	v_cndmask_b32_e32 v5, 0x7fc0, v3, vcc_lo
.LBB174_3213:
	s_mov_b32 s15, 0
.LBB174_3214:
	s_delay_alu instid0(SALU_CYCLE_1)
	s_and_not1_b32 vcc_lo, exec_lo, s15
	s_cbranch_vccnz .LBB174_3216
; %bb.3215:
	global_load_u16 v1, v[6:7], off
	s_wait_loadcnt 0x0
	v_cvt_f32_f16_e32 v3, v1
	v_cmp_o_f16_e32 vcc_lo, v1, v1
	s_delay_alu instid0(VALU_DEP_2) | instskip(NEXT) | instid1(VALU_DEP_1)
	v_bfe_u32 v5, v3, 16, 1
	v_add3_u32 v3, v3, v5, 0x7fff
	s_delay_alu instid0(VALU_DEP_1) | instskip(NEXT) | instid1(VALU_DEP_1)
	v_lshrrev_b32_e32 v3, 16, v3
	v_cndmask_b32_e32 v5, 0x7fc0, v3, vcc_lo
.LBB174_3216:
	s_mov_b32 s15, 0
.LBB174_3217:
	s_delay_alu instid0(SALU_CYCLE_1)
	s_and_not1_b32 vcc_lo, exec_lo, s15
	s_cbranch_vccnz .LBB174_3237
; %bb.3218:
	s_cmp_lt_i32 s0, 2
	s_cbranch_scc1 .LBB174_3222
; %bb.3219:
	s_cmp_lt_i32 s0, 3
	s_cbranch_scc1 .LBB174_3223
; %bb.3220:
	s_cmp_gt_i32 s0, 3
	s_cbranch_scc0 .LBB174_3224
; %bb.3221:
	global_load_b64 v[18:19], v[6:7], off
	s_mov_b32 s15, 0
	s_wait_loadcnt 0x0
	v_xor_b32_e32 v1, v18, v19
	v_cls_i32_e32 v3, v19
	s_delay_alu instid0(VALU_DEP_2) | instskip(NEXT) | instid1(VALU_DEP_1)
	v_ashrrev_i32_e32 v1, 31, v1
	v_add_nc_u32_e32 v1, 32, v1
	s_delay_alu instid0(VALU_DEP_1) | instskip(NEXT) | instid1(VALU_DEP_1)
	v_add_min_u32_e64 v1, v3, -1, v1
	v_lshlrev_b64_e32 v[18:19], v1, v[18:19]
	v_sub_nc_u32_e32 v1, 32, v1
	s_delay_alu instid0(VALU_DEP_2) | instskip(NEXT) | instid1(VALU_DEP_1)
	v_min_u32_e32 v3, 1, v18
	v_or_b32_e32 v3, v19, v3
	s_delay_alu instid0(VALU_DEP_1) | instskip(NEXT) | instid1(VALU_DEP_1)
	v_cvt_f32_i32_e32 v3, v3
	v_ldexp_f32 v1, v3, v1
	s_delay_alu instid0(VALU_DEP_1) | instskip(NEXT) | instid1(VALU_DEP_1)
	v_bfe_u32 v3, v1, 16, 1
	v_add3_u32 v1, v1, v3, 0x7fff
	s_delay_alu instid0(VALU_DEP_1)
	v_lshrrev_b32_e32 v5, 16, v1
	s_branch .LBB174_3225
.LBB174_3222:
	s_mov_b32 s15, -1
                                        ; implicit-def: $vgpr5
	s_branch .LBB174_3231
.LBB174_3223:
	s_mov_b32 s15, -1
                                        ; implicit-def: $vgpr5
	s_branch .LBB174_3228
.LBB174_3224:
	s_mov_b32 s15, -1
                                        ; implicit-def: $vgpr5
.LBB174_3225:
	s_delay_alu instid0(SALU_CYCLE_1)
	s_and_not1_b32 vcc_lo, exec_lo, s15
	s_cbranch_vccnz .LBB174_3227
; %bb.3226:
	global_load_b32 v1, v[6:7], off
	s_wait_loadcnt 0x0
	v_cvt_f32_i32_e32 v1, v1
	s_delay_alu instid0(VALU_DEP_1) | instskip(NEXT) | instid1(VALU_DEP_1)
	v_bfe_u32 v3, v1, 16, 1
	v_add3_u32 v1, v1, v3, 0x7fff
	s_delay_alu instid0(VALU_DEP_1)
	v_lshrrev_b32_e32 v5, 16, v1
.LBB174_3227:
	s_mov_b32 s15, 0
.LBB174_3228:
	s_delay_alu instid0(SALU_CYCLE_1)
	s_and_not1_b32 vcc_lo, exec_lo, s15
	s_cbranch_vccnz .LBB174_3230
; %bb.3229:
	global_load_i16 v1, v[6:7], off
	s_wait_loadcnt 0x0
	v_cvt_f32_i32_e32 v1, v1
	s_delay_alu instid0(VALU_DEP_1) | instskip(NEXT) | instid1(VALU_DEP_1)
	v_bfe_u32 v3, v1, 16, 1
	v_add3_u32 v1, v1, v3, 0x7fff
	s_delay_alu instid0(VALU_DEP_1)
	v_lshrrev_b32_e32 v5, 16, v1
.LBB174_3230:
	s_mov_b32 s15, 0
.LBB174_3231:
	s_delay_alu instid0(SALU_CYCLE_1)
	s_and_not1_b32 vcc_lo, exec_lo, s15
	s_cbranch_vccnz .LBB174_3237
; %bb.3232:
	s_cmp_gt_i32 s0, 0
	s_mov_b32 s15, 0
	s_cbranch_scc0 .LBB174_3234
; %bb.3233:
	global_load_i8 v1, v[6:7], off
	s_wait_loadcnt 0x0
	v_cvt_f32_i32_e32 v1, v1
	s_delay_alu instid0(VALU_DEP_1) | instskip(NEXT) | instid1(VALU_DEP_1)
	v_bfe_u32 v3, v1, 16, 1
	v_add3_u32 v1, v1, v3, 0x7fff
	s_delay_alu instid0(VALU_DEP_1)
	v_lshrrev_b32_e32 v5, 16, v1
	s_branch .LBB174_3235
.LBB174_3234:
	s_mov_b32 s15, -1
                                        ; implicit-def: $vgpr5
.LBB174_3235:
	s_delay_alu instid0(SALU_CYCLE_1)
	s_and_not1_b32 vcc_lo, exec_lo, s15
	s_cbranch_vccnz .LBB174_3237
; %bb.3236:
	global_load_u8 v1, v[6:7], off
	s_wait_loadcnt 0x0
	v_cvt_f32_ubyte0_e32 v1, v1
	s_delay_alu instid0(VALU_DEP_1) | instskip(NEXT) | instid1(VALU_DEP_1)
	v_bfe_u32 v3, v1, 16, 1
	v_add3_u32 v1, v1, v3, 0x7fff
	s_delay_alu instid0(VALU_DEP_1)
	v_lshrrev_b32_e32 v5, 16, v1
.LBB174_3237:
	s_mov_b32 s23, -1
.LBB174_3238:
	s_delay_alu instid0(SALU_CYCLE_1)
	s_and_not1_b32 vcc_lo, exec_lo, s23
	s_cbranch_vccnz .LBB174_4065
; %bb.3239:
	v_add_nc_u32_e32 v0, s2, v0
	s_cmp_lt_i32 s19, 11
	s_delay_alu instid0(VALU_DEP_1) | instskip(NEXT) | instid1(VALU_DEP_1)
	v_ashrrev_i32_e32 v1, 31, v0
	v_add_nc_u64_e32 v[0:1], s[6:7], v[0:1]
	s_cbranch_scc1 .LBB174_3246
; %bb.3240:
	s_and_b32 s2, 0xffff, s19
	s_mov_b32 s7, 0
	s_cmp_gt_i32 s2, 25
	s_cbranch_scc0 .LBB174_3247
; %bb.3241:
	s_cmp_gt_i32 s2, 28
	s_cbranch_scc0 .LBB174_3248
; %bb.3242:
	;; [unrolled: 3-line block ×4, first 2 shown]
	s_cmp_eq_u32 s2, 46
	s_mov_b32 s22, 0
	s_cbranch_scc0 .LBB174_3252
; %bb.3245:
	global_load_b32 v6, v[0:1], off
	s_mov_b32 s6, 0
	s_mov_b32 s15, -1
	s_branch .LBB174_3254
.LBB174_3246:
	s_mov_b32 s2, -1
	s_mov_b32 s15, 0
                                        ; implicit-def: $vgpr6
	s_branch .LBB174_3320
.LBB174_3247:
	s_mov_b32 s22, -1
	s_mov_b32 s15, 0
	s_mov_b32 s6, 0
                                        ; implicit-def: $vgpr6
	s_branch .LBB174_3283
.LBB174_3248:
	s_mov_b32 s22, -1
	s_mov_b32 s15, 0
	s_mov_b32 s6, 0
                                        ; implicit-def: $vgpr6
	s_branch .LBB174_3264
.LBB174_3249:
	s_mov_b32 s22, -1
	s_mov_b32 s15, 0
	s_mov_b32 s6, 0
                                        ; implicit-def: $vgpr6
	s_branch .LBB174_3259
.LBB174_3250:
	s_or_b32 s18, s18, exec_lo
	s_trap 2
	s_cbranch_execz .LBB174_3187
	s_branch .LBB174_3188
.LBB174_3251:
	s_mov_b32 s22, -1
	s_mov_b32 s15, 0
	s_mov_b32 s6, 0
	s_branch .LBB174_3253
.LBB174_3252:
	s_mov_b32 s6, -1
	s_mov_b32 s15, 0
.LBB174_3253:
                                        ; implicit-def: $vgpr6
.LBB174_3254:
	s_and_b32 vcc_lo, exec_lo, s22
	s_cbranch_vccz .LBB174_3258
; %bb.3255:
	s_cmp_eq_u32 s2, 44
	s_cbranch_scc0 .LBB174_3257
; %bb.3256:
	global_load_u8 v3, v[0:1], off
	s_mov_b32 s6, 0
	s_mov_b32 s15, -1
	s_wait_loadcnt 0x0
	s_wait_xcnt 0x1
	v_lshlrev_b32_e32 v6, 23, v3
	v_cmp_ne_u32_e32 vcc_lo, 0xff, v3
	s_delay_alu instid0(VALU_DEP_2) | instskip(SKIP_1) | instid1(VALU_DEP_2)
	v_cndmask_b32_e32 v6, 0x7f800001, v6, vcc_lo
	v_cmp_ne_u32_e32 vcc_lo, 0, v3
	v_cndmask_b32_e32 v3, 0x400000, v6, vcc_lo
	s_delay_alu instid0(VALU_DEP_1) | instskip(NEXT) | instid1(VALU_DEP_1)
	v_add_nc_u32_e32 v6, 0x7fff, v3
	v_lshrrev_b32_e32 v6, 16, v6
	v_cmp_o_f32_e32 vcc_lo, v3, v3
	s_delay_alu instid0(VALU_DEP_2)
	v_cndmask_b32_e32 v6, 0x7fc0, v6, vcc_lo
	s_branch .LBB174_3258
.LBB174_3257:
	s_mov_b32 s6, -1
                                        ; implicit-def: $vgpr6
.LBB174_3258:
	s_mov_b32 s22, 0
.LBB174_3259:
	s_delay_alu instid0(SALU_CYCLE_1)
	s_and_b32 vcc_lo, exec_lo, s22
	s_cbranch_vccz .LBB174_3263
; %bb.3260:
	s_cmp_eq_u32 s2, 29
	s_cbranch_scc0 .LBB174_3262
; %bb.3261:
	s_wait_loadcnt 0x0
	global_load_b64 v[6:7], v[0:1], off
	s_mov_b32 s6, 0
	s_mov_b32 s15, -1
	s_mov_b32 s22, 0
	s_wait_loadcnt 0x0
	v_clz_i32_u32_e32 v3, v7
	s_delay_alu instid0(VALU_DEP_1) | instskip(NEXT) | instid1(VALU_DEP_1)
	v_min_u32_e32 v3, 32, v3
	v_lshlrev_b64_e32 v[6:7], v3, v[6:7]
	v_sub_nc_u32_e32 v3, 32, v3
	s_delay_alu instid0(VALU_DEP_2) | instskip(NEXT) | instid1(VALU_DEP_1)
	v_min_u32_e32 v6, 1, v6
	v_or_b32_e32 v6, v7, v6
	s_delay_alu instid0(VALU_DEP_1) | instskip(NEXT) | instid1(VALU_DEP_1)
	v_cvt_f32_u32_e32 v6, v6
	v_ldexp_f32 v3, v6, v3
	s_delay_alu instid0(VALU_DEP_1) | instskip(NEXT) | instid1(VALU_DEP_1)
	v_bfe_u32 v6, v3, 16, 1
	v_add3_u32 v3, v3, v6, 0x7fff
	s_delay_alu instid0(VALU_DEP_1)
	v_lshrrev_b32_e32 v6, 16, v3
	s_branch .LBB174_3264
.LBB174_3262:
	s_mov_b32 s6, -1
                                        ; implicit-def: $vgpr6
.LBB174_3263:
	s_mov_b32 s22, 0
.LBB174_3264:
	s_delay_alu instid0(SALU_CYCLE_1)
	s_and_b32 vcc_lo, exec_lo, s22
	s_cbranch_vccz .LBB174_3282
; %bb.3265:
	s_cmp_lt_i32 s2, 27
	s_cbranch_scc1 .LBB174_3268
; %bb.3266:
	s_cmp_gt_i32 s2, 27
	s_cbranch_scc0 .LBB174_3269
; %bb.3267:
	global_load_b32 v3, v[0:1], off
	s_mov_b32 s15, 0
	s_wait_loadcnt 0x0
	v_cvt_f32_u32_e32 v3, v3
	s_wait_xcnt 0x1
	s_delay_alu instid0(VALU_DEP_1) | instskip(NEXT) | instid1(VALU_DEP_1)
	v_bfe_u32 v6, v3, 16, 1
	v_add3_u32 v3, v3, v6, 0x7fff
	s_delay_alu instid0(VALU_DEP_1)
	v_lshrrev_b32_e32 v6, 16, v3
	s_branch .LBB174_3270
.LBB174_3268:
	s_mov_b32 s15, -1
                                        ; implicit-def: $vgpr6
	s_branch .LBB174_3273
.LBB174_3269:
	s_mov_b32 s15, -1
                                        ; implicit-def: $vgpr6
.LBB174_3270:
	s_delay_alu instid0(SALU_CYCLE_1)
	s_and_not1_b32 vcc_lo, exec_lo, s15
	s_cbranch_vccnz .LBB174_3272
; %bb.3271:
	global_load_u16 v3, v[0:1], off
	s_wait_loadcnt 0x0
	v_cvt_f32_u32_e32 v3, v3
	s_wait_xcnt 0x1
	s_delay_alu instid0(VALU_DEP_1) | instskip(NEXT) | instid1(VALU_DEP_1)
	v_bfe_u32 v6, v3, 16, 1
	v_add3_u32 v3, v3, v6, 0x7fff
	s_delay_alu instid0(VALU_DEP_1)
	v_lshrrev_b32_e32 v6, 16, v3
.LBB174_3272:
	s_mov_b32 s15, 0
.LBB174_3273:
	s_delay_alu instid0(SALU_CYCLE_1)
	s_and_not1_b32 vcc_lo, exec_lo, s15
	s_cbranch_vccnz .LBB174_3281
; %bb.3274:
	global_load_u8 v3, v[0:1], off
	s_mov_b32 s15, 0
	s_mov_b32 s22, exec_lo
	s_wait_loadcnt 0x0
	v_cmpx_lt_i16_e32 0x7f, v3
	s_xor_b32 s22, exec_lo, s22
	s_cbranch_execz .LBB174_3295
; %bb.3275:
	s_mov_b32 s15, -1
	s_mov_b32 s23, exec_lo
	v_cmpx_eq_u16_e32 0x80, v3
; %bb.3276:
	s_xor_b32 s15, exec_lo, -1
; %bb.3277:
	s_or_b32 exec_lo, exec_lo, s23
	s_delay_alu instid0(SALU_CYCLE_1)
	s_and_b32 s15, s15, exec_lo
	s_or_saveexec_b32 s22, s22
	v_mov_b32_e32 v6, 0x7f800001
	s_xor_b32 exec_lo, exec_lo, s22
	s_cbranch_execnz .LBB174_3296
.LBB174_3278:
	s_or_b32 exec_lo, exec_lo, s22
	s_and_saveexec_b32 s22, s15
	s_cbranch_execz .LBB174_3280
.LBB174_3279:
	v_and_b32_e32 v6, 0xffff, v3
	s_delay_alu instid0(VALU_DEP_1) | instskip(SKIP_1) | instid1(VALU_DEP_2)
	v_and_b32_e32 v7, 7, v6
	v_bfe_u32 v19, v6, 3, 4
	v_clz_i32_u32_e32 v17, v7
	s_delay_alu instid0(VALU_DEP_2) | instskip(NEXT) | instid1(VALU_DEP_2)
	v_cmp_eq_u32_e32 vcc_lo, 0, v19
	v_min_u32_e32 v17, 32, v17
	s_delay_alu instid0(VALU_DEP_1) | instskip(NEXT) | instid1(VALU_DEP_1)
	v_subrev_nc_u32_e32 v18, 28, v17
	v_dual_lshlrev_b32 v6, v18, v6 :: v_dual_sub_nc_u32 v17, 29, v17
	s_delay_alu instid0(VALU_DEP_1) | instskip(NEXT) | instid1(VALU_DEP_2)
	v_dual_lshlrev_b32 v3, 24, v3 :: v_dual_bitop2_b32 v6, 7, v6 bitop3:0x40
	v_cndmask_b32_e32 v17, v19, v17, vcc_lo
	s_delay_alu instid0(VALU_DEP_2) | instskip(NEXT) | instid1(VALU_DEP_3)
	v_cndmask_b32_e32 v6, v7, v6, vcc_lo
	v_and_b32_e32 v3, 0x80000000, v3
	s_delay_alu instid0(VALU_DEP_3) | instskip(NEXT) | instid1(VALU_DEP_3)
	v_lshl_add_u32 v7, v17, 23, 0x3b800000
	v_lshlrev_b32_e32 v6, 20, v6
	s_delay_alu instid0(VALU_DEP_1)
	v_or3_b32 v6, v3, v7, v6
.LBB174_3280:
	s_or_b32 exec_lo, exec_lo, s22
	s_delay_alu instid0(VALU_DEP_1) | instskip(SKIP_1) | instid1(VALU_DEP_2)
	v_bfe_u32 v3, v6, 16, 1
	v_cmp_o_f32_e32 vcc_lo, v6, v6
	v_add3_u32 v3, v6, v3, 0x7fff
	s_delay_alu instid0(VALU_DEP_1) | instskip(NEXT) | instid1(VALU_DEP_1)
	v_lshrrev_b32_e32 v3, 16, v3
	v_cndmask_b32_e32 v6, 0x7fc0, v3, vcc_lo
.LBB174_3281:
	s_mov_b32 s15, -1
.LBB174_3282:
	s_mov_b32 s22, 0
.LBB174_3283:
	s_delay_alu instid0(SALU_CYCLE_1)
	s_and_b32 vcc_lo, exec_lo, s22
	s_cbranch_vccz .LBB174_3316
; %bb.3284:
	s_cmp_gt_i32 s2, 22
	s_cbranch_scc0 .LBB174_3294
; %bb.3285:
	s_cmp_lt_i32 s2, 24
	s_cbranch_scc1 .LBB174_3297
; %bb.3286:
	s_cmp_gt_i32 s2, 24
	s_cbranch_scc0 .LBB174_3298
; %bb.3287:
	global_load_u8 v3, v[0:1], off
	s_mov_b32 s15, exec_lo
	s_wait_loadcnt 0x0
	v_cmpx_lt_i16_e32 0x7f, v3
	s_xor_b32 s15, exec_lo, s15
	s_cbranch_execz .LBB174_3310
; %bb.3288:
	s_mov_b32 s7, -1
	s_mov_b32 s22, exec_lo
	v_cmpx_eq_u16_e32 0x80, v3
; %bb.3289:
	s_xor_b32 s7, exec_lo, -1
; %bb.3290:
	s_or_b32 exec_lo, exec_lo, s22
	s_delay_alu instid0(SALU_CYCLE_1)
	s_and_b32 s7, s7, exec_lo
	s_or_saveexec_b32 s15, s15
	v_mov_b32_e32 v6, 0x7f800001
	s_xor_b32 exec_lo, exec_lo, s15
	s_cbranch_execnz .LBB174_3311
.LBB174_3291:
	s_or_b32 exec_lo, exec_lo, s15
	s_and_saveexec_b32 s15, s7
	s_cbranch_execz .LBB174_3293
.LBB174_3292:
	v_and_b32_e32 v6, 0xffff, v3
	s_delay_alu instid0(VALU_DEP_1) | instskip(SKIP_1) | instid1(VALU_DEP_2)
	v_and_b32_e32 v7, 3, v6
	v_bfe_u32 v19, v6, 2, 5
	v_clz_i32_u32_e32 v17, v7
	s_delay_alu instid0(VALU_DEP_2) | instskip(NEXT) | instid1(VALU_DEP_2)
	v_cmp_eq_u32_e32 vcc_lo, 0, v19
	v_min_u32_e32 v17, 32, v17
	s_delay_alu instid0(VALU_DEP_1) | instskip(NEXT) | instid1(VALU_DEP_1)
	v_subrev_nc_u32_e32 v18, 29, v17
	v_dual_lshlrev_b32 v6, v18, v6 :: v_dual_sub_nc_u32 v17, 30, v17
	s_delay_alu instid0(VALU_DEP_1) | instskip(NEXT) | instid1(VALU_DEP_2)
	v_dual_lshlrev_b32 v3, 24, v3 :: v_dual_bitop2_b32 v6, 3, v6 bitop3:0x40
	v_cndmask_b32_e32 v17, v19, v17, vcc_lo
	s_delay_alu instid0(VALU_DEP_2) | instskip(NEXT) | instid1(VALU_DEP_3)
	v_cndmask_b32_e32 v6, v7, v6, vcc_lo
	v_and_b32_e32 v3, 0x80000000, v3
	s_delay_alu instid0(VALU_DEP_3) | instskip(NEXT) | instid1(VALU_DEP_3)
	v_lshl_add_u32 v7, v17, 23, 0x37800000
	v_lshlrev_b32_e32 v6, 21, v6
	s_delay_alu instid0(VALU_DEP_1)
	v_or3_b32 v6, v3, v7, v6
.LBB174_3293:
	s_or_b32 exec_lo, exec_lo, s15
	s_delay_alu instid0(VALU_DEP_1) | instskip(SKIP_2) | instid1(VALU_DEP_2)
	v_bfe_u32 v3, v6, 16, 1
	v_cmp_o_f32_e32 vcc_lo, v6, v6
	s_mov_b32 s7, 0
	v_add3_u32 v3, v6, v3, 0x7fff
	s_delay_alu instid0(VALU_DEP_1) | instskip(NEXT) | instid1(VALU_DEP_1)
	v_lshrrev_b32_e32 v3, 16, v3
	v_cndmask_b32_e32 v6, 0x7fc0, v3, vcc_lo
	s_branch .LBB174_3299
.LBB174_3294:
	s_mov_b32 s7, -1
                                        ; implicit-def: $vgpr6
	s_branch .LBB174_3305
.LBB174_3295:
	s_or_saveexec_b32 s22, s22
	v_mov_b32_e32 v6, 0x7f800001
	s_xor_b32 exec_lo, exec_lo, s22
	s_cbranch_execz .LBB174_3278
.LBB174_3296:
	v_cmp_ne_u16_e32 vcc_lo, 0, v3
	v_mov_b32_e32 v6, 0
	s_and_not1_b32 s15, s15, exec_lo
	s_and_b32 s23, vcc_lo, exec_lo
	s_delay_alu instid0(SALU_CYCLE_1)
	s_or_b32 s15, s15, s23
	s_or_b32 exec_lo, exec_lo, s22
	s_and_saveexec_b32 s22, s15
	s_cbranch_execnz .LBB174_3279
	s_branch .LBB174_3280
.LBB174_3297:
	s_mov_b32 s7, -1
                                        ; implicit-def: $vgpr6
	s_branch .LBB174_3302
.LBB174_3298:
	s_mov_b32 s7, -1
                                        ; implicit-def: $vgpr6
.LBB174_3299:
	s_delay_alu instid0(SALU_CYCLE_1)
	s_and_b32 vcc_lo, exec_lo, s7
	s_cbranch_vccz .LBB174_3301
; %bb.3300:
	global_load_u8 v3, v[0:1], off
	s_wait_loadcnt 0x0
	v_lshlrev_b32_e32 v3, 24, v3
	s_wait_xcnt 0x1
	s_delay_alu instid0(VALU_DEP_1) | instskip(NEXT) | instid1(VALU_DEP_1)
	v_and_b32_e32 v6, 0x7f000000, v3
	v_clz_i32_u32_e32 v7, v6
	v_add_nc_u32_e32 v18, 0x1000000, v6
	v_cmp_ne_u32_e32 vcc_lo, 0, v6
	s_delay_alu instid0(VALU_DEP_3) | instskip(NEXT) | instid1(VALU_DEP_1)
	v_min_u32_e32 v7, 32, v7
	v_sub_nc_u32_e64 v7, v7, 4 clamp
	s_delay_alu instid0(VALU_DEP_1) | instskip(NEXT) | instid1(VALU_DEP_1)
	v_dual_lshlrev_b32 v17, v7, v6 :: v_dual_lshlrev_b32 v7, 23, v7
	v_lshrrev_b32_e32 v17, 4, v17
	s_delay_alu instid0(VALU_DEP_1) | instskip(NEXT) | instid1(VALU_DEP_1)
	v_dual_sub_nc_u32 v7, v17, v7 :: v_dual_ashrrev_i32 v17, 8, v18
	v_add_nc_u32_e32 v7, 0x3c000000, v7
	s_delay_alu instid0(VALU_DEP_1) | instskip(NEXT) | instid1(VALU_DEP_1)
	v_and_or_b32 v7, 0x7f800000, v17, v7
	v_cndmask_b32_e32 v6, 0, v7, vcc_lo
	s_delay_alu instid0(VALU_DEP_1) | instskip(SKIP_1) | instid1(VALU_DEP_2)
	v_and_or_b32 v3, 0x80000000, v3, v6
	v_bfe_u32 v6, v6, 16, 1
	v_cmp_o_f32_e32 vcc_lo, v3, v3
	s_delay_alu instid0(VALU_DEP_2) | instskip(NEXT) | instid1(VALU_DEP_1)
	v_add3_u32 v6, v3, v6, 0x7fff
	v_lshrrev_b32_e32 v6, 16, v6
	s_delay_alu instid0(VALU_DEP_1)
	v_cndmask_b32_e32 v6, 0x7fc0, v6, vcc_lo
.LBB174_3301:
	s_mov_b32 s7, 0
.LBB174_3302:
	s_delay_alu instid0(SALU_CYCLE_1)
	s_and_not1_b32 vcc_lo, exec_lo, s7
	s_cbranch_vccnz .LBB174_3304
; %bb.3303:
	global_load_u8 v3, v[0:1], off
	s_wait_loadcnt 0x0
	s_wait_xcnt 0x1
	v_lshlrev_b32_e32 v6, 25, v3
	v_lshlrev_b16 v3, 8, v3
	s_delay_alu instid0(VALU_DEP_1) | instskip(SKIP_1) | instid1(VALU_DEP_2)
	v_and_or_b32 v17, 0x7f00, v3, 0.5
	v_bfe_i32 v3, v3, 0, 16
	v_dual_add_f32 v17, -0.5, v17 :: v_dual_lshrrev_b32 v7, 4, v6
	v_cmp_gt_u32_e32 vcc_lo, 0x8000000, v6
	s_delay_alu instid0(VALU_DEP_2) | instskip(NEXT) | instid1(VALU_DEP_1)
	v_or_b32_e32 v7, 0x70000000, v7
	v_mul_f32_e32 v7, 0x7800000, v7
	s_delay_alu instid0(VALU_DEP_1) | instskip(NEXT) | instid1(VALU_DEP_1)
	v_cndmask_b32_e32 v6, v7, v17, vcc_lo
	v_and_or_b32 v3, 0x80000000, v3, v6
	v_bfe_u32 v6, v6, 16, 1
	s_delay_alu instid0(VALU_DEP_2) | instskip(NEXT) | instid1(VALU_DEP_2)
	v_cmp_o_f32_e32 vcc_lo, v3, v3
	v_add3_u32 v6, v3, v6, 0x7fff
	s_delay_alu instid0(VALU_DEP_1) | instskip(NEXT) | instid1(VALU_DEP_1)
	v_lshrrev_b32_e32 v6, 16, v6
	v_cndmask_b32_e32 v6, 0x7fc0, v6, vcc_lo
.LBB174_3304:
	s_mov_b32 s7, 0
	s_mov_b32 s15, -1
.LBB174_3305:
	s_and_not1_b32 vcc_lo, exec_lo, s7
	s_mov_b32 s7, 0
	s_cbranch_vccnz .LBB174_3316
; %bb.3306:
	s_cmp_gt_i32 s2, 14
	s_cbranch_scc0 .LBB174_3309
; %bb.3307:
	s_cmp_eq_u32 s2, 15
	s_cbranch_scc0 .LBB174_3312
; %bb.3308:
	s_wait_loadcnt 0x0
	global_load_u16 v6, v[0:1], off
	s_mov_b32 s6, 0
	s_mov_b32 s15, -1
	s_branch .LBB174_3314
.LBB174_3309:
	s_mov_b32 s7, -1
	s_branch .LBB174_3313
.LBB174_3310:
	s_or_saveexec_b32 s15, s15
	v_mov_b32_e32 v6, 0x7f800001
	s_xor_b32 exec_lo, exec_lo, s15
	s_cbranch_execz .LBB174_3291
.LBB174_3311:
	v_cmp_ne_u16_e32 vcc_lo, 0, v3
	v_mov_b32_e32 v6, 0
	s_and_not1_b32 s7, s7, exec_lo
	s_and_b32 s22, vcc_lo, exec_lo
	s_delay_alu instid0(SALU_CYCLE_1)
	s_or_b32 s7, s7, s22
	s_or_b32 exec_lo, exec_lo, s15
	s_and_saveexec_b32 s15, s7
	s_cbranch_execnz .LBB174_3292
	s_branch .LBB174_3293
.LBB174_3312:
	s_mov_b32 s6, -1
.LBB174_3313:
                                        ; implicit-def: $vgpr6
.LBB174_3314:
	s_and_b32 vcc_lo, exec_lo, s7
	s_mov_b32 s7, 0
	s_cbranch_vccz .LBB174_3316
; %bb.3315:
	s_cmp_lg_u32 s2, 11
	s_mov_b32 s7, -1
	s_cselect_b32 s6, -1, 0
.LBB174_3316:
	s_delay_alu instid0(SALU_CYCLE_1)
	s_and_b32 vcc_lo, exec_lo, s6
	s_cbranch_vccnz .LBB174_3381
; %bb.3317:
	s_and_not1_b32 vcc_lo, exec_lo, s7
	s_cbranch_vccnz .LBB174_3319
.LBB174_3318:
	global_load_u8 v3, v[0:1], off
	s_mov_b32 s15, -1
	s_wait_loadcnt 0x0
	v_cmp_ne_u16_e32 vcc_lo, 0, v3
	v_cndmask_b32_e64 v3, 0, 1.0, vcc_lo
	s_wait_xcnt 0x1
	s_delay_alu instid0(VALU_DEP_1)
	v_lshrrev_b32_e32 v6, 16, v3
.LBB174_3319:
	s_mov_b32 s2, 0
.LBB174_3320:
	s_delay_alu instid0(SALU_CYCLE_1)
	s_and_b32 vcc_lo, exec_lo, s2
	s_cbranch_vccz .LBB174_3369
; %bb.3321:
	s_and_b32 s2, 0xffff, s19
	s_delay_alu instid0(SALU_CYCLE_1)
	s_cmp_lt_i32 s2, 5
	s_cbranch_scc1 .LBB174_3326
; %bb.3322:
	s_cmp_lt_i32 s2, 8
	s_cbranch_scc1 .LBB174_3327
; %bb.3323:
	;; [unrolled: 3-line block ×3, first 2 shown]
	s_cmp_gt_i32 s2, 9
	s_cbranch_scc0 .LBB174_3329
; %bb.3325:
	s_wait_loadcnt 0x0
	global_load_b64 v[6:7], v[0:1], off
	s_mov_b32 s6, 0
	s_wait_loadcnt 0x0
	v_cvt_f32_f64_e32 v3, v[6:7]
	s_delay_alu instid0(VALU_DEP_1) | instskip(SKIP_1) | instid1(VALU_DEP_2)
	v_bfe_u32 v6, v3, 16, 1
	v_cmp_o_f32_e32 vcc_lo, v3, v3
	v_add3_u32 v6, v3, v6, 0x7fff
	s_delay_alu instid0(VALU_DEP_1) | instskip(NEXT) | instid1(VALU_DEP_1)
	v_lshrrev_b32_e32 v6, 16, v6
	v_cndmask_b32_e32 v6, 0x7fc0, v6, vcc_lo
	s_branch .LBB174_3330
.LBB174_3326:
	s_mov_b32 s6, -1
                                        ; implicit-def: $vgpr6
	s_branch .LBB174_3348
.LBB174_3327:
	s_mov_b32 s6, -1
                                        ; implicit-def: $vgpr6
	s_branch .LBB174_3336
.LBB174_3328:
	s_mov_b32 s6, -1
                                        ; implicit-def: $vgpr6
	s_branch .LBB174_3333
.LBB174_3329:
	s_mov_b32 s6, -1
                                        ; implicit-def: $vgpr6
.LBB174_3330:
	s_delay_alu instid0(SALU_CYCLE_1)
	s_and_not1_b32 vcc_lo, exec_lo, s6
	s_cbranch_vccnz .LBB174_3332
; %bb.3331:
	global_load_b32 v3, v[0:1], off
	s_wait_loadcnt 0x0
	s_wait_xcnt 0x1
	v_bfe_u32 v6, v3, 16, 1
	v_cmp_o_f32_e32 vcc_lo, v3, v3
	s_delay_alu instid0(VALU_DEP_2) | instskip(NEXT) | instid1(VALU_DEP_1)
	v_add3_u32 v6, v3, v6, 0x7fff
	v_lshrrev_b32_e32 v6, 16, v6
	s_delay_alu instid0(VALU_DEP_1)
	v_cndmask_b32_e32 v6, 0x7fc0, v6, vcc_lo
.LBB174_3332:
	s_mov_b32 s6, 0
.LBB174_3333:
	s_delay_alu instid0(SALU_CYCLE_1)
	s_and_not1_b32 vcc_lo, exec_lo, s6
	s_cbranch_vccnz .LBB174_3335
; %bb.3334:
	global_load_b32 v3, v[0:1], off
	s_wait_loadcnt 0x0
	s_wait_xcnt 0x1
	v_cvt_f32_f16_e32 v6, v3
	v_cmp_o_f16_e32 vcc_lo, v3, v3
	s_delay_alu instid0(VALU_DEP_2) | instskip(NEXT) | instid1(VALU_DEP_1)
	v_bfe_u32 v7, v6, 16, 1
	v_add3_u32 v6, v6, v7, 0x7fff
	s_delay_alu instid0(VALU_DEP_1) | instskip(NEXT) | instid1(VALU_DEP_1)
	v_lshrrev_b32_e32 v6, 16, v6
	v_cndmask_b32_e32 v6, 0x7fc0, v6, vcc_lo
.LBB174_3335:
	s_mov_b32 s6, 0
.LBB174_3336:
	s_delay_alu instid0(SALU_CYCLE_1)
	s_and_not1_b32 vcc_lo, exec_lo, s6
	s_cbranch_vccnz .LBB174_3347
; %bb.3337:
	s_cmp_lt_i32 s2, 6
	s_cbranch_scc1 .LBB174_3340
; %bb.3338:
	s_cmp_gt_i32 s2, 6
	s_cbranch_scc0 .LBB174_3341
; %bb.3339:
	s_wait_loadcnt 0x0
	global_load_b64 v[6:7], v[0:1], off
	s_mov_b32 s6, 0
	s_wait_loadcnt 0x0
	v_cvt_f32_f64_e32 v3, v[6:7]
	s_delay_alu instid0(VALU_DEP_1) | instskip(SKIP_1) | instid1(VALU_DEP_2)
	v_bfe_u32 v6, v3, 16, 1
	v_cmp_o_f32_e32 vcc_lo, v3, v3
	v_add3_u32 v6, v3, v6, 0x7fff
	s_delay_alu instid0(VALU_DEP_1) | instskip(NEXT) | instid1(VALU_DEP_1)
	v_lshrrev_b32_e32 v6, 16, v6
	v_cndmask_b32_e32 v6, 0x7fc0, v6, vcc_lo
	s_branch .LBB174_3342
.LBB174_3340:
	s_mov_b32 s6, -1
                                        ; implicit-def: $vgpr6
	s_branch .LBB174_3345
.LBB174_3341:
	s_mov_b32 s6, -1
                                        ; implicit-def: $vgpr6
.LBB174_3342:
	s_delay_alu instid0(SALU_CYCLE_1)
	s_and_not1_b32 vcc_lo, exec_lo, s6
	s_cbranch_vccnz .LBB174_3344
; %bb.3343:
	global_load_b32 v3, v[0:1], off
	s_wait_loadcnt 0x0
	s_wait_xcnt 0x1
	v_bfe_u32 v6, v3, 16, 1
	v_cmp_o_f32_e32 vcc_lo, v3, v3
	s_delay_alu instid0(VALU_DEP_2) | instskip(NEXT) | instid1(VALU_DEP_1)
	v_add3_u32 v6, v3, v6, 0x7fff
	v_lshrrev_b32_e32 v6, 16, v6
	s_delay_alu instid0(VALU_DEP_1)
	v_cndmask_b32_e32 v6, 0x7fc0, v6, vcc_lo
.LBB174_3344:
	s_mov_b32 s6, 0
.LBB174_3345:
	s_delay_alu instid0(SALU_CYCLE_1)
	s_and_not1_b32 vcc_lo, exec_lo, s6
	s_cbranch_vccnz .LBB174_3347
; %bb.3346:
	global_load_u16 v3, v[0:1], off
	s_wait_loadcnt 0x0
	s_wait_xcnt 0x1
	v_cvt_f32_f16_e32 v6, v3
	v_cmp_o_f16_e32 vcc_lo, v3, v3
	s_delay_alu instid0(VALU_DEP_2) | instskip(NEXT) | instid1(VALU_DEP_1)
	v_bfe_u32 v7, v6, 16, 1
	v_add3_u32 v6, v6, v7, 0x7fff
	s_delay_alu instid0(VALU_DEP_1) | instskip(NEXT) | instid1(VALU_DEP_1)
	v_lshrrev_b32_e32 v6, 16, v6
	v_cndmask_b32_e32 v6, 0x7fc0, v6, vcc_lo
.LBB174_3347:
	s_mov_b32 s6, 0
.LBB174_3348:
	s_delay_alu instid0(SALU_CYCLE_1)
	s_and_not1_b32 vcc_lo, exec_lo, s6
	s_cbranch_vccnz .LBB174_3368
; %bb.3349:
	s_cmp_lt_i32 s2, 2
	s_cbranch_scc1 .LBB174_3353
; %bb.3350:
	s_cmp_lt_i32 s2, 3
	s_cbranch_scc1 .LBB174_3354
; %bb.3351:
	s_cmp_gt_i32 s2, 3
	s_cbranch_scc0 .LBB174_3355
; %bb.3352:
	s_wait_loadcnt 0x0
	global_load_b64 v[6:7], v[0:1], off
	s_mov_b32 s6, 0
	s_wait_loadcnt 0x0
	v_xor_b32_e32 v3, v6, v7
	v_cls_i32_e32 v17, v7
	s_delay_alu instid0(VALU_DEP_2) | instskip(NEXT) | instid1(VALU_DEP_1)
	v_ashrrev_i32_e32 v3, 31, v3
	v_add_nc_u32_e32 v3, 32, v3
	s_delay_alu instid0(VALU_DEP_1) | instskip(NEXT) | instid1(VALU_DEP_1)
	v_add_min_u32_e64 v3, v17, -1, v3
	v_lshlrev_b64_e32 v[6:7], v3, v[6:7]
	v_sub_nc_u32_e32 v3, 32, v3
	s_delay_alu instid0(VALU_DEP_2) | instskip(NEXT) | instid1(VALU_DEP_1)
	v_min_u32_e32 v6, 1, v6
	v_or_b32_e32 v6, v7, v6
	s_delay_alu instid0(VALU_DEP_1) | instskip(NEXT) | instid1(VALU_DEP_1)
	v_cvt_f32_i32_e32 v6, v6
	v_ldexp_f32 v3, v6, v3
	s_delay_alu instid0(VALU_DEP_1) | instskip(NEXT) | instid1(VALU_DEP_1)
	v_bfe_u32 v6, v3, 16, 1
	v_add3_u32 v3, v3, v6, 0x7fff
	s_delay_alu instid0(VALU_DEP_1)
	v_lshrrev_b32_e32 v6, 16, v3
	s_branch .LBB174_3356
.LBB174_3353:
	s_mov_b32 s6, -1
                                        ; implicit-def: $vgpr6
	s_branch .LBB174_3362
.LBB174_3354:
	s_mov_b32 s6, -1
                                        ; implicit-def: $vgpr6
	s_branch .LBB174_3359
.LBB174_3355:
	s_mov_b32 s6, -1
                                        ; implicit-def: $vgpr6
.LBB174_3356:
	s_delay_alu instid0(SALU_CYCLE_1)
	s_and_not1_b32 vcc_lo, exec_lo, s6
	s_cbranch_vccnz .LBB174_3358
; %bb.3357:
	global_load_b32 v3, v[0:1], off
	s_wait_loadcnt 0x0
	v_cvt_f32_i32_e32 v3, v3
	s_wait_xcnt 0x1
	s_delay_alu instid0(VALU_DEP_1) | instskip(NEXT) | instid1(VALU_DEP_1)
	v_bfe_u32 v6, v3, 16, 1
	v_add3_u32 v3, v3, v6, 0x7fff
	s_delay_alu instid0(VALU_DEP_1)
	v_lshrrev_b32_e32 v6, 16, v3
.LBB174_3358:
	s_mov_b32 s6, 0
.LBB174_3359:
	s_delay_alu instid0(SALU_CYCLE_1)
	s_and_not1_b32 vcc_lo, exec_lo, s6
	s_cbranch_vccnz .LBB174_3361
; %bb.3360:
	global_load_i16 v3, v[0:1], off
	s_wait_loadcnt 0x0
	v_cvt_f32_i32_e32 v3, v3
	s_wait_xcnt 0x1
	s_delay_alu instid0(VALU_DEP_1) | instskip(NEXT) | instid1(VALU_DEP_1)
	v_bfe_u32 v6, v3, 16, 1
	v_add3_u32 v3, v3, v6, 0x7fff
	s_delay_alu instid0(VALU_DEP_1)
	v_lshrrev_b32_e32 v6, 16, v3
.LBB174_3361:
	s_mov_b32 s6, 0
.LBB174_3362:
	s_delay_alu instid0(SALU_CYCLE_1)
	s_and_not1_b32 vcc_lo, exec_lo, s6
	s_cbranch_vccnz .LBB174_3368
; %bb.3363:
	s_cmp_gt_i32 s2, 0
	s_mov_b32 s2, 0
	s_cbranch_scc0 .LBB174_3365
; %bb.3364:
	global_load_i8 v3, v[0:1], off
	s_wait_loadcnt 0x0
	v_cvt_f32_i32_e32 v3, v3
	s_wait_xcnt 0x1
	s_delay_alu instid0(VALU_DEP_1) | instskip(NEXT) | instid1(VALU_DEP_1)
	v_bfe_u32 v6, v3, 16, 1
	v_add3_u32 v3, v3, v6, 0x7fff
	s_delay_alu instid0(VALU_DEP_1)
	v_lshrrev_b32_e32 v6, 16, v3
	s_branch .LBB174_3366
.LBB174_3365:
	s_mov_b32 s2, -1
                                        ; implicit-def: $vgpr6
.LBB174_3366:
	s_delay_alu instid0(SALU_CYCLE_1)
	s_and_not1_b32 vcc_lo, exec_lo, s2
	s_cbranch_vccnz .LBB174_3368
; %bb.3367:
	global_load_u8 v0, v[0:1], off
	s_wait_loadcnt 0x0
	v_cvt_f32_ubyte0_e32 v0, v0
	s_delay_alu instid0(VALU_DEP_1) | instskip(NEXT) | instid1(VALU_DEP_1)
	v_bfe_u32 v1, v0, 16, 1
	v_add3_u32 v0, v0, v1, 0x7fff
	s_delay_alu instid0(VALU_DEP_1)
	v_lshrrev_b32_e32 v6, 16, v0
.LBB174_3368:
	s_mov_b32 s15, -1
.LBB174_3369:
	s_delay_alu instid0(SALU_CYCLE_1)
	s_and_not1_b32 vcc_lo, exec_lo, s15
	s_cbranch_vccnz .LBB174_4065
; %bb.3370:
	s_wait_xcnt 0x0
	v_add_nc_u32_e32 v0, s13, v2
	s_cmp_lt_i32 s17, 11
	s_delay_alu instid0(VALU_DEP_1) | instskip(NEXT) | instid1(VALU_DEP_1)
	v_ashrrev_i32_e32 v1, 31, v0
	v_add_nc_u64_e32 v[0:1], s[8:9], v[0:1]
	s_cbranch_scc1 .LBB174_3377
; %bb.3371:
	s_and_b32 s2, 0xffff, s17
	s_mov_b32 s7, 0
	s_cmp_gt_i32 s2, 25
	s_cbranch_scc0 .LBB174_3378
; %bb.3372:
	s_cmp_gt_i32 s2, 28
	s_cbranch_scc0 .LBB174_3379
; %bb.3373:
	;; [unrolled: 3-line block ×4, first 2 shown]
	s_cmp_eq_u32 s2, 46
	s_mov_b32 s9, 0
	s_cbranch_scc0 .LBB174_3383
; %bb.3376:
	global_load_b32 v7, v[0:1], off
	s_mov_b32 s6, 0
	s_mov_b32 s8, -1
	s_branch .LBB174_3385
.LBB174_3377:
	s_mov_b32 s2, -1
	s_mov_b32 s8, 0
                                        ; implicit-def: $vgpr7
	s_branch .LBB174_3451
.LBB174_3378:
	s_mov_b32 s9, -1
	s_mov_b32 s8, 0
	s_mov_b32 s6, 0
                                        ; implicit-def: $vgpr7
	s_branch .LBB174_3414
.LBB174_3379:
	s_mov_b32 s9, -1
	s_mov_b32 s8, 0
	s_mov_b32 s6, 0
                                        ; implicit-def: $vgpr7
	s_branch .LBB174_3395
.LBB174_3380:
	s_mov_b32 s9, -1
	s_mov_b32 s8, 0
	s_mov_b32 s6, 0
                                        ; implicit-def: $vgpr7
	s_branch .LBB174_3390
.LBB174_3381:
	s_or_b32 s18, s18, exec_lo
	s_trap 2
	s_cbranch_execz .LBB174_3318
	s_branch .LBB174_3319
.LBB174_3382:
	s_mov_b32 s9, -1
	s_mov_b32 s8, 0
	s_mov_b32 s6, 0
	s_branch .LBB174_3384
.LBB174_3383:
	s_mov_b32 s6, -1
	s_mov_b32 s8, 0
.LBB174_3384:
                                        ; implicit-def: $vgpr7
.LBB174_3385:
	s_and_b32 vcc_lo, exec_lo, s9
	s_cbranch_vccz .LBB174_3389
; %bb.3386:
	s_cmp_eq_u32 s2, 44
	s_cbranch_scc0 .LBB174_3388
; %bb.3387:
	global_load_u8 v2, v[0:1], off
	s_mov_b32 s6, 0
	s_mov_b32 s8, -1
	s_wait_loadcnt 0x0
	v_lshlrev_b32_e32 v3, 23, v2
	v_cmp_ne_u32_e32 vcc_lo, 0xff, v2
	s_delay_alu instid0(VALU_DEP_2) | instskip(SKIP_1) | instid1(VALU_DEP_2)
	v_cndmask_b32_e32 v3, 0x7f800001, v3, vcc_lo
	v_cmp_ne_u32_e32 vcc_lo, 0, v2
	v_cndmask_b32_e32 v2, 0x400000, v3, vcc_lo
	s_delay_alu instid0(VALU_DEP_1) | instskip(NEXT) | instid1(VALU_DEP_1)
	v_add_nc_u32_e32 v3, 0x7fff, v2
	v_lshrrev_b32_e32 v3, 16, v3
	v_cmp_o_f32_e32 vcc_lo, v2, v2
	s_delay_alu instid0(VALU_DEP_2)
	v_cndmask_b32_e32 v7, 0x7fc0, v3, vcc_lo
	s_branch .LBB174_3389
.LBB174_3388:
	s_mov_b32 s6, -1
                                        ; implicit-def: $vgpr7
.LBB174_3389:
	s_mov_b32 s9, 0
.LBB174_3390:
	s_delay_alu instid0(SALU_CYCLE_1)
	s_and_b32 vcc_lo, exec_lo, s9
	s_cbranch_vccz .LBB174_3394
; %bb.3391:
	s_cmp_eq_u32 s2, 29
	s_cbranch_scc0 .LBB174_3393
; %bb.3392:
	global_load_b64 v[2:3], v[0:1], off
	s_mov_b32 s6, 0
	s_mov_b32 s8, -1
	s_mov_b32 s9, 0
	s_wait_loadcnt 0x0
	v_clz_i32_u32_e32 v7, v3
	s_delay_alu instid0(VALU_DEP_1) | instskip(NEXT) | instid1(VALU_DEP_1)
	v_min_u32_e32 v7, 32, v7
	v_lshlrev_b64_e32 v[2:3], v7, v[2:3]
	s_delay_alu instid0(VALU_DEP_1) | instskip(NEXT) | instid1(VALU_DEP_1)
	v_min_u32_e32 v2, 1, v2
	v_dual_sub_nc_u32 v3, 32, v7 :: v_dual_bitop2_b32 v2, v3, v2 bitop3:0x54
	s_delay_alu instid0(VALU_DEP_1) | instskip(NEXT) | instid1(VALU_DEP_1)
	v_cvt_f32_u32_e32 v2, v2
	v_ldexp_f32 v2, v2, v3
	s_delay_alu instid0(VALU_DEP_1) | instskip(NEXT) | instid1(VALU_DEP_1)
	v_bfe_u32 v3, v2, 16, 1
	v_add3_u32 v2, v2, v3, 0x7fff
	s_delay_alu instid0(VALU_DEP_1)
	v_lshrrev_b32_e32 v7, 16, v2
	s_branch .LBB174_3395
.LBB174_3393:
	s_mov_b32 s6, -1
                                        ; implicit-def: $vgpr7
.LBB174_3394:
	s_mov_b32 s9, 0
.LBB174_3395:
	s_delay_alu instid0(SALU_CYCLE_1)
	s_and_b32 vcc_lo, exec_lo, s9
	s_cbranch_vccz .LBB174_3413
; %bb.3396:
	s_cmp_lt_i32 s2, 27
	s_cbranch_scc1 .LBB174_3399
; %bb.3397:
	s_cmp_gt_i32 s2, 27
	s_cbranch_scc0 .LBB174_3400
; %bb.3398:
	global_load_b32 v2, v[0:1], off
	s_mov_b32 s8, 0
	s_wait_loadcnt 0x0
	v_cvt_f32_u32_e32 v2, v2
	s_delay_alu instid0(VALU_DEP_1) | instskip(NEXT) | instid1(VALU_DEP_1)
	v_bfe_u32 v3, v2, 16, 1
	v_add3_u32 v2, v2, v3, 0x7fff
	s_delay_alu instid0(VALU_DEP_1)
	v_lshrrev_b32_e32 v7, 16, v2
	s_branch .LBB174_3401
.LBB174_3399:
	s_mov_b32 s8, -1
                                        ; implicit-def: $vgpr7
	s_branch .LBB174_3404
.LBB174_3400:
	s_mov_b32 s8, -1
                                        ; implicit-def: $vgpr7
.LBB174_3401:
	s_delay_alu instid0(SALU_CYCLE_1)
	s_and_not1_b32 vcc_lo, exec_lo, s8
	s_cbranch_vccnz .LBB174_3403
; %bb.3402:
	global_load_u16 v2, v[0:1], off
	s_wait_loadcnt 0x0
	v_cvt_f32_u32_e32 v2, v2
	s_delay_alu instid0(VALU_DEP_1) | instskip(NEXT) | instid1(VALU_DEP_1)
	v_bfe_u32 v3, v2, 16, 1
	v_add3_u32 v2, v2, v3, 0x7fff
	s_delay_alu instid0(VALU_DEP_1)
	v_lshrrev_b32_e32 v7, 16, v2
.LBB174_3403:
	s_mov_b32 s8, 0
.LBB174_3404:
	s_delay_alu instid0(SALU_CYCLE_1)
	s_and_not1_b32 vcc_lo, exec_lo, s8
	s_cbranch_vccnz .LBB174_3412
; %bb.3405:
	global_load_u8 v2, v[0:1], off
	s_mov_b32 s8, 0
	s_mov_b32 s9, exec_lo
	s_wait_loadcnt 0x0
	v_cmpx_lt_i16_e32 0x7f, v2
	s_xor_b32 s9, exec_lo, s9
	s_cbranch_execz .LBB174_3426
; %bb.3406:
	s_mov_b32 s8, -1
	s_mov_b32 s13, exec_lo
	v_cmpx_eq_u16_e32 0x80, v2
; %bb.3407:
	s_xor_b32 s8, exec_lo, -1
; %bb.3408:
	s_or_b32 exec_lo, exec_lo, s13
	s_delay_alu instid0(SALU_CYCLE_1)
	s_and_b32 s8, s8, exec_lo
	s_or_saveexec_b32 s9, s9
	v_mov_b32_e32 v3, 0x7f800001
	s_xor_b32 exec_lo, exec_lo, s9
	s_cbranch_execnz .LBB174_3427
.LBB174_3409:
	s_or_b32 exec_lo, exec_lo, s9
	s_and_saveexec_b32 s9, s8
	s_cbranch_execz .LBB174_3411
.LBB174_3410:
	v_and_b32_e32 v3, 0xffff, v2
	s_delay_alu instid0(VALU_DEP_1) | instskip(SKIP_1) | instid1(VALU_DEP_2)
	v_and_b32_e32 v7, 7, v3
	v_bfe_u32 v19, v3, 3, 4
	v_clz_i32_u32_e32 v17, v7
	s_delay_alu instid0(VALU_DEP_2) | instskip(NEXT) | instid1(VALU_DEP_2)
	v_cmp_eq_u32_e32 vcc_lo, 0, v19
	v_min_u32_e32 v17, 32, v17
	s_delay_alu instid0(VALU_DEP_1) | instskip(NEXT) | instid1(VALU_DEP_1)
	v_subrev_nc_u32_e32 v18, 28, v17
	v_dual_lshlrev_b32 v3, v18, v3 :: v_dual_sub_nc_u32 v17, 29, v17
	s_delay_alu instid0(VALU_DEP_1) | instskip(NEXT) | instid1(VALU_DEP_2)
	v_dual_lshlrev_b32 v2, 24, v2 :: v_dual_bitop2_b32 v3, 7, v3 bitop3:0x40
	v_cndmask_b32_e32 v17, v19, v17, vcc_lo
	s_delay_alu instid0(VALU_DEP_2) | instskip(NEXT) | instid1(VALU_DEP_3)
	v_cndmask_b32_e32 v3, v7, v3, vcc_lo
	v_and_b32_e32 v2, 0x80000000, v2
	s_delay_alu instid0(VALU_DEP_3) | instskip(NEXT) | instid1(VALU_DEP_3)
	v_lshl_add_u32 v7, v17, 23, 0x3b800000
	v_lshlrev_b32_e32 v3, 20, v3
	s_delay_alu instid0(VALU_DEP_1)
	v_or3_b32 v3, v2, v7, v3
.LBB174_3411:
	s_or_b32 exec_lo, exec_lo, s9
	s_delay_alu instid0(VALU_DEP_1) | instskip(SKIP_1) | instid1(VALU_DEP_2)
	v_bfe_u32 v2, v3, 16, 1
	v_cmp_o_f32_e32 vcc_lo, v3, v3
	v_add3_u32 v2, v3, v2, 0x7fff
	s_delay_alu instid0(VALU_DEP_1) | instskip(NEXT) | instid1(VALU_DEP_1)
	v_lshrrev_b32_e32 v2, 16, v2
	v_cndmask_b32_e32 v7, 0x7fc0, v2, vcc_lo
.LBB174_3412:
	s_mov_b32 s8, -1
.LBB174_3413:
	s_mov_b32 s9, 0
.LBB174_3414:
	s_delay_alu instid0(SALU_CYCLE_1)
	s_and_b32 vcc_lo, exec_lo, s9
	s_cbranch_vccz .LBB174_3447
; %bb.3415:
	s_cmp_gt_i32 s2, 22
	s_cbranch_scc0 .LBB174_3425
; %bb.3416:
	s_cmp_lt_i32 s2, 24
	s_cbranch_scc1 .LBB174_3428
; %bb.3417:
	s_cmp_gt_i32 s2, 24
	s_cbranch_scc0 .LBB174_3429
; %bb.3418:
	global_load_u8 v2, v[0:1], off
	s_mov_b32 s8, exec_lo
	s_wait_loadcnt 0x0
	v_cmpx_lt_i16_e32 0x7f, v2
	s_xor_b32 s8, exec_lo, s8
	s_cbranch_execz .LBB174_3441
; %bb.3419:
	s_mov_b32 s7, -1
	s_mov_b32 s9, exec_lo
	v_cmpx_eq_u16_e32 0x80, v2
; %bb.3420:
	s_xor_b32 s7, exec_lo, -1
; %bb.3421:
	s_or_b32 exec_lo, exec_lo, s9
	s_delay_alu instid0(SALU_CYCLE_1)
	s_and_b32 s7, s7, exec_lo
	s_or_saveexec_b32 s8, s8
	v_mov_b32_e32 v3, 0x7f800001
	s_xor_b32 exec_lo, exec_lo, s8
	s_cbranch_execnz .LBB174_3442
.LBB174_3422:
	s_or_b32 exec_lo, exec_lo, s8
	s_and_saveexec_b32 s8, s7
	s_cbranch_execz .LBB174_3424
.LBB174_3423:
	v_and_b32_e32 v3, 0xffff, v2
	s_delay_alu instid0(VALU_DEP_1) | instskip(SKIP_1) | instid1(VALU_DEP_2)
	v_and_b32_e32 v7, 3, v3
	v_bfe_u32 v19, v3, 2, 5
	v_clz_i32_u32_e32 v17, v7
	s_delay_alu instid0(VALU_DEP_2) | instskip(NEXT) | instid1(VALU_DEP_2)
	v_cmp_eq_u32_e32 vcc_lo, 0, v19
	v_min_u32_e32 v17, 32, v17
	s_delay_alu instid0(VALU_DEP_1) | instskip(NEXT) | instid1(VALU_DEP_1)
	v_subrev_nc_u32_e32 v18, 29, v17
	v_dual_lshlrev_b32 v3, v18, v3 :: v_dual_sub_nc_u32 v17, 30, v17
	s_delay_alu instid0(VALU_DEP_1) | instskip(NEXT) | instid1(VALU_DEP_2)
	v_dual_lshlrev_b32 v2, 24, v2 :: v_dual_bitop2_b32 v3, 3, v3 bitop3:0x40
	v_cndmask_b32_e32 v17, v19, v17, vcc_lo
	s_delay_alu instid0(VALU_DEP_2) | instskip(NEXT) | instid1(VALU_DEP_3)
	v_cndmask_b32_e32 v3, v7, v3, vcc_lo
	v_and_b32_e32 v2, 0x80000000, v2
	s_delay_alu instid0(VALU_DEP_3) | instskip(NEXT) | instid1(VALU_DEP_3)
	v_lshl_add_u32 v7, v17, 23, 0x37800000
	v_lshlrev_b32_e32 v3, 21, v3
	s_delay_alu instid0(VALU_DEP_1)
	v_or3_b32 v3, v2, v7, v3
.LBB174_3424:
	s_or_b32 exec_lo, exec_lo, s8
	s_delay_alu instid0(VALU_DEP_1) | instskip(SKIP_2) | instid1(VALU_DEP_2)
	v_bfe_u32 v2, v3, 16, 1
	v_cmp_o_f32_e32 vcc_lo, v3, v3
	s_mov_b32 s7, 0
	v_add3_u32 v2, v3, v2, 0x7fff
	s_delay_alu instid0(VALU_DEP_1) | instskip(NEXT) | instid1(VALU_DEP_1)
	v_lshrrev_b32_e32 v2, 16, v2
	v_cndmask_b32_e32 v7, 0x7fc0, v2, vcc_lo
	s_branch .LBB174_3430
.LBB174_3425:
	s_mov_b32 s7, -1
                                        ; implicit-def: $vgpr7
	s_branch .LBB174_3436
.LBB174_3426:
	s_or_saveexec_b32 s9, s9
	v_mov_b32_e32 v3, 0x7f800001
	s_xor_b32 exec_lo, exec_lo, s9
	s_cbranch_execz .LBB174_3409
.LBB174_3427:
	v_cmp_ne_u16_e32 vcc_lo, 0, v2
	v_mov_b32_e32 v3, 0
	s_and_not1_b32 s8, s8, exec_lo
	s_and_b32 s13, vcc_lo, exec_lo
	s_delay_alu instid0(SALU_CYCLE_1)
	s_or_b32 s8, s8, s13
	s_or_b32 exec_lo, exec_lo, s9
	s_and_saveexec_b32 s9, s8
	s_cbranch_execnz .LBB174_3410
	s_branch .LBB174_3411
.LBB174_3428:
	s_mov_b32 s7, -1
                                        ; implicit-def: $vgpr7
	s_branch .LBB174_3433
.LBB174_3429:
	s_mov_b32 s7, -1
                                        ; implicit-def: $vgpr7
.LBB174_3430:
	s_delay_alu instid0(SALU_CYCLE_1)
	s_and_b32 vcc_lo, exec_lo, s7
	s_cbranch_vccz .LBB174_3432
; %bb.3431:
	global_load_u8 v2, v[0:1], off
	s_wait_loadcnt 0x0
	v_lshlrev_b32_e32 v2, 24, v2
	s_delay_alu instid0(VALU_DEP_1) | instskip(NEXT) | instid1(VALU_DEP_1)
	v_and_b32_e32 v3, 0x7f000000, v2
	v_clz_i32_u32_e32 v7, v3
	v_add_nc_u32_e32 v18, 0x1000000, v3
	v_cmp_ne_u32_e32 vcc_lo, 0, v3
	s_delay_alu instid0(VALU_DEP_3) | instskip(NEXT) | instid1(VALU_DEP_1)
	v_min_u32_e32 v7, 32, v7
	v_sub_nc_u32_e64 v7, v7, 4 clamp
	s_delay_alu instid0(VALU_DEP_1) | instskip(NEXT) | instid1(VALU_DEP_1)
	v_lshlrev_b32_e32 v17, v7, v3
	v_dual_lshlrev_b32 v7, 23, v7 :: v_dual_lshrrev_b32 v17, 4, v17
	s_delay_alu instid0(VALU_DEP_1) | instskip(NEXT) | instid1(VALU_DEP_1)
	v_dual_sub_nc_u32 v7, v17, v7 :: v_dual_ashrrev_i32 v17, 8, v18
	v_add_nc_u32_e32 v7, 0x3c000000, v7
	s_delay_alu instid0(VALU_DEP_1) | instskip(NEXT) | instid1(VALU_DEP_1)
	v_and_or_b32 v7, 0x7f800000, v17, v7
	v_cndmask_b32_e32 v3, 0, v7, vcc_lo
	s_delay_alu instid0(VALU_DEP_1) | instskip(SKIP_1) | instid1(VALU_DEP_2)
	v_and_or_b32 v2, 0x80000000, v2, v3
	v_bfe_u32 v3, v3, 16, 1
	v_cmp_o_f32_e32 vcc_lo, v2, v2
	s_delay_alu instid0(VALU_DEP_2) | instskip(NEXT) | instid1(VALU_DEP_1)
	v_add3_u32 v3, v2, v3, 0x7fff
	v_lshrrev_b32_e32 v3, 16, v3
	s_delay_alu instid0(VALU_DEP_1)
	v_cndmask_b32_e32 v7, 0x7fc0, v3, vcc_lo
.LBB174_3432:
	s_mov_b32 s7, 0
.LBB174_3433:
	s_delay_alu instid0(SALU_CYCLE_1)
	s_and_not1_b32 vcc_lo, exec_lo, s7
	s_cbranch_vccnz .LBB174_3435
; %bb.3434:
	global_load_u8 v2, v[0:1], off
	s_wait_loadcnt 0x0
	v_lshlrev_b32_e32 v3, 25, v2
	v_lshlrev_b16 v2, 8, v2
	s_delay_alu instid0(VALU_DEP_1) | instskip(SKIP_1) | instid1(VALU_DEP_2)
	v_and_or_b32 v17, 0x7f00, v2, 0.5
	v_bfe_i32 v2, v2, 0, 16
	v_dual_add_f32 v17, -0.5, v17 :: v_dual_lshrrev_b32 v7, 4, v3
	v_cmp_gt_u32_e32 vcc_lo, 0x8000000, v3
	s_delay_alu instid0(VALU_DEP_2) | instskip(NEXT) | instid1(VALU_DEP_1)
	v_or_b32_e32 v7, 0x70000000, v7
	v_mul_f32_e32 v7, 0x7800000, v7
	s_delay_alu instid0(VALU_DEP_1) | instskip(NEXT) | instid1(VALU_DEP_1)
	v_cndmask_b32_e32 v3, v7, v17, vcc_lo
	v_and_or_b32 v2, 0x80000000, v2, v3
	v_bfe_u32 v3, v3, 16, 1
	s_delay_alu instid0(VALU_DEP_2) | instskip(NEXT) | instid1(VALU_DEP_2)
	v_cmp_o_f32_e32 vcc_lo, v2, v2
	v_add3_u32 v3, v2, v3, 0x7fff
	s_delay_alu instid0(VALU_DEP_1) | instskip(NEXT) | instid1(VALU_DEP_1)
	v_lshrrev_b32_e32 v3, 16, v3
	v_cndmask_b32_e32 v7, 0x7fc0, v3, vcc_lo
.LBB174_3435:
	s_mov_b32 s7, 0
	s_mov_b32 s8, -1
.LBB174_3436:
	s_and_not1_b32 vcc_lo, exec_lo, s7
	s_mov_b32 s7, 0
	s_cbranch_vccnz .LBB174_3447
; %bb.3437:
	s_cmp_gt_i32 s2, 14
	s_cbranch_scc0 .LBB174_3440
; %bb.3438:
	s_cmp_eq_u32 s2, 15
	s_cbranch_scc0 .LBB174_3443
; %bb.3439:
	s_wait_loadcnt 0x0
	global_load_u16 v7, v[0:1], off
	s_mov_b32 s6, 0
	s_mov_b32 s8, -1
	s_branch .LBB174_3445
.LBB174_3440:
	s_mov_b32 s7, -1
	s_branch .LBB174_3444
.LBB174_3441:
	s_or_saveexec_b32 s8, s8
	v_mov_b32_e32 v3, 0x7f800001
	s_xor_b32 exec_lo, exec_lo, s8
	s_cbranch_execz .LBB174_3422
.LBB174_3442:
	v_cmp_ne_u16_e32 vcc_lo, 0, v2
	v_mov_b32_e32 v3, 0
	s_and_not1_b32 s7, s7, exec_lo
	s_and_b32 s9, vcc_lo, exec_lo
	s_delay_alu instid0(SALU_CYCLE_1)
	s_or_b32 s7, s7, s9
	s_or_b32 exec_lo, exec_lo, s8
	s_and_saveexec_b32 s8, s7
	s_cbranch_execnz .LBB174_3423
	s_branch .LBB174_3424
.LBB174_3443:
	s_mov_b32 s6, -1
.LBB174_3444:
                                        ; implicit-def: $vgpr7
.LBB174_3445:
	s_and_b32 vcc_lo, exec_lo, s7
	s_mov_b32 s7, 0
	s_cbranch_vccz .LBB174_3447
; %bb.3446:
	s_cmp_lg_u32 s2, 11
	s_mov_b32 s7, -1
	s_cselect_b32 s6, -1, 0
.LBB174_3447:
	s_delay_alu instid0(SALU_CYCLE_1)
	s_and_b32 vcc_lo, exec_lo, s6
	s_cbranch_vccnz .LBB174_3512
; %bb.3448:
	s_and_not1_b32 vcc_lo, exec_lo, s7
	s_cbranch_vccnz .LBB174_3450
.LBB174_3449:
	global_load_u8 v2, v[0:1], off
	s_mov_b32 s8, -1
	s_wait_loadcnt 0x0
	v_cmp_ne_u16_e32 vcc_lo, 0, v2
	v_cndmask_b32_e64 v2, 0, 1.0, vcc_lo
	s_delay_alu instid0(VALU_DEP_1)
	v_lshrrev_b32_e32 v7, 16, v2
.LBB174_3450:
	s_mov_b32 s2, 0
.LBB174_3451:
	s_delay_alu instid0(SALU_CYCLE_1)
	s_and_b32 vcc_lo, exec_lo, s2
	s_cbranch_vccz .LBB174_3500
; %bb.3452:
	s_and_b32 s2, 0xffff, s17
	s_delay_alu instid0(SALU_CYCLE_1)
	s_cmp_lt_i32 s2, 5
	s_cbranch_scc1 .LBB174_3457
; %bb.3453:
	s_cmp_lt_i32 s2, 8
	s_cbranch_scc1 .LBB174_3458
; %bb.3454:
	;; [unrolled: 3-line block ×3, first 2 shown]
	s_cmp_gt_i32 s2, 9
	s_cbranch_scc0 .LBB174_3460
; %bb.3456:
	global_load_b64 v[2:3], v[0:1], off
	s_mov_b32 s6, 0
	s_wait_loadcnt 0x0
	v_cvt_f32_f64_e32 v2, v[2:3]
	s_delay_alu instid0(VALU_DEP_1) | instskip(SKIP_1) | instid1(VALU_DEP_2)
	v_bfe_u32 v3, v2, 16, 1
	v_cmp_o_f32_e32 vcc_lo, v2, v2
	v_add3_u32 v3, v2, v3, 0x7fff
	s_delay_alu instid0(VALU_DEP_1) | instskip(NEXT) | instid1(VALU_DEP_1)
	v_lshrrev_b32_e32 v3, 16, v3
	v_cndmask_b32_e32 v7, 0x7fc0, v3, vcc_lo
	s_branch .LBB174_3461
.LBB174_3457:
	s_mov_b32 s6, -1
                                        ; implicit-def: $vgpr7
	s_branch .LBB174_3479
.LBB174_3458:
	s_mov_b32 s6, -1
                                        ; implicit-def: $vgpr7
	s_branch .LBB174_3467
.LBB174_3459:
	s_mov_b32 s6, -1
                                        ; implicit-def: $vgpr7
	s_branch .LBB174_3464
.LBB174_3460:
	s_mov_b32 s6, -1
                                        ; implicit-def: $vgpr7
.LBB174_3461:
	s_delay_alu instid0(SALU_CYCLE_1)
	s_and_not1_b32 vcc_lo, exec_lo, s6
	s_cbranch_vccnz .LBB174_3463
; %bb.3462:
	global_load_b32 v2, v[0:1], off
	s_wait_loadcnt 0x0
	v_bfe_u32 v3, v2, 16, 1
	v_cmp_o_f32_e32 vcc_lo, v2, v2
	s_delay_alu instid0(VALU_DEP_2) | instskip(NEXT) | instid1(VALU_DEP_1)
	v_add3_u32 v3, v2, v3, 0x7fff
	v_lshrrev_b32_e32 v3, 16, v3
	s_delay_alu instid0(VALU_DEP_1)
	v_cndmask_b32_e32 v7, 0x7fc0, v3, vcc_lo
.LBB174_3463:
	s_mov_b32 s6, 0
.LBB174_3464:
	s_delay_alu instid0(SALU_CYCLE_1)
	s_and_not1_b32 vcc_lo, exec_lo, s6
	s_cbranch_vccnz .LBB174_3466
; %bb.3465:
	global_load_b32 v2, v[0:1], off
	s_wait_loadcnt 0x0
	v_cvt_f32_f16_e32 v3, v2
	v_cmp_o_f16_e32 vcc_lo, v2, v2
	s_delay_alu instid0(VALU_DEP_2) | instskip(NEXT) | instid1(VALU_DEP_1)
	v_bfe_u32 v7, v3, 16, 1
	v_add3_u32 v3, v3, v7, 0x7fff
	s_delay_alu instid0(VALU_DEP_1) | instskip(NEXT) | instid1(VALU_DEP_1)
	v_lshrrev_b32_e32 v3, 16, v3
	v_cndmask_b32_e32 v7, 0x7fc0, v3, vcc_lo
.LBB174_3466:
	s_mov_b32 s6, 0
.LBB174_3467:
	s_delay_alu instid0(SALU_CYCLE_1)
	s_and_not1_b32 vcc_lo, exec_lo, s6
	s_cbranch_vccnz .LBB174_3478
; %bb.3468:
	s_cmp_lt_i32 s2, 6
	s_cbranch_scc1 .LBB174_3471
; %bb.3469:
	s_cmp_gt_i32 s2, 6
	s_cbranch_scc0 .LBB174_3472
; %bb.3470:
	global_load_b64 v[2:3], v[0:1], off
	s_mov_b32 s6, 0
	s_wait_loadcnt 0x0
	v_cvt_f32_f64_e32 v2, v[2:3]
	s_delay_alu instid0(VALU_DEP_1) | instskip(SKIP_1) | instid1(VALU_DEP_2)
	v_bfe_u32 v3, v2, 16, 1
	v_cmp_o_f32_e32 vcc_lo, v2, v2
	v_add3_u32 v3, v2, v3, 0x7fff
	s_delay_alu instid0(VALU_DEP_1) | instskip(NEXT) | instid1(VALU_DEP_1)
	v_lshrrev_b32_e32 v3, 16, v3
	v_cndmask_b32_e32 v7, 0x7fc0, v3, vcc_lo
	s_branch .LBB174_3473
.LBB174_3471:
	s_mov_b32 s6, -1
                                        ; implicit-def: $vgpr7
	s_branch .LBB174_3476
.LBB174_3472:
	s_mov_b32 s6, -1
                                        ; implicit-def: $vgpr7
.LBB174_3473:
	s_delay_alu instid0(SALU_CYCLE_1)
	s_and_not1_b32 vcc_lo, exec_lo, s6
	s_cbranch_vccnz .LBB174_3475
; %bb.3474:
	global_load_b32 v2, v[0:1], off
	s_wait_loadcnt 0x0
	v_bfe_u32 v3, v2, 16, 1
	v_cmp_o_f32_e32 vcc_lo, v2, v2
	s_delay_alu instid0(VALU_DEP_2) | instskip(NEXT) | instid1(VALU_DEP_1)
	v_add3_u32 v3, v2, v3, 0x7fff
	v_lshrrev_b32_e32 v3, 16, v3
	s_delay_alu instid0(VALU_DEP_1)
	v_cndmask_b32_e32 v7, 0x7fc0, v3, vcc_lo
.LBB174_3475:
	s_mov_b32 s6, 0
.LBB174_3476:
	s_delay_alu instid0(SALU_CYCLE_1)
	s_and_not1_b32 vcc_lo, exec_lo, s6
	s_cbranch_vccnz .LBB174_3478
; %bb.3477:
	global_load_u16 v2, v[0:1], off
	s_wait_loadcnt 0x0
	v_cvt_f32_f16_e32 v3, v2
	v_cmp_o_f16_e32 vcc_lo, v2, v2
	s_delay_alu instid0(VALU_DEP_2) | instskip(NEXT) | instid1(VALU_DEP_1)
	v_bfe_u32 v7, v3, 16, 1
	v_add3_u32 v3, v3, v7, 0x7fff
	s_delay_alu instid0(VALU_DEP_1) | instskip(NEXT) | instid1(VALU_DEP_1)
	v_lshrrev_b32_e32 v3, 16, v3
	v_cndmask_b32_e32 v7, 0x7fc0, v3, vcc_lo
.LBB174_3478:
	s_mov_b32 s6, 0
.LBB174_3479:
	s_delay_alu instid0(SALU_CYCLE_1)
	s_and_not1_b32 vcc_lo, exec_lo, s6
	s_cbranch_vccnz .LBB174_3499
; %bb.3480:
	s_cmp_lt_i32 s2, 2
	s_cbranch_scc1 .LBB174_3484
; %bb.3481:
	s_cmp_lt_i32 s2, 3
	s_cbranch_scc1 .LBB174_3485
; %bb.3482:
	s_cmp_gt_i32 s2, 3
	s_cbranch_scc0 .LBB174_3486
; %bb.3483:
	global_load_b64 v[2:3], v[0:1], off
	s_mov_b32 s6, 0
	s_wait_loadcnt 0x0
	v_xor_b32_e32 v7, v2, v3
	v_cls_i32_e32 v17, v3
	s_delay_alu instid0(VALU_DEP_2) | instskip(NEXT) | instid1(VALU_DEP_1)
	v_ashrrev_i32_e32 v7, 31, v7
	v_add_nc_u32_e32 v7, 32, v7
	s_delay_alu instid0(VALU_DEP_1) | instskip(NEXT) | instid1(VALU_DEP_1)
	v_add_min_u32_e64 v7, v17, -1, v7
	v_lshlrev_b64_e32 v[2:3], v7, v[2:3]
	s_delay_alu instid0(VALU_DEP_1) | instskip(NEXT) | instid1(VALU_DEP_1)
	v_min_u32_e32 v2, 1, v2
	v_dual_sub_nc_u32 v3, 32, v7 :: v_dual_bitop2_b32 v2, v3, v2 bitop3:0x54
	s_delay_alu instid0(VALU_DEP_1) | instskip(NEXT) | instid1(VALU_DEP_1)
	v_cvt_f32_i32_e32 v2, v2
	v_ldexp_f32 v2, v2, v3
	s_delay_alu instid0(VALU_DEP_1) | instskip(NEXT) | instid1(VALU_DEP_1)
	v_bfe_u32 v3, v2, 16, 1
	v_add3_u32 v2, v2, v3, 0x7fff
	s_delay_alu instid0(VALU_DEP_1)
	v_lshrrev_b32_e32 v7, 16, v2
	s_branch .LBB174_3487
.LBB174_3484:
	s_mov_b32 s6, -1
                                        ; implicit-def: $vgpr7
	s_branch .LBB174_3493
.LBB174_3485:
	s_mov_b32 s6, -1
                                        ; implicit-def: $vgpr7
	s_branch .LBB174_3490
.LBB174_3486:
	s_mov_b32 s6, -1
                                        ; implicit-def: $vgpr7
.LBB174_3487:
	s_delay_alu instid0(SALU_CYCLE_1)
	s_and_not1_b32 vcc_lo, exec_lo, s6
	s_cbranch_vccnz .LBB174_3489
; %bb.3488:
	global_load_b32 v2, v[0:1], off
	s_wait_loadcnt 0x0
	v_cvt_f32_i32_e32 v2, v2
	s_delay_alu instid0(VALU_DEP_1) | instskip(NEXT) | instid1(VALU_DEP_1)
	v_bfe_u32 v3, v2, 16, 1
	v_add3_u32 v2, v2, v3, 0x7fff
	s_delay_alu instid0(VALU_DEP_1)
	v_lshrrev_b32_e32 v7, 16, v2
.LBB174_3489:
	s_mov_b32 s6, 0
.LBB174_3490:
	s_delay_alu instid0(SALU_CYCLE_1)
	s_and_not1_b32 vcc_lo, exec_lo, s6
	s_cbranch_vccnz .LBB174_3492
; %bb.3491:
	global_load_i16 v2, v[0:1], off
	s_wait_loadcnt 0x0
	v_cvt_f32_i32_e32 v2, v2
	s_delay_alu instid0(VALU_DEP_1) | instskip(NEXT) | instid1(VALU_DEP_1)
	v_bfe_u32 v3, v2, 16, 1
	v_add3_u32 v2, v2, v3, 0x7fff
	s_delay_alu instid0(VALU_DEP_1)
	v_lshrrev_b32_e32 v7, 16, v2
.LBB174_3492:
	s_mov_b32 s6, 0
.LBB174_3493:
	s_delay_alu instid0(SALU_CYCLE_1)
	s_and_not1_b32 vcc_lo, exec_lo, s6
	s_cbranch_vccnz .LBB174_3499
; %bb.3494:
	s_cmp_gt_i32 s2, 0
	s_mov_b32 s2, 0
	s_cbranch_scc0 .LBB174_3496
; %bb.3495:
	global_load_i8 v2, v[0:1], off
	s_wait_loadcnt 0x0
	v_cvt_f32_i32_e32 v2, v2
	s_delay_alu instid0(VALU_DEP_1) | instskip(NEXT) | instid1(VALU_DEP_1)
	v_bfe_u32 v3, v2, 16, 1
	v_add3_u32 v2, v2, v3, 0x7fff
	s_delay_alu instid0(VALU_DEP_1)
	v_lshrrev_b32_e32 v7, 16, v2
	s_branch .LBB174_3497
.LBB174_3496:
	s_mov_b32 s2, -1
                                        ; implicit-def: $vgpr7
.LBB174_3497:
	s_delay_alu instid0(SALU_CYCLE_1)
	s_and_not1_b32 vcc_lo, exec_lo, s2
	s_cbranch_vccnz .LBB174_3499
; %bb.3498:
	global_load_u8 v0, v[0:1], off
	s_wait_loadcnt 0x0
	v_cvt_f32_ubyte0_e32 v0, v0
	s_delay_alu instid0(VALU_DEP_1) | instskip(NEXT) | instid1(VALU_DEP_1)
	v_bfe_u32 v1, v0, 16, 1
	v_add3_u32 v0, v0, v1, 0x7fff
	s_delay_alu instid0(VALU_DEP_1)
	v_lshrrev_b32_e32 v7, 16, v0
.LBB174_3499:
	s_mov_b32 s8, -1
.LBB174_3500:
	s_delay_alu instid0(SALU_CYCLE_1)
	s_and_not1_b32 vcc_lo, exec_lo, s8
	s_cbranch_vccnz .LBB174_4065
; %bb.3501:
	s_wait_xcnt 0x0
	v_add_nc_u32_e32 v0, s14, v4
	s_cmp_lt_i32 s0, 11
	s_delay_alu instid0(VALU_DEP_1) | instskip(NEXT) | instid1(VALU_DEP_1)
	v_ashrrev_i32_e32 v1, 31, v0
	v_add_nc_u64_e32 v[0:1], s[10:11], v[0:1]
	s_cbranch_scc1 .LBB174_3508
; %bb.3502:
	s_cmp_gt_i32 s0, 25
	s_mov_b32 s6, 0
	s_cbranch_scc0 .LBB174_3509
; %bb.3503:
	s_cmp_gt_i32 s0, 28
	s_cbranch_scc0 .LBB174_3510
; %bb.3504:
	s_cmp_gt_i32 s0, 43
	;; [unrolled: 3-line block ×3, first 2 shown]
	s_cbranch_scc0 .LBB174_3513
; %bb.3506:
	s_cmp_eq_u32 s0, 46
	s_mov_b32 s8, 0
	s_cbranch_scc0 .LBB174_3514
; %bb.3507:
	global_load_b32 v4, v[0:1], off
	s_mov_b32 s2, 0
	s_mov_b32 s7, -1
	s_branch .LBB174_3516
.LBB174_3508:
	s_mov_b32 s2, -1
	s_mov_b32 s7, 0
                                        ; implicit-def: $vgpr4
	s_branch .LBB174_3582
.LBB174_3509:
	s_mov_b32 s8, -1
	s_mov_b32 s7, 0
	s_mov_b32 s2, 0
                                        ; implicit-def: $vgpr4
	s_branch .LBB174_3545
.LBB174_3510:
	s_mov_b32 s8, -1
	s_mov_b32 s7, 0
	s_mov_b32 s2, 0
                                        ; implicit-def: $vgpr4
	s_branch .LBB174_3526
.LBB174_3511:
	s_mov_b32 s8, -1
	s_mov_b32 s7, 0
	s_mov_b32 s2, 0
                                        ; implicit-def: $vgpr4
	s_branch .LBB174_3521
.LBB174_3512:
	s_or_b32 s18, s18, exec_lo
	s_trap 2
	s_cbranch_execz .LBB174_3449
	s_branch .LBB174_3450
.LBB174_3513:
	s_mov_b32 s8, -1
	s_mov_b32 s7, 0
	s_mov_b32 s2, 0
	s_branch .LBB174_3515
.LBB174_3514:
	s_mov_b32 s2, -1
	s_mov_b32 s7, 0
.LBB174_3515:
                                        ; implicit-def: $vgpr4
.LBB174_3516:
	s_and_b32 vcc_lo, exec_lo, s8
	s_cbranch_vccz .LBB174_3520
; %bb.3517:
	s_cmp_eq_u32 s0, 44
	s_cbranch_scc0 .LBB174_3519
; %bb.3518:
	global_load_u8 v2, v[0:1], off
	s_mov_b32 s2, 0
	s_mov_b32 s7, -1
	s_wait_loadcnt 0x0
	v_lshlrev_b32_e32 v3, 23, v2
	v_cmp_ne_u32_e32 vcc_lo, 0xff, v2
	s_delay_alu instid0(VALU_DEP_2) | instskip(SKIP_1) | instid1(VALU_DEP_2)
	v_cndmask_b32_e32 v3, 0x7f800001, v3, vcc_lo
	v_cmp_ne_u32_e32 vcc_lo, 0, v2
	v_cndmask_b32_e32 v2, 0x400000, v3, vcc_lo
	s_delay_alu instid0(VALU_DEP_1) | instskip(NEXT) | instid1(VALU_DEP_1)
	v_add_nc_u32_e32 v3, 0x7fff, v2
	v_lshrrev_b32_e32 v3, 16, v3
	v_cmp_o_f32_e32 vcc_lo, v2, v2
	s_delay_alu instid0(VALU_DEP_2)
	v_cndmask_b32_e32 v4, 0x7fc0, v3, vcc_lo
	s_branch .LBB174_3520
.LBB174_3519:
	s_mov_b32 s2, -1
                                        ; implicit-def: $vgpr4
.LBB174_3520:
	s_mov_b32 s8, 0
.LBB174_3521:
	s_delay_alu instid0(SALU_CYCLE_1)
	s_and_b32 vcc_lo, exec_lo, s8
	s_cbranch_vccz .LBB174_3525
; %bb.3522:
	s_cmp_eq_u32 s0, 29
	s_cbranch_scc0 .LBB174_3524
; %bb.3523:
	global_load_b64 v[2:3], v[0:1], off
	s_mov_b32 s2, 0
	s_mov_b32 s7, -1
	s_mov_b32 s8, 0
	s_wait_loadcnt 0x0
	v_clz_i32_u32_e32 v4, v3
	s_delay_alu instid0(VALU_DEP_1) | instskip(NEXT) | instid1(VALU_DEP_1)
	v_min_u32_e32 v4, 32, v4
	v_lshlrev_b64_e32 v[2:3], v4, v[2:3]
	s_delay_alu instid0(VALU_DEP_1) | instskip(NEXT) | instid1(VALU_DEP_1)
	v_min_u32_e32 v2, 1, v2
	v_dual_sub_nc_u32 v3, 32, v4 :: v_dual_bitop2_b32 v2, v3, v2 bitop3:0x54
	s_delay_alu instid0(VALU_DEP_1) | instskip(NEXT) | instid1(VALU_DEP_1)
	v_cvt_f32_u32_e32 v2, v2
	v_ldexp_f32 v2, v2, v3
	s_delay_alu instid0(VALU_DEP_1) | instskip(NEXT) | instid1(VALU_DEP_1)
	v_bfe_u32 v3, v2, 16, 1
	v_add3_u32 v2, v2, v3, 0x7fff
	s_delay_alu instid0(VALU_DEP_1)
	v_lshrrev_b32_e32 v4, 16, v2
	s_branch .LBB174_3526
.LBB174_3524:
	s_mov_b32 s2, -1
                                        ; implicit-def: $vgpr4
.LBB174_3525:
	s_mov_b32 s8, 0
.LBB174_3526:
	s_delay_alu instid0(SALU_CYCLE_1)
	s_and_b32 vcc_lo, exec_lo, s8
	s_cbranch_vccz .LBB174_3544
; %bb.3527:
	s_cmp_lt_i32 s0, 27
	s_cbranch_scc1 .LBB174_3530
; %bb.3528:
	s_cmp_gt_i32 s0, 27
	s_cbranch_scc0 .LBB174_3531
; %bb.3529:
	global_load_b32 v2, v[0:1], off
	s_mov_b32 s7, 0
	s_wait_loadcnt 0x0
	v_cvt_f32_u32_e32 v2, v2
	s_delay_alu instid0(VALU_DEP_1) | instskip(NEXT) | instid1(VALU_DEP_1)
	v_bfe_u32 v3, v2, 16, 1
	v_add3_u32 v2, v2, v3, 0x7fff
	s_delay_alu instid0(VALU_DEP_1)
	v_lshrrev_b32_e32 v4, 16, v2
	s_branch .LBB174_3532
.LBB174_3530:
	s_mov_b32 s7, -1
                                        ; implicit-def: $vgpr4
	s_branch .LBB174_3535
.LBB174_3531:
	s_mov_b32 s7, -1
                                        ; implicit-def: $vgpr4
.LBB174_3532:
	s_delay_alu instid0(SALU_CYCLE_1)
	s_and_not1_b32 vcc_lo, exec_lo, s7
	s_cbranch_vccnz .LBB174_3534
; %bb.3533:
	global_load_u16 v2, v[0:1], off
	s_wait_loadcnt 0x0
	v_cvt_f32_u32_e32 v2, v2
	s_delay_alu instid0(VALU_DEP_1) | instskip(NEXT) | instid1(VALU_DEP_1)
	v_bfe_u32 v3, v2, 16, 1
	v_add3_u32 v2, v2, v3, 0x7fff
	s_delay_alu instid0(VALU_DEP_1)
	v_lshrrev_b32_e32 v4, 16, v2
.LBB174_3534:
	s_mov_b32 s7, 0
.LBB174_3535:
	s_delay_alu instid0(SALU_CYCLE_1)
	s_and_not1_b32 vcc_lo, exec_lo, s7
	s_cbranch_vccnz .LBB174_3543
; %bb.3536:
	global_load_u8 v2, v[0:1], off
	s_mov_b32 s7, 0
	s_mov_b32 s8, exec_lo
	s_wait_loadcnt 0x0
	v_cmpx_lt_i16_e32 0x7f, v2
	s_xor_b32 s8, exec_lo, s8
	s_cbranch_execz .LBB174_3557
; %bb.3537:
	s_mov_b32 s7, -1
	s_mov_b32 s9, exec_lo
	v_cmpx_eq_u16_e32 0x80, v2
; %bb.3538:
	s_xor_b32 s7, exec_lo, -1
; %bb.3539:
	s_or_b32 exec_lo, exec_lo, s9
	s_delay_alu instid0(SALU_CYCLE_1)
	s_and_b32 s7, s7, exec_lo
	s_or_saveexec_b32 s8, s8
	v_mov_b32_e32 v3, 0x7f800001
	s_xor_b32 exec_lo, exec_lo, s8
	s_cbranch_execnz .LBB174_3558
.LBB174_3540:
	s_or_b32 exec_lo, exec_lo, s8
	s_and_saveexec_b32 s8, s7
	s_cbranch_execz .LBB174_3542
.LBB174_3541:
	v_and_b32_e32 v3, 0xffff, v2
	s_delay_alu instid0(VALU_DEP_1) | instskip(SKIP_1) | instid1(VALU_DEP_2)
	v_and_b32_e32 v4, 7, v3
	v_bfe_u32 v19, v3, 3, 4
	v_clz_i32_u32_e32 v17, v4
	s_delay_alu instid0(VALU_DEP_2) | instskip(NEXT) | instid1(VALU_DEP_2)
	v_cmp_eq_u32_e32 vcc_lo, 0, v19
	v_min_u32_e32 v17, 32, v17
	s_delay_alu instid0(VALU_DEP_1) | instskip(NEXT) | instid1(VALU_DEP_1)
	v_subrev_nc_u32_e32 v18, 28, v17
	v_dual_lshlrev_b32 v3, v18, v3 :: v_dual_sub_nc_u32 v17, 29, v17
	s_delay_alu instid0(VALU_DEP_1) | instskip(NEXT) | instid1(VALU_DEP_1)
	v_dual_lshlrev_b32 v2, 24, v2 :: v_dual_bitop2_b32 v3, 7, v3 bitop3:0x40
	v_dual_cndmask_b32 v17, v19, v17, vcc_lo :: v_dual_cndmask_b32 v3, v4, v3, vcc_lo
	s_delay_alu instid0(VALU_DEP_2) | instskip(NEXT) | instid1(VALU_DEP_2)
	v_and_b32_e32 v2, 0x80000000, v2
	v_lshl_add_u32 v4, v17, 23, 0x3b800000
	s_delay_alu instid0(VALU_DEP_3) | instskip(NEXT) | instid1(VALU_DEP_1)
	v_lshlrev_b32_e32 v3, 20, v3
	v_or3_b32 v3, v2, v4, v3
.LBB174_3542:
	s_or_b32 exec_lo, exec_lo, s8
	s_delay_alu instid0(VALU_DEP_1) | instskip(SKIP_1) | instid1(VALU_DEP_2)
	v_bfe_u32 v2, v3, 16, 1
	v_cmp_o_f32_e32 vcc_lo, v3, v3
	v_add3_u32 v2, v3, v2, 0x7fff
	s_delay_alu instid0(VALU_DEP_1) | instskip(NEXT) | instid1(VALU_DEP_1)
	v_lshrrev_b32_e32 v2, 16, v2
	v_cndmask_b32_e32 v4, 0x7fc0, v2, vcc_lo
.LBB174_3543:
	s_mov_b32 s7, -1
.LBB174_3544:
	s_mov_b32 s8, 0
.LBB174_3545:
	s_delay_alu instid0(SALU_CYCLE_1)
	s_and_b32 vcc_lo, exec_lo, s8
	s_cbranch_vccz .LBB174_3578
; %bb.3546:
	s_cmp_gt_i32 s0, 22
	s_cbranch_scc0 .LBB174_3556
; %bb.3547:
	s_cmp_lt_i32 s0, 24
	s_cbranch_scc1 .LBB174_3559
; %bb.3548:
	s_cmp_gt_i32 s0, 24
	s_cbranch_scc0 .LBB174_3560
; %bb.3549:
	global_load_u8 v2, v[0:1], off
	s_mov_b32 s7, exec_lo
	s_wait_loadcnt 0x0
	v_cmpx_lt_i16_e32 0x7f, v2
	s_xor_b32 s7, exec_lo, s7
	s_cbranch_execz .LBB174_3572
; %bb.3550:
	s_mov_b32 s6, -1
	s_mov_b32 s8, exec_lo
	v_cmpx_eq_u16_e32 0x80, v2
; %bb.3551:
	s_xor_b32 s6, exec_lo, -1
; %bb.3552:
	s_or_b32 exec_lo, exec_lo, s8
	s_delay_alu instid0(SALU_CYCLE_1)
	s_and_b32 s6, s6, exec_lo
	s_or_saveexec_b32 s7, s7
	v_mov_b32_e32 v3, 0x7f800001
	s_xor_b32 exec_lo, exec_lo, s7
	s_cbranch_execnz .LBB174_3573
.LBB174_3553:
	s_or_b32 exec_lo, exec_lo, s7
	s_and_saveexec_b32 s7, s6
	s_cbranch_execz .LBB174_3555
.LBB174_3554:
	v_and_b32_e32 v3, 0xffff, v2
	s_delay_alu instid0(VALU_DEP_1) | instskip(SKIP_1) | instid1(VALU_DEP_2)
	v_and_b32_e32 v4, 3, v3
	v_bfe_u32 v19, v3, 2, 5
	v_clz_i32_u32_e32 v17, v4
	s_delay_alu instid0(VALU_DEP_2) | instskip(NEXT) | instid1(VALU_DEP_2)
	v_cmp_eq_u32_e32 vcc_lo, 0, v19
	v_min_u32_e32 v17, 32, v17
	s_delay_alu instid0(VALU_DEP_1) | instskip(NEXT) | instid1(VALU_DEP_1)
	v_subrev_nc_u32_e32 v18, 29, v17
	v_dual_lshlrev_b32 v3, v18, v3 :: v_dual_sub_nc_u32 v17, 30, v17
	s_delay_alu instid0(VALU_DEP_1) | instskip(NEXT) | instid1(VALU_DEP_1)
	v_dual_lshlrev_b32 v2, 24, v2 :: v_dual_bitop2_b32 v3, 3, v3 bitop3:0x40
	v_dual_cndmask_b32 v17, v19, v17, vcc_lo :: v_dual_cndmask_b32 v3, v4, v3, vcc_lo
	s_delay_alu instid0(VALU_DEP_2) | instskip(NEXT) | instid1(VALU_DEP_2)
	v_and_b32_e32 v2, 0x80000000, v2
	v_lshl_add_u32 v4, v17, 23, 0x37800000
	s_delay_alu instid0(VALU_DEP_3) | instskip(NEXT) | instid1(VALU_DEP_1)
	v_lshlrev_b32_e32 v3, 21, v3
	v_or3_b32 v3, v2, v4, v3
.LBB174_3555:
	s_or_b32 exec_lo, exec_lo, s7
	s_delay_alu instid0(VALU_DEP_1) | instskip(SKIP_2) | instid1(VALU_DEP_2)
	v_bfe_u32 v2, v3, 16, 1
	v_cmp_o_f32_e32 vcc_lo, v3, v3
	s_mov_b32 s6, 0
	v_add3_u32 v2, v3, v2, 0x7fff
	s_delay_alu instid0(VALU_DEP_1) | instskip(NEXT) | instid1(VALU_DEP_1)
	v_lshrrev_b32_e32 v2, 16, v2
	v_cndmask_b32_e32 v4, 0x7fc0, v2, vcc_lo
	s_branch .LBB174_3561
.LBB174_3556:
	s_mov_b32 s6, -1
                                        ; implicit-def: $vgpr4
	s_branch .LBB174_3567
.LBB174_3557:
	s_or_saveexec_b32 s8, s8
	v_mov_b32_e32 v3, 0x7f800001
	s_xor_b32 exec_lo, exec_lo, s8
	s_cbranch_execz .LBB174_3540
.LBB174_3558:
	v_cmp_ne_u16_e32 vcc_lo, 0, v2
	v_mov_b32_e32 v3, 0
	s_and_not1_b32 s7, s7, exec_lo
	s_and_b32 s9, vcc_lo, exec_lo
	s_delay_alu instid0(SALU_CYCLE_1)
	s_or_b32 s7, s7, s9
	s_or_b32 exec_lo, exec_lo, s8
	s_and_saveexec_b32 s8, s7
	s_cbranch_execnz .LBB174_3541
	s_branch .LBB174_3542
.LBB174_3559:
	s_mov_b32 s6, -1
                                        ; implicit-def: $vgpr4
	s_branch .LBB174_3564
.LBB174_3560:
	s_mov_b32 s6, -1
                                        ; implicit-def: $vgpr4
.LBB174_3561:
	s_delay_alu instid0(SALU_CYCLE_1)
	s_and_b32 vcc_lo, exec_lo, s6
	s_cbranch_vccz .LBB174_3563
; %bb.3562:
	global_load_u8 v2, v[0:1], off
	s_wait_loadcnt 0x0
	v_lshlrev_b32_e32 v2, 24, v2
	s_delay_alu instid0(VALU_DEP_1) | instskip(NEXT) | instid1(VALU_DEP_1)
	v_and_b32_e32 v3, 0x7f000000, v2
	v_clz_i32_u32_e32 v4, v3
	v_cmp_ne_u32_e32 vcc_lo, 0, v3
	v_add_nc_u32_e32 v18, 0x1000000, v3
	s_delay_alu instid0(VALU_DEP_3) | instskip(NEXT) | instid1(VALU_DEP_1)
	v_min_u32_e32 v4, 32, v4
	v_sub_nc_u32_e64 v4, v4, 4 clamp
	s_delay_alu instid0(VALU_DEP_1) | instskip(NEXT) | instid1(VALU_DEP_1)
	v_dual_lshlrev_b32 v17, v4, v3 :: v_dual_lshlrev_b32 v4, 23, v4
	v_lshrrev_b32_e32 v17, 4, v17
	s_delay_alu instid0(VALU_DEP_1) | instskip(NEXT) | instid1(VALU_DEP_1)
	v_dual_sub_nc_u32 v4, v17, v4 :: v_dual_ashrrev_i32 v17, 8, v18
	v_add_nc_u32_e32 v4, 0x3c000000, v4
	s_delay_alu instid0(VALU_DEP_1) | instskip(NEXT) | instid1(VALU_DEP_1)
	v_and_or_b32 v4, 0x7f800000, v17, v4
	v_cndmask_b32_e32 v3, 0, v4, vcc_lo
	s_delay_alu instid0(VALU_DEP_1) | instskip(SKIP_1) | instid1(VALU_DEP_2)
	v_and_or_b32 v2, 0x80000000, v2, v3
	v_bfe_u32 v3, v3, 16, 1
	v_cmp_o_f32_e32 vcc_lo, v2, v2
	s_delay_alu instid0(VALU_DEP_2) | instskip(NEXT) | instid1(VALU_DEP_1)
	v_add3_u32 v3, v2, v3, 0x7fff
	v_lshrrev_b32_e32 v3, 16, v3
	s_delay_alu instid0(VALU_DEP_1)
	v_cndmask_b32_e32 v4, 0x7fc0, v3, vcc_lo
.LBB174_3563:
	s_mov_b32 s6, 0
.LBB174_3564:
	s_delay_alu instid0(SALU_CYCLE_1)
	s_and_not1_b32 vcc_lo, exec_lo, s6
	s_cbranch_vccnz .LBB174_3566
; %bb.3565:
	global_load_u8 v2, v[0:1], off
	s_wait_loadcnt 0x0
	v_lshlrev_b32_e32 v3, 25, v2
	v_lshlrev_b16 v2, 8, v2
	s_delay_alu instid0(VALU_DEP_1) | instskip(SKIP_1) | instid1(VALU_DEP_2)
	v_and_or_b32 v17, 0x7f00, v2, 0.5
	v_bfe_i32 v2, v2, 0, 16
	v_dual_add_f32 v17, -0.5, v17 :: v_dual_lshrrev_b32 v4, 4, v3
	v_cmp_gt_u32_e32 vcc_lo, 0x8000000, v3
	s_delay_alu instid0(VALU_DEP_2) | instskip(NEXT) | instid1(VALU_DEP_1)
	v_or_b32_e32 v4, 0x70000000, v4
	v_mul_f32_e32 v4, 0x7800000, v4
	s_delay_alu instid0(VALU_DEP_1) | instskip(NEXT) | instid1(VALU_DEP_1)
	v_cndmask_b32_e32 v3, v4, v17, vcc_lo
	v_and_or_b32 v2, 0x80000000, v2, v3
	v_bfe_u32 v3, v3, 16, 1
	s_delay_alu instid0(VALU_DEP_2) | instskip(NEXT) | instid1(VALU_DEP_2)
	v_cmp_o_f32_e32 vcc_lo, v2, v2
	v_add3_u32 v3, v2, v3, 0x7fff
	s_delay_alu instid0(VALU_DEP_1) | instskip(NEXT) | instid1(VALU_DEP_1)
	v_lshrrev_b32_e32 v3, 16, v3
	v_cndmask_b32_e32 v4, 0x7fc0, v3, vcc_lo
.LBB174_3566:
	s_mov_b32 s6, 0
	s_mov_b32 s7, -1
.LBB174_3567:
	s_and_not1_b32 vcc_lo, exec_lo, s6
	s_mov_b32 s6, 0
	s_cbranch_vccnz .LBB174_3578
; %bb.3568:
	s_cmp_gt_i32 s0, 14
	s_cbranch_scc0 .LBB174_3571
; %bb.3569:
	s_cmp_eq_u32 s0, 15
	s_cbranch_scc0 .LBB174_3574
; %bb.3570:
	s_wait_loadcnt 0x0
	global_load_u16 v4, v[0:1], off
	s_mov_b32 s2, 0
	s_mov_b32 s7, -1
	s_branch .LBB174_3576
.LBB174_3571:
	s_mov_b32 s6, -1
	s_branch .LBB174_3575
.LBB174_3572:
	s_or_saveexec_b32 s7, s7
	v_mov_b32_e32 v3, 0x7f800001
	s_xor_b32 exec_lo, exec_lo, s7
	s_cbranch_execz .LBB174_3553
.LBB174_3573:
	v_cmp_ne_u16_e32 vcc_lo, 0, v2
	v_mov_b32_e32 v3, 0
	s_and_not1_b32 s6, s6, exec_lo
	s_and_b32 s8, vcc_lo, exec_lo
	s_delay_alu instid0(SALU_CYCLE_1)
	s_or_b32 s6, s6, s8
	s_or_b32 exec_lo, exec_lo, s7
	s_and_saveexec_b32 s7, s6
	s_cbranch_execnz .LBB174_3554
	s_branch .LBB174_3555
.LBB174_3574:
	s_mov_b32 s2, -1
.LBB174_3575:
                                        ; implicit-def: $vgpr4
.LBB174_3576:
	s_and_b32 vcc_lo, exec_lo, s6
	s_mov_b32 s6, 0
	s_cbranch_vccz .LBB174_3578
; %bb.3577:
	s_cmp_lg_u32 s0, 11
	s_mov_b32 s6, -1
	s_cselect_b32 s2, -1, 0
.LBB174_3578:
	s_delay_alu instid0(SALU_CYCLE_1)
	s_and_b32 vcc_lo, exec_lo, s2
	s_cbranch_vccnz .LBB174_4111
; %bb.3579:
	s_and_not1_b32 vcc_lo, exec_lo, s6
	s_cbranch_vccnz .LBB174_3581
.LBB174_3580:
	global_load_u8 v2, v[0:1], off
	s_mov_b32 s7, -1
	s_wait_loadcnt 0x0
	v_cmp_ne_u16_e32 vcc_lo, 0, v2
	v_cndmask_b32_e64 v2, 0, 1.0, vcc_lo
	s_delay_alu instid0(VALU_DEP_1)
	v_lshrrev_b32_e32 v4, 16, v2
.LBB174_3581:
	s_mov_b32 s2, 0
.LBB174_3582:
	s_delay_alu instid0(SALU_CYCLE_1)
	s_and_b32 vcc_lo, exec_lo, s2
	s_cbranch_vccz .LBB174_3631
; %bb.3583:
	s_cmp_lt_i32 s0, 5
	s_cbranch_scc1 .LBB174_3588
; %bb.3584:
	s_cmp_lt_i32 s0, 8
	s_cbranch_scc1 .LBB174_3589
	;; [unrolled: 3-line block ×3, first 2 shown]
; %bb.3586:
	s_cmp_gt_i32 s0, 9
	s_cbranch_scc0 .LBB174_3591
; %bb.3587:
	global_load_b64 v[2:3], v[0:1], off
	s_mov_b32 s2, 0
	s_wait_loadcnt 0x0
	v_cvt_f32_f64_e32 v2, v[2:3]
	s_delay_alu instid0(VALU_DEP_1) | instskip(SKIP_1) | instid1(VALU_DEP_2)
	v_bfe_u32 v3, v2, 16, 1
	v_cmp_o_f32_e32 vcc_lo, v2, v2
	v_add3_u32 v3, v2, v3, 0x7fff
	s_delay_alu instid0(VALU_DEP_1) | instskip(NEXT) | instid1(VALU_DEP_1)
	v_lshrrev_b32_e32 v3, 16, v3
	v_cndmask_b32_e32 v4, 0x7fc0, v3, vcc_lo
	s_branch .LBB174_3592
.LBB174_3588:
	s_mov_b32 s2, -1
                                        ; implicit-def: $vgpr4
	s_branch .LBB174_3610
.LBB174_3589:
	s_mov_b32 s2, -1
                                        ; implicit-def: $vgpr4
	s_branch .LBB174_3598
.LBB174_3590:
	s_mov_b32 s2, -1
                                        ; implicit-def: $vgpr4
	s_branch .LBB174_3595
.LBB174_3591:
	s_mov_b32 s2, -1
                                        ; implicit-def: $vgpr4
.LBB174_3592:
	s_delay_alu instid0(SALU_CYCLE_1)
	s_and_not1_b32 vcc_lo, exec_lo, s2
	s_cbranch_vccnz .LBB174_3594
; %bb.3593:
	global_load_b32 v2, v[0:1], off
	s_wait_loadcnt 0x0
	v_bfe_u32 v3, v2, 16, 1
	v_cmp_o_f32_e32 vcc_lo, v2, v2
	s_delay_alu instid0(VALU_DEP_2) | instskip(NEXT) | instid1(VALU_DEP_1)
	v_add3_u32 v3, v2, v3, 0x7fff
	v_lshrrev_b32_e32 v3, 16, v3
	s_delay_alu instid0(VALU_DEP_1)
	v_cndmask_b32_e32 v4, 0x7fc0, v3, vcc_lo
.LBB174_3594:
	s_mov_b32 s2, 0
.LBB174_3595:
	s_delay_alu instid0(SALU_CYCLE_1)
	s_and_not1_b32 vcc_lo, exec_lo, s2
	s_cbranch_vccnz .LBB174_3597
; %bb.3596:
	global_load_b32 v2, v[0:1], off
	s_wait_loadcnt 0x0
	v_cvt_f32_f16_e32 v3, v2
	v_cmp_o_f16_e32 vcc_lo, v2, v2
	s_delay_alu instid0(VALU_DEP_2) | instskip(NEXT) | instid1(VALU_DEP_1)
	v_bfe_u32 v4, v3, 16, 1
	v_add3_u32 v3, v3, v4, 0x7fff
	s_delay_alu instid0(VALU_DEP_1) | instskip(NEXT) | instid1(VALU_DEP_1)
	v_lshrrev_b32_e32 v3, 16, v3
	v_cndmask_b32_e32 v4, 0x7fc0, v3, vcc_lo
.LBB174_3597:
	s_mov_b32 s2, 0
.LBB174_3598:
	s_delay_alu instid0(SALU_CYCLE_1)
	s_and_not1_b32 vcc_lo, exec_lo, s2
	s_cbranch_vccnz .LBB174_3609
; %bb.3599:
	s_cmp_lt_i32 s0, 6
	s_cbranch_scc1 .LBB174_3602
; %bb.3600:
	s_cmp_gt_i32 s0, 6
	s_cbranch_scc0 .LBB174_3603
; %bb.3601:
	global_load_b64 v[2:3], v[0:1], off
	s_mov_b32 s2, 0
	s_wait_loadcnt 0x0
	v_cvt_f32_f64_e32 v2, v[2:3]
	s_delay_alu instid0(VALU_DEP_1) | instskip(SKIP_1) | instid1(VALU_DEP_2)
	v_bfe_u32 v3, v2, 16, 1
	v_cmp_o_f32_e32 vcc_lo, v2, v2
	v_add3_u32 v3, v2, v3, 0x7fff
	s_delay_alu instid0(VALU_DEP_1) | instskip(NEXT) | instid1(VALU_DEP_1)
	v_lshrrev_b32_e32 v3, 16, v3
	v_cndmask_b32_e32 v4, 0x7fc0, v3, vcc_lo
	s_branch .LBB174_3604
.LBB174_3602:
	s_mov_b32 s2, -1
                                        ; implicit-def: $vgpr4
	s_branch .LBB174_3607
.LBB174_3603:
	s_mov_b32 s2, -1
                                        ; implicit-def: $vgpr4
.LBB174_3604:
	s_delay_alu instid0(SALU_CYCLE_1)
	s_and_not1_b32 vcc_lo, exec_lo, s2
	s_cbranch_vccnz .LBB174_3606
; %bb.3605:
	global_load_b32 v2, v[0:1], off
	s_wait_loadcnt 0x0
	v_bfe_u32 v3, v2, 16, 1
	v_cmp_o_f32_e32 vcc_lo, v2, v2
	s_delay_alu instid0(VALU_DEP_2) | instskip(NEXT) | instid1(VALU_DEP_1)
	v_add3_u32 v3, v2, v3, 0x7fff
	v_lshrrev_b32_e32 v3, 16, v3
	s_delay_alu instid0(VALU_DEP_1)
	v_cndmask_b32_e32 v4, 0x7fc0, v3, vcc_lo
.LBB174_3606:
	s_mov_b32 s2, 0
.LBB174_3607:
	s_delay_alu instid0(SALU_CYCLE_1)
	s_and_not1_b32 vcc_lo, exec_lo, s2
	s_cbranch_vccnz .LBB174_3609
; %bb.3608:
	global_load_u16 v2, v[0:1], off
	s_wait_loadcnt 0x0
	v_cvt_f32_f16_e32 v3, v2
	v_cmp_o_f16_e32 vcc_lo, v2, v2
	s_delay_alu instid0(VALU_DEP_2) | instskip(NEXT) | instid1(VALU_DEP_1)
	v_bfe_u32 v4, v3, 16, 1
	v_add3_u32 v3, v3, v4, 0x7fff
	s_delay_alu instid0(VALU_DEP_1) | instskip(NEXT) | instid1(VALU_DEP_1)
	v_lshrrev_b32_e32 v3, 16, v3
	v_cndmask_b32_e32 v4, 0x7fc0, v3, vcc_lo
.LBB174_3609:
	s_mov_b32 s2, 0
.LBB174_3610:
	s_delay_alu instid0(SALU_CYCLE_1)
	s_and_not1_b32 vcc_lo, exec_lo, s2
	s_cbranch_vccnz .LBB174_3630
; %bb.3611:
	s_cmp_lt_i32 s0, 2
	s_cbranch_scc1 .LBB174_3615
; %bb.3612:
	s_cmp_lt_i32 s0, 3
	s_cbranch_scc1 .LBB174_3616
; %bb.3613:
	s_cmp_gt_i32 s0, 3
	s_cbranch_scc0 .LBB174_3617
; %bb.3614:
	global_load_b64 v[2:3], v[0:1], off
	s_mov_b32 s2, 0
	s_wait_loadcnt 0x0
	v_xor_b32_e32 v4, v2, v3
	v_cls_i32_e32 v17, v3
	s_delay_alu instid0(VALU_DEP_2) | instskip(NEXT) | instid1(VALU_DEP_1)
	v_ashrrev_i32_e32 v4, 31, v4
	v_add_nc_u32_e32 v4, 32, v4
	s_delay_alu instid0(VALU_DEP_1) | instskip(NEXT) | instid1(VALU_DEP_1)
	v_add_min_u32_e64 v4, v17, -1, v4
	v_lshlrev_b64_e32 v[2:3], v4, v[2:3]
	s_delay_alu instid0(VALU_DEP_1) | instskip(NEXT) | instid1(VALU_DEP_1)
	v_min_u32_e32 v2, 1, v2
	v_dual_sub_nc_u32 v3, 32, v4 :: v_dual_bitop2_b32 v2, v3, v2 bitop3:0x54
	s_delay_alu instid0(VALU_DEP_1) | instskip(NEXT) | instid1(VALU_DEP_1)
	v_cvt_f32_i32_e32 v2, v2
	v_ldexp_f32 v2, v2, v3
	s_delay_alu instid0(VALU_DEP_1) | instskip(NEXT) | instid1(VALU_DEP_1)
	v_bfe_u32 v3, v2, 16, 1
	v_add3_u32 v2, v2, v3, 0x7fff
	s_delay_alu instid0(VALU_DEP_1)
	v_lshrrev_b32_e32 v4, 16, v2
	s_branch .LBB174_3618
.LBB174_3615:
	s_mov_b32 s2, -1
                                        ; implicit-def: $vgpr4
	s_branch .LBB174_3624
.LBB174_3616:
	s_mov_b32 s2, -1
                                        ; implicit-def: $vgpr4
	s_branch .LBB174_3621
.LBB174_3617:
	s_mov_b32 s2, -1
                                        ; implicit-def: $vgpr4
.LBB174_3618:
	s_delay_alu instid0(SALU_CYCLE_1)
	s_and_not1_b32 vcc_lo, exec_lo, s2
	s_cbranch_vccnz .LBB174_3620
; %bb.3619:
	global_load_b32 v2, v[0:1], off
	s_wait_loadcnt 0x0
	v_cvt_f32_i32_e32 v2, v2
	s_delay_alu instid0(VALU_DEP_1) | instskip(NEXT) | instid1(VALU_DEP_1)
	v_bfe_u32 v3, v2, 16, 1
	v_add3_u32 v2, v2, v3, 0x7fff
	s_delay_alu instid0(VALU_DEP_1)
	v_lshrrev_b32_e32 v4, 16, v2
.LBB174_3620:
	s_mov_b32 s2, 0
.LBB174_3621:
	s_delay_alu instid0(SALU_CYCLE_1)
	s_and_not1_b32 vcc_lo, exec_lo, s2
	s_cbranch_vccnz .LBB174_3623
; %bb.3622:
	global_load_i16 v2, v[0:1], off
	s_wait_loadcnt 0x0
	v_cvt_f32_i32_e32 v2, v2
	s_delay_alu instid0(VALU_DEP_1) | instskip(NEXT) | instid1(VALU_DEP_1)
	v_bfe_u32 v3, v2, 16, 1
	v_add3_u32 v2, v2, v3, 0x7fff
	s_delay_alu instid0(VALU_DEP_1)
	v_lshrrev_b32_e32 v4, 16, v2
.LBB174_3623:
	s_mov_b32 s2, 0
.LBB174_3624:
	s_delay_alu instid0(SALU_CYCLE_1)
	s_and_not1_b32 vcc_lo, exec_lo, s2
	s_cbranch_vccnz .LBB174_3630
; %bb.3625:
	s_cmp_gt_i32 s0, 0
	s_mov_b32 s0, 0
	s_cbranch_scc0 .LBB174_3627
; %bb.3626:
	global_load_i8 v2, v[0:1], off
	s_wait_loadcnt 0x0
	v_cvt_f32_i32_e32 v2, v2
	s_delay_alu instid0(VALU_DEP_1) | instskip(NEXT) | instid1(VALU_DEP_1)
	v_bfe_u32 v3, v2, 16, 1
	v_add3_u32 v2, v2, v3, 0x7fff
	s_delay_alu instid0(VALU_DEP_1)
	v_lshrrev_b32_e32 v4, 16, v2
	s_branch .LBB174_3628
.LBB174_3627:
	s_mov_b32 s0, -1
                                        ; implicit-def: $vgpr4
.LBB174_3628:
	s_delay_alu instid0(SALU_CYCLE_1)
	s_and_not1_b32 vcc_lo, exec_lo, s0
	s_cbranch_vccnz .LBB174_3630
; %bb.3629:
	global_load_u8 v0, v[0:1], off
	s_wait_loadcnt 0x0
	v_cvt_f32_ubyte0_e32 v0, v0
	s_delay_alu instid0(VALU_DEP_1) | instskip(NEXT) | instid1(VALU_DEP_1)
	v_bfe_u32 v1, v0, 16, 1
	v_add3_u32 v0, v0, v1, 0x7fff
	s_delay_alu instid0(VALU_DEP_1)
	v_lshrrev_b32_e32 v4, 16, v0
.LBB174_3630:
	s_mov_b32 s7, -1
.LBB174_3631:
	s_delay_alu instid0(SALU_CYCLE_1)
	s_and_not1_b32 vcc_lo, exec_lo, s7
	s_cbranch_vccnz .LBB174_4065
; %bb.3632:
	s_wait_loadcnt 0x0
	v_dual_lshlrev_b32 v0, 16, v10 :: v_dual_lshlrev_b32 v1, 16, v11
	s_lshl_b32 s0, s16, 16
	s_lshl_b32 s1, s1, 16
	s_and_b32 s22, s3, 0xff
	s_delay_alu instid0(VALU_DEP_1) | instskip(SKIP_1) | instid1(VALU_DEP_1)
	v_dual_mul_f32 v3, s0, v0 :: v_dual_mov_b32 v2, s1
	s_cmp_lt_i32 s22, 11
	v_bfe_u32 v0, v3, 16, 1
	s_delay_alu instid0(VALU_DEP_1) | instskip(NEXT) | instid1(VALU_DEP_1)
	v_add3_u32 v0, v3, v0, 0x7fff
	v_and_b32_e32 v10, 0xffff0000, v0
	v_lshlrev_b32_e32 v0, 16, v9
	v_cmp_o_f32_e32 vcc_lo, v3, v3
	s_delay_alu instid0(VALU_DEP_3) | instskip(NEXT) | instid1(VALU_DEP_1)
	v_cndmask_b32_e32 v3, 0x7fc00000, v10, vcc_lo
	v_pk_mul_f32 v[0:1], v[2:3], v[0:1]
	s_delay_alu instid0(VALU_DEP_1) | instskip(SKIP_1) | instid1(VALU_DEP_2)
	v_dual_lshrrev_b32 v2, 16, v1 :: v_dual_lshrrev_b32 v3, 16, v0
	v_cmp_o_f32_e32 vcc_lo, v1, v1
	v_and_b32_e32 v2, 1, v2
	s_delay_alu instid0(VALU_DEP_3) | instskip(NEXT) | instid1(VALU_DEP_2)
	v_and_b32_e32 v3, 1, v3
	v_add3_u32 v2, v1, v2, 0x7fff
	s_delay_alu instid0(VALU_DEP_2) | instskip(NEXT) | instid1(VALU_DEP_2)
	v_add3_u32 v3, v0, v3, 0x7fff
	v_and_b32_e32 v2, 0xffff0000, v2
	s_delay_alu instid0(VALU_DEP_2) | instskip(NEXT) | instid1(VALU_DEP_2)
	v_and_b32_e32 v3, 0xffff0000, v3
	v_cndmask_b32_e32 v1, 0x7fc00000, v2, vcc_lo
	v_cmp_o_f32_e32 vcc_lo, v0, v0
	s_delay_alu instid0(VALU_DEP_3) | instskip(NEXT) | instid1(VALU_DEP_1)
	v_cndmask_b32_e32 v0, 0x7fc00000, v3, vcc_lo
	v_add_f32_e32 v9, v0, v1
	v_mul_lo_u32 v0, s12, v8
	v_mov_b32_e32 v8, s0
	s_delay_alu instid0(VALU_DEP_3) | instskip(SKIP_1) | instid1(VALU_DEP_2)
	v_bfe_u32 v1, v9, 16, 1
	v_cmp_o_f32_e32 vcc_lo, v9, v9
	v_add3_u32 v2, v9, v1, 0x7fff
	s_delay_alu instid0(VALU_DEP_1) | instskip(NEXT) | instid1(VALU_DEP_1)
	v_dual_ashrrev_i32 v1, 31, v0 :: v_dual_lshrrev_b32 v10, 16, v2
	v_add_nc_u64_e32 v[2:3], s[4:5], v[0:1]
	s_delay_alu instid0(VALU_DEP_2)
	v_cndmask_b32_e32 v1, 0x7fc0, v10, vcc_lo
	s_cbranch_scc1 .LBB174_3710
; %bb.3633:
	s_and_b32 s2, 0xffff, s22
	s_mov_b32 s7, -1
	s_mov_b32 s3, 0
	s_cmp_gt_i32 s2, 25
	s_mov_b32 s6, 0
	s_mov_b32 s0, 0
	s_cbranch_scc0 .LBB174_3666
; %bb.3634:
	s_cmp_gt_i32 s2, 28
	s_cbranch_scc0 .LBB174_3649
; %bb.3635:
	s_cmp_gt_i32 s2, 43
	;; [unrolled: 3-line block ×3, first 2 shown]
	s_cbranch_scc0 .LBB174_3639
; %bb.3637:
	s_mov_b32 s0, -1
	s_mov_b32 s7, 0
	s_cmp_eq_u32 s2, 46
	s_cbranch_scc0 .LBB174_3639
; %bb.3638:
	v_and_b32_e32 v9, 0xffff, v1
	s_mov_b32 s0, 0
	s_mov_b32 s6, -1
	global_store_b32 v[2:3], v9, off
.LBB174_3639:
	s_and_b32 vcc_lo, exec_lo, s7
	s_cbranch_vccz .LBB174_3644
; %bb.3640:
	s_cmp_eq_u32 s2, 44
	s_mov_b32 s0, -1
	s_cbranch_scc0 .LBB174_3644
; %bb.3641:
	s_wait_xcnt 0x0
	v_and_b32_e32 v9, 0xffff, v1
	v_mov_b32_e32 v10, 0xff
	s_mov_b32 s6, exec_lo
	s_delay_alu instid0(VALU_DEP_2) | instskip(NEXT) | instid1(VALU_DEP_1)
	v_bfe_u32 v11, v9, 7, 8
	v_cmpx_ne_u32_e32 0xff, v11
	s_cbranch_execz .LBB174_3643
; %bb.3642:
	v_dual_lshlrev_b32 v10, 16, v9 :: v_dual_bitop2_b32 v17, 64, v9 bitop3:0x40
	v_lshrrev_b32_e32 v9, 7, v9
	s_delay_alu instid0(VALU_DEP_2) | instskip(NEXT) | instid1(VALU_DEP_3)
	v_and_or_b32 v10, 0x3f0000, v10, v11
	v_cmp_ne_u32_e32 vcc_lo, 0, v17
	s_delay_alu instid0(VALU_DEP_2) | instskip(SKIP_1) | instid1(SALU_CYCLE_1)
	v_cmp_ne_u32_e64 s0, 0, v10
	s_and_b32 s0, vcc_lo, s0
	v_cndmask_b32_e64 v10, 0, 1, s0
	s_delay_alu instid0(VALU_DEP_1)
	v_add_nc_u32_e32 v10, v9, v10
.LBB174_3643:
	s_or_b32 exec_lo, exec_lo, s6
	s_mov_b32 s0, 0
	s_mov_b32 s6, -1
	global_store_b8 v[2:3], v10, off
.LBB174_3644:
	s_mov_b32 s7, 0
.LBB174_3645:
	s_delay_alu instid0(SALU_CYCLE_1)
	s_and_b32 vcc_lo, exec_lo, s7
	s_cbranch_vccz .LBB174_3648
; %bb.3646:
	s_cmp_eq_u32 s2, 29
	s_mov_b32 s0, -1
	s_cbranch_scc0 .LBB174_3648
; %bb.3647:
	s_wait_xcnt 0x0
	v_lshlrev_b32_e32 v9, 16, v1
	s_mov_b32 s0, 0
	s_mov_b32 s6, -1
	s_delay_alu instid0(VALU_DEP_1) | instskip(NEXT) | instid1(VALU_DEP_1)
	v_trunc_f32_e32 v9, v9
	v_mul_f32_e32 v10, 0x2f800000, v9
	s_delay_alu instid0(VALU_DEP_1) | instskip(NEXT) | instid1(VALU_DEP_1)
	v_floor_f32_e32 v10, v10
	v_fmamk_f32 v9, v10, 0xcf800000, v9
	v_cvt_u32_f32_e32 v11, v10
	s_delay_alu instid0(VALU_DEP_2)
	v_cvt_u32_f32_e32 v10, v9
	global_store_b64 v[2:3], v[10:11], off
.LBB174_3648:
	s_mov_b32 s7, 0
.LBB174_3649:
	s_delay_alu instid0(SALU_CYCLE_1)
	s_and_b32 vcc_lo, exec_lo, s7
	s_cbranch_vccz .LBB174_3665
; %bb.3650:
	s_cmp_lt_i32 s2, 27
	s_mov_b32 s6, -1
	s_cbranch_scc1 .LBB174_3656
; %bb.3651:
	s_cmp_gt_i32 s2, 27
	s_cbranch_scc0 .LBB174_3653
; %bb.3652:
	s_wait_xcnt 0x0
	v_lshlrev_b32_e32 v9, 16, v1
	s_mov_b32 s6, 0
	s_delay_alu instid0(VALU_DEP_1)
	v_cvt_u32_f32_e32 v9, v9
	global_store_b32 v[2:3], v9, off
.LBB174_3653:
	s_and_not1_b32 vcc_lo, exec_lo, s6
	s_cbranch_vccnz .LBB174_3655
; %bb.3654:
	s_wait_xcnt 0x0
	v_lshlrev_b32_e32 v9, 16, v1
	s_delay_alu instid0(VALU_DEP_1)
	v_cvt_u32_f32_e32 v9, v9
	global_store_b16 v[2:3], v9, off
.LBB174_3655:
	s_mov_b32 s6, 0
.LBB174_3656:
	s_delay_alu instid0(SALU_CYCLE_1)
	s_and_not1_b32 vcc_lo, exec_lo, s6
	s_cbranch_vccnz .LBB174_3664
; %bb.3657:
	s_wait_xcnt 0x0
	v_lshlrev_b32_e32 v11, 16, v1
	v_mov_b32_e32 v17, 0x80
	s_mov_b32 s6, exec_lo
	s_delay_alu instid0(VALU_DEP_2) | instskip(NEXT) | instid1(VALU_DEP_1)
	v_and_b32_e32 v10, 0x7fffffff, v11
	v_cmpx_gt_u32_e32 0x43800000, v10
	s_cbranch_execz .LBB174_3663
; %bb.3658:
	v_and_b32_e32 v9, 0xffff, v1
	v_cmp_lt_u32_e32 vcc_lo, 0x3bffffff, v10
	s_mov_b32 s7, 0
                                        ; implicit-def: $vgpr10
	s_and_saveexec_b32 s8, vcc_lo
	s_delay_alu instid0(SALU_CYCLE_1)
	s_xor_b32 s8, exec_lo, s8
	s_cbranch_execz .LBB174_4112
; %bb.3659:
	v_bfe_u32 v10, v9, 4, 1
	s_mov_b32 s7, exec_lo
	s_delay_alu instid0(VALU_DEP_1) | instskip(NEXT) | instid1(VALU_DEP_1)
	v_add3_u32 v10, v11, v10, 0x487ffff
                                        ; implicit-def: $vgpr11
	v_lshrrev_b32_e32 v10, 20, v10
	s_and_not1_saveexec_b32 s8, s8
	s_cbranch_execnz .LBB174_4113
.LBB174_3660:
	s_or_b32 exec_lo, exec_lo, s8
	v_mov_b32_e32 v17, 0
	s_and_saveexec_b32 s8, s7
.LBB174_3661:
	v_lshrrev_b32_e32 v9, 8, v9
	s_delay_alu instid0(VALU_DEP_1)
	v_and_or_b32 v17, 0x80, v9, v10
.LBB174_3662:
	s_or_b32 exec_lo, exec_lo, s8
.LBB174_3663:
	s_delay_alu instid0(SALU_CYCLE_1)
	s_or_b32 exec_lo, exec_lo, s6
	global_store_b8 v[2:3], v17, off
.LBB174_3664:
	s_mov_b32 s6, -1
.LBB174_3665:
	s_mov_b32 s7, 0
.LBB174_3666:
	s_delay_alu instid0(SALU_CYCLE_1)
	s_and_b32 vcc_lo, exec_lo, s7
	s_cbranch_vccz .LBB174_3706
; %bb.3667:
	s_cmp_gt_i32 s2, 22
	s_mov_b32 s3, -1
	s_cbranch_scc0 .LBB174_3699
; %bb.3668:
	s_cmp_lt_i32 s2, 24
	s_cbranch_scc1 .LBB174_3688
; %bb.3669:
	s_cmp_gt_i32 s2, 24
	s_cbranch_scc0 .LBB174_3677
; %bb.3670:
	s_wait_xcnt 0x0
	v_lshlrev_b32_e32 v11, 16, v1
	v_mov_b32_e32 v17, 0x80
	s_mov_b32 s3, exec_lo
	s_delay_alu instid0(VALU_DEP_2) | instskip(NEXT) | instid1(VALU_DEP_1)
	v_and_b32_e32 v10, 0x7fffffff, v11
	v_cmpx_gt_u32_e32 0x47800000, v10
	s_cbranch_execz .LBB174_3676
; %bb.3671:
	v_and_b32_e32 v9, 0xffff, v1
	v_cmp_lt_u32_e32 vcc_lo, 0x37ffffff, v10
	s_mov_b32 s6, 0
                                        ; implicit-def: $vgpr10
	s_and_saveexec_b32 s7, vcc_lo
	s_delay_alu instid0(SALU_CYCLE_1)
	s_xor_b32 s7, exec_lo, s7
	s_cbranch_execz .LBB174_4115
; %bb.3672:
	v_bfe_u32 v10, v9, 5, 1
	s_mov_b32 s6, exec_lo
	s_delay_alu instid0(VALU_DEP_1) | instskip(NEXT) | instid1(VALU_DEP_1)
	v_add3_u32 v10, v11, v10, 0x88fffff
                                        ; implicit-def: $vgpr11
	v_lshrrev_b32_e32 v10, 21, v10
	s_and_not1_saveexec_b32 s7, s7
	s_cbranch_execnz .LBB174_4116
.LBB174_3673:
	s_or_b32 exec_lo, exec_lo, s7
	v_mov_b32_e32 v17, 0
	s_and_saveexec_b32 s7, s6
.LBB174_3674:
	v_lshrrev_b32_e32 v9, 8, v9
	s_delay_alu instid0(VALU_DEP_1)
	v_and_or_b32 v17, 0x80, v9, v10
.LBB174_3675:
	s_or_b32 exec_lo, exec_lo, s7
.LBB174_3676:
	s_delay_alu instid0(SALU_CYCLE_1)
	s_or_b32 exec_lo, exec_lo, s3
	s_mov_b32 s3, 0
	global_store_b8 v[2:3], v17, off
.LBB174_3677:
	s_and_b32 vcc_lo, exec_lo, s3
	s_cbranch_vccz .LBB174_3687
; %bb.3678:
	s_wait_xcnt 0x0
	v_lshlrev_b32_e32 v11, 16, v1
	v_and_b32_e32 v9, 0xffff, v1
	s_mov_b32 s3, exec_lo
                                        ; implicit-def: $vgpr10
	s_delay_alu instid0(VALU_DEP_2) | instskip(NEXT) | instid1(VALU_DEP_1)
	v_and_b32_e32 v17, 0x7fffffff, v11
	v_cmpx_gt_u32_e32 0x43f00000, v17
	s_xor_b32 s3, exec_lo, s3
	s_cbranch_execz .LBB174_3684
; %bb.3679:
	s_mov_b32 s6, exec_lo
                                        ; implicit-def: $vgpr10
	v_cmpx_lt_u32_e32 0x3c7fffff, v17
	s_xor_b32 s6, exec_lo, s6
; %bb.3680:
	v_bfe_u32 v10, v9, 4, 1
	s_delay_alu instid0(VALU_DEP_1) | instskip(NEXT) | instid1(VALU_DEP_1)
	v_add3_u32 v10, v11, v10, 0x407ffff
	v_and_b32_e32 v11, 0xff00000, v10
	v_lshrrev_b32_e32 v10, 20, v10
	s_delay_alu instid0(VALU_DEP_2) | instskip(NEXT) | instid1(VALU_DEP_2)
	v_cmp_ne_u32_e32 vcc_lo, 0x7f00000, v11
                                        ; implicit-def: $vgpr11
	v_cndmask_b32_e32 v10, 0x7e, v10, vcc_lo
; %bb.3681:
	s_and_not1_saveexec_b32 s6, s6
; %bb.3682:
	v_add_f32_e64 v10, 0x46800000, |v11|
; %bb.3683:
	s_or_b32 exec_lo, exec_lo, s6
                                        ; implicit-def: $vgpr17
.LBB174_3684:
	s_and_not1_saveexec_b32 s3, s3
; %bb.3685:
	v_mov_b32_e32 v10, 0x7f
	v_cmp_lt_u32_e32 vcc_lo, 0x7f800000, v17
	s_delay_alu instid0(VALU_DEP_2)
	v_cndmask_b32_e32 v10, 0x7e, v10, vcc_lo
; %bb.3686:
	s_or_b32 exec_lo, exec_lo, s3
	v_lshrrev_b32_e32 v9, 8, v9
	s_delay_alu instid0(VALU_DEP_1)
	v_and_or_b32 v9, 0x80, v9, v10
	global_store_b8 v[2:3], v9, off
.LBB174_3687:
	s_mov_b32 s3, 0
.LBB174_3688:
	s_delay_alu instid0(SALU_CYCLE_1)
	s_and_not1_b32 vcc_lo, exec_lo, s3
	s_cbranch_vccnz .LBB174_3698
; %bb.3689:
	s_wait_xcnt 0x0
	v_lshlrev_b32_e32 v11, 16, v1
	v_and_b32_e32 v9, 0xffff, v1
	s_mov_b32 s3, exec_lo
                                        ; implicit-def: $vgpr10
	s_delay_alu instid0(VALU_DEP_2) | instskip(NEXT) | instid1(VALU_DEP_1)
	v_and_b32_e32 v17, 0x7fffffff, v11
	v_cmpx_gt_u32_e32 0x47800000, v17
	s_xor_b32 s3, exec_lo, s3
	s_cbranch_execz .LBB174_3695
; %bb.3690:
	s_mov_b32 s6, exec_lo
                                        ; implicit-def: $vgpr10
	v_cmpx_lt_u32_e32 0x387fffff, v17
	s_xor_b32 s6, exec_lo, s6
; %bb.3691:
	v_bfe_u32 v10, v9, 5, 1
	s_delay_alu instid0(VALU_DEP_1) | instskip(NEXT) | instid1(VALU_DEP_1)
	v_add3_u32 v10, v11, v10, 0x80fffff
                                        ; implicit-def: $vgpr11
	v_lshrrev_b32_e32 v10, 21, v10
; %bb.3692:
	s_and_not1_saveexec_b32 s6, s6
; %bb.3693:
	v_add_f32_e64 v10, 0x43000000, |v11|
; %bb.3694:
	s_or_b32 exec_lo, exec_lo, s6
                                        ; implicit-def: $vgpr17
.LBB174_3695:
	s_and_not1_saveexec_b32 s3, s3
; %bb.3696:
	v_mov_b32_e32 v10, 0x7f
	v_cmp_lt_u32_e32 vcc_lo, 0x7f800000, v17
	s_delay_alu instid0(VALU_DEP_2)
	v_cndmask_b32_e32 v10, 0x7c, v10, vcc_lo
; %bb.3697:
	s_or_b32 exec_lo, exec_lo, s3
	v_lshrrev_b32_e32 v9, 8, v9
	s_delay_alu instid0(VALU_DEP_1)
	v_and_or_b32 v9, 0x80, v9, v10
	global_store_b8 v[2:3], v9, off
.LBB174_3698:
	s_mov_b32 s3, 0
	s_mov_b32 s6, -1
.LBB174_3699:
	s_and_not1_b32 vcc_lo, exec_lo, s3
	s_mov_b32 s3, 0
	s_cbranch_vccnz .LBB174_3706
; %bb.3700:
	s_cmp_gt_i32 s2, 14
	s_mov_b32 s3, -1
	s_cbranch_scc0 .LBB174_3704
; %bb.3701:
	s_cmp_eq_u32 s2, 15
	s_mov_b32 s0, -1
	s_cbranch_scc0 .LBB174_3703
; %bb.3702:
	s_mov_b32 s0, 0
	s_mov_b32 s6, -1
	global_store_b16 v[2:3], v1, off
.LBB174_3703:
	s_mov_b32 s3, 0
.LBB174_3704:
	s_delay_alu instid0(SALU_CYCLE_1)
	s_and_b32 vcc_lo, exec_lo, s3
	s_mov_b32 s3, 0
	s_cbranch_vccz .LBB174_3706
; %bb.3705:
	s_cmp_lg_u32 s2, 11
	s_mov_b32 s3, -1
	s_cselect_b32 s0, -1, 0
.LBB174_3706:
	s_delay_alu instid0(SALU_CYCLE_1)
	s_and_b32 vcc_lo, exec_lo, s0
	s_cbranch_vccnz .LBB174_4114
; %bb.3707:
	s_and_not1_b32 vcc_lo, exec_lo, s3
	s_cbranch_vccnz .LBB174_3709
.LBB174_3708:
	s_wait_xcnt 0x0
	v_and_b32_e32 v9, 0x7fff, v1
	s_mov_b32 s6, -1
	s_delay_alu instid0(VALU_DEP_1)
	v_cmp_ne_u16_e32 vcc_lo, 0, v9
	v_cndmask_b32_e64 v9, 0, 1, vcc_lo
	global_store_b8 v[2:3], v9, off
.LBB174_3709:
	s_mov_b32 s0, 0
	s_branch .LBB174_3711
.LBB174_3710:
	s_mov_b32 s0, -1
	s_mov_b32 s6, 0
.LBB174_3711:
	s_and_b32 vcc_lo, exec_lo, s0
	s_cbranch_vccz .LBB174_3750
; %bb.3712:
	s_and_b32 s0, 0xffff, s22
	s_mov_b32 s2, -1
	s_cmp_lt_i32 s0, 5
	s_cbranch_scc1 .LBB174_3733
; %bb.3713:
	s_cmp_lt_i32 s0, 8
	s_cbranch_scc1 .LBB174_3723
; %bb.3714:
	;; [unrolled: 3-line block ×3, first 2 shown]
	s_cmp_gt_i32 s0, 9
	s_cbranch_scc0 .LBB174_3717
; %bb.3716:
	s_wait_xcnt 0x0
	v_dual_mov_b32 v20, 0 :: v_dual_lshlrev_b32 v9, 16, v1
	s_mov_b32 s2, 0
	s_delay_alu instid0(VALU_DEP_1) | instskip(NEXT) | instid1(VALU_DEP_2)
	v_cvt_f64_f32_e32 v[18:19], v9
	v_mov_b32_e32 v21, v20
	global_store_b128 v[2:3], v[18:21], off
.LBB174_3717:
	s_and_not1_b32 vcc_lo, exec_lo, s2
	s_cbranch_vccnz .LBB174_3719
; %bb.3718:
	s_wait_xcnt 0x0
	v_dual_mov_b32 v11, 0 :: v_dual_lshlrev_b32 v10, 16, v1
	global_store_b64 v[2:3], v[10:11], off
.LBB174_3719:
	s_mov_b32 s2, 0
.LBB174_3720:
	s_delay_alu instid0(SALU_CYCLE_1)
	s_and_not1_b32 vcc_lo, exec_lo, s2
	s_cbranch_vccnz .LBB174_3722
; %bb.3721:
	s_wait_xcnt 0x0
	v_lshlrev_b32_e32 v9, 16, v1
	s_delay_alu instid0(VALU_DEP_1) | instskip(NEXT) | instid1(VALU_DEP_1)
	v_cvt_f16_f32_e32 v9, v9
	v_and_b32_e32 v9, 0xffff, v9
	global_store_b32 v[2:3], v9, off
.LBB174_3722:
	s_mov_b32 s2, 0
.LBB174_3723:
	s_delay_alu instid0(SALU_CYCLE_1)
	s_and_not1_b32 vcc_lo, exec_lo, s2
	s_cbranch_vccnz .LBB174_3732
; %bb.3724:
	s_cmp_lt_i32 s0, 6
	s_mov_b32 s2, -1
	s_cbranch_scc1 .LBB174_3730
; %bb.3725:
	s_cmp_gt_i32 s0, 6
	s_cbranch_scc0 .LBB174_3727
; %bb.3726:
	s_wait_xcnt 0x0
	v_lshlrev_b32_e32 v9, 16, v1
	s_mov_b32 s2, 0
	s_delay_alu instid0(VALU_DEP_1)
	v_cvt_f64_f32_e32 v[10:11], v9
	global_store_b64 v[2:3], v[10:11], off
.LBB174_3727:
	s_and_not1_b32 vcc_lo, exec_lo, s2
	s_cbranch_vccnz .LBB174_3729
; %bb.3728:
	s_wait_xcnt 0x0
	v_lshlrev_b32_e32 v9, 16, v1
	global_store_b32 v[2:3], v9, off
.LBB174_3729:
	s_mov_b32 s2, 0
.LBB174_3730:
	s_delay_alu instid0(SALU_CYCLE_1)
	s_and_not1_b32 vcc_lo, exec_lo, s2
	s_cbranch_vccnz .LBB174_3732
; %bb.3731:
	s_wait_xcnt 0x0
	v_lshlrev_b32_e32 v9, 16, v1
	s_delay_alu instid0(VALU_DEP_1)
	v_cvt_f16_f32_e32 v9, v9
	global_store_b16 v[2:3], v9, off
.LBB174_3732:
	s_mov_b32 s2, 0
.LBB174_3733:
	s_delay_alu instid0(SALU_CYCLE_1)
	s_and_not1_b32 vcc_lo, exec_lo, s2
	s_cbranch_vccnz .LBB174_3749
; %bb.3734:
	s_cmp_lt_i32 s0, 2
	s_mov_b32 s2, -1
	s_cbranch_scc1 .LBB174_3744
; %bb.3735:
	s_cmp_lt_i32 s0, 3
	s_cbranch_scc1 .LBB174_3741
; %bb.3736:
	s_cmp_gt_i32 s0, 3
	s_cbranch_scc0 .LBB174_3738
; %bb.3737:
	s_wait_xcnt 0x0
	v_lshlrev_b32_e32 v9, 16, v1
	s_mov_b32 s2, 0
	s_delay_alu instid0(VALU_DEP_1) | instskip(NEXT) | instid1(VALU_DEP_1)
	v_trunc_f32_e32 v9, v9
	v_mul_f32_e64 v10, 0x2f800000, |v9|
	s_delay_alu instid0(VALU_DEP_1) | instskip(SKIP_1) | instid1(VALU_DEP_2)
	v_floor_f32_e32 v11, v10
	v_ashrrev_i32_e32 v10, 31, v9
	v_fma_f32 v17, 0xcf800000, v11, |v9|
	v_cvt_u32_f32_e32 v9, v11
	s_delay_alu instid0(VALU_DEP_3) | instskip(NEXT) | instid1(VALU_DEP_3)
	v_mov_b32_e32 v11, v10
	v_cvt_u32_f32_e32 v17, v17
	s_delay_alu instid0(VALU_DEP_3) | instskip(NEXT) | instid1(VALU_DEP_2)
	v_xor_b32_e32 v19, v9, v10
	v_xor_b32_e32 v18, v17, v10
	s_delay_alu instid0(VALU_DEP_1)
	v_sub_nc_u64_e32 v[10:11], v[18:19], v[10:11]
	global_store_b64 v[2:3], v[10:11], off
.LBB174_3738:
	s_and_not1_b32 vcc_lo, exec_lo, s2
	s_cbranch_vccnz .LBB174_3740
; %bb.3739:
	s_wait_xcnt 0x0
	v_lshlrev_b32_e32 v9, 16, v1
	s_delay_alu instid0(VALU_DEP_1)
	v_cvt_i32_f32_e32 v9, v9
	global_store_b32 v[2:3], v9, off
.LBB174_3740:
	s_mov_b32 s2, 0
.LBB174_3741:
	s_delay_alu instid0(SALU_CYCLE_1)
	s_and_not1_b32 vcc_lo, exec_lo, s2
	s_cbranch_vccnz .LBB174_3743
; %bb.3742:
	s_wait_xcnt 0x0
	v_lshlrev_b32_e32 v9, 16, v1
	s_delay_alu instid0(VALU_DEP_1)
	v_cvt_i32_f32_e32 v9, v9
	global_store_b16 v[2:3], v9, off
.LBB174_3743:
	s_mov_b32 s2, 0
.LBB174_3744:
	s_delay_alu instid0(SALU_CYCLE_1)
	s_and_not1_b32 vcc_lo, exec_lo, s2
	s_cbranch_vccnz .LBB174_3749
; %bb.3745:
	s_wait_xcnt 0x0
	v_lshlrev_b32_e32 v1, 16, v1
	s_cmp_gt_i32 s0, 0
	s_mov_b32 s0, -1
	s_cbranch_scc0 .LBB174_3747
; %bb.3746:
	s_delay_alu instid0(VALU_DEP_1)
	v_cvt_i32_f32_e32 v9, v1
	s_mov_b32 s0, 0
	global_store_b8 v[2:3], v9, off
.LBB174_3747:
	s_and_not1_b32 vcc_lo, exec_lo, s0
	s_cbranch_vccnz .LBB174_3749
; %bb.3748:
	v_trunc_f32_e32 v1, v1
	s_wait_xcnt 0x0
	s_delay_alu instid0(VALU_DEP_1) | instskip(NEXT) | instid1(VALU_DEP_1)
	v_mul_f32_e64 v9, 0x2f800000, |v1|
	v_floor_f32_e32 v9, v9
	s_delay_alu instid0(VALU_DEP_1) | instskip(SKIP_1) | instid1(VALU_DEP_2)
	v_fma_f32 v9, 0xcf800000, v9, |v1|
	v_ashrrev_i32_e32 v1, 31, v1
	v_cvt_u32_f32_e32 v9, v9
	s_delay_alu instid0(VALU_DEP_1) | instskip(NEXT) | instid1(VALU_DEP_1)
	v_xor_b32_e32 v9, v9, v1
	v_sub_nc_u32_e32 v1, v9, v1
	global_store_b8 v[2:3], v1, off
.LBB174_3749:
	s_mov_b32 s6, -1
.LBB174_3750:
	s_delay_alu instid0(SALU_CYCLE_1)
	s_and_not1_b32 vcc_lo, exec_lo, s6
	s_cbranch_vccnz .LBB174_4065
; %bb.3751:
	s_wait_xcnt 0x0
	v_dual_lshlrev_b32 v1, 16, v13 :: v_dual_lshlrev_b32 v3, 16, v14
	v_mov_b32_e32 v10, s1
	s_lshl_b32 s2, s12, 7
	s_cmp_lt_i32 s22, 11
	s_delay_alu instid0(VALU_DEP_2) | instskip(NEXT) | instid1(VALU_DEP_1)
	v_dual_mul_f32 v1, v8, v1 :: v_dual_add_nc_u32 v0, s2, v0
	v_bfe_u32 v2, v1, 16, 1
	s_delay_alu instid0(VALU_DEP_1) | instskip(NEXT) | instid1(VALU_DEP_1)
	v_add3_u32 v2, v1, v2, 0x7fff
	v_and_b32_e32 v9, 0xffff0000, v2
	v_lshlrev_b32_e32 v2, 16, v12
	v_cmp_o_f32_e32 vcc_lo, v1, v1
	s_delay_alu instid0(VALU_DEP_3) | instskip(NEXT) | instid1(VALU_DEP_1)
	v_cndmask_b32_e32 v11, 0x7fc00000, v9, vcc_lo
	v_pk_mul_f32 v[2:3], v[10:11], v[2:3]
	s_delay_alu instid0(VALU_DEP_1) | instskip(SKIP_1) | instid1(VALU_DEP_2)
	v_dual_lshrrev_b32 v1, 16, v3 :: v_dual_lshrrev_b32 v9, 16, v2
	v_cmp_o_f32_e32 vcc_lo, v3, v3
	v_and_b32_e32 v1, 1, v1
	s_delay_alu instid0(VALU_DEP_3) | instskip(NEXT) | instid1(VALU_DEP_2)
	v_and_b32_e32 v9, 1, v9
	v_add3_u32 v1, v3, v1, 0x7fff
	s_delay_alu instid0(VALU_DEP_2) | instskip(NEXT) | instid1(VALU_DEP_2)
	v_add3_u32 v9, v2, v9, 0x7fff
	v_and_b32_e32 v1, 0xffff0000, v1
	s_delay_alu instid0(VALU_DEP_2) | instskip(NEXT) | instid1(VALU_DEP_2)
	v_and_b32_e32 v9, 0xffff0000, v9
	v_cndmask_b32_e32 v1, 0x7fc00000, v1, vcc_lo
	v_cmp_o_f32_e32 vcc_lo, v2, v2
	s_delay_alu instid0(VALU_DEP_3) | instskip(NEXT) | instid1(VALU_DEP_1)
	v_cndmask_b32_e32 v2, 0x7fc00000, v9, vcc_lo
	v_add_f32_e32 v9, v2, v1
	s_delay_alu instid0(VALU_DEP_1) | instskip(SKIP_1) | instid1(VALU_DEP_2)
	v_bfe_u32 v1, v9, 16, 1
	v_cmp_o_f32_e32 vcc_lo, v9, v9
	v_add3_u32 v2, v9, v1, 0x7fff
	s_delay_alu instid0(VALU_DEP_1) | instskip(NEXT) | instid1(VALU_DEP_1)
	v_dual_ashrrev_i32 v1, 31, v0 :: v_dual_lshrrev_b32 v10, 16, v2
	v_add_nc_u64_e32 v[2:3], s[4:5], v[0:1]
	s_delay_alu instid0(VALU_DEP_2)
	v_cndmask_b32_e32 v1, 0x7fc0, v10, vcc_lo
	s_cbranch_scc1 .LBB174_3829
; %bb.3752:
	s_and_b32 s3, 0xffff, s22
	s_mov_b32 s8, -1
	s_mov_b32 s6, 0
	s_cmp_gt_i32 s3, 25
	s_mov_b32 s7, 0
	s_mov_b32 s0, 0
	s_cbranch_scc0 .LBB174_3785
; %bb.3753:
	s_cmp_gt_i32 s3, 28
	s_cbranch_scc0 .LBB174_3768
; %bb.3754:
	s_cmp_gt_i32 s3, 43
	;; [unrolled: 3-line block ×3, first 2 shown]
	s_cbranch_scc0 .LBB174_3758
; %bb.3756:
	s_mov_b32 s0, -1
	s_mov_b32 s8, 0
	s_cmp_eq_u32 s3, 46
	s_cbranch_scc0 .LBB174_3758
; %bb.3757:
	v_and_b32_e32 v9, 0xffff, v1
	s_mov_b32 s0, 0
	s_mov_b32 s7, -1
	global_store_b32 v[2:3], v9, off
.LBB174_3758:
	s_and_b32 vcc_lo, exec_lo, s8
	s_cbranch_vccz .LBB174_3763
; %bb.3759:
	s_cmp_eq_u32 s3, 44
	s_mov_b32 s0, -1
	s_cbranch_scc0 .LBB174_3763
; %bb.3760:
	s_wait_xcnt 0x0
	v_and_b32_e32 v9, 0xffff, v1
	v_mov_b32_e32 v10, 0xff
	s_mov_b32 s7, exec_lo
	s_delay_alu instid0(VALU_DEP_2) | instskip(NEXT) | instid1(VALU_DEP_1)
	v_bfe_u32 v11, v9, 7, 8
	v_cmpx_ne_u32_e32 0xff, v11
	s_cbranch_execz .LBB174_3762
; %bb.3761:
	v_dual_lshlrev_b32 v10, 16, v9 :: v_dual_bitop2_b32 v12, 64, v9 bitop3:0x40
	v_lshrrev_b32_e32 v9, 7, v9
	s_delay_alu instid0(VALU_DEP_2) | instskip(NEXT) | instid1(VALU_DEP_3)
	v_and_or_b32 v10, 0x3f0000, v10, v11
	v_cmp_ne_u32_e32 vcc_lo, 0, v12
	s_delay_alu instid0(VALU_DEP_2) | instskip(SKIP_1) | instid1(SALU_CYCLE_1)
	v_cmp_ne_u32_e64 s0, 0, v10
	s_and_b32 s0, vcc_lo, s0
	v_cndmask_b32_e64 v10, 0, 1, s0
	s_delay_alu instid0(VALU_DEP_1)
	v_add_nc_u32_e32 v10, v9, v10
.LBB174_3762:
	s_or_b32 exec_lo, exec_lo, s7
	s_mov_b32 s0, 0
	s_mov_b32 s7, -1
	global_store_b8 v[2:3], v10, off
.LBB174_3763:
	s_mov_b32 s8, 0
.LBB174_3764:
	s_delay_alu instid0(SALU_CYCLE_1)
	s_and_b32 vcc_lo, exec_lo, s8
	s_cbranch_vccz .LBB174_3767
; %bb.3765:
	s_cmp_eq_u32 s3, 29
	s_mov_b32 s0, -1
	s_cbranch_scc0 .LBB174_3767
; %bb.3766:
	s_wait_xcnt 0x0
	v_lshlrev_b32_e32 v9, 16, v1
	s_mov_b32 s0, 0
	s_mov_b32 s7, -1
	s_delay_alu instid0(VALU_DEP_1) | instskip(NEXT) | instid1(VALU_DEP_1)
	v_trunc_f32_e32 v9, v9
	v_mul_f32_e32 v10, 0x2f800000, v9
	s_delay_alu instid0(VALU_DEP_1) | instskip(NEXT) | instid1(VALU_DEP_1)
	v_floor_f32_e32 v10, v10
	v_fmamk_f32 v9, v10, 0xcf800000, v9
	v_cvt_u32_f32_e32 v11, v10
	s_delay_alu instid0(VALU_DEP_2)
	v_cvt_u32_f32_e32 v10, v9
	global_store_b64 v[2:3], v[10:11], off
.LBB174_3767:
	s_mov_b32 s8, 0
.LBB174_3768:
	s_delay_alu instid0(SALU_CYCLE_1)
	s_and_b32 vcc_lo, exec_lo, s8
	s_cbranch_vccz .LBB174_3784
; %bb.3769:
	s_cmp_lt_i32 s3, 27
	s_mov_b32 s7, -1
	s_cbranch_scc1 .LBB174_3775
; %bb.3770:
	s_cmp_gt_i32 s3, 27
	s_cbranch_scc0 .LBB174_3772
; %bb.3771:
	s_wait_xcnt 0x0
	v_lshlrev_b32_e32 v9, 16, v1
	s_mov_b32 s7, 0
	s_delay_alu instid0(VALU_DEP_1)
	v_cvt_u32_f32_e32 v9, v9
	global_store_b32 v[2:3], v9, off
.LBB174_3772:
	s_and_not1_b32 vcc_lo, exec_lo, s7
	s_cbranch_vccnz .LBB174_3774
; %bb.3773:
	s_wait_xcnt 0x0
	v_lshlrev_b32_e32 v9, 16, v1
	s_delay_alu instid0(VALU_DEP_1)
	v_cvt_u32_f32_e32 v9, v9
	global_store_b16 v[2:3], v9, off
.LBB174_3774:
	s_mov_b32 s7, 0
.LBB174_3775:
	s_delay_alu instid0(SALU_CYCLE_1)
	s_and_not1_b32 vcc_lo, exec_lo, s7
	s_cbranch_vccnz .LBB174_3783
; %bb.3776:
	s_wait_xcnt 0x0
	v_dual_mov_b32 v12, 0x80 :: v_dual_lshlrev_b32 v11, 16, v1
	s_mov_b32 s7, exec_lo
	s_delay_alu instid0(VALU_DEP_1) | instskip(NEXT) | instid1(VALU_DEP_1)
	v_and_b32_e32 v10, 0x7fffffff, v11
	v_cmpx_gt_u32_e32 0x43800000, v10
	s_cbranch_execz .LBB174_3782
; %bb.3777:
	v_and_b32_e32 v9, 0xffff, v1
	v_cmp_lt_u32_e32 vcc_lo, 0x3bffffff, v10
	s_mov_b32 s8, 0
                                        ; implicit-def: $vgpr10
	s_and_saveexec_b32 s9, vcc_lo
	s_delay_alu instid0(SALU_CYCLE_1)
	s_xor_b32 s9, exec_lo, s9
	s_cbranch_execz .LBB174_4117
; %bb.3778:
	v_bfe_u32 v10, v9, 4, 1
	s_mov_b32 s8, exec_lo
	s_delay_alu instid0(VALU_DEP_1) | instskip(NEXT) | instid1(VALU_DEP_1)
	v_add3_u32 v10, v11, v10, 0x487ffff
                                        ; implicit-def: $vgpr11
	v_lshrrev_b32_e32 v10, 20, v10
	s_and_not1_saveexec_b32 s9, s9
	s_cbranch_execnz .LBB174_4118
.LBB174_3779:
	s_or_b32 exec_lo, exec_lo, s9
	v_mov_b32_e32 v12, 0
	s_and_saveexec_b32 s9, s8
.LBB174_3780:
	v_lshrrev_b32_e32 v9, 8, v9
	s_delay_alu instid0(VALU_DEP_1)
	v_and_or_b32 v12, 0x80, v9, v10
.LBB174_3781:
	s_or_b32 exec_lo, exec_lo, s9
.LBB174_3782:
	s_delay_alu instid0(SALU_CYCLE_1)
	s_or_b32 exec_lo, exec_lo, s7
	global_store_b8 v[2:3], v12, off
.LBB174_3783:
	s_mov_b32 s7, -1
.LBB174_3784:
	s_mov_b32 s8, 0
.LBB174_3785:
	s_delay_alu instid0(SALU_CYCLE_1)
	s_and_b32 vcc_lo, exec_lo, s8
	s_cbranch_vccz .LBB174_3825
; %bb.3786:
	s_cmp_gt_i32 s3, 22
	s_mov_b32 s6, -1
	s_cbranch_scc0 .LBB174_3818
; %bb.3787:
	s_cmp_lt_i32 s3, 24
	s_cbranch_scc1 .LBB174_3807
; %bb.3788:
	s_cmp_gt_i32 s3, 24
	s_cbranch_scc0 .LBB174_3796
; %bb.3789:
	s_wait_xcnt 0x0
	v_dual_mov_b32 v12, 0x80 :: v_dual_lshlrev_b32 v11, 16, v1
	s_mov_b32 s6, exec_lo
	s_delay_alu instid0(VALU_DEP_1) | instskip(NEXT) | instid1(VALU_DEP_1)
	v_and_b32_e32 v10, 0x7fffffff, v11
	v_cmpx_gt_u32_e32 0x47800000, v10
	s_cbranch_execz .LBB174_3795
; %bb.3790:
	v_and_b32_e32 v9, 0xffff, v1
	v_cmp_lt_u32_e32 vcc_lo, 0x37ffffff, v10
	s_mov_b32 s7, 0
                                        ; implicit-def: $vgpr10
	s_and_saveexec_b32 s8, vcc_lo
	s_delay_alu instid0(SALU_CYCLE_1)
	s_xor_b32 s8, exec_lo, s8
	s_cbranch_execz .LBB174_4120
; %bb.3791:
	v_bfe_u32 v10, v9, 5, 1
	s_mov_b32 s7, exec_lo
	s_delay_alu instid0(VALU_DEP_1) | instskip(NEXT) | instid1(VALU_DEP_1)
	v_add3_u32 v10, v11, v10, 0x88fffff
                                        ; implicit-def: $vgpr11
	v_lshrrev_b32_e32 v10, 21, v10
	s_and_not1_saveexec_b32 s8, s8
	s_cbranch_execnz .LBB174_4121
.LBB174_3792:
	s_or_b32 exec_lo, exec_lo, s8
	v_mov_b32_e32 v12, 0
	s_and_saveexec_b32 s8, s7
.LBB174_3793:
	v_lshrrev_b32_e32 v9, 8, v9
	s_delay_alu instid0(VALU_DEP_1)
	v_and_or_b32 v12, 0x80, v9, v10
.LBB174_3794:
	s_or_b32 exec_lo, exec_lo, s8
.LBB174_3795:
	s_delay_alu instid0(SALU_CYCLE_1)
	s_or_b32 exec_lo, exec_lo, s6
	s_mov_b32 s6, 0
	global_store_b8 v[2:3], v12, off
.LBB174_3796:
	s_and_b32 vcc_lo, exec_lo, s6
	s_cbranch_vccz .LBB174_3806
; %bb.3797:
	s_wait_xcnt 0x0
	v_lshlrev_b32_e32 v11, 16, v1
	v_and_b32_e32 v9, 0xffff, v1
	s_mov_b32 s6, exec_lo
                                        ; implicit-def: $vgpr10
	s_delay_alu instid0(VALU_DEP_2) | instskip(NEXT) | instid1(VALU_DEP_1)
	v_and_b32_e32 v12, 0x7fffffff, v11
	v_cmpx_gt_u32_e32 0x43f00000, v12
	s_xor_b32 s6, exec_lo, s6
	s_cbranch_execz .LBB174_3803
; %bb.3798:
	s_mov_b32 s7, exec_lo
                                        ; implicit-def: $vgpr10
	v_cmpx_lt_u32_e32 0x3c7fffff, v12
	s_xor_b32 s7, exec_lo, s7
; %bb.3799:
	v_bfe_u32 v10, v9, 4, 1
	s_delay_alu instid0(VALU_DEP_1) | instskip(NEXT) | instid1(VALU_DEP_1)
	v_add3_u32 v10, v11, v10, 0x407ffff
	v_and_b32_e32 v11, 0xff00000, v10
	v_lshrrev_b32_e32 v10, 20, v10
	s_delay_alu instid0(VALU_DEP_2) | instskip(NEXT) | instid1(VALU_DEP_2)
	v_cmp_ne_u32_e32 vcc_lo, 0x7f00000, v11
                                        ; implicit-def: $vgpr11
	v_cndmask_b32_e32 v10, 0x7e, v10, vcc_lo
; %bb.3800:
	s_and_not1_saveexec_b32 s7, s7
; %bb.3801:
	v_add_f32_e64 v10, 0x46800000, |v11|
; %bb.3802:
	s_or_b32 exec_lo, exec_lo, s7
                                        ; implicit-def: $vgpr12
.LBB174_3803:
	s_and_not1_saveexec_b32 s6, s6
; %bb.3804:
	v_mov_b32_e32 v10, 0x7f
	v_cmp_lt_u32_e32 vcc_lo, 0x7f800000, v12
	s_delay_alu instid0(VALU_DEP_2)
	v_cndmask_b32_e32 v10, 0x7e, v10, vcc_lo
; %bb.3805:
	s_or_b32 exec_lo, exec_lo, s6
	v_lshrrev_b32_e32 v9, 8, v9
	s_delay_alu instid0(VALU_DEP_1)
	v_and_or_b32 v9, 0x80, v9, v10
	global_store_b8 v[2:3], v9, off
.LBB174_3806:
	s_mov_b32 s6, 0
.LBB174_3807:
	s_delay_alu instid0(SALU_CYCLE_1)
	s_and_not1_b32 vcc_lo, exec_lo, s6
	s_cbranch_vccnz .LBB174_3817
; %bb.3808:
	s_wait_xcnt 0x0
	v_lshlrev_b32_e32 v11, 16, v1
	v_and_b32_e32 v9, 0xffff, v1
	s_mov_b32 s6, exec_lo
                                        ; implicit-def: $vgpr10
	s_delay_alu instid0(VALU_DEP_2) | instskip(NEXT) | instid1(VALU_DEP_1)
	v_and_b32_e32 v12, 0x7fffffff, v11
	v_cmpx_gt_u32_e32 0x47800000, v12
	s_xor_b32 s6, exec_lo, s6
	s_cbranch_execz .LBB174_3814
; %bb.3809:
	s_mov_b32 s7, exec_lo
                                        ; implicit-def: $vgpr10
	v_cmpx_lt_u32_e32 0x387fffff, v12
	s_xor_b32 s7, exec_lo, s7
; %bb.3810:
	v_bfe_u32 v10, v9, 5, 1
	s_delay_alu instid0(VALU_DEP_1) | instskip(NEXT) | instid1(VALU_DEP_1)
	v_add3_u32 v10, v11, v10, 0x80fffff
                                        ; implicit-def: $vgpr11
	v_lshrrev_b32_e32 v10, 21, v10
; %bb.3811:
	s_and_not1_saveexec_b32 s7, s7
; %bb.3812:
	v_add_f32_e64 v10, 0x43000000, |v11|
; %bb.3813:
	s_or_b32 exec_lo, exec_lo, s7
                                        ; implicit-def: $vgpr12
.LBB174_3814:
	s_and_not1_saveexec_b32 s6, s6
; %bb.3815:
	v_mov_b32_e32 v10, 0x7f
	v_cmp_lt_u32_e32 vcc_lo, 0x7f800000, v12
	s_delay_alu instid0(VALU_DEP_2)
	v_cndmask_b32_e32 v10, 0x7c, v10, vcc_lo
; %bb.3816:
	s_or_b32 exec_lo, exec_lo, s6
	v_lshrrev_b32_e32 v9, 8, v9
	s_delay_alu instid0(VALU_DEP_1)
	v_and_or_b32 v9, 0x80, v9, v10
	global_store_b8 v[2:3], v9, off
.LBB174_3817:
	s_mov_b32 s6, 0
	s_mov_b32 s7, -1
.LBB174_3818:
	s_and_not1_b32 vcc_lo, exec_lo, s6
	s_mov_b32 s6, 0
	s_cbranch_vccnz .LBB174_3825
; %bb.3819:
	s_cmp_gt_i32 s3, 14
	s_mov_b32 s6, -1
	s_cbranch_scc0 .LBB174_3823
; %bb.3820:
	s_cmp_eq_u32 s3, 15
	s_mov_b32 s0, -1
	s_cbranch_scc0 .LBB174_3822
; %bb.3821:
	s_mov_b32 s0, 0
	s_mov_b32 s7, -1
	global_store_b16 v[2:3], v1, off
.LBB174_3822:
	s_mov_b32 s6, 0
.LBB174_3823:
	s_delay_alu instid0(SALU_CYCLE_1)
	s_and_b32 vcc_lo, exec_lo, s6
	s_mov_b32 s6, 0
	s_cbranch_vccz .LBB174_3825
; %bb.3824:
	s_cmp_lg_u32 s3, 11
	s_mov_b32 s6, -1
	s_cselect_b32 s0, -1, 0
.LBB174_3825:
	s_delay_alu instid0(SALU_CYCLE_1)
	s_and_b32 vcc_lo, exec_lo, s0
	s_cbranch_vccnz .LBB174_4119
; %bb.3826:
	s_and_not1_b32 vcc_lo, exec_lo, s6
	s_cbranch_vccnz .LBB174_3828
.LBB174_3827:
	s_wait_xcnt 0x0
	v_and_b32_e32 v9, 0x7fff, v1
	s_mov_b32 s7, -1
	s_delay_alu instid0(VALU_DEP_1)
	v_cmp_ne_u16_e32 vcc_lo, 0, v9
	v_cndmask_b32_e64 v9, 0, 1, vcc_lo
	global_store_b8 v[2:3], v9, off
.LBB174_3828:
	s_mov_b32 s0, 0
	s_branch .LBB174_3830
.LBB174_3829:
	s_mov_b32 s0, -1
	s_mov_b32 s7, 0
.LBB174_3830:
	s_and_b32 vcc_lo, exec_lo, s0
	s_cbranch_vccz .LBB174_3869
; %bb.3831:
	s_and_b32 s0, 0xffff, s22
	s_mov_b32 s3, -1
	s_cmp_lt_i32 s0, 5
	s_cbranch_scc1 .LBB174_3852
; %bb.3832:
	s_cmp_lt_i32 s0, 8
	s_cbranch_scc1 .LBB174_3842
; %bb.3833:
	;; [unrolled: 3-line block ×3, first 2 shown]
	s_cmp_gt_i32 s0, 9
	s_cbranch_scc0 .LBB174_3836
; %bb.3835:
	s_wait_xcnt 0x0
	v_dual_mov_b32 v12, 0 :: v_dual_lshlrev_b32 v9, 16, v1
	s_mov_b32 s3, 0
	s_delay_alu instid0(VALU_DEP_1) | instskip(NEXT) | instid1(VALU_DEP_2)
	v_cvt_f64_f32_e32 v[10:11], v9
	v_mov_b32_e32 v13, v12
	global_store_b128 v[2:3], v[10:13], off
.LBB174_3836:
	s_and_not1_b32 vcc_lo, exec_lo, s3
	s_cbranch_vccnz .LBB174_3838
; %bb.3837:
	s_wait_xcnt 0x0
	v_dual_mov_b32 v11, 0 :: v_dual_lshlrev_b32 v10, 16, v1
	global_store_b64 v[2:3], v[10:11], off
.LBB174_3838:
	s_mov_b32 s3, 0
.LBB174_3839:
	s_delay_alu instid0(SALU_CYCLE_1)
	s_and_not1_b32 vcc_lo, exec_lo, s3
	s_cbranch_vccnz .LBB174_3841
; %bb.3840:
	s_wait_xcnt 0x0
	v_lshlrev_b32_e32 v9, 16, v1
	s_delay_alu instid0(VALU_DEP_1) | instskip(NEXT) | instid1(VALU_DEP_1)
	v_cvt_f16_f32_e32 v9, v9
	v_and_b32_e32 v9, 0xffff, v9
	global_store_b32 v[2:3], v9, off
.LBB174_3841:
	s_mov_b32 s3, 0
.LBB174_3842:
	s_delay_alu instid0(SALU_CYCLE_1)
	s_and_not1_b32 vcc_lo, exec_lo, s3
	s_cbranch_vccnz .LBB174_3851
; %bb.3843:
	s_cmp_lt_i32 s0, 6
	s_mov_b32 s3, -1
	s_cbranch_scc1 .LBB174_3849
; %bb.3844:
	s_cmp_gt_i32 s0, 6
	s_cbranch_scc0 .LBB174_3846
; %bb.3845:
	s_wait_xcnt 0x0
	v_lshlrev_b32_e32 v9, 16, v1
	s_mov_b32 s3, 0
	s_delay_alu instid0(VALU_DEP_1)
	v_cvt_f64_f32_e32 v[10:11], v9
	global_store_b64 v[2:3], v[10:11], off
.LBB174_3846:
	s_and_not1_b32 vcc_lo, exec_lo, s3
	s_cbranch_vccnz .LBB174_3848
; %bb.3847:
	s_wait_xcnt 0x0
	v_lshlrev_b32_e32 v9, 16, v1
	global_store_b32 v[2:3], v9, off
.LBB174_3848:
	s_mov_b32 s3, 0
.LBB174_3849:
	s_delay_alu instid0(SALU_CYCLE_1)
	s_and_not1_b32 vcc_lo, exec_lo, s3
	s_cbranch_vccnz .LBB174_3851
; %bb.3850:
	s_wait_xcnt 0x0
	v_lshlrev_b32_e32 v9, 16, v1
	s_delay_alu instid0(VALU_DEP_1)
	v_cvt_f16_f32_e32 v9, v9
	global_store_b16 v[2:3], v9, off
.LBB174_3851:
	s_mov_b32 s3, 0
.LBB174_3852:
	s_delay_alu instid0(SALU_CYCLE_1)
	s_and_not1_b32 vcc_lo, exec_lo, s3
	s_cbranch_vccnz .LBB174_3868
; %bb.3853:
	s_cmp_lt_i32 s0, 2
	s_mov_b32 s3, -1
	s_cbranch_scc1 .LBB174_3863
; %bb.3854:
	s_cmp_lt_i32 s0, 3
	s_cbranch_scc1 .LBB174_3860
; %bb.3855:
	s_cmp_gt_i32 s0, 3
	s_cbranch_scc0 .LBB174_3857
; %bb.3856:
	s_wait_xcnt 0x0
	v_lshlrev_b32_e32 v9, 16, v1
	s_mov_b32 s3, 0
	s_delay_alu instid0(VALU_DEP_1) | instskip(NEXT) | instid1(VALU_DEP_1)
	v_trunc_f32_e32 v9, v9
	v_mul_f32_e64 v10, 0x2f800000, |v9|
	s_delay_alu instid0(VALU_DEP_1) | instskip(SKIP_1) | instid1(VALU_DEP_2)
	v_floor_f32_e32 v11, v10
	v_ashrrev_i32_e32 v10, 31, v9
	v_fma_f32 v12, 0xcf800000, v11, |v9|
	v_cvt_u32_f32_e32 v9, v11
	s_delay_alu instid0(VALU_DEP_3) | instskip(NEXT) | instid1(VALU_DEP_3)
	v_mov_b32_e32 v11, v10
	v_cvt_u32_f32_e32 v12, v12
	s_delay_alu instid0(VALU_DEP_3) | instskip(NEXT) | instid1(VALU_DEP_2)
	v_xor_b32_e32 v13, v9, v10
	v_xor_b32_e32 v12, v12, v10
	s_delay_alu instid0(VALU_DEP_1)
	v_sub_nc_u64_e32 v[10:11], v[12:13], v[10:11]
	global_store_b64 v[2:3], v[10:11], off
.LBB174_3857:
	s_and_not1_b32 vcc_lo, exec_lo, s3
	s_cbranch_vccnz .LBB174_3859
; %bb.3858:
	s_wait_xcnt 0x0
	v_lshlrev_b32_e32 v9, 16, v1
	s_delay_alu instid0(VALU_DEP_1)
	v_cvt_i32_f32_e32 v9, v9
	global_store_b32 v[2:3], v9, off
.LBB174_3859:
	s_mov_b32 s3, 0
.LBB174_3860:
	s_delay_alu instid0(SALU_CYCLE_1)
	s_and_not1_b32 vcc_lo, exec_lo, s3
	s_cbranch_vccnz .LBB174_3862
; %bb.3861:
	s_wait_xcnt 0x0
	v_lshlrev_b32_e32 v9, 16, v1
	s_delay_alu instid0(VALU_DEP_1)
	v_cvt_i32_f32_e32 v9, v9
	global_store_b16 v[2:3], v9, off
.LBB174_3862:
	s_mov_b32 s3, 0
.LBB174_3863:
	s_delay_alu instid0(SALU_CYCLE_1)
	s_and_not1_b32 vcc_lo, exec_lo, s3
	s_cbranch_vccnz .LBB174_3868
; %bb.3864:
	s_wait_xcnt 0x0
	v_lshlrev_b32_e32 v1, 16, v1
	s_cmp_gt_i32 s0, 0
	s_mov_b32 s0, -1
	s_cbranch_scc0 .LBB174_3866
; %bb.3865:
	s_delay_alu instid0(VALU_DEP_1)
	v_cvt_i32_f32_e32 v9, v1
	s_mov_b32 s0, 0
	global_store_b8 v[2:3], v9, off
.LBB174_3866:
	s_and_not1_b32 vcc_lo, exec_lo, s0
	s_cbranch_vccnz .LBB174_3868
; %bb.3867:
	v_trunc_f32_e32 v1, v1
	s_wait_xcnt 0x0
	s_delay_alu instid0(VALU_DEP_1) | instskip(NEXT) | instid1(VALU_DEP_1)
	v_mul_f32_e64 v9, 0x2f800000, |v1|
	v_floor_f32_e32 v9, v9
	s_delay_alu instid0(VALU_DEP_1) | instskip(SKIP_1) | instid1(VALU_DEP_2)
	v_fma_f32 v9, 0xcf800000, v9, |v1|
	v_ashrrev_i32_e32 v1, 31, v1
	v_cvt_u32_f32_e32 v9, v9
	s_delay_alu instid0(VALU_DEP_1) | instskip(NEXT) | instid1(VALU_DEP_1)
	v_xor_b32_e32 v9, v9, v1
	v_sub_nc_u32_e32 v1, v9, v1
	global_store_b8 v[2:3], v1, off
.LBB174_3868:
	s_mov_b32 s7, -1
.LBB174_3869:
	s_delay_alu instid0(SALU_CYCLE_1)
	s_and_not1_b32 vcc_lo, exec_lo, s7
	s_cbranch_vccnz .LBB174_4065
; %bb.3870:
	s_wait_xcnt 0x0
	v_dual_lshlrev_b32 v1, 16, v16 :: v_dual_lshlrev_b32 v3, 16, v5
	v_mov_b32_e32 v10, s1
	s_cmp_lt_i32 s22, 11
	s_delay_alu instid0(VALU_DEP_2) | instskip(NEXT) | instid1(VALU_DEP_1)
	v_dual_mul_f32 v1, v8, v1 :: v_dual_add_nc_u32 v0, s2, v0
	v_bfe_u32 v2, v1, 16, 1
	s_delay_alu instid0(VALU_DEP_1) | instskip(NEXT) | instid1(VALU_DEP_1)
	v_add3_u32 v2, v1, v2, 0x7fff
	v_and_b32_e32 v9, 0xffff0000, v2
	v_lshlrev_b32_e32 v2, 16, v15
	v_cmp_o_f32_e32 vcc_lo, v1, v1
	s_delay_alu instid0(VALU_DEP_3) | instskip(NEXT) | instid1(VALU_DEP_1)
	v_cndmask_b32_e32 v11, 0x7fc00000, v9, vcc_lo
	v_pk_mul_f32 v[2:3], v[10:11], v[2:3]
	s_delay_alu instid0(VALU_DEP_1) | instskip(SKIP_1) | instid1(VALU_DEP_2)
	v_dual_lshrrev_b32 v1, 16, v3 :: v_dual_lshrrev_b32 v5, 16, v2
	v_cmp_o_f32_e32 vcc_lo, v3, v3
	v_and_b32_e32 v1, 1, v1
	s_delay_alu instid0(VALU_DEP_3) | instskip(NEXT) | instid1(VALU_DEP_2)
	v_and_b32_e32 v5, 1, v5
	v_add3_u32 v1, v3, v1, 0x7fff
	s_delay_alu instid0(VALU_DEP_2) | instskip(NEXT) | instid1(VALU_DEP_2)
	v_add3_u32 v5, v2, v5, 0x7fff
	v_and_b32_e32 v1, 0xffff0000, v1
	s_delay_alu instid0(VALU_DEP_2) | instskip(NEXT) | instid1(VALU_DEP_2)
	v_and_b32_e32 v5, 0xffff0000, v5
	v_cndmask_b32_e32 v1, 0x7fc00000, v1, vcc_lo
	v_cmp_o_f32_e32 vcc_lo, v2, v2
	s_delay_alu instid0(VALU_DEP_3) | instskip(NEXT) | instid1(VALU_DEP_1)
	v_cndmask_b32_e32 v2, 0x7fc00000, v5, vcc_lo
	v_add_f32_e32 v5, v2, v1
	s_delay_alu instid0(VALU_DEP_1) | instskip(NEXT) | instid1(VALU_DEP_1)
	v_bfe_u32 v1, v5, 16, 1
	v_add3_u32 v2, v5, v1, 0x7fff
	s_delay_alu instid0(VALU_DEP_1) | instskip(SKIP_1) | instid1(VALU_DEP_2)
	v_dual_ashrrev_i32 v1, 31, v0 :: v_dual_lshrrev_b32 v9, 16, v2
	v_cmp_o_f32_e32 vcc_lo, v5, v5
	v_add_nc_u64_e32 v[2:3], s[4:5], v[0:1]
	s_delay_alu instid0(VALU_DEP_3)
	v_cndmask_b32_e32 v1, 0x7fc0, v9, vcc_lo
	s_cbranch_scc1 .LBB174_3948
; %bb.3871:
	s_and_b32 s3, 0xffff, s22
	s_mov_b32 s8, -1
	s_mov_b32 s6, 0
	s_cmp_gt_i32 s3, 25
	s_mov_b32 s7, 0
	s_mov_b32 s0, 0
	s_cbranch_scc0 .LBB174_3904
; %bb.3872:
	s_cmp_gt_i32 s3, 28
	s_cbranch_scc0 .LBB174_3887
; %bb.3873:
	s_cmp_gt_i32 s3, 43
	;; [unrolled: 3-line block ×3, first 2 shown]
	s_cbranch_scc0 .LBB174_3877
; %bb.3875:
	s_mov_b32 s0, -1
	s_mov_b32 s8, 0
	s_cmp_eq_u32 s3, 46
	s_cbranch_scc0 .LBB174_3877
; %bb.3876:
	v_and_b32_e32 v5, 0xffff, v1
	s_mov_b32 s0, 0
	s_mov_b32 s7, -1
	global_store_b32 v[2:3], v5, off
.LBB174_3877:
	s_and_b32 vcc_lo, exec_lo, s8
	s_cbranch_vccz .LBB174_3882
; %bb.3878:
	s_cmp_eq_u32 s3, 44
	s_mov_b32 s0, -1
	s_cbranch_scc0 .LBB174_3882
; %bb.3879:
	s_wait_xcnt 0x0
	v_and_b32_e32 v5, 0xffff, v1
	v_mov_b32_e32 v9, 0xff
	s_mov_b32 s7, exec_lo
	s_delay_alu instid0(VALU_DEP_2) | instskip(NEXT) | instid1(VALU_DEP_1)
	v_bfe_u32 v10, v5, 7, 8
	v_cmpx_ne_u32_e32 0xff, v10
	s_cbranch_execz .LBB174_3881
; %bb.3880:
	v_dual_lshlrev_b32 v9, 16, v5 :: v_dual_bitop2_b32 v11, 64, v5 bitop3:0x40
	v_lshrrev_b32_e32 v5, 7, v5
	s_delay_alu instid0(VALU_DEP_2) | instskip(NEXT) | instid1(VALU_DEP_3)
	v_and_or_b32 v9, 0x3f0000, v9, v10
	v_cmp_ne_u32_e32 vcc_lo, 0, v11
	s_delay_alu instid0(VALU_DEP_2) | instskip(SKIP_1) | instid1(SALU_CYCLE_1)
	v_cmp_ne_u32_e64 s0, 0, v9
	s_and_b32 s0, vcc_lo, s0
	v_cndmask_b32_e64 v9, 0, 1, s0
	s_delay_alu instid0(VALU_DEP_1)
	v_add_nc_u32_e32 v9, v5, v9
.LBB174_3881:
	s_or_b32 exec_lo, exec_lo, s7
	s_mov_b32 s0, 0
	s_mov_b32 s7, -1
	global_store_b8 v[2:3], v9, off
.LBB174_3882:
	s_mov_b32 s8, 0
.LBB174_3883:
	s_delay_alu instid0(SALU_CYCLE_1)
	s_and_b32 vcc_lo, exec_lo, s8
	s_cbranch_vccz .LBB174_3886
; %bb.3884:
	s_cmp_eq_u32 s3, 29
	s_mov_b32 s0, -1
	s_cbranch_scc0 .LBB174_3886
; %bb.3885:
	s_wait_xcnt 0x0
	v_lshlrev_b32_e32 v5, 16, v1
	s_mov_b32 s0, 0
	s_mov_b32 s7, -1
	s_delay_alu instid0(VALU_DEP_1) | instskip(NEXT) | instid1(VALU_DEP_1)
	v_trunc_f32_e32 v5, v5
	v_mul_f32_e32 v9, 0x2f800000, v5
	s_delay_alu instid0(VALU_DEP_1) | instskip(NEXT) | instid1(VALU_DEP_1)
	v_floor_f32_e32 v9, v9
	v_fmamk_f32 v5, v9, 0xcf800000, v5
	v_cvt_u32_f32_e32 v11, v9
	s_delay_alu instid0(VALU_DEP_2)
	v_cvt_u32_f32_e32 v10, v5
	global_store_b64 v[2:3], v[10:11], off
.LBB174_3886:
	s_mov_b32 s8, 0
.LBB174_3887:
	s_delay_alu instid0(SALU_CYCLE_1)
	s_and_b32 vcc_lo, exec_lo, s8
	s_cbranch_vccz .LBB174_3903
; %bb.3888:
	s_cmp_lt_i32 s3, 27
	s_mov_b32 s7, -1
	s_cbranch_scc1 .LBB174_3894
; %bb.3889:
	s_cmp_gt_i32 s3, 27
	s_cbranch_scc0 .LBB174_3891
; %bb.3890:
	s_wait_xcnt 0x0
	v_lshlrev_b32_e32 v5, 16, v1
	s_mov_b32 s7, 0
	s_delay_alu instid0(VALU_DEP_1)
	v_cvt_u32_f32_e32 v5, v5
	global_store_b32 v[2:3], v5, off
.LBB174_3891:
	s_and_not1_b32 vcc_lo, exec_lo, s7
	s_cbranch_vccnz .LBB174_3893
; %bb.3892:
	s_wait_xcnt 0x0
	v_lshlrev_b32_e32 v5, 16, v1
	s_delay_alu instid0(VALU_DEP_1)
	v_cvt_u32_f32_e32 v5, v5
	global_store_b16 v[2:3], v5, off
.LBB174_3893:
	s_mov_b32 s7, 0
.LBB174_3894:
	s_delay_alu instid0(SALU_CYCLE_1)
	s_and_not1_b32 vcc_lo, exec_lo, s7
	s_cbranch_vccnz .LBB174_3902
; %bb.3895:
	s_wait_xcnt 0x0
	v_dual_mov_b32 v11, 0x80 :: v_dual_lshlrev_b32 v10, 16, v1
	s_mov_b32 s7, exec_lo
	s_delay_alu instid0(VALU_DEP_1) | instskip(NEXT) | instid1(VALU_DEP_1)
	v_and_b32_e32 v9, 0x7fffffff, v10
	v_cmpx_gt_u32_e32 0x43800000, v9
	s_cbranch_execz .LBB174_3901
; %bb.3896:
	v_and_b32_e32 v5, 0xffff, v1
	v_cmp_lt_u32_e32 vcc_lo, 0x3bffffff, v9
	s_mov_b32 s8, 0
                                        ; implicit-def: $vgpr9
	s_and_saveexec_b32 s9, vcc_lo
	s_delay_alu instid0(SALU_CYCLE_1)
	s_xor_b32 s9, exec_lo, s9
	s_cbranch_execz .LBB174_4122
; %bb.3897:
	v_bfe_u32 v9, v5, 4, 1
	s_mov_b32 s8, exec_lo
	s_delay_alu instid0(VALU_DEP_1) | instskip(NEXT) | instid1(VALU_DEP_1)
	v_add3_u32 v9, v10, v9, 0x487ffff
                                        ; implicit-def: $vgpr10
	v_lshrrev_b32_e32 v9, 20, v9
	s_and_not1_saveexec_b32 s9, s9
	s_cbranch_execnz .LBB174_4123
.LBB174_3898:
	s_or_b32 exec_lo, exec_lo, s9
	v_mov_b32_e32 v11, 0
	s_and_saveexec_b32 s9, s8
.LBB174_3899:
	v_lshrrev_b32_e32 v5, 8, v5
	s_delay_alu instid0(VALU_DEP_1)
	v_and_or_b32 v11, 0x80, v5, v9
.LBB174_3900:
	s_or_b32 exec_lo, exec_lo, s9
.LBB174_3901:
	s_delay_alu instid0(SALU_CYCLE_1)
	s_or_b32 exec_lo, exec_lo, s7
	global_store_b8 v[2:3], v11, off
.LBB174_3902:
	s_mov_b32 s7, -1
.LBB174_3903:
	s_mov_b32 s8, 0
.LBB174_3904:
	s_delay_alu instid0(SALU_CYCLE_1)
	s_and_b32 vcc_lo, exec_lo, s8
	s_cbranch_vccz .LBB174_3944
; %bb.3905:
	s_cmp_gt_i32 s3, 22
	s_mov_b32 s6, -1
	s_cbranch_scc0 .LBB174_3937
; %bb.3906:
	s_cmp_lt_i32 s3, 24
	s_cbranch_scc1 .LBB174_3926
; %bb.3907:
	s_cmp_gt_i32 s3, 24
	s_cbranch_scc0 .LBB174_3915
; %bb.3908:
	s_wait_xcnt 0x0
	v_dual_mov_b32 v11, 0x80 :: v_dual_lshlrev_b32 v10, 16, v1
	s_mov_b32 s6, exec_lo
	s_delay_alu instid0(VALU_DEP_1) | instskip(NEXT) | instid1(VALU_DEP_1)
	v_and_b32_e32 v9, 0x7fffffff, v10
	v_cmpx_gt_u32_e32 0x47800000, v9
	s_cbranch_execz .LBB174_3914
; %bb.3909:
	v_and_b32_e32 v5, 0xffff, v1
	v_cmp_lt_u32_e32 vcc_lo, 0x37ffffff, v9
	s_mov_b32 s7, 0
                                        ; implicit-def: $vgpr9
	s_and_saveexec_b32 s8, vcc_lo
	s_delay_alu instid0(SALU_CYCLE_1)
	s_xor_b32 s8, exec_lo, s8
	s_cbranch_execz .LBB174_4125
; %bb.3910:
	v_bfe_u32 v9, v5, 5, 1
	s_mov_b32 s7, exec_lo
	s_delay_alu instid0(VALU_DEP_1) | instskip(NEXT) | instid1(VALU_DEP_1)
	v_add3_u32 v9, v10, v9, 0x88fffff
                                        ; implicit-def: $vgpr10
	v_lshrrev_b32_e32 v9, 21, v9
	s_and_not1_saveexec_b32 s8, s8
	s_cbranch_execnz .LBB174_4126
.LBB174_3911:
	s_or_b32 exec_lo, exec_lo, s8
	v_mov_b32_e32 v11, 0
	s_and_saveexec_b32 s8, s7
.LBB174_3912:
	v_lshrrev_b32_e32 v5, 8, v5
	s_delay_alu instid0(VALU_DEP_1)
	v_and_or_b32 v11, 0x80, v5, v9
.LBB174_3913:
	s_or_b32 exec_lo, exec_lo, s8
.LBB174_3914:
	s_delay_alu instid0(SALU_CYCLE_1)
	s_or_b32 exec_lo, exec_lo, s6
	s_mov_b32 s6, 0
	global_store_b8 v[2:3], v11, off
.LBB174_3915:
	s_and_b32 vcc_lo, exec_lo, s6
	s_cbranch_vccz .LBB174_3925
; %bb.3916:
	s_wait_xcnt 0x0
	v_lshlrev_b32_e32 v10, 16, v1
	v_and_b32_e32 v5, 0xffff, v1
	s_mov_b32 s6, exec_lo
                                        ; implicit-def: $vgpr9
	s_delay_alu instid0(VALU_DEP_2) | instskip(NEXT) | instid1(VALU_DEP_1)
	v_and_b32_e32 v11, 0x7fffffff, v10
	v_cmpx_gt_u32_e32 0x43f00000, v11
	s_xor_b32 s6, exec_lo, s6
	s_cbranch_execz .LBB174_3922
; %bb.3917:
	s_mov_b32 s7, exec_lo
                                        ; implicit-def: $vgpr9
	v_cmpx_lt_u32_e32 0x3c7fffff, v11
	s_xor_b32 s7, exec_lo, s7
; %bb.3918:
	v_bfe_u32 v9, v5, 4, 1
	s_delay_alu instid0(VALU_DEP_1) | instskip(NEXT) | instid1(VALU_DEP_1)
	v_add3_u32 v9, v10, v9, 0x407ffff
	v_and_b32_e32 v10, 0xff00000, v9
	v_lshrrev_b32_e32 v9, 20, v9
	s_delay_alu instid0(VALU_DEP_2) | instskip(NEXT) | instid1(VALU_DEP_2)
	v_cmp_ne_u32_e32 vcc_lo, 0x7f00000, v10
                                        ; implicit-def: $vgpr10
	v_cndmask_b32_e32 v9, 0x7e, v9, vcc_lo
; %bb.3919:
	s_and_not1_saveexec_b32 s7, s7
; %bb.3920:
	v_add_f32_e64 v9, 0x46800000, |v10|
; %bb.3921:
	s_or_b32 exec_lo, exec_lo, s7
                                        ; implicit-def: $vgpr11
.LBB174_3922:
	s_and_not1_saveexec_b32 s6, s6
; %bb.3923:
	v_mov_b32_e32 v9, 0x7f
	v_cmp_lt_u32_e32 vcc_lo, 0x7f800000, v11
	s_delay_alu instid0(VALU_DEP_2)
	v_cndmask_b32_e32 v9, 0x7e, v9, vcc_lo
; %bb.3924:
	s_or_b32 exec_lo, exec_lo, s6
	v_lshrrev_b32_e32 v5, 8, v5
	s_delay_alu instid0(VALU_DEP_1)
	v_and_or_b32 v5, 0x80, v5, v9
	global_store_b8 v[2:3], v5, off
.LBB174_3925:
	s_mov_b32 s6, 0
.LBB174_3926:
	s_delay_alu instid0(SALU_CYCLE_1)
	s_and_not1_b32 vcc_lo, exec_lo, s6
	s_cbranch_vccnz .LBB174_3936
; %bb.3927:
	s_wait_xcnt 0x0
	v_lshlrev_b32_e32 v10, 16, v1
	v_and_b32_e32 v5, 0xffff, v1
	s_mov_b32 s6, exec_lo
                                        ; implicit-def: $vgpr9
	s_delay_alu instid0(VALU_DEP_2) | instskip(NEXT) | instid1(VALU_DEP_1)
	v_and_b32_e32 v11, 0x7fffffff, v10
	v_cmpx_gt_u32_e32 0x47800000, v11
	s_xor_b32 s6, exec_lo, s6
	s_cbranch_execz .LBB174_3933
; %bb.3928:
	s_mov_b32 s7, exec_lo
                                        ; implicit-def: $vgpr9
	v_cmpx_lt_u32_e32 0x387fffff, v11
	s_xor_b32 s7, exec_lo, s7
; %bb.3929:
	v_bfe_u32 v9, v5, 5, 1
	s_delay_alu instid0(VALU_DEP_1) | instskip(NEXT) | instid1(VALU_DEP_1)
	v_add3_u32 v9, v10, v9, 0x80fffff
                                        ; implicit-def: $vgpr10
	v_lshrrev_b32_e32 v9, 21, v9
; %bb.3930:
	s_and_not1_saveexec_b32 s7, s7
; %bb.3931:
	v_add_f32_e64 v9, 0x43000000, |v10|
; %bb.3932:
	s_or_b32 exec_lo, exec_lo, s7
                                        ; implicit-def: $vgpr11
.LBB174_3933:
	s_and_not1_saveexec_b32 s6, s6
; %bb.3934:
	v_mov_b32_e32 v9, 0x7f
	v_cmp_lt_u32_e32 vcc_lo, 0x7f800000, v11
	s_delay_alu instid0(VALU_DEP_2)
	v_cndmask_b32_e32 v9, 0x7c, v9, vcc_lo
; %bb.3935:
	s_or_b32 exec_lo, exec_lo, s6
	v_lshrrev_b32_e32 v5, 8, v5
	s_delay_alu instid0(VALU_DEP_1)
	v_and_or_b32 v5, 0x80, v5, v9
	global_store_b8 v[2:3], v5, off
.LBB174_3936:
	s_mov_b32 s6, 0
	s_mov_b32 s7, -1
.LBB174_3937:
	s_and_not1_b32 vcc_lo, exec_lo, s6
	s_mov_b32 s6, 0
	s_cbranch_vccnz .LBB174_3944
; %bb.3938:
	s_cmp_gt_i32 s3, 14
	s_mov_b32 s6, -1
	s_cbranch_scc0 .LBB174_3942
; %bb.3939:
	s_cmp_eq_u32 s3, 15
	s_mov_b32 s0, -1
	s_cbranch_scc0 .LBB174_3941
; %bb.3940:
	s_mov_b32 s0, 0
	s_mov_b32 s7, -1
	global_store_b16 v[2:3], v1, off
.LBB174_3941:
	s_mov_b32 s6, 0
.LBB174_3942:
	s_delay_alu instid0(SALU_CYCLE_1)
	s_and_b32 vcc_lo, exec_lo, s6
	s_mov_b32 s6, 0
	s_cbranch_vccz .LBB174_3944
; %bb.3943:
	s_cmp_lg_u32 s3, 11
	s_mov_b32 s6, -1
	s_cselect_b32 s0, -1, 0
.LBB174_3944:
	s_delay_alu instid0(SALU_CYCLE_1)
	s_and_b32 vcc_lo, exec_lo, s0
	s_cbranch_vccnz .LBB174_4124
; %bb.3945:
	s_and_not1_b32 vcc_lo, exec_lo, s6
	s_cbranch_vccnz .LBB174_3947
.LBB174_3946:
	s_wait_xcnt 0x0
	v_and_b32_e32 v5, 0x7fff, v1
	s_mov_b32 s7, -1
	s_delay_alu instid0(VALU_DEP_1)
	v_cmp_ne_u16_e32 vcc_lo, 0, v5
	v_cndmask_b32_e64 v5, 0, 1, vcc_lo
	global_store_b8 v[2:3], v5, off
.LBB174_3947:
	s_mov_b32 s0, 0
	s_branch .LBB174_3949
.LBB174_3948:
	s_mov_b32 s0, -1
	s_mov_b32 s7, 0
.LBB174_3949:
	s_and_b32 vcc_lo, exec_lo, s0
	s_cbranch_vccz .LBB174_3988
; %bb.3950:
	s_and_b32 s0, 0xffff, s22
	s_mov_b32 s3, -1
	s_cmp_lt_i32 s0, 5
	s_cbranch_scc1 .LBB174_3971
; %bb.3951:
	s_cmp_lt_i32 s0, 8
	s_cbranch_scc1 .LBB174_3961
; %bb.3952:
	;; [unrolled: 3-line block ×3, first 2 shown]
	s_cmp_gt_i32 s0, 9
	s_cbranch_scc0 .LBB174_3955
; %bb.3954:
	s_wait_xcnt 0x0
	v_dual_mov_b32 v12, 0 :: v_dual_lshlrev_b32 v5, 16, v1
	s_mov_b32 s3, 0
	s_delay_alu instid0(VALU_DEP_1) | instskip(NEXT) | instid1(VALU_DEP_2)
	v_cvt_f64_f32_e32 v[10:11], v5
	v_mov_b32_e32 v13, v12
	global_store_b128 v[2:3], v[10:13], off
.LBB174_3955:
	s_and_not1_b32 vcc_lo, exec_lo, s3
	s_cbranch_vccnz .LBB174_3957
; %bb.3956:
	s_wait_xcnt 0x0
	v_dual_mov_b32 v11, 0 :: v_dual_lshlrev_b32 v10, 16, v1
	global_store_b64 v[2:3], v[10:11], off
.LBB174_3957:
	s_mov_b32 s3, 0
.LBB174_3958:
	s_delay_alu instid0(SALU_CYCLE_1)
	s_and_not1_b32 vcc_lo, exec_lo, s3
	s_cbranch_vccnz .LBB174_3960
; %bb.3959:
	s_wait_xcnt 0x0
	v_lshlrev_b32_e32 v5, 16, v1
	s_delay_alu instid0(VALU_DEP_1) | instskip(NEXT) | instid1(VALU_DEP_1)
	v_cvt_f16_f32_e32 v5, v5
	v_and_b32_e32 v5, 0xffff, v5
	global_store_b32 v[2:3], v5, off
.LBB174_3960:
	s_mov_b32 s3, 0
.LBB174_3961:
	s_delay_alu instid0(SALU_CYCLE_1)
	s_and_not1_b32 vcc_lo, exec_lo, s3
	s_cbranch_vccnz .LBB174_3970
; %bb.3962:
	s_cmp_lt_i32 s0, 6
	s_mov_b32 s3, -1
	s_cbranch_scc1 .LBB174_3968
; %bb.3963:
	s_cmp_gt_i32 s0, 6
	s_cbranch_scc0 .LBB174_3965
; %bb.3964:
	s_wait_xcnt 0x0
	v_lshlrev_b32_e32 v5, 16, v1
	s_mov_b32 s3, 0
	s_delay_alu instid0(VALU_DEP_1)
	v_cvt_f64_f32_e32 v[10:11], v5
	global_store_b64 v[2:3], v[10:11], off
.LBB174_3965:
	s_and_not1_b32 vcc_lo, exec_lo, s3
	s_cbranch_vccnz .LBB174_3967
; %bb.3966:
	s_wait_xcnt 0x0
	v_lshlrev_b32_e32 v5, 16, v1
	global_store_b32 v[2:3], v5, off
.LBB174_3967:
	s_mov_b32 s3, 0
.LBB174_3968:
	s_delay_alu instid0(SALU_CYCLE_1)
	s_and_not1_b32 vcc_lo, exec_lo, s3
	s_cbranch_vccnz .LBB174_3970
; %bb.3969:
	s_wait_xcnt 0x0
	v_lshlrev_b32_e32 v5, 16, v1
	s_delay_alu instid0(VALU_DEP_1)
	v_cvt_f16_f32_e32 v5, v5
	global_store_b16 v[2:3], v5, off
.LBB174_3970:
	s_mov_b32 s3, 0
.LBB174_3971:
	s_delay_alu instid0(SALU_CYCLE_1)
	s_and_not1_b32 vcc_lo, exec_lo, s3
	s_cbranch_vccnz .LBB174_3987
; %bb.3972:
	s_cmp_lt_i32 s0, 2
	s_mov_b32 s3, -1
	s_cbranch_scc1 .LBB174_3982
; %bb.3973:
	s_cmp_lt_i32 s0, 3
	s_cbranch_scc1 .LBB174_3979
; %bb.3974:
	s_cmp_gt_i32 s0, 3
	s_cbranch_scc0 .LBB174_3976
; %bb.3975:
	s_wait_xcnt 0x0
	v_lshlrev_b32_e32 v5, 16, v1
	s_mov_b32 s3, 0
	s_delay_alu instid0(VALU_DEP_1) | instskip(NEXT) | instid1(VALU_DEP_1)
	v_trunc_f32_e32 v5, v5
	v_mul_f32_e64 v9, 0x2f800000, |v5|
	v_ashrrev_i32_e32 v10, 31, v5
	s_delay_alu instid0(VALU_DEP_2) | instskip(NEXT) | instid1(VALU_DEP_1)
	v_floor_f32_e32 v9, v9
	v_fma_f32 v11, 0xcf800000, v9, |v5|
	v_cvt_u32_f32_e32 v5, v9
	s_delay_alu instid0(VALU_DEP_2) | instskip(NEXT) | instid1(VALU_DEP_2)
	v_cvt_u32_f32_e32 v9, v11
	v_dual_mov_b32 v11, v10 :: v_dual_bitop2_b32 v13, v5, v10 bitop3:0x14
	s_delay_alu instid0(VALU_DEP_2) | instskip(NEXT) | instid1(VALU_DEP_1)
	v_xor_b32_e32 v12, v9, v10
	v_sub_nc_u64_e32 v[10:11], v[12:13], v[10:11]
	global_store_b64 v[2:3], v[10:11], off
.LBB174_3976:
	s_and_not1_b32 vcc_lo, exec_lo, s3
	s_cbranch_vccnz .LBB174_3978
; %bb.3977:
	s_wait_xcnt 0x0
	v_lshlrev_b32_e32 v5, 16, v1
	s_delay_alu instid0(VALU_DEP_1)
	v_cvt_i32_f32_e32 v5, v5
	global_store_b32 v[2:3], v5, off
.LBB174_3978:
	s_mov_b32 s3, 0
.LBB174_3979:
	s_delay_alu instid0(SALU_CYCLE_1)
	s_and_not1_b32 vcc_lo, exec_lo, s3
	s_cbranch_vccnz .LBB174_3981
; %bb.3980:
	s_wait_xcnt 0x0
	v_lshlrev_b32_e32 v5, 16, v1
	s_delay_alu instid0(VALU_DEP_1)
	v_cvt_i32_f32_e32 v5, v5
	global_store_b16 v[2:3], v5, off
.LBB174_3981:
	s_mov_b32 s3, 0
.LBB174_3982:
	s_delay_alu instid0(SALU_CYCLE_1)
	s_and_not1_b32 vcc_lo, exec_lo, s3
	s_cbranch_vccnz .LBB174_3987
; %bb.3983:
	s_wait_xcnt 0x0
	v_lshlrev_b32_e32 v1, 16, v1
	s_cmp_gt_i32 s0, 0
	s_mov_b32 s0, -1
	s_cbranch_scc0 .LBB174_3985
; %bb.3984:
	s_delay_alu instid0(VALU_DEP_1)
	v_cvt_i32_f32_e32 v5, v1
	s_mov_b32 s0, 0
	global_store_b8 v[2:3], v5, off
.LBB174_3985:
	s_and_not1_b32 vcc_lo, exec_lo, s0
	s_cbranch_vccnz .LBB174_3987
; %bb.3986:
	v_trunc_f32_e32 v1, v1
	s_wait_xcnt 0x0
	s_delay_alu instid0(VALU_DEP_1) | instskip(NEXT) | instid1(VALU_DEP_1)
	v_mul_f32_e64 v5, 0x2f800000, |v1|
	v_floor_f32_e32 v5, v5
	s_delay_alu instid0(VALU_DEP_1) | instskip(SKIP_1) | instid1(VALU_DEP_2)
	v_fma_f32 v5, 0xcf800000, v5, |v1|
	v_ashrrev_i32_e32 v1, 31, v1
	v_cvt_u32_f32_e32 v5, v5
	s_delay_alu instid0(VALU_DEP_1) | instskip(NEXT) | instid1(VALU_DEP_1)
	v_xor_b32_e32 v5, v5, v1
	v_sub_nc_u32_e32 v1, v5, v1
	global_store_b8 v[2:3], v1, off
.LBB174_3987:
	s_mov_b32 s7, -1
.LBB174_3988:
	s_delay_alu instid0(SALU_CYCLE_1)
	s_and_not1_b32 vcc_lo, exec_lo, s7
	s_cbranch_vccnz .LBB174_4065
; %bb.3989:
	s_wait_xcnt 0x0
	v_dual_lshlrev_b32 v1, 16, v7 :: v_dual_lshlrev_b32 v3, 16, v4
	v_mov_b32_e32 v4, s1
	s_cmp_lt_i32 s22, 11
	s_delay_alu instid0(VALU_DEP_2) | instskip(NEXT) | instid1(VALU_DEP_1)
	v_dual_mul_f32 v1, v8, v1 :: v_dual_add_nc_u32 v0, s2, v0
	v_bfe_u32 v2, v1, 16, 1
	s_delay_alu instid0(VALU_DEP_1) | instskip(NEXT) | instid1(VALU_DEP_1)
	v_add3_u32 v2, v1, v2, 0x7fff
	v_and_b32_e32 v5, 0xffff0000, v2
	v_lshlrev_b32_e32 v2, 16, v6
	v_cmp_o_f32_e32 vcc_lo, v1, v1
	s_delay_alu instid0(VALU_DEP_3) | instskip(NEXT) | instid1(VALU_DEP_1)
	v_cndmask_b32_e32 v5, 0x7fc00000, v5, vcc_lo
	v_pk_mul_f32 v[2:3], v[4:5], v[2:3]
	s_delay_alu instid0(VALU_DEP_1) | instskip(SKIP_1) | instid1(VALU_DEP_2)
	v_dual_lshrrev_b32 v1, 16, v3 :: v_dual_lshrrev_b32 v4, 16, v2
	v_cmp_o_f32_e32 vcc_lo, v3, v3
	v_and_b32_e32 v1, 1, v1
	s_delay_alu instid0(VALU_DEP_1) | instskip(NEXT) | instid1(VALU_DEP_1)
	v_add3_u32 v1, v3, v1, 0x7fff
	v_and_b32_e32 v1, 0xffff0000, v1
	s_delay_alu instid0(VALU_DEP_1) | instskip(SKIP_2) | instid1(VALU_DEP_2)
	v_cndmask_b32_e32 v1, 0x7fc00000, v1, vcc_lo
	v_and_b32_e32 v4, 1, v4
	v_cmp_o_f32_e32 vcc_lo, v2, v2
	v_add3_u32 v4, v2, v4, 0x7fff
	s_delay_alu instid0(VALU_DEP_1) | instskip(NEXT) | instid1(VALU_DEP_1)
	v_and_b32_e32 v4, 0xffff0000, v4
	v_cndmask_b32_e32 v2, 0x7fc00000, v4, vcc_lo
	s_delay_alu instid0(VALU_DEP_1) | instskip(NEXT) | instid1(VALU_DEP_1)
	v_add_f32_e32 v2, v2, v1
	v_bfe_u32 v1, v2, 16, 1
	v_cmp_o_f32_e32 vcc_lo, v2, v2
	s_delay_alu instid0(VALU_DEP_2) | instskip(NEXT) | instid1(VALU_DEP_1)
	v_add3_u32 v3, v2, v1, 0x7fff
	v_dual_lshrrev_b32 v3, 16, v3 :: v_dual_ashrrev_i32 v1, 31, v0
	s_delay_alu instid0(VALU_DEP_1) | instskip(NEXT) | instid1(VALU_DEP_2)
	v_cndmask_b32_e32 v4, 0x7fc0, v3, vcc_lo
	v_add_nc_u64_e32 v[0:1], s[4:5], v[0:1]
	s_cbranch_scc1 .LBB174_4110
; %bb.3990:
	s_and_b32 s2, 0xffff, s22
	s_mov_b32 s3, -1
	s_mov_b32 s1, 0
	s_cmp_gt_i32 s2, 25
	s_mov_b32 s0, 0
	s_cbranch_scc0 .LBB174_4023
; %bb.3991:
	s_cmp_gt_i32 s2, 28
	s_cbranch_scc0 .LBB174_4007
; %bb.3992:
	s_cmp_gt_i32 s2, 43
	;; [unrolled: 3-line block ×3, first 2 shown]
	s_cbranch_scc0 .LBB174_3997
; %bb.3994:
	s_cmp_eq_u32 s2, 46
	s_mov_b32 s0, -1
	s_cbranch_scc0 .LBB174_3996
; %bb.3995:
	v_and_b32_e32 v2, 0xffff, v4
	s_mov_b32 s0, 0
	global_store_b32 v[0:1], v2, off
.LBB174_3996:
	s_mov_b32 s3, 0
.LBB174_3997:
	s_delay_alu instid0(SALU_CYCLE_1)
	s_and_b32 vcc_lo, exec_lo, s3
	s_cbranch_vccz .LBB174_4002
; %bb.3998:
	s_cmp_eq_u32 s2, 44
	s_mov_b32 s0, -1
	s_cbranch_scc0 .LBB174_4002
; %bb.3999:
	s_wait_xcnt 0x0
	v_and_b32_e32 v2, 0xffff, v4
	v_mov_b32_e32 v3, 0xff
	s_mov_b32 s3, exec_lo
	s_delay_alu instid0(VALU_DEP_2) | instskip(NEXT) | instid1(VALU_DEP_1)
	v_bfe_u32 v5, v2, 7, 8
	v_cmpx_ne_u32_e32 0xff, v5
	s_cbranch_execz .LBB174_4001
; %bb.4000:
	v_dual_lshlrev_b32 v3, 16, v2 :: v_dual_bitop2_b32 v6, 64, v2 bitop3:0x40
	v_lshrrev_b32_e32 v2, 7, v2
	s_delay_alu instid0(VALU_DEP_2) | instskip(NEXT) | instid1(VALU_DEP_3)
	v_and_or_b32 v3, 0x3f0000, v3, v5
	v_cmp_ne_u32_e32 vcc_lo, 0, v6
	s_delay_alu instid0(VALU_DEP_2) | instskip(SKIP_1) | instid1(SALU_CYCLE_1)
	v_cmp_ne_u32_e64 s0, 0, v3
	s_and_b32 s0, vcc_lo, s0
	v_cndmask_b32_e64 v3, 0, 1, s0
	s_delay_alu instid0(VALU_DEP_1)
	v_add_nc_u32_e32 v3, v2, v3
.LBB174_4001:
	s_or_b32 exec_lo, exec_lo, s3
	s_mov_b32 s0, 0
	global_store_b8 v[0:1], v3, off
.LBB174_4002:
	s_mov_b32 s3, 0
.LBB174_4003:
	s_delay_alu instid0(SALU_CYCLE_1)
	s_and_b32 vcc_lo, exec_lo, s3
	s_cbranch_vccz .LBB174_4006
; %bb.4004:
	s_cmp_eq_u32 s2, 29
	s_mov_b32 s0, -1
	s_cbranch_scc0 .LBB174_4006
; %bb.4005:
	s_wait_xcnt 0x0
	v_lshlrev_b32_e32 v2, 16, v4
	s_mov_b32 s0, 0
	s_delay_alu instid0(VALU_DEP_1) | instskip(NEXT) | instid1(VALU_DEP_1)
	v_trunc_f32_e32 v2, v2
	v_mul_f32_e32 v3, 0x2f800000, v2
	s_delay_alu instid0(VALU_DEP_1) | instskip(NEXT) | instid1(VALU_DEP_1)
	v_floor_f32_e32 v3, v3
	v_fmamk_f32 v2, v3, 0xcf800000, v2
	v_cvt_u32_f32_e32 v3, v3
	s_delay_alu instid0(VALU_DEP_2)
	v_cvt_u32_f32_e32 v2, v2
	global_store_b64 v[0:1], v[2:3], off
.LBB174_4006:
	s_mov_b32 s3, 0
.LBB174_4007:
	s_delay_alu instid0(SALU_CYCLE_1)
	s_and_b32 vcc_lo, exec_lo, s3
	s_cbranch_vccz .LBB174_4022
; %bb.4008:
	s_cmp_lt_i32 s2, 27
	s_mov_b32 s3, -1
	s_cbranch_scc1 .LBB174_4014
; %bb.4009:
	s_cmp_gt_i32 s2, 27
	s_cbranch_scc0 .LBB174_4011
; %bb.4010:
	s_wait_xcnt 0x0
	v_lshlrev_b32_e32 v2, 16, v4
	s_mov_b32 s3, 0
	s_delay_alu instid0(VALU_DEP_1)
	v_cvt_u32_f32_e32 v2, v2
	global_store_b32 v[0:1], v2, off
.LBB174_4011:
	s_and_not1_b32 vcc_lo, exec_lo, s3
	s_cbranch_vccnz .LBB174_4013
; %bb.4012:
	s_wait_xcnt 0x0
	v_lshlrev_b32_e32 v2, 16, v4
	s_delay_alu instid0(VALU_DEP_1)
	v_cvt_u32_f32_e32 v2, v2
	global_store_b16 v[0:1], v2, off
.LBB174_4013:
	s_mov_b32 s3, 0
.LBB174_4014:
	s_delay_alu instid0(SALU_CYCLE_1)
	s_and_not1_b32 vcc_lo, exec_lo, s3
	s_cbranch_vccnz .LBB174_4022
; %bb.4015:
	v_dual_mov_b32 v6, 0x80 :: v_dual_lshlrev_b32 v5, 16, v4
	s_mov_b32 s3, exec_lo
	s_wait_xcnt 0x0
	s_delay_alu instid0(VALU_DEP_1) | instskip(NEXT) | instid1(VALU_DEP_1)
	v_and_b32_e32 v3, 0x7fffffff, v5
	v_cmpx_gt_u32_e32 0x43800000, v3
	s_cbranch_execz .LBB174_4021
; %bb.4016:
	v_and_b32_e32 v2, 0xffff, v4
	v_cmp_lt_u32_e32 vcc_lo, 0x3bffffff, v3
	s_mov_b32 s4, 0
                                        ; implicit-def: $vgpr3
	s_and_saveexec_b32 s5, vcc_lo
	s_delay_alu instid0(SALU_CYCLE_1)
	s_xor_b32 s5, exec_lo, s5
	s_cbranch_execz .LBB174_4127
; %bb.4017:
	v_bfe_u32 v3, v2, 4, 1
	s_mov_b32 s4, exec_lo
	s_delay_alu instid0(VALU_DEP_1) | instskip(NEXT) | instid1(VALU_DEP_1)
	v_add3_u32 v3, v5, v3, 0x487ffff
                                        ; implicit-def: $vgpr5
	v_lshrrev_b32_e32 v3, 20, v3
	s_and_not1_saveexec_b32 s5, s5
	s_cbranch_execnz .LBB174_4128
.LBB174_4018:
	s_or_b32 exec_lo, exec_lo, s5
	v_mov_b32_e32 v6, 0
	s_and_saveexec_b32 s5, s4
.LBB174_4019:
	v_lshrrev_b32_e32 v2, 8, v2
	s_delay_alu instid0(VALU_DEP_1)
	v_and_or_b32 v6, 0x80, v2, v3
.LBB174_4020:
	s_or_b32 exec_lo, exec_lo, s5
.LBB174_4021:
	s_delay_alu instid0(SALU_CYCLE_1)
	s_or_b32 exec_lo, exec_lo, s3
	global_store_b8 v[0:1], v6, off
.LBB174_4022:
	s_mov_b32 s3, 0
.LBB174_4023:
	s_delay_alu instid0(SALU_CYCLE_1)
	s_and_b32 vcc_lo, exec_lo, s3
	s_cbranch_vccz .LBB174_4063
; %bb.4024:
	s_cmp_gt_i32 s2, 22
	s_mov_b32 s1, -1
	s_cbranch_scc0 .LBB174_4056
; %bb.4025:
	s_cmp_lt_i32 s2, 24
	s_cbranch_scc1 .LBB174_4045
; %bb.4026:
	s_cmp_gt_i32 s2, 24
	s_cbranch_scc0 .LBB174_4034
; %bb.4027:
	s_wait_xcnt 0x0
	v_dual_mov_b32 v6, 0x80 :: v_dual_lshlrev_b32 v5, 16, v4
	s_mov_b32 s1, exec_lo
	s_delay_alu instid0(VALU_DEP_1) | instskip(NEXT) | instid1(VALU_DEP_1)
	v_and_b32_e32 v3, 0x7fffffff, v5
	v_cmpx_gt_u32_e32 0x47800000, v3
	s_cbranch_execz .LBB174_4033
; %bb.4028:
	v_and_b32_e32 v2, 0xffff, v4
	v_cmp_lt_u32_e32 vcc_lo, 0x37ffffff, v3
	s_mov_b32 s3, 0
                                        ; implicit-def: $vgpr3
	s_and_saveexec_b32 s4, vcc_lo
	s_delay_alu instid0(SALU_CYCLE_1)
	s_xor_b32 s4, exec_lo, s4
	s_cbranch_execz .LBB174_4130
; %bb.4029:
	v_bfe_u32 v3, v2, 5, 1
	s_mov_b32 s3, exec_lo
	s_delay_alu instid0(VALU_DEP_1) | instskip(NEXT) | instid1(VALU_DEP_1)
	v_add3_u32 v3, v5, v3, 0x88fffff
                                        ; implicit-def: $vgpr5
	v_lshrrev_b32_e32 v3, 21, v3
	s_and_not1_saveexec_b32 s4, s4
	s_cbranch_execnz .LBB174_4131
.LBB174_4030:
	s_or_b32 exec_lo, exec_lo, s4
	v_mov_b32_e32 v6, 0
	s_and_saveexec_b32 s4, s3
.LBB174_4031:
	v_lshrrev_b32_e32 v2, 8, v2
	s_delay_alu instid0(VALU_DEP_1)
	v_and_or_b32 v6, 0x80, v2, v3
.LBB174_4032:
	s_or_b32 exec_lo, exec_lo, s4
.LBB174_4033:
	s_delay_alu instid0(SALU_CYCLE_1)
	s_or_b32 exec_lo, exec_lo, s1
	s_mov_b32 s1, 0
	global_store_b8 v[0:1], v6, off
.LBB174_4034:
	s_and_b32 vcc_lo, exec_lo, s1
	s_cbranch_vccz .LBB174_4044
; %bb.4035:
	v_lshlrev_b32_e32 v5, 16, v4
	s_wait_xcnt 0x0
	v_and_b32_e32 v2, 0xffff, v4
	s_mov_b32 s1, exec_lo
                                        ; implicit-def: $vgpr3
	s_delay_alu instid0(VALU_DEP_2) | instskip(NEXT) | instid1(VALU_DEP_1)
	v_and_b32_e32 v6, 0x7fffffff, v5
	v_cmpx_gt_u32_e32 0x43f00000, v6
	s_xor_b32 s1, exec_lo, s1
	s_cbranch_execz .LBB174_4041
; %bb.4036:
	s_mov_b32 s3, exec_lo
                                        ; implicit-def: $vgpr3
	v_cmpx_lt_u32_e32 0x3c7fffff, v6
	s_xor_b32 s3, exec_lo, s3
; %bb.4037:
	v_bfe_u32 v3, v2, 4, 1
	s_delay_alu instid0(VALU_DEP_1) | instskip(NEXT) | instid1(VALU_DEP_1)
	v_add3_u32 v3, v5, v3, 0x407ffff
	v_and_b32_e32 v5, 0xff00000, v3
	v_lshrrev_b32_e32 v3, 20, v3
	s_delay_alu instid0(VALU_DEP_2) | instskip(NEXT) | instid1(VALU_DEP_2)
	v_cmp_ne_u32_e32 vcc_lo, 0x7f00000, v5
                                        ; implicit-def: $vgpr5
	v_cndmask_b32_e32 v3, 0x7e, v3, vcc_lo
; %bb.4038:
	s_and_not1_saveexec_b32 s3, s3
; %bb.4039:
	v_add_f32_e64 v3, 0x46800000, |v5|
; %bb.4040:
	s_or_b32 exec_lo, exec_lo, s3
                                        ; implicit-def: $vgpr6
.LBB174_4041:
	s_and_not1_saveexec_b32 s1, s1
; %bb.4042:
	v_mov_b32_e32 v3, 0x7f
	v_cmp_lt_u32_e32 vcc_lo, 0x7f800000, v6
	s_delay_alu instid0(VALU_DEP_2)
	v_cndmask_b32_e32 v3, 0x7e, v3, vcc_lo
; %bb.4043:
	s_or_b32 exec_lo, exec_lo, s1
	v_lshrrev_b32_e32 v2, 8, v2
	s_delay_alu instid0(VALU_DEP_1)
	v_and_or_b32 v2, 0x80, v2, v3
	global_store_b8 v[0:1], v2, off
.LBB174_4044:
	s_mov_b32 s1, 0
.LBB174_4045:
	s_delay_alu instid0(SALU_CYCLE_1)
	s_and_not1_b32 vcc_lo, exec_lo, s1
	s_cbranch_vccnz .LBB174_4055
; %bb.4046:
	v_lshlrev_b32_e32 v5, 16, v4
	s_wait_xcnt 0x0
	v_and_b32_e32 v2, 0xffff, v4
	s_mov_b32 s1, exec_lo
                                        ; implicit-def: $vgpr3
	s_delay_alu instid0(VALU_DEP_2) | instskip(NEXT) | instid1(VALU_DEP_1)
	v_and_b32_e32 v6, 0x7fffffff, v5
	v_cmpx_gt_u32_e32 0x47800000, v6
	s_xor_b32 s1, exec_lo, s1
	s_cbranch_execz .LBB174_4052
; %bb.4047:
	s_mov_b32 s3, exec_lo
                                        ; implicit-def: $vgpr3
	v_cmpx_lt_u32_e32 0x387fffff, v6
	s_xor_b32 s3, exec_lo, s3
; %bb.4048:
	v_bfe_u32 v3, v2, 5, 1
	s_delay_alu instid0(VALU_DEP_1) | instskip(NEXT) | instid1(VALU_DEP_1)
	v_add3_u32 v3, v5, v3, 0x80fffff
                                        ; implicit-def: $vgpr5
	v_lshrrev_b32_e32 v3, 21, v3
; %bb.4049:
	s_and_not1_saveexec_b32 s3, s3
; %bb.4050:
	v_add_f32_e64 v3, 0x43000000, |v5|
; %bb.4051:
	s_or_b32 exec_lo, exec_lo, s3
                                        ; implicit-def: $vgpr6
.LBB174_4052:
	s_and_not1_saveexec_b32 s1, s1
; %bb.4053:
	v_mov_b32_e32 v3, 0x7f
	v_cmp_lt_u32_e32 vcc_lo, 0x7f800000, v6
	s_delay_alu instid0(VALU_DEP_2)
	v_cndmask_b32_e32 v3, 0x7c, v3, vcc_lo
; %bb.4054:
	s_or_b32 exec_lo, exec_lo, s1
	v_lshrrev_b32_e32 v2, 8, v2
	s_delay_alu instid0(VALU_DEP_1)
	v_and_or_b32 v2, 0x80, v2, v3
	global_store_b8 v[0:1], v2, off
.LBB174_4055:
	s_mov_b32 s1, 0
.LBB174_4056:
	s_delay_alu instid0(SALU_CYCLE_1)
	s_and_not1_b32 vcc_lo, exec_lo, s1
	s_mov_b32 s1, 0
	s_cbranch_vccnz .LBB174_4063
; %bb.4057:
	s_cmp_gt_i32 s2, 14
	s_mov_b32 s1, -1
	s_cbranch_scc0 .LBB174_4061
; %bb.4058:
	s_cmp_eq_u32 s2, 15
	s_mov_b32 s0, -1
	s_cbranch_scc0 .LBB174_4060
; %bb.4059:
	s_mov_b32 s0, 0
	global_store_b16 v[0:1], v4, off
.LBB174_4060:
	s_mov_b32 s1, 0
.LBB174_4061:
	s_delay_alu instid0(SALU_CYCLE_1)
	s_and_b32 vcc_lo, exec_lo, s1
	s_mov_b32 s1, 0
	s_cbranch_vccz .LBB174_4063
; %bb.4062:
	s_cmp_lg_u32 s2, 11
	s_mov_b32 s1, -1
	s_cselect_b32 s0, -1, 0
.LBB174_4063:
	s_delay_alu instid0(SALU_CYCLE_1)
	s_and_b32 vcc_lo, exec_lo, s0
	s_cbranch_vccnz .LBB174_4129
.LBB174_4064:
	s_mov_b32 s0, 0
	s_branch .LBB174_4066
.LBB174_4065:
	s_mov_b32 s0, 0
	s_mov_b32 s1, 0
                                        ; implicit-def: $sgpr22
                                        ; implicit-def: $vgpr0_vgpr1
                                        ; implicit-def: $vgpr4
.LBB174_4066:
	s_and_not1_b32 s2, s21, exec_lo
	s_and_b32 s3, s18, exec_lo
	s_and_b32 s0, s0, exec_lo
	;; [unrolled: 1-line block ×3, first 2 shown]
	s_or_b32 s21, s2, s3
.LBB174_4067:
	s_wait_xcnt 0x0
	s_or_b32 exec_lo, exec_lo, s20
	s_and_saveexec_b32 s1, s21
	s_cbranch_execz .LBB174_4070
; %bb.4068:
	; divergent unreachable
	s_or_b32 exec_lo, exec_lo, s1
	s_and_saveexec_b32 s1, s18
	s_delay_alu instid0(SALU_CYCLE_1)
	s_xor_b32 s1, exec_lo, s1
	s_cbranch_execnz .LBB174_4071
.LBB174_4069:
	s_or_b32 exec_lo, exec_lo, s1
	s_and_saveexec_b32 s1, s0
	s_cbranch_execnz .LBB174_4072
	s_branch .LBB174_4109
.LBB174_4070:
	s_or_b32 exec_lo, exec_lo, s1
	s_and_saveexec_b32 s1, s18
	s_delay_alu instid0(SALU_CYCLE_1)
	s_xor_b32 s1, exec_lo, s1
	s_cbranch_execz .LBB174_4069
.LBB174_4071:
	s_wait_loadcnt 0x0
	v_and_b32_e32 v2, 0x7fff, v4
	s_delay_alu instid0(VALU_DEP_1)
	v_cmp_ne_u16_e32 vcc_lo, 0, v2
	v_cndmask_b32_e64 v2, 0, 1, vcc_lo
	global_store_b8 v[0:1], v2, off
	s_wait_xcnt 0x0
	s_or_b32 exec_lo, exec_lo, s1
	s_and_saveexec_b32 s1, s0
	s_cbranch_execz .LBB174_4109
.LBB174_4072:
	s_sext_i32_i16 s1, s22
	s_mov_b32 s0, -1
	s_cmp_lt_i32 s1, 5
	s_cbranch_scc1 .LBB174_4093
; %bb.4073:
	s_cmp_lt_i32 s1, 8
	s_cbranch_scc1 .LBB174_4083
; %bb.4074:
	;; [unrolled: 3-line block ×3, first 2 shown]
	s_wait_loadcnt 0x0
	v_lshlrev_b32_e32 v2, 16, v4
	s_cmp_gt_i32 s1, 9
	s_cbranch_scc0 .LBB174_4077
; %bb.4076:
	s_delay_alu instid0(VALU_DEP_1) | instskip(SKIP_2) | instid1(VALU_DEP_1)
	v_cvt_f64_f32_e32 v[6:7], v2
	v_mov_b32_e32 v8, 0
	s_mov_b32 s0, 0
	v_mov_b32_e32 v9, v8
	global_store_b128 v[0:1], v[6:9], off
.LBB174_4077:
	s_and_not1_b32 vcc_lo, exec_lo, s0
	s_cbranch_vccnz .LBB174_4079
; %bb.4078:
	v_mov_b32_e32 v3, 0
	global_store_b64 v[0:1], v[2:3], off
.LBB174_4079:
	s_mov_b32 s0, 0
.LBB174_4080:
	s_delay_alu instid0(SALU_CYCLE_1)
	s_and_not1_b32 vcc_lo, exec_lo, s0
	s_cbranch_vccnz .LBB174_4082
; %bb.4081:
	s_wait_loadcnt 0x0
	v_lshlrev_b32_e32 v2, 16, v4
	s_delay_alu instid0(VALU_DEP_1) | instskip(NEXT) | instid1(VALU_DEP_1)
	v_cvt_f16_f32_e32 v2, v2
	v_and_b32_e32 v2, 0xffff, v2
	global_store_b32 v[0:1], v2, off
.LBB174_4082:
	s_mov_b32 s0, 0
.LBB174_4083:
	s_delay_alu instid0(SALU_CYCLE_1)
	s_and_not1_b32 vcc_lo, exec_lo, s0
	s_cbranch_vccnz .LBB174_4092
; %bb.4084:
	s_sext_i32_i16 s1, s22
	s_mov_b32 s0, -1
	s_cmp_lt_i32 s1, 6
	s_cbranch_scc1 .LBB174_4090
; %bb.4085:
	s_wait_loadcnt 0x0
	v_lshlrev_b32_e32 v2, 16, v4
	s_cmp_gt_i32 s1, 6
	s_cbranch_scc0 .LBB174_4087
; %bb.4086:
	s_delay_alu instid0(VALU_DEP_1)
	v_cvt_f64_f32_e32 v[6:7], v2
	s_mov_b32 s0, 0
	global_store_b64 v[0:1], v[6:7], off
.LBB174_4087:
	s_and_not1_b32 vcc_lo, exec_lo, s0
	s_cbranch_vccnz .LBB174_4089
; %bb.4088:
	global_store_b32 v[0:1], v2, off
.LBB174_4089:
	s_mov_b32 s0, 0
.LBB174_4090:
	s_delay_alu instid0(SALU_CYCLE_1)
	s_and_not1_b32 vcc_lo, exec_lo, s0
	s_cbranch_vccnz .LBB174_4092
; %bb.4091:
	s_wait_loadcnt 0x0
	v_lshlrev_b32_e32 v2, 16, v4
	s_delay_alu instid0(VALU_DEP_1)
	v_cvt_f16_f32_e32 v2, v2
	global_store_b16 v[0:1], v2, off
.LBB174_4092:
	s_mov_b32 s0, 0
.LBB174_4093:
	s_delay_alu instid0(SALU_CYCLE_1)
	s_and_not1_b32 vcc_lo, exec_lo, s0
	s_cbranch_vccnz .LBB174_4109
; %bb.4094:
	s_sext_i32_i16 s1, s22
	s_mov_b32 s0, -1
	s_cmp_lt_i32 s1, 2
	s_cbranch_scc1 .LBB174_4104
; %bb.4095:
	s_cmp_lt_i32 s1, 3
	s_cbranch_scc1 .LBB174_4101
; %bb.4096:
	s_wait_loadcnt 0x0
	v_lshlrev_b32_e32 v2, 16, v4
	s_cmp_gt_i32 s1, 3
	s_cbranch_scc0 .LBB174_4098
; %bb.4097:
	s_delay_alu instid0(VALU_DEP_1) | instskip(SKIP_1) | instid1(VALU_DEP_1)
	v_trunc_f32_e32 v3, v2
	s_mov_b32 s0, 0
	v_mul_f32_e64 v5, 0x2f800000, |v3|
	v_ashrrev_i32_e32 v6, 31, v3
	s_delay_alu instid0(VALU_DEP_2) | instskip(NEXT) | instid1(VALU_DEP_1)
	v_floor_f32_e32 v5, v5
	v_fma_f32 v7, 0xcf800000, v5, |v3|
	v_cvt_u32_f32_e32 v3, v5
	s_delay_alu instid0(VALU_DEP_2) | instskip(NEXT) | instid1(VALU_DEP_2)
	v_cvt_u32_f32_e32 v5, v7
	v_dual_mov_b32 v7, v6 :: v_dual_bitop2_b32 v9, v3, v6 bitop3:0x14
	s_delay_alu instid0(VALU_DEP_2) | instskip(NEXT) | instid1(VALU_DEP_1)
	v_xor_b32_e32 v8, v5, v6
	v_sub_nc_u64_e32 v[6:7], v[8:9], v[6:7]
	global_store_b64 v[0:1], v[6:7], off
.LBB174_4098:
	s_and_not1_b32 vcc_lo, exec_lo, s0
	s_cbranch_vccnz .LBB174_4100
; %bb.4099:
	v_cvt_i32_f32_e32 v2, v2
	global_store_b32 v[0:1], v2, off
.LBB174_4100:
	s_mov_b32 s0, 0
.LBB174_4101:
	s_delay_alu instid0(SALU_CYCLE_1)
	s_and_not1_b32 vcc_lo, exec_lo, s0
	s_cbranch_vccnz .LBB174_4103
; %bb.4102:
	s_wait_loadcnt 0x0
	v_lshlrev_b32_e32 v2, 16, v4
	s_delay_alu instid0(VALU_DEP_1)
	v_cvt_i32_f32_e32 v2, v2
	global_store_b16 v[0:1], v2, off
.LBB174_4103:
	s_mov_b32 s0, 0
.LBB174_4104:
	s_delay_alu instid0(SALU_CYCLE_1)
	s_and_not1_b32 vcc_lo, exec_lo, s0
	s_cbranch_vccnz .LBB174_4109
; %bb.4105:
	s_wait_loadcnt 0x0
	v_lshlrev_b32_e32 v2, 16, v4
	s_sext_i32_i16 s0, s22
	s_delay_alu instid0(SALU_CYCLE_1)
	s_cmp_gt_i32 s0, 0
	s_mov_b32 s0, -1
	s_cbranch_scc0 .LBB174_4107
; %bb.4106:
	v_cvt_i32_f32_e32 v3, v2
	s_mov_b32 s0, 0
	global_store_b8 v[0:1], v3, off
.LBB174_4107:
	s_and_not1_b32 vcc_lo, exec_lo, s0
	s_cbranch_vccnz .LBB174_4109
; %bb.4108:
	v_trunc_f32_e32 v2, v2
	s_wait_xcnt 0x0
	s_delay_alu instid0(VALU_DEP_1) | instskip(NEXT) | instid1(VALU_DEP_1)
	v_mul_f32_e64 v3, 0x2f800000, |v2|
	v_floor_f32_e32 v3, v3
	s_delay_alu instid0(VALU_DEP_1) | instskip(SKIP_1) | instid1(VALU_DEP_2)
	v_fma_f32 v3, 0xcf800000, v3, |v2|
	v_ashrrev_i32_e32 v2, 31, v2
	v_cvt_u32_f32_e32 v3, v3
	s_delay_alu instid0(VALU_DEP_1) | instskip(NEXT) | instid1(VALU_DEP_1)
	v_xor_b32_e32 v3, v3, v2
	v_sub_nc_u32_e32 v2, v3, v2
	global_store_b8 v[0:1], v2, off
	s_endpgm
.LBB174_4109:
	s_endpgm
.LBB174_4110:
	s_mov_b32 s1, 0
	s_mov_b32 s0, -1
	s_branch .LBB174_4066
.LBB174_4111:
	s_or_b32 s18, s18, exec_lo
	s_trap 2
	s_cbranch_execz .LBB174_3580
	s_branch .LBB174_3581
.LBB174_4112:
	s_and_not1_saveexec_b32 s8, s8
	s_cbranch_execz .LBB174_3660
.LBB174_4113:
	v_add_f32_e64 v10, 0x46000000, |v11|
	s_and_not1_b32 s7, s7, exec_lo
	s_delay_alu instid0(VALU_DEP_1) | instskip(NEXT) | instid1(VALU_DEP_1)
	v_and_b32_e32 v10, 0xff, v10
	v_cmp_ne_u32_e32 vcc_lo, 0, v10
	s_and_b32 s9, vcc_lo, exec_lo
	s_delay_alu instid0(SALU_CYCLE_1)
	s_or_b32 s7, s7, s9
	s_or_b32 exec_lo, exec_lo, s8
	v_mov_b32_e32 v17, 0
	s_and_saveexec_b32 s8, s7
	s_cbranch_execnz .LBB174_3661
	s_branch .LBB174_3662
.LBB174_4114:
	s_or_b32 s18, s18, exec_lo
	s_trap 2
	s_cbranch_execz .LBB174_3708
	s_branch .LBB174_3709
.LBB174_4115:
	s_and_not1_saveexec_b32 s7, s7
	s_cbranch_execz .LBB174_3673
.LBB174_4116:
	v_add_f32_e64 v10, 0x42800000, |v11|
	s_and_not1_b32 s6, s6, exec_lo
	s_delay_alu instid0(VALU_DEP_1) | instskip(NEXT) | instid1(VALU_DEP_1)
	v_and_b32_e32 v10, 0xff, v10
	v_cmp_ne_u32_e32 vcc_lo, 0, v10
	s_and_b32 s8, vcc_lo, exec_lo
	s_delay_alu instid0(SALU_CYCLE_1)
	s_or_b32 s6, s6, s8
	s_or_b32 exec_lo, exec_lo, s7
	v_mov_b32_e32 v17, 0
	s_and_saveexec_b32 s7, s6
	s_cbranch_execnz .LBB174_3674
	s_branch .LBB174_3675
.LBB174_4117:
	s_and_not1_saveexec_b32 s9, s9
	s_cbranch_execz .LBB174_3779
.LBB174_4118:
	v_add_f32_e64 v10, 0x46000000, |v11|
	s_and_not1_b32 s8, s8, exec_lo
	s_delay_alu instid0(VALU_DEP_1) | instskip(NEXT) | instid1(VALU_DEP_1)
	v_and_b32_e32 v10, 0xff, v10
	v_cmp_ne_u32_e32 vcc_lo, 0, v10
	s_and_b32 s10, vcc_lo, exec_lo
	s_delay_alu instid0(SALU_CYCLE_1)
	s_or_b32 s8, s8, s10
	s_or_b32 exec_lo, exec_lo, s9
	v_mov_b32_e32 v12, 0
	s_and_saveexec_b32 s9, s8
	s_cbranch_execnz .LBB174_3780
	s_branch .LBB174_3781
.LBB174_4119:
	s_or_b32 s18, s18, exec_lo
	s_trap 2
	s_cbranch_execz .LBB174_3827
	s_branch .LBB174_3828
.LBB174_4120:
	s_and_not1_saveexec_b32 s8, s8
	s_cbranch_execz .LBB174_3792
.LBB174_4121:
	v_add_f32_e64 v10, 0x42800000, |v11|
	s_and_not1_b32 s7, s7, exec_lo
	s_delay_alu instid0(VALU_DEP_1) | instskip(NEXT) | instid1(VALU_DEP_1)
	v_and_b32_e32 v10, 0xff, v10
	v_cmp_ne_u32_e32 vcc_lo, 0, v10
	s_and_b32 s9, vcc_lo, exec_lo
	s_delay_alu instid0(SALU_CYCLE_1)
	s_or_b32 s7, s7, s9
	s_or_b32 exec_lo, exec_lo, s8
	v_mov_b32_e32 v12, 0
	s_and_saveexec_b32 s8, s7
	s_cbranch_execnz .LBB174_3793
	s_branch .LBB174_3794
.LBB174_4122:
	s_and_not1_saveexec_b32 s9, s9
	s_cbranch_execz .LBB174_3898
.LBB174_4123:
	v_add_f32_e64 v9, 0x46000000, |v10|
	s_and_not1_b32 s8, s8, exec_lo
	s_delay_alu instid0(VALU_DEP_1) | instskip(NEXT) | instid1(VALU_DEP_1)
	v_and_b32_e32 v9, 0xff, v9
	v_cmp_ne_u32_e32 vcc_lo, 0, v9
	s_and_b32 s10, vcc_lo, exec_lo
	s_delay_alu instid0(SALU_CYCLE_1)
	s_or_b32 s8, s8, s10
	s_or_b32 exec_lo, exec_lo, s9
	v_mov_b32_e32 v11, 0
	s_and_saveexec_b32 s9, s8
	s_cbranch_execnz .LBB174_3899
	s_branch .LBB174_3900
.LBB174_4124:
	s_or_b32 s18, s18, exec_lo
	s_trap 2
	s_cbranch_execz .LBB174_3946
	s_branch .LBB174_3947
.LBB174_4125:
	s_and_not1_saveexec_b32 s8, s8
	s_cbranch_execz .LBB174_3911
.LBB174_4126:
	v_add_f32_e64 v9, 0x42800000, |v10|
	s_and_not1_b32 s7, s7, exec_lo
	s_delay_alu instid0(VALU_DEP_1) | instskip(NEXT) | instid1(VALU_DEP_1)
	v_and_b32_e32 v9, 0xff, v9
	v_cmp_ne_u32_e32 vcc_lo, 0, v9
	s_and_b32 s9, vcc_lo, exec_lo
	s_delay_alu instid0(SALU_CYCLE_1)
	s_or_b32 s7, s7, s9
	s_or_b32 exec_lo, exec_lo, s8
	v_mov_b32_e32 v11, 0
	s_and_saveexec_b32 s8, s7
	s_cbranch_execnz .LBB174_3912
	s_branch .LBB174_3913
.LBB174_4127:
	s_and_not1_saveexec_b32 s5, s5
	s_cbranch_execz .LBB174_4018
.LBB174_4128:
	v_add_f32_e64 v3, 0x46000000, |v5|
	s_and_not1_b32 s4, s4, exec_lo
	s_delay_alu instid0(VALU_DEP_1) | instskip(NEXT) | instid1(VALU_DEP_1)
	v_and_b32_e32 v3, 0xff, v3
	v_cmp_ne_u32_e32 vcc_lo, 0, v3
	s_and_b32 s6, vcc_lo, exec_lo
	s_delay_alu instid0(SALU_CYCLE_1)
	s_or_b32 s4, s4, s6
	s_or_b32 exec_lo, exec_lo, s5
	v_mov_b32_e32 v6, 0
	s_and_saveexec_b32 s5, s4
	s_cbranch_execnz .LBB174_4019
	s_branch .LBB174_4020
.LBB174_4129:
	s_mov_b32 s1, 0
	s_or_b32 s18, s18, exec_lo
	s_trap 2
	s_branch .LBB174_4064
.LBB174_4130:
	s_and_not1_saveexec_b32 s4, s4
	s_cbranch_execz .LBB174_4030
.LBB174_4131:
	v_add_f32_e64 v3, 0x42800000, |v5|
	s_and_not1_b32 s3, s3, exec_lo
	s_delay_alu instid0(VALU_DEP_1) | instskip(NEXT) | instid1(VALU_DEP_1)
	v_and_b32_e32 v3, 0xff, v3
	v_cmp_ne_u32_e32 vcc_lo, 0, v3
	s_and_b32 s5, vcc_lo, exec_lo
	s_delay_alu instid0(SALU_CYCLE_1)
	s_or_b32 s3, s3, s5
	s_or_b32 exec_lo, exec_lo, s4
	v_mov_b32_e32 v6, 0
	s_and_saveexec_b32 s4, s3
	s_cbranch_execnz .LBB174_4031
	s_branch .LBB174_4032
	.section	.rodata,"a",@progbits
	.p2align	6, 0x0
	.amdhsa_kernel _ZN2at6native32elementwise_kernel_manual_unrollILi128ELi4EZNS0_15gpu_kernel_implIZZZNS0_12_GLOBAL__N_116addr_kernel_cudaERNS_14TensorIteratorERKN3c106ScalarES9_ENKUlvE_clEvENKUlvE8_clEvEUlNS6_8BFloat16ESC_SC_E0_EEvRNS_18TensorIteratorBaseERKT_EUlibE_EEviT1_
		.amdhsa_group_segment_fixed_size 0
		.amdhsa_private_segment_fixed_size 0
		.amdhsa_kernarg_size 64
		.amdhsa_user_sgpr_count 2
		.amdhsa_user_sgpr_dispatch_ptr 0
		.amdhsa_user_sgpr_queue_ptr 0
		.amdhsa_user_sgpr_kernarg_segment_ptr 1
		.amdhsa_user_sgpr_dispatch_id 0
		.amdhsa_user_sgpr_kernarg_preload_length 0
		.amdhsa_user_sgpr_kernarg_preload_offset 0
		.amdhsa_user_sgpr_private_segment_size 0
		.amdhsa_wavefront_size32 1
		.amdhsa_uses_dynamic_stack 0
		.amdhsa_enable_private_segment 0
		.amdhsa_system_sgpr_workgroup_id_x 1
		.amdhsa_system_sgpr_workgroup_id_y 0
		.amdhsa_system_sgpr_workgroup_id_z 0
		.amdhsa_system_sgpr_workgroup_info 0
		.amdhsa_system_vgpr_workitem_id 0
		.amdhsa_next_free_vgpr 22
		.amdhsa_next_free_sgpr 46
		.amdhsa_named_barrier_count 0
		.amdhsa_reserve_vcc 1
		.amdhsa_float_round_mode_32 0
		.amdhsa_float_round_mode_16_64 0
		.amdhsa_float_denorm_mode_32 3
		.amdhsa_float_denorm_mode_16_64 3
		.amdhsa_fp16_overflow 0
		.amdhsa_memory_ordered 1
		.amdhsa_forward_progress 1
		.amdhsa_inst_pref_size 255
		.amdhsa_round_robin_scheduling 0
		.amdhsa_exception_fp_ieee_invalid_op 0
		.amdhsa_exception_fp_denorm_src 0
		.amdhsa_exception_fp_ieee_div_zero 0
		.amdhsa_exception_fp_ieee_overflow 0
		.amdhsa_exception_fp_ieee_underflow 0
		.amdhsa_exception_fp_ieee_inexact 0
		.amdhsa_exception_int_div_zero 0
	.end_amdhsa_kernel
	.section	.text._ZN2at6native32elementwise_kernel_manual_unrollILi128ELi4EZNS0_15gpu_kernel_implIZZZNS0_12_GLOBAL__N_116addr_kernel_cudaERNS_14TensorIteratorERKN3c106ScalarES9_ENKUlvE_clEvENKUlvE8_clEvEUlNS6_8BFloat16ESC_SC_E0_EEvRNS_18TensorIteratorBaseERKT_EUlibE_EEviT1_,"axG",@progbits,_ZN2at6native32elementwise_kernel_manual_unrollILi128ELi4EZNS0_15gpu_kernel_implIZZZNS0_12_GLOBAL__N_116addr_kernel_cudaERNS_14TensorIteratorERKN3c106ScalarES9_ENKUlvE_clEvENKUlvE8_clEvEUlNS6_8BFloat16ESC_SC_E0_EEvRNS_18TensorIteratorBaseERKT_EUlibE_EEviT1_,comdat
.Lfunc_end174:
	.size	_ZN2at6native32elementwise_kernel_manual_unrollILi128ELi4EZNS0_15gpu_kernel_implIZZZNS0_12_GLOBAL__N_116addr_kernel_cudaERNS_14TensorIteratorERKN3c106ScalarES9_ENKUlvE_clEvENKUlvE8_clEvEUlNS6_8BFloat16ESC_SC_E0_EEvRNS_18TensorIteratorBaseERKT_EUlibE_EEviT1_, .Lfunc_end174-_ZN2at6native32elementwise_kernel_manual_unrollILi128ELi4EZNS0_15gpu_kernel_implIZZZNS0_12_GLOBAL__N_116addr_kernel_cudaERNS_14TensorIteratorERKN3c106ScalarES9_ENKUlvE_clEvENKUlvE8_clEvEUlNS6_8BFloat16ESC_SC_E0_EEvRNS_18TensorIteratorBaseERKT_EUlibE_EEviT1_
                                        ; -- End function
	.set _ZN2at6native32elementwise_kernel_manual_unrollILi128ELi4EZNS0_15gpu_kernel_implIZZZNS0_12_GLOBAL__N_116addr_kernel_cudaERNS_14TensorIteratorERKN3c106ScalarES9_ENKUlvE_clEvENKUlvE8_clEvEUlNS6_8BFloat16ESC_SC_E0_EEvRNS_18TensorIteratorBaseERKT_EUlibE_EEviT1_.num_vgpr, 22
	.set _ZN2at6native32elementwise_kernel_manual_unrollILi128ELi4EZNS0_15gpu_kernel_implIZZZNS0_12_GLOBAL__N_116addr_kernel_cudaERNS_14TensorIteratorERKN3c106ScalarES9_ENKUlvE_clEvENKUlvE8_clEvEUlNS6_8BFloat16ESC_SC_E0_EEvRNS_18TensorIteratorBaseERKT_EUlibE_EEviT1_.num_agpr, 0
	.set _ZN2at6native32elementwise_kernel_manual_unrollILi128ELi4EZNS0_15gpu_kernel_implIZZZNS0_12_GLOBAL__N_116addr_kernel_cudaERNS_14TensorIteratorERKN3c106ScalarES9_ENKUlvE_clEvENKUlvE8_clEvEUlNS6_8BFloat16ESC_SC_E0_EEvRNS_18TensorIteratorBaseERKT_EUlibE_EEviT1_.numbered_sgpr, 46
	.set _ZN2at6native32elementwise_kernel_manual_unrollILi128ELi4EZNS0_15gpu_kernel_implIZZZNS0_12_GLOBAL__N_116addr_kernel_cudaERNS_14TensorIteratorERKN3c106ScalarES9_ENKUlvE_clEvENKUlvE8_clEvEUlNS6_8BFloat16ESC_SC_E0_EEvRNS_18TensorIteratorBaseERKT_EUlibE_EEviT1_.num_named_barrier, 0
	.set _ZN2at6native32elementwise_kernel_manual_unrollILi128ELi4EZNS0_15gpu_kernel_implIZZZNS0_12_GLOBAL__N_116addr_kernel_cudaERNS_14TensorIteratorERKN3c106ScalarES9_ENKUlvE_clEvENKUlvE8_clEvEUlNS6_8BFloat16ESC_SC_E0_EEvRNS_18TensorIteratorBaseERKT_EUlibE_EEviT1_.private_seg_size, 0
	.set _ZN2at6native32elementwise_kernel_manual_unrollILi128ELi4EZNS0_15gpu_kernel_implIZZZNS0_12_GLOBAL__N_116addr_kernel_cudaERNS_14TensorIteratorERKN3c106ScalarES9_ENKUlvE_clEvENKUlvE8_clEvEUlNS6_8BFloat16ESC_SC_E0_EEvRNS_18TensorIteratorBaseERKT_EUlibE_EEviT1_.uses_vcc, 1
	.set _ZN2at6native32elementwise_kernel_manual_unrollILi128ELi4EZNS0_15gpu_kernel_implIZZZNS0_12_GLOBAL__N_116addr_kernel_cudaERNS_14TensorIteratorERKN3c106ScalarES9_ENKUlvE_clEvENKUlvE8_clEvEUlNS6_8BFloat16ESC_SC_E0_EEvRNS_18TensorIteratorBaseERKT_EUlibE_EEviT1_.uses_flat_scratch, 0
	.set _ZN2at6native32elementwise_kernel_manual_unrollILi128ELi4EZNS0_15gpu_kernel_implIZZZNS0_12_GLOBAL__N_116addr_kernel_cudaERNS_14TensorIteratorERKN3c106ScalarES9_ENKUlvE_clEvENKUlvE8_clEvEUlNS6_8BFloat16ESC_SC_E0_EEvRNS_18TensorIteratorBaseERKT_EUlibE_EEviT1_.has_dyn_sized_stack, 0
	.set _ZN2at6native32elementwise_kernel_manual_unrollILi128ELi4EZNS0_15gpu_kernel_implIZZZNS0_12_GLOBAL__N_116addr_kernel_cudaERNS_14TensorIteratorERKN3c106ScalarES9_ENKUlvE_clEvENKUlvE8_clEvEUlNS6_8BFloat16ESC_SC_E0_EEvRNS_18TensorIteratorBaseERKT_EUlibE_EEviT1_.has_recursion, 0
	.set _ZN2at6native32elementwise_kernel_manual_unrollILi128ELi4EZNS0_15gpu_kernel_implIZZZNS0_12_GLOBAL__N_116addr_kernel_cudaERNS_14TensorIteratorERKN3c106ScalarES9_ENKUlvE_clEvENKUlvE8_clEvEUlNS6_8BFloat16ESC_SC_E0_EEvRNS_18TensorIteratorBaseERKT_EUlibE_EEviT1_.has_indirect_call, 0
	.section	.AMDGPU.csdata,"",@progbits
; Kernel info:
; codeLenInByte = 94600
; TotalNumSgprs: 48
; NumVgprs: 22
; ScratchSize: 0
; MemoryBound: 0
; FloatMode: 240
; IeeeMode: 1
; LDSByteSize: 0 bytes/workgroup (compile time only)
; SGPRBlocks: 0
; VGPRBlocks: 1
; NumSGPRsForWavesPerEU: 48
; NumVGPRsForWavesPerEU: 22
; NamedBarCnt: 0
; Occupancy: 16
; WaveLimiterHint : 0
; COMPUTE_PGM_RSRC2:SCRATCH_EN: 0
; COMPUTE_PGM_RSRC2:USER_SGPR: 2
; COMPUTE_PGM_RSRC2:TRAP_HANDLER: 0
; COMPUTE_PGM_RSRC2:TGID_X_EN: 1
; COMPUTE_PGM_RSRC2:TGID_Y_EN: 0
; COMPUTE_PGM_RSRC2:TGID_Z_EN: 0
; COMPUTE_PGM_RSRC2:TIDIG_COMP_CNT: 0
	.section	.text._ZN2at6native32elementwise_kernel_manual_unrollILi128ELi4EZNS0_15gpu_kernel_implIZZZNS0_12_GLOBAL__N_116addr_kernel_cudaERNS_14TensorIteratorERKN3c106ScalarES9_ENKUlvE_clEvENKUlvE8_clEvEUlNS6_8BFloat16ESC_SC_E0_EEvRNS_18TensorIteratorBaseERKT_EUlibE0_EEviT1_,"axG",@progbits,_ZN2at6native32elementwise_kernel_manual_unrollILi128ELi4EZNS0_15gpu_kernel_implIZZZNS0_12_GLOBAL__N_116addr_kernel_cudaERNS_14TensorIteratorERKN3c106ScalarES9_ENKUlvE_clEvENKUlvE8_clEvEUlNS6_8BFloat16ESC_SC_E0_EEvRNS_18TensorIteratorBaseERKT_EUlibE0_EEviT1_,comdat
	.globl	_ZN2at6native32elementwise_kernel_manual_unrollILi128ELi4EZNS0_15gpu_kernel_implIZZZNS0_12_GLOBAL__N_116addr_kernel_cudaERNS_14TensorIteratorERKN3c106ScalarES9_ENKUlvE_clEvENKUlvE8_clEvEUlNS6_8BFloat16ESC_SC_E0_EEvRNS_18TensorIteratorBaseERKT_EUlibE0_EEviT1_ ; -- Begin function _ZN2at6native32elementwise_kernel_manual_unrollILi128ELi4EZNS0_15gpu_kernel_implIZZZNS0_12_GLOBAL__N_116addr_kernel_cudaERNS_14TensorIteratorERKN3c106ScalarES9_ENKUlvE_clEvENKUlvE8_clEvEUlNS6_8BFloat16ESC_SC_E0_EEvRNS_18TensorIteratorBaseERKT_EUlibE0_EEviT1_
	.p2align	8
	.type	_ZN2at6native32elementwise_kernel_manual_unrollILi128ELi4EZNS0_15gpu_kernel_implIZZZNS0_12_GLOBAL__N_116addr_kernel_cudaERNS_14TensorIteratorERKN3c106ScalarES9_ENKUlvE_clEvENKUlvE8_clEvEUlNS6_8BFloat16ESC_SC_E0_EEvRNS_18TensorIteratorBaseERKT_EUlibE0_EEviT1_,@function
_ZN2at6native32elementwise_kernel_manual_unrollILi128ELi4EZNS0_15gpu_kernel_implIZZZNS0_12_GLOBAL__N_116addr_kernel_cudaERNS_14TensorIteratorERKN3c106ScalarES9_ENKUlvE_clEvENKUlvE8_clEvEUlNS6_8BFloat16ESC_SC_E0_EEvRNS_18TensorIteratorBaseERKT_EUlibE0_EEviT1_: ; @_ZN2at6native32elementwise_kernel_manual_unrollILi128ELi4EZNS0_15gpu_kernel_implIZZZNS0_12_GLOBAL__N_116addr_kernel_cudaERNS_14TensorIteratorERKN3c106ScalarES9_ENKUlvE_clEvENKUlvE8_clEvEUlNS6_8BFloat16ESC_SC_E0_EEvRNS_18TensorIteratorBaseERKT_EUlibE0_EEviT1_
; %bb.0:
	s_clause 0x1
	s_load_b32 s33, s[0:1], 0x8
	s_load_b32 s46, s[0:1], 0x0
	s_bfe_u32 s2, ttmp6, 0x4000c
	s_and_b32 s3, ttmp6, 15
	s_add_co_i32 s2, s2, 1
	s_getreg_b32 s4, hwreg(HW_REG_IB_STS2, 6, 4)
	s_mul_i32 s2, ttmp9, s2
	s_mov_b32 s37, 0
	s_add_co_i32 s3, s3, s2
	s_cmp_eq_u32 s4, 0
	s_mov_b32 s31, -1
	s_cselect_b32 s2, ttmp9, s3
	s_mov_b32 s12, 0
	v_lshl_or_b32 v0, s2, 9, v0
	s_add_nc_u64 s[2:3], s[0:1], 8
	s_wait_xcnt 0x0
	s_mov_b32 s0, exec_lo
	s_delay_alu instid0(VALU_DEP_1) | instskip(SKIP_2) | instid1(SALU_CYCLE_1)
	v_or_b32_e32 v5, 0x180, v0
	s_wait_kmcnt 0x0
	s_add_co_i32 s36, s33, -1
	s_cmp_gt_u32 s36, 1
	s_cselect_b32 s38, -1, 0
	v_cmpx_le_i32_e64 s46, v5
	s_xor_b32 s39, exec_lo, s0
	s_cbranch_execz .LBB175_2109
; %bb.1:
	s_clause 0x4
	s_load_b128 s[20:23], s[2:3], 0x4
	s_load_b64 s[26:27], s[2:3], 0x14
	s_load_b64 s[0:1], s[2:3], 0x1e8
	s_load_b256 s[12:19], s[2:3], 0xc4
	s_load_b256 s[4:11], s[2:3], 0x1c8
	s_cmp_lg_u32 s33, 0
	s_mov_b32 s25, 0
	s_cselect_b32 s47, -1, 0
	s_min_u32 s44, s36, 15
	s_cmp_gt_u32 s33, 1
	s_mov_b32 s29, s25
	s_mov_b32 s50, s25
	s_cselect_b32 s43, -1, 0
	s_mov_b32 s49, s25
	s_mov_b32 s48, s25
	;; [unrolled: 1-line block ×3, first 2 shown]
	s_mov_b32 s51, exec_lo
	s_wait_kmcnt 0x0
	s_mov_b32 s24, s21
	s_mov_b32 s28, s26
	s_lshr_b32 s41, s1, 16
	s_lshr_b32 s42, s1, 8
	;; [unrolled: 1-line block ×3, first 2 shown]
	s_lshl_b32 s21, s0, 16
	s_pack_lh_b32_b16 s26, 0, s0
	v_cmpx_gt_i32_e64 s46, v0
	s_cbranch_execz .LBB175_523
; %bb.2:
	s_and_not1_b32 vcc_lo, exec_lo, s38
	s_cbranch_vccnz .LBB175_8
; %bb.3:
	s_and_not1_b32 vcc_lo, exec_lo, s47
	s_cbranch_vccnz .LBB175_9
; %bb.4:
	v_dual_mov_b32 v6, 0 :: v_dual_mov_b32 v1, v0
	v_dual_mov_b32 v4, 0 :: v_dual_mov_b32 v2, 0
	v_mov_b32_e32 v8, 0
	s_add_co_i32 s0, s44, 1
	s_mov_b64 s[30:31], 0xffffffffffffffe0
	s_and_b32 s0, s0, 30
	s_add_nc_u64 s[30:31], s[2:3], s[30:31]
	s_mov_b64 s[34:35], s[2:3]
.LBB175_5:                              ; =>This Inner Loop Header: Depth=1
	s_clause 0x1
	s_load_b128 s[60:63], s[34:35], 0x4
	s_load_b64 s[48:49], s[34:35], 0x14
	s_load_b256 s[52:59], s[30:31], 0xe4
	s_add_co_i32 s0, s0, -2
	s_wait_xcnt 0x0
	s_add_nc_u64 s[34:35], s[34:35], 24
	s_cmp_lg_u32 s0, 0
	s_add_nc_u64 s[30:31], s[30:31], 32
	s_wait_kmcnt 0x0
	v_mul_hi_u32 v3, s61, v1
	s_delay_alu instid0(VALU_DEP_1) | instskip(NEXT) | instid1(VALU_DEP_1)
	v_add_nc_u32_e32 v3, v1, v3
	v_lshrrev_b32_e32 v3, s62, v3
	s_delay_alu instid0(VALU_DEP_1) | instskip(SKIP_1) | instid1(VALU_DEP_1)
	v_mul_hi_u32 v5, s48, v3
	v_mul_lo_u32 v7, v3, s60
	v_dual_add_nc_u32 v5, v3, v5 :: v_dual_sub_nc_u32 v7, v1, v7
	s_delay_alu instid0(VALU_DEP_1) | instskip(NEXT) | instid1(VALU_DEP_2)
	v_lshrrev_b32_e32 v1, s49, v5
	v_mad_u32 v8, v7, s53, v8
	v_mad_u32 v2, v7, s52, v2
	;; [unrolled: 1-line block ×4, first 2 shown]
	v_mul_lo_u32 v5, v1, s63
	s_delay_alu instid0(VALU_DEP_1) | instskip(NEXT) | instid1(VALU_DEP_1)
	v_sub_nc_u32_e32 v3, v3, v5
	v_mad_u32 v8, v3, s57, v8
	v_mad_u32 v2, v3, s56, v2
	;; [unrolled: 1-line block ×4, first 2 shown]
	s_cbranch_scc1 .LBB175_5
; %bb.6:
	s_bitcmp1_b32 s44, 0
	s_cselect_b32 s0, -1, 0
	s_delay_alu instid0(SALU_CYCLE_1)
	s_and_b32 vcc_lo, exec_lo, s0
	s_cbranch_vccnz .LBB175_10
; %bb.7:
	s_load_b96 s[48:50], s[34:35], 0x4
	s_load_b128 s[52:55], s[30:31], 0xe4
	s_wait_kmcnt 0x0
	v_mul_hi_u32 v3, s49, v1
	s_delay_alu instid0(VALU_DEP_1) | instskip(NEXT) | instid1(VALU_DEP_1)
	v_add_nc_u32_e32 v3, v1, v3
	v_lshrrev_b32_e32 v3, s50, v3
	s_delay_alu instid0(VALU_DEP_1) | instskip(NEXT) | instid1(VALU_DEP_1)
	v_mul_lo_u32 v3, v3, s48
	v_sub_nc_u32_e32 v1, v1, v3
	s_delay_alu instid0(VALU_DEP_1)
	v_mad_u32 v2, v1, s52, v2
	v_mad_u32 v8, v1, s53, v8
	;; [unrolled: 1-line block ×4, first 2 shown]
	s_cbranch_execz .LBB175_11
	s_branch .LBB175_13
.LBB175_8:
                                        ; implicit-def: $vgpr8
                                        ; implicit-def: $vgpr2
                                        ; implicit-def: $vgpr4
                                        ; implicit-def: $vgpr6
	s_branch .LBB175_11
.LBB175_9:
	v_dual_mov_b32 v8, 0 :: v_dual_mov_b32 v2, 0
	v_dual_mov_b32 v4, 0 :: v_dual_mov_b32 v6, 0
.LBB175_10:
	s_cbranch_execnz .LBB175_13
.LBB175_11:
	v_mov_b32_e32 v1, 0
	s_and_not1_b32 vcc_lo, exec_lo, s43
	s_delay_alu instid0(VALU_DEP_1) | instskip(NEXT) | instid1(VALU_DEP_1)
	v_mul_u64_e32 v[2:3], s[24:25], v[0:1]
	v_add_nc_u32_e32 v2, v0, v3
	s_delay_alu instid0(VALU_DEP_1) | instskip(NEXT) | instid1(VALU_DEP_1)
	v_lshrrev_b32_e32 v10, s22, v2
	v_mul_lo_u32 v2, v10, s20
	s_delay_alu instid0(VALU_DEP_1) | instskip(NEXT) | instid1(VALU_DEP_1)
	v_sub_nc_u32_e32 v3, v0, v2
	v_mul_lo_u32 v8, v3, s13
	v_mul_lo_u32 v2, v3, s12
	;; [unrolled: 1-line block ×4, first 2 shown]
	s_cbranch_vccnz .LBB175_13
; %bb.12:
	v_mov_b32_e32 v11, v1
	s_delay_alu instid0(VALU_DEP_1) | instskip(NEXT) | instid1(VALU_DEP_1)
	v_mul_u64_e32 v[12:13], s[28:29], v[10:11]
	v_add_nc_u32_e32 v1, v10, v13
	s_delay_alu instid0(VALU_DEP_1) | instskip(NEXT) | instid1(VALU_DEP_1)
	v_lshrrev_b32_e32 v1, s27, v1
	v_mul_lo_u32 v1, v1, s23
	s_delay_alu instid0(VALU_DEP_1) | instskip(NEXT) | instid1(VALU_DEP_1)
	v_sub_nc_u32_e32 v1, v10, v1
	v_mad_u32 v2, v1, s16, v2
	v_mad_u32 v8, v1, s17, v8
	;; [unrolled: 1-line block ×4, first 2 shown]
.LBB175_13:
	v_mov_b32_e32 v9, 0
	s_and_b32 s0, s42, 0xff
	s_delay_alu instid0(SALU_CYCLE_1) | instskip(NEXT) | instid1(VALU_DEP_1)
	s_cmp_lt_i32 s0, 11
	v_add_nc_u64_e32 v[8:9], s[6:7], v[8:9]
	s_cbranch_scc1 .LBB175_20
; %bb.14:
	s_and_b32 s31, 0xffff, s0
	s_delay_alu instid0(SALU_CYCLE_1)
	s_cmp_gt_i32 s31, 25
	s_cbranch_scc0 .LBB175_29
; %bb.15:
	s_cmp_gt_i32 s31, 28
	s_cbranch_scc0 .LBB175_39
; %bb.16:
	;; [unrolled: 3-line block ×4, first 2 shown]
	s_cmp_eq_u32 s31, 46
	s_mov_b32 s35, 0
	s_cbranch_scc0 .LBB175_48
; %bb.19:
	global_load_b32 v1, v[8:9], off
	s_mov_b32 s34, -1
	s_mov_b32 s30, 0
	s_branch .LBB175_50
.LBB175_20:
	s_mov_b32 s30, 0
	s_mov_b32 s34, 0
                                        ; implicit-def: $vgpr1
	s_cbranch_execnz .LBB175_116
.LBB175_21:
	s_and_not1_b32 vcc_lo, exec_lo, s34
	s_cbranch_vccnz .LBB175_163
.LBB175_22:
	v_mov_b32_e32 v7, 0
	s_and_b32 s0, s41, 0xff
	s_delay_alu instid0(SALU_CYCLE_1) | instskip(NEXT) | instid1(VALU_DEP_1)
	s_cmp_lt_i32 s0, 11
	v_add_nc_u64_e32 v[6:7], s[8:9], v[6:7]
	s_cbranch_scc1 .LBB175_30
; %bb.23:
	s_and_b32 s34, 0xffff, s0
	s_delay_alu instid0(SALU_CYCLE_1)
	s_cmp_gt_i32 s34, 25
	s_cbranch_scc0 .LBB175_40
; %bb.24:
	s_cmp_gt_i32 s34, 28
	s_cbranch_scc0 .LBB175_43
; %bb.25:
	;; [unrolled: 3-line block ×4, first 2 shown]
	s_cmp_eq_u32 s34, 46
	s_mov_b32 s45, 0
	s_cbranch_scc0 .LBB175_164
; %bb.28:
	global_load_b32 v3, v[6:7], off
	s_mov_b32 s35, -1
	s_mov_b32 s31, 0
	s_branch .LBB175_166
.LBB175_29:
	s_mov_b32 s30, 0
	s_mov_b32 s34, 0
                                        ; implicit-def: $vgpr1
	s_cbranch_execnz .LBB175_81
	s_branch .LBB175_115
.LBB175_30:
	s_mov_b32 s31, 0
	s_mov_b32 s35, 0
                                        ; implicit-def: $vgpr3
	s_cbranch_execnz .LBB175_232
.LBB175_31:
	s_and_not1_b32 vcc_lo, exec_lo, s35
	s_cbranch_vccnz .LBB175_280
.LBB175_32:
	v_mov_b32_e32 v5, 0
	s_and_b32 s0, 0xffff, s40
	s_delay_alu instid0(SALU_CYCLE_1) | instskip(NEXT) | instid1(VALU_DEP_1)
	s_cmp_lt_i32 s0, 11
	v_add_nc_u64_e32 v[4:5], s[10:11], v[4:5]
	s_cbranch_scc1 .LBB175_41
; %bb.33:
	s_cmp_gt_i32 s0, 25
	s_cbranch_scc0 .LBB175_44
; %bb.34:
	s_cmp_gt_i32 s0, 28
	s_cbranch_scc0 .LBB175_47
	;; [unrolled: 3-line block ×4, first 2 shown]
; %bb.37:
	s_cmp_eq_u32 s0, 46
	s_mov_b32 s45, 0
	s_cbranch_scc0 .LBB175_281
; %bb.38:
	global_load_b32 v6, v[4:5], off
	s_mov_b32 s35, -1
	s_mov_b32 s34, 0
	s_branch .LBB175_283
.LBB175_39:
	s_mov_b32 s35, -1
	s_mov_b32 s30, 0
	s_mov_b32 s34, 0
                                        ; implicit-def: $vgpr1
	s_branch .LBB175_62
.LBB175_40:
	s_mov_b32 s45, -1
	s_mov_b32 s31, 0
	s_mov_b32 s35, 0
                                        ; implicit-def: $vgpr3
	s_branch .LBB175_196
.LBB175_41:
	s_mov_b32 s45, -1
	s_mov_b32 s34, 0
	s_mov_b32 s35, 0
                                        ; implicit-def: $vgpr6
	s_branch .LBB175_348
.LBB175_42:
	s_mov_b32 s35, -1
	s_mov_b32 s30, 0
	s_mov_b32 s34, 0
                                        ; implicit-def: $vgpr1
	s_branch .LBB175_57
.LBB175_43:
	s_mov_b32 s45, -1
	s_mov_b32 s31, 0
	s_mov_b32 s35, 0
                                        ; implicit-def: $vgpr3
	s_branch .LBB175_177
.LBB175_44:
	s_mov_b32 s45, -1
	s_mov_b32 s34, 0
	s_mov_b32 s35, 0
                                        ; implicit-def: $vgpr6
	s_branch .LBB175_312
.LBB175_45:
	s_mov_b32 s35, -1
	s_mov_b32 s30, 0
	s_branch .LBB175_49
.LBB175_46:
	s_mov_b32 s45, -1
	s_mov_b32 s31, 0
	s_mov_b32 s35, 0
                                        ; implicit-def: $vgpr3
	s_branch .LBB175_172
.LBB175_47:
	s_mov_b32 s45, -1
	s_mov_b32 s34, 0
	s_mov_b32 s35, 0
                                        ; implicit-def: $vgpr6
	s_branch .LBB175_293
.LBB175_48:
	s_mov_b32 s30, -1
.LBB175_49:
	s_mov_b32 s34, 0
                                        ; implicit-def: $vgpr1
.LBB175_50:
	s_and_b32 vcc_lo, exec_lo, s35
	s_cbranch_vccz .LBB175_56
; %bb.51:
	s_cmp_eq_u32 s31, 44
	s_cbranch_scc0 .LBB175_55
; %bb.52:
	s_wait_loadcnt 0x0
	global_load_u8 v1, v[8:9], off
	s_mov_b32 s30, 0
	s_mov_b32 s34, -1
	s_wait_loadcnt 0x0
	v_lshlrev_b32_e32 v3, 23, v1
	v_cmp_ne_u32_e32 vcc_lo, 0xff, v1
	s_delay_alu instid0(VALU_DEP_2) | instskip(SKIP_1) | instid1(VALU_DEP_2)
	v_cndmask_b32_e32 v3, 0x7f800001, v3, vcc_lo
	v_cmp_ne_u32_e32 vcc_lo, 0, v1
	v_cndmask_b32_e32 v1, 0x400000, v3, vcc_lo
	s_delay_alu instid0(VALU_DEP_1) | instskip(SKIP_1) | instid1(VALU_DEP_2)
	v_add_nc_u32_e32 v3, 0x7fff, v1
	v_cmp_o_f32_e32 vcc_lo, v1, v1
	v_lshrrev_b32_e32 v3, 16, v3
	s_delay_alu instid0(VALU_DEP_1)
	v_cndmask_b32_e32 v1, 0x7fc0, v3, vcc_lo
	s_branch .LBB175_56
.LBB175_53:
	s_mov_b32 s45, -1
	s_mov_b32 s31, 0
	s_branch .LBB175_165
.LBB175_54:
	s_mov_b32 s45, -1
	s_mov_b32 s34, 0
	s_mov_b32 s35, 0
                                        ; implicit-def: $vgpr6
	s_branch .LBB175_288
.LBB175_55:
	s_mov_b32 s30, -1
                                        ; implicit-def: $vgpr1
.LBB175_56:
	s_mov_b32 s35, 0
.LBB175_57:
	s_delay_alu instid0(SALU_CYCLE_1)
	s_and_b32 vcc_lo, exec_lo, s35
	s_cbranch_vccz .LBB175_61
; %bb.58:
	s_cmp_eq_u32 s31, 29
	s_cbranch_scc0 .LBB175_60
; %bb.59:
	global_load_b64 v[10:11], v[8:9], off
	s_mov_b32 s34, -1
	s_mov_b32 s30, 0
	s_mov_b32 s35, 0
	s_wait_loadcnt 0x0
	v_clz_i32_u32_e32 v1, v11
	s_delay_alu instid0(VALU_DEP_1) | instskip(NEXT) | instid1(VALU_DEP_1)
	v_min_u32_e32 v1, 32, v1
	v_lshlrev_b64_e32 v[10:11], v1, v[10:11]
	v_sub_nc_u32_e32 v1, 32, v1
	s_delay_alu instid0(VALU_DEP_2) | instskip(NEXT) | instid1(VALU_DEP_1)
	v_min_u32_e32 v3, 1, v10
	v_or_b32_e32 v3, v11, v3
	s_delay_alu instid0(VALU_DEP_1) | instskip(NEXT) | instid1(VALU_DEP_1)
	v_cvt_f32_u32_e32 v3, v3
	v_ldexp_f32 v1, v3, v1
	s_delay_alu instid0(VALU_DEP_1) | instskip(NEXT) | instid1(VALU_DEP_1)
	v_bfe_u32 v3, v1, 16, 1
	v_add3_u32 v1, v1, v3, 0x7fff
	s_delay_alu instid0(VALU_DEP_1)
	v_lshrrev_b32_e32 v1, 16, v1
	s_branch .LBB175_62
.LBB175_60:
	s_mov_b32 s30, -1
                                        ; implicit-def: $vgpr1
.LBB175_61:
	s_mov_b32 s35, 0
.LBB175_62:
	s_delay_alu instid0(SALU_CYCLE_1)
	s_and_b32 vcc_lo, exec_lo, s35
	s_cbranch_vccz .LBB175_80
; %bb.63:
	s_cmp_lt_i32 s31, 27
	s_cbranch_scc1 .LBB175_66
; %bb.64:
	s_cmp_gt_i32 s31, 27
	s_cbranch_scc0 .LBB175_67
; %bb.65:
	s_wait_loadcnt 0x0
	global_load_b32 v1, v[8:9], off
	s_mov_b32 s34, 0
	s_wait_loadcnt 0x0
	v_cvt_f32_u32_e32 v1, v1
	s_delay_alu instid0(VALU_DEP_1) | instskip(NEXT) | instid1(VALU_DEP_1)
	v_bfe_u32 v3, v1, 16, 1
	v_add3_u32 v1, v1, v3, 0x7fff
	s_delay_alu instid0(VALU_DEP_1)
	v_lshrrev_b32_e32 v1, 16, v1
	s_branch .LBB175_68
.LBB175_66:
	s_mov_b32 s34, -1
                                        ; implicit-def: $vgpr1
	s_branch .LBB175_71
.LBB175_67:
	s_mov_b32 s34, -1
                                        ; implicit-def: $vgpr1
.LBB175_68:
	s_delay_alu instid0(SALU_CYCLE_1)
	s_and_not1_b32 vcc_lo, exec_lo, s34
	s_cbranch_vccnz .LBB175_70
; %bb.69:
	s_wait_loadcnt 0x0
	global_load_u16 v1, v[8:9], off
	s_wait_loadcnt 0x0
	v_cvt_f32_u32_e32 v1, v1
	s_delay_alu instid0(VALU_DEP_1) | instskip(NEXT) | instid1(VALU_DEP_1)
	v_bfe_u32 v3, v1, 16, 1
	v_add3_u32 v1, v1, v3, 0x7fff
	s_delay_alu instid0(VALU_DEP_1)
	v_lshrrev_b32_e32 v1, 16, v1
.LBB175_70:
	s_mov_b32 s34, 0
.LBB175_71:
	s_delay_alu instid0(SALU_CYCLE_1)
	s_and_not1_b32 vcc_lo, exec_lo, s34
	s_cbranch_vccnz .LBB175_79
; %bb.72:
	s_wait_loadcnt 0x0
	global_load_u8 v1, v[8:9], off
	s_mov_b32 s34, 0
	s_mov_b32 s35, exec_lo
	s_wait_loadcnt 0x0
	v_cmpx_lt_i16_e32 0x7f, v1
	s_xor_b32 s35, exec_lo, s35
	s_cbranch_execz .LBB175_92
; %bb.73:
	s_mov_b32 s34, -1
	s_mov_b32 s45, exec_lo
	v_cmpx_eq_u16_e32 0x80, v1
; %bb.74:
	s_xor_b32 s34, exec_lo, -1
; %bb.75:
	s_or_b32 exec_lo, exec_lo, s45
	s_delay_alu instid0(SALU_CYCLE_1)
	s_and_b32 s34, s34, exec_lo
	s_or_saveexec_b32 s35, s35
	v_mov_b32_e32 v3, 0x7f800001
	s_xor_b32 exec_lo, exec_lo, s35
	s_cbranch_execnz .LBB175_93
.LBB175_76:
	s_or_b32 exec_lo, exec_lo, s35
	s_and_saveexec_b32 s35, s34
	s_cbranch_execz .LBB175_78
.LBB175_77:
	v_and_b32_e32 v3, 0xffff, v1
	s_delay_alu instid0(VALU_DEP_1) | instskip(SKIP_1) | instid1(VALU_DEP_2)
	v_dual_lshlrev_b32 v1, 24, v1 :: v_dual_bitop2_b32 v5, 7, v3 bitop3:0x40
	v_bfe_u32 v11, v3, 3, 4
	v_and_b32_e32 v1, 0x80000000, v1
	s_delay_alu instid0(VALU_DEP_3) | instskip(NEXT) | instid1(VALU_DEP_3)
	v_clz_i32_u32_e32 v7, v5
	v_cmp_eq_u32_e32 vcc_lo, 0, v11
	s_delay_alu instid0(VALU_DEP_2) | instskip(NEXT) | instid1(VALU_DEP_1)
	v_min_u32_e32 v7, 32, v7
	v_subrev_nc_u32_e32 v10, 28, v7
	v_sub_nc_u32_e32 v7, 29, v7
	s_delay_alu instid0(VALU_DEP_2) | instskip(NEXT) | instid1(VALU_DEP_2)
	v_lshlrev_b32_e32 v3, v10, v3
	v_cndmask_b32_e32 v7, v11, v7, vcc_lo
	s_delay_alu instid0(VALU_DEP_2) | instskip(NEXT) | instid1(VALU_DEP_1)
	v_and_b32_e32 v3, 7, v3
	v_cndmask_b32_e32 v3, v5, v3, vcc_lo
	s_delay_alu instid0(VALU_DEP_3) | instskip(NEXT) | instid1(VALU_DEP_2)
	v_lshl_add_u32 v5, v7, 23, 0x3b800000
	v_lshlrev_b32_e32 v3, 20, v3
	s_delay_alu instid0(VALU_DEP_1)
	v_or3_b32 v3, v1, v5, v3
.LBB175_78:
	s_or_b32 exec_lo, exec_lo, s35
	s_delay_alu instid0(VALU_DEP_1) | instskip(SKIP_1) | instid1(VALU_DEP_2)
	v_bfe_u32 v1, v3, 16, 1
	v_cmp_o_f32_e32 vcc_lo, v3, v3
	v_add3_u32 v1, v3, v1, 0x7fff
	s_delay_alu instid0(VALU_DEP_1) | instskip(NEXT) | instid1(VALU_DEP_1)
	v_lshrrev_b32_e32 v1, 16, v1
	v_cndmask_b32_e32 v1, 0x7fc0, v1, vcc_lo
.LBB175_79:
	s_mov_b32 s34, -1
.LBB175_80:
	s_branch .LBB175_115
.LBB175_81:
	s_cmp_gt_i32 s31, 22
	s_cbranch_scc0 .LBB175_91
; %bb.82:
	s_cmp_lt_i32 s31, 24
	s_cbranch_scc1 .LBB175_94
; %bb.83:
	s_cmp_gt_i32 s31, 24
	s_cbranch_scc0 .LBB175_95
; %bb.84:
	s_wait_loadcnt 0x0
	global_load_u8 v1, v[8:9], off
	s_mov_b32 s34, 0
	s_mov_b32 s35, exec_lo
	s_wait_loadcnt 0x0
	v_cmpx_lt_i16_e32 0x7f, v1
	s_xor_b32 s35, exec_lo, s35
	s_cbranch_execz .LBB175_107
; %bb.85:
	s_mov_b32 s34, -1
	s_mov_b32 s45, exec_lo
	v_cmpx_eq_u16_e32 0x80, v1
; %bb.86:
	s_xor_b32 s34, exec_lo, -1
; %bb.87:
	s_or_b32 exec_lo, exec_lo, s45
	s_delay_alu instid0(SALU_CYCLE_1)
	s_and_b32 s34, s34, exec_lo
	s_or_saveexec_b32 s35, s35
	v_mov_b32_e32 v3, 0x7f800001
	s_xor_b32 exec_lo, exec_lo, s35
	s_cbranch_execnz .LBB175_108
.LBB175_88:
	s_or_b32 exec_lo, exec_lo, s35
	s_and_saveexec_b32 s35, s34
	s_cbranch_execz .LBB175_90
.LBB175_89:
	v_and_b32_e32 v3, 0xffff, v1
	s_delay_alu instid0(VALU_DEP_1) | instskip(SKIP_1) | instid1(VALU_DEP_2)
	v_dual_lshlrev_b32 v1, 24, v1 :: v_dual_bitop2_b32 v5, 3, v3 bitop3:0x40
	v_bfe_u32 v11, v3, 2, 5
	v_and_b32_e32 v1, 0x80000000, v1
	s_delay_alu instid0(VALU_DEP_3) | instskip(NEXT) | instid1(VALU_DEP_3)
	v_clz_i32_u32_e32 v7, v5
	v_cmp_eq_u32_e32 vcc_lo, 0, v11
	s_delay_alu instid0(VALU_DEP_2) | instskip(NEXT) | instid1(VALU_DEP_1)
	v_min_u32_e32 v7, 32, v7
	v_subrev_nc_u32_e32 v10, 29, v7
	v_sub_nc_u32_e32 v7, 30, v7
	s_delay_alu instid0(VALU_DEP_2) | instskip(NEXT) | instid1(VALU_DEP_2)
	v_lshlrev_b32_e32 v3, v10, v3
	v_cndmask_b32_e32 v7, v11, v7, vcc_lo
	s_delay_alu instid0(VALU_DEP_2) | instskip(NEXT) | instid1(VALU_DEP_1)
	v_and_b32_e32 v3, 3, v3
	v_cndmask_b32_e32 v3, v5, v3, vcc_lo
	s_delay_alu instid0(VALU_DEP_3) | instskip(NEXT) | instid1(VALU_DEP_2)
	v_lshl_add_u32 v5, v7, 23, 0x37800000
	v_lshlrev_b32_e32 v3, 21, v3
	s_delay_alu instid0(VALU_DEP_1)
	v_or3_b32 v3, v1, v5, v3
.LBB175_90:
	s_or_b32 exec_lo, exec_lo, s35
	s_delay_alu instid0(VALU_DEP_1) | instskip(SKIP_2) | instid1(VALU_DEP_2)
	v_bfe_u32 v1, v3, 16, 1
	v_cmp_o_f32_e32 vcc_lo, v3, v3
	s_mov_b32 s34, 0
	v_add3_u32 v1, v3, v1, 0x7fff
	s_delay_alu instid0(VALU_DEP_1) | instskip(NEXT) | instid1(VALU_DEP_1)
	v_lshrrev_b32_e32 v1, 16, v1
	v_cndmask_b32_e32 v1, 0x7fc0, v1, vcc_lo
	s_branch .LBB175_96
.LBB175_91:
	s_mov_b32 s35, -1
                                        ; implicit-def: $vgpr1
	s_branch .LBB175_102
.LBB175_92:
	s_or_saveexec_b32 s35, s35
	v_mov_b32_e32 v3, 0x7f800001
	s_xor_b32 exec_lo, exec_lo, s35
	s_cbranch_execz .LBB175_76
.LBB175_93:
	v_cmp_ne_u16_e32 vcc_lo, 0, v1
	v_mov_b32_e32 v3, 0
	s_and_not1_b32 s34, s34, exec_lo
	s_and_b32 s45, vcc_lo, exec_lo
	s_delay_alu instid0(SALU_CYCLE_1)
	s_or_b32 s34, s34, s45
	s_or_b32 exec_lo, exec_lo, s35
	s_and_saveexec_b32 s35, s34
	s_cbranch_execnz .LBB175_77
	s_branch .LBB175_78
.LBB175_94:
	s_mov_b32 s34, -1
                                        ; implicit-def: $vgpr1
	s_branch .LBB175_99
.LBB175_95:
	s_mov_b32 s34, -1
                                        ; implicit-def: $vgpr1
.LBB175_96:
	s_delay_alu instid0(SALU_CYCLE_1)
	s_and_b32 vcc_lo, exec_lo, s34
	s_cbranch_vccz .LBB175_98
; %bb.97:
	s_wait_loadcnt 0x0
	global_load_u8 v1, v[8:9], off
	s_wait_loadcnt 0x0
	v_lshlrev_b32_e32 v1, 24, v1
	s_delay_alu instid0(VALU_DEP_1) | instskip(NEXT) | instid1(VALU_DEP_1)
	v_and_b32_e32 v3, 0x7f000000, v1
	v_clz_i32_u32_e32 v5, v3
	v_cmp_ne_u32_e32 vcc_lo, 0, v3
	v_add_nc_u32_e32 v10, 0x1000000, v3
	s_delay_alu instid0(VALU_DEP_3) | instskip(NEXT) | instid1(VALU_DEP_1)
	v_min_u32_e32 v5, 32, v5
	v_sub_nc_u32_e64 v5, v5, 4 clamp
	s_delay_alu instid0(VALU_DEP_1) | instskip(NEXT) | instid1(VALU_DEP_1)
	v_dual_lshlrev_b32 v7, v5, v3 :: v_dual_lshlrev_b32 v5, 23, v5
	v_lshrrev_b32_e32 v7, 4, v7
	s_delay_alu instid0(VALU_DEP_1) | instskip(NEXT) | instid1(VALU_DEP_1)
	v_dual_sub_nc_u32 v5, v7, v5 :: v_dual_ashrrev_i32 v7, 8, v10
	v_add_nc_u32_e32 v5, 0x3c000000, v5
	s_delay_alu instid0(VALU_DEP_1) | instskip(NEXT) | instid1(VALU_DEP_1)
	v_and_or_b32 v5, 0x7f800000, v7, v5
	v_cndmask_b32_e32 v3, 0, v5, vcc_lo
	s_delay_alu instid0(VALU_DEP_1) | instskip(SKIP_1) | instid1(VALU_DEP_2)
	v_and_or_b32 v1, 0x80000000, v1, v3
	v_bfe_u32 v3, v3, 16, 1
	v_cmp_o_f32_e32 vcc_lo, v1, v1
	s_delay_alu instid0(VALU_DEP_2) | instskip(NEXT) | instid1(VALU_DEP_1)
	v_add3_u32 v3, v1, v3, 0x7fff
	v_lshrrev_b32_e32 v3, 16, v3
	s_delay_alu instid0(VALU_DEP_1)
	v_cndmask_b32_e32 v1, 0x7fc0, v3, vcc_lo
.LBB175_98:
	s_mov_b32 s34, 0
.LBB175_99:
	s_delay_alu instid0(SALU_CYCLE_1)
	s_and_not1_b32 vcc_lo, exec_lo, s34
	s_cbranch_vccnz .LBB175_101
; %bb.100:
	s_wait_loadcnt 0x0
	global_load_u8 v1, v[8:9], off
	s_wait_loadcnt 0x0
	v_lshlrev_b32_e32 v3, 25, v1
	v_lshlrev_b16 v1, 8, v1
	s_delay_alu instid0(VALU_DEP_1) | instskip(SKIP_1) | instid1(VALU_DEP_2)
	v_and_or_b32 v7, 0x7f00, v1, 0.5
	v_bfe_i32 v1, v1, 0, 16
	v_add_f32_e32 v7, -0.5, v7
	v_lshrrev_b32_e32 v5, 4, v3
	v_cmp_gt_u32_e32 vcc_lo, 0x8000000, v3
	s_delay_alu instid0(VALU_DEP_2) | instskip(NEXT) | instid1(VALU_DEP_1)
	v_or_b32_e32 v5, 0x70000000, v5
	v_mul_f32_e32 v5, 0x7800000, v5
	s_delay_alu instid0(VALU_DEP_1) | instskip(NEXT) | instid1(VALU_DEP_1)
	v_cndmask_b32_e32 v3, v5, v7, vcc_lo
	v_and_or_b32 v1, 0x80000000, v1, v3
	v_bfe_u32 v3, v3, 16, 1
	s_delay_alu instid0(VALU_DEP_2) | instskip(NEXT) | instid1(VALU_DEP_2)
	v_cmp_o_f32_e32 vcc_lo, v1, v1
	v_add3_u32 v3, v1, v3, 0x7fff
	s_delay_alu instid0(VALU_DEP_1) | instskip(NEXT) | instid1(VALU_DEP_1)
	v_lshrrev_b32_e32 v3, 16, v3
	v_cndmask_b32_e32 v1, 0x7fc0, v3, vcc_lo
.LBB175_101:
	s_mov_b32 s35, 0
	s_mov_b32 s34, -1
.LBB175_102:
	s_and_not1_b32 vcc_lo, exec_lo, s35
	s_cbranch_vccnz .LBB175_115
; %bb.103:
	s_cmp_gt_i32 s31, 14
	s_cbranch_scc0 .LBB175_106
; %bb.104:
	s_cmp_eq_u32 s31, 15
	s_cbranch_scc0 .LBB175_109
; %bb.105:
	s_wait_loadcnt 0x0
	global_load_u16 v1, v[8:9], off
	s_mov_b32 s34, -1
	s_mov_b32 s30, 0
	s_branch .LBB175_110
.LBB175_106:
	s_mov_b32 s35, -1
                                        ; implicit-def: $vgpr1
	s_branch .LBB175_111
.LBB175_107:
	s_or_saveexec_b32 s35, s35
	v_mov_b32_e32 v3, 0x7f800001
	s_xor_b32 exec_lo, exec_lo, s35
	s_cbranch_execz .LBB175_88
.LBB175_108:
	v_cmp_ne_u16_e32 vcc_lo, 0, v1
	v_mov_b32_e32 v3, 0
	s_and_not1_b32 s34, s34, exec_lo
	s_and_b32 s45, vcc_lo, exec_lo
	s_delay_alu instid0(SALU_CYCLE_1)
	s_or_b32 s34, s34, s45
	s_or_b32 exec_lo, exec_lo, s35
	s_and_saveexec_b32 s35, s34
	s_cbranch_execnz .LBB175_89
	s_branch .LBB175_90
.LBB175_109:
	s_mov_b32 s30, -1
                                        ; implicit-def: $vgpr1
.LBB175_110:
	s_mov_b32 s35, 0
.LBB175_111:
	s_delay_alu instid0(SALU_CYCLE_1)
	s_and_b32 vcc_lo, exec_lo, s35
	s_cbranch_vccz .LBB175_115
; %bb.112:
	s_cmp_eq_u32 s31, 11
	s_cbranch_scc0 .LBB175_114
; %bb.113:
	s_wait_loadcnt 0x0
	global_load_u8 v1, v[8:9], off
	s_mov_b32 s30, 0
	s_mov_b32 s34, -1
	s_wait_loadcnt 0x0
	v_cmp_ne_u16_e32 vcc_lo, 0, v1
	v_cndmask_b32_e64 v1, 0, 1.0, vcc_lo
	s_delay_alu instid0(VALU_DEP_1)
	v_lshrrev_b32_e32 v1, 16, v1
	s_branch .LBB175_115
.LBB175_114:
	s_mov_b32 s30, -1
                                        ; implicit-def: $vgpr1
.LBB175_115:
	s_branch .LBB175_21
.LBB175_116:
	s_and_b32 s0, 0xffff, s0
	s_delay_alu instid0(SALU_CYCLE_1)
	s_cmp_lt_i32 s0, 5
	s_cbranch_scc1 .LBB175_121
; %bb.117:
	s_cmp_lt_i32 s0, 8
	s_cbranch_scc1 .LBB175_122
; %bb.118:
	;; [unrolled: 3-line block ×3, first 2 shown]
	s_cmp_gt_i32 s0, 9
	s_cbranch_scc0 .LBB175_124
; %bb.120:
	global_load_b64 v[10:11], v[8:9], off
	s_mov_b32 s31, 0
	s_wait_loadcnt 0x0
	v_cvt_f32_f64_e32 v1, v[10:11]
	s_delay_alu instid0(VALU_DEP_1) | instskip(SKIP_1) | instid1(VALU_DEP_2)
	v_bfe_u32 v3, v1, 16, 1
	v_cmp_o_f32_e32 vcc_lo, v1, v1
	v_add3_u32 v3, v1, v3, 0x7fff
	s_delay_alu instid0(VALU_DEP_1) | instskip(NEXT) | instid1(VALU_DEP_1)
	v_lshrrev_b32_e32 v3, 16, v3
	v_cndmask_b32_e32 v1, 0x7fc0, v3, vcc_lo
	s_branch .LBB175_125
.LBB175_121:
                                        ; implicit-def: $vgpr1
	s_branch .LBB175_143
.LBB175_122:
	s_mov_b32 s31, -1
                                        ; implicit-def: $vgpr1
	s_branch .LBB175_131
.LBB175_123:
	s_mov_b32 s31, -1
                                        ; implicit-def: $vgpr1
	s_branch .LBB175_128
.LBB175_124:
	s_mov_b32 s31, -1
                                        ; implicit-def: $vgpr1
.LBB175_125:
	s_delay_alu instid0(SALU_CYCLE_1)
	s_and_not1_b32 vcc_lo, exec_lo, s31
	s_cbranch_vccnz .LBB175_127
; %bb.126:
	s_wait_loadcnt 0x0
	global_load_b32 v1, v[8:9], off
	s_wait_loadcnt 0x0
	v_bfe_u32 v3, v1, 16, 1
	v_cmp_o_f32_e32 vcc_lo, v1, v1
	s_delay_alu instid0(VALU_DEP_2) | instskip(NEXT) | instid1(VALU_DEP_1)
	v_add3_u32 v3, v1, v3, 0x7fff
	v_lshrrev_b32_e32 v3, 16, v3
	s_delay_alu instid0(VALU_DEP_1)
	v_cndmask_b32_e32 v1, 0x7fc0, v3, vcc_lo
.LBB175_127:
	s_mov_b32 s31, 0
.LBB175_128:
	s_delay_alu instid0(SALU_CYCLE_1)
	s_and_not1_b32 vcc_lo, exec_lo, s31
	s_cbranch_vccnz .LBB175_130
; %bb.129:
	s_wait_loadcnt 0x0
	global_load_b32 v1, v[8:9], off
	s_wait_loadcnt 0x0
	v_cvt_f32_f16_e32 v3, v1
	v_cmp_o_f16_e32 vcc_lo, v1, v1
	s_delay_alu instid0(VALU_DEP_2) | instskip(NEXT) | instid1(VALU_DEP_1)
	v_bfe_u32 v5, v3, 16, 1
	v_add3_u32 v3, v3, v5, 0x7fff
	s_delay_alu instid0(VALU_DEP_1) | instskip(NEXT) | instid1(VALU_DEP_1)
	v_lshrrev_b32_e32 v3, 16, v3
	v_cndmask_b32_e32 v1, 0x7fc0, v3, vcc_lo
.LBB175_130:
	s_mov_b32 s31, 0
.LBB175_131:
	s_delay_alu instid0(SALU_CYCLE_1)
	s_and_not1_b32 vcc_lo, exec_lo, s31
	s_cbranch_vccnz .LBB175_142
; %bb.132:
	s_cmp_lt_i32 s0, 6
	s_cbranch_scc1 .LBB175_135
; %bb.133:
	s_cmp_gt_i32 s0, 6
	s_cbranch_scc0 .LBB175_136
; %bb.134:
	global_load_b64 v[10:11], v[8:9], off
	s_mov_b32 s31, 0
	s_wait_loadcnt 0x0
	v_cvt_f32_f64_e32 v1, v[10:11]
	s_delay_alu instid0(VALU_DEP_1) | instskip(SKIP_1) | instid1(VALU_DEP_2)
	v_bfe_u32 v3, v1, 16, 1
	v_cmp_o_f32_e32 vcc_lo, v1, v1
	v_add3_u32 v3, v1, v3, 0x7fff
	s_delay_alu instid0(VALU_DEP_1) | instskip(NEXT) | instid1(VALU_DEP_1)
	v_lshrrev_b32_e32 v3, 16, v3
	v_cndmask_b32_e32 v1, 0x7fc0, v3, vcc_lo
	s_branch .LBB175_137
.LBB175_135:
	s_mov_b32 s31, -1
                                        ; implicit-def: $vgpr1
	s_branch .LBB175_140
.LBB175_136:
	s_mov_b32 s31, -1
                                        ; implicit-def: $vgpr1
.LBB175_137:
	s_delay_alu instid0(SALU_CYCLE_1)
	s_and_not1_b32 vcc_lo, exec_lo, s31
	s_cbranch_vccnz .LBB175_139
; %bb.138:
	s_wait_loadcnt 0x0
	global_load_b32 v1, v[8:9], off
	s_wait_loadcnt 0x0
	v_bfe_u32 v3, v1, 16, 1
	v_cmp_o_f32_e32 vcc_lo, v1, v1
	s_delay_alu instid0(VALU_DEP_2) | instskip(NEXT) | instid1(VALU_DEP_1)
	v_add3_u32 v3, v1, v3, 0x7fff
	v_lshrrev_b32_e32 v3, 16, v3
	s_delay_alu instid0(VALU_DEP_1)
	v_cndmask_b32_e32 v1, 0x7fc0, v3, vcc_lo
.LBB175_139:
	s_mov_b32 s31, 0
.LBB175_140:
	s_delay_alu instid0(SALU_CYCLE_1)
	s_and_not1_b32 vcc_lo, exec_lo, s31
	s_cbranch_vccnz .LBB175_142
; %bb.141:
	s_wait_loadcnt 0x0
	global_load_u16 v1, v[8:9], off
	s_wait_loadcnt 0x0
	v_cvt_f32_f16_e32 v3, v1
	v_cmp_o_f16_e32 vcc_lo, v1, v1
	s_delay_alu instid0(VALU_DEP_2) | instskip(NEXT) | instid1(VALU_DEP_1)
	v_bfe_u32 v5, v3, 16, 1
	v_add3_u32 v3, v3, v5, 0x7fff
	s_delay_alu instid0(VALU_DEP_1) | instskip(NEXT) | instid1(VALU_DEP_1)
	v_lshrrev_b32_e32 v3, 16, v3
	v_cndmask_b32_e32 v1, 0x7fc0, v3, vcc_lo
.LBB175_142:
	s_cbranch_execnz .LBB175_162
.LBB175_143:
	s_cmp_lt_i32 s0, 2
	s_cbranch_scc1 .LBB175_147
; %bb.144:
	s_cmp_lt_i32 s0, 3
	s_cbranch_scc1 .LBB175_148
; %bb.145:
	s_cmp_gt_i32 s0, 3
	s_cbranch_scc0 .LBB175_149
; %bb.146:
	global_load_b64 v[10:11], v[8:9], off
	s_mov_b32 s31, 0
	s_wait_loadcnt 0x0
	v_xor_b32_e32 v1, v10, v11
	v_cls_i32_e32 v3, v11
	s_delay_alu instid0(VALU_DEP_2) | instskip(NEXT) | instid1(VALU_DEP_1)
	v_ashrrev_i32_e32 v1, 31, v1
	v_add_nc_u32_e32 v1, 32, v1
	s_delay_alu instid0(VALU_DEP_1) | instskip(NEXT) | instid1(VALU_DEP_1)
	v_add_min_u32_e64 v1, v3, -1, v1
	v_lshlrev_b64_e32 v[10:11], v1, v[10:11]
	v_sub_nc_u32_e32 v1, 32, v1
	s_delay_alu instid0(VALU_DEP_2) | instskip(NEXT) | instid1(VALU_DEP_1)
	v_min_u32_e32 v3, 1, v10
	v_or_b32_e32 v3, v11, v3
	s_delay_alu instid0(VALU_DEP_1) | instskip(NEXT) | instid1(VALU_DEP_1)
	v_cvt_f32_i32_e32 v3, v3
	v_ldexp_f32 v1, v3, v1
	s_delay_alu instid0(VALU_DEP_1) | instskip(NEXT) | instid1(VALU_DEP_1)
	v_bfe_u32 v3, v1, 16, 1
	v_add3_u32 v1, v1, v3, 0x7fff
	s_delay_alu instid0(VALU_DEP_1)
	v_lshrrev_b32_e32 v1, 16, v1
	s_branch .LBB175_150
.LBB175_147:
	s_mov_b32 s31, -1
                                        ; implicit-def: $vgpr1
	s_branch .LBB175_156
.LBB175_148:
	s_mov_b32 s31, -1
                                        ; implicit-def: $vgpr1
	s_branch .LBB175_153
.LBB175_149:
	s_mov_b32 s31, -1
                                        ; implicit-def: $vgpr1
.LBB175_150:
	s_delay_alu instid0(SALU_CYCLE_1)
	s_and_not1_b32 vcc_lo, exec_lo, s31
	s_cbranch_vccnz .LBB175_152
; %bb.151:
	s_wait_loadcnt 0x0
	global_load_b32 v1, v[8:9], off
	s_wait_loadcnt 0x0
	v_cvt_f32_i32_e32 v1, v1
	s_delay_alu instid0(VALU_DEP_1) | instskip(NEXT) | instid1(VALU_DEP_1)
	v_bfe_u32 v3, v1, 16, 1
	v_add3_u32 v1, v1, v3, 0x7fff
	s_delay_alu instid0(VALU_DEP_1)
	v_lshrrev_b32_e32 v1, 16, v1
.LBB175_152:
	s_mov_b32 s31, 0
.LBB175_153:
	s_delay_alu instid0(SALU_CYCLE_1)
	s_and_not1_b32 vcc_lo, exec_lo, s31
	s_cbranch_vccnz .LBB175_155
; %bb.154:
	s_wait_loadcnt 0x0
	global_load_i16 v1, v[8:9], off
	s_wait_loadcnt 0x0
	v_cvt_f32_i32_e32 v1, v1
	s_delay_alu instid0(VALU_DEP_1) | instskip(NEXT) | instid1(VALU_DEP_1)
	v_bfe_u32 v3, v1, 16, 1
	v_add3_u32 v1, v1, v3, 0x7fff
	s_delay_alu instid0(VALU_DEP_1)
	v_lshrrev_b32_e32 v1, 16, v1
.LBB175_155:
	s_mov_b32 s31, 0
.LBB175_156:
	s_delay_alu instid0(SALU_CYCLE_1)
	s_and_not1_b32 vcc_lo, exec_lo, s31
	s_cbranch_vccnz .LBB175_162
; %bb.157:
	s_cmp_gt_i32 s0, 0
	s_mov_b32 s0, 0
	s_cbranch_scc0 .LBB175_159
; %bb.158:
	s_wait_loadcnt 0x0
	global_load_i8 v1, v[8:9], off
	s_wait_loadcnt 0x0
	v_cvt_f32_i32_e32 v1, v1
	s_delay_alu instid0(VALU_DEP_1) | instskip(NEXT) | instid1(VALU_DEP_1)
	v_bfe_u32 v3, v1, 16, 1
	v_add3_u32 v1, v1, v3, 0x7fff
	s_delay_alu instid0(VALU_DEP_1)
	v_lshrrev_b32_e32 v1, 16, v1
	s_branch .LBB175_160
.LBB175_159:
	s_mov_b32 s0, -1
                                        ; implicit-def: $vgpr1
.LBB175_160:
	s_delay_alu instid0(SALU_CYCLE_1)
	s_and_not1_b32 vcc_lo, exec_lo, s0
	s_cbranch_vccnz .LBB175_162
; %bb.161:
	s_wait_loadcnt 0x0
	global_load_u8 v1, v[8:9], off
	s_wait_loadcnt 0x0
	v_cvt_f32_ubyte0_e32 v1, v1
	s_delay_alu instid0(VALU_DEP_1) | instskip(NEXT) | instid1(VALU_DEP_1)
	v_bfe_u32 v3, v1, 16, 1
	v_add3_u32 v1, v1, v3, 0x7fff
	s_delay_alu instid0(VALU_DEP_1)
	v_lshrrev_b32_e32 v1, 16, v1
.LBB175_162:
	s_branch .LBB175_22
.LBB175_163:
	s_mov_b32 s0, 0
	s_mov_b32 s34, 0
	s_mov_b32 s31, 0
	s_branch .LBB175_521
.LBB175_164:
	s_mov_b32 s31, -1
.LBB175_165:
	s_mov_b32 s35, 0
                                        ; implicit-def: $vgpr3
.LBB175_166:
	s_and_b32 vcc_lo, exec_lo, s45
	s_cbranch_vccz .LBB175_171
; %bb.167:
	s_cmp_eq_u32 s34, 44
	s_cbranch_scc0 .LBB175_170
; %bb.168:
	s_wait_loadcnt 0x0
	global_load_u8 v3, v[6:7], off
	s_mov_b32 s31, 0
	s_mov_b32 s35, -1
	s_wait_loadcnt 0x0
	v_lshlrev_b32_e32 v5, 23, v3
	v_cmp_ne_u32_e32 vcc_lo, 0xff, v3
	s_delay_alu instid0(VALU_DEP_2) | instskip(SKIP_1) | instid1(VALU_DEP_2)
	v_cndmask_b32_e32 v5, 0x7f800001, v5, vcc_lo
	v_cmp_ne_u32_e32 vcc_lo, 0, v3
	v_cndmask_b32_e32 v3, 0x400000, v5, vcc_lo
	s_delay_alu instid0(VALU_DEP_1) | instskip(SKIP_1) | instid1(VALU_DEP_2)
	v_add_nc_u32_e32 v5, 0x7fff, v3
	v_cmp_o_f32_e32 vcc_lo, v3, v3
	v_lshrrev_b32_e32 v5, 16, v5
	s_delay_alu instid0(VALU_DEP_1)
	v_cndmask_b32_e32 v3, 0x7fc0, v5, vcc_lo
	s_branch .LBB175_171
.LBB175_169:
	s_mov_b32 s45, -1
	s_mov_b32 s34, 0
	s_branch .LBB175_282
.LBB175_170:
	s_mov_b32 s31, -1
                                        ; implicit-def: $vgpr3
.LBB175_171:
	s_mov_b32 s45, 0
.LBB175_172:
	s_delay_alu instid0(SALU_CYCLE_1)
	s_and_b32 vcc_lo, exec_lo, s45
	s_cbranch_vccz .LBB175_176
; %bb.173:
	s_cmp_eq_u32 s34, 29
	s_cbranch_scc0 .LBB175_175
; %bb.174:
	global_load_b64 v[8:9], v[6:7], off
	s_mov_b32 s35, -1
	s_mov_b32 s31, 0
	s_mov_b32 s45, 0
	s_wait_loadcnt 0x0
	v_clz_i32_u32_e32 v3, v9
	s_delay_alu instid0(VALU_DEP_1) | instskip(NEXT) | instid1(VALU_DEP_1)
	v_min_u32_e32 v3, 32, v3
	v_lshlrev_b64_e32 v[8:9], v3, v[8:9]
	v_sub_nc_u32_e32 v3, 32, v3
	s_delay_alu instid0(VALU_DEP_2) | instskip(NEXT) | instid1(VALU_DEP_1)
	v_min_u32_e32 v5, 1, v8
	v_or_b32_e32 v5, v9, v5
	s_delay_alu instid0(VALU_DEP_1) | instskip(NEXT) | instid1(VALU_DEP_1)
	v_cvt_f32_u32_e32 v5, v5
	v_ldexp_f32 v3, v5, v3
	s_delay_alu instid0(VALU_DEP_1) | instskip(NEXT) | instid1(VALU_DEP_1)
	v_bfe_u32 v5, v3, 16, 1
	v_add3_u32 v3, v3, v5, 0x7fff
	s_delay_alu instid0(VALU_DEP_1)
	v_lshrrev_b32_e32 v3, 16, v3
	s_branch .LBB175_177
.LBB175_175:
	s_mov_b32 s31, -1
                                        ; implicit-def: $vgpr3
.LBB175_176:
	s_mov_b32 s45, 0
.LBB175_177:
	s_delay_alu instid0(SALU_CYCLE_1)
	s_and_b32 vcc_lo, exec_lo, s45
	s_cbranch_vccz .LBB175_195
; %bb.178:
	s_cmp_lt_i32 s34, 27
	s_cbranch_scc1 .LBB175_181
; %bb.179:
	s_cmp_gt_i32 s34, 27
	s_cbranch_scc0 .LBB175_182
; %bb.180:
	s_wait_loadcnt 0x0
	global_load_b32 v3, v[6:7], off
	s_mov_b32 s35, 0
	s_wait_loadcnt 0x0
	v_cvt_f32_u32_e32 v3, v3
	s_delay_alu instid0(VALU_DEP_1) | instskip(NEXT) | instid1(VALU_DEP_1)
	v_bfe_u32 v5, v3, 16, 1
	v_add3_u32 v3, v3, v5, 0x7fff
	s_delay_alu instid0(VALU_DEP_1)
	v_lshrrev_b32_e32 v3, 16, v3
	s_branch .LBB175_183
.LBB175_181:
	s_mov_b32 s35, -1
                                        ; implicit-def: $vgpr3
	s_branch .LBB175_186
.LBB175_182:
	s_mov_b32 s35, -1
                                        ; implicit-def: $vgpr3
.LBB175_183:
	s_delay_alu instid0(SALU_CYCLE_1)
	s_and_not1_b32 vcc_lo, exec_lo, s35
	s_cbranch_vccnz .LBB175_185
; %bb.184:
	s_wait_loadcnt 0x0
	global_load_u16 v3, v[6:7], off
	s_wait_loadcnt 0x0
	v_cvt_f32_u32_e32 v3, v3
	s_delay_alu instid0(VALU_DEP_1) | instskip(NEXT) | instid1(VALU_DEP_1)
	v_bfe_u32 v5, v3, 16, 1
	v_add3_u32 v3, v3, v5, 0x7fff
	s_delay_alu instid0(VALU_DEP_1)
	v_lshrrev_b32_e32 v3, 16, v3
.LBB175_185:
	s_mov_b32 s35, 0
.LBB175_186:
	s_delay_alu instid0(SALU_CYCLE_1)
	s_and_not1_b32 vcc_lo, exec_lo, s35
	s_cbranch_vccnz .LBB175_194
; %bb.187:
	s_wait_loadcnt 0x0
	global_load_u8 v3, v[6:7], off
	s_mov_b32 s35, 0
	s_mov_b32 s45, exec_lo
	s_wait_loadcnt 0x0
	v_cmpx_lt_i16_e32 0x7f, v3
	s_xor_b32 s45, exec_lo, s45
	s_cbranch_execz .LBB175_208
; %bb.188:
	s_mov_b32 s35, -1
	s_mov_b32 s48, exec_lo
	v_cmpx_eq_u16_e32 0x80, v3
; %bb.189:
	s_xor_b32 s35, exec_lo, -1
; %bb.190:
	s_or_b32 exec_lo, exec_lo, s48
	s_delay_alu instid0(SALU_CYCLE_1)
	s_and_b32 s35, s35, exec_lo
	s_or_saveexec_b32 s45, s45
	v_mov_b32_e32 v5, 0x7f800001
	s_xor_b32 exec_lo, exec_lo, s45
	s_cbranch_execnz .LBB175_209
.LBB175_191:
	s_or_b32 exec_lo, exec_lo, s45
	s_and_saveexec_b32 s45, s35
	s_cbranch_execz .LBB175_193
.LBB175_192:
	v_and_b32_e32 v5, 0xffff, v3
	s_delay_alu instid0(VALU_DEP_1) | instskip(SKIP_1) | instid1(VALU_DEP_2)
	v_dual_lshlrev_b32 v3, 24, v3 :: v_dual_bitop2_b32 v8, 7, v5 bitop3:0x40
	v_bfe_u32 v11, v5, 3, 4
	v_and_b32_e32 v3, 0x80000000, v3
	s_delay_alu instid0(VALU_DEP_3) | instskip(NEXT) | instid1(VALU_DEP_3)
	v_clz_i32_u32_e32 v9, v8
	v_cmp_eq_u32_e32 vcc_lo, 0, v11
	s_delay_alu instid0(VALU_DEP_2) | instskip(NEXT) | instid1(VALU_DEP_1)
	v_min_u32_e32 v9, 32, v9
	v_subrev_nc_u32_e32 v10, 28, v9
	v_sub_nc_u32_e32 v9, 29, v9
	s_delay_alu instid0(VALU_DEP_2) | instskip(NEXT) | instid1(VALU_DEP_2)
	v_lshlrev_b32_e32 v5, v10, v5
	v_cndmask_b32_e32 v9, v11, v9, vcc_lo
	s_delay_alu instid0(VALU_DEP_2) | instskip(NEXT) | instid1(VALU_DEP_1)
	v_and_b32_e32 v5, 7, v5
	v_cndmask_b32_e32 v5, v8, v5, vcc_lo
	s_delay_alu instid0(VALU_DEP_3) | instskip(NEXT) | instid1(VALU_DEP_2)
	v_lshl_add_u32 v8, v9, 23, 0x3b800000
	v_lshlrev_b32_e32 v5, 20, v5
	s_delay_alu instid0(VALU_DEP_1)
	v_or3_b32 v5, v3, v8, v5
.LBB175_193:
	s_or_b32 exec_lo, exec_lo, s45
	s_delay_alu instid0(VALU_DEP_1) | instskip(SKIP_1) | instid1(VALU_DEP_2)
	v_bfe_u32 v3, v5, 16, 1
	v_cmp_o_f32_e32 vcc_lo, v5, v5
	v_add3_u32 v3, v5, v3, 0x7fff
	s_delay_alu instid0(VALU_DEP_1) | instskip(NEXT) | instid1(VALU_DEP_1)
	v_lshrrev_b32_e32 v3, 16, v3
	v_cndmask_b32_e32 v3, 0x7fc0, v3, vcc_lo
.LBB175_194:
	s_mov_b32 s35, -1
.LBB175_195:
	s_mov_b32 s45, 0
.LBB175_196:
	s_delay_alu instid0(SALU_CYCLE_1)
	s_and_b32 vcc_lo, exec_lo, s45
	s_cbranch_vccz .LBB175_231
; %bb.197:
	s_cmp_gt_i32 s34, 22
	s_cbranch_scc0 .LBB175_207
; %bb.198:
	s_cmp_lt_i32 s34, 24
	s_cbranch_scc1 .LBB175_210
; %bb.199:
	s_cmp_gt_i32 s34, 24
	s_cbranch_scc0 .LBB175_211
; %bb.200:
	s_wait_loadcnt 0x0
	global_load_u8 v3, v[6:7], off
	s_mov_b32 s35, 0
	s_mov_b32 s45, exec_lo
	s_wait_loadcnt 0x0
	v_cmpx_lt_i16_e32 0x7f, v3
	s_xor_b32 s45, exec_lo, s45
	s_cbranch_execz .LBB175_223
; %bb.201:
	s_mov_b32 s35, -1
	s_mov_b32 s48, exec_lo
	v_cmpx_eq_u16_e32 0x80, v3
; %bb.202:
	s_xor_b32 s35, exec_lo, -1
; %bb.203:
	s_or_b32 exec_lo, exec_lo, s48
	s_delay_alu instid0(SALU_CYCLE_1)
	s_and_b32 s35, s35, exec_lo
	s_or_saveexec_b32 s45, s45
	v_mov_b32_e32 v5, 0x7f800001
	s_xor_b32 exec_lo, exec_lo, s45
	s_cbranch_execnz .LBB175_224
.LBB175_204:
	s_or_b32 exec_lo, exec_lo, s45
	s_and_saveexec_b32 s45, s35
	s_cbranch_execz .LBB175_206
.LBB175_205:
	v_and_b32_e32 v5, 0xffff, v3
	s_delay_alu instid0(VALU_DEP_1) | instskip(SKIP_1) | instid1(VALU_DEP_2)
	v_dual_lshlrev_b32 v3, 24, v3 :: v_dual_bitop2_b32 v8, 3, v5 bitop3:0x40
	v_bfe_u32 v11, v5, 2, 5
	v_and_b32_e32 v3, 0x80000000, v3
	s_delay_alu instid0(VALU_DEP_3) | instskip(NEXT) | instid1(VALU_DEP_3)
	v_clz_i32_u32_e32 v9, v8
	v_cmp_eq_u32_e32 vcc_lo, 0, v11
	s_delay_alu instid0(VALU_DEP_2) | instskip(NEXT) | instid1(VALU_DEP_1)
	v_min_u32_e32 v9, 32, v9
	v_subrev_nc_u32_e32 v10, 29, v9
	v_sub_nc_u32_e32 v9, 30, v9
	s_delay_alu instid0(VALU_DEP_2) | instskip(NEXT) | instid1(VALU_DEP_2)
	v_lshlrev_b32_e32 v5, v10, v5
	v_cndmask_b32_e32 v9, v11, v9, vcc_lo
	s_delay_alu instid0(VALU_DEP_2) | instskip(NEXT) | instid1(VALU_DEP_1)
	v_and_b32_e32 v5, 3, v5
	v_cndmask_b32_e32 v5, v8, v5, vcc_lo
	s_delay_alu instid0(VALU_DEP_3) | instskip(NEXT) | instid1(VALU_DEP_2)
	v_lshl_add_u32 v8, v9, 23, 0x37800000
	v_lshlrev_b32_e32 v5, 21, v5
	s_delay_alu instid0(VALU_DEP_1)
	v_or3_b32 v5, v3, v8, v5
.LBB175_206:
	s_or_b32 exec_lo, exec_lo, s45
	s_delay_alu instid0(VALU_DEP_1) | instskip(SKIP_2) | instid1(VALU_DEP_2)
	v_bfe_u32 v3, v5, 16, 1
	v_cmp_o_f32_e32 vcc_lo, v5, v5
	s_mov_b32 s35, 0
	v_add3_u32 v3, v5, v3, 0x7fff
	s_delay_alu instid0(VALU_DEP_1) | instskip(NEXT) | instid1(VALU_DEP_1)
	v_lshrrev_b32_e32 v3, 16, v3
	v_cndmask_b32_e32 v3, 0x7fc0, v3, vcc_lo
	s_branch .LBB175_212
.LBB175_207:
	s_mov_b32 s45, -1
                                        ; implicit-def: $vgpr3
	s_branch .LBB175_218
.LBB175_208:
	s_or_saveexec_b32 s45, s45
	v_mov_b32_e32 v5, 0x7f800001
	s_xor_b32 exec_lo, exec_lo, s45
	s_cbranch_execz .LBB175_191
.LBB175_209:
	v_cmp_ne_u16_e32 vcc_lo, 0, v3
	v_mov_b32_e32 v5, 0
	s_and_not1_b32 s35, s35, exec_lo
	s_and_b32 s48, vcc_lo, exec_lo
	s_delay_alu instid0(SALU_CYCLE_1)
	s_or_b32 s35, s35, s48
	s_or_b32 exec_lo, exec_lo, s45
	s_and_saveexec_b32 s45, s35
	s_cbranch_execnz .LBB175_192
	s_branch .LBB175_193
.LBB175_210:
	s_mov_b32 s35, -1
                                        ; implicit-def: $vgpr3
	s_branch .LBB175_215
.LBB175_211:
	s_mov_b32 s35, -1
                                        ; implicit-def: $vgpr3
.LBB175_212:
	s_delay_alu instid0(SALU_CYCLE_1)
	s_and_b32 vcc_lo, exec_lo, s35
	s_cbranch_vccz .LBB175_214
; %bb.213:
	s_wait_loadcnt 0x0
	global_load_u8 v3, v[6:7], off
	s_wait_loadcnt 0x0
	v_lshlrev_b32_e32 v3, 24, v3
	s_delay_alu instid0(VALU_DEP_1) | instskip(NEXT) | instid1(VALU_DEP_1)
	v_and_b32_e32 v5, 0x7f000000, v3
	v_clz_i32_u32_e32 v8, v5
	v_cmp_ne_u32_e32 vcc_lo, 0, v5
	v_add_nc_u32_e32 v10, 0x1000000, v5
	s_delay_alu instid0(VALU_DEP_3) | instskip(NEXT) | instid1(VALU_DEP_1)
	v_min_u32_e32 v8, 32, v8
	v_sub_nc_u32_e64 v8, v8, 4 clamp
	s_delay_alu instid0(VALU_DEP_1) | instskip(NEXT) | instid1(VALU_DEP_1)
	v_dual_lshlrev_b32 v9, v8, v5 :: v_dual_lshlrev_b32 v8, 23, v8
	v_lshrrev_b32_e32 v9, 4, v9
	s_delay_alu instid0(VALU_DEP_1) | instskip(NEXT) | instid1(VALU_DEP_1)
	v_dual_sub_nc_u32 v8, v9, v8 :: v_dual_ashrrev_i32 v9, 8, v10
	v_add_nc_u32_e32 v8, 0x3c000000, v8
	s_delay_alu instid0(VALU_DEP_1) | instskip(NEXT) | instid1(VALU_DEP_1)
	v_and_or_b32 v8, 0x7f800000, v9, v8
	v_cndmask_b32_e32 v5, 0, v8, vcc_lo
	s_delay_alu instid0(VALU_DEP_1) | instskip(SKIP_1) | instid1(VALU_DEP_2)
	v_and_or_b32 v3, 0x80000000, v3, v5
	v_bfe_u32 v5, v5, 16, 1
	v_cmp_o_f32_e32 vcc_lo, v3, v3
	s_delay_alu instid0(VALU_DEP_2) | instskip(NEXT) | instid1(VALU_DEP_1)
	v_add3_u32 v5, v3, v5, 0x7fff
	v_lshrrev_b32_e32 v5, 16, v5
	s_delay_alu instid0(VALU_DEP_1)
	v_cndmask_b32_e32 v3, 0x7fc0, v5, vcc_lo
.LBB175_214:
	s_mov_b32 s35, 0
.LBB175_215:
	s_delay_alu instid0(SALU_CYCLE_1)
	s_and_not1_b32 vcc_lo, exec_lo, s35
	s_cbranch_vccnz .LBB175_217
; %bb.216:
	s_wait_loadcnt 0x0
	global_load_u8 v3, v[6:7], off
	s_wait_loadcnt 0x0
	v_lshlrev_b32_e32 v5, 25, v3
	v_lshlrev_b16 v3, 8, v3
	s_delay_alu instid0(VALU_DEP_1) | instskip(SKIP_1) | instid1(VALU_DEP_2)
	v_and_or_b32 v9, 0x7f00, v3, 0.5
	v_bfe_i32 v3, v3, 0, 16
	v_add_f32_e32 v9, -0.5, v9
	v_lshrrev_b32_e32 v8, 4, v5
	v_cmp_gt_u32_e32 vcc_lo, 0x8000000, v5
	s_delay_alu instid0(VALU_DEP_2) | instskip(NEXT) | instid1(VALU_DEP_1)
	v_or_b32_e32 v8, 0x70000000, v8
	v_mul_f32_e32 v8, 0x7800000, v8
	s_delay_alu instid0(VALU_DEP_1) | instskip(NEXT) | instid1(VALU_DEP_1)
	v_cndmask_b32_e32 v5, v8, v9, vcc_lo
	v_and_or_b32 v3, 0x80000000, v3, v5
	v_bfe_u32 v5, v5, 16, 1
	s_delay_alu instid0(VALU_DEP_2) | instskip(NEXT) | instid1(VALU_DEP_2)
	v_cmp_o_f32_e32 vcc_lo, v3, v3
	v_add3_u32 v5, v3, v5, 0x7fff
	s_delay_alu instid0(VALU_DEP_1) | instskip(NEXT) | instid1(VALU_DEP_1)
	v_lshrrev_b32_e32 v5, 16, v5
	v_cndmask_b32_e32 v3, 0x7fc0, v5, vcc_lo
.LBB175_217:
	s_mov_b32 s45, 0
	s_mov_b32 s35, -1
.LBB175_218:
	s_and_not1_b32 vcc_lo, exec_lo, s45
	s_cbranch_vccnz .LBB175_231
; %bb.219:
	s_cmp_gt_i32 s34, 14
	s_cbranch_scc0 .LBB175_222
; %bb.220:
	s_cmp_eq_u32 s34, 15
	s_cbranch_scc0 .LBB175_225
; %bb.221:
	s_wait_loadcnt 0x0
	global_load_u16 v3, v[6:7], off
	s_mov_b32 s35, -1
	s_mov_b32 s31, 0
	s_branch .LBB175_226
.LBB175_222:
	s_mov_b32 s45, -1
                                        ; implicit-def: $vgpr3
	s_branch .LBB175_227
.LBB175_223:
	s_or_saveexec_b32 s45, s45
	v_mov_b32_e32 v5, 0x7f800001
	s_xor_b32 exec_lo, exec_lo, s45
	s_cbranch_execz .LBB175_204
.LBB175_224:
	v_cmp_ne_u16_e32 vcc_lo, 0, v3
	v_mov_b32_e32 v5, 0
	s_and_not1_b32 s35, s35, exec_lo
	s_and_b32 s48, vcc_lo, exec_lo
	s_delay_alu instid0(SALU_CYCLE_1)
	s_or_b32 s35, s35, s48
	s_or_b32 exec_lo, exec_lo, s45
	s_and_saveexec_b32 s45, s35
	s_cbranch_execnz .LBB175_205
	s_branch .LBB175_206
.LBB175_225:
	s_mov_b32 s31, -1
                                        ; implicit-def: $vgpr3
.LBB175_226:
	s_mov_b32 s45, 0
.LBB175_227:
	s_delay_alu instid0(SALU_CYCLE_1)
	s_and_b32 vcc_lo, exec_lo, s45
	s_cbranch_vccz .LBB175_231
; %bb.228:
	s_cmp_eq_u32 s34, 11
	s_cbranch_scc0 .LBB175_230
; %bb.229:
	s_wait_loadcnt 0x0
	global_load_u8 v3, v[6:7], off
	s_mov_b32 s31, 0
	s_mov_b32 s35, -1
	s_wait_loadcnt 0x0
	v_cmp_ne_u16_e32 vcc_lo, 0, v3
	v_cndmask_b32_e64 v3, 0, 1.0, vcc_lo
	s_delay_alu instid0(VALU_DEP_1)
	v_lshrrev_b32_e32 v3, 16, v3
	s_branch .LBB175_231
.LBB175_230:
	s_mov_b32 s31, -1
                                        ; implicit-def: $vgpr3
.LBB175_231:
	s_branch .LBB175_31
.LBB175_232:
	s_and_b32 s0, 0xffff, s0
	s_delay_alu instid0(SALU_CYCLE_1)
	s_cmp_lt_i32 s0, 5
	s_cbranch_scc1 .LBB175_237
; %bb.233:
	s_cmp_lt_i32 s0, 8
	s_cbranch_scc1 .LBB175_238
; %bb.234:
	;; [unrolled: 3-line block ×3, first 2 shown]
	s_cmp_gt_i32 s0, 9
	s_cbranch_scc0 .LBB175_240
; %bb.236:
	global_load_b64 v[8:9], v[6:7], off
	s_mov_b32 s34, 0
	s_wait_loadcnt 0x0
	v_cvt_f32_f64_e32 v3, v[8:9]
	s_delay_alu instid0(VALU_DEP_1) | instskip(SKIP_1) | instid1(VALU_DEP_2)
	v_bfe_u32 v5, v3, 16, 1
	v_cmp_o_f32_e32 vcc_lo, v3, v3
	v_add3_u32 v5, v3, v5, 0x7fff
	s_delay_alu instid0(VALU_DEP_1) | instskip(NEXT) | instid1(VALU_DEP_1)
	v_lshrrev_b32_e32 v5, 16, v5
	v_cndmask_b32_e32 v3, 0x7fc0, v5, vcc_lo
	s_branch .LBB175_241
.LBB175_237:
	s_mov_b32 s34, -1
                                        ; implicit-def: $vgpr3
	s_branch .LBB175_259
.LBB175_238:
	s_mov_b32 s34, -1
                                        ; implicit-def: $vgpr3
	s_branch .LBB175_247
.LBB175_239:
	s_mov_b32 s34, -1
                                        ; implicit-def: $vgpr3
	s_branch .LBB175_244
.LBB175_240:
	s_mov_b32 s34, -1
                                        ; implicit-def: $vgpr3
.LBB175_241:
	s_delay_alu instid0(SALU_CYCLE_1)
	s_and_not1_b32 vcc_lo, exec_lo, s34
	s_cbranch_vccnz .LBB175_243
; %bb.242:
	s_wait_loadcnt 0x0
	global_load_b32 v3, v[6:7], off
	s_wait_loadcnt 0x0
	v_bfe_u32 v5, v3, 16, 1
	v_cmp_o_f32_e32 vcc_lo, v3, v3
	s_delay_alu instid0(VALU_DEP_2) | instskip(NEXT) | instid1(VALU_DEP_1)
	v_add3_u32 v5, v3, v5, 0x7fff
	v_lshrrev_b32_e32 v5, 16, v5
	s_delay_alu instid0(VALU_DEP_1)
	v_cndmask_b32_e32 v3, 0x7fc0, v5, vcc_lo
.LBB175_243:
	s_mov_b32 s34, 0
.LBB175_244:
	s_delay_alu instid0(SALU_CYCLE_1)
	s_and_not1_b32 vcc_lo, exec_lo, s34
	s_cbranch_vccnz .LBB175_246
; %bb.245:
	s_wait_loadcnt 0x0
	global_load_b32 v3, v[6:7], off
	s_wait_loadcnt 0x0
	v_cvt_f32_f16_e32 v5, v3
	v_cmp_o_f16_e32 vcc_lo, v3, v3
	s_delay_alu instid0(VALU_DEP_2) | instskip(NEXT) | instid1(VALU_DEP_1)
	v_bfe_u32 v8, v5, 16, 1
	v_add3_u32 v5, v5, v8, 0x7fff
	s_delay_alu instid0(VALU_DEP_1) | instskip(NEXT) | instid1(VALU_DEP_1)
	v_lshrrev_b32_e32 v5, 16, v5
	v_cndmask_b32_e32 v3, 0x7fc0, v5, vcc_lo
.LBB175_246:
	s_mov_b32 s34, 0
.LBB175_247:
	s_delay_alu instid0(SALU_CYCLE_1)
	s_and_not1_b32 vcc_lo, exec_lo, s34
	s_cbranch_vccnz .LBB175_258
; %bb.248:
	s_cmp_lt_i32 s0, 6
	s_cbranch_scc1 .LBB175_251
; %bb.249:
	s_cmp_gt_i32 s0, 6
	s_cbranch_scc0 .LBB175_252
; %bb.250:
	global_load_b64 v[8:9], v[6:7], off
	s_mov_b32 s34, 0
	s_wait_loadcnt 0x0
	v_cvt_f32_f64_e32 v3, v[8:9]
	s_delay_alu instid0(VALU_DEP_1) | instskip(SKIP_1) | instid1(VALU_DEP_2)
	v_bfe_u32 v5, v3, 16, 1
	v_cmp_o_f32_e32 vcc_lo, v3, v3
	v_add3_u32 v5, v3, v5, 0x7fff
	s_delay_alu instid0(VALU_DEP_1) | instskip(NEXT) | instid1(VALU_DEP_1)
	v_lshrrev_b32_e32 v5, 16, v5
	v_cndmask_b32_e32 v3, 0x7fc0, v5, vcc_lo
	s_branch .LBB175_253
.LBB175_251:
	s_mov_b32 s34, -1
                                        ; implicit-def: $vgpr3
	s_branch .LBB175_256
.LBB175_252:
	s_mov_b32 s34, -1
                                        ; implicit-def: $vgpr3
.LBB175_253:
	s_delay_alu instid0(SALU_CYCLE_1)
	s_and_not1_b32 vcc_lo, exec_lo, s34
	s_cbranch_vccnz .LBB175_255
; %bb.254:
	s_wait_loadcnt 0x0
	global_load_b32 v3, v[6:7], off
	s_wait_loadcnt 0x0
	v_bfe_u32 v5, v3, 16, 1
	v_cmp_o_f32_e32 vcc_lo, v3, v3
	s_delay_alu instid0(VALU_DEP_2) | instskip(NEXT) | instid1(VALU_DEP_1)
	v_add3_u32 v5, v3, v5, 0x7fff
	v_lshrrev_b32_e32 v5, 16, v5
	s_delay_alu instid0(VALU_DEP_1)
	v_cndmask_b32_e32 v3, 0x7fc0, v5, vcc_lo
.LBB175_255:
	s_mov_b32 s34, 0
.LBB175_256:
	s_delay_alu instid0(SALU_CYCLE_1)
	s_and_not1_b32 vcc_lo, exec_lo, s34
	s_cbranch_vccnz .LBB175_258
; %bb.257:
	s_wait_loadcnt 0x0
	global_load_u16 v3, v[6:7], off
	s_wait_loadcnt 0x0
	v_cvt_f32_f16_e32 v5, v3
	v_cmp_o_f16_e32 vcc_lo, v3, v3
	s_delay_alu instid0(VALU_DEP_2) | instskip(NEXT) | instid1(VALU_DEP_1)
	v_bfe_u32 v8, v5, 16, 1
	v_add3_u32 v5, v5, v8, 0x7fff
	s_delay_alu instid0(VALU_DEP_1) | instskip(NEXT) | instid1(VALU_DEP_1)
	v_lshrrev_b32_e32 v5, 16, v5
	v_cndmask_b32_e32 v3, 0x7fc0, v5, vcc_lo
.LBB175_258:
	s_mov_b32 s34, 0
.LBB175_259:
	s_delay_alu instid0(SALU_CYCLE_1)
	s_and_not1_b32 vcc_lo, exec_lo, s34
	s_cbranch_vccnz .LBB175_279
; %bb.260:
	s_cmp_lt_i32 s0, 2
	s_cbranch_scc1 .LBB175_264
; %bb.261:
	s_cmp_lt_i32 s0, 3
	s_cbranch_scc1 .LBB175_265
; %bb.262:
	s_cmp_gt_i32 s0, 3
	s_cbranch_scc0 .LBB175_266
; %bb.263:
	global_load_b64 v[8:9], v[6:7], off
	s_mov_b32 s34, 0
	s_wait_loadcnt 0x0
	v_xor_b32_e32 v3, v8, v9
	v_cls_i32_e32 v5, v9
	s_delay_alu instid0(VALU_DEP_2) | instskip(NEXT) | instid1(VALU_DEP_1)
	v_ashrrev_i32_e32 v3, 31, v3
	v_add_nc_u32_e32 v3, 32, v3
	s_delay_alu instid0(VALU_DEP_1) | instskip(NEXT) | instid1(VALU_DEP_1)
	v_add_min_u32_e64 v3, v5, -1, v3
	v_lshlrev_b64_e32 v[8:9], v3, v[8:9]
	v_sub_nc_u32_e32 v3, 32, v3
	s_delay_alu instid0(VALU_DEP_2) | instskip(NEXT) | instid1(VALU_DEP_1)
	v_min_u32_e32 v5, 1, v8
	v_or_b32_e32 v5, v9, v5
	s_delay_alu instid0(VALU_DEP_1) | instskip(NEXT) | instid1(VALU_DEP_1)
	v_cvt_f32_i32_e32 v5, v5
	v_ldexp_f32 v3, v5, v3
	s_delay_alu instid0(VALU_DEP_1) | instskip(NEXT) | instid1(VALU_DEP_1)
	v_bfe_u32 v5, v3, 16, 1
	v_add3_u32 v3, v3, v5, 0x7fff
	s_delay_alu instid0(VALU_DEP_1)
	v_lshrrev_b32_e32 v3, 16, v3
	s_branch .LBB175_267
.LBB175_264:
	s_mov_b32 s34, -1
                                        ; implicit-def: $vgpr3
	s_branch .LBB175_273
.LBB175_265:
	s_mov_b32 s34, -1
                                        ; implicit-def: $vgpr3
	s_branch .LBB175_270
.LBB175_266:
	s_mov_b32 s34, -1
                                        ; implicit-def: $vgpr3
.LBB175_267:
	s_delay_alu instid0(SALU_CYCLE_1)
	s_and_not1_b32 vcc_lo, exec_lo, s34
	s_cbranch_vccnz .LBB175_269
; %bb.268:
	s_wait_loadcnt 0x0
	global_load_b32 v3, v[6:7], off
	s_wait_loadcnt 0x0
	v_cvt_f32_i32_e32 v3, v3
	s_delay_alu instid0(VALU_DEP_1) | instskip(NEXT) | instid1(VALU_DEP_1)
	v_bfe_u32 v5, v3, 16, 1
	v_add3_u32 v3, v3, v5, 0x7fff
	s_delay_alu instid0(VALU_DEP_1)
	v_lshrrev_b32_e32 v3, 16, v3
.LBB175_269:
	s_mov_b32 s34, 0
.LBB175_270:
	s_delay_alu instid0(SALU_CYCLE_1)
	s_and_not1_b32 vcc_lo, exec_lo, s34
	s_cbranch_vccnz .LBB175_272
; %bb.271:
	s_wait_loadcnt 0x0
	global_load_i16 v3, v[6:7], off
	s_wait_loadcnt 0x0
	v_cvt_f32_i32_e32 v3, v3
	s_delay_alu instid0(VALU_DEP_1) | instskip(NEXT) | instid1(VALU_DEP_1)
	v_bfe_u32 v5, v3, 16, 1
	v_add3_u32 v3, v3, v5, 0x7fff
	s_delay_alu instid0(VALU_DEP_1)
	v_lshrrev_b32_e32 v3, 16, v3
.LBB175_272:
	s_mov_b32 s34, 0
.LBB175_273:
	s_delay_alu instid0(SALU_CYCLE_1)
	s_and_not1_b32 vcc_lo, exec_lo, s34
	s_cbranch_vccnz .LBB175_279
; %bb.274:
	s_cmp_gt_i32 s0, 0
	s_mov_b32 s0, 0
	s_cbranch_scc0 .LBB175_276
; %bb.275:
	s_wait_loadcnt 0x0
	global_load_i8 v3, v[6:7], off
	s_wait_loadcnt 0x0
	v_cvt_f32_i32_e32 v3, v3
	s_delay_alu instid0(VALU_DEP_1) | instskip(NEXT) | instid1(VALU_DEP_1)
	v_bfe_u32 v5, v3, 16, 1
	v_add3_u32 v3, v3, v5, 0x7fff
	s_delay_alu instid0(VALU_DEP_1)
	v_lshrrev_b32_e32 v3, 16, v3
	s_branch .LBB175_277
.LBB175_276:
	s_mov_b32 s0, -1
                                        ; implicit-def: $vgpr3
.LBB175_277:
	s_delay_alu instid0(SALU_CYCLE_1)
	s_and_not1_b32 vcc_lo, exec_lo, s0
	s_cbranch_vccnz .LBB175_279
; %bb.278:
	s_wait_loadcnt 0x0
	global_load_u8 v3, v[6:7], off
	s_wait_loadcnt 0x0
	v_cvt_f32_ubyte0_e32 v3, v3
	s_delay_alu instid0(VALU_DEP_1) | instskip(NEXT) | instid1(VALU_DEP_1)
	v_bfe_u32 v5, v3, 16, 1
	v_add3_u32 v3, v3, v5, 0x7fff
	s_delay_alu instid0(VALU_DEP_1)
	v_lshrrev_b32_e32 v3, 16, v3
.LBB175_279:
	s_branch .LBB175_32
.LBB175_280:
	s_mov_b32 s0, 0
	s_mov_b32 s34, 0
	s_branch .LBB175_521
.LBB175_281:
	s_mov_b32 s34, -1
.LBB175_282:
	s_mov_b32 s35, 0
                                        ; implicit-def: $vgpr6
.LBB175_283:
	s_and_b32 vcc_lo, exec_lo, s45
	s_cbranch_vccz .LBB175_287
; %bb.284:
	s_cmp_eq_u32 s0, 44
	s_cbranch_scc0 .LBB175_286
; %bb.285:
	s_wait_loadcnt 0x0
	global_load_u8 v6, v[4:5], off
	s_mov_b32 s34, 0
	s_mov_b32 s35, -1
	s_wait_loadcnt 0x0
	v_lshlrev_b32_e32 v7, 23, v6
	v_cmp_ne_u32_e32 vcc_lo, 0xff, v6
	s_delay_alu instid0(VALU_DEP_2) | instskip(SKIP_1) | instid1(VALU_DEP_2)
	v_cndmask_b32_e32 v7, 0x7f800001, v7, vcc_lo
	v_cmp_ne_u32_e32 vcc_lo, 0, v6
	v_cndmask_b32_e32 v6, 0x400000, v7, vcc_lo
	s_delay_alu instid0(VALU_DEP_1) | instskip(NEXT) | instid1(VALU_DEP_1)
	v_add_nc_u32_e32 v7, 0x7fff, v6
	v_lshrrev_b32_e32 v7, 16, v7
	v_cmp_o_f32_e32 vcc_lo, v6, v6
	s_delay_alu instid0(VALU_DEP_2)
	v_cndmask_b32_e32 v6, 0x7fc0, v7, vcc_lo
	s_branch .LBB175_287
.LBB175_286:
	s_mov_b32 s34, -1
                                        ; implicit-def: $vgpr6
.LBB175_287:
	s_mov_b32 s45, 0
.LBB175_288:
	s_delay_alu instid0(SALU_CYCLE_1)
	s_and_b32 vcc_lo, exec_lo, s45
	s_cbranch_vccz .LBB175_292
; %bb.289:
	s_cmp_eq_u32 s0, 29
	s_cbranch_scc0 .LBB175_291
; %bb.290:
	s_wait_loadcnt 0x0
	global_load_b64 v[6:7], v[4:5], off
	s_mov_b32 s35, -1
	s_mov_b32 s34, 0
	s_mov_b32 s45, 0
	s_wait_loadcnt 0x0
	v_clz_i32_u32_e32 v8, v7
	s_delay_alu instid0(VALU_DEP_1) | instskip(NEXT) | instid1(VALU_DEP_1)
	v_min_u32_e32 v8, 32, v8
	v_lshlrev_b64_e32 v[6:7], v8, v[6:7]
	s_delay_alu instid0(VALU_DEP_1) | instskip(NEXT) | instid1(VALU_DEP_1)
	v_min_u32_e32 v6, 1, v6
	v_dual_sub_nc_u32 v7, 32, v8 :: v_dual_bitop2_b32 v6, v7, v6 bitop3:0x54
	s_delay_alu instid0(VALU_DEP_1) | instskip(NEXT) | instid1(VALU_DEP_1)
	v_cvt_f32_u32_e32 v6, v6
	v_ldexp_f32 v6, v6, v7
	s_delay_alu instid0(VALU_DEP_1) | instskip(NEXT) | instid1(VALU_DEP_1)
	v_bfe_u32 v7, v6, 16, 1
	v_add3_u32 v6, v6, v7, 0x7fff
	s_delay_alu instid0(VALU_DEP_1)
	v_lshrrev_b32_e32 v6, 16, v6
	s_branch .LBB175_293
.LBB175_291:
	s_mov_b32 s34, -1
                                        ; implicit-def: $vgpr6
.LBB175_292:
	s_mov_b32 s45, 0
.LBB175_293:
	s_delay_alu instid0(SALU_CYCLE_1)
	s_and_b32 vcc_lo, exec_lo, s45
	s_cbranch_vccz .LBB175_311
; %bb.294:
	s_cmp_lt_i32 s0, 27
	s_cbranch_scc1 .LBB175_297
; %bb.295:
	s_cmp_gt_i32 s0, 27
	s_cbranch_scc0 .LBB175_298
; %bb.296:
	s_wait_loadcnt 0x0
	global_load_b32 v6, v[4:5], off
	s_mov_b32 s35, 0
	s_wait_loadcnt 0x0
	v_cvt_f32_u32_e32 v6, v6
	s_delay_alu instid0(VALU_DEP_1) | instskip(NEXT) | instid1(VALU_DEP_1)
	v_bfe_u32 v7, v6, 16, 1
	v_add3_u32 v6, v6, v7, 0x7fff
	s_delay_alu instid0(VALU_DEP_1)
	v_lshrrev_b32_e32 v6, 16, v6
	s_branch .LBB175_299
.LBB175_297:
	s_mov_b32 s35, -1
                                        ; implicit-def: $vgpr6
	s_branch .LBB175_302
.LBB175_298:
	s_mov_b32 s35, -1
                                        ; implicit-def: $vgpr6
.LBB175_299:
	s_delay_alu instid0(SALU_CYCLE_1)
	s_and_not1_b32 vcc_lo, exec_lo, s35
	s_cbranch_vccnz .LBB175_301
; %bb.300:
	s_wait_loadcnt 0x0
	global_load_u16 v6, v[4:5], off
	s_wait_loadcnt 0x0
	v_cvt_f32_u32_e32 v6, v6
	s_delay_alu instid0(VALU_DEP_1) | instskip(NEXT) | instid1(VALU_DEP_1)
	v_bfe_u32 v7, v6, 16, 1
	v_add3_u32 v6, v6, v7, 0x7fff
	s_delay_alu instid0(VALU_DEP_1)
	v_lshrrev_b32_e32 v6, 16, v6
.LBB175_301:
	s_mov_b32 s35, 0
.LBB175_302:
	s_delay_alu instid0(SALU_CYCLE_1)
	s_and_not1_b32 vcc_lo, exec_lo, s35
	s_cbranch_vccnz .LBB175_310
; %bb.303:
	s_wait_loadcnt 0x0
	global_load_u8 v6, v[4:5], off
	s_mov_b32 s35, 0
	s_mov_b32 s45, exec_lo
	s_wait_loadcnt 0x0
	v_cmpx_lt_i16_e32 0x7f, v6
	s_xor_b32 s45, exec_lo, s45
	s_cbranch_execz .LBB175_324
; %bb.304:
	s_mov_b32 s35, -1
	s_mov_b32 s48, exec_lo
	v_cmpx_eq_u16_e32 0x80, v6
; %bb.305:
	s_xor_b32 s35, exec_lo, -1
; %bb.306:
	s_or_b32 exec_lo, exec_lo, s48
	s_delay_alu instid0(SALU_CYCLE_1)
	s_and_b32 s35, s35, exec_lo
	s_or_saveexec_b32 s45, s45
	v_mov_b32_e32 v7, 0x7f800001
	s_xor_b32 exec_lo, exec_lo, s45
	s_cbranch_execnz .LBB175_325
.LBB175_307:
	s_or_b32 exec_lo, exec_lo, s45
	s_and_saveexec_b32 s45, s35
	s_cbranch_execz .LBB175_309
.LBB175_308:
	v_and_b32_e32 v7, 0xffff, v6
	s_delay_alu instid0(VALU_DEP_1) | instskip(SKIP_1) | instid1(VALU_DEP_2)
	v_and_b32_e32 v8, 7, v7
	v_bfe_u32 v11, v7, 3, 4
	v_clz_i32_u32_e32 v9, v8
	s_delay_alu instid0(VALU_DEP_2) | instskip(NEXT) | instid1(VALU_DEP_2)
	v_cmp_eq_u32_e32 vcc_lo, 0, v11
	v_min_u32_e32 v9, 32, v9
	s_delay_alu instid0(VALU_DEP_1) | instskip(NEXT) | instid1(VALU_DEP_1)
	v_subrev_nc_u32_e32 v10, 28, v9
	v_dual_lshlrev_b32 v7, v10, v7 :: v_dual_sub_nc_u32 v9, 29, v9
	s_delay_alu instid0(VALU_DEP_1) | instskip(NEXT) | instid1(VALU_DEP_1)
	v_dual_lshlrev_b32 v6, 24, v6 :: v_dual_bitop2_b32 v7, 7, v7 bitop3:0x40
	v_dual_cndmask_b32 v9, v11, v9, vcc_lo :: v_dual_cndmask_b32 v7, v8, v7, vcc_lo
	s_delay_alu instid0(VALU_DEP_2) | instskip(NEXT) | instid1(VALU_DEP_2)
	v_and_b32_e32 v6, 0x80000000, v6
	v_lshl_add_u32 v8, v9, 23, 0x3b800000
	s_delay_alu instid0(VALU_DEP_3) | instskip(NEXT) | instid1(VALU_DEP_1)
	v_lshlrev_b32_e32 v7, 20, v7
	v_or3_b32 v7, v6, v8, v7
.LBB175_309:
	s_or_b32 exec_lo, exec_lo, s45
	s_delay_alu instid0(VALU_DEP_1) | instskip(SKIP_1) | instid1(VALU_DEP_2)
	v_bfe_u32 v6, v7, 16, 1
	v_cmp_o_f32_e32 vcc_lo, v7, v7
	v_add3_u32 v6, v7, v6, 0x7fff
	s_delay_alu instid0(VALU_DEP_1) | instskip(NEXT) | instid1(VALU_DEP_1)
	v_lshrrev_b32_e32 v6, 16, v6
	v_cndmask_b32_e32 v6, 0x7fc0, v6, vcc_lo
.LBB175_310:
	s_mov_b32 s35, -1
.LBB175_311:
	s_mov_b32 s45, 0
.LBB175_312:
	s_delay_alu instid0(SALU_CYCLE_1)
	s_and_b32 vcc_lo, exec_lo, s45
	s_cbranch_vccz .LBB175_347
; %bb.313:
	s_cmp_gt_i32 s0, 22
	s_cbranch_scc0 .LBB175_323
; %bb.314:
	s_cmp_lt_i32 s0, 24
	s_cbranch_scc1 .LBB175_326
; %bb.315:
	s_cmp_gt_i32 s0, 24
	s_cbranch_scc0 .LBB175_327
; %bb.316:
	s_wait_loadcnt 0x0
	global_load_u8 v6, v[4:5], off
	s_mov_b32 s35, 0
	s_mov_b32 s45, exec_lo
	s_wait_loadcnt 0x0
	v_cmpx_lt_i16_e32 0x7f, v6
	s_xor_b32 s45, exec_lo, s45
	s_cbranch_execz .LBB175_339
; %bb.317:
	s_mov_b32 s35, -1
	s_mov_b32 s48, exec_lo
	v_cmpx_eq_u16_e32 0x80, v6
; %bb.318:
	s_xor_b32 s35, exec_lo, -1
; %bb.319:
	s_or_b32 exec_lo, exec_lo, s48
	s_delay_alu instid0(SALU_CYCLE_1)
	s_and_b32 s35, s35, exec_lo
	s_or_saveexec_b32 s45, s45
	v_mov_b32_e32 v7, 0x7f800001
	s_xor_b32 exec_lo, exec_lo, s45
	s_cbranch_execnz .LBB175_340
.LBB175_320:
	s_or_b32 exec_lo, exec_lo, s45
	s_and_saveexec_b32 s45, s35
	s_cbranch_execz .LBB175_322
.LBB175_321:
	v_and_b32_e32 v7, 0xffff, v6
	s_delay_alu instid0(VALU_DEP_1) | instskip(SKIP_1) | instid1(VALU_DEP_2)
	v_and_b32_e32 v8, 3, v7
	v_bfe_u32 v11, v7, 2, 5
	v_clz_i32_u32_e32 v9, v8
	s_delay_alu instid0(VALU_DEP_2) | instskip(NEXT) | instid1(VALU_DEP_2)
	v_cmp_eq_u32_e32 vcc_lo, 0, v11
	v_min_u32_e32 v9, 32, v9
	s_delay_alu instid0(VALU_DEP_1) | instskip(NEXT) | instid1(VALU_DEP_1)
	v_subrev_nc_u32_e32 v10, 29, v9
	v_dual_lshlrev_b32 v7, v10, v7 :: v_dual_sub_nc_u32 v9, 30, v9
	s_delay_alu instid0(VALU_DEP_1) | instskip(NEXT) | instid1(VALU_DEP_1)
	v_dual_lshlrev_b32 v6, 24, v6 :: v_dual_bitop2_b32 v7, 3, v7 bitop3:0x40
	v_dual_cndmask_b32 v9, v11, v9, vcc_lo :: v_dual_cndmask_b32 v7, v8, v7, vcc_lo
	s_delay_alu instid0(VALU_DEP_2) | instskip(NEXT) | instid1(VALU_DEP_2)
	v_and_b32_e32 v6, 0x80000000, v6
	v_lshl_add_u32 v8, v9, 23, 0x37800000
	s_delay_alu instid0(VALU_DEP_3) | instskip(NEXT) | instid1(VALU_DEP_1)
	v_lshlrev_b32_e32 v7, 21, v7
	v_or3_b32 v7, v6, v8, v7
.LBB175_322:
	s_or_b32 exec_lo, exec_lo, s45
	s_delay_alu instid0(VALU_DEP_1) | instskip(SKIP_2) | instid1(VALU_DEP_2)
	v_bfe_u32 v6, v7, 16, 1
	v_cmp_o_f32_e32 vcc_lo, v7, v7
	s_mov_b32 s35, 0
	v_add3_u32 v6, v7, v6, 0x7fff
	s_delay_alu instid0(VALU_DEP_1) | instskip(NEXT) | instid1(VALU_DEP_1)
	v_lshrrev_b32_e32 v6, 16, v6
	v_cndmask_b32_e32 v6, 0x7fc0, v6, vcc_lo
	s_branch .LBB175_328
.LBB175_323:
	s_mov_b32 s45, -1
                                        ; implicit-def: $vgpr6
	s_branch .LBB175_334
.LBB175_324:
	s_or_saveexec_b32 s45, s45
	v_mov_b32_e32 v7, 0x7f800001
	s_xor_b32 exec_lo, exec_lo, s45
	s_cbranch_execz .LBB175_307
.LBB175_325:
	v_cmp_ne_u16_e32 vcc_lo, 0, v6
	v_mov_b32_e32 v7, 0
	s_and_not1_b32 s35, s35, exec_lo
	s_and_b32 s48, vcc_lo, exec_lo
	s_delay_alu instid0(SALU_CYCLE_1)
	s_or_b32 s35, s35, s48
	s_or_b32 exec_lo, exec_lo, s45
	s_and_saveexec_b32 s45, s35
	s_cbranch_execnz .LBB175_308
	s_branch .LBB175_309
.LBB175_326:
	s_mov_b32 s35, -1
                                        ; implicit-def: $vgpr6
	s_branch .LBB175_331
.LBB175_327:
	s_mov_b32 s35, -1
                                        ; implicit-def: $vgpr6
.LBB175_328:
	s_delay_alu instid0(SALU_CYCLE_1)
	s_and_b32 vcc_lo, exec_lo, s35
	s_cbranch_vccz .LBB175_330
; %bb.329:
	s_wait_loadcnt 0x0
	global_load_u8 v6, v[4:5], off
	s_wait_loadcnt 0x0
	v_lshlrev_b32_e32 v6, 24, v6
	s_delay_alu instid0(VALU_DEP_1) | instskip(NEXT) | instid1(VALU_DEP_1)
	v_and_b32_e32 v7, 0x7f000000, v6
	v_clz_i32_u32_e32 v8, v7
	v_cmp_ne_u32_e32 vcc_lo, 0, v7
	v_add_nc_u32_e32 v10, 0x1000000, v7
	s_delay_alu instid0(VALU_DEP_3) | instskip(NEXT) | instid1(VALU_DEP_1)
	v_min_u32_e32 v8, 32, v8
	v_sub_nc_u32_e64 v8, v8, 4 clamp
	s_delay_alu instid0(VALU_DEP_1) | instskip(NEXT) | instid1(VALU_DEP_1)
	v_dual_lshlrev_b32 v9, v8, v7 :: v_dual_lshlrev_b32 v8, 23, v8
	v_lshrrev_b32_e32 v9, 4, v9
	s_delay_alu instid0(VALU_DEP_1) | instskip(NEXT) | instid1(VALU_DEP_1)
	v_dual_sub_nc_u32 v8, v9, v8 :: v_dual_ashrrev_i32 v9, 8, v10
	v_add_nc_u32_e32 v8, 0x3c000000, v8
	s_delay_alu instid0(VALU_DEP_1) | instskip(NEXT) | instid1(VALU_DEP_1)
	v_and_or_b32 v8, 0x7f800000, v9, v8
	v_cndmask_b32_e32 v7, 0, v8, vcc_lo
	s_delay_alu instid0(VALU_DEP_1) | instskip(SKIP_1) | instid1(VALU_DEP_2)
	v_and_or_b32 v6, 0x80000000, v6, v7
	v_bfe_u32 v7, v7, 16, 1
	v_cmp_o_f32_e32 vcc_lo, v6, v6
	s_delay_alu instid0(VALU_DEP_2) | instskip(NEXT) | instid1(VALU_DEP_1)
	v_add3_u32 v7, v6, v7, 0x7fff
	v_lshrrev_b32_e32 v7, 16, v7
	s_delay_alu instid0(VALU_DEP_1)
	v_cndmask_b32_e32 v6, 0x7fc0, v7, vcc_lo
.LBB175_330:
	s_mov_b32 s35, 0
.LBB175_331:
	s_delay_alu instid0(SALU_CYCLE_1)
	s_and_not1_b32 vcc_lo, exec_lo, s35
	s_cbranch_vccnz .LBB175_333
; %bb.332:
	s_wait_loadcnt 0x0
	global_load_u8 v6, v[4:5], off
	s_wait_loadcnt 0x0
	v_lshlrev_b32_e32 v7, 25, v6
	v_lshlrev_b16 v6, 8, v6
	s_delay_alu instid0(VALU_DEP_1) | instskip(SKIP_1) | instid1(VALU_DEP_2)
	v_and_or_b32 v9, 0x7f00, v6, 0.5
	v_bfe_i32 v6, v6, 0, 16
	v_dual_add_f32 v9, -0.5, v9 :: v_dual_lshrrev_b32 v8, 4, v7
	v_cmp_gt_u32_e32 vcc_lo, 0x8000000, v7
	s_delay_alu instid0(VALU_DEP_2) | instskip(NEXT) | instid1(VALU_DEP_1)
	v_or_b32_e32 v8, 0x70000000, v8
	v_mul_f32_e32 v8, 0x7800000, v8
	s_delay_alu instid0(VALU_DEP_1) | instskip(NEXT) | instid1(VALU_DEP_1)
	v_cndmask_b32_e32 v7, v8, v9, vcc_lo
	v_and_or_b32 v6, 0x80000000, v6, v7
	v_bfe_u32 v7, v7, 16, 1
	s_delay_alu instid0(VALU_DEP_2) | instskip(NEXT) | instid1(VALU_DEP_2)
	v_cmp_o_f32_e32 vcc_lo, v6, v6
	v_add3_u32 v7, v6, v7, 0x7fff
	s_delay_alu instid0(VALU_DEP_1) | instskip(NEXT) | instid1(VALU_DEP_1)
	v_lshrrev_b32_e32 v7, 16, v7
	v_cndmask_b32_e32 v6, 0x7fc0, v7, vcc_lo
.LBB175_333:
	s_mov_b32 s45, 0
	s_mov_b32 s35, -1
.LBB175_334:
	s_and_not1_b32 vcc_lo, exec_lo, s45
	s_cbranch_vccnz .LBB175_347
; %bb.335:
	s_cmp_gt_i32 s0, 14
	s_cbranch_scc0 .LBB175_338
; %bb.336:
	s_cmp_eq_u32 s0, 15
	s_cbranch_scc0 .LBB175_341
; %bb.337:
	s_wait_loadcnt 0x0
	global_load_u16 v6, v[4:5], off
	s_mov_b32 s35, -1
	s_mov_b32 s34, 0
	s_branch .LBB175_342
.LBB175_338:
	s_mov_b32 s45, -1
                                        ; implicit-def: $vgpr6
	s_branch .LBB175_343
.LBB175_339:
	s_or_saveexec_b32 s45, s45
	v_mov_b32_e32 v7, 0x7f800001
	s_xor_b32 exec_lo, exec_lo, s45
	s_cbranch_execz .LBB175_320
.LBB175_340:
	v_cmp_ne_u16_e32 vcc_lo, 0, v6
	v_mov_b32_e32 v7, 0
	s_and_not1_b32 s35, s35, exec_lo
	s_and_b32 s48, vcc_lo, exec_lo
	s_delay_alu instid0(SALU_CYCLE_1)
	s_or_b32 s35, s35, s48
	s_or_b32 exec_lo, exec_lo, s45
	s_and_saveexec_b32 s45, s35
	s_cbranch_execnz .LBB175_321
	s_branch .LBB175_322
.LBB175_341:
	s_mov_b32 s34, -1
                                        ; implicit-def: $vgpr6
.LBB175_342:
	s_mov_b32 s45, 0
.LBB175_343:
	s_delay_alu instid0(SALU_CYCLE_1)
	s_and_b32 vcc_lo, exec_lo, s45
	s_cbranch_vccz .LBB175_347
; %bb.344:
	s_cmp_eq_u32 s0, 11
	s_cbranch_scc0 .LBB175_346
; %bb.345:
	s_wait_loadcnt 0x0
	global_load_u8 v6, v[4:5], off
	s_mov_b32 s34, 0
	s_mov_b32 s35, -1
	s_wait_loadcnt 0x0
	v_cmp_ne_u16_e32 vcc_lo, 0, v6
	v_cndmask_b32_e64 v6, 0, 1.0, vcc_lo
	s_delay_alu instid0(VALU_DEP_1)
	v_lshrrev_b32_e32 v6, 16, v6
	s_branch .LBB175_347
.LBB175_346:
	s_mov_b32 s34, -1
                                        ; implicit-def: $vgpr6
.LBB175_347:
	s_mov_b32 s45, 0
.LBB175_348:
	s_delay_alu instid0(SALU_CYCLE_1)
	s_and_b32 vcc_lo, exec_lo, s45
	s_cbranch_vccz .LBB175_397
; %bb.349:
	s_cmp_lt_i32 s0, 5
	s_cbranch_scc1 .LBB175_354
; %bb.350:
	s_cmp_lt_i32 s0, 8
	s_cbranch_scc1 .LBB175_355
	;; [unrolled: 3-line block ×3, first 2 shown]
; %bb.352:
	s_cmp_gt_i32 s0, 9
	s_cbranch_scc0 .LBB175_357
; %bb.353:
	s_wait_loadcnt 0x0
	global_load_b64 v[6:7], v[4:5], off
	s_mov_b32 s35, 0
	s_wait_loadcnt 0x0
	v_cvt_f32_f64_e32 v6, v[6:7]
	s_delay_alu instid0(VALU_DEP_1) | instskip(SKIP_1) | instid1(VALU_DEP_2)
	v_bfe_u32 v7, v6, 16, 1
	v_cmp_o_f32_e32 vcc_lo, v6, v6
	v_add3_u32 v7, v6, v7, 0x7fff
	s_delay_alu instid0(VALU_DEP_1) | instskip(NEXT) | instid1(VALU_DEP_1)
	v_lshrrev_b32_e32 v7, 16, v7
	v_cndmask_b32_e32 v6, 0x7fc0, v7, vcc_lo
	s_branch .LBB175_358
.LBB175_354:
	s_mov_b32 s35, -1
                                        ; implicit-def: $vgpr6
	s_branch .LBB175_376
.LBB175_355:
	s_mov_b32 s35, -1
                                        ; implicit-def: $vgpr6
	s_branch .LBB175_364
.LBB175_356:
	s_mov_b32 s35, -1
                                        ; implicit-def: $vgpr6
	s_branch .LBB175_361
.LBB175_357:
	s_mov_b32 s35, -1
                                        ; implicit-def: $vgpr6
.LBB175_358:
	s_delay_alu instid0(SALU_CYCLE_1)
	s_and_not1_b32 vcc_lo, exec_lo, s35
	s_cbranch_vccnz .LBB175_360
; %bb.359:
	s_wait_loadcnt 0x0
	global_load_b32 v6, v[4:5], off
	s_wait_loadcnt 0x0
	v_bfe_u32 v7, v6, 16, 1
	v_cmp_o_f32_e32 vcc_lo, v6, v6
	s_delay_alu instid0(VALU_DEP_2) | instskip(NEXT) | instid1(VALU_DEP_1)
	v_add3_u32 v7, v6, v7, 0x7fff
	v_lshrrev_b32_e32 v7, 16, v7
	s_delay_alu instid0(VALU_DEP_1)
	v_cndmask_b32_e32 v6, 0x7fc0, v7, vcc_lo
.LBB175_360:
	s_mov_b32 s35, 0
.LBB175_361:
	s_delay_alu instid0(SALU_CYCLE_1)
	s_and_not1_b32 vcc_lo, exec_lo, s35
	s_cbranch_vccnz .LBB175_363
; %bb.362:
	s_wait_loadcnt 0x0
	global_load_b32 v6, v[4:5], off
	s_wait_loadcnt 0x0
	v_cvt_f32_f16_e32 v7, v6
	v_cmp_o_f16_e32 vcc_lo, v6, v6
	s_delay_alu instid0(VALU_DEP_2) | instskip(NEXT) | instid1(VALU_DEP_1)
	v_bfe_u32 v8, v7, 16, 1
	v_add3_u32 v7, v7, v8, 0x7fff
	s_delay_alu instid0(VALU_DEP_1) | instskip(NEXT) | instid1(VALU_DEP_1)
	v_lshrrev_b32_e32 v7, 16, v7
	v_cndmask_b32_e32 v6, 0x7fc0, v7, vcc_lo
.LBB175_363:
	s_mov_b32 s35, 0
.LBB175_364:
	s_delay_alu instid0(SALU_CYCLE_1)
	s_and_not1_b32 vcc_lo, exec_lo, s35
	s_cbranch_vccnz .LBB175_375
; %bb.365:
	s_cmp_lt_i32 s0, 6
	s_cbranch_scc1 .LBB175_368
; %bb.366:
	s_cmp_gt_i32 s0, 6
	s_cbranch_scc0 .LBB175_369
; %bb.367:
	s_wait_loadcnt 0x0
	global_load_b64 v[6:7], v[4:5], off
	s_mov_b32 s35, 0
	s_wait_loadcnt 0x0
	v_cvt_f32_f64_e32 v6, v[6:7]
	s_delay_alu instid0(VALU_DEP_1) | instskip(SKIP_1) | instid1(VALU_DEP_2)
	v_bfe_u32 v7, v6, 16, 1
	v_cmp_o_f32_e32 vcc_lo, v6, v6
	v_add3_u32 v7, v6, v7, 0x7fff
	s_delay_alu instid0(VALU_DEP_1) | instskip(NEXT) | instid1(VALU_DEP_1)
	v_lshrrev_b32_e32 v7, 16, v7
	v_cndmask_b32_e32 v6, 0x7fc0, v7, vcc_lo
	s_branch .LBB175_370
.LBB175_368:
	s_mov_b32 s35, -1
                                        ; implicit-def: $vgpr6
	s_branch .LBB175_373
.LBB175_369:
	s_mov_b32 s35, -1
                                        ; implicit-def: $vgpr6
.LBB175_370:
	s_delay_alu instid0(SALU_CYCLE_1)
	s_and_not1_b32 vcc_lo, exec_lo, s35
	s_cbranch_vccnz .LBB175_372
; %bb.371:
	s_wait_loadcnt 0x0
	global_load_b32 v6, v[4:5], off
	s_wait_loadcnt 0x0
	v_bfe_u32 v7, v6, 16, 1
	v_cmp_o_f32_e32 vcc_lo, v6, v6
	s_delay_alu instid0(VALU_DEP_2) | instskip(NEXT) | instid1(VALU_DEP_1)
	v_add3_u32 v7, v6, v7, 0x7fff
	v_lshrrev_b32_e32 v7, 16, v7
	s_delay_alu instid0(VALU_DEP_1)
	v_cndmask_b32_e32 v6, 0x7fc0, v7, vcc_lo
.LBB175_372:
	s_mov_b32 s35, 0
.LBB175_373:
	s_delay_alu instid0(SALU_CYCLE_1)
	s_and_not1_b32 vcc_lo, exec_lo, s35
	s_cbranch_vccnz .LBB175_375
; %bb.374:
	s_wait_loadcnt 0x0
	global_load_u16 v6, v[4:5], off
	s_wait_loadcnt 0x0
	v_cvt_f32_f16_e32 v7, v6
	v_cmp_o_f16_e32 vcc_lo, v6, v6
	s_delay_alu instid0(VALU_DEP_2) | instskip(NEXT) | instid1(VALU_DEP_1)
	v_bfe_u32 v8, v7, 16, 1
	v_add3_u32 v7, v7, v8, 0x7fff
	s_delay_alu instid0(VALU_DEP_1) | instskip(NEXT) | instid1(VALU_DEP_1)
	v_lshrrev_b32_e32 v7, 16, v7
	v_cndmask_b32_e32 v6, 0x7fc0, v7, vcc_lo
.LBB175_375:
	s_mov_b32 s35, 0
.LBB175_376:
	s_delay_alu instid0(SALU_CYCLE_1)
	s_and_not1_b32 vcc_lo, exec_lo, s35
	s_cbranch_vccnz .LBB175_396
; %bb.377:
	s_cmp_lt_i32 s0, 2
	s_cbranch_scc1 .LBB175_381
; %bb.378:
	s_cmp_lt_i32 s0, 3
	s_cbranch_scc1 .LBB175_382
; %bb.379:
	s_cmp_gt_i32 s0, 3
	s_cbranch_scc0 .LBB175_383
; %bb.380:
	s_wait_loadcnt 0x0
	global_load_b64 v[6:7], v[4:5], off
	s_mov_b32 s35, 0
	s_wait_loadcnt 0x0
	v_xor_b32_e32 v8, v6, v7
	v_cls_i32_e32 v9, v7
	s_delay_alu instid0(VALU_DEP_2) | instskip(NEXT) | instid1(VALU_DEP_1)
	v_ashrrev_i32_e32 v8, 31, v8
	v_add_nc_u32_e32 v8, 32, v8
	s_delay_alu instid0(VALU_DEP_1) | instskip(NEXT) | instid1(VALU_DEP_1)
	v_add_min_u32_e64 v8, v9, -1, v8
	v_lshlrev_b64_e32 v[6:7], v8, v[6:7]
	s_delay_alu instid0(VALU_DEP_1) | instskip(NEXT) | instid1(VALU_DEP_1)
	v_min_u32_e32 v6, 1, v6
	v_dual_sub_nc_u32 v7, 32, v8 :: v_dual_bitop2_b32 v6, v7, v6 bitop3:0x54
	s_delay_alu instid0(VALU_DEP_1) | instskip(NEXT) | instid1(VALU_DEP_1)
	v_cvt_f32_i32_e32 v6, v6
	v_ldexp_f32 v6, v6, v7
	s_delay_alu instid0(VALU_DEP_1) | instskip(NEXT) | instid1(VALU_DEP_1)
	v_bfe_u32 v7, v6, 16, 1
	v_add3_u32 v6, v6, v7, 0x7fff
	s_delay_alu instid0(VALU_DEP_1)
	v_lshrrev_b32_e32 v6, 16, v6
	s_branch .LBB175_384
.LBB175_381:
	s_mov_b32 s35, -1
                                        ; implicit-def: $vgpr6
	s_branch .LBB175_390
.LBB175_382:
	s_mov_b32 s35, -1
                                        ; implicit-def: $vgpr6
	s_branch .LBB175_387
.LBB175_383:
	s_mov_b32 s35, -1
                                        ; implicit-def: $vgpr6
.LBB175_384:
	s_delay_alu instid0(SALU_CYCLE_1)
	s_and_not1_b32 vcc_lo, exec_lo, s35
	s_cbranch_vccnz .LBB175_386
; %bb.385:
	s_wait_loadcnt 0x0
	global_load_b32 v6, v[4:5], off
	s_wait_loadcnt 0x0
	v_cvt_f32_i32_e32 v6, v6
	s_delay_alu instid0(VALU_DEP_1) | instskip(NEXT) | instid1(VALU_DEP_1)
	v_bfe_u32 v7, v6, 16, 1
	v_add3_u32 v6, v6, v7, 0x7fff
	s_delay_alu instid0(VALU_DEP_1)
	v_lshrrev_b32_e32 v6, 16, v6
.LBB175_386:
	s_mov_b32 s35, 0
.LBB175_387:
	s_delay_alu instid0(SALU_CYCLE_1)
	s_and_not1_b32 vcc_lo, exec_lo, s35
	s_cbranch_vccnz .LBB175_389
; %bb.388:
	s_wait_loadcnt 0x0
	global_load_i16 v6, v[4:5], off
	s_wait_loadcnt 0x0
	v_cvt_f32_i32_e32 v6, v6
	s_delay_alu instid0(VALU_DEP_1) | instskip(NEXT) | instid1(VALU_DEP_1)
	v_bfe_u32 v7, v6, 16, 1
	v_add3_u32 v6, v6, v7, 0x7fff
	s_delay_alu instid0(VALU_DEP_1)
	v_lshrrev_b32_e32 v6, 16, v6
.LBB175_389:
	s_mov_b32 s35, 0
.LBB175_390:
	s_delay_alu instid0(SALU_CYCLE_1)
	s_and_not1_b32 vcc_lo, exec_lo, s35
	s_cbranch_vccnz .LBB175_396
; %bb.391:
	s_cmp_gt_i32 s0, 0
	s_mov_b32 s0, 0
	s_cbranch_scc0 .LBB175_393
; %bb.392:
	s_wait_loadcnt 0x0
	global_load_i8 v6, v[4:5], off
	s_wait_loadcnt 0x0
	v_cvt_f32_i32_e32 v6, v6
	s_delay_alu instid0(VALU_DEP_1) | instskip(NEXT) | instid1(VALU_DEP_1)
	v_bfe_u32 v7, v6, 16, 1
	v_add3_u32 v6, v6, v7, 0x7fff
	s_delay_alu instid0(VALU_DEP_1)
	v_lshrrev_b32_e32 v6, 16, v6
	s_branch .LBB175_394
.LBB175_393:
	s_mov_b32 s0, -1
                                        ; implicit-def: $vgpr6
.LBB175_394:
	s_delay_alu instid0(SALU_CYCLE_1)
	s_and_not1_b32 vcc_lo, exec_lo, s0
	s_cbranch_vccnz .LBB175_396
; %bb.395:
	global_load_u8 v4, v[4:5], off
	s_wait_loadcnt 0x0
	v_cvt_f32_ubyte0_e32 v4, v4
	s_delay_alu instid0(VALU_DEP_1) | instskip(NEXT) | instid1(VALU_DEP_1)
	v_bfe_u32 v5, v4, 16, 1
	v_add3_u32 v4, v4, v5, 0x7fff
	s_delay_alu instid0(VALU_DEP_1)
	v_lshrrev_b32_e32 v6, 16, v4
.LBB175_396:
	s_mov_b32 s35, -1
.LBB175_397:
	s_delay_alu instid0(SALU_CYCLE_1)
	s_and_not1_b32 vcc_lo, exec_lo, s35
	s_cbranch_vccnz .LBB175_405
; %bb.398:
	s_wait_loadcnt 0x0
	v_dual_lshlrev_b32 v3, 16, v3 :: v_dual_lshlrev_b32 v5, 16, v6
	v_mov_b32_e32 v6, s21
	s_and_b32 s35, s1, 0xff
	s_delay_alu instid0(SALU_CYCLE_1) | instskip(NEXT) | instid1(VALU_DEP_2)
	s_cmp_lt_i32 s35, 11
	v_mul_f32_e32 v3, s26, v3
	s_delay_alu instid0(VALU_DEP_1) | instskip(NEXT) | instid1(VALU_DEP_1)
	v_bfe_u32 v4, v3, 16, 1
	v_add3_u32 v4, v3, v4, 0x7fff
	s_delay_alu instid0(VALU_DEP_1) | instskip(SKIP_2) | instid1(VALU_DEP_3)
	v_and_b32_e32 v7, 0xffff0000, v4
	v_lshlrev_b32_e32 v4, 16, v1
	v_cmp_o_f32_e32 vcc_lo, v3, v3
	v_cndmask_b32_e32 v7, 0x7fc00000, v7, vcc_lo
	s_delay_alu instid0(VALU_DEP_1) | instskip(NEXT) | instid1(VALU_DEP_1)
	v_pk_mul_f32 v[4:5], v[6:7], v[4:5]
	v_dual_lshrrev_b32 v1, 16, v5 :: v_dual_lshrrev_b32 v3, 16, v4
	v_cmp_o_f32_e32 vcc_lo, v5, v5
	s_delay_alu instid0(VALU_DEP_2) | instskip(NEXT) | instid1(VALU_DEP_3)
	v_and_b32_e32 v1, 1, v1
	v_and_b32_e32 v3, 1, v3
	s_delay_alu instid0(VALU_DEP_2) | instskip(NEXT) | instid1(VALU_DEP_2)
	v_add3_u32 v1, v5, v1, 0x7fff
	v_add3_u32 v3, v4, v3, 0x7fff
	s_delay_alu instid0(VALU_DEP_2) | instskip(NEXT) | instid1(VALU_DEP_2)
	v_and_b32_e32 v1, 0xffff0000, v1
	v_and_b32_e32 v3, 0xffff0000, v3
	s_delay_alu instid0(VALU_DEP_2) | instskip(SKIP_1) | instid1(VALU_DEP_3)
	v_cndmask_b32_e32 v1, 0x7fc00000, v1, vcc_lo
	v_cmp_o_f32_e32 vcc_lo, v4, v4
	v_cndmask_b32_e32 v3, 0x7fc00000, v3, vcc_lo
	s_delay_alu instid0(VALU_DEP_1) | instskip(NEXT) | instid1(VALU_DEP_1)
	v_add_f32_e32 v1, v3, v1
	v_bfe_u32 v3, v1, 16, 1
	s_delay_alu instid0(VALU_DEP_1) | instskip(SKIP_2) | instid1(VALU_DEP_3)
	v_add3_u32 v4, v1, v3, 0x7fff
	v_mov_b32_e32 v3, 0
	v_cmp_o_f32_e32 vcc_lo, v1, v1
	v_lshrrev_b32_e32 v4, 16, v4
	s_delay_alu instid0(VALU_DEP_3) | instskip(NEXT) | instid1(VALU_DEP_2)
	v_add_nc_u64_e32 v[2:3], s[4:5], v[2:3]
	v_cndmask_b32_e32 v1, 0x7fc0, v4, vcc_lo
	s_cbranch_scc1 .LBB175_406
; %bb.399:
	s_and_b32 s45, 0xffff, s35
	s_delay_alu instid0(SALU_CYCLE_1)
	s_cmp_gt_i32 s45, 25
	s_cbranch_scc0 .LBB175_407
; %bb.400:
	s_cmp_gt_i32 s45, 28
	s_cbranch_scc0 .LBB175_408
; %bb.401:
	;; [unrolled: 3-line block ×4, first 2 shown]
	s_mov_b32 s49, 0
	s_mov_b32 s0, -1
	s_cmp_eq_u32 s45, 46
	s_mov_b32 s48, 0
	s_cbranch_scc0 .LBB175_411
; %bb.404:
	v_and_b32_e32 v4, 0xffff, v1
	s_mov_b32 s48, -1
	s_mov_b32 s0, 0
	global_store_b32 v[2:3], v4, off
	s_branch .LBB175_411
.LBB175_405:
	s_mov_b32 s0, 0
	s_branch .LBB175_521
.LBB175_406:
	s_mov_b32 s45, -1
	s_mov_b32 s0, 0
	s_mov_b32 s48, 0
	s_branch .LBB175_480
.LBB175_407:
	s_mov_b32 s49, -1
	s_mov_b32 s0, 0
	s_mov_b32 s48, 0
	s_branch .LBB175_438
.LBB175_408:
	s_mov_b32 s49, -1
	s_mov_b32 s0, 0
	s_mov_b32 s48, 0
	s_branch .LBB175_421
.LBB175_409:
	s_mov_b32 s49, -1
	s_mov_b32 s0, 0
	s_mov_b32 s48, 0
	s_branch .LBB175_417
.LBB175_410:
	s_mov_b32 s49, -1
	s_mov_b32 s0, 0
	s_mov_b32 s48, 0
.LBB175_411:
	s_and_b32 vcc_lo, exec_lo, s49
	s_cbranch_vccz .LBB175_416
; %bb.412:
	s_cmp_eq_u32 s45, 44
	s_mov_b32 s0, -1
	s_cbranch_scc0 .LBB175_416
; %bb.413:
	s_wait_xcnt 0x0
	v_and_b32_e32 v4, 0xffff, v1
	v_mov_b32_e32 v5, 0xff
	s_mov_b32 s48, exec_lo
	s_delay_alu instid0(VALU_DEP_2) | instskip(NEXT) | instid1(VALU_DEP_1)
	v_bfe_u32 v6, v4, 7, 8
	v_cmpx_ne_u32_e32 0xff, v6
	s_cbranch_execz .LBB175_415
; %bb.414:
	v_dual_lshlrev_b32 v5, 16, v4 :: v_dual_bitop2_b32 v7, 64, v4 bitop3:0x40
	v_lshrrev_b32_e32 v4, 7, v4
	s_delay_alu instid0(VALU_DEP_2) | instskip(NEXT) | instid1(VALU_DEP_3)
	v_and_or_b32 v5, 0x3f0000, v5, v6
	v_cmp_ne_u32_e32 vcc_lo, 0, v7
	s_delay_alu instid0(VALU_DEP_2) | instskip(SKIP_1) | instid1(SALU_CYCLE_1)
	v_cmp_ne_u32_e64 s0, 0, v5
	s_and_b32 s0, vcc_lo, s0
	v_cndmask_b32_e64 v5, 0, 1, s0
	s_delay_alu instid0(VALU_DEP_1)
	v_add_nc_u32_e32 v5, v4, v5
.LBB175_415:
	s_or_b32 exec_lo, exec_lo, s48
	s_mov_b32 s48, -1
	s_mov_b32 s0, 0
	global_store_b8 v[2:3], v5, off
.LBB175_416:
	s_mov_b32 s49, 0
.LBB175_417:
	s_delay_alu instid0(SALU_CYCLE_1)
	s_and_b32 vcc_lo, exec_lo, s49
	s_cbranch_vccz .LBB175_420
; %bb.418:
	s_cmp_eq_u32 s45, 29
	s_mov_b32 s0, -1
	s_cbranch_scc0 .LBB175_420
; %bb.419:
	s_wait_xcnt 0x0
	v_lshlrev_b32_e32 v4, 16, v1
	s_mov_b32 s48, -1
	s_mov_b32 s0, 0
	s_mov_b32 s49, 0
	s_delay_alu instid0(VALU_DEP_1) | instskip(NEXT) | instid1(VALU_DEP_1)
	v_trunc_f32_e32 v4, v4
	v_mul_f32_e32 v5, 0x2f800000, v4
	s_delay_alu instid0(VALU_DEP_1) | instskip(NEXT) | instid1(VALU_DEP_1)
	v_floor_f32_e32 v5, v5
	v_fmamk_f32 v4, v5, 0xcf800000, v4
	v_cvt_u32_f32_e32 v5, v5
	s_delay_alu instid0(VALU_DEP_2)
	v_cvt_u32_f32_e32 v4, v4
	global_store_b64 v[2:3], v[4:5], off
	s_branch .LBB175_421
.LBB175_420:
	s_mov_b32 s49, 0
.LBB175_421:
	s_delay_alu instid0(SALU_CYCLE_1)
	s_and_b32 vcc_lo, exec_lo, s49
	s_cbranch_vccz .LBB175_437
; %bb.422:
	s_cmp_lt_i32 s45, 27
	s_mov_b32 s48, -1
	s_cbranch_scc1 .LBB175_428
; %bb.423:
	s_cmp_gt_i32 s45, 27
	s_cbranch_scc0 .LBB175_425
; %bb.424:
	s_wait_xcnt 0x0
	v_lshlrev_b32_e32 v4, 16, v1
	s_mov_b32 s48, 0
	s_delay_alu instid0(VALU_DEP_1)
	v_cvt_u32_f32_e32 v4, v4
	global_store_b32 v[2:3], v4, off
.LBB175_425:
	s_and_not1_b32 vcc_lo, exec_lo, s48
	s_cbranch_vccnz .LBB175_427
; %bb.426:
	s_wait_xcnt 0x0
	v_lshlrev_b32_e32 v4, 16, v1
	s_delay_alu instid0(VALU_DEP_1)
	v_cvt_u32_f32_e32 v4, v4
	global_store_b16 v[2:3], v4, off
.LBB175_427:
	s_mov_b32 s48, 0
.LBB175_428:
	s_delay_alu instid0(SALU_CYCLE_1)
	s_and_not1_b32 vcc_lo, exec_lo, s48
	s_cbranch_vccnz .LBB175_436
; %bb.429:
	v_dual_mov_b32 v7, 0x80 :: v_dual_lshlrev_b32 v6, 16, v1
	s_mov_b32 s48, exec_lo
	s_wait_xcnt 0x0
	s_delay_alu instid0(VALU_DEP_1) | instskip(NEXT) | instid1(VALU_DEP_1)
	v_and_b32_e32 v5, 0x7fffffff, v6
	v_cmpx_gt_u32_e32 0x43800000, v5
	s_cbranch_execz .LBB175_435
; %bb.430:
	v_and_b32_e32 v4, 0xffff, v1
	v_cmp_lt_u32_e32 vcc_lo, 0x3bffffff, v5
	s_mov_b32 s49, 0
                                        ; implicit-def: $vgpr5
	s_and_saveexec_b32 s50, vcc_lo
	s_delay_alu instid0(SALU_CYCLE_1)
	s_xor_b32 s50, exec_lo, s50
	s_cbranch_execz .LBB175_680
; %bb.431:
	v_bfe_u32 v5, v4, 4, 1
	s_mov_b32 s49, exec_lo
	s_delay_alu instid0(VALU_DEP_1) | instskip(NEXT) | instid1(VALU_DEP_1)
	v_add3_u32 v5, v6, v5, 0x487ffff
                                        ; implicit-def: $vgpr6
	v_lshrrev_b32_e32 v5, 20, v5
	s_and_not1_saveexec_b32 s50, s50
	s_cbranch_execnz .LBB175_681
.LBB175_432:
	s_or_b32 exec_lo, exec_lo, s50
	v_mov_b32_e32 v7, 0
	s_and_saveexec_b32 s50, s49
.LBB175_433:
	v_lshrrev_b32_e32 v4, 8, v4
	s_delay_alu instid0(VALU_DEP_1)
	v_and_or_b32 v7, 0x80, v4, v5
.LBB175_434:
	s_or_b32 exec_lo, exec_lo, s50
.LBB175_435:
	s_delay_alu instid0(SALU_CYCLE_1)
	s_or_b32 exec_lo, exec_lo, s48
	global_store_b8 v[2:3], v7, off
.LBB175_436:
	s_mov_b32 s48, -1
.LBB175_437:
	s_mov_b32 s49, 0
.LBB175_438:
	s_delay_alu instid0(SALU_CYCLE_1)
	s_and_b32 vcc_lo, exec_lo, s49
	s_cbranch_vccz .LBB175_479
; %bb.439:
	s_cmp_gt_i32 s45, 22
	s_mov_b32 s49, -1
	s_cbranch_scc0 .LBB175_471
; %bb.440:
	s_cmp_lt_i32 s45, 24
	s_mov_b32 s48, -1
	s_cbranch_scc1 .LBB175_460
; %bb.441:
	s_cmp_gt_i32 s45, 24
	s_cbranch_scc0 .LBB175_449
; %bb.442:
	s_wait_xcnt 0x0
	v_dual_mov_b32 v7, 0x80 :: v_dual_lshlrev_b32 v6, 16, v1
	s_mov_b32 s48, exec_lo
	s_delay_alu instid0(VALU_DEP_1) | instskip(NEXT) | instid1(VALU_DEP_1)
	v_and_b32_e32 v5, 0x7fffffff, v6
	v_cmpx_gt_u32_e32 0x47800000, v5
	s_cbranch_execz .LBB175_448
; %bb.443:
	v_and_b32_e32 v4, 0xffff, v1
	v_cmp_lt_u32_e32 vcc_lo, 0x37ffffff, v5
	s_mov_b32 s49, 0
                                        ; implicit-def: $vgpr5
	s_and_saveexec_b32 s50, vcc_lo
	s_delay_alu instid0(SALU_CYCLE_1)
	s_xor_b32 s50, exec_lo, s50
	s_cbranch_execz .LBB175_812
; %bb.444:
	v_bfe_u32 v5, v4, 5, 1
	s_mov_b32 s49, exec_lo
	s_delay_alu instid0(VALU_DEP_1) | instskip(NEXT) | instid1(VALU_DEP_1)
	v_add3_u32 v5, v6, v5, 0x88fffff
                                        ; implicit-def: $vgpr6
	v_lshrrev_b32_e32 v5, 21, v5
	s_and_not1_saveexec_b32 s50, s50
	s_cbranch_execnz .LBB175_813
.LBB175_445:
	s_or_b32 exec_lo, exec_lo, s50
	v_mov_b32_e32 v7, 0
	s_and_saveexec_b32 s50, s49
.LBB175_446:
	v_lshrrev_b32_e32 v4, 8, v4
	s_delay_alu instid0(VALU_DEP_1)
	v_and_or_b32 v7, 0x80, v4, v5
.LBB175_447:
	s_or_b32 exec_lo, exec_lo, s50
.LBB175_448:
	s_delay_alu instid0(SALU_CYCLE_1)
	s_or_b32 exec_lo, exec_lo, s48
	s_mov_b32 s48, 0
	global_store_b8 v[2:3], v7, off
.LBB175_449:
	s_and_b32 vcc_lo, exec_lo, s48
	s_cbranch_vccz .LBB175_459
; %bb.450:
	v_lshlrev_b32_e32 v6, 16, v1
	s_wait_xcnt 0x0
	v_and_b32_e32 v4, 0xffff, v1
	s_mov_b32 s48, exec_lo
                                        ; implicit-def: $vgpr5
	s_delay_alu instid0(VALU_DEP_2) | instskip(NEXT) | instid1(VALU_DEP_1)
	v_and_b32_e32 v7, 0x7fffffff, v6
	v_cmpx_gt_u32_e32 0x43f00000, v7
	s_xor_b32 s48, exec_lo, s48
	s_cbranch_execz .LBB175_456
; %bb.451:
	s_mov_b32 s49, exec_lo
                                        ; implicit-def: $vgpr5
	v_cmpx_lt_u32_e32 0x3c7fffff, v7
	s_xor_b32 s49, exec_lo, s49
; %bb.452:
	v_bfe_u32 v5, v4, 4, 1
	s_delay_alu instid0(VALU_DEP_1) | instskip(NEXT) | instid1(VALU_DEP_1)
	v_add3_u32 v5, v6, v5, 0x407ffff
	v_and_b32_e32 v6, 0xff00000, v5
	v_lshrrev_b32_e32 v5, 20, v5
	s_delay_alu instid0(VALU_DEP_2) | instskip(NEXT) | instid1(VALU_DEP_2)
	v_cmp_ne_u32_e32 vcc_lo, 0x7f00000, v6
                                        ; implicit-def: $vgpr6
	v_cndmask_b32_e32 v5, 0x7e, v5, vcc_lo
; %bb.453:
	s_and_not1_saveexec_b32 s49, s49
; %bb.454:
	v_add_f32_e64 v5, 0x46800000, |v6|
; %bb.455:
	s_or_b32 exec_lo, exec_lo, s49
                                        ; implicit-def: $vgpr7
.LBB175_456:
	s_and_not1_saveexec_b32 s48, s48
; %bb.457:
	v_mov_b32_e32 v5, 0x7f
	v_cmp_lt_u32_e32 vcc_lo, 0x7f800000, v7
	s_delay_alu instid0(VALU_DEP_2)
	v_cndmask_b32_e32 v5, 0x7e, v5, vcc_lo
; %bb.458:
	s_or_b32 exec_lo, exec_lo, s48
	v_lshrrev_b32_e32 v4, 8, v4
	s_delay_alu instid0(VALU_DEP_1)
	v_and_or_b32 v4, 0x80, v4, v5
	global_store_b8 v[2:3], v4, off
.LBB175_459:
	s_mov_b32 s48, 0
.LBB175_460:
	s_delay_alu instid0(SALU_CYCLE_1)
	s_and_not1_b32 vcc_lo, exec_lo, s48
	s_cbranch_vccnz .LBB175_470
; %bb.461:
	v_lshlrev_b32_e32 v6, 16, v1
	s_wait_xcnt 0x0
	v_and_b32_e32 v4, 0xffff, v1
	s_mov_b32 s48, exec_lo
                                        ; implicit-def: $vgpr5
	s_delay_alu instid0(VALU_DEP_2) | instskip(NEXT) | instid1(VALU_DEP_1)
	v_and_b32_e32 v7, 0x7fffffff, v6
	v_cmpx_gt_u32_e32 0x47800000, v7
	s_xor_b32 s48, exec_lo, s48
	s_cbranch_execz .LBB175_467
; %bb.462:
	s_mov_b32 s49, exec_lo
                                        ; implicit-def: $vgpr5
	v_cmpx_lt_u32_e32 0x387fffff, v7
	s_xor_b32 s49, exec_lo, s49
; %bb.463:
	v_bfe_u32 v5, v4, 5, 1
	s_delay_alu instid0(VALU_DEP_1) | instskip(NEXT) | instid1(VALU_DEP_1)
	v_add3_u32 v5, v6, v5, 0x80fffff
                                        ; implicit-def: $vgpr6
	v_lshrrev_b32_e32 v5, 21, v5
; %bb.464:
	s_and_not1_saveexec_b32 s49, s49
; %bb.465:
	v_add_f32_e64 v5, 0x43000000, |v6|
; %bb.466:
	s_or_b32 exec_lo, exec_lo, s49
                                        ; implicit-def: $vgpr7
.LBB175_467:
	s_and_not1_saveexec_b32 s48, s48
; %bb.468:
	v_mov_b32_e32 v5, 0x7f
	v_cmp_lt_u32_e32 vcc_lo, 0x7f800000, v7
	s_delay_alu instid0(VALU_DEP_2)
	v_cndmask_b32_e32 v5, 0x7c, v5, vcc_lo
; %bb.469:
	s_or_b32 exec_lo, exec_lo, s48
	v_lshrrev_b32_e32 v4, 8, v4
	s_delay_alu instid0(VALU_DEP_1)
	v_and_or_b32 v4, 0x80, v4, v5
	global_store_b8 v[2:3], v4, off
.LBB175_470:
	s_mov_b32 s49, 0
	s_mov_b32 s48, -1
.LBB175_471:
	s_and_not1_b32 vcc_lo, exec_lo, s49
	s_cbranch_vccnz .LBB175_479
; %bb.472:
	s_cmp_gt_i32 s45, 14
	s_mov_b32 s49, -1
	s_cbranch_scc0 .LBB175_476
; %bb.473:
	s_cmp_eq_u32 s45, 15
	s_mov_b32 s0, -1
	s_cbranch_scc0 .LBB175_475
; %bb.474:
	s_mov_b32 s48, -1
	s_mov_b32 s0, 0
	global_store_b16 v[2:3], v1, off
.LBB175_475:
	s_mov_b32 s49, 0
.LBB175_476:
	s_delay_alu instid0(SALU_CYCLE_1)
	s_and_b32 vcc_lo, exec_lo, s49
	s_cbranch_vccz .LBB175_479
; %bb.477:
	s_cmp_eq_u32 s45, 11
	s_mov_b32 s0, -1
	s_cbranch_scc0 .LBB175_479
; %bb.478:
	s_wait_xcnt 0x0
	v_and_b32_e32 v4, 0x7fff, v1
	s_mov_b32 s0, 0
	s_mov_b32 s48, -1
	s_delay_alu instid0(VALU_DEP_1)
	v_cmp_ne_u16_e32 vcc_lo, 0, v4
	v_cndmask_b32_e64 v4, 0, 1, vcc_lo
	global_store_b8 v[2:3], v4, off
.LBB175_479:
	s_mov_b32 s45, 0
.LBB175_480:
	s_delay_alu instid0(SALU_CYCLE_1)
	s_and_b32 vcc_lo, exec_lo, s45
	s_cbranch_vccz .LBB175_519
; %bb.481:
	s_and_b32 s35, 0xffff, s35
	s_mov_b32 s45, -1
	s_cmp_lt_i32 s35, 5
	s_cbranch_scc1 .LBB175_502
; %bb.482:
	s_cmp_lt_i32 s35, 8
	s_cbranch_scc1 .LBB175_492
; %bb.483:
	;; [unrolled: 3-line block ×3, first 2 shown]
	s_cmp_gt_i32 s35, 9
	s_cbranch_scc0 .LBB175_486
; %bb.485:
	s_wait_xcnt 0x0
	v_dual_lshlrev_b32 v4, 16, v1 :: v_dual_mov_b32 v6, 0
	s_mov_b32 s45, 0
	s_delay_alu instid0(VALU_DEP_1) | instskip(NEXT) | instid1(VALU_DEP_2)
	v_cvt_f64_f32_e32 v[4:5], v4
	v_mov_b32_e32 v7, v6
	global_store_b128 v[2:3], v[4:7], off
.LBB175_486:
	s_and_not1_b32 vcc_lo, exec_lo, s45
	s_cbranch_vccnz .LBB175_488
; %bb.487:
	s_wait_xcnt 0x0
	v_dual_mov_b32 v5, 0 :: v_dual_lshlrev_b32 v4, 16, v1
	global_store_b64 v[2:3], v[4:5], off
.LBB175_488:
	s_mov_b32 s45, 0
.LBB175_489:
	s_delay_alu instid0(SALU_CYCLE_1)
	s_and_not1_b32 vcc_lo, exec_lo, s45
	s_cbranch_vccnz .LBB175_491
; %bb.490:
	s_wait_xcnt 0x0
	v_lshlrev_b32_e32 v4, 16, v1
	s_delay_alu instid0(VALU_DEP_1) | instskip(NEXT) | instid1(VALU_DEP_1)
	v_cvt_f16_f32_e32 v4, v4
	v_and_b32_e32 v4, 0xffff, v4
	global_store_b32 v[2:3], v4, off
.LBB175_491:
	s_mov_b32 s45, 0
.LBB175_492:
	s_delay_alu instid0(SALU_CYCLE_1)
	s_and_not1_b32 vcc_lo, exec_lo, s45
	s_cbranch_vccnz .LBB175_501
; %bb.493:
	s_cmp_lt_i32 s35, 6
	s_mov_b32 s45, -1
	s_cbranch_scc1 .LBB175_499
; %bb.494:
	s_cmp_gt_i32 s35, 6
	s_cbranch_scc0 .LBB175_496
; %bb.495:
	s_wait_xcnt 0x0
	v_lshlrev_b32_e32 v4, 16, v1
	s_mov_b32 s45, 0
	s_delay_alu instid0(VALU_DEP_1)
	v_cvt_f64_f32_e32 v[4:5], v4
	global_store_b64 v[2:3], v[4:5], off
.LBB175_496:
	s_and_not1_b32 vcc_lo, exec_lo, s45
	s_cbranch_vccnz .LBB175_498
; %bb.497:
	s_wait_xcnt 0x0
	v_lshlrev_b32_e32 v4, 16, v1
	global_store_b32 v[2:3], v4, off
.LBB175_498:
	s_mov_b32 s45, 0
.LBB175_499:
	s_delay_alu instid0(SALU_CYCLE_1)
	s_and_not1_b32 vcc_lo, exec_lo, s45
	s_cbranch_vccnz .LBB175_501
; %bb.500:
	s_wait_xcnt 0x0
	v_lshlrev_b32_e32 v4, 16, v1
	s_delay_alu instid0(VALU_DEP_1)
	v_cvt_f16_f32_e32 v4, v4
	global_store_b16 v[2:3], v4, off
.LBB175_501:
	s_mov_b32 s45, 0
.LBB175_502:
	s_delay_alu instid0(SALU_CYCLE_1)
	s_and_not1_b32 vcc_lo, exec_lo, s45
	s_cbranch_vccnz .LBB175_518
; %bb.503:
	s_cmp_lt_i32 s35, 2
	s_mov_b32 s45, -1
	s_cbranch_scc1 .LBB175_513
; %bb.504:
	s_cmp_lt_i32 s35, 3
	s_cbranch_scc1 .LBB175_510
; %bb.505:
	s_cmp_gt_i32 s35, 3
	s_cbranch_scc0 .LBB175_507
; %bb.506:
	s_wait_xcnt 0x0
	v_lshlrev_b32_e32 v4, 16, v1
	s_mov_b32 s45, 0
	s_delay_alu instid0(VALU_DEP_1) | instskip(NEXT) | instid1(VALU_DEP_1)
	v_trunc_f32_e32 v4, v4
	v_mul_f32_e64 v5, 0x2f800000, |v4|
	s_delay_alu instid0(VALU_DEP_1) | instskip(NEXT) | instid1(VALU_DEP_1)
	v_floor_f32_e32 v5, v5
	v_fma_f32 v6, 0xcf800000, v5, |v4|
	v_ashrrev_i32_e32 v4, 31, v4
	v_cvt_u32_f32_e32 v7, v5
	s_delay_alu instid0(VALU_DEP_3) | instskip(NEXT) | instid1(VALU_DEP_2)
	v_cvt_u32_f32_e32 v6, v6
	v_dual_mov_b32 v5, v4 :: v_dual_bitop2_b32 v7, v7, v4 bitop3:0x14
	s_delay_alu instid0(VALU_DEP_2) | instskip(NEXT) | instid1(VALU_DEP_1)
	v_xor_b32_e32 v6, v6, v4
	v_sub_nc_u64_e32 v[4:5], v[6:7], v[4:5]
	global_store_b64 v[2:3], v[4:5], off
.LBB175_507:
	s_and_not1_b32 vcc_lo, exec_lo, s45
	s_cbranch_vccnz .LBB175_509
; %bb.508:
	s_wait_xcnt 0x0
	v_lshlrev_b32_e32 v4, 16, v1
	s_delay_alu instid0(VALU_DEP_1)
	v_cvt_i32_f32_e32 v4, v4
	global_store_b32 v[2:3], v4, off
.LBB175_509:
	s_mov_b32 s45, 0
.LBB175_510:
	s_delay_alu instid0(SALU_CYCLE_1)
	s_and_not1_b32 vcc_lo, exec_lo, s45
	s_cbranch_vccnz .LBB175_512
; %bb.511:
	s_wait_xcnt 0x0
	v_lshlrev_b32_e32 v4, 16, v1
	s_delay_alu instid0(VALU_DEP_1)
	v_cvt_i32_f32_e32 v4, v4
	global_store_b16 v[2:3], v4, off
.LBB175_512:
	s_mov_b32 s45, 0
.LBB175_513:
	s_delay_alu instid0(SALU_CYCLE_1)
	s_and_not1_b32 vcc_lo, exec_lo, s45
	s_cbranch_vccnz .LBB175_518
; %bb.514:
	s_wait_xcnt 0x0
	v_lshlrev_b32_e32 v1, 16, v1
	s_cmp_gt_i32 s35, 0
	s_mov_b32 s35, -1
	s_cbranch_scc0 .LBB175_516
; %bb.515:
	s_delay_alu instid0(VALU_DEP_1)
	v_cvt_i32_f32_e32 v4, v1
	s_mov_b32 s35, 0
	global_store_b8 v[2:3], v4, off
.LBB175_516:
	s_and_not1_b32 vcc_lo, exec_lo, s35
	s_cbranch_vccnz .LBB175_518
; %bb.517:
	v_trunc_f32_e32 v1, v1
	s_wait_xcnt 0x0
	s_delay_alu instid0(VALU_DEP_1) | instskip(NEXT) | instid1(VALU_DEP_1)
	v_mul_f32_e64 v4, 0x2f800000, |v1|
	v_floor_f32_e32 v4, v4
	s_delay_alu instid0(VALU_DEP_1) | instskip(SKIP_1) | instid1(VALU_DEP_2)
	v_fma_f32 v4, 0xcf800000, v4, |v1|
	v_ashrrev_i32_e32 v1, 31, v1
	v_cvt_u32_f32_e32 v4, v4
	s_delay_alu instid0(VALU_DEP_1) | instskip(NEXT) | instid1(VALU_DEP_1)
	v_xor_b32_e32 v4, v4, v1
	v_sub_nc_u32_e32 v1, v4, v1
	global_store_b8 v[2:3], v1, off
.LBB175_518:
	s_mov_b32 s48, -1
.LBB175_519:
	s_delay_alu instid0(SALU_CYCLE_1)
	s_and_not1_b32 vcc_lo, exec_lo, s48
	s_cbranch_vccnz .LBB175_521
; %bb.520:
	v_add_nc_u32_e32 v0, 0x80, v0
	s_mov_b32 s35, -1
	s_branch .LBB175_522
.LBB175_521:
	s_mov_b32 s35, 0
                                        ; implicit-def: $vgpr0
.LBB175_522:
	s_and_b32 s45, s0, exec_lo
	s_and_b32 s48, s34, exec_lo
	;; [unrolled: 1-line block ×4, first 2 shown]
	s_or_not1_b32 s31, s35, exec_lo
.LBB175_523:
	s_wait_xcnt 0x0
	s_or_b32 exec_lo, exec_lo, s51
	s_mov_b32 s34, 0
	s_mov_b32 s30, 0
                                        ; implicit-def: $sgpr0
                                        ; implicit-def: $vgpr8_vgpr9
                                        ; implicit-def: $vgpr2
                                        ; implicit-def: $vgpr4
                                        ; implicit-def: $vgpr6
                                        ; implicit-def: $vgpr3
	s_and_saveexec_b32 s51, s31
	s_cbranch_execz .LBB175_531
; %bb.524:
	s_mov_b32 s35, -1
	s_mov_b32 s52, s50
	s_mov_b32 s55, s49
	;; [unrolled: 1-line block ×4, first 2 shown]
	s_mov_b32 s56, exec_lo
	v_cmpx_gt_i32_e64 s46, v0
	s_cbranch_execz .LBB175_1057
; %bb.525:
	s_and_not1_b32 vcc_lo, exec_lo, s38
	s_cbranch_vccnz .LBB175_534
; %bb.526:
	s_and_not1_b32 vcc_lo, exec_lo, s47
	s_cbranch_vccnz .LBB175_535
; %bb.527:
	s_wait_loadcnt 0x0
	v_dual_mov_b32 v6, 0 :: v_dual_mov_b32 v1, v0
	v_dual_mov_b32 v4, 0 :: v_dual_mov_b32 v2, 0
	v_mov_b32_e32 v8, 0
	s_add_co_i32 s0, s44, 1
	s_mov_b64 s[30:31], 0xffffffffffffffe0
	s_and_b32 s0, s0, 30
	s_add_nc_u64 s[30:31], s[2:3], s[30:31]
	s_mov_b64 s[34:35], s[2:3]
.LBB175_528:                            ; =>This Inner Loop Header: Depth=1
	s_clause 0x1
	s_load_b128 s[52:55], s[34:35], 0x4
	s_load_b64 s[58:59], s[34:35], 0x14
	s_load_b256 s[60:67], s[30:31], 0xe4
	s_add_co_i32 s0, s0, -2
	s_wait_xcnt 0x0
	s_add_nc_u64 s[34:35], s[34:35], 24
	s_cmp_eq_u32 s0, 0
	s_add_nc_u64 s[30:31], s[30:31], 32
	s_wait_kmcnt 0x0
	v_mul_hi_u32 v3, s53, v1
	s_delay_alu instid0(VALU_DEP_1) | instskip(NEXT) | instid1(VALU_DEP_1)
	v_add_nc_u32_e32 v3, v1, v3
	v_lshrrev_b32_e32 v3, s54, v3
	s_delay_alu instid0(VALU_DEP_1) | instskip(SKIP_1) | instid1(VALU_DEP_1)
	v_mul_hi_u32 v5, s58, v3
	v_mul_lo_u32 v7, v3, s52
	v_dual_add_nc_u32 v5, v3, v5 :: v_dual_sub_nc_u32 v7, v1, v7
	s_delay_alu instid0(VALU_DEP_1) | instskip(NEXT) | instid1(VALU_DEP_2)
	v_lshrrev_b32_e32 v1, s59, v5
	v_mad_u32 v8, v7, s61, v8
	v_mad_u32 v2, v7, s60, v2
	;; [unrolled: 1-line block ×4, first 2 shown]
	v_mul_lo_u32 v5, v1, s55
	s_delay_alu instid0(VALU_DEP_1) | instskip(NEXT) | instid1(VALU_DEP_1)
	v_sub_nc_u32_e32 v3, v3, v5
	v_mad_u32 v8, v3, s65, v8
	v_mad_u32 v2, v3, s64, v2
	;; [unrolled: 1-line block ×4, first 2 shown]
	s_cbranch_scc0 .LBB175_528
; %bb.529:
	s_bitcmp1_b32 s44, 0
	s_cselect_b32 s0, -1, 0
	s_delay_alu instid0(SALU_CYCLE_1)
	s_and_b32 vcc_lo, exec_lo, s0
	s_cbranch_vccnz .LBB175_536
; %bb.530:
	s_load_b96 s[60:62], s[34:35], 0x4
	s_load_b128 s[52:55], s[30:31], 0xe4
	s_wait_kmcnt 0x0
	v_mul_hi_u32 v3, s61, v1
	s_delay_alu instid0(VALU_DEP_1) | instskip(NEXT) | instid1(VALU_DEP_1)
	v_add_nc_u32_e32 v3, v1, v3
	v_lshrrev_b32_e32 v3, s62, v3
	s_delay_alu instid0(VALU_DEP_1) | instskip(NEXT) | instid1(VALU_DEP_1)
	v_mul_lo_u32 v3, v3, s60
	v_sub_nc_u32_e32 v1, v1, v3
	s_delay_alu instid0(VALU_DEP_1)
	v_mad_u32 v2, v1, s52, v2
	v_mad_u32 v8, v1, s53, v8
	;; [unrolled: 1-line block ×4, first 2 shown]
	s_branch .LBB175_536
.LBB175_531:
	s_or_b32 exec_lo, exec_lo, s51
	s_mov_b32 s6, 0
	s_and_saveexec_b32 s7, s50
	s_cbranch_execnz .LBB175_1685
.LBB175_532:
	s_or_b32 exec_lo, exec_lo, s7
	s_and_saveexec_b32 s7, s25
	s_delay_alu instid0(SALU_CYCLE_1)
	s_xor_b32 s7, exec_lo, s7
	s_cbranch_execz .LBB175_1686
.LBB175_533:
	global_load_u8 v0, v[8:9], off
	s_or_b32 s30, s30, exec_lo
	s_wait_loadcnt 0x0
	v_cmp_ne_u16_e32 vcc_lo, 0, v0
	v_cndmask_b32_e64 v0, 0, 1.0, vcc_lo
	s_delay_alu instid0(VALU_DEP_1)
	v_lshrrev_b32_e32 v3, 16, v0
	s_wait_xcnt 0x0
	s_or_b32 exec_lo, exec_lo, s7
	s_and_saveexec_b32 s7, s34
	s_cbranch_execz .LBB175_1732
	s_branch .LBB175_1687
.LBB175_534:
                                        ; implicit-def: $vgpr8
                                        ; implicit-def: $vgpr2
                                        ; implicit-def: $vgpr4
                                        ; implicit-def: $vgpr6
	s_branch .LBB175_537
.LBB175_535:
	v_dual_mov_b32 v8, 0 :: v_dual_mov_b32 v2, 0
	s_wait_loadcnt 0x0
	v_dual_mov_b32 v4, 0 :: v_dual_mov_b32 v6, 0
.LBB175_536:
	s_cbranch_execnz .LBB175_539
.LBB175_537:
	s_wait_loadcnt 0x0
	v_mov_b32_e32 v1, 0
	s_and_not1_b32 vcc_lo, exec_lo, s43
	s_delay_alu instid0(VALU_DEP_1) | instskip(NEXT) | instid1(VALU_DEP_1)
	v_mul_u64_e32 v[2:3], s[24:25], v[0:1]
	v_add_nc_u32_e32 v2, v0, v3
	s_delay_alu instid0(VALU_DEP_1) | instskip(NEXT) | instid1(VALU_DEP_1)
	v_lshrrev_b32_e32 v10, s22, v2
	v_mul_lo_u32 v2, v10, s20
	s_delay_alu instid0(VALU_DEP_1) | instskip(NEXT) | instid1(VALU_DEP_1)
	v_sub_nc_u32_e32 v3, v0, v2
	v_mul_lo_u32 v8, v3, s13
	v_mul_lo_u32 v2, v3, s12
	;; [unrolled: 1-line block ×4, first 2 shown]
	s_cbranch_vccnz .LBB175_539
; %bb.538:
	v_mov_b32_e32 v11, v1
	s_delay_alu instid0(VALU_DEP_1) | instskip(NEXT) | instid1(VALU_DEP_1)
	v_mul_u64_e32 v[12:13], s[28:29], v[10:11]
	v_add_nc_u32_e32 v1, v10, v13
	s_delay_alu instid0(VALU_DEP_1) | instskip(NEXT) | instid1(VALU_DEP_1)
	v_lshrrev_b32_e32 v1, s27, v1
	v_mul_lo_u32 v1, v1, s23
	s_delay_alu instid0(VALU_DEP_1) | instskip(NEXT) | instid1(VALU_DEP_1)
	v_sub_nc_u32_e32 v1, v10, v1
	v_mad_u32 v2, v1, s16, v2
	v_mad_u32 v8, v1, s17, v8
	;; [unrolled: 1-line block ×4, first 2 shown]
.LBB175_539:
	v_mov_b32_e32 v9, 0
	s_and_b32 s0, s42, 0xff
	s_delay_alu instid0(SALU_CYCLE_1) | instskip(NEXT) | instid1(VALU_DEP_1)
	s_cmp_lt_i32 s0, 11
	v_add_nc_u64_e32 v[8:9], s[6:7], v[8:9]
	s_cbranch_scc1 .LBB175_546
; %bb.540:
	s_and_b32 s31, 0xffff, s0
	s_delay_alu instid0(SALU_CYCLE_1)
	s_cmp_gt_i32 s31, 25
	s_cbranch_scc0 .LBB175_555
; %bb.541:
	s_cmp_gt_i32 s31, 28
	s_cbranch_scc0 .LBB175_557
; %bb.542:
	;; [unrolled: 3-line block ×4, first 2 shown]
	s_cmp_eq_u32 s31, 46
	s_mov_b32 s35, 0
	s_cbranch_scc0 .LBB175_563
; %bb.545:
	s_wait_loadcnt 0x0
	global_load_b32 v1, v[8:9], off
	s_mov_b32 s34, -1
	s_mov_b32 s30, 0
	s_branch .LBB175_565
.LBB175_546:
	s_mov_b32 s34, 0
	s_mov_b32 s30, s50
                                        ; implicit-def: $vgpr1
	s_cbranch_execnz .LBB175_631
.LBB175_547:
	s_and_not1_b32 vcc_lo, exec_lo, s34
	s_cbranch_vccnz .LBB175_679
.LBB175_548:
	v_mov_b32_e32 v7, 0
	s_and_b32 s0, s41, 0xff
	s_delay_alu instid0(SALU_CYCLE_1) | instskip(SKIP_1) | instid1(VALU_DEP_1)
	s_cmp_lt_i32 s0, 11
	s_wait_loadcnt 0x0
	v_add_nc_u64_e32 v[6:7], s[8:9], v[6:7]
	s_cbranch_scc1 .LBB175_556
; %bb.549:
	s_and_b32 s34, 0xffff, s0
	s_delay_alu instid0(SALU_CYCLE_1)
	s_cmp_gt_i32 s34, 25
	s_cbranch_scc0 .LBB175_558
; %bb.550:
	s_cmp_gt_i32 s34, 28
	s_cbranch_scc0 .LBB175_560
; %bb.551:
	;; [unrolled: 3-line block ×4, first 2 shown]
	s_cmp_eq_u32 s34, 46
	s_mov_b32 s52, 0
	s_cbranch_scc0 .LBB175_682
; %bb.554:
	global_load_b32 v3, v[6:7], off
	s_mov_b32 s35, -1
	s_mov_b32 s31, 0
	s_branch .LBB175_684
.LBB175_555:
	s_mov_b32 s35, -1
	s_mov_b32 s34, 0
	s_mov_b32 s30, s50
                                        ; implicit-def: $vgpr1
	s_branch .LBB175_595
.LBB175_556:
	s_mov_b32 s34, -1
	s_mov_b32 s35, 0
	s_mov_b32 s31, s49
                                        ; implicit-def: $vgpr3
	s_branch .LBB175_749
.LBB175_557:
	s_mov_b32 s35, -1
	s_mov_b32 s34, 0
	s_mov_b32 s30, s50
                                        ; implicit-def: $vgpr1
	s_branch .LBB175_576
.LBB175_558:
	s_mov_b32 s52, -1
	s_mov_b32 s35, 0
	s_mov_b32 s31, s49
                                        ; implicit-def: $vgpr3
	s_branch .LBB175_713
.LBB175_559:
	s_mov_b32 s35, -1
	s_mov_b32 s34, 0
	s_mov_b32 s30, s50
                                        ; implicit-def: $vgpr1
	s_branch .LBB175_571
.LBB175_560:
	s_mov_b32 s52, -1
	s_mov_b32 s35, 0
	s_mov_b32 s31, s49
                                        ; implicit-def: $vgpr3
	s_branch .LBB175_694
.LBB175_561:
	s_mov_b32 s35, -1
	s_mov_b32 s34, 0
	s_mov_b32 s30, s50
	s_branch .LBB175_564
.LBB175_562:
	s_mov_b32 s52, -1
	s_mov_b32 s35, 0
	s_mov_b32 s31, s49
                                        ; implicit-def: $vgpr3
	s_branch .LBB175_689
.LBB175_563:
	s_mov_b32 s30, -1
	s_mov_b32 s34, 0
.LBB175_564:
                                        ; implicit-def: $vgpr1
.LBB175_565:
	s_and_b32 vcc_lo, exec_lo, s35
	s_cbranch_vccz .LBB175_570
; %bb.566:
	s_cmp_eq_u32 s31, 44
	s_cbranch_scc0 .LBB175_569
; %bb.567:
	s_wait_loadcnt 0x0
	global_load_u8 v1, v[8:9], off
	s_mov_b32 s30, 0
	s_mov_b32 s34, -1
	s_wait_loadcnt 0x0
	v_lshlrev_b32_e32 v3, 23, v1
	v_cmp_ne_u32_e32 vcc_lo, 0xff, v1
	s_delay_alu instid0(VALU_DEP_2) | instskip(SKIP_1) | instid1(VALU_DEP_2)
	v_cndmask_b32_e32 v3, 0x7f800001, v3, vcc_lo
	v_cmp_ne_u32_e32 vcc_lo, 0, v1
	v_cndmask_b32_e32 v1, 0x400000, v3, vcc_lo
	s_delay_alu instid0(VALU_DEP_1) | instskip(SKIP_1) | instid1(VALU_DEP_2)
	v_add_nc_u32_e32 v3, 0x7fff, v1
	v_cmp_o_f32_e32 vcc_lo, v1, v1
	v_lshrrev_b32_e32 v3, 16, v3
	s_delay_alu instid0(VALU_DEP_1)
	v_cndmask_b32_e32 v1, 0x7fc0, v3, vcc_lo
	s_branch .LBB175_570
.LBB175_568:
	s_mov_b32 s52, -1
	s_mov_b32 s35, 0
	s_mov_b32 s31, s49
	s_branch .LBB175_683
.LBB175_569:
	s_mov_b32 s30, -1
                                        ; implicit-def: $vgpr1
.LBB175_570:
	s_mov_b32 s35, 0
.LBB175_571:
	s_delay_alu instid0(SALU_CYCLE_1)
	s_and_b32 vcc_lo, exec_lo, s35
	s_cbranch_vccz .LBB175_575
; %bb.572:
	s_cmp_eq_u32 s31, 29
	s_cbranch_scc0 .LBB175_574
; %bb.573:
	global_load_b64 v[10:11], v[8:9], off
	s_mov_b32 s34, -1
	s_mov_b32 s30, 0
	s_mov_b32 s35, 0
	s_wait_loadcnt 0x0
	v_clz_i32_u32_e32 v1, v11
	s_delay_alu instid0(VALU_DEP_1) | instskip(NEXT) | instid1(VALU_DEP_1)
	v_min_u32_e32 v1, 32, v1
	v_lshlrev_b64_e32 v[10:11], v1, v[10:11]
	v_sub_nc_u32_e32 v1, 32, v1
	s_delay_alu instid0(VALU_DEP_2) | instskip(NEXT) | instid1(VALU_DEP_1)
	v_min_u32_e32 v3, 1, v10
	v_or_b32_e32 v3, v11, v3
	s_delay_alu instid0(VALU_DEP_1) | instskip(NEXT) | instid1(VALU_DEP_1)
	v_cvt_f32_u32_e32 v3, v3
	v_ldexp_f32 v1, v3, v1
	s_delay_alu instid0(VALU_DEP_1) | instskip(NEXT) | instid1(VALU_DEP_1)
	v_bfe_u32 v3, v1, 16, 1
	v_add3_u32 v1, v1, v3, 0x7fff
	s_delay_alu instid0(VALU_DEP_1)
	v_lshrrev_b32_e32 v1, 16, v1
	s_branch .LBB175_576
.LBB175_574:
	s_mov_b32 s30, -1
                                        ; implicit-def: $vgpr1
.LBB175_575:
	s_mov_b32 s35, 0
.LBB175_576:
	s_delay_alu instid0(SALU_CYCLE_1)
	s_and_b32 vcc_lo, exec_lo, s35
	s_cbranch_vccz .LBB175_594
; %bb.577:
	s_cmp_lt_i32 s31, 27
	s_cbranch_scc1 .LBB175_580
; %bb.578:
	s_cmp_gt_i32 s31, 27
	s_cbranch_scc0 .LBB175_581
; %bb.579:
	s_wait_loadcnt 0x0
	global_load_b32 v1, v[8:9], off
	s_mov_b32 s34, 0
	s_wait_loadcnt 0x0
	v_cvt_f32_u32_e32 v1, v1
	s_delay_alu instid0(VALU_DEP_1) | instskip(NEXT) | instid1(VALU_DEP_1)
	v_bfe_u32 v3, v1, 16, 1
	v_add3_u32 v1, v1, v3, 0x7fff
	s_delay_alu instid0(VALU_DEP_1)
	v_lshrrev_b32_e32 v1, 16, v1
	s_branch .LBB175_582
.LBB175_580:
	s_mov_b32 s34, -1
                                        ; implicit-def: $vgpr1
	s_branch .LBB175_585
.LBB175_581:
	s_mov_b32 s34, -1
                                        ; implicit-def: $vgpr1
.LBB175_582:
	s_delay_alu instid0(SALU_CYCLE_1)
	s_and_not1_b32 vcc_lo, exec_lo, s34
	s_cbranch_vccnz .LBB175_584
; %bb.583:
	s_wait_loadcnt 0x0
	global_load_u16 v1, v[8:9], off
	s_wait_loadcnt 0x0
	v_cvt_f32_u32_e32 v1, v1
	s_delay_alu instid0(VALU_DEP_1) | instskip(NEXT) | instid1(VALU_DEP_1)
	v_bfe_u32 v3, v1, 16, 1
	v_add3_u32 v1, v1, v3, 0x7fff
	s_delay_alu instid0(VALU_DEP_1)
	v_lshrrev_b32_e32 v1, 16, v1
.LBB175_584:
	s_mov_b32 s34, 0
.LBB175_585:
	s_delay_alu instid0(SALU_CYCLE_1)
	s_and_not1_b32 vcc_lo, exec_lo, s34
	s_cbranch_vccnz .LBB175_593
; %bb.586:
	s_wait_loadcnt 0x0
	global_load_u8 v1, v[8:9], off
	s_mov_b32 s34, 0
	s_mov_b32 s35, exec_lo
	s_wait_loadcnt 0x0
	v_cmpx_lt_i16_e32 0x7f, v1
	s_xor_b32 s35, exec_lo, s35
	s_cbranch_execz .LBB175_607
; %bb.587:
	s_mov_b32 s34, -1
	s_mov_b32 s52, exec_lo
	v_cmpx_eq_u16_e32 0x80, v1
; %bb.588:
	s_xor_b32 s34, exec_lo, -1
; %bb.589:
	s_or_b32 exec_lo, exec_lo, s52
	s_delay_alu instid0(SALU_CYCLE_1)
	s_and_b32 s34, s34, exec_lo
	s_or_saveexec_b32 s35, s35
	v_mov_b32_e32 v3, 0x7f800001
	s_xor_b32 exec_lo, exec_lo, s35
	s_cbranch_execnz .LBB175_608
.LBB175_590:
	s_or_b32 exec_lo, exec_lo, s35
	s_and_saveexec_b32 s35, s34
	s_cbranch_execz .LBB175_592
.LBB175_591:
	v_and_b32_e32 v3, 0xffff, v1
	s_delay_alu instid0(VALU_DEP_1) | instskip(SKIP_1) | instid1(VALU_DEP_2)
	v_dual_lshlrev_b32 v1, 24, v1 :: v_dual_bitop2_b32 v5, 7, v3 bitop3:0x40
	v_bfe_u32 v11, v3, 3, 4
	v_and_b32_e32 v1, 0x80000000, v1
	s_delay_alu instid0(VALU_DEP_3) | instskip(NEXT) | instid1(VALU_DEP_3)
	v_clz_i32_u32_e32 v7, v5
	v_cmp_eq_u32_e32 vcc_lo, 0, v11
	s_delay_alu instid0(VALU_DEP_2) | instskip(NEXT) | instid1(VALU_DEP_1)
	v_min_u32_e32 v7, 32, v7
	v_subrev_nc_u32_e32 v10, 28, v7
	v_sub_nc_u32_e32 v7, 29, v7
	s_delay_alu instid0(VALU_DEP_2) | instskip(NEXT) | instid1(VALU_DEP_2)
	v_lshlrev_b32_e32 v3, v10, v3
	v_cndmask_b32_e32 v7, v11, v7, vcc_lo
	s_delay_alu instid0(VALU_DEP_2) | instskip(NEXT) | instid1(VALU_DEP_1)
	v_and_b32_e32 v3, 7, v3
	v_cndmask_b32_e32 v3, v5, v3, vcc_lo
	s_delay_alu instid0(VALU_DEP_3) | instskip(NEXT) | instid1(VALU_DEP_2)
	v_lshl_add_u32 v5, v7, 23, 0x3b800000
	v_lshlrev_b32_e32 v3, 20, v3
	s_delay_alu instid0(VALU_DEP_1)
	v_or3_b32 v3, v1, v5, v3
.LBB175_592:
	s_or_b32 exec_lo, exec_lo, s35
	s_delay_alu instid0(VALU_DEP_1) | instskip(SKIP_1) | instid1(VALU_DEP_2)
	v_bfe_u32 v1, v3, 16, 1
	v_cmp_o_f32_e32 vcc_lo, v3, v3
	v_add3_u32 v1, v3, v1, 0x7fff
	s_delay_alu instid0(VALU_DEP_1) | instskip(NEXT) | instid1(VALU_DEP_1)
	v_lshrrev_b32_e32 v1, 16, v1
	v_cndmask_b32_e32 v1, 0x7fc0, v1, vcc_lo
.LBB175_593:
	s_mov_b32 s34, -1
.LBB175_594:
	s_mov_b32 s35, 0
.LBB175_595:
	s_delay_alu instid0(SALU_CYCLE_1)
	s_and_b32 vcc_lo, exec_lo, s35
	s_cbranch_vccz .LBB175_630
; %bb.596:
	s_cmp_gt_i32 s31, 22
	s_cbranch_scc0 .LBB175_606
; %bb.597:
	s_cmp_lt_i32 s31, 24
	s_cbranch_scc1 .LBB175_609
; %bb.598:
	s_cmp_gt_i32 s31, 24
	s_cbranch_scc0 .LBB175_610
; %bb.599:
	s_wait_loadcnt 0x0
	global_load_u8 v1, v[8:9], off
	s_mov_b32 s34, 0
	s_mov_b32 s35, exec_lo
	s_wait_loadcnt 0x0
	v_cmpx_lt_i16_e32 0x7f, v1
	s_xor_b32 s35, exec_lo, s35
	s_cbranch_execz .LBB175_622
; %bb.600:
	s_mov_b32 s34, -1
	s_mov_b32 s52, exec_lo
	v_cmpx_eq_u16_e32 0x80, v1
; %bb.601:
	s_xor_b32 s34, exec_lo, -1
; %bb.602:
	s_or_b32 exec_lo, exec_lo, s52
	s_delay_alu instid0(SALU_CYCLE_1)
	s_and_b32 s34, s34, exec_lo
	s_or_saveexec_b32 s35, s35
	v_mov_b32_e32 v3, 0x7f800001
	s_xor_b32 exec_lo, exec_lo, s35
	s_cbranch_execnz .LBB175_623
.LBB175_603:
	s_or_b32 exec_lo, exec_lo, s35
	s_and_saveexec_b32 s35, s34
	s_cbranch_execz .LBB175_605
.LBB175_604:
	v_and_b32_e32 v3, 0xffff, v1
	s_delay_alu instid0(VALU_DEP_1) | instskip(SKIP_1) | instid1(VALU_DEP_2)
	v_dual_lshlrev_b32 v1, 24, v1 :: v_dual_bitop2_b32 v5, 3, v3 bitop3:0x40
	v_bfe_u32 v11, v3, 2, 5
	v_and_b32_e32 v1, 0x80000000, v1
	s_delay_alu instid0(VALU_DEP_3) | instskip(NEXT) | instid1(VALU_DEP_3)
	v_clz_i32_u32_e32 v7, v5
	v_cmp_eq_u32_e32 vcc_lo, 0, v11
	s_delay_alu instid0(VALU_DEP_2) | instskip(NEXT) | instid1(VALU_DEP_1)
	v_min_u32_e32 v7, 32, v7
	v_subrev_nc_u32_e32 v10, 29, v7
	v_sub_nc_u32_e32 v7, 30, v7
	s_delay_alu instid0(VALU_DEP_2) | instskip(NEXT) | instid1(VALU_DEP_2)
	v_lshlrev_b32_e32 v3, v10, v3
	v_cndmask_b32_e32 v7, v11, v7, vcc_lo
	s_delay_alu instid0(VALU_DEP_2) | instskip(NEXT) | instid1(VALU_DEP_1)
	v_and_b32_e32 v3, 3, v3
	v_cndmask_b32_e32 v3, v5, v3, vcc_lo
	s_delay_alu instid0(VALU_DEP_3) | instskip(NEXT) | instid1(VALU_DEP_2)
	v_lshl_add_u32 v5, v7, 23, 0x37800000
	v_lshlrev_b32_e32 v3, 21, v3
	s_delay_alu instid0(VALU_DEP_1)
	v_or3_b32 v3, v1, v5, v3
.LBB175_605:
	s_or_b32 exec_lo, exec_lo, s35
	s_delay_alu instid0(VALU_DEP_1) | instskip(SKIP_2) | instid1(VALU_DEP_2)
	v_bfe_u32 v1, v3, 16, 1
	v_cmp_o_f32_e32 vcc_lo, v3, v3
	s_mov_b32 s34, 0
	v_add3_u32 v1, v3, v1, 0x7fff
	s_delay_alu instid0(VALU_DEP_1) | instskip(NEXT) | instid1(VALU_DEP_1)
	v_lshrrev_b32_e32 v1, 16, v1
	v_cndmask_b32_e32 v1, 0x7fc0, v1, vcc_lo
	s_branch .LBB175_611
.LBB175_606:
	s_mov_b32 s35, -1
                                        ; implicit-def: $vgpr1
	s_branch .LBB175_617
.LBB175_607:
	s_or_saveexec_b32 s35, s35
	v_mov_b32_e32 v3, 0x7f800001
	s_xor_b32 exec_lo, exec_lo, s35
	s_cbranch_execz .LBB175_590
.LBB175_608:
	v_cmp_ne_u16_e32 vcc_lo, 0, v1
	v_mov_b32_e32 v3, 0
	s_and_not1_b32 s34, s34, exec_lo
	s_and_b32 s52, vcc_lo, exec_lo
	s_delay_alu instid0(SALU_CYCLE_1)
	s_or_b32 s34, s34, s52
	s_or_b32 exec_lo, exec_lo, s35
	s_and_saveexec_b32 s35, s34
	s_cbranch_execnz .LBB175_591
	s_branch .LBB175_592
.LBB175_609:
	s_mov_b32 s34, -1
                                        ; implicit-def: $vgpr1
	s_branch .LBB175_614
.LBB175_610:
	s_mov_b32 s34, -1
                                        ; implicit-def: $vgpr1
.LBB175_611:
	s_delay_alu instid0(SALU_CYCLE_1)
	s_and_b32 vcc_lo, exec_lo, s34
	s_cbranch_vccz .LBB175_613
; %bb.612:
	s_wait_loadcnt 0x0
	global_load_u8 v1, v[8:9], off
	s_wait_loadcnt 0x0
	v_lshlrev_b32_e32 v1, 24, v1
	s_delay_alu instid0(VALU_DEP_1) | instskip(NEXT) | instid1(VALU_DEP_1)
	v_and_b32_e32 v3, 0x7f000000, v1
	v_clz_i32_u32_e32 v5, v3
	v_cmp_ne_u32_e32 vcc_lo, 0, v3
	v_add_nc_u32_e32 v10, 0x1000000, v3
	s_delay_alu instid0(VALU_DEP_3) | instskip(NEXT) | instid1(VALU_DEP_1)
	v_min_u32_e32 v5, 32, v5
	v_sub_nc_u32_e64 v5, v5, 4 clamp
	s_delay_alu instid0(VALU_DEP_1) | instskip(NEXT) | instid1(VALU_DEP_1)
	v_dual_lshlrev_b32 v7, v5, v3 :: v_dual_lshlrev_b32 v5, 23, v5
	v_lshrrev_b32_e32 v7, 4, v7
	s_delay_alu instid0(VALU_DEP_1) | instskip(NEXT) | instid1(VALU_DEP_1)
	v_dual_sub_nc_u32 v5, v7, v5 :: v_dual_ashrrev_i32 v7, 8, v10
	v_add_nc_u32_e32 v5, 0x3c000000, v5
	s_delay_alu instid0(VALU_DEP_1) | instskip(NEXT) | instid1(VALU_DEP_1)
	v_and_or_b32 v5, 0x7f800000, v7, v5
	v_cndmask_b32_e32 v3, 0, v5, vcc_lo
	s_delay_alu instid0(VALU_DEP_1) | instskip(SKIP_1) | instid1(VALU_DEP_2)
	v_and_or_b32 v1, 0x80000000, v1, v3
	v_bfe_u32 v3, v3, 16, 1
	v_cmp_o_f32_e32 vcc_lo, v1, v1
	s_delay_alu instid0(VALU_DEP_2) | instskip(NEXT) | instid1(VALU_DEP_1)
	v_add3_u32 v3, v1, v3, 0x7fff
	v_lshrrev_b32_e32 v3, 16, v3
	s_delay_alu instid0(VALU_DEP_1)
	v_cndmask_b32_e32 v1, 0x7fc0, v3, vcc_lo
.LBB175_613:
	s_mov_b32 s34, 0
.LBB175_614:
	s_delay_alu instid0(SALU_CYCLE_1)
	s_and_not1_b32 vcc_lo, exec_lo, s34
	s_cbranch_vccnz .LBB175_616
; %bb.615:
	s_wait_loadcnt 0x0
	global_load_u8 v1, v[8:9], off
	s_wait_loadcnt 0x0
	v_lshlrev_b32_e32 v3, 25, v1
	v_lshlrev_b16 v1, 8, v1
	s_delay_alu instid0(VALU_DEP_1) | instskip(SKIP_1) | instid1(VALU_DEP_2)
	v_and_or_b32 v7, 0x7f00, v1, 0.5
	v_bfe_i32 v1, v1, 0, 16
	v_add_f32_e32 v7, -0.5, v7
	v_lshrrev_b32_e32 v5, 4, v3
	v_cmp_gt_u32_e32 vcc_lo, 0x8000000, v3
	s_delay_alu instid0(VALU_DEP_2) | instskip(NEXT) | instid1(VALU_DEP_1)
	v_or_b32_e32 v5, 0x70000000, v5
	v_mul_f32_e32 v5, 0x7800000, v5
	s_delay_alu instid0(VALU_DEP_1) | instskip(NEXT) | instid1(VALU_DEP_1)
	v_cndmask_b32_e32 v3, v5, v7, vcc_lo
	v_and_or_b32 v1, 0x80000000, v1, v3
	v_bfe_u32 v3, v3, 16, 1
	s_delay_alu instid0(VALU_DEP_2) | instskip(NEXT) | instid1(VALU_DEP_2)
	v_cmp_o_f32_e32 vcc_lo, v1, v1
	v_add3_u32 v3, v1, v3, 0x7fff
	s_delay_alu instid0(VALU_DEP_1) | instskip(NEXT) | instid1(VALU_DEP_1)
	v_lshrrev_b32_e32 v3, 16, v3
	v_cndmask_b32_e32 v1, 0x7fc0, v3, vcc_lo
.LBB175_616:
	s_mov_b32 s35, 0
	s_mov_b32 s34, -1
.LBB175_617:
	s_and_not1_b32 vcc_lo, exec_lo, s35
	s_cbranch_vccnz .LBB175_630
; %bb.618:
	s_cmp_gt_i32 s31, 14
	s_cbranch_scc0 .LBB175_621
; %bb.619:
	s_cmp_eq_u32 s31, 15
	s_cbranch_scc0 .LBB175_624
; %bb.620:
	s_wait_loadcnt 0x0
	global_load_u16 v1, v[8:9], off
	s_mov_b32 s34, -1
	s_mov_b32 s30, 0
	s_branch .LBB175_625
.LBB175_621:
	s_mov_b32 s35, -1
                                        ; implicit-def: $vgpr1
	s_branch .LBB175_626
.LBB175_622:
	s_or_saveexec_b32 s35, s35
	v_mov_b32_e32 v3, 0x7f800001
	s_xor_b32 exec_lo, exec_lo, s35
	s_cbranch_execz .LBB175_603
.LBB175_623:
	v_cmp_ne_u16_e32 vcc_lo, 0, v1
	v_mov_b32_e32 v3, 0
	s_and_not1_b32 s34, s34, exec_lo
	s_and_b32 s52, vcc_lo, exec_lo
	s_delay_alu instid0(SALU_CYCLE_1)
	s_or_b32 s34, s34, s52
	s_or_b32 exec_lo, exec_lo, s35
	s_and_saveexec_b32 s35, s34
	s_cbranch_execnz .LBB175_604
	s_branch .LBB175_605
.LBB175_624:
	s_mov_b32 s30, -1
                                        ; implicit-def: $vgpr1
.LBB175_625:
	s_mov_b32 s35, 0
.LBB175_626:
	s_delay_alu instid0(SALU_CYCLE_1)
	s_and_b32 vcc_lo, exec_lo, s35
	s_cbranch_vccz .LBB175_630
; %bb.627:
	s_cmp_eq_u32 s31, 11
	s_cbranch_scc0 .LBB175_629
; %bb.628:
	s_wait_loadcnt 0x0
	global_load_u8 v1, v[8:9], off
	s_mov_b32 s30, 0
	s_mov_b32 s34, -1
	s_wait_loadcnt 0x0
	v_cmp_ne_u16_e32 vcc_lo, 0, v1
	v_cndmask_b32_e64 v1, 0, 1.0, vcc_lo
	s_delay_alu instid0(VALU_DEP_1)
	v_lshrrev_b32_e32 v1, 16, v1
	s_branch .LBB175_630
.LBB175_629:
	s_mov_b32 s30, -1
                                        ; implicit-def: $vgpr1
.LBB175_630:
	s_branch .LBB175_547
.LBB175_631:
	s_and_b32 s0, 0xffff, s0
	s_delay_alu instid0(SALU_CYCLE_1)
	s_cmp_lt_i32 s0, 5
	s_cbranch_scc1 .LBB175_636
; %bb.632:
	s_cmp_lt_i32 s0, 8
	s_cbranch_scc1 .LBB175_637
; %bb.633:
	;; [unrolled: 3-line block ×3, first 2 shown]
	s_cmp_gt_i32 s0, 9
	s_cbranch_scc0 .LBB175_639
; %bb.635:
	global_load_b64 v[10:11], v[8:9], off
	s_mov_b32 s31, 0
	s_wait_loadcnt 0x0
	v_cvt_f32_f64_e32 v1, v[10:11]
	s_delay_alu instid0(VALU_DEP_1) | instskip(SKIP_1) | instid1(VALU_DEP_2)
	v_bfe_u32 v3, v1, 16, 1
	v_cmp_o_f32_e32 vcc_lo, v1, v1
	v_add3_u32 v3, v1, v3, 0x7fff
	s_delay_alu instid0(VALU_DEP_1) | instskip(NEXT) | instid1(VALU_DEP_1)
	v_lshrrev_b32_e32 v3, 16, v3
	v_cndmask_b32_e32 v1, 0x7fc0, v3, vcc_lo
	s_branch .LBB175_640
.LBB175_636:
	s_mov_b32 s31, -1
                                        ; implicit-def: $vgpr1
	s_branch .LBB175_658
.LBB175_637:
	s_mov_b32 s31, -1
                                        ; implicit-def: $vgpr1
	s_branch .LBB175_646
.LBB175_638:
	s_mov_b32 s31, -1
                                        ; implicit-def: $vgpr1
	s_branch .LBB175_643
.LBB175_639:
	s_mov_b32 s31, -1
                                        ; implicit-def: $vgpr1
.LBB175_640:
	s_delay_alu instid0(SALU_CYCLE_1)
	s_and_not1_b32 vcc_lo, exec_lo, s31
	s_cbranch_vccnz .LBB175_642
; %bb.641:
	s_wait_loadcnt 0x0
	global_load_b32 v1, v[8:9], off
	s_wait_loadcnt 0x0
	v_bfe_u32 v3, v1, 16, 1
	v_cmp_o_f32_e32 vcc_lo, v1, v1
	s_delay_alu instid0(VALU_DEP_2) | instskip(NEXT) | instid1(VALU_DEP_1)
	v_add3_u32 v3, v1, v3, 0x7fff
	v_lshrrev_b32_e32 v3, 16, v3
	s_delay_alu instid0(VALU_DEP_1)
	v_cndmask_b32_e32 v1, 0x7fc0, v3, vcc_lo
.LBB175_642:
	s_mov_b32 s31, 0
.LBB175_643:
	s_delay_alu instid0(SALU_CYCLE_1)
	s_and_not1_b32 vcc_lo, exec_lo, s31
	s_cbranch_vccnz .LBB175_645
; %bb.644:
	s_wait_loadcnt 0x0
	global_load_b32 v1, v[8:9], off
	s_wait_loadcnt 0x0
	v_cvt_f32_f16_e32 v3, v1
	v_cmp_o_f16_e32 vcc_lo, v1, v1
	s_delay_alu instid0(VALU_DEP_2) | instskip(NEXT) | instid1(VALU_DEP_1)
	v_bfe_u32 v5, v3, 16, 1
	v_add3_u32 v3, v3, v5, 0x7fff
	s_delay_alu instid0(VALU_DEP_1) | instskip(NEXT) | instid1(VALU_DEP_1)
	v_lshrrev_b32_e32 v3, 16, v3
	v_cndmask_b32_e32 v1, 0x7fc0, v3, vcc_lo
.LBB175_645:
	s_mov_b32 s31, 0
.LBB175_646:
	s_delay_alu instid0(SALU_CYCLE_1)
	s_and_not1_b32 vcc_lo, exec_lo, s31
	s_cbranch_vccnz .LBB175_657
; %bb.647:
	s_cmp_lt_i32 s0, 6
	s_cbranch_scc1 .LBB175_650
; %bb.648:
	s_cmp_gt_i32 s0, 6
	s_cbranch_scc0 .LBB175_651
; %bb.649:
	global_load_b64 v[10:11], v[8:9], off
	s_mov_b32 s31, 0
	s_wait_loadcnt 0x0
	v_cvt_f32_f64_e32 v1, v[10:11]
	s_delay_alu instid0(VALU_DEP_1) | instskip(SKIP_1) | instid1(VALU_DEP_2)
	v_bfe_u32 v3, v1, 16, 1
	v_cmp_o_f32_e32 vcc_lo, v1, v1
	v_add3_u32 v3, v1, v3, 0x7fff
	s_delay_alu instid0(VALU_DEP_1) | instskip(NEXT) | instid1(VALU_DEP_1)
	v_lshrrev_b32_e32 v3, 16, v3
	v_cndmask_b32_e32 v1, 0x7fc0, v3, vcc_lo
	s_branch .LBB175_652
.LBB175_650:
	s_mov_b32 s31, -1
                                        ; implicit-def: $vgpr1
	s_branch .LBB175_655
.LBB175_651:
	s_mov_b32 s31, -1
                                        ; implicit-def: $vgpr1
.LBB175_652:
	s_delay_alu instid0(SALU_CYCLE_1)
	s_and_not1_b32 vcc_lo, exec_lo, s31
	s_cbranch_vccnz .LBB175_654
; %bb.653:
	s_wait_loadcnt 0x0
	global_load_b32 v1, v[8:9], off
	s_wait_loadcnt 0x0
	v_bfe_u32 v3, v1, 16, 1
	v_cmp_o_f32_e32 vcc_lo, v1, v1
	s_delay_alu instid0(VALU_DEP_2) | instskip(NEXT) | instid1(VALU_DEP_1)
	v_add3_u32 v3, v1, v3, 0x7fff
	v_lshrrev_b32_e32 v3, 16, v3
	s_delay_alu instid0(VALU_DEP_1)
	v_cndmask_b32_e32 v1, 0x7fc0, v3, vcc_lo
.LBB175_654:
	s_mov_b32 s31, 0
.LBB175_655:
	s_delay_alu instid0(SALU_CYCLE_1)
	s_and_not1_b32 vcc_lo, exec_lo, s31
	s_cbranch_vccnz .LBB175_657
; %bb.656:
	s_wait_loadcnt 0x0
	global_load_u16 v1, v[8:9], off
	s_wait_loadcnt 0x0
	v_cvt_f32_f16_e32 v3, v1
	v_cmp_o_f16_e32 vcc_lo, v1, v1
	s_delay_alu instid0(VALU_DEP_2) | instskip(NEXT) | instid1(VALU_DEP_1)
	v_bfe_u32 v5, v3, 16, 1
	v_add3_u32 v3, v3, v5, 0x7fff
	s_delay_alu instid0(VALU_DEP_1) | instskip(NEXT) | instid1(VALU_DEP_1)
	v_lshrrev_b32_e32 v3, 16, v3
	v_cndmask_b32_e32 v1, 0x7fc0, v3, vcc_lo
.LBB175_657:
	s_mov_b32 s31, 0
.LBB175_658:
	s_delay_alu instid0(SALU_CYCLE_1)
	s_and_not1_b32 vcc_lo, exec_lo, s31
	s_cbranch_vccnz .LBB175_678
; %bb.659:
	s_cmp_lt_i32 s0, 2
	s_cbranch_scc1 .LBB175_663
; %bb.660:
	s_cmp_lt_i32 s0, 3
	s_cbranch_scc1 .LBB175_664
; %bb.661:
	s_cmp_gt_i32 s0, 3
	s_cbranch_scc0 .LBB175_665
; %bb.662:
	global_load_b64 v[10:11], v[8:9], off
	s_mov_b32 s31, 0
	s_wait_loadcnt 0x0
	v_xor_b32_e32 v1, v10, v11
	v_cls_i32_e32 v3, v11
	s_delay_alu instid0(VALU_DEP_2) | instskip(NEXT) | instid1(VALU_DEP_1)
	v_ashrrev_i32_e32 v1, 31, v1
	v_add_nc_u32_e32 v1, 32, v1
	s_delay_alu instid0(VALU_DEP_1) | instskip(NEXT) | instid1(VALU_DEP_1)
	v_add_min_u32_e64 v1, v3, -1, v1
	v_lshlrev_b64_e32 v[10:11], v1, v[10:11]
	v_sub_nc_u32_e32 v1, 32, v1
	s_delay_alu instid0(VALU_DEP_2) | instskip(NEXT) | instid1(VALU_DEP_1)
	v_min_u32_e32 v3, 1, v10
	v_or_b32_e32 v3, v11, v3
	s_delay_alu instid0(VALU_DEP_1) | instskip(NEXT) | instid1(VALU_DEP_1)
	v_cvt_f32_i32_e32 v3, v3
	v_ldexp_f32 v1, v3, v1
	s_delay_alu instid0(VALU_DEP_1) | instskip(NEXT) | instid1(VALU_DEP_1)
	v_bfe_u32 v3, v1, 16, 1
	v_add3_u32 v1, v1, v3, 0x7fff
	s_delay_alu instid0(VALU_DEP_1)
	v_lshrrev_b32_e32 v1, 16, v1
	s_branch .LBB175_666
.LBB175_663:
	s_mov_b32 s31, -1
                                        ; implicit-def: $vgpr1
	s_branch .LBB175_672
.LBB175_664:
	s_mov_b32 s31, -1
                                        ; implicit-def: $vgpr1
	s_branch .LBB175_669
.LBB175_665:
	s_mov_b32 s31, -1
                                        ; implicit-def: $vgpr1
.LBB175_666:
	s_delay_alu instid0(SALU_CYCLE_1)
	s_and_not1_b32 vcc_lo, exec_lo, s31
	s_cbranch_vccnz .LBB175_668
; %bb.667:
	s_wait_loadcnt 0x0
	global_load_b32 v1, v[8:9], off
	s_wait_loadcnt 0x0
	v_cvt_f32_i32_e32 v1, v1
	s_delay_alu instid0(VALU_DEP_1) | instskip(NEXT) | instid1(VALU_DEP_1)
	v_bfe_u32 v3, v1, 16, 1
	v_add3_u32 v1, v1, v3, 0x7fff
	s_delay_alu instid0(VALU_DEP_1)
	v_lshrrev_b32_e32 v1, 16, v1
.LBB175_668:
	s_mov_b32 s31, 0
.LBB175_669:
	s_delay_alu instid0(SALU_CYCLE_1)
	s_and_not1_b32 vcc_lo, exec_lo, s31
	s_cbranch_vccnz .LBB175_671
; %bb.670:
	s_wait_loadcnt 0x0
	global_load_i16 v1, v[8:9], off
	s_wait_loadcnt 0x0
	v_cvt_f32_i32_e32 v1, v1
	s_delay_alu instid0(VALU_DEP_1) | instskip(NEXT) | instid1(VALU_DEP_1)
	v_bfe_u32 v3, v1, 16, 1
	v_add3_u32 v1, v1, v3, 0x7fff
	s_delay_alu instid0(VALU_DEP_1)
	v_lshrrev_b32_e32 v1, 16, v1
.LBB175_671:
	s_mov_b32 s31, 0
.LBB175_672:
	s_delay_alu instid0(SALU_CYCLE_1)
	s_and_not1_b32 vcc_lo, exec_lo, s31
	s_cbranch_vccnz .LBB175_678
; %bb.673:
	s_cmp_gt_i32 s0, 0
	s_mov_b32 s0, 0
	s_cbranch_scc0 .LBB175_675
; %bb.674:
	s_wait_loadcnt 0x0
	global_load_i8 v1, v[8:9], off
	s_wait_loadcnt 0x0
	v_cvt_f32_i32_e32 v1, v1
	s_delay_alu instid0(VALU_DEP_1) | instskip(NEXT) | instid1(VALU_DEP_1)
	v_bfe_u32 v3, v1, 16, 1
	v_add3_u32 v1, v1, v3, 0x7fff
	s_delay_alu instid0(VALU_DEP_1)
	v_lshrrev_b32_e32 v1, 16, v1
	s_branch .LBB175_676
.LBB175_675:
	s_mov_b32 s0, -1
                                        ; implicit-def: $vgpr1
.LBB175_676:
	s_delay_alu instid0(SALU_CYCLE_1)
	s_and_not1_b32 vcc_lo, exec_lo, s0
	s_cbranch_vccnz .LBB175_678
; %bb.677:
	s_wait_loadcnt 0x0
	global_load_u8 v1, v[8:9], off
	s_wait_loadcnt 0x0
	v_cvt_f32_ubyte0_e32 v1, v1
	s_delay_alu instid0(VALU_DEP_1) | instskip(NEXT) | instid1(VALU_DEP_1)
	v_bfe_u32 v3, v1, 16, 1
	v_add3_u32 v1, v1, v3, 0x7fff
	s_delay_alu instid0(VALU_DEP_1)
	v_lshrrev_b32_e32 v1, 16, v1
.LBB175_678:
	s_branch .LBB175_548
.LBB175_679:
	s_mov_b32 s35, 0
	s_mov_b32 s0, s45
	;; [unrolled: 1-line block ×4, first 2 shown]
	s_branch .LBB175_1055
.LBB175_680:
	s_and_not1_saveexec_b32 s50, s50
	s_cbranch_execz .LBB175_432
.LBB175_681:
	v_add_f32_e64 v5, 0x46000000, |v6|
	s_and_not1_b32 s49, s49, exec_lo
	s_delay_alu instid0(VALU_DEP_1) | instskip(NEXT) | instid1(VALU_DEP_1)
	v_and_b32_e32 v5, 0xff, v5
	v_cmp_ne_u32_e32 vcc_lo, 0, v5
	s_and_b32 s52, vcc_lo, exec_lo
	s_delay_alu instid0(SALU_CYCLE_1)
	s_or_b32 s49, s49, s52
	s_or_b32 exec_lo, exec_lo, s50
	v_mov_b32_e32 v7, 0
	s_and_saveexec_b32 s50, s49
	s_cbranch_execnz .LBB175_433
	s_branch .LBB175_434
.LBB175_682:
	s_mov_b32 s31, -1
	s_mov_b32 s35, 0
.LBB175_683:
                                        ; implicit-def: $vgpr3
.LBB175_684:
	s_and_b32 vcc_lo, exec_lo, s52
	s_cbranch_vccz .LBB175_688
; %bb.685:
	s_cmp_eq_u32 s34, 44
	s_cbranch_scc0 .LBB175_687
; %bb.686:
	s_wait_loadcnt 0x0
	global_load_u8 v3, v[6:7], off
	s_mov_b32 s31, 0
	s_mov_b32 s35, -1
	s_wait_loadcnt 0x0
	v_lshlrev_b32_e32 v5, 23, v3
	v_cmp_ne_u32_e32 vcc_lo, 0xff, v3
	s_delay_alu instid0(VALU_DEP_2) | instskip(SKIP_1) | instid1(VALU_DEP_2)
	v_cndmask_b32_e32 v5, 0x7f800001, v5, vcc_lo
	v_cmp_ne_u32_e32 vcc_lo, 0, v3
	v_cndmask_b32_e32 v3, 0x400000, v5, vcc_lo
	s_delay_alu instid0(VALU_DEP_1) | instskip(SKIP_1) | instid1(VALU_DEP_2)
	v_add_nc_u32_e32 v5, 0x7fff, v3
	v_cmp_o_f32_e32 vcc_lo, v3, v3
	v_lshrrev_b32_e32 v5, 16, v5
	s_delay_alu instid0(VALU_DEP_1)
	v_cndmask_b32_e32 v3, 0x7fc0, v5, vcc_lo
	s_branch .LBB175_688
.LBB175_687:
	s_mov_b32 s31, -1
                                        ; implicit-def: $vgpr3
.LBB175_688:
	s_mov_b32 s52, 0
.LBB175_689:
	s_delay_alu instid0(SALU_CYCLE_1)
	s_and_b32 vcc_lo, exec_lo, s52
	s_cbranch_vccz .LBB175_693
; %bb.690:
	s_cmp_eq_u32 s34, 29
	s_cbranch_scc0 .LBB175_692
; %bb.691:
	global_load_b64 v[8:9], v[6:7], off
	s_mov_b32 s35, -1
	s_mov_b32 s31, 0
	s_mov_b32 s52, 0
	s_wait_loadcnt 0x0
	v_clz_i32_u32_e32 v3, v9
	s_delay_alu instid0(VALU_DEP_1) | instskip(NEXT) | instid1(VALU_DEP_1)
	v_min_u32_e32 v3, 32, v3
	v_lshlrev_b64_e32 v[8:9], v3, v[8:9]
	v_sub_nc_u32_e32 v3, 32, v3
	s_delay_alu instid0(VALU_DEP_2) | instskip(NEXT) | instid1(VALU_DEP_1)
	v_min_u32_e32 v5, 1, v8
	v_or_b32_e32 v5, v9, v5
	s_delay_alu instid0(VALU_DEP_1) | instskip(NEXT) | instid1(VALU_DEP_1)
	v_cvt_f32_u32_e32 v5, v5
	v_ldexp_f32 v3, v5, v3
	s_delay_alu instid0(VALU_DEP_1) | instskip(NEXT) | instid1(VALU_DEP_1)
	v_bfe_u32 v5, v3, 16, 1
	v_add3_u32 v3, v3, v5, 0x7fff
	s_delay_alu instid0(VALU_DEP_1)
	v_lshrrev_b32_e32 v3, 16, v3
	s_branch .LBB175_694
.LBB175_692:
	s_mov_b32 s31, -1
                                        ; implicit-def: $vgpr3
.LBB175_693:
	s_mov_b32 s52, 0
.LBB175_694:
	s_delay_alu instid0(SALU_CYCLE_1)
	s_and_b32 vcc_lo, exec_lo, s52
	s_cbranch_vccz .LBB175_712
; %bb.695:
	s_cmp_lt_i32 s34, 27
	s_cbranch_scc1 .LBB175_698
; %bb.696:
	s_cmp_gt_i32 s34, 27
	s_cbranch_scc0 .LBB175_699
; %bb.697:
	s_wait_loadcnt 0x0
	global_load_b32 v3, v[6:7], off
	s_mov_b32 s35, 0
	s_wait_loadcnt 0x0
	v_cvt_f32_u32_e32 v3, v3
	s_delay_alu instid0(VALU_DEP_1) | instskip(NEXT) | instid1(VALU_DEP_1)
	v_bfe_u32 v5, v3, 16, 1
	v_add3_u32 v3, v3, v5, 0x7fff
	s_delay_alu instid0(VALU_DEP_1)
	v_lshrrev_b32_e32 v3, 16, v3
	s_branch .LBB175_700
.LBB175_698:
	s_mov_b32 s35, -1
                                        ; implicit-def: $vgpr3
	s_branch .LBB175_703
.LBB175_699:
	s_mov_b32 s35, -1
                                        ; implicit-def: $vgpr3
.LBB175_700:
	s_delay_alu instid0(SALU_CYCLE_1)
	s_and_not1_b32 vcc_lo, exec_lo, s35
	s_cbranch_vccnz .LBB175_702
; %bb.701:
	s_wait_loadcnt 0x0
	global_load_u16 v3, v[6:7], off
	s_wait_loadcnt 0x0
	v_cvt_f32_u32_e32 v3, v3
	s_delay_alu instid0(VALU_DEP_1) | instskip(NEXT) | instid1(VALU_DEP_1)
	v_bfe_u32 v5, v3, 16, 1
	v_add3_u32 v3, v3, v5, 0x7fff
	s_delay_alu instid0(VALU_DEP_1)
	v_lshrrev_b32_e32 v3, 16, v3
.LBB175_702:
	s_mov_b32 s35, 0
.LBB175_703:
	s_delay_alu instid0(SALU_CYCLE_1)
	s_and_not1_b32 vcc_lo, exec_lo, s35
	s_cbranch_vccnz .LBB175_711
; %bb.704:
	s_wait_loadcnt 0x0
	global_load_u8 v3, v[6:7], off
	s_mov_b32 s35, 0
	s_mov_b32 s52, exec_lo
	s_wait_loadcnt 0x0
	v_cmpx_lt_i16_e32 0x7f, v3
	s_xor_b32 s52, exec_lo, s52
	s_cbranch_execz .LBB175_725
; %bb.705:
	s_mov_b32 s35, -1
	s_mov_b32 s53, exec_lo
	v_cmpx_eq_u16_e32 0x80, v3
; %bb.706:
	s_xor_b32 s35, exec_lo, -1
; %bb.707:
	s_or_b32 exec_lo, exec_lo, s53
	s_delay_alu instid0(SALU_CYCLE_1)
	s_and_b32 s35, s35, exec_lo
	s_or_saveexec_b32 s52, s52
	v_mov_b32_e32 v5, 0x7f800001
	s_xor_b32 exec_lo, exec_lo, s52
	s_cbranch_execnz .LBB175_726
.LBB175_708:
	s_or_b32 exec_lo, exec_lo, s52
	s_and_saveexec_b32 s52, s35
	s_cbranch_execz .LBB175_710
.LBB175_709:
	v_and_b32_e32 v5, 0xffff, v3
	s_delay_alu instid0(VALU_DEP_1) | instskip(SKIP_1) | instid1(VALU_DEP_2)
	v_dual_lshlrev_b32 v3, 24, v3 :: v_dual_bitop2_b32 v8, 7, v5 bitop3:0x40
	v_bfe_u32 v11, v5, 3, 4
	v_and_b32_e32 v3, 0x80000000, v3
	s_delay_alu instid0(VALU_DEP_3) | instskip(NEXT) | instid1(VALU_DEP_3)
	v_clz_i32_u32_e32 v9, v8
	v_cmp_eq_u32_e32 vcc_lo, 0, v11
	s_delay_alu instid0(VALU_DEP_2) | instskip(NEXT) | instid1(VALU_DEP_1)
	v_min_u32_e32 v9, 32, v9
	v_subrev_nc_u32_e32 v10, 28, v9
	v_sub_nc_u32_e32 v9, 29, v9
	s_delay_alu instid0(VALU_DEP_2) | instskip(NEXT) | instid1(VALU_DEP_2)
	v_lshlrev_b32_e32 v5, v10, v5
	v_cndmask_b32_e32 v9, v11, v9, vcc_lo
	s_delay_alu instid0(VALU_DEP_2) | instskip(NEXT) | instid1(VALU_DEP_1)
	v_and_b32_e32 v5, 7, v5
	v_cndmask_b32_e32 v5, v8, v5, vcc_lo
	s_delay_alu instid0(VALU_DEP_3) | instskip(NEXT) | instid1(VALU_DEP_2)
	v_lshl_add_u32 v8, v9, 23, 0x3b800000
	v_lshlrev_b32_e32 v5, 20, v5
	s_delay_alu instid0(VALU_DEP_1)
	v_or3_b32 v5, v3, v8, v5
.LBB175_710:
	s_or_b32 exec_lo, exec_lo, s52
	s_delay_alu instid0(VALU_DEP_1) | instskip(SKIP_1) | instid1(VALU_DEP_2)
	v_bfe_u32 v3, v5, 16, 1
	v_cmp_o_f32_e32 vcc_lo, v5, v5
	v_add3_u32 v3, v5, v3, 0x7fff
	s_delay_alu instid0(VALU_DEP_1) | instskip(NEXT) | instid1(VALU_DEP_1)
	v_lshrrev_b32_e32 v3, 16, v3
	v_cndmask_b32_e32 v3, 0x7fc0, v3, vcc_lo
.LBB175_711:
	s_mov_b32 s35, -1
.LBB175_712:
	s_mov_b32 s52, 0
.LBB175_713:
	s_delay_alu instid0(SALU_CYCLE_1)
	s_and_b32 vcc_lo, exec_lo, s52
	s_cbranch_vccz .LBB175_748
; %bb.714:
	s_cmp_gt_i32 s34, 22
	s_cbranch_scc0 .LBB175_724
; %bb.715:
	s_cmp_lt_i32 s34, 24
	s_cbranch_scc1 .LBB175_727
; %bb.716:
	s_cmp_gt_i32 s34, 24
	s_cbranch_scc0 .LBB175_728
; %bb.717:
	s_wait_loadcnt 0x0
	global_load_u8 v3, v[6:7], off
	s_mov_b32 s35, 0
	s_mov_b32 s52, exec_lo
	s_wait_loadcnt 0x0
	v_cmpx_lt_i16_e32 0x7f, v3
	s_xor_b32 s52, exec_lo, s52
	s_cbranch_execz .LBB175_740
; %bb.718:
	s_mov_b32 s35, -1
	s_mov_b32 s53, exec_lo
	v_cmpx_eq_u16_e32 0x80, v3
; %bb.719:
	s_xor_b32 s35, exec_lo, -1
; %bb.720:
	s_or_b32 exec_lo, exec_lo, s53
	s_delay_alu instid0(SALU_CYCLE_1)
	s_and_b32 s35, s35, exec_lo
	s_or_saveexec_b32 s52, s52
	v_mov_b32_e32 v5, 0x7f800001
	s_xor_b32 exec_lo, exec_lo, s52
	s_cbranch_execnz .LBB175_741
.LBB175_721:
	s_or_b32 exec_lo, exec_lo, s52
	s_and_saveexec_b32 s52, s35
	s_cbranch_execz .LBB175_723
.LBB175_722:
	v_and_b32_e32 v5, 0xffff, v3
	s_delay_alu instid0(VALU_DEP_1) | instskip(SKIP_1) | instid1(VALU_DEP_2)
	v_dual_lshlrev_b32 v3, 24, v3 :: v_dual_bitop2_b32 v8, 3, v5 bitop3:0x40
	v_bfe_u32 v11, v5, 2, 5
	v_and_b32_e32 v3, 0x80000000, v3
	s_delay_alu instid0(VALU_DEP_3) | instskip(NEXT) | instid1(VALU_DEP_3)
	v_clz_i32_u32_e32 v9, v8
	v_cmp_eq_u32_e32 vcc_lo, 0, v11
	s_delay_alu instid0(VALU_DEP_2) | instskip(NEXT) | instid1(VALU_DEP_1)
	v_min_u32_e32 v9, 32, v9
	v_subrev_nc_u32_e32 v10, 29, v9
	v_sub_nc_u32_e32 v9, 30, v9
	s_delay_alu instid0(VALU_DEP_2) | instskip(NEXT) | instid1(VALU_DEP_2)
	v_lshlrev_b32_e32 v5, v10, v5
	v_cndmask_b32_e32 v9, v11, v9, vcc_lo
	s_delay_alu instid0(VALU_DEP_2) | instskip(NEXT) | instid1(VALU_DEP_1)
	v_and_b32_e32 v5, 3, v5
	v_cndmask_b32_e32 v5, v8, v5, vcc_lo
	s_delay_alu instid0(VALU_DEP_3) | instskip(NEXT) | instid1(VALU_DEP_2)
	v_lshl_add_u32 v8, v9, 23, 0x37800000
	v_lshlrev_b32_e32 v5, 21, v5
	s_delay_alu instid0(VALU_DEP_1)
	v_or3_b32 v5, v3, v8, v5
.LBB175_723:
	s_or_b32 exec_lo, exec_lo, s52
	s_delay_alu instid0(VALU_DEP_1) | instskip(SKIP_2) | instid1(VALU_DEP_2)
	v_bfe_u32 v3, v5, 16, 1
	v_cmp_o_f32_e32 vcc_lo, v5, v5
	s_mov_b32 s35, 0
	v_add3_u32 v3, v5, v3, 0x7fff
	s_delay_alu instid0(VALU_DEP_1) | instskip(NEXT) | instid1(VALU_DEP_1)
	v_lshrrev_b32_e32 v3, 16, v3
	v_cndmask_b32_e32 v3, 0x7fc0, v3, vcc_lo
	s_branch .LBB175_729
.LBB175_724:
	s_mov_b32 s52, -1
                                        ; implicit-def: $vgpr3
	s_branch .LBB175_735
.LBB175_725:
	s_or_saveexec_b32 s52, s52
	v_mov_b32_e32 v5, 0x7f800001
	s_xor_b32 exec_lo, exec_lo, s52
	s_cbranch_execz .LBB175_708
.LBB175_726:
	v_cmp_ne_u16_e32 vcc_lo, 0, v3
	v_mov_b32_e32 v5, 0
	s_and_not1_b32 s35, s35, exec_lo
	s_and_b32 s53, vcc_lo, exec_lo
	s_delay_alu instid0(SALU_CYCLE_1)
	s_or_b32 s35, s35, s53
	s_or_b32 exec_lo, exec_lo, s52
	s_and_saveexec_b32 s52, s35
	s_cbranch_execnz .LBB175_709
	s_branch .LBB175_710
.LBB175_727:
	s_mov_b32 s35, -1
                                        ; implicit-def: $vgpr3
	s_branch .LBB175_732
.LBB175_728:
	s_mov_b32 s35, -1
                                        ; implicit-def: $vgpr3
.LBB175_729:
	s_delay_alu instid0(SALU_CYCLE_1)
	s_and_b32 vcc_lo, exec_lo, s35
	s_cbranch_vccz .LBB175_731
; %bb.730:
	s_wait_loadcnt 0x0
	global_load_u8 v3, v[6:7], off
	s_wait_loadcnt 0x0
	v_lshlrev_b32_e32 v3, 24, v3
	s_delay_alu instid0(VALU_DEP_1) | instskip(SKIP_1) | instid1(VALU_DEP_1)
	v_and_b32_e32 v5, 0x7f000000, v3
	s_wait_xcnt 0x1
	v_clz_i32_u32_e32 v8, v5
	v_cmp_ne_u32_e32 vcc_lo, 0, v5
	v_add_nc_u32_e32 v10, 0x1000000, v5
	s_delay_alu instid0(VALU_DEP_3) | instskip(NEXT) | instid1(VALU_DEP_1)
	v_min_u32_e32 v8, 32, v8
	v_sub_nc_u32_e64 v8, v8, 4 clamp
	s_delay_alu instid0(VALU_DEP_1) | instskip(NEXT) | instid1(VALU_DEP_1)
	v_dual_lshlrev_b32 v9, v8, v5 :: v_dual_lshlrev_b32 v8, 23, v8
	v_lshrrev_b32_e32 v9, 4, v9
	s_delay_alu instid0(VALU_DEP_1) | instskip(NEXT) | instid1(VALU_DEP_1)
	v_dual_sub_nc_u32 v8, v9, v8 :: v_dual_ashrrev_i32 v9, 8, v10
	v_add_nc_u32_e32 v8, 0x3c000000, v8
	s_delay_alu instid0(VALU_DEP_1) | instskip(NEXT) | instid1(VALU_DEP_1)
	v_and_or_b32 v8, 0x7f800000, v9, v8
	v_cndmask_b32_e32 v5, 0, v8, vcc_lo
	s_delay_alu instid0(VALU_DEP_1) | instskip(SKIP_1) | instid1(VALU_DEP_2)
	v_and_or_b32 v3, 0x80000000, v3, v5
	v_bfe_u32 v5, v5, 16, 1
	v_cmp_o_f32_e32 vcc_lo, v3, v3
	s_delay_alu instid0(VALU_DEP_2) | instskip(NEXT) | instid1(VALU_DEP_1)
	v_add3_u32 v5, v3, v5, 0x7fff
	v_lshrrev_b32_e32 v5, 16, v5
	s_delay_alu instid0(VALU_DEP_1)
	v_cndmask_b32_e32 v3, 0x7fc0, v5, vcc_lo
.LBB175_731:
	s_mov_b32 s35, 0
.LBB175_732:
	s_delay_alu instid0(SALU_CYCLE_1)
	s_and_not1_b32 vcc_lo, exec_lo, s35
	s_cbranch_vccnz .LBB175_734
; %bb.733:
	s_wait_loadcnt 0x0
	global_load_u8 v3, v[6:7], off
	s_wait_loadcnt 0x0
	v_lshlrev_b32_e32 v5, 25, v3
	v_lshlrev_b16 v3, 8, v3
	s_wait_xcnt 0x1
	s_delay_alu instid0(VALU_DEP_1) | instskip(SKIP_1) | instid1(VALU_DEP_2)
	v_and_or_b32 v9, 0x7f00, v3, 0.5
	v_bfe_i32 v3, v3, 0, 16
	v_add_f32_e32 v9, -0.5, v9
	v_lshrrev_b32_e32 v8, 4, v5
	v_cmp_gt_u32_e32 vcc_lo, 0x8000000, v5
	s_delay_alu instid0(VALU_DEP_2) | instskip(NEXT) | instid1(VALU_DEP_1)
	v_or_b32_e32 v8, 0x70000000, v8
	v_mul_f32_e32 v8, 0x7800000, v8
	s_delay_alu instid0(VALU_DEP_1) | instskip(NEXT) | instid1(VALU_DEP_1)
	v_cndmask_b32_e32 v5, v8, v9, vcc_lo
	v_and_or_b32 v3, 0x80000000, v3, v5
	v_bfe_u32 v5, v5, 16, 1
	s_delay_alu instid0(VALU_DEP_2) | instskip(NEXT) | instid1(VALU_DEP_2)
	v_cmp_o_f32_e32 vcc_lo, v3, v3
	v_add3_u32 v5, v3, v5, 0x7fff
	s_delay_alu instid0(VALU_DEP_1) | instskip(NEXT) | instid1(VALU_DEP_1)
	v_lshrrev_b32_e32 v5, 16, v5
	v_cndmask_b32_e32 v3, 0x7fc0, v5, vcc_lo
.LBB175_734:
	s_mov_b32 s52, 0
	s_mov_b32 s35, -1
.LBB175_735:
	s_and_not1_b32 vcc_lo, exec_lo, s52
	s_cbranch_vccnz .LBB175_748
; %bb.736:
	s_cmp_gt_i32 s34, 14
	s_cbranch_scc0 .LBB175_739
; %bb.737:
	s_cmp_eq_u32 s34, 15
	s_cbranch_scc0 .LBB175_742
; %bb.738:
	s_wait_loadcnt 0x0
	global_load_u16 v3, v[6:7], off
	s_mov_b32 s35, -1
	s_mov_b32 s31, 0
	s_branch .LBB175_743
.LBB175_739:
	s_mov_b32 s52, -1
                                        ; implicit-def: $vgpr3
	s_branch .LBB175_744
.LBB175_740:
	s_or_saveexec_b32 s52, s52
	v_mov_b32_e32 v5, 0x7f800001
	s_xor_b32 exec_lo, exec_lo, s52
	s_cbranch_execz .LBB175_721
.LBB175_741:
	v_cmp_ne_u16_e32 vcc_lo, 0, v3
	v_mov_b32_e32 v5, 0
	s_and_not1_b32 s35, s35, exec_lo
	s_and_b32 s53, vcc_lo, exec_lo
	s_delay_alu instid0(SALU_CYCLE_1)
	s_or_b32 s35, s35, s53
	s_or_b32 exec_lo, exec_lo, s52
	s_and_saveexec_b32 s52, s35
	s_cbranch_execnz .LBB175_722
	s_branch .LBB175_723
.LBB175_742:
	s_mov_b32 s31, -1
                                        ; implicit-def: $vgpr3
.LBB175_743:
	s_mov_b32 s52, 0
.LBB175_744:
	s_delay_alu instid0(SALU_CYCLE_1)
	s_and_b32 vcc_lo, exec_lo, s52
	s_cbranch_vccz .LBB175_748
; %bb.745:
	s_cmp_eq_u32 s34, 11
	s_cbranch_scc0 .LBB175_747
; %bb.746:
	s_wait_loadcnt 0x0
	global_load_u8 v3, v[6:7], off
	s_mov_b32 s31, 0
	s_mov_b32 s35, -1
	s_wait_loadcnt 0x0
	v_cmp_ne_u16_e32 vcc_lo, 0, v3
	v_cndmask_b32_e64 v3, 0, 1.0, vcc_lo
	s_delay_alu instid0(VALU_DEP_1)
	v_lshrrev_b32_e32 v3, 16, v3
	s_branch .LBB175_748
.LBB175_747:
	s_mov_b32 s31, -1
                                        ; implicit-def: $vgpr3
.LBB175_748:
	s_mov_b32 s34, 0
.LBB175_749:
	s_delay_alu instid0(SALU_CYCLE_1)
	s_and_b32 vcc_lo, exec_lo, s34
	s_cbranch_vccz .LBB175_798
; %bb.750:
	s_and_b32 s0, 0xffff, s0
	s_delay_alu instid0(SALU_CYCLE_1)
	s_cmp_lt_i32 s0, 5
	s_cbranch_scc1 .LBB175_755
; %bb.751:
	s_cmp_lt_i32 s0, 8
	s_cbranch_scc1 .LBB175_756
; %bb.752:
	;; [unrolled: 3-line block ×3, first 2 shown]
	s_cmp_gt_i32 s0, 9
	s_cbranch_scc0 .LBB175_758
; %bb.754:
	global_load_b64 v[8:9], v[6:7], off
	s_mov_b32 s34, 0
	s_wait_loadcnt 0x0
	v_cvt_f32_f64_e32 v3, v[8:9]
	s_delay_alu instid0(VALU_DEP_1) | instskip(SKIP_1) | instid1(VALU_DEP_2)
	v_bfe_u32 v5, v3, 16, 1
	v_cmp_o_f32_e32 vcc_lo, v3, v3
	v_add3_u32 v5, v3, v5, 0x7fff
	s_delay_alu instid0(VALU_DEP_1) | instskip(NEXT) | instid1(VALU_DEP_1)
	v_lshrrev_b32_e32 v5, 16, v5
	v_cndmask_b32_e32 v3, 0x7fc0, v5, vcc_lo
	s_branch .LBB175_759
.LBB175_755:
	s_mov_b32 s34, -1
                                        ; implicit-def: $vgpr3
	s_branch .LBB175_777
.LBB175_756:
	s_mov_b32 s34, -1
                                        ; implicit-def: $vgpr3
	s_branch .LBB175_765
.LBB175_757:
	s_mov_b32 s34, -1
                                        ; implicit-def: $vgpr3
	s_branch .LBB175_762
.LBB175_758:
	s_mov_b32 s34, -1
                                        ; implicit-def: $vgpr3
.LBB175_759:
	s_delay_alu instid0(SALU_CYCLE_1)
	s_and_not1_b32 vcc_lo, exec_lo, s34
	s_cbranch_vccnz .LBB175_761
; %bb.760:
	s_wait_loadcnt 0x0
	global_load_b32 v3, v[6:7], off
	s_wait_loadcnt 0x0
	v_bfe_u32 v5, v3, 16, 1
	v_cmp_o_f32_e32 vcc_lo, v3, v3
	s_delay_alu instid0(VALU_DEP_2) | instskip(NEXT) | instid1(VALU_DEP_1)
	v_add3_u32 v5, v3, v5, 0x7fff
	v_lshrrev_b32_e32 v5, 16, v5
	s_delay_alu instid0(VALU_DEP_1)
	v_cndmask_b32_e32 v3, 0x7fc0, v5, vcc_lo
.LBB175_761:
	s_mov_b32 s34, 0
.LBB175_762:
	s_delay_alu instid0(SALU_CYCLE_1)
	s_and_not1_b32 vcc_lo, exec_lo, s34
	s_cbranch_vccnz .LBB175_764
; %bb.763:
	s_wait_loadcnt 0x0
	global_load_b32 v3, v[6:7], off
	s_wait_loadcnt 0x0
	v_cvt_f32_f16_e32 v5, v3
	v_cmp_o_f16_e32 vcc_lo, v3, v3
	s_wait_xcnt 0x1
	s_delay_alu instid0(VALU_DEP_2) | instskip(NEXT) | instid1(VALU_DEP_1)
	v_bfe_u32 v8, v5, 16, 1
	v_add3_u32 v5, v5, v8, 0x7fff
	s_delay_alu instid0(VALU_DEP_1) | instskip(NEXT) | instid1(VALU_DEP_1)
	v_lshrrev_b32_e32 v5, 16, v5
	v_cndmask_b32_e32 v3, 0x7fc0, v5, vcc_lo
.LBB175_764:
	s_mov_b32 s34, 0
.LBB175_765:
	s_delay_alu instid0(SALU_CYCLE_1)
	s_and_not1_b32 vcc_lo, exec_lo, s34
	s_cbranch_vccnz .LBB175_776
; %bb.766:
	s_cmp_lt_i32 s0, 6
	s_cbranch_scc1 .LBB175_769
; %bb.767:
	s_cmp_gt_i32 s0, 6
	s_cbranch_scc0 .LBB175_770
; %bb.768:
	global_load_b64 v[8:9], v[6:7], off
	s_mov_b32 s34, 0
	s_wait_loadcnt 0x0
	v_cvt_f32_f64_e32 v3, v[8:9]
	s_delay_alu instid0(VALU_DEP_1) | instskip(SKIP_1) | instid1(VALU_DEP_2)
	v_bfe_u32 v5, v3, 16, 1
	v_cmp_o_f32_e32 vcc_lo, v3, v3
	v_add3_u32 v5, v3, v5, 0x7fff
	s_delay_alu instid0(VALU_DEP_1) | instskip(NEXT) | instid1(VALU_DEP_1)
	v_lshrrev_b32_e32 v5, 16, v5
	v_cndmask_b32_e32 v3, 0x7fc0, v5, vcc_lo
	s_branch .LBB175_771
.LBB175_769:
	s_mov_b32 s34, -1
                                        ; implicit-def: $vgpr3
	s_branch .LBB175_774
.LBB175_770:
	s_mov_b32 s34, -1
                                        ; implicit-def: $vgpr3
.LBB175_771:
	s_delay_alu instid0(SALU_CYCLE_1)
	s_and_not1_b32 vcc_lo, exec_lo, s34
	s_cbranch_vccnz .LBB175_773
; %bb.772:
	s_wait_loadcnt 0x0
	global_load_b32 v3, v[6:7], off
	s_wait_loadcnt 0x0
	v_bfe_u32 v5, v3, 16, 1
	v_cmp_o_f32_e32 vcc_lo, v3, v3
	s_delay_alu instid0(VALU_DEP_2) | instskip(NEXT) | instid1(VALU_DEP_1)
	v_add3_u32 v5, v3, v5, 0x7fff
	v_lshrrev_b32_e32 v5, 16, v5
	s_delay_alu instid0(VALU_DEP_1)
	v_cndmask_b32_e32 v3, 0x7fc0, v5, vcc_lo
.LBB175_773:
	s_mov_b32 s34, 0
.LBB175_774:
	s_delay_alu instid0(SALU_CYCLE_1)
	s_and_not1_b32 vcc_lo, exec_lo, s34
	s_cbranch_vccnz .LBB175_776
; %bb.775:
	s_wait_loadcnt 0x0
	global_load_u16 v3, v[6:7], off
	s_wait_loadcnt 0x0
	v_cvt_f32_f16_e32 v5, v3
	v_cmp_o_f16_e32 vcc_lo, v3, v3
	s_wait_xcnt 0x1
	s_delay_alu instid0(VALU_DEP_2) | instskip(NEXT) | instid1(VALU_DEP_1)
	v_bfe_u32 v8, v5, 16, 1
	v_add3_u32 v5, v5, v8, 0x7fff
	s_delay_alu instid0(VALU_DEP_1) | instskip(NEXT) | instid1(VALU_DEP_1)
	v_lshrrev_b32_e32 v5, 16, v5
	v_cndmask_b32_e32 v3, 0x7fc0, v5, vcc_lo
.LBB175_776:
	s_mov_b32 s34, 0
.LBB175_777:
	s_delay_alu instid0(SALU_CYCLE_1)
	s_and_not1_b32 vcc_lo, exec_lo, s34
	s_cbranch_vccnz .LBB175_797
; %bb.778:
	s_cmp_lt_i32 s0, 2
	s_cbranch_scc1 .LBB175_782
; %bb.779:
	s_cmp_lt_i32 s0, 3
	s_cbranch_scc1 .LBB175_783
; %bb.780:
	s_cmp_gt_i32 s0, 3
	s_cbranch_scc0 .LBB175_784
; %bb.781:
	global_load_b64 v[8:9], v[6:7], off
	s_mov_b32 s34, 0
	s_wait_loadcnt 0x0
	v_xor_b32_e32 v3, v8, v9
	v_cls_i32_e32 v5, v9
	s_delay_alu instid0(VALU_DEP_2) | instskip(NEXT) | instid1(VALU_DEP_1)
	v_ashrrev_i32_e32 v3, 31, v3
	v_add_nc_u32_e32 v3, 32, v3
	s_delay_alu instid0(VALU_DEP_1) | instskip(NEXT) | instid1(VALU_DEP_1)
	v_add_min_u32_e64 v3, v5, -1, v3
	v_lshlrev_b64_e32 v[8:9], v3, v[8:9]
	v_sub_nc_u32_e32 v3, 32, v3
	s_delay_alu instid0(VALU_DEP_2) | instskip(NEXT) | instid1(VALU_DEP_1)
	v_min_u32_e32 v5, 1, v8
	v_or_b32_e32 v5, v9, v5
	s_delay_alu instid0(VALU_DEP_1) | instskip(NEXT) | instid1(VALU_DEP_1)
	v_cvt_f32_i32_e32 v5, v5
	v_ldexp_f32 v3, v5, v3
	s_delay_alu instid0(VALU_DEP_1) | instskip(NEXT) | instid1(VALU_DEP_1)
	v_bfe_u32 v5, v3, 16, 1
	v_add3_u32 v3, v3, v5, 0x7fff
	s_delay_alu instid0(VALU_DEP_1)
	v_lshrrev_b32_e32 v3, 16, v3
	s_branch .LBB175_785
.LBB175_782:
	s_mov_b32 s34, -1
                                        ; implicit-def: $vgpr3
	s_branch .LBB175_791
.LBB175_783:
	s_mov_b32 s34, -1
                                        ; implicit-def: $vgpr3
	s_branch .LBB175_788
.LBB175_784:
	s_mov_b32 s34, -1
                                        ; implicit-def: $vgpr3
.LBB175_785:
	s_delay_alu instid0(SALU_CYCLE_1)
	s_and_not1_b32 vcc_lo, exec_lo, s34
	s_cbranch_vccnz .LBB175_787
; %bb.786:
	s_wait_loadcnt 0x0
	global_load_b32 v3, v[6:7], off
	s_wait_loadcnt 0x0
	v_cvt_f32_i32_e32 v3, v3
	s_delay_alu instid0(VALU_DEP_1) | instskip(NEXT) | instid1(VALU_DEP_1)
	v_bfe_u32 v5, v3, 16, 1
	v_add3_u32 v3, v3, v5, 0x7fff
	s_delay_alu instid0(VALU_DEP_1)
	v_lshrrev_b32_e32 v3, 16, v3
.LBB175_787:
	s_mov_b32 s34, 0
.LBB175_788:
	s_delay_alu instid0(SALU_CYCLE_1)
	s_and_not1_b32 vcc_lo, exec_lo, s34
	s_cbranch_vccnz .LBB175_790
; %bb.789:
	s_wait_loadcnt 0x0
	global_load_i16 v3, v[6:7], off
	s_wait_loadcnt 0x0
	v_cvt_f32_i32_e32 v3, v3
	s_delay_alu instid0(VALU_DEP_1) | instskip(NEXT) | instid1(VALU_DEP_1)
	v_bfe_u32 v5, v3, 16, 1
	v_add3_u32 v3, v3, v5, 0x7fff
	s_delay_alu instid0(VALU_DEP_1)
	v_lshrrev_b32_e32 v3, 16, v3
.LBB175_790:
	s_mov_b32 s34, 0
.LBB175_791:
	s_delay_alu instid0(SALU_CYCLE_1)
	s_and_not1_b32 vcc_lo, exec_lo, s34
	s_cbranch_vccnz .LBB175_797
; %bb.792:
	s_cmp_gt_i32 s0, 0
	s_mov_b32 s0, 0
	s_cbranch_scc0 .LBB175_794
; %bb.793:
	s_wait_loadcnt 0x0
	global_load_i8 v3, v[6:7], off
	s_wait_loadcnt 0x0
	v_cvt_f32_i32_e32 v3, v3
	s_delay_alu instid0(VALU_DEP_1) | instskip(NEXT) | instid1(VALU_DEP_1)
	v_bfe_u32 v5, v3, 16, 1
	v_add3_u32 v3, v3, v5, 0x7fff
	s_delay_alu instid0(VALU_DEP_1)
	v_lshrrev_b32_e32 v3, 16, v3
	s_branch .LBB175_795
.LBB175_794:
	s_mov_b32 s0, -1
                                        ; implicit-def: $vgpr3
.LBB175_795:
	s_delay_alu instid0(SALU_CYCLE_1)
	s_and_not1_b32 vcc_lo, exec_lo, s0
	s_cbranch_vccnz .LBB175_797
; %bb.796:
	s_wait_loadcnt 0x0
	global_load_u8 v3, v[6:7], off
	s_wait_loadcnt 0x0
	v_cvt_f32_ubyte0_e32 v3, v3
	s_delay_alu instid0(VALU_DEP_1) | instskip(NEXT) | instid1(VALU_DEP_1)
	v_bfe_u32 v5, v3, 16, 1
	v_add3_u32 v3, v3, v5, 0x7fff
	s_delay_alu instid0(VALU_DEP_1)
	v_lshrrev_b32_e32 v3, 16, v3
.LBB175_797:
	s_mov_b32 s35, -1
.LBB175_798:
	s_delay_alu instid0(SALU_CYCLE_1)
	s_and_not1_b32 vcc_lo, exec_lo, s35
	s_cbranch_vccnz .LBB175_806
; %bb.799:
	v_mov_b32_e32 v5, 0
	s_and_b32 s0, 0xffff, s40
	s_delay_alu instid0(SALU_CYCLE_1) | instskip(NEXT) | instid1(VALU_DEP_1)
	s_cmp_lt_i32 s0, 11
	v_add_nc_u64_e32 v[4:5], s[10:11], v[4:5]
	s_cbranch_scc1 .LBB175_807
; %bb.800:
	s_cmp_gt_i32 s0, 25
	s_cbranch_scc0 .LBB175_808
; %bb.801:
	s_cmp_gt_i32 s0, 28
	s_cbranch_scc0 .LBB175_809
	;; [unrolled: 3-line block ×4, first 2 shown]
; %bb.804:
	s_cmp_eq_u32 s0, 46
	s_mov_b32 s52, 0
	s_cbranch_scc0 .LBB175_814
; %bb.805:
	global_load_b32 v6, v[4:5], off
	s_mov_b32 s35, -1
	s_mov_b32 s34, 0
	s_branch .LBB175_816
.LBB175_806:
	s_mov_b32 s35, 0
	s_mov_b32 s0, s45
	;; [unrolled: 1-line block ×3, first 2 shown]
	s_branch .LBB175_1055
.LBB175_807:
	s_mov_b32 s52, -1
	s_mov_b32 s35, 0
	s_mov_b32 s34, s48
                                        ; implicit-def: $vgpr6
	s_branch .LBB175_881
.LBB175_808:
	s_mov_b32 s52, -1
	s_mov_b32 s35, 0
	s_mov_b32 s34, s48
                                        ; implicit-def: $vgpr6
	s_branch .LBB175_845
.LBB175_809:
	s_mov_b32 s52, -1
	s_mov_b32 s35, 0
	s_mov_b32 s34, s48
                                        ; implicit-def: $vgpr6
	s_branch .LBB175_826
.LBB175_810:
	s_mov_b32 s52, -1
	s_mov_b32 s35, 0
	s_mov_b32 s34, s48
                                        ; implicit-def: $vgpr6
	s_branch .LBB175_821
.LBB175_811:
	s_mov_b32 s52, -1
	s_mov_b32 s35, 0
	s_mov_b32 s34, s48
	s_branch .LBB175_815
.LBB175_812:
	s_and_not1_saveexec_b32 s50, s50
	s_cbranch_execz .LBB175_445
.LBB175_813:
	v_add_f32_e64 v5, 0x42800000, |v6|
	s_and_not1_b32 s49, s49, exec_lo
	s_delay_alu instid0(VALU_DEP_1) | instskip(NEXT) | instid1(VALU_DEP_1)
	v_and_b32_e32 v5, 0xff, v5
	v_cmp_ne_u32_e32 vcc_lo, 0, v5
	s_and_b32 s52, vcc_lo, exec_lo
	s_delay_alu instid0(SALU_CYCLE_1)
	s_or_b32 s49, s49, s52
	s_or_b32 exec_lo, exec_lo, s50
	v_mov_b32_e32 v7, 0
	s_and_saveexec_b32 s50, s49
	s_cbranch_execnz .LBB175_446
	s_branch .LBB175_447
.LBB175_814:
	s_mov_b32 s34, -1
	s_mov_b32 s35, 0
.LBB175_815:
                                        ; implicit-def: $vgpr6
.LBB175_816:
	s_and_b32 vcc_lo, exec_lo, s52
	s_cbranch_vccz .LBB175_820
; %bb.817:
	s_cmp_eq_u32 s0, 44
	s_cbranch_scc0 .LBB175_819
; %bb.818:
	s_wait_loadcnt 0x0
	global_load_u8 v6, v[4:5], off
	s_mov_b32 s34, 0
	s_mov_b32 s35, -1
	s_wait_loadcnt 0x0
	v_lshlrev_b32_e32 v7, 23, v6
	v_cmp_ne_u32_e32 vcc_lo, 0xff, v6
	s_delay_alu instid0(VALU_DEP_2) | instskip(SKIP_1) | instid1(VALU_DEP_2)
	v_cndmask_b32_e32 v7, 0x7f800001, v7, vcc_lo
	v_cmp_ne_u32_e32 vcc_lo, 0, v6
	v_cndmask_b32_e32 v6, 0x400000, v7, vcc_lo
	s_delay_alu instid0(VALU_DEP_1) | instskip(NEXT) | instid1(VALU_DEP_1)
	v_add_nc_u32_e32 v7, 0x7fff, v6
	v_lshrrev_b32_e32 v7, 16, v7
	v_cmp_o_f32_e32 vcc_lo, v6, v6
	s_delay_alu instid0(VALU_DEP_2)
	v_cndmask_b32_e32 v6, 0x7fc0, v7, vcc_lo
	s_branch .LBB175_820
.LBB175_819:
	s_mov_b32 s34, -1
                                        ; implicit-def: $vgpr6
.LBB175_820:
	s_mov_b32 s52, 0
.LBB175_821:
	s_delay_alu instid0(SALU_CYCLE_1)
	s_and_b32 vcc_lo, exec_lo, s52
	s_cbranch_vccz .LBB175_825
; %bb.822:
	s_cmp_eq_u32 s0, 29
	s_cbranch_scc0 .LBB175_824
; %bb.823:
	s_wait_loadcnt 0x0
	global_load_b64 v[6:7], v[4:5], off
	s_mov_b32 s35, -1
	s_mov_b32 s34, 0
	s_mov_b32 s52, 0
	s_wait_loadcnt 0x0
	v_clz_i32_u32_e32 v8, v7
	s_delay_alu instid0(VALU_DEP_1) | instskip(NEXT) | instid1(VALU_DEP_1)
	v_min_u32_e32 v8, 32, v8
	v_lshlrev_b64_e32 v[6:7], v8, v[6:7]
	s_delay_alu instid0(VALU_DEP_1) | instskip(NEXT) | instid1(VALU_DEP_1)
	v_min_u32_e32 v6, 1, v6
	v_dual_sub_nc_u32 v7, 32, v8 :: v_dual_bitop2_b32 v6, v7, v6 bitop3:0x54
	s_delay_alu instid0(VALU_DEP_1) | instskip(NEXT) | instid1(VALU_DEP_1)
	v_cvt_f32_u32_e32 v6, v6
	v_ldexp_f32 v6, v6, v7
	s_delay_alu instid0(VALU_DEP_1) | instskip(NEXT) | instid1(VALU_DEP_1)
	v_bfe_u32 v7, v6, 16, 1
	v_add3_u32 v6, v6, v7, 0x7fff
	s_delay_alu instid0(VALU_DEP_1)
	v_lshrrev_b32_e32 v6, 16, v6
	s_branch .LBB175_826
.LBB175_824:
	s_mov_b32 s34, -1
                                        ; implicit-def: $vgpr6
.LBB175_825:
	s_mov_b32 s52, 0
.LBB175_826:
	s_delay_alu instid0(SALU_CYCLE_1)
	s_and_b32 vcc_lo, exec_lo, s52
	s_cbranch_vccz .LBB175_844
; %bb.827:
	s_cmp_lt_i32 s0, 27
	s_cbranch_scc1 .LBB175_830
; %bb.828:
	s_cmp_gt_i32 s0, 27
	s_cbranch_scc0 .LBB175_831
; %bb.829:
	s_wait_loadcnt 0x0
	global_load_b32 v6, v[4:5], off
	s_mov_b32 s35, 0
	s_wait_loadcnt 0x0
	v_cvt_f32_u32_e32 v6, v6
	s_delay_alu instid0(VALU_DEP_1) | instskip(NEXT) | instid1(VALU_DEP_1)
	v_bfe_u32 v7, v6, 16, 1
	v_add3_u32 v6, v6, v7, 0x7fff
	s_delay_alu instid0(VALU_DEP_1)
	v_lshrrev_b32_e32 v6, 16, v6
	s_branch .LBB175_832
.LBB175_830:
	s_mov_b32 s35, -1
                                        ; implicit-def: $vgpr6
	s_branch .LBB175_835
.LBB175_831:
	s_mov_b32 s35, -1
                                        ; implicit-def: $vgpr6
.LBB175_832:
	s_delay_alu instid0(SALU_CYCLE_1)
	s_and_not1_b32 vcc_lo, exec_lo, s35
	s_cbranch_vccnz .LBB175_834
; %bb.833:
	s_wait_loadcnt 0x0
	global_load_u16 v6, v[4:5], off
	s_wait_loadcnt 0x0
	v_cvt_f32_u32_e32 v6, v6
	s_delay_alu instid0(VALU_DEP_1) | instskip(NEXT) | instid1(VALU_DEP_1)
	v_bfe_u32 v7, v6, 16, 1
	v_add3_u32 v6, v6, v7, 0x7fff
	s_delay_alu instid0(VALU_DEP_1)
	v_lshrrev_b32_e32 v6, 16, v6
.LBB175_834:
	s_mov_b32 s35, 0
.LBB175_835:
	s_delay_alu instid0(SALU_CYCLE_1)
	s_and_not1_b32 vcc_lo, exec_lo, s35
	s_cbranch_vccnz .LBB175_843
; %bb.836:
	s_wait_loadcnt 0x0
	global_load_u8 v6, v[4:5], off
	s_mov_b32 s35, 0
	s_mov_b32 s52, exec_lo
	s_wait_loadcnt 0x0
	v_cmpx_lt_i16_e32 0x7f, v6
	s_xor_b32 s52, exec_lo, s52
	s_cbranch_execz .LBB175_857
; %bb.837:
	s_mov_b32 s35, -1
	s_mov_b32 s53, exec_lo
	v_cmpx_eq_u16_e32 0x80, v6
; %bb.838:
	s_xor_b32 s35, exec_lo, -1
; %bb.839:
	s_or_b32 exec_lo, exec_lo, s53
	s_delay_alu instid0(SALU_CYCLE_1)
	s_and_b32 s35, s35, exec_lo
	s_or_saveexec_b32 s52, s52
	v_mov_b32_e32 v7, 0x7f800001
	s_xor_b32 exec_lo, exec_lo, s52
	s_cbranch_execnz .LBB175_858
.LBB175_840:
	s_or_b32 exec_lo, exec_lo, s52
	s_and_saveexec_b32 s52, s35
	s_cbranch_execz .LBB175_842
.LBB175_841:
	v_and_b32_e32 v7, 0xffff, v6
	s_delay_alu instid0(VALU_DEP_1) | instskip(SKIP_1) | instid1(VALU_DEP_2)
	v_and_b32_e32 v8, 7, v7
	v_bfe_u32 v11, v7, 3, 4
	v_clz_i32_u32_e32 v9, v8
	s_delay_alu instid0(VALU_DEP_2) | instskip(NEXT) | instid1(VALU_DEP_2)
	v_cmp_eq_u32_e32 vcc_lo, 0, v11
	v_min_u32_e32 v9, 32, v9
	s_delay_alu instid0(VALU_DEP_1) | instskip(NEXT) | instid1(VALU_DEP_1)
	v_subrev_nc_u32_e32 v10, 28, v9
	v_dual_lshlrev_b32 v7, v10, v7 :: v_dual_sub_nc_u32 v9, 29, v9
	s_delay_alu instid0(VALU_DEP_1) | instskip(NEXT) | instid1(VALU_DEP_1)
	v_dual_lshlrev_b32 v6, 24, v6 :: v_dual_bitop2_b32 v7, 7, v7 bitop3:0x40
	v_dual_cndmask_b32 v9, v11, v9, vcc_lo :: v_dual_cndmask_b32 v7, v8, v7, vcc_lo
	s_delay_alu instid0(VALU_DEP_2) | instskip(NEXT) | instid1(VALU_DEP_2)
	v_and_b32_e32 v6, 0x80000000, v6
	v_lshl_add_u32 v8, v9, 23, 0x3b800000
	s_delay_alu instid0(VALU_DEP_3) | instskip(NEXT) | instid1(VALU_DEP_1)
	v_lshlrev_b32_e32 v7, 20, v7
	v_or3_b32 v7, v6, v8, v7
.LBB175_842:
	s_or_b32 exec_lo, exec_lo, s52
	s_delay_alu instid0(VALU_DEP_1) | instskip(SKIP_1) | instid1(VALU_DEP_2)
	v_bfe_u32 v6, v7, 16, 1
	v_cmp_o_f32_e32 vcc_lo, v7, v7
	v_add3_u32 v6, v7, v6, 0x7fff
	s_delay_alu instid0(VALU_DEP_1) | instskip(NEXT) | instid1(VALU_DEP_1)
	v_lshrrev_b32_e32 v6, 16, v6
	v_cndmask_b32_e32 v6, 0x7fc0, v6, vcc_lo
.LBB175_843:
	s_mov_b32 s35, -1
.LBB175_844:
	s_mov_b32 s52, 0
.LBB175_845:
	s_delay_alu instid0(SALU_CYCLE_1)
	s_and_b32 vcc_lo, exec_lo, s52
	s_cbranch_vccz .LBB175_880
; %bb.846:
	s_cmp_gt_i32 s0, 22
	s_cbranch_scc0 .LBB175_856
; %bb.847:
	s_cmp_lt_i32 s0, 24
	s_cbranch_scc1 .LBB175_859
; %bb.848:
	s_cmp_gt_i32 s0, 24
	s_cbranch_scc0 .LBB175_860
; %bb.849:
	s_wait_loadcnt 0x0
	global_load_u8 v6, v[4:5], off
	s_mov_b32 s35, 0
	s_mov_b32 s52, exec_lo
	s_wait_loadcnt 0x0
	v_cmpx_lt_i16_e32 0x7f, v6
	s_xor_b32 s52, exec_lo, s52
	s_cbranch_execz .LBB175_872
; %bb.850:
	s_mov_b32 s35, -1
	s_mov_b32 s53, exec_lo
	v_cmpx_eq_u16_e32 0x80, v6
; %bb.851:
	s_xor_b32 s35, exec_lo, -1
; %bb.852:
	s_or_b32 exec_lo, exec_lo, s53
	s_delay_alu instid0(SALU_CYCLE_1)
	s_and_b32 s35, s35, exec_lo
	s_or_saveexec_b32 s52, s52
	v_mov_b32_e32 v7, 0x7f800001
	s_xor_b32 exec_lo, exec_lo, s52
	s_cbranch_execnz .LBB175_873
.LBB175_853:
	s_or_b32 exec_lo, exec_lo, s52
	s_and_saveexec_b32 s52, s35
	s_cbranch_execz .LBB175_855
.LBB175_854:
	v_and_b32_e32 v7, 0xffff, v6
	s_delay_alu instid0(VALU_DEP_1) | instskip(SKIP_1) | instid1(VALU_DEP_2)
	v_and_b32_e32 v8, 3, v7
	v_bfe_u32 v11, v7, 2, 5
	v_clz_i32_u32_e32 v9, v8
	s_delay_alu instid0(VALU_DEP_2) | instskip(NEXT) | instid1(VALU_DEP_2)
	v_cmp_eq_u32_e32 vcc_lo, 0, v11
	v_min_u32_e32 v9, 32, v9
	s_delay_alu instid0(VALU_DEP_1) | instskip(NEXT) | instid1(VALU_DEP_1)
	v_subrev_nc_u32_e32 v10, 29, v9
	v_dual_lshlrev_b32 v7, v10, v7 :: v_dual_sub_nc_u32 v9, 30, v9
	s_delay_alu instid0(VALU_DEP_1) | instskip(NEXT) | instid1(VALU_DEP_1)
	v_dual_lshlrev_b32 v6, 24, v6 :: v_dual_bitop2_b32 v7, 3, v7 bitop3:0x40
	v_dual_cndmask_b32 v9, v11, v9, vcc_lo :: v_dual_cndmask_b32 v7, v8, v7, vcc_lo
	s_delay_alu instid0(VALU_DEP_2) | instskip(NEXT) | instid1(VALU_DEP_2)
	v_and_b32_e32 v6, 0x80000000, v6
	v_lshl_add_u32 v8, v9, 23, 0x37800000
	s_delay_alu instid0(VALU_DEP_3) | instskip(NEXT) | instid1(VALU_DEP_1)
	v_lshlrev_b32_e32 v7, 21, v7
	v_or3_b32 v7, v6, v8, v7
.LBB175_855:
	s_or_b32 exec_lo, exec_lo, s52
	s_delay_alu instid0(VALU_DEP_1) | instskip(SKIP_2) | instid1(VALU_DEP_2)
	v_bfe_u32 v6, v7, 16, 1
	v_cmp_o_f32_e32 vcc_lo, v7, v7
	s_mov_b32 s35, 0
	v_add3_u32 v6, v7, v6, 0x7fff
	s_delay_alu instid0(VALU_DEP_1) | instskip(NEXT) | instid1(VALU_DEP_1)
	v_lshrrev_b32_e32 v6, 16, v6
	v_cndmask_b32_e32 v6, 0x7fc0, v6, vcc_lo
	s_branch .LBB175_861
.LBB175_856:
	s_mov_b32 s52, -1
                                        ; implicit-def: $vgpr6
	s_branch .LBB175_867
.LBB175_857:
	s_or_saveexec_b32 s52, s52
	v_mov_b32_e32 v7, 0x7f800001
	s_xor_b32 exec_lo, exec_lo, s52
	s_cbranch_execz .LBB175_840
.LBB175_858:
	v_cmp_ne_u16_e32 vcc_lo, 0, v6
	v_mov_b32_e32 v7, 0
	s_and_not1_b32 s35, s35, exec_lo
	s_and_b32 s53, vcc_lo, exec_lo
	s_delay_alu instid0(SALU_CYCLE_1)
	s_or_b32 s35, s35, s53
	s_or_b32 exec_lo, exec_lo, s52
	s_and_saveexec_b32 s52, s35
	s_cbranch_execnz .LBB175_841
	s_branch .LBB175_842
.LBB175_859:
	s_mov_b32 s35, -1
                                        ; implicit-def: $vgpr6
	s_branch .LBB175_864
.LBB175_860:
	s_mov_b32 s35, -1
                                        ; implicit-def: $vgpr6
.LBB175_861:
	s_delay_alu instid0(SALU_CYCLE_1)
	s_and_b32 vcc_lo, exec_lo, s35
	s_cbranch_vccz .LBB175_863
; %bb.862:
	s_wait_loadcnt 0x0
	global_load_u8 v6, v[4:5], off
	s_wait_loadcnt 0x0
	v_lshlrev_b32_e32 v6, 24, v6
	s_delay_alu instid0(VALU_DEP_1) | instskip(NEXT) | instid1(VALU_DEP_1)
	v_and_b32_e32 v7, 0x7f000000, v6
	v_clz_i32_u32_e32 v8, v7
	v_cmp_ne_u32_e32 vcc_lo, 0, v7
	v_add_nc_u32_e32 v10, 0x1000000, v7
	s_delay_alu instid0(VALU_DEP_3) | instskip(NEXT) | instid1(VALU_DEP_1)
	v_min_u32_e32 v8, 32, v8
	v_sub_nc_u32_e64 v8, v8, 4 clamp
	s_delay_alu instid0(VALU_DEP_1) | instskip(NEXT) | instid1(VALU_DEP_1)
	v_dual_lshlrev_b32 v9, v8, v7 :: v_dual_lshlrev_b32 v8, 23, v8
	v_lshrrev_b32_e32 v9, 4, v9
	s_delay_alu instid0(VALU_DEP_1) | instskip(NEXT) | instid1(VALU_DEP_1)
	v_dual_sub_nc_u32 v8, v9, v8 :: v_dual_ashrrev_i32 v9, 8, v10
	v_add_nc_u32_e32 v8, 0x3c000000, v8
	s_delay_alu instid0(VALU_DEP_1) | instskip(NEXT) | instid1(VALU_DEP_1)
	v_and_or_b32 v8, 0x7f800000, v9, v8
	v_cndmask_b32_e32 v7, 0, v8, vcc_lo
	s_delay_alu instid0(VALU_DEP_1) | instskip(SKIP_1) | instid1(VALU_DEP_2)
	v_and_or_b32 v6, 0x80000000, v6, v7
	v_bfe_u32 v7, v7, 16, 1
	v_cmp_o_f32_e32 vcc_lo, v6, v6
	s_delay_alu instid0(VALU_DEP_2) | instskip(NEXT) | instid1(VALU_DEP_1)
	v_add3_u32 v7, v6, v7, 0x7fff
	v_lshrrev_b32_e32 v7, 16, v7
	s_delay_alu instid0(VALU_DEP_1)
	v_cndmask_b32_e32 v6, 0x7fc0, v7, vcc_lo
.LBB175_863:
	s_mov_b32 s35, 0
.LBB175_864:
	s_delay_alu instid0(SALU_CYCLE_1)
	s_and_not1_b32 vcc_lo, exec_lo, s35
	s_cbranch_vccnz .LBB175_866
; %bb.865:
	s_wait_loadcnt 0x0
	global_load_u8 v6, v[4:5], off
	s_wait_loadcnt 0x0
	v_lshlrev_b32_e32 v7, 25, v6
	v_lshlrev_b16 v6, 8, v6
	s_delay_alu instid0(VALU_DEP_1) | instskip(SKIP_1) | instid1(VALU_DEP_2)
	v_and_or_b32 v9, 0x7f00, v6, 0.5
	v_bfe_i32 v6, v6, 0, 16
	v_dual_add_f32 v9, -0.5, v9 :: v_dual_lshrrev_b32 v8, 4, v7
	v_cmp_gt_u32_e32 vcc_lo, 0x8000000, v7
	s_delay_alu instid0(VALU_DEP_2) | instskip(NEXT) | instid1(VALU_DEP_1)
	v_or_b32_e32 v8, 0x70000000, v8
	v_mul_f32_e32 v8, 0x7800000, v8
	s_delay_alu instid0(VALU_DEP_1) | instskip(NEXT) | instid1(VALU_DEP_1)
	v_cndmask_b32_e32 v7, v8, v9, vcc_lo
	v_and_or_b32 v6, 0x80000000, v6, v7
	v_bfe_u32 v7, v7, 16, 1
	s_delay_alu instid0(VALU_DEP_2) | instskip(NEXT) | instid1(VALU_DEP_2)
	v_cmp_o_f32_e32 vcc_lo, v6, v6
	v_add3_u32 v7, v6, v7, 0x7fff
	s_delay_alu instid0(VALU_DEP_1) | instskip(NEXT) | instid1(VALU_DEP_1)
	v_lshrrev_b32_e32 v7, 16, v7
	v_cndmask_b32_e32 v6, 0x7fc0, v7, vcc_lo
.LBB175_866:
	s_mov_b32 s52, 0
	s_mov_b32 s35, -1
.LBB175_867:
	s_and_not1_b32 vcc_lo, exec_lo, s52
	s_cbranch_vccnz .LBB175_880
; %bb.868:
	s_cmp_gt_i32 s0, 14
	s_cbranch_scc0 .LBB175_871
; %bb.869:
	s_cmp_eq_u32 s0, 15
	s_cbranch_scc0 .LBB175_874
; %bb.870:
	s_wait_loadcnt 0x0
	global_load_u16 v6, v[4:5], off
	s_mov_b32 s35, -1
	s_mov_b32 s34, 0
	s_branch .LBB175_875
.LBB175_871:
	s_mov_b32 s52, -1
                                        ; implicit-def: $vgpr6
	s_branch .LBB175_876
.LBB175_872:
	s_or_saveexec_b32 s52, s52
	v_mov_b32_e32 v7, 0x7f800001
	s_xor_b32 exec_lo, exec_lo, s52
	s_cbranch_execz .LBB175_853
.LBB175_873:
	v_cmp_ne_u16_e32 vcc_lo, 0, v6
	v_mov_b32_e32 v7, 0
	s_and_not1_b32 s35, s35, exec_lo
	s_and_b32 s53, vcc_lo, exec_lo
	s_delay_alu instid0(SALU_CYCLE_1)
	s_or_b32 s35, s35, s53
	s_or_b32 exec_lo, exec_lo, s52
	s_and_saveexec_b32 s52, s35
	s_cbranch_execnz .LBB175_854
	s_branch .LBB175_855
.LBB175_874:
	s_mov_b32 s34, -1
                                        ; implicit-def: $vgpr6
.LBB175_875:
	s_mov_b32 s52, 0
.LBB175_876:
	s_delay_alu instid0(SALU_CYCLE_1)
	s_and_b32 vcc_lo, exec_lo, s52
	s_cbranch_vccz .LBB175_880
; %bb.877:
	s_cmp_eq_u32 s0, 11
	s_cbranch_scc0 .LBB175_879
; %bb.878:
	s_wait_loadcnt 0x0
	global_load_u8 v6, v[4:5], off
	s_mov_b32 s34, 0
	s_mov_b32 s35, -1
	s_wait_loadcnt 0x0
	v_cmp_ne_u16_e32 vcc_lo, 0, v6
	v_cndmask_b32_e64 v6, 0, 1.0, vcc_lo
	s_delay_alu instid0(VALU_DEP_1)
	v_lshrrev_b32_e32 v6, 16, v6
	s_branch .LBB175_880
.LBB175_879:
	s_mov_b32 s34, -1
                                        ; implicit-def: $vgpr6
.LBB175_880:
	s_mov_b32 s52, 0
.LBB175_881:
	s_delay_alu instid0(SALU_CYCLE_1)
	s_and_b32 vcc_lo, exec_lo, s52
	s_cbranch_vccz .LBB175_930
; %bb.882:
	s_cmp_lt_i32 s0, 5
	s_cbranch_scc1 .LBB175_887
; %bb.883:
	s_cmp_lt_i32 s0, 8
	s_cbranch_scc1 .LBB175_888
	;; [unrolled: 3-line block ×3, first 2 shown]
; %bb.885:
	s_cmp_gt_i32 s0, 9
	s_cbranch_scc0 .LBB175_890
; %bb.886:
	s_wait_loadcnt 0x0
	global_load_b64 v[6:7], v[4:5], off
	s_mov_b32 s35, 0
	s_wait_loadcnt 0x0
	v_cvt_f32_f64_e32 v6, v[6:7]
	s_delay_alu instid0(VALU_DEP_1) | instskip(SKIP_1) | instid1(VALU_DEP_2)
	v_bfe_u32 v7, v6, 16, 1
	v_cmp_o_f32_e32 vcc_lo, v6, v6
	v_add3_u32 v7, v6, v7, 0x7fff
	s_delay_alu instid0(VALU_DEP_1) | instskip(NEXT) | instid1(VALU_DEP_1)
	v_lshrrev_b32_e32 v7, 16, v7
	v_cndmask_b32_e32 v6, 0x7fc0, v7, vcc_lo
	s_branch .LBB175_891
.LBB175_887:
	s_mov_b32 s35, -1
                                        ; implicit-def: $vgpr6
	s_branch .LBB175_909
.LBB175_888:
	s_mov_b32 s35, -1
                                        ; implicit-def: $vgpr6
	s_branch .LBB175_897
.LBB175_889:
	s_mov_b32 s35, -1
                                        ; implicit-def: $vgpr6
	s_branch .LBB175_894
.LBB175_890:
	s_mov_b32 s35, -1
                                        ; implicit-def: $vgpr6
.LBB175_891:
	s_delay_alu instid0(SALU_CYCLE_1)
	s_and_not1_b32 vcc_lo, exec_lo, s35
	s_cbranch_vccnz .LBB175_893
; %bb.892:
	s_wait_loadcnt 0x0
	global_load_b32 v6, v[4:5], off
	s_wait_loadcnt 0x0
	v_bfe_u32 v7, v6, 16, 1
	v_cmp_o_f32_e32 vcc_lo, v6, v6
	s_delay_alu instid0(VALU_DEP_2) | instskip(NEXT) | instid1(VALU_DEP_1)
	v_add3_u32 v7, v6, v7, 0x7fff
	v_lshrrev_b32_e32 v7, 16, v7
	s_delay_alu instid0(VALU_DEP_1)
	v_cndmask_b32_e32 v6, 0x7fc0, v7, vcc_lo
.LBB175_893:
	s_mov_b32 s35, 0
.LBB175_894:
	s_delay_alu instid0(SALU_CYCLE_1)
	s_and_not1_b32 vcc_lo, exec_lo, s35
	s_cbranch_vccnz .LBB175_896
; %bb.895:
	s_wait_loadcnt 0x0
	global_load_b32 v6, v[4:5], off
	s_wait_loadcnt 0x0
	v_cvt_f32_f16_e32 v7, v6
	v_cmp_o_f16_e32 vcc_lo, v6, v6
	s_delay_alu instid0(VALU_DEP_2) | instskip(NEXT) | instid1(VALU_DEP_1)
	v_bfe_u32 v8, v7, 16, 1
	v_add3_u32 v7, v7, v8, 0x7fff
	s_delay_alu instid0(VALU_DEP_1) | instskip(NEXT) | instid1(VALU_DEP_1)
	v_lshrrev_b32_e32 v7, 16, v7
	v_cndmask_b32_e32 v6, 0x7fc0, v7, vcc_lo
.LBB175_896:
	s_mov_b32 s35, 0
.LBB175_897:
	s_delay_alu instid0(SALU_CYCLE_1)
	s_and_not1_b32 vcc_lo, exec_lo, s35
	s_cbranch_vccnz .LBB175_908
; %bb.898:
	s_cmp_lt_i32 s0, 6
	s_cbranch_scc1 .LBB175_901
; %bb.899:
	s_cmp_gt_i32 s0, 6
	s_cbranch_scc0 .LBB175_902
; %bb.900:
	s_wait_loadcnt 0x0
	global_load_b64 v[6:7], v[4:5], off
	s_mov_b32 s35, 0
	s_wait_loadcnt 0x0
	v_cvt_f32_f64_e32 v6, v[6:7]
	s_delay_alu instid0(VALU_DEP_1) | instskip(SKIP_1) | instid1(VALU_DEP_2)
	v_bfe_u32 v7, v6, 16, 1
	v_cmp_o_f32_e32 vcc_lo, v6, v6
	v_add3_u32 v7, v6, v7, 0x7fff
	s_delay_alu instid0(VALU_DEP_1) | instskip(NEXT) | instid1(VALU_DEP_1)
	v_lshrrev_b32_e32 v7, 16, v7
	v_cndmask_b32_e32 v6, 0x7fc0, v7, vcc_lo
	s_branch .LBB175_903
.LBB175_901:
	s_mov_b32 s35, -1
                                        ; implicit-def: $vgpr6
	s_branch .LBB175_906
.LBB175_902:
	s_mov_b32 s35, -1
                                        ; implicit-def: $vgpr6
.LBB175_903:
	s_delay_alu instid0(SALU_CYCLE_1)
	s_and_not1_b32 vcc_lo, exec_lo, s35
	s_cbranch_vccnz .LBB175_905
; %bb.904:
	s_wait_loadcnt 0x0
	global_load_b32 v6, v[4:5], off
	s_wait_loadcnt 0x0
	v_bfe_u32 v7, v6, 16, 1
	v_cmp_o_f32_e32 vcc_lo, v6, v6
	s_delay_alu instid0(VALU_DEP_2) | instskip(NEXT) | instid1(VALU_DEP_1)
	v_add3_u32 v7, v6, v7, 0x7fff
	v_lshrrev_b32_e32 v7, 16, v7
	s_delay_alu instid0(VALU_DEP_1)
	v_cndmask_b32_e32 v6, 0x7fc0, v7, vcc_lo
.LBB175_905:
	s_mov_b32 s35, 0
.LBB175_906:
	s_delay_alu instid0(SALU_CYCLE_1)
	s_and_not1_b32 vcc_lo, exec_lo, s35
	s_cbranch_vccnz .LBB175_908
; %bb.907:
	s_wait_loadcnt 0x0
	global_load_u16 v6, v[4:5], off
	s_wait_loadcnt 0x0
	v_cvt_f32_f16_e32 v7, v6
	v_cmp_o_f16_e32 vcc_lo, v6, v6
	s_delay_alu instid0(VALU_DEP_2) | instskip(NEXT) | instid1(VALU_DEP_1)
	v_bfe_u32 v8, v7, 16, 1
	v_add3_u32 v7, v7, v8, 0x7fff
	s_delay_alu instid0(VALU_DEP_1) | instskip(NEXT) | instid1(VALU_DEP_1)
	v_lshrrev_b32_e32 v7, 16, v7
	v_cndmask_b32_e32 v6, 0x7fc0, v7, vcc_lo
.LBB175_908:
	s_mov_b32 s35, 0
.LBB175_909:
	s_delay_alu instid0(SALU_CYCLE_1)
	s_and_not1_b32 vcc_lo, exec_lo, s35
	s_cbranch_vccnz .LBB175_929
; %bb.910:
	s_cmp_lt_i32 s0, 2
	s_cbranch_scc1 .LBB175_914
; %bb.911:
	s_cmp_lt_i32 s0, 3
	s_cbranch_scc1 .LBB175_915
; %bb.912:
	s_cmp_gt_i32 s0, 3
	s_cbranch_scc0 .LBB175_916
; %bb.913:
	s_wait_loadcnt 0x0
	global_load_b64 v[6:7], v[4:5], off
	s_mov_b32 s35, 0
	s_wait_loadcnt 0x0
	v_xor_b32_e32 v8, v6, v7
	v_cls_i32_e32 v9, v7
	s_delay_alu instid0(VALU_DEP_2) | instskip(NEXT) | instid1(VALU_DEP_1)
	v_ashrrev_i32_e32 v8, 31, v8
	v_add_nc_u32_e32 v8, 32, v8
	s_delay_alu instid0(VALU_DEP_1) | instskip(NEXT) | instid1(VALU_DEP_1)
	v_add_min_u32_e64 v8, v9, -1, v8
	v_lshlrev_b64_e32 v[6:7], v8, v[6:7]
	s_delay_alu instid0(VALU_DEP_1) | instskip(NEXT) | instid1(VALU_DEP_1)
	v_min_u32_e32 v6, 1, v6
	v_dual_sub_nc_u32 v7, 32, v8 :: v_dual_bitop2_b32 v6, v7, v6 bitop3:0x54
	s_delay_alu instid0(VALU_DEP_1) | instskip(NEXT) | instid1(VALU_DEP_1)
	v_cvt_f32_i32_e32 v6, v6
	v_ldexp_f32 v6, v6, v7
	s_delay_alu instid0(VALU_DEP_1) | instskip(NEXT) | instid1(VALU_DEP_1)
	v_bfe_u32 v7, v6, 16, 1
	v_add3_u32 v6, v6, v7, 0x7fff
	s_delay_alu instid0(VALU_DEP_1)
	v_lshrrev_b32_e32 v6, 16, v6
	s_branch .LBB175_917
.LBB175_914:
	s_mov_b32 s35, -1
                                        ; implicit-def: $vgpr6
	s_branch .LBB175_923
.LBB175_915:
	s_mov_b32 s35, -1
                                        ; implicit-def: $vgpr6
	s_branch .LBB175_920
.LBB175_916:
	s_mov_b32 s35, -1
                                        ; implicit-def: $vgpr6
.LBB175_917:
	s_delay_alu instid0(SALU_CYCLE_1)
	s_and_not1_b32 vcc_lo, exec_lo, s35
	s_cbranch_vccnz .LBB175_919
; %bb.918:
	s_wait_loadcnt 0x0
	global_load_b32 v6, v[4:5], off
	s_wait_loadcnt 0x0
	v_cvt_f32_i32_e32 v6, v6
	s_delay_alu instid0(VALU_DEP_1) | instskip(NEXT) | instid1(VALU_DEP_1)
	v_bfe_u32 v7, v6, 16, 1
	v_add3_u32 v6, v6, v7, 0x7fff
	s_delay_alu instid0(VALU_DEP_1)
	v_lshrrev_b32_e32 v6, 16, v6
.LBB175_919:
	s_mov_b32 s35, 0
.LBB175_920:
	s_delay_alu instid0(SALU_CYCLE_1)
	s_and_not1_b32 vcc_lo, exec_lo, s35
	s_cbranch_vccnz .LBB175_922
; %bb.921:
	s_wait_loadcnt 0x0
	global_load_i16 v6, v[4:5], off
	s_wait_loadcnt 0x0
	v_cvt_f32_i32_e32 v6, v6
	s_delay_alu instid0(VALU_DEP_1) | instskip(NEXT) | instid1(VALU_DEP_1)
	v_bfe_u32 v7, v6, 16, 1
	v_add3_u32 v6, v6, v7, 0x7fff
	s_delay_alu instid0(VALU_DEP_1)
	v_lshrrev_b32_e32 v6, 16, v6
.LBB175_922:
	s_mov_b32 s35, 0
.LBB175_923:
	s_delay_alu instid0(SALU_CYCLE_1)
	s_and_not1_b32 vcc_lo, exec_lo, s35
	s_cbranch_vccnz .LBB175_929
; %bb.924:
	s_cmp_gt_i32 s0, 0
	s_mov_b32 s0, 0
	s_cbranch_scc0 .LBB175_926
; %bb.925:
	s_wait_loadcnt 0x0
	global_load_i8 v6, v[4:5], off
	s_wait_loadcnt 0x0
	v_cvt_f32_i32_e32 v6, v6
	s_delay_alu instid0(VALU_DEP_1) | instskip(NEXT) | instid1(VALU_DEP_1)
	v_bfe_u32 v7, v6, 16, 1
	v_add3_u32 v6, v6, v7, 0x7fff
	s_delay_alu instid0(VALU_DEP_1)
	v_lshrrev_b32_e32 v6, 16, v6
	s_branch .LBB175_927
.LBB175_926:
	s_mov_b32 s0, -1
                                        ; implicit-def: $vgpr6
.LBB175_927:
	s_delay_alu instid0(SALU_CYCLE_1)
	s_and_not1_b32 vcc_lo, exec_lo, s0
	s_cbranch_vccnz .LBB175_929
; %bb.928:
	global_load_u8 v4, v[4:5], off
	s_wait_loadcnt 0x0
	v_cvt_f32_ubyte0_e32 v4, v4
	s_delay_alu instid0(VALU_DEP_1) | instskip(NEXT) | instid1(VALU_DEP_1)
	v_bfe_u32 v5, v4, 16, 1
	v_add3_u32 v4, v4, v5, 0x7fff
	s_delay_alu instid0(VALU_DEP_1)
	v_lshrrev_b32_e32 v6, 16, v4
.LBB175_929:
	s_mov_b32 s35, -1
.LBB175_930:
	s_delay_alu instid0(SALU_CYCLE_1)
	s_and_not1_b32 vcc_lo, exec_lo, s35
	s_cbranch_vccnz .LBB175_938
; %bb.931:
	s_wait_loadcnt 0x0
	v_dual_lshlrev_b32 v3, 16, v3 :: v_dual_lshlrev_b32 v5, 16, v6
	v_mov_b32_e32 v6, s21
	s_and_b32 s35, s1, 0xff
	s_delay_alu instid0(SALU_CYCLE_1) | instskip(NEXT) | instid1(VALU_DEP_2)
	s_cmp_lt_i32 s35, 11
	v_mul_f32_e32 v3, s26, v3
	s_delay_alu instid0(VALU_DEP_1) | instskip(NEXT) | instid1(VALU_DEP_1)
	v_bfe_u32 v4, v3, 16, 1
	v_add3_u32 v4, v3, v4, 0x7fff
	s_delay_alu instid0(VALU_DEP_1) | instskip(SKIP_2) | instid1(VALU_DEP_3)
	v_and_b32_e32 v7, 0xffff0000, v4
	v_lshlrev_b32_e32 v4, 16, v1
	v_cmp_o_f32_e32 vcc_lo, v3, v3
	v_cndmask_b32_e32 v7, 0x7fc00000, v7, vcc_lo
	s_delay_alu instid0(VALU_DEP_1) | instskip(NEXT) | instid1(VALU_DEP_1)
	v_pk_mul_f32 v[4:5], v[6:7], v[4:5]
	v_dual_lshrrev_b32 v1, 16, v5 :: v_dual_lshrrev_b32 v3, 16, v4
	v_cmp_o_f32_e32 vcc_lo, v5, v5
	s_delay_alu instid0(VALU_DEP_2) | instskip(NEXT) | instid1(VALU_DEP_3)
	v_and_b32_e32 v1, 1, v1
	v_and_b32_e32 v3, 1, v3
	s_delay_alu instid0(VALU_DEP_2) | instskip(NEXT) | instid1(VALU_DEP_2)
	v_add3_u32 v1, v5, v1, 0x7fff
	v_add3_u32 v3, v4, v3, 0x7fff
	s_delay_alu instid0(VALU_DEP_2) | instskip(NEXT) | instid1(VALU_DEP_2)
	v_and_b32_e32 v1, 0xffff0000, v1
	v_and_b32_e32 v3, 0xffff0000, v3
	s_delay_alu instid0(VALU_DEP_2) | instskip(SKIP_1) | instid1(VALU_DEP_3)
	v_cndmask_b32_e32 v1, 0x7fc00000, v1, vcc_lo
	v_cmp_o_f32_e32 vcc_lo, v4, v4
	v_cndmask_b32_e32 v3, 0x7fc00000, v3, vcc_lo
	s_delay_alu instid0(VALU_DEP_1) | instskip(NEXT) | instid1(VALU_DEP_1)
	v_add_f32_e32 v1, v3, v1
	v_bfe_u32 v3, v1, 16, 1
	s_delay_alu instid0(VALU_DEP_1) | instskip(SKIP_2) | instid1(VALU_DEP_3)
	v_add3_u32 v4, v1, v3, 0x7fff
	v_mov_b32_e32 v3, 0
	v_cmp_o_f32_e32 vcc_lo, v1, v1
	v_lshrrev_b32_e32 v4, 16, v4
	s_delay_alu instid0(VALU_DEP_3) | instskip(NEXT) | instid1(VALU_DEP_2)
	v_add_nc_u64_e32 v[2:3], s[4:5], v[2:3]
	v_cndmask_b32_e32 v1, 0x7fc0, v4, vcc_lo
	s_cbranch_scc1 .LBB175_939
; %bb.932:
	s_and_b32 s52, 0xffff, s35
	s_delay_alu instid0(SALU_CYCLE_1)
	s_cmp_gt_i32 s52, 25
	s_cbranch_scc0 .LBB175_940
; %bb.933:
	s_cmp_gt_i32 s52, 28
	s_cbranch_scc0 .LBB175_941
; %bb.934:
	;; [unrolled: 3-line block ×4, first 2 shown]
	s_mov_b32 s54, 0
	s_mov_b32 s0, -1
	s_cmp_eq_u32 s52, 46
	s_mov_b32 s53, 0
	s_cbranch_scc0 .LBB175_944
; %bb.937:
	v_and_b32_e32 v4, 0xffff, v1
	s_mov_b32 s53, -1
	s_mov_b32 s0, 0
	global_store_b32 v[2:3], v4, off
	s_branch .LBB175_944
.LBB175_938:
	s_mov_b32 s35, 0
	s_mov_b32 s0, s45
	s_branch .LBB175_1055
.LBB175_939:
	s_mov_b32 s52, -1
	s_mov_b32 s53, 0
	s_mov_b32 s0, s45
	s_branch .LBB175_1013
.LBB175_940:
	s_mov_b32 s54, -1
	s_mov_b32 s53, 0
	s_mov_b32 s0, s45
	s_branch .LBB175_971
.LBB175_941:
	s_mov_b32 s54, -1
	s_mov_b32 s53, 0
	s_mov_b32 s0, s45
	s_branch .LBB175_954
.LBB175_942:
	s_mov_b32 s54, -1
	s_mov_b32 s53, 0
	s_mov_b32 s0, s45
	s_branch .LBB175_950
.LBB175_943:
	s_mov_b32 s54, -1
	s_mov_b32 s53, 0
	s_mov_b32 s0, s45
.LBB175_944:
	s_and_b32 vcc_lo, exec_lo, s54
	s_cbranch_vccz .LBB175_949
; %bb.945:
	s_cmp_eq_u32 s52, 44
	s_mov_b32 s0, -1
	s_cbranch_scc0 .LBB175_949
; %bb.946:
	s_wait_xcnt 0x0
	v_and_b32_e32 v4, 0xffff, v1
	v_mov_b32_e32 v5, 0xff
	s_mov_b32 s53, exec_lo
	s_delay_alu instid0(VALU_DEP_2) | instskip(NEXT) | instid1(VALU_DEP_1)
	v_bfe_u32 v6, v4, 7, 8
	v_cmpx_ne_u32_e32 0xff, v6
	s_cbranch_execz .LBB175_948
; %bb.947:
	v_dual_lshlrev_b32 v5, 16, v4 :: v_dual_bitop2_b32 v7, 64, v4 bitop3:0x40
	v_lshrrev_b32_e32 v4, 7, v4
	s_delay_alu instid0(VALU_DEP_2) | instskip(NEXT) | instid1(VALU_DEP_3)
	v_and_or_b32 v5, 0x3f0000, v5, v6
	v_cmp_ne_u32_e32 vcc_lo, 0, v7
	s_delay_alu instid0(VALU_DEP_2) | instskip(SKIP_1) | instid1(SALU_CYCLE_1)
	v_cmp_ne_u32_e64 s0, 0, v5
	s_and_b32 s0, vcc_lo, s0
	v_cndmask_b32_e64 v5, 0, 1, s0
	s_delay_alu instid0(VALU_DEP_1)
	v_add_nc_u32_e32 v5, v4, v5
.LBB175_948:
	s_or_b32 exec_lo, exec_lo, s53
	s_mov_b32 s53, -1
	s_mov_b32 s0, 0
	global_store_b8 v[2:3], v5, off
.LBB175_949:
	s_mov_b32 s54, 0
.LBB175_950:
	s_delay_alu instid0(SALU_CYCLE_1)
	s_and_b32 vcc_lo, exec_lo, s54
	s_cbranch_vccz .LBB175_953
; %bb.951:
	s_cmp_eq_u32 s52, 29
	s_mov_b32 s0, -1
	s_cbranch_scc0 .LBB175_953
; %bb.952:
	s_wait_xcnt 0x0
	v_lshlrev_b32_e32 v4, 16, v1
	s_mov_b32 s53, -1
	s_mov_b32 s0, 0
	s_mov_b32 s54, 0
	s_delay_alu instid0(VALU_DEP_1) | instskip(NEXT) | instid1(VALU_DEP_1)
	v_trunc_f32_e32 v4, v4
	v_mul_f32_e32 v5, 0x2f800000, v4
	s_delay_alu instid0(VALU_DEP_1) | instskip(NEXT) | instid1(VALU_DEP_1)
	v_floor_f32_e32 v5, v5
	v_fmamk_f32 v4, v5, 0xcf800000, v4
	v_cvt_u32_f32_e32 v5, v5
	s_delay_alu instid0(VALU_DEP_2)
	v_cvt_u32_f32_e32 v4, v4
	global_store_b64 v[2:3], v[4:5], off
	s_branch .LBB175_954
.LBB175_953:
	s_mov_b32 s54, 0
.LBB175_954:
	s_delay_alu instid0(SALU_CYCLE_1)
	s_and_b32 vcc_lo, exec_lo, s54
	s_cbranch_vccz .LBB175_970
; %bb.955:
	s_cmp_lt_i32 s52, 27
	s_mov_b32 s53, -1
	s_cbranch_scc1 .LBB175_961
; %bb.956:
	s_cmp_gt_i32 s52, 27
	s_cbranch_scc0 .LBB175_958
; %bb.957:
	s_wait_xcnt 0x0
	v_lshlrev_b32_e32 v4, 16, v1
	s_mov_b32 s53, 0
	s_delay_alu instid0(VALU_DEP_1)
	v_cvt_u32_f32_e32 v4, v4
	global_store_b32 v[2:3], v4, off
.LBB175_958:
	s_and_not1_b32 vcc_lo, exec_lo, s53
	s_cbranch_vccnz .LBB175_960
; %bb.959:
	s_wait_xcnt 0x0
	v_lshlrev_b32_e32 v4, 16, v1
	s_delay_alu instid0(VALU_DEP_1)
	v_cvt_u32_f32_e32 v4, v4
	global_store_b16 v[2:3], v4, off
.LBB175_960:
	s_mov_b32 s53, 0
.LBB175_961:
	s_delay_alu instid0(SALU_CYCLE_1)
	s_and_not1_b32 vcc_lo, exec_lo, s53
	s_cbranch_vccnz .LBB175_969
; %bb.962:
	v_dual_mov_b32 v7, 0x80 :: v_dual_lshlrev_b32 v6, 16, v1
	s_mov_b32 s53, exec_lo
	s_wait_xcnt 0x0
	s_delay_alu instid0(VALU_DEP_1) | instskip(NEXT) | instid1(VALU_DEP_1)
	v_and_b32_e32 v5, 0x7fffffff, v6
	v_cmpx_gt_u32_e32 0x43800000, v5
	s_cbranch_execz .LBB175_968
; %bb.963:
	v_and_b32_e32 v4, 0xffff, v1
	v_cmp_lt_u32_e32 vcc_lo, 0x3bffffff, v5
	s_mov_b32 s54, 0
                                        ; implicit-def: $vgpr5
	s_and_saveexec_b32 s55, vcc_lo
	s_delay_alu instid0(SALU_CYCLE_1)
	s_xor_b32 s55, exec_lo, s55
	s_cbranch_execz .LBB175_1213
; %bb.964:
	v_bfe_u32 v5, v4, 4, 1
	s_mov_b32 s54, exec_lo
	s_delay_alu instid0(VALU_DEP_1) | instskip(NEXT) | instid1(VALU_DEP_1)
	v_add3_u32 v5, v6, v5, 0x487ffff
                                        ; implicit-def: $vgpr6
	v_lshrrev_b32_e32 v5, 20, v5
	s_and_not1_saveexec_b32 s55, s55
	s_cbranch_execnz .LBB175_1214
.LBB175_965:
	s_or_b32 exec_lo, exec_lo, s55
	v_mov_b32_e32 v7, 0
	s_and_saveexec_b32 s55, s54
.LBB175_966:
	v_lshrrev_b32_e32 v4, 8, v4
	s_delay_alu instid0(VALU_DEP_1)
	v_and_or_b32 v7, 0x80, v4, v5
.LBB175_967:
	s_or_b32 exec_lo, exec_lo, s55
.LBB175_968:
	s_delay_alu instid0(SALU_CYCLE_1)
	s_or_b32 exec_lo, exec_lo, s53
	global_store_b8 v[2:3], v7, off
.LBB175_969:
	s_mov_b32 s53, -1
.LBB175_970:
	s_mov_b32 s54, 0
.LBB175_971:
	s_delay_alu instid0(SALU_CYCLE_1)
	s_and_b32 vcc_lo, exec_lo, s54
	s_cbranch_vccz .LBB175_1012
; %bb.972:
	s_cmp_gt_i32 s52, 22
	s_mov_b32 s54, -1
	s_cbranch_scc0 .LBB175_1004
; %bb.973:
	s_cmp_lt_i32 s52, 24
	s_mov_b32 s53, -1
	s_cbranch_scc1 .LBB175_993
; %bb.974:
	s_cmp_gt_i32 s52, 24
	s_cbranch_scc0 .LBB175_982
; %bb.975:
	s_wait_xcnt 0x0
	v_dual_mov_b32 v7, 0x80 :: v_dual_lshlrev_b32 v6, 16, v1
	s_mov_b32 s53, exec_lo
	s_delay_alu instid0(VALU_DEP_1) | instskip(NEXT) | instid1(VALU_DEP_1)
	v_and_b32_e32 v5, 0x7fffffff, v6
	v_cmpx_gt_u32_e32 0x47800000, v5
	s_cbranch_execz .LBB175_981
; %bb.976:
	v_and_b32_e32 v4, 0xffff, v1
	v_cmp_lt_u32_e32 vcc_lo, 0x37ffffff, v5
	s_mov_b32 s54, 0
                                        ; implicit-def: $vgpr5
	s_and_saveexec_b32 s55, vcc_lo
	s_delay_alu instid0(SALU_CYCLE_1)
	s_xor_b32 s55, exec_lo, s55
	s_cbranch_execz .LBB175_1345
; %bb.977:
	v_bfe_u32 v5, v4, 5, 1
	s_mov_b32 s54, exec_lo
	s_delay_alu instid0(VALU_DEP_1) | instskip(NEXT) | instid1(VALU_DEP_1)
	v_add3_u32 v5, v6, v5, 0x88fffff
                                        ; implicit-def: $vgpr6
	v_lshrrev_b32_e32 v5, 21, v5
	s_and_not1_saveexec_b32 s55, s55
	s_cbranch_execnz .LBB175_1346
.LBB175_978:
	s_or_b32 exec_lo, exec_lo, s55
	v_mov_b32_e32 v7, 0
	s_and_saveexec_b32 s55, s54
.LBB175_979:
	v_lshrrev_b32_e32 v4, 8, v4
	s_delay_alu instid0(VALU_DEP_1)
	v_and_or_b32 v7, 0x80, v4, v5
.LBB175_980:
	s_or_b32 exec_lo, exec_lo, s55
.LBB175_981:
	s_delay_alu instid0(SALU_CYCLE_1)
	s_or_b32 exec_lo, exec_lo, s53
	s_mov_b32 s53, 0
	global_store_b8 v[2:3], v7, off
.LBB175_982:
	s_and_b32 vcc_lo, exec_lo, s53
	s_cbranch_vccz .LBB175_992
; %bb.983:
	v_lshlrev_b32_e32 v6, 16, v1
	s_wait_xcnt 0x0
	v_and_b32_e32 v4, 0xffff, v1
	s_mov_b32 s53, exec_lo
                                        ; implicit-def: $vgpr5
	s_delay_alu instid0(VALU_DEP_2) | instskip(NEXT) | instid1(VALU_DEP_1)
	v_and_b32_e32 v7, 0x7fffffff, v6
	v_cmpx_gt_u32_e32 0x43f00000, v7
	s_xor_b32 s53, exec_lo, s53
	s_cbranch_execz .LBB175_989
; %bb.984:
	s_mov_b32 s54, exec_lo
                                        ; implicit-def: $vgpr5
	v_cmpx_lt_u32_e32 0x3c7fffff, v7
	s_xor_b32 s54, exec_lo, s54
; %bb.985:
	v_bfe_u32 v5, v4, 4, 1
	s_delay_alu instid0(VALU_DEP_1) | instskip(NEXT) | instid1(VALU_DEP_1)
	v_add3_u32 v5, v6, v5, 0x407ffff
	v_and_b32_e32 v6, 0xff00000, v5
	v_lshrrev_b32_e32 v5, 20, v5
	s_delay_alu instid0(VALU_DEP_2) | instskip(NEXT) | instid1(VALU_DEP_2)
	v_cmp_ne_u32_e32 vcc_lo, 0x7f00000, v6
                                        ; implicit-def: $vgpr6
	v_cndmask_b32_e32 v5, 0x7e, v5, vcc_lo
; %bb.986:
	s_and_not1_saveexec_b32 s54, s54
; %bb.987:
	v_add_f32_e64 v5, 0x46800000, |v6|
; %bb.988:
	s_or_b32 exec_lo, exec_lo, s54
                                        ; implicit-def: $vgpr7
.LBB175_989:
	s_and_not1_saveexec_b32 s53, s53
; %bb.990:
	v_mov_b32_e32 v5, 0x7f
	v_cmp_lt_u32_e32 vcc_lo, 0x7f800000, v7
	s_delay_alu instid0(VALU_DEP_2)
	v_cndmask_b32_e32 v5, 0x7e, v5, vcc_lo
; %bb.991:
	s_or_b32 exec_lo, exec_lo, s53
	v_lshrrev_b32_e32 v4, 8, v4
	s_delay_alu instid0(VALU_DEP_1)
	v_and_or_b32 v4, 0x80, v4, v5
	global_store_b8 v[2:3], v4, off
.LBB175_992:
	s_mov_b32 s53, 0
.LBB175_993:
	s_delay_alu instid0(SALU_CYCLE_1)
	s_and_not1_b32 vcc_lo, exec_lo, s53
	s_cbranch_vccnz .LBB175_1003
; %bb.994:
	v_lshlrev_b32_e32 v6, 16, v1
	s_wait_xcnt 0x0
	v_and_b32_e32 v4, 0xffff, v1
	s_mov_b32 s53, exec_lo
                                        ; implicit-def: $vgpr5
	s_delay_alu instid0(VALU_DEP_2) | instskip(NEXT) | instid1(VALU_DEP_1)
	v_and_b32_e32 v7, 0x7fffffff, v6
	v_cmpx_gt_u32_e32 0x47800000, v7
	s_xor_b32 s53, exec_lo, s53
	s_cbranch_execz .LBB175_1000
; %bb.995:
	s_mov_b32 s54, exec_lo
                                        ; implicit-def: $vgpr5
	v_cmpx_lt_u32_e32 0x387fffff, v7
	s_xor_b32 s54, exec_lo, s54
; %bb.996:
	v_bfe_u32 v5, v4, 5, 1
	s_delay_alu instid0(VALU_DEP_1) | instskip(NEXT) | instid1(VALU_DEP_1)
	v_add3_u32 v5, v6, v5, 0x80fffff
                                        ; implicit-def: $vgpr6
	v_lshrrev_b32_e32 v5, 21, v5
; %bb.997:
	s_and_not1_saveexec_b32 s54, s54
; %bb.998:
	v_add_f32_e64 v5, 0x43000000, |v6|
; %bb.999:
	s_or_b32 exec_lo, exec_lo, s54
                                        ; implicit-def: $vgpr7
.LBB175_1000:
	s_and_not1_saveexec_b32 s53, s53
; %bb.1001:
	v_mov_b32_e32 v5, 0x7f
	v_cmp_lt_u32_e32 vcc_lo, 0x7f800000, v7
	s_delay_alu instid0(VALU_DEP_2)
	v_cndmask_b32_e32 v5, 0x7c, v5, vcc_lo
; %bb.1002:
	s_or_b32 exec_lo, exec_lo, s53
	v_lshrrev_b32_e32 v4, 8, v4
	s_delay_alu instid0(VALU_DEP_1)
	v_and_or_b32 v4, 0x80, v4, v5
	global_store_b8 v[2:3], v4, off
.LBB175_1003:
	s_mov_b32 s54, 0
	s_mov_b32 s53, -1
.LBB175_1004:
	s_and_not1_b32 vcc_lo, exec_lo, s54
	s_cbranch_vccnz .LBB175_1012
; %bb.1005:
	s_cmp_gt_i32 s52, 14
	s_mov_b32 s54, -1
	s_cbranch_scc0 .LBB175_1009
; %bb.1006:
	s_cmp_eq_u32 s52, 15
	s_mov_b32 s0, -1
	s_cbranch_scc0 .LBB175_1008
; %bb.1007:
	s_mov_b32 s53, -1
	s_mov_b32 s0, 0
	global_store_b16 v[2:3], v1, off
.LBB175_1008:
	s_mov_b32 s54, 0
.LBB175_1009:
	s_delay_alu instid0(SALU_CYCLE_1)
	s_and_b32 vcc_lo, exec_lo, s54
	s_cbranch_vccz .LBB175_1012
; %bb.1010:
	s_cmp_eq_u32 s52, 11
	s_mov_b32 s0, -1
	s_cbranch_scc0 .LBB175_1012
; %bb.1011:
	s_wait_xcnt 0x0
	v_and_b32_e32 v4, 0x7fff, v1
	s_mov_b32 s0, 0
	s_mov_b32 s53, -1
	s_delay_alu instid0(VALU_DEP_1)
	v_cmp_ne_u16_e32 vcc_lo, 0, v4
	v_cndmask_b32_e64 v4, 0, 1, vcc_lo
	global_store_b8 v[2:3], v4, off
.LBB175_1012:
	s_mov_b32 s52, 0
.LBB175_1013:
	s_delay_alu instid0(SALU_CYCLE_1)
	s_and_b32 vcc_lo, exec_lo, s52
	s_cbranch_vccz .LBB175_1052
; %bb.1014:
	s_and_b32 s35, 0xffff, s35
	s_mov_b32 s52, -1
	s_cmp_lt_i32 s35, 5
	s_cbranch_scc1 .LBB175_1035
; %bb.1015:
	s_cmp_lt_i32 s35, 8
	s_cbranch_scc1 .LBB175_1025
; %bb.1016:
	;; [unrolled: 3-line block ×3, first 2 shown]
	s_cmp_gt_i32 s35, 9
	s_cbranch_scc0 .LBB175_1019
; %bb.1018:
	s_wait_xcnt 0x0
	v_dual_lshlrev_b32 v4, 16, v1 :: v_dual_mov_b32 v6, 0
	s_mov_b32 s52, 0
	s_delay_alu instid0(VALU_DEP_1) | instskip(NEXT) | instid1(VALU_DEP_2)
	v_cvt_f64_f32_e32 v[4:5], v4
	v_mov_b32_e32 v7, v6
	global_store_b128 v[2:3], v[4:7], off
.LBB175_1019:
	s_and_not1_b32 vcc_lo, exec_lo, s52
	s_cbranch_vccnz .LBB175_1021
; %bb.1020:
	s_wait_xcnt 0x0
	v_dual_mov_b32 v5, 0 :: v_dual_lshlrev_b32 v4, 16, v1
	global_store_b64 v[2:3], v[4:5], off
.LBB175_1021:
	s_mov_b32 s52, 0
.LBB175_1022:
	s_delay_alu instid0(SALU_CYCLE_1)
	s_and_not1_b32 vcc_lo, exec_lo, s52
	s_cbranch_vccnz .LBB175_1024
; %bb.1023:
	s_wait_xcnt 0x0
	v_lshlrev_b32_e32 v4, 16, v1
	s_delay_alu instid0(VALU_DEP_1) | instskip(NEXT) | instid1(VALU_DEP_1)
	v_cvt_f16_f32_e32 v4, v4
	v_and_b32_e32 v4, 0xffff, v4
	global_store_b32 v[2:3], v4, off
.LBB175_1024:
	s_mov_b32 s52, 0
.LBB175_1025:
	s_delay_alu instid0(SALU_CYCLE_1)
	s_and_not1_b32 vcc_lo, exec_lo, s52
	s_cbranch_vccnz .LBB175_1034
; %bb.1026:
	s_cmp_lt_i32 s35, 6
	s_mov_b32 s52, -1
	s_cbranch_scc1 .LBB175_1032
; %bb.1027:
	s_cmp_gt_i32 s35, 6
	s_cbranch_scc0 .LBB175_1029
; %bb.1028:
	s_wait_xcnt 0x0
	v_lshlrev_b32_e32 v4, 16, v1
	s_mov_b32 s52, 0
	s_delay_alu instid0(VALU_DEP_1)
	v_cvt_f64_f32_e32 v[4:5], v4
	global_store_b64 v[2:3], v[4:5], off
.LBB175_1029:
	s_and_not1_b32 vcc_lo, exec_lo, s52
	s_cbranch_vccnz .LBB175_1031
; %bb.1030:
	s_wait_xcnt 0x0
	v_lshlrev_b32_e32 v4, 16, v1
	global_store_b32 v[2:3], v4, off
.LBB175_1031:
	s_mov_b32 s52, 0
.LBB175_1032:
	s_delay_alu instid0(SALU_CYCLE_1)
	s_and_not1_b32 vcc_lo, exec_lo, s52
	s_cbranch_vccnz .LBB175_1034
; %bb.1033:
	s_wait_xcnt 0x0
	v_lshlrev_b32_e32 v4, 16, v1
	s_delay_alu instid0(VALU_DEP_1)
	v_cvt_f16_f32_e32 v4, v4
	global_store_b16 v[2:3], v4, off
.LBB175_1034:
	s_mov_b32 s52, 0
.LBB175_1035:
	s_delay_alu instid0(SALU_CYCLE_1)
	s_and_not1_b32 vcc_lo, exec_lo, s52
	s_cbranch_vccnz .LBB175_1051
; %bb.1036:
	s_cmp_lt_i32 s35, 2
	s_mov_b32 s52, -1
	s_cbranch_scc1 .LBB175_1046
; %bb.1037:
	s_cmp_lt_i32 s35, 3
	s_cbranch_scc1 .LBB175_1043
; %bb.1038:
	s_cmp_gt_i32 s35, 3
	s_cbranch_scc0 .LBB175_1040
; %bb.1039:
	s_wait_xcnt 0x0
	v_lshlrev_b32_e32 v4, 16, v1
	s_mov_b32 s52, 0
	s_delay_alu instid0(VALU_DEP_1) | instskip(NEXT) | instid1(VALU_DEP_1)
	v_trunc_f32_e32 v4, v4
	v_mul_f32_e64 v5, 0x2f800000, |v4|
	s_delay_alu instid0(VALU_DEP_1) | instskip(NEXT) | instid1(VALU_DEP_1)
	v_floor_f32_e32 v5, v5
	v_fma_f32 v6, 0xcf800000, v5, |v4|
	v_ashrrev_i32_e32 v4, 31, v4
	v_cvt_u32_f32_e32 v7, v5
	s_delay_alu instid0(VALU_DEP_3) | instskip(NEXT) | instid1(VALU_DEP_2)
	v_cvt_u32_f32_e32 v6, v6
	v_dual_mov_b32 v5, v4 :: v_dual_bitop2_b32 v7, v7, v4 bitop3:0x14
	s_delay_alu instid0(VALU_DEP_2) | instskip(NEXT) | instid1(VALU_DEP_1)
	v_xor_b32_e32 v6, v6, v4
	v_sub_nc_u64_e32 v[4:5], v[6:7], v[4:5]
	global_store_b64 v[2:3], v[4:5], off
.LBB175_1040:
	s_and_not1_b32 vcc_lo, exec_lo, s52
	s_cbranch_vccnz .LBB175_1042
; %bb.1041:
	s_wait_xcnt 0x0
	v_lshlrev_b32_e32 v4, 16, v1
	s_delay_alu instid0(VALU_DEP_1)
	v_cvt_i32_f32_e32 v4, v4
	global_store_b32 v[2:3], v4, off
.LBB175_1042:
	s_mov_b32 s52, 0
.LBB175_1043:
	s_delay_alu instid0(SALU_CYCLE_1)
	s_and_not1_b32 vcc_lo, exec_lo, s52
	s_cbranch_vccnz .LBB175_1045
; %bb.1044:
	s_wait_xcnt 0x0
	v_lshlrev_b32_e32 v4, 16, v1
	s_delay_alu instid0(VALU_DEP_1)
	v_cvt_i32_f32_e32 v4, v4
	global_store_b16 v[2:3], v4, off
.LBB175_1045:
	s_mov_b32 s52, 0
.LBB175_1046:
	s_delay_alu instid0(SALU_CYCLE_1)
	s_and_not1_b32 vcc_lo, exec_lo, s52
	s_cbranch_vccnz .LBB175_1051
; %bb.1047:
	s_wait_xcnt 0x0
	v_lshlrev_b32_e32 v1, 16, v1
	s_cmp_gt_i32 s35, 0
	s_mov_b32 s35, -1
	s_cbranch_scc0 .LBB175_1049
; %bb.1048:
	s_delay_alu instid0(VALU_DEP_1)
	v_cvt_i32_f32_e32 v4, v1
	s_mov_b32 s35, 0
	global_store_b8 v[2:3], v4, off
.LBB175_1049:
	s_and_not1_b32 vcc_lo, exec_lo, s35
	s_cbranch_vccnz .LBB175_1051
; %bb.1050:
	v_trunc_f32_e32 v1, v1
	s_wait_xcnt 0x0
	s_delay_alu instid0(VALU_DEP_1) | instskip(NEXT) | instid1(VALU_DEP_1)
	v_mul_f32_e64 v4, 0x2f800000, |v1|
	v_floor_f32_e32 v4, v4
	s_delay_alu instid0(VALU_DEP_1) | instskip(SKIP_1) | instid1(VALU_DEP_2)
	v_fma_f32 v4, 0xcf800000, v4, |v1|
	v_ashrrev_i32_e32 v1, 31, v1
	v_cvt_u32_f32_e32 v4, v4
	s_delay_alu instid0(VALU_DEP_1) | instskip(NEXT) | instid1(VALU_DEP_1)
	v_xor_b32_e32 v4, v4, v1
	v_sub_nc_u32_e32 v1, v4, v1
	global_store_b8 v[2:3], v1, off
.LBB175_1051:
	s_mov_b32 s53, -1
.LBB175_1052:
	s_delay_alu instid0(SALU_CYCLE_1)
	s_and_not1_b32 vcc_lo, exec_lo, s53
	s_cbranch_vccnz .LBB175_1054
; %bb.1053:
	v_add_nc_u32_e32 v0, 0x80, v0
	s_mov_b32 s35, -1
	s_branch .LBB175_1056
.LBB175_1054:
	s_mov_b32 s35, 0
.LBB175_1055:
                                        ; implicit-def: $vgpr0
.LBB175_1056:
	s_and_not1_b32 s52, s45, exec_lo
	s_and_b32 s0, s0, exec_lo
	s_and_not1_b32 s54, s48, exec_lo
	s_and_b32 s34, s34, exec_lo
	s_or_b32 s53, s52, s0
	s_or_b32 s54, s54, s34
	s_and_not1_b32 s0, s49, exec_lo
	s_and_b32 s31, s31, exec_lo
	s_and_not1_b32 s34, s50, exec_lo
	s_and_b32 s30, s30, exec_lo
	s_or_b32 s55, s0, s31
	s_or_b32 s52, s34, s30
	s_or_not1_b32 s35, s35, exec_lo
.LBB175_1057:
	s_wait_xcnt 0x0
	s_or_b32 exec_lo, exec_lo, s56
	s_mov_b32 s31, 0
	s_mov_b32 s34, 0
	;; [unrolled: 1-line block ×3, first 2 shown]
                                        ; implicit-def: $sgpr0
                                        ; implicit-def: $vgpr8_vgpr9
                                        ; implicit-def: $vgpr2
                                        ; implicit-def: $vgpr4
                                        ; implicit-def: $vgpr6
                                        ; implicit-def: $vgpr3
	s_and_saveexec_b32 s56, s35
	s_cbranch_execz .LBB175_1684
; %bb.1058:
	s_mov_b32 s35, -1
	s_mov_b32 s58, s52
	s_mov_b32 s60, s55
	;; [unrolled: 1-line block ×4, first 2 shown]
	s_mov_b32 s57, exec_lo
	v_cmpx_gt_i32_e64 s46, v0
	s_cbranch_execz .LBB175_1590
; %bb.1059:
	s_and_not1_b32 vcc_lo, exec_lo, s38
	s_cbranch_vccnz .LBB175_1065
; %bb.1060:
	s_and_not1_b32 vcc_lo, exec_lo, s47
	s_cbranch_vccnz .LBB175_1066
; %bb.1061:
	s_wait_loadcnt 0x0
	v_dual_mov_b32 v6, 0 :: v_dual_mov_b32 v1, v0
	v_dual_mov_b32 v4, 0 :: v_dual_mov_b32 v2, 0
	v_mov_b32_e32 v8, 0
	s_add_co_i32 s0, s44, 1
	s_mov_b64 s[30:31], 0xffffffffffffffe0
	s_and_b32 s0, s0, 30
	s_add_nc_u64 s[30:31], s[2:3], s[30:31]
	s_mov_b64 s[34:35], s[2:3]
.LBB175_1062:                           ; =>This Inner Loop Header: Depth=1
	s_clause 0x1
	s_load_b128 s[68:71], s[34:35], 0x4
	s_load_b64 s[58:59], s[34:35], 0x14
	s_load_b256 s[60:67], s[30:31], 0xe4
	s_add_co_i32 s0, s0, -2
	s_wait_xcnt 0x0
	s_add_nc_u64 s[34:35], s[34:35], 24
	s_cmp_eq_u32 s0, 0
	s_add_nc_u64 s[30:31], s[30:31], 32
	s_wait_kmcnt 0x0
	v_mul_hi_u32 v3, s69, v1
	s_delay_alu instid0(VALU_DEP_1) | instskip(NEXT) | instid1(VALU_DEP_1)
	v_add_nc_u32_e32 v3, v1, v3
	v_lshrrev_b32_e32 v3, s70, v3
	s_delay_alu instid0(VALU_DEP_1) | instskip(SKIP_1) | instid1(VALU_DEP_1)
	v_mul_hi_u32 v5, s58, v3
	v_mul_lo_u32 v7, v3, s68
	v_dual_add_nc_u32 v5, v3, v5 :: v_dual_sub_nc_u32 v7, v1, v7
	s_delay_alu instid0(VALU_DEP_1) | instskip(NEXT) | instid1(VALU_DEP_2)
	v_lshrrev_b32_e32 v1, s59, v5
	v_mad_u32 v8, v7, s61, v8
	v_mad_u32 v2, v7, s60, v2
	;; [unrolled: 1-line block ×4, first 2 shown]
	v_mul_lo_u32 v5, v1, s71
	s_delay_alu instid0(VALU_DEP_1) | instskip(NEXT) | instid1(VALU_DEP_1)
	v_sub_nc_u32_e32 v3, v3, v5
	v_mad_u32 v8, v3, s65, v8
	v_mad_u32 v2, v3, s64, v2
	;; [unrolled: 1-line block ×4, first 2 shown]
	s_cbranch_scc0 .LBB175_1062
; %bb.1063:
	s_bitcmp1_b32 s44, 0
	s_cselect_b32 s0, -1, 0
	s_delay_alu instid0(SALU_CYCLE_1)
	s_and_b32 vcc_lo, exec_lo, s0
	s_cbranch_vccnz .LBB175_1067
; %bb.1064:
	s_load_b96 s[64:66], s[34:35], 0x4
	s_load_b128 s[60:63], s[30:31], 0xe4
	s_wait_kmcnt 0x0
	v_mul_hi_u32 v3, s65, v1
	s_delay_alu instid0(VALU_DEP_1) | instskip(NEXT) | instid1(VALU_DEP_1)
	v_add_nc_u32_e32 v3, v1, v3
	v_lshrrev_b32_e32 v3, s66, v3
	s_delay_alu instid0(VALU_DEP_1) | instskip(NEXT) | instid1(VALU_DEP_1)
	v_mul_lo_u32 v3, v3, s64
	v_sub_nc_u32_e32 v1, v1, v3
	s_delay_alu instid0(VALU_DEP_1)
	v_mad_u32 v2, v1, s60, v2
	v_mad_u32 v8, v1, s61, v8
	;; [unrolled: 1-line block ×4, first 2 shown]
	s_branch .LBB175_1067
.LBB175_1065:
	s_mov_b32 s0, -1
                                        ; implicit-def: $vgpr8
                                        ; implicit-def: $vgpr2
                                        ; implicit-def: $vgpr4
                                        ; implicit-def: $vgpr6
	s_branch .LBB175_1068
.LBB175_1066:
	v_dual_mov_b32 v8, 0 :: v_dual_mov_b32 v2, 0
	s_wait_loadcnt 0x0
	v_dual_mov_b32 v4, 0 :: v_dual_mov_b32 v6, 0
.LBB175_1067:
	s_mov_b32 s0, 0
.LBB175_1068:
	s_delay_alu instid0(SALU_CYCLE_1)
	s_and_not1_b32 vcc_lo, exec_lo, s0
	s_cbranch_vccnz .LBB175_1071
; %bb.1069:
	s_wait_loadcnt 0x0
	v_mov_b32_e32 v1, 0
	s_and_not1_b32 vcc_lo, exec_lo, s43
	s_delay_alu instid0(VALU_DEP_1) | instskip(NEXT) | instid1(VALU_DEP_1)
	v_mul_u64_e32 v[2:3], s[24:25], v[0:1]
	v_add_nc_u32_e32 v2, v0, v3
	s_delay_alu instid0(VALU_DEP_1) | instskip(NEXT) | instid1(VALU_DEP_1)
	v_lshrrev_b32_e32 v10, s22, v2
	v_mul_lo_u32 v2, v10, s20
	s_delay_alu instid0(VALU_DEP_1) | instskip(NEXT) | instid1(VALU_DEP_1)
	v_sub_nc_u32_e32 v3, v0, v2
	v_mul_lo_u32 v8, v3, s13
	v_mul_lo_u32 v2, v3, s12
	;; [unrolled: 1-line block ×4, first 2 shown]
	s_cbranch_vccnz .LBB175_1071
; %bb.1070:
	v_mov_b32_e32 v11, v1
	s_delay_alu instid0(VALU_DEP_1) | instskip(NEXT) | instid1(VALU_DEP_1)
	v_mul_u64_e32 v[12:13], s[28:29], v[10:11]
	v_add_nc_u32_e32 v1, v10, v13
	s_delay_alu instid0(VALU_DEP_1) | instskip(NEXT) | instid1(VALU_DEP_1)
	v_lshrrev_b32_e32 v1, s27, v1
	v_mul_lo_u32 v1, v1, s23
	s_delay_alu instid0(VALU_DEP_1) | instskip(NEXT) | instid1(VALU_DEP_1)
	v_sub_nc_u32_e32 v1, v10, v1
	v_mad_u32 v2, v1, s16, v2
	v_mad_u32 v8, v1, s17, v8
	;; [unrolled: 1-line block ×4, first 2 shown]
.LBB175_1071:
	v_mov_b32_e32 v9, 0
	s_and_b32 s0, s42, 0xff
	s_delay_alu instid0(SALU_CYCLE_1) | instskip(NEXT) | instid1(VALU_DEP_1)
	s_cmp_lt_i32 s0, 11
	v_add_nc_u64_e32 v[8:9], s[6:7], v[8:9]
	s_cbranch_scc1 .LBB175_1078
; %bb.1072:
	s_and_b32 s31, 0xffff, s0
	s_delay_alu instid0(SALU_CYCLE_1)
	s_cmp_gt_i32 s31, 25
	s_cbranch_scc0 .LBB175_1079
; %bb.1073:
	s_cmp_gt_i32 s31, 28
	s_cbranch_scc0 .LBB175_1080
; %bb.1074:
	;; [unrolled: 3-line block ×4, first 2 shown]
	s_cmp_eq_u32 s31, 46
	s_mov_b32 s35, 0
	s_cbranch_scc0 .LBB175_1083
; %bb.1077:
	s_wait_loadcnt 0x0
	global_load_b32 v1, v[8:9], off
	s_mov_b32 s34, -1
	s_mov_b32 s30, 0
	s_branch .LBB175_1085
.LBB175_1078:
	s_mov_b32 s31, -1
	s_mov_b32 s34, 0
	s_mov_b32 s30, s52
                                        ; implicit-def: $vgpr1
	s_branch .LBB175_1150
.LBB175_1079:
	s_mov_b32 s35, -1
	s_mov_b32 s34, 0
	s_mov_b32 s30, s52
                                        ; implicit-def: $vgpr1
	s_branch .LBB175_1114
.LBB175_1080:
	s_mov_b32 s35, -1
	s_mov_b32 s34, 0
	s_mov_b32 s30, s52
                                        ; implicit-def: $vgpr1
	s_branch .LBB175_1095
.LBB175_1081:
	s_mov_b32 s35, -1
	s_mov_b32 s34, 0
	s_mov_b32 s30, s52
                                        ; implicit-def: $vgpr1
	s_branch .LBB175_1090
.LBB175_1082:
	s_mov_b32 s35, -1
	s_mov_b32 s34, 0
	s_mov_b32 s30, s52
	s_branch .LBB175_1084
.LBB175_1083:
	s_mov_b32 s30, -1
	s_mov_b32 s34, 0
.LBB175_1084:
                                        ; implicit-def: $vgpr1
.LBB175_1085:
	s_and_b32 vcc_lo, exec_lo, s35
	s_cbranch_vccz .LBB175_1089
; %bb.1086:
	s_cmp_eq_u32 s31, 44
	s_cbranch_scc0 .LBB175_1088
; %bb.1087:
	s_wait_loadcnt 0x0
	global_load_u8 v1, v[8:9], off
	s_mov_b32 s30, 0
	s_mov_b32 s34, -1
	s_wait_loadcnt 0x0
	v_lshlrev_b32_e32 v3, 23, v1
	v_cmp_ne_u32_e32 vcc_lo, 0xff, v1
	s_delay_alu instid0(VALU_DEP_2) | instskip(SKIP_1) | instid1(VALU_DEP_2)
	v_cndmask_b32_e32 v3, 0x7f800001, v3, vcc_lo
	v_cmp_ne_u32_e32 vcc_lo, 0, v1
	v_cndmask_b32_e32 v1, 0x400000, v3, vcc_lo
	s_delay_alu instid0(VALU_DEP_1) | instskip(SKIP_1) | instid1(VALU_DEP_2)
	v_add_nc_u32_e32 v3, 0x7fff, v1
	v_cmp_o_f32_e32 vcc_lo, v1, v1
	v_lshrrev_b32_e32 v3, 16, v3
	s_delay_alu instid0(VALU_DEP_1)
	v_cndmask_b32_e32 v1, 0x7fc0, v3, vcc_lo
	s_branch .LBB175_1089
.LBB175_1088:
	s_mov_b32 s30, -1
                                        ; implicit-def: $vgpr1
.LBB175_1089:
	s_mov_b32 s35, 0
.LBB175_1090:
	s_delay_alu instid0(SALU_CYCLE_1)
	s_and_b32 vcc_lo, exec_lo, s35
	s_cbranch_vccz .LBB175_1094
; %bb.1091:
	s_cmp_eq_u32 s31, 29
	s_cbranch_scc0 .LBB175_1093
; %bb.1092:
	global_load_b64 v[10:11], v[8:9], off
	s_mov_b32 s34, -1
	s_mov_b32 s30, 0
	s_mov_b32 s35, 0
	s_wait_loadcnt 0x0
	v_clz_i32_u32_e32 v1, v11
	s_delay_alu instid0(VALU_DEP_1) | instskip(NEXT) | instid1(VALU_DEP_1)
	v_min_u32_e32 v1, 32, v1
	v_lshlrev_b64_e32 v[10:11], v1, v[10:11]
	v_sub_nc_u32_e32 v1, 32, v1
	s_delay_alu instid0(VALU_DEP_2) | instskip(NEXT) | instid1(VALU_DEP_1)
	v_min_u32_e32 v3, 1, v10
	v_or_b32_e32 v3, v11, v3
	s_delay_alu instid0(VALU_DEP_1) | instskip(NEXT) | instid1(VALU_DEP_1)
	v_cvt_f32_u32_e32 v3, v3
	v_ldexp_f32 v1, v3, v1
	s_delay_alu instid0(VALU_DEP_1) | instskip(NEXT) | instid1(VALU_DEP_1)
	v_bfe_u32 v3, v1, 16, 1
	v_add3_u32 v1, v1, v3, 0x7fff
	s_delay_alu instid0(VALU_DEP_1)
	v_lshrrev_b32_e32 v1, 16, v1
	s_branch .LBB175_1095
.LBB175_1093:
	s_mov_b32 s30, -1
                                        ; implicit-def: $vgpr1
.LBB175_1094:
	s_mov_b32 s35, 0
.LBB175_1095:
	s_delay_alu instid0(SALU_CYCLE_1)
	s_and_b32 vcc_lo, exec_lo, s35
	s_cbranch_vccz .LBB175_1113
; %bb.1096:
	s_cmp_lt_i32 s31, 27
	s_cbranch_scc1 .LBB175_1099
; %bb.1097:
	s_cmp_gt_i32 s31, 27
	s_cbranch_scc0 .LBB175_1100
; %bb.1098:
	s_wait_loadcnt 0x0
	global_load_b32 v1, v[8:9], off
	s_mov_b32 s34, 0
	s_wait_loadcnt 0x0
	v_cvt_f32_u32_e32 v1, v1
	s_delay_alu instid0(VALU_DEP_1) | instskip(NEXT) | instid1(VALU_DEP_1)
	v_bfe_u32 v3, v1, 16, 1
	v_add3_u32 v1, v1, v3, 0x7fff
	s_delay_alu instid0(VALU_DEP_1)
	v_lshrrev_b32_e32 v1, 16, v1
	s_branch .LBB175_1101
.LBB175_1099:
	s_mov_b32 s34, -1
                                        ; implicit-def: $vgpr1
	s_branch .LBB175_1104
.LBB175_1100:
	s_mov_b32 s34, -1
                                        ; implicit-def: $vgpr1
.LBB175_1101:
	s_delay_alu instid0(SALU_CYCLE_1)
	s_and_not1_b32 vcc_lo, exec_lo, s34
	s_cbranch_vccnz .LBB175_1103
; %bb.1102:
	s_wait_loadcnt 0x0
	global_load_u16 v1, v[8:9], off
	s_wait_loadcnt 0x0
	v_cvt_f32_u32_e32 v1, v1
	s_delay_alu instid0(VALU_DEP_1) | instskip(NEXT) | instid1(VALU_DEP_1)
	v_bfe_u32 v3, v1, 16, 1
	v_add3_u32 v1, v1, v3, 0x7fff
	s_delay_alu instid0(VALU_DEP_1)
	v_lshrrev_b32_e32 v1, 16, v1
.LBB175_1103:
	s_mov_b32 s34, 0
.LBB175_1104:
	s_delay_alu instid0(SALU_CYCLE_1)
	s_and_not1_b32 vcc_lo, exec_lo, s34
	s_cbranch_vccnz .LBB175_1112
; %bb.1105:
	s_wait_loadcnt 0x0
	global_load_u8 v1, v[8:9], off
	s_mov_b32 s34, 0
	s_mov_b32 s35, exec_lo
	s_wait_loadcnt 0x0
	v_cmpx_lt_i16_e32 0x7f, v1
	s_xor_b32 s35, exec_lo, s35
	s_cbranch_execz .LBB175_1126
; %bb.1106:
	s_mov_b32 s34, -1
	s_mov_b32 s58, exec_lo
	v_cmpx_eq_u16_e32 0x80, v1
; %bb.1107:
	s_xor_b32 s34, exec_lo, -1
; %bb.1108:
	s_or_b32 exec_lo, exec_lo, s58
	s_delay_alu instid0(SALU_CYCLE_1)
	s_and_b32 s34, s34, exec_lo
	s_or_saveexec_b32 s35, s35
	v_mov_b32_e32 v3, 0x7f800001
	s_xor_b32 exec_lo, exec_lo, s35
	s_cbranch_execnz .LBB175_1127
.LBB175_1109:
	s_or_b32 exec_lo, exec_lo, s35
	s_and_saveexec_b32 s35, s34
	s_cbranch_execz .LBB175_1111
.LBB175_1110:
	v_and_b32_e32 v3, 0xffff, v1
	s_delay_alu instid0(VALU_DEP_1) | instskip(SKIP_1) | instid1(VALU_DEP_2)
	v_dual_lshlrev_b32 v1, 24, v1 :: v_dual_bitop2_b32 v5, 7, v3 bitop3:0x40
	v_bfe_u32 v11, v3, 3, 4
	v_and_b32_e32 v1, 0x80000000, v1
	s_delay_alu instid0(VALU_DEP_3) | instskip(NEXT) | instid1(VALU_DEP_3)
	v_clz_i32_u32_e32 v7, v5
	v_cmp_eq_u32_e32 vcc_lo, 0, v11
	s_delay_alu instid0(VALU_DEP_2) | instskip(NEXT) | instid1(VALU_DEP_1)
	v_min_u32_e32 v7, 32, v7
	v_subrev_nc_u32_e32 v10, 28, v7
	v_sub_nc_u32_e32 v7, 29, v7
	s_delay_alu instid0(VALU_DEP_2) | instskip(NEXT) | instid1(VALU_DEP_2)
	v_lshlrev_b32_e32 v3, v10, v3
	v_cndmask_b32_e32 v7, v11, v7, vcc_lo
	s_delay_alu instid0(VALU_DEP_2) | instskip(NEXT) | instid1(VALU_DEP_1)
	v_and_b32_e32 v3, 7, v3
	v_cndmask_b32_e32 v3, v5, v3, vcc_lo
	s_delay_alu instid0(VALU_DEP_3) | instskip(NEXT) | instid1(VALU_DEP_2)
	v_lshl_add_u32 v5, v7, 23, 0x3b800000
	v_lshlrev_b32_e32 v3, 20, v3
	s_delay_alu instid0(VALU_DEP_1)
	v_or3_b32 v3, v1, v5, v3
.LBB175_1111:
	s_or_b32 exec_lo, exec_lo, s35
	s_delay_alu instid0(VALU_DEP_1) | instskip(SKIP_1) | instid1(VALU_DEP_2)
	v_bfe_u32 v1, v3, 16, 1
	v_cmp_o_f32_e32 vcc_lo, v3, v3
	v_add3_u32 v1, v3, v1, 0x7fff
	s_delay_alu instid0(VALU_DEP_1) | instskip(NEXT) | instid1(VALU_DEP_1)
	v_lshrrev_b32_e32 v1, 16, v1
	v_cndmask_b32_e32 v1, 0x7fc0, v1, vcc_lo
.LBB175_1112:
	s_mov_b32 s34, -1
.LBB175_1113:
	s_mov_b32 s35, 0
.LBB175_1114:
	s_delay_alu instid0(SALU_CYCLE_1)
	s_and_b32 vcc_lo, exec_lo, s35
	s_cbranch_vccz .LBB175_1149
; %bb.1115:
	s_cmp_gt_i32 s31, 22
	s_cbranch_scc0 .LBB175_1125
; %bb.1116:
	s_cmp_lt_i32 s31, 24
	s_cbranch_scc1 .LBB175_1128
; %bb.1117:
	s_cmp_gt_i32 s31, 24
	s_cbranch_scc0 .LBB175_1129
; %bb.1118:
	s_wait_loadcnt 0x0
	global_load_u8 v1, v[8:9], off
	s_mov_b32 s34, 0
	s_mov_b32 s35, exec_lo
	s_wait_loadcnt 0x0
	v_cmpx_lt_i16_e32 0x7f, v1
	s_xor_b32 s35, exec_lo, s35
	s_cbranch_execz .LBB175_1141
; %bb.1119:
	s_mov_b32 s34, -1
	s_mov_b32 s58, exec_lo
	v_cmpx_eq_u16_e32 0x80, v1
; %bb.1120:
	s_xor_b32 s34, exec_lo, -1
; %bb.1121:
	s_or_b32 exec_lo, exec_lo, s58
	s_delay_alu instid0(SALU_CYCLE_1)
	s_and_b32 s34, s34, exec_lo
	s_or_saveexec_b32 s35, s35
	v_mov_b32_e32 v3, 0x7f800001
	s_xor_b32 exec_lo, exec_lo, s35
	s_cbranch_execnz .LBB175_1142
.LBB175_1122:
	s_or_b32 exec_lo, exec_lo, s35
	s_and_saveexec_b32 s35, s34
	s_cbranch_execz .LBB175_1124
.LBB175_1123:
	v_and_b32_e32 v3, 0xffff, v1
	s_delay_alu instid0(VALU_DEP_1) | instskip(SKIP_1) | instid1(VALU_DEP_2)
	v_dual_lshlrev_b32 v1, 24, v1 :: v_dual_bitop2_b32 v5, 3, v3 bitop3:0x40
	v_bfe_u32 v11, v3, 2, 5
	v_and_b32_e32 v1, 0x80000000, v1
	s_delay_alu instid0(VALU_DEP_3) | instskip(NEXT) | instid1(VALU_DEP_3)
	v_clz_i32_u32_e32 v7, v5
	v_cmp_eq_u32_e32 vcc_lo, 0, v11
	s_delay_alu instid0(VALU_DEP_2) | instskip(NEXT) | instid1(VALU_DEP_1)
	v_min_u32_e32 v7, 32, v7
	v_subrev_nc_u32_e32 v10, 29, v7
	v_sub_nc_u32_e32 v7, 30, v7
	s_delay_alu instid0(VALU_DEP_2) | instskip(NEXT) | instid1(VALU_DEP_2)
	v_lshlrev_b32_e32 v3, v10, v3
	v_cndmask_b32_e32 v7, v11, v7, vcc_lo
	s_delay_alu instid0(VALU_DEP_2) | instskip(NEXT) | instid1(VALU_DEP_1)
	v_and_b32_e32 v3, 3, v3
	v_cndmask_b32_e32 v3, v5, v3, vcc_lo
	s_delay_alu instid0(VALU_DEP_3) | instskip(NEXT) | instid1(VALU_DEP_2)
	v_lshl_add_u32 v5, v7, 23, 0x37800000
	v_lshlrev_b32_e32 v3, 21, v3
	s_delay_alu instid0(VALU_DEP_1)
	v_or3_b32 v3, v1, v5, v3
.LBB175_1124:
	s_or_b32 exec_lo, exec_lo, s35
	s_delay_alu instid0(VALU_DEP_1) | instskip(SKIP_2) | instid1(VALU_DEP_2)
	v_bfe_u32 v1, v3, 16, 1
	v_cmp_o_f32_e32 vcc_lo, v3, v3
	s_mov_b32 s34, 0
	v_add3_u32 v1, v3, v1, 0x7fff
	s_delay_alu instid0(VALU_DEP_1) | instskip(NEXT) | instid1(VALU_DEP_1)
	v_lshrrev_b32_e32 v1, 16, v1
	v_cndmask_b32_e32 v1, 0x7fc0, v1, vcc_lo
	s_branch .LBB175_1130
.LBB175_1125:
	s_mov_b32 s35, -1
                                        ; implicit-def: $vgpr1
	s_branch .LBB175_1136
.LBB175_1126:
	s_or_saveexec_b32 s35, s35
	v_mov_b32_e32 v3, 0x7f800001
	s_xor_b32 exec_lo, exec_lo, s35
	s_cbranch_execz .LBB175_1109
.LBB175_1127:
	v_cmp_ne_u16_e32 vcc_lo, 0, v1
	v_mov_b32_e32 v3, 0
	s_and_not1_b32 s34, s34, exec_lo
	s_and_b32 s58, vcc_lo, exec_lo
	s_delay_alu instid0(SALU_CYCLE_1)
	s_or_b32 s34, s34, s58
	s_or_b32 exec_lo, exec_lo, s35
	s_and_saveexec_b32 s35, s34
	s_cbranch_execnz .LBB175_1110
	s_branch .LBB175_1111
.LBB175_1128:
	s_mov_b32 s34, -1
                                        ; implicit-def: $vgpr1
	s_branch .LBB175_1133
.LBB175_1129:
	s_mov_b32 s34, -1
                                        ; implicit-def: $vgpr1
.LBB175_1130:
	s_delay_alu instid0(SALU_CYCLE_1)
	s_and_b32 vcc_lo, exec_lo, s34
	s_cbranch_vccz .LBB175_1132
; %bb.1131:
	s_wait_loadcnt 0x0
	global_load_u8 v1, v[8:9], off
	s_wait_loadcnt 0x0
	v_lshlrev_b32_e32 v1, 24, v1
	s_delay_alu instid0(VALU_DEP_1) | instskip(NEXT) | instid1(VALU_DEP_1)
	v_and_b32_e32 v3, 0x7f000000, v1
	v_clz_i32_u32_e32 v5, v3
	v_cmp_ne_u32_e32 vcc_lo, 0, v3
	v_add_nc_u32_e32 v10, 0x1000000, v3
	s_delay_alu instid0(VALU_DEP_3) | instskip(NEXT) | instid1(VALU_DEP_1)
	v_min_u32_e32 v5, 32, v5
	v_sub_nc_u32_e64 v5, v5, 4 clamp
	s_delay_alu instid0(VALU_DEP_1) | instskip(NEXT) | instid1(VALU_DEP_1)
	v_dual_lshlrev_b32 v7, v5, v3 :: v_dual_lshlrev_b32 v5, 23, v5
	v_lshrrev_b32_e32 v7, 4, v7
	s_delay_alu instid0(VALU_DEP_1) | instskip(NEXT) | instid1(VALU_DEP_1)
	v_dual_sub_nc_u32 v5, v7, v5 :: v_dual_ashrrev_i32 v7, 8, v10
	v_add_nc_u32_e32 v5, 0x3c000000, v5
	s_delay_alu instid0(VALU_DEP_1) | instskip(NEXT) | instid1(VALU_DEP_1)
	v_and_or_b32 v5, 0x7f800000, v7, v5
	v_cndmask_b32_e32 v3, 0, v5, vcc_lo
	s_delay_alu instid0(VALU_DEP_1) | instskip(SKIP_1) | instid1(VALU_DEP_2)
	v_and_or_b32 v1, 0x80000000, v1, v3
	v_bfe_u32 v3, v3, 16, 1
	v_cmp_o_f32_e32 vcc_lo, v1, v1
	s_delay_alu instid0(VALU_DEP_2) | instskip(NEXT) | instid1(VALU_DEP_1)
	v_add3_u32 v3, v1, v3, 0x7fff
	v_lshrrev_b32_e32 v3, 16, v3
	s_delay_alu instid0(VALU_DEP_1)
	v_cndmask_b32_e32 v1, 0x7fc0, v3, vcc_lo
.LBB175_1132:
	s_mov_b32 s34, 0
.LBB175_1133:
	s_delay_alu instid0(SALU_CYCLE_1)
	s_and_not1_b32 vcc_lo, exec_lo, s34
	s_cbranch_vccnz .LBB175_1135
; %bb.1134:
	s_wait_loadcnt 0x0
	global_load_u8 v1, v[8:9], off
	s_wait_loadcnt 0x0
	v_lshlrev_b32_e32 v3, 25, v1
	v_lshlrev_b16 v1, 8, v1
	s_delay_alu instid0(VALU_DEP_1) | instskip(SKIP_1) | instid1(VALU_DEP_2)
	v_and_or_b32 v7, 0x7f00, v1, 0.5
	v_bfe_i32 v1, v1, 0, 16
	v_add_f32_e32 v7, -0.5, v7
	v_lshrrev_b32_e32 v5, 4, v3
	v_cmp_gt_u32_e32 vcc_lo, 0x8000000, v3
	s_delay_alu instid0(VALU_DEP_2) | instskip(NEXT) | instid1(VALU_DEP_1)
	v_or_b32_e32 v5, 0x70000000, v5
	v_mul_f32_e32 v5, 0x7800000, v5
	s_delay_alu instid0(VALU_DEP_1) | instskip(NEXT) | instid1(VALU_DEP_1)
	v_cndmask_b32_e32 v3, v5, v7, vcc_lo
	v_and_or_b32 v1, 0x80000000, v1, v3
	v_bfe_u32 v3, v3, 16, 1
	s_delay_alu instid0(VALU_DEP_2) | instskip(NEXT) | instid1(VALU_DEP_2)
	v_cmp_o_f32_e32 vcc_lo, v1, v1
	v_add3_u32 v3, v1, v3, 0x7fff
	s_delay_alu instid0(VALU_DEP_1) | instskip(NEXT) | instid1(VALU_DEP_1)
	v_lshrrev_b32_e32 v3, 16, v3
	v_cndmask_b32_e32 v1, 0x7fc0, v3, vcc_lo
.LBB175_1135:
	s_mov_b32 s35, 0
	s_mov_b32 s34, -1
.LBB175_1136:
	s_and_not1_b32 vcc_lo, exec_lo, s35
	s_cbranch_vccnz .LBB175_1149
; %bb.1137:
	s_cmp_gt_i32 s31, 14
	s_cbranch_scc0 .LBB175_1140
; %bb.1138:
	s_cmp_eq_u32 s31, 15
	s_cbranch_scc0 .LBB175_1143
; %bb.1139:
	s_wait_loadcnt 0x0
	global_load_u16 v1, v[8:9], off
	s_mov_b32 s34, -1
	s_mov_b32 s30, 0
	s_branch .LBB175_1144
.LBB175_1140:
	s_mov_b32 s35, -1
                                        ; implicit-def: $vgpr1
	s_branch .LBB175_1145
.LBB175_1141:
	s_or_saveexec_b32 s35, s35
	v_mov_b32_e32 v3, 0x7f800001
	s_xor_b32 exec_lo, exec_lo, s35
	s_cbranch_execz .LBB175_1122
.LBB175_1142:
	v_cmp_ne_u16_e32 vcc_lo, 0, v1
	v_mov_b32_e32 v3, 0
	s_and_not1_b32 s34, s34, exec_lo
	s_and_b32 s58, vcc_lo, exec_lo
	s_delay_alu instid0(SALU_CYCLE_1)
	s_or_b32 s34, s34, s58
	s_or_b32 exec_lo, exec_lo, s35
	s_and_saveexec_b32 s35, s34
	s_cbranch_execnz .LBB175_1123
	s_branch .LBB175_1124
.LBB175_1143:
	s_mov_b32 s30, -1
                                        ; implicit-def: $vgpr1
.LBB175_1144:
	s_mov_b32 s35, 0
.LBB175_1145:
	s_delay_alu instid0(SALU_CYCLE_1)
	s_and_b32 vcc_lo, exec_lo, s35
	s_cbranch_vccz .LBB175_1149
; %bb.1146:
	s_cmp_eq_u32 s31, 11
	s_cbranch_scc0 .LBB175_1148
; %bb.1147:
	s_wait_loadcnt 0x0
	global_load_u8 v1, v[8:9], off
	s_mov_b32 s30, 0
	s_mov_b32 s34, -1
	s_wait_loadcnt 0x0
	v_cmp_ne_u16_e32 vcc_lo, 0, v1
	v_cndmask_b32_e64 v1, 0, 1.0, vcc_lo
	s_delay_alu instid0(VALU_DEP_1)
	v_lshrrev_b32_e32 v1, 16, v1
	s_branch .LBB175_1149
.LBB175_1148:
	s_mov_b32 s30, -1
                                        ; implicit-def: $vgpr1
.LBB175_1149:
	s_mov_b32 s31, 0
.LBB175_1150:
	s_delay_alu instid0(SALU_CYCLE_1)
	s_and_b32 vcc_lo, exec_lo, s31
	s_cbranch_vccz .LBB175_1199
; %bb.1151:
	s_and_b32 s0, 0xffff, s0
	s_delay_alu instid0(SALU_CYCLE_1)
	s_cmp_lt_i32 s0, 5
	s_cbranch_scc1 .LBB175_1156
; %bb.1152:
	s_cmp_lt_i32 s0, 8
	s_cbranch_scc1 .LBB175_1157
; %bb.1153:
	;; [unrolled: 3-line block ×3, first 2 shown]
	s_cmp_gt_i32 s0, 9
	s_cbranch_scc0 .LBB175_1159
; %bb.1155:
	global_load_b64 v[10:11], v[8:9], off
	s_mov_b32 s31, 0
	s_wait_loadcnt 0x0
	v_cvt_f32_f64_e32 v1, v[10:11]
	s_delay_alu instid0(VALU_DEP_1) | instskip(SKIP_1) | instid1(VALU_DEP_2)
	v_bfe_u32 v3, v1, 16, 1
	v_cmp_o_f32_e32 vcc_lo, v1, v1
	v_add3_u32 v3, v1, v3, 0x7fff
	s_delay_alu instid0(VALU_DEP_1) | instskip(NEXT) | instid1(VALU_DEP_1)
	v_lshrrev_b32_e32 v3, 16, v3
	v_cndmask_b32_e32 v1, 0x7fc0, v3, vcc_lo
	s_branch .LBB175_1160
.LBB175_1156:
	s_mov_b32 s31, -1
                                        ; implicit-def: $vgpr1
	s_branch .LBB175_1178
.LBB175_1157:
	s_mov_b32 s31, -1
                                        ; implicit-def: $vgpr1
	s_branch .LBB175_1166
.LBB175_1158:
	s_mov_b32 s31, -1
                                        ; implicit-def: $vgpr1
	s_branch .LBB175_1163
.LBB175_1159:
	s_mov_b32 s31, -1
                                        ; implicit-def: $vgpr1
.LBB175_1160:
	s_delay_alu instid0(SALU_CYCLE_1)
	s_and_not1_b32 vcc_lo, exec_lo, s31
	s_cbranch_vccnz .LBB175_1162
; %bb.1161:
	s_wait_loadcnt 0x0
	global_load_b32 v1, v[8:9], off
	s_wait_loadcnt 0x0
	v_bfe_u32 v3, v1, 16, 1
	v_cmp_o_f32_e32 vcc_lo, v1, v1
	s_delay_alu instid0(VALU_DEP_2) | instskip(NEXT) | instid1(VALU_DEP_1)
	v_add3_u32 v3, v1, v3, 0x7fff
	v_lshrrev_b32_e32 v3, 16, v3
	s_delay_alu instid0(VALU_DEP_1)
	v_cndmask_b32_e32 v1, 0x7fc0, v3, vcc_lo
.LBB175_1162:
	s_mov_b32 s31, 0
.LBB175_1163:
	s_delay_alu instid0(SALU_CYCLE_1)
	s_and_not1_b32 vcc_lo, exec_lo, s31
	s_cbranch_vccnz .LBB175_1165
; %bb.1164:
	s_wait_loadcnt 0x0
	global_load_b32 v1, v[8:9], off
	s_wait_loadcnt 0x0
	v_cvt_f32_f16_e32 v3, v1
	v_cmp_o_f16_e32 vcc_lo, v1, v1
	s_delay_alu instid0(VALU_DEP_2) | instskip(NEXT) | instid1(VALU_DEP_1)
	v_bfe_u32 v5, v3, 16, 1
	v_add3_u32 v3, v3, v5, 0x7fff
	s_delay_alu instid0(VALU_DEP_1) | instskip(NEXT) | instid1(VALU_DEP_1)
	v_lshrrev_b32_e32 v3, 16, v3
	v_cndmask_b32_e32 v1, 0x7fc0, v3, vcc_lo
.LBB175_1165:
	s_mov_b32 s31, 0
.LBB175_1166:
	s_delay_alu instid0(SALU_CYCLE_1)
	s_and_not1_b32 vcc_lo, exec_lo, s31
	s_cbranch_vccnz .LBB175_1177
; %bb.1167:
	s_cmp_lt_i32 s0, 6
	s_cbranch_scc1 .LBB175_1170
; %bb.1168:
	s_cmp_gt_i32 s0, 6
	s_cbranch_scc0 .LBB175_1171
; %bb.1169:
	global_load_b64 v[10:11], v[8:9], off
	s_mov_b32 s31, 0
	s_wait_loadcnt 0x0
	v_cvt_f32_f64_e32 v1, v[10:11]
	s_delay_alu instid0(VALU_DEP_1) | instskip(SKIP_1) | instid1(VALU_DEP_2)
	v_bfe_u32 v3, v1, 16, 1
	v_cmp_o_f32_e32 vcc_lo, v1, v1
	v_add3_u32 v3, v1, v3, 0x7fff
	s_delay_alu instid0(VALU_DEP_1) | instskip(NEXT) | instid1(VALU_DEP_1)
	v_lshrrev_b32_e32 v3, 16, v3
	v_cndmask_b32_e32 v1, 0x7fc0, v3, vcc_lo
	s_branch .LBB175_1172
.LBB175_1170:
	s_mov_b32 s31, -1
                                        ; implicit-def: $vgpr1
	s_branch .LBB175_1175
.LBB175_1171:
	s_mov_b32 s31, -1
                                        ; implicit-def: $vgpr1
.LBB175_1172:
	s_delay_alu instid0(SALU_CYCLE_1)
	s_and_not1_b32 vcc_lo, exec_lo, s31
	s_cbranch_vccnz .LBB175_1174
; %bb.1173:
	s_wait_loadcnt 0x0
	global_load_b32 v1, v[8:9], off
	s_wait_loadcnt 0x0
	v_bfe_u32 v3, v1, 16, 1
	v_cmp_o_f32_e32 vcc_lo, v1, v1
	s_delay_alu instid0(VALU_DEP_2) | instskip(NEXT) | instid1(VALU_DEP_1)
	v_add3_u32 v3, v1, v3, 0x7fff
	v_lshrrev_b32_e32 v3, 16, v3
	s_delay_alu instid0(VALU_DEP_1)
	v_cndmask_b32_e32 v1, 0x7fc0, v3, vcc_lo
.LBB175_1174:
	s_mov_b32 s31, 0
.LBB175_1175:
	s_delay_alu instid0(SALU_CYCLE_1)
	s_and_not1_b32 vcc_lo, exec_lo, s31
	s_cbranch_vccnz .LBB175_1177
; %bb.1176:
	s_wait_loadcnt 0x0
	global_load_u16 v1, v[8:9], off
	s_wait_loadcnt 0x0
	v_cvt_f32_f16_e32 v3, v1
	v_cmp_o_f16_e32 vcc_lo, v1, v1
	s_delay_alu instid0(VALU_DEP_2) | instskip(NEXT) | instid1(VALU_DEP_1)
	v_bfe_u32 v5, v3, 16, 1
	v_add3_u32 v3, v3, v5, 0x7fff
	s_delay_alu instid0(VALU_DEP_1) | instskip(NEXT) | instid1(VALU_DEP_1)
	v_lshrrev_b32_e32 v3, 16, v3
	v_cndmask_b32_e32 v1, 0x7fc0, v3, vcc_lo
.LBB175_1177:
	s_mov_b32 s31, 0
.LBB175_1178:
	s_delay_alu instid0(SALU_CYCLE_1)
	s_and_not1_b32 vcc_lo, exec_lo, s31
	s_cbranch_vccnz .LBB175_1198
; %bb.1179:
	s_cmp_lt_i32 s0, 2
	s_cbranch_scc1 .LBB175_1183
; %bb.1180:
	s_cmp_lt_i32 s0, 3
	s_cbranch_scc1 .LBB175_1184
; %bb.1181:
	s_cmp_gt_i32 s0, 3
	s_cbranch_scc0 .LBB175_1185
; %bb.1182:
	global_load_b64 v[10:11], v[8:9], off
	s_mov_b32 s31, 0
	s_wait_loadcnt 0x0
	v_xor_b32_e32 v1, v10, v11
	v_cls_i32_e32 v3, v11
	s_delay_alu instid0(VALU_DEP_2) | instskip(NEXT) | instid1(VALU_DEP_1)
	v_ashrrev_i32_e32 v1, 31, v1
	v_add_nc_u32_e32 v1, 32, v1
	s_delay_alu instid0(VALU_DEP_1) | instskip(NEXT) | instid1(VALU_DEP_1)
	v_add_min_u32_e64 v1, v3, -1, v1
	v_lshlrev_b64_e32 v[10:11], v1, v[10:11]
	v_sub_nc_u32_e32 v1, 32, v1
	s_delay_alu instid0(VALU_DEP_2) | instskip(NEXT) | instid1(VALU_DEP_1)
	v_min_u32_e32 v3, 1, v10
	v_or_b32_e32 v3, v11, v3
	s_delay_alu instid0(VALU_DEP_1) | instskip(NEXT) | instid1(VALU_DEP_1)
	v_cvt_f32_i32_e32 v3, v3
	v_ldexp_f32 v1, v3, v1
	s_delay_alu instid0(VALU_DEP_1) | instskip(NEXT) | instid1(VALU_DEP_1)
	v_bfe_u32 v3, v1, 16, 1
	v_add3_u32 v1, v1, v3, 0x7fff
	s_delay_alu instid0(VALU_DEP_1)
	v_lshrrev_b32_e32 v1, 16, v1
	s_branch .LBB175_1186
.LBB175_1183:
	s_mov_b32 s31, -1
                                        ; implicit-def: $vgpr1
	s_branch .LBB175_1192
.LBB175_1184:
	s_mov_b32 s31, -1
                                        ; implicit-def: $vgpr1
	s_branch .LBB175_1189
.LBB175_1185:
	s_mov_b32 s31, -1
                                        ; implicit-def: $vgpr1
.LBB175_1186:
	s_delay_alu instid0(SALU_CYCLE_1)
	s_and_not1_b32 vcc_lo, exec_lo, s31
	s_cbranch_vccnz .LBB175_1188
; %bb.1187:
	s_wait_loadcnt 0x0
	global_load_b32 v1, v[8:9], off
	s_wait_loadcnt 0x0
	v_cvt_f32_i32_e32 v1, v1
	s_delay_alu instid0(VALU_DEP_1) | instskip(NEXT) | instid1(VALU_DEP_1)
	v_bfe_u32 v3, v1, 16, 1
	v_add3_u32 v1, v1, v3, 0x7fff
	s_delay_alu instid0(VALU_DEP_1)
	v_lshrrev_b32_e32 v1, 16, v1
.LBB175_1188:
	s_mov_b32 s31, 0
.LBB175_1189:
	s_delay_alu instid0(SALU_CYCLE_1)
	s_and_not1_b32 vcc_lo, exec_lo, s31
	s_cbranch_vccnz .LBB175_1191
; %bb.1190:
	s_wait_loadcnt 0x0
	global_load_i16 v1, v[8:9], off
	s_wait_loadcnt 0x0
	v_cvt_f32_i32_e32 v1, v1
	s_delay_alu instid0(VALU_DEP_1) | instskip(NEXT) | instid1(VALU_DEP_1)
	v_bfe_u32 v3, v1, 16, 1
	v_add3_u32 v1, v1, v3, 0x7fff
	s_delay_alu instid0(VALU_DEP_1)
	v_lshrrev_b32_e32 v1, 16, v1
.LBB175_1191:
	s_mov_b32 s31, 0
.LBB175_1192:
	s_delay_alu instid0(SALU_CYCLE_1)
	s_and_not1_b32 vcc_lo, exec_lo, s31
	s_cbranch_vccnz .LBB175_1198
; %bb.1193:
	s_cmp_gt_i32 s0, 0
	s_mov_b32 s0, 0
	s_cbranch_scc0 .LBB175_1195
; %bb.1194:
	s_wait_loadcnt 0x0
	global_load_i8 v1, v[8:9], off
	s_wait_loadcnt 0x0
	v_cvt_f32_i32_e32 v1, v1
	s_delay_alu instid0(VALU_DEP_1) | instskip(NEXT) | instid1(VALU_DEP_1)
	v_bfe_u32 v3, v1, 16, 1
	v_add3_u32 v1, v1, v3, 0x7fff
	s_delay_alu instid0(VALU_DEP_1)
	v_lshrrev_b32_e32 v1, 16, v1
	s_branch .LBB175_1196
.LBB175_1195:
	s_mov_b32 s0, -1
                                        ; implicit-def: $vgpr1
.LBB175_1196:
	s_delay_alu instid0(SALU_CYCLE_1)
	s_and_not1_b32 vcc_lo, exec_lo, s0
	s_cbranch_vccnz .LBB175_1198
; %bb.1197:
	s_wait_loadcnt 0x0
	global_load_u8 v1, v[8:9], off
	s_wait_loadcnt 0x0
	v_cvt_f32_ubyte0_e32 v1, v1
	s_delay_alu instid0(VALU_DEP_1) | instskip(NEXT) | instid1(VALU_DEP_1)
	v_bfe_u32 v3, v1, 16, 1
	v_add3_u32 v1, v1, v3, 0x7fff
	s_delay_alu instid0(VALU_DEP_1)
	v_lshrrev_b32_e32 v1, 16, v1
.LBB175_1198:
	s_mov_b32 s34, -1
.LBB175_1199:
	s_delay_alu instid0(SALU_CYCLE_1)
	s_and_not1_b32 vcc_lo, exec_lo, s34
	s_cbranch_vccnz .LBB175_1207
; %bb.1200:
	v_mov_b32_e32 v7, 0
	s_and_b32 s0, s41, 0xff
	s_delay_alu instid0(SALU_CYCLE_1) | instskip(SKIP_1) | instid1(VALU_DEP_1)
	s_cmp_lt_i32 s0, 11
	s_wait_loadcnt 0x0
	v_add_nc_u64_e32 v[6:7], s[8:9], v[6:7]
	s_cbranch_scc1 .LBB175_1208
; %bb.1201:
	s_and_b32 s34, 0xffff, s0
	s_delay_alu instid0(SALU_CYCLE_1)
	s_cmp_gt_i32 s34, 25
	s_cbranch_scc0 .LBB175_1209
; %bb.1202:
	s_cmp_gt_i32 s34, 28
	s_cbranch_scc0 .LBB175_1210
; %bb.1203:
	s_cmp_gt_i32 s34, 43
	s_cbranch_scc0 .LBB175_1211
; %bb.1204:
	s_cmp_gt_i32 s34, 45
	s_cbranch_scc0 .LBB175_1212
; %bb.1205:
	s_cmp_eq_u32 s34, 46
	s_mov_b32 s58, 0
	s_cbranch_scc0 .LBB175_1215
; %bb.1206:
	global_load_b32 v3, v[6:7], off
	s_mov_b32 s35, -1
	s_mov_b32 s31, 0
	s_branch .LBB175_1217
.LBB175_1207:
	s_mov_b32 s35, 0
	s_mov_b32 s0, s53
	;; [unrolled: 1-line block ×4, first 2 shown]
	s_branch .LBB175_1588
.LBB175_1208:
	s_mov_b32 s34, -1
	s_mov_b32 s35, 0
	s_mov_b32 s31, s55
                                        ; implicit-def: $vgpr3
	s_branch .LBB175_1282
.LBB175_1209:
	s_mov_b32 s58, -1
	s_mov_b32 s35, 0
	s_mov_b32 s31, s55
                                        ; implicit-def: $vgpr3
	s_branch .LBB175_1246
.LBB175_1210:
	s_mov_b32 s58, -1
	s_mov_b32 s35, 0
	s_mov_b32 s31, s55
                                        ; implicit-def: $vgpr3
	s_branch .LBB175_1227
.LBB175_1211:
	s_mov_b32 s58, -1
	s_mov_b32 s35, 0
	s_mov_b32 s31, s55
                                        ; implicit-def: $vgpr3
	s_branch .LBB175_1222
.LBB175_1212:
	s_mov_b32 s58, -1
	s_mov_b32 s35, 0
	s_mov_b32 s31, s55
	s_branch .LBB175_1216
.LBB175_1213:
	s_and_not1_saveexec_b32 s55, s55
	s_cbranch_execz .LBB175_965
.LBB175_1214:
	v_add_f32_e64 v5, 0x46000000, |v6|
	s_and_not1_b32 s54, s54, exec_lo
	s_delay_alu instid0(VALU_DEP_1) | instskip(NEXT) | instid1(VALU_DEP_1)
	v_and_b32_e32 v5, 0xff, v5
	v_cmp_ne_u32_e32 vcc_lo, 0, v5
	s_and_b32 s57, vcc_lo, exec_lo
	s_delay_alu instid0(SALU_CYCLE_1)
	s_or_b32 s54, s54, s57
	s_or_b32 exec_lo, exec_lo, s55
	v_mov_b32_e32 v7, 0
	s_and_saveexec_b32 s55, s54
	s_cbranch_execnz .LBB175_966
	s_branch .LBB175_967
.LBB175_1215:
	s_mov_b32 s31, -1
	s_mov_b32 s35, 0
.LBB175_1216:
                                        ; implicit-def: $vgpr3
.LBB175_1217:
	s_and_b32 vcc_lo, exec_lo, s58
	s_cbranch_vccz .LBB175_1221
; %bb.1218:
	s_cmp_eq_u32 s34, 44
	s_cbranch_scc0 .LBB175_1220
; %bb.1219:
	s_wait_loadcnt 0x0
	global_load_u8 v3, v[6:7], off
	s_mov_b32 s31, 0
	s_mov_b32 s35, -1
	s_wait_loadcnt 0x0
	v_lshlrev_b32_e32 v5, 23, v3
	v_cmp_ne_u32_e32 vcc_lo, 0xff, v3
	s_delay_alu instid0(VALU_DEP_2) | instskip(SKIP_1) | instid1(VALU_DEP_2)
	v_cndmask_b32_e32 v5, 0x7f800001, v5, vcc_lo
	v_cmp_ne_u32_e32 vcc_lo, 0, v3
	v_cndmask_b32_e32 v3, 0x400000, v5, vcc_lo
	s_delay_alu instid0(VALU_DEP_1) | instskip(SKIP_1) | instid1(VALU_DEP_2)
	v_add_nc_u32_e32 v5, 0x7fff, v3
	v_cmp_o_f32_e32 vcc_lo, v3, v3
	v_lshrrev_b32_e32 v5, 16, v5
	s_delay_alu instid0(VALU_DEP_1)
	v_cndmask_b32_e32 v3, 0x7fc0, v5, vcc_lo
	s_branch .LBB175_1221
.LBB175_1220:
	s_mov_b32 s31, -1
                                        ; implicit-def: $vgpr3
.LBB175_1221:
	s_mov_b32 s58, 0
.LBB175_1222:
	s_delay_alu instid0(SALU_CYCLE_1)
	s_and_b32 vcc_lo, exec_lo, s58
	s_cbranch_vccz .LBB175_1226
; %bb.1223:
	s_cmp_eq_u32 s34, 29
	s_cbranch_scc0 .LBB175_1225
; %bb.1224:
	global_load_b64 v[8:9], v[6:7], off
	s_mov_b32 s35, -1
	s_mov_b32 s31, 0
	s_mov_b32 s58, 0
	s_wait_loadcnt 0x0
	v_clz_i32_u32_e32 v3, v9
	s_delay_alu instid0(VALU_DEP_1) | instskip(NEXT) | instid1(VALU_DEP_1)
	v_min_u32_e32 v3, 32, v3
	v_lshlrev_b64_e32 v[8:9], v3, v[8:9]
	v_sub_nc_u32_e32 v3, 32, v3
	s_delay_alu instid0(VALU_DEP_2) | instskip(NEXT) | instid1(VALU_DEP_1)
	v_min_u32_e32 v5, 1, v8
	v_or_b32_e32 v5, v9, v5
	s_delay_alu instid0(VALU_DEP_1) | instskip(NEXT) | instid1(VALU_DEP_1)
	v_cvt_f32_u32_e32 v5, v5
	v_ldexp_f32 v3, v5, v3
	s_delay_alu instid0(VALU_DEP_1) | instskip(NEXT) | instid1(VALU_DEP_1)
	v_bfe_u32 v5, v3, 16, 1
	v_add3_u32 v3, v3, v5, 0x7fff
	s_delay_alu instid0(VALU_DEP_1)
	v_lshrrev_b32_e32 v3, 16, v3
	s_branch .LBB175_1227
.LBB175_1225:
	s_mov_b32 s31, -1
                                        ; implicit-def: $vgpr3
.LBB175_1226:
	s_mov_b32 s58, 0
.LBB175_1227:
	s_delay_alu instid0(SALU_CYCLE_1)
	s_and_b32 vcc_lo, exec_lo, s58
	s_cbranch_vccz .LBB175_1245
; %bb.1228:
	s_cmp_lt_i32 s34, 27
	s_cbranch_scc1 .LBB175_1231
; %bb.1229:
	s_cmp_gt_i32 s34, 27
	s_cbranch_scc0 .LBB175_1232
; %bb.1230:
	s_wait_loadcnt 0x0
	global_load_b32 v3, v[6:7], off
	s_mov_b32 s35, 0
	s_wait_loadcnt 0x0
	v_cvt_f32_u32_e32 v3, v3
	s_delay_alu instid0(VALU_DEP_1) | instskip(NEXT) | instid1(VALU_DEP_1)
	v_bfe_u32 v5, v3, 16, 1
	v_add3_u32 v3, v3, v5, 0x7fff
	s_delay_alu instid0(VALU_DEP_1)
	v_lshrrev_b32_e32 v3, 16, v3
	s_branch .LBB175_1233
.LBB175_1231:
	s_mov_b32 s35, -1
                                        ; implicit-def: $vgpr3
	s_branch .LBB175_1236
.LBB175_1232:
	s_mov_b32 s35, -1
                                        ; implicit-def: $vgpr3
.LBB175_1233:
	s_delay_alu instid0(SALU_CYCLE_1)
	s_and_not1_b32 vcc_lo, exec_lo, s35
	s_cbranch_vccnz .LBB175_1235
; %bb.1234:
	s_wait_loadcnt 0x0
	global_load_u16 v3, v[6:7], off
	s_wait_loadcnt 0x0
	v_cvt_f32_u32_e32 v3, v3
	s_delay_alu instid0(VALU_DEP_1) | instskip(NEXT) | instid1(VALU_DEP_1)
	v_bfe_u32 v5, v3, 16, 1
	v_add3_u32 v3, v3, v5, 0x7fff
	s_delay_alu instid0(VALU_DEP_1)
	v_lshrrev_b32_e32 v3, 16, v3
.LBB175_1235:
	s_mov_b32 s35, 0
.LBB175_1236:
	s_delay_alu instid0(SALU_CYCLE_1)
	s_and_not1_b32 vcc_lo, exec_lo, s35
	s_cbranch_vccnz .LBB175_1244
; %bb.1237:
	s_wait_loadcnt 0x0
	global_load_u8 v3, v[6:7], off
	s_mov_b32 s35, 0
	s_mov_b32 s58, exec_lo
	s_wait_loadcnt 0x0
	v_cmpx_lt_i16_e32 0x7f, v3
	s_xor_b32 s58, exec_lo, s58
	s_cbranch_execz .LBB175_1258
; %bb.1238:
	s_mov_b32 s35, -1
	s_mov_b32 s59, exec_lo
	v_cmpx_eq_u16_e32 0x80, v3
; %bb.1239:
	s_xor_b32 s35, exec_lo, -1
; %bb.1240:
	s_or_b32 exec_lo, exec_lo, s59
	s_delay_alu instid0(SALU_CYCLE_1)
	s_and_b32 s35, s35, exec_lo
	s_or_saveexec_b32 s58, s58
	v_mov_b32_e32 v5, 0x7f800001
	s_xor_b32 exec_lo, exec_lo, s58
	s_cbranch_execnz .LBB175_1259
.LBB175_1241:
	s_or_b32 exec_lo, exec_lo, s58
	s_and_saveexec_b32 s58, s35
	s_cbranch_execz .LBB175_1243
.LBB175_1242:
	v_and_b32_e32 v5, 0xffff, v3
	s_delay_alu instid0(VALU_DEP_1) | instskip(SKIP_1) | instid1(VALU_DEP_2)
	v_dual_lshlrev_b32 v3, 24, v3 :: v_dual_bitop2_b32 v8, 7, v5 bitop3:0x40
	v_bfe_u32 v11, v5, 3, 4
	v_and_b32_e32 v3, 0x80000000, v3
	s_delay_alu instid0(VALU_DEP_3) | instskip(NEXT) | instid1(VALU_DEP_3)
	v_clz_i32_u32_e32 v9, v8
	v_cmp_eq_u32_e32 vcc_lo, 0, v11
	s_delay_alu instid0(VALU_DEP_2) | instskip(NEXT) | instid1(VALU_DEP_1)
	v_min_u32_e32 v9, 32, v9
	v_subrev_nc_u32_e32 v10, 28, v9
	v_sub_nc_u32_e32 v9, 29, v9
	s_delay_alu instid0(VALU_DEP_2) | instskip(NEXT) | instid1(VALU_DEP_2)
	v_lshlrev_b32_e32 v5, v10, v5
	v_cndmask_b32_e32 v9, v11, v9, vcc_lo
	s_delay_alu instid0(VALU_DEP_2) | instskip(NEXT) | instid1(VALU_DEP_1)
	v_and_b32_e32 v5, 7, v5
	v_cndmask_b32_e32 v5, v8, v5, vcc_lo
	s_delay_alu instid0(VALU_DEP_3) | instskip(NEXT) | instid1(VALU_DEP_2)
	v_lshl_add_u32 v8, v9, 23, 0x3b800000
	v_lshlrev_b32_e32 v5, 20, v5
	s_delay_alu instid0(VALU_DEP_1)
	v_or3_b32 v5, v3, v8, v5
.LBB175_1243:
	s_or_b32 exec_lo, exec_lo, s58
	s_delay_alu instid0(VALU_DEP_1) | instskip(SKIP_1) | instid1(VALU_DEP_2)
	v_bfe_u32 v3, v5, 16, 1
	v_cmp_o_f32_e32 vcc_lo, v5, v5
	v_add3_u32 v3, v5, v3, 0x7fff
	s_delay_alu instid0(VALU_DEP_1) | instskip(NEXT) | instid1(VALU_DEP_1)
	v_lshrrev_b32_e32 v3, 16, v3
	v_cndmask_b32_e32 v3, 0x7fc0, v3, vcc_lo
.LBB175_1244:
	s_mov_b32 s35, -1
.LBB175_1245:
	s_mov_b32 s58, 0
.LBB175_1246:
	s_delay_alu instid0(SALU_CYCLE_1)
	s_and_b32 vcc_lo, exec_lo, s58
	s_cbranch_vccz .LBB175_1281
; %bb.1247:
	s_cmp_gt_i32 s34, 22
	s_cbranch_scc0 .LBB175_1257
; %bb.1248:
	s_cmp_lt_i32 s34, 24
	s_cbranch_scc1 .LBB175_1260
; %bb.1249:
	s_cmp_gt_i32 s34, 24
	s_cbranch_scc0 .LBB175_1261
; %bb.1250:
	s_wait_loadcnt 0x0
	global_load_u8 v3, v[6:7], off
	s_mov_b32 s35, 0
	s_mov_b32 s58, exec_lo
	s_wait_loadcnt 0x0
	v_cmpx_lt_i16_e32 0x7f, v3
	s_xor_b32 s58, exec_lo, s58
	s_cbranch_execz .LBB175_1273
; %bb.1251:
	s_mov_b32 s35, -1
	s_mov_b32 s59, exec_lo
	v_cmpx_eq_u16_e32 0x80, v3
; %bb.1252:
	s_xor_b32 s35, exec_lo, -1
; %bb.1253:
	s_or_b32 exec_lo, exec_lo, s59
	s_delay_alu instid0(SALU_CYCLE_1)
	s_and_b32 s35, s35, exec_lo
	s_or_saveexec_b32 s58, s58
	v_mov_b32_e32 v5, 0x7f800001
	s_xor_b32 exec_lo, exec_lo, s58
	s_cbranch_execnz .LBB175_1274
.LBB175_1254:
	s_or_b32 exec_lo, exec_lo, s58
	s_and_saveexec_b32 s58, s35
	s_cbranch_execz .LBB175_1256
.LBB175_1255:
	v_and_b32_e32 v5, 0xffff, v3
	s_delay_alu instid0(VALU_DEP_1) | instskip(SKIP_1) | instid1(VALU_DEP_2)
	v_dual_lshlrev_b32 v3, 24, v3 :: v_dual_bitop2_b32 v8, 3, v5 bitop3:0x40
	v_bfe_u32 v11, v5, 2, 5
	v_and_b32_e32 v3, 0x80000000, v3
	s_delay_alu instid0(VALU_DEP_3) | instskip(NEXT) | instid1(VALU_DEP_3)
	v_clz_i32_u32_e32 v9, v8
	v_cmp_eq_u32_e32 vcc_lo, 0, v11
	s_delay_alu instid0(VALU_DEP_2) | instskip(NEXT) | instid1(VALU_DEP_1)
	v_min_u32_e32 v9, 32, v9
	v_subrev_nc_u32_e32 v10, 29, v9
	v_sub_nc_u32_e32 v9, 30, v9
	s_delay_alu instid0(VALU_DEP_2) | instskip(NEXT) | instid1(VALU_DEP_2)
	v_lshlrev_b32_e32 v5, v10, v5
	v_cndmask_b32_e32 v9, v11, v9, vcc_lo
	s_delay_alu instid0(VALU_DEP_2) | instskip(NEXT) | instid1(VALU_DEP_1)
	v_and_b32_e32 v5, 3, v5
	v_cndmask_b32_e32 v5, v8, v5, vcc_lo
	s_delay_alu instid0(VALU_DEP_3) | instskip(NEXT) | instid1(VALU_DEP_2)
	v_lshl_add_u32 v8, v9, 23, 0x37800000
	v_lshlrev_b32_e32 v5, 21, v5
	s_delay_alu instid0(VALU_DEP_1)
	v_or3_b32 v5, v3, v8, v5
.LBB175_1256:
	s_or_b32 exec_lo, exec_lo, s58
	s_delay_alu instid0(VALU_DEP_1) | instskip(SKIP_2) | instid1(VALU_DEP_2)
	v_bfe_u32 v3, v5, 16, 1
	v_cmp_o_f32_e32 vcc_lo, v5, v5
	s_mov_b32 s35, 0
	v_add3_u32 v3, v5, v3, 0x7fff
	s_delay_alu instid0(VALU_DEP_1) | instskip(NEXT) | instid1(VALU_DEP_1)
	v_lshrrev_b32_e32 v3, 16, v3
	v_cndmask_b32_e32 v3, 0x7fc0, v3, vcc_lo
	s_branch .LBB175_1262
.LBB175_1257:
	s_mov_b32 s58, -1
                                        ; implicit-def: $vgpr3
	s_branch .LBB175_1268
.LBB175_1258:
	s_or_saveexec_b32 s58, s58
	v_mov_b32_e32 v5, 0x7f800001
	s_xor_b32 exec_lo, exec_lo, s58
	s_cbranch_execz .LBB175_1241
.LBB175_1259:
	v_cmp_ne_u16_e32 vcc_lo, 0, v3
	v_mov_b32_e32 v5, 0
	s_and_not1_b32 s35, s35, exec_lo
	s_and_b32 s59, vcc_lo, exec_lo
	s_delay_alu instid0(SALU_CYCLE_1)
	s_or_b32 s35, s35, s59
	s_or_b32 exec_lo, exec_lo, s58
	s_and_saveexec_b32 s58, s35
	s_cbranch_execnz .LBB175_1242
	s_branch .LBB175_1243
.LBB175_1260:
	s_mov_b32 s35, -1
                                        ; implicit-def: $vgpr3
	s_branch .LBB175_1265
.LBB175_1261:
	s_mov_b32 s35, -1
                                        ; implicit-def: $vgpr3
.LBB175_1262:
	s_delay_alu instid0(SALU_CYCLE_1)
	s_and_b32 vcc_lo, exec_lo, s35
	s_cbranch_vccz .LBB175_1264
; %bb.1263:
	s_wait_loadcnt 0x0
	global_load_u8 v3, v[6:7], off
	s_wait_loadcnt 0x0
	v_lshlrev_b32_e32 v3, 24, v3
	s_delay_alu instid0(VALU_DEP_1) | instskip(SKIP_1) | instid1(VALU_DEP_1)
	v_and_b32_e32 v5, 0x7f000000, v3
	s_wait_xcnt 0x1
	v_clz_i32_u32_e32 v8, v5
	v_cmp_ne_u32_e32 vcc_lo, 0, v5
	v_add_nc_u32_e32 v10, 0x1000000, v5
	s_delay_alu instid0(VALU_DEP_3) | instskip(NEXT) | instid1(VALU_DEP_1)
	v_min_u32_e32 v8, 32, v8
	v_sub_nc_u32_e64 v8, v8, 4 clamp
	s_delay_alu instid0(VALU_DEP_1) | instskip(NEXT) | instid1(VALU_DEP_1)
	v_dual_lshlrev_b32 v9, v8, v5 :: v_dual_lshlrev_b32 v8, 23, v8
	v_lshrrev_b32_e32 v9, 4, v9
	s_delay_alu instid0(VALU_DEP_1) | instskip(NEXT) | instid1(VALU_DEP_1)
	v_dual_sub_nc_u32 v8, v9, v8 :: v_dual_ashrrev_i32 v9, 8, v10
	v_add_nc_u32_e32 v8, 0x3c000000, v8
	s_delay_alu instid0(VALU_DEP_1) | instskip(NEXT) | instid1(VALU_DEP_1)
	v_and_or_b32 v8, 0x7f800000, v9, v8
	v_cndmask_b32_e32 v5, 0, v8, vcc_lo
	s_delay_alu instid0(VALU_DEP_1) | instskip(SKIP_1) | instid1(VALU_DEP_2)
	v_and_or_b32 v3, 0x80000000, v3, v5
	v_bfe_u32 v5, v5, 16, 1
	v_cmp_o_f32_e32 vcc_lo, v3, v3
	s_delay_alu instid0(VALU_DEP_2) | instskip(NEXT) | instid1(VALU_DEP_1)
	v_add3_u32 v5, v3, v5, 0x7fff
	v_lshrrev_b32_e32 v5, 16, v5
	s_delay_alu instid0(VALU_DEP_1)
	v_cndmask_b32_e32 v3, 0x7fc0, v5, vcc_lo
.LBB175_1264:
	s_mov_b32 s35, 0
.LBB175_1265:
	s_delay_alu instid0(SALU_CYCLE_1)
	s_and_not1_b32 vcc_lo, exec_lo, s35
	s_cbranch_vccnz .LBB175_1267
; %bb.1266:
	s_wait_loadcnt 0x0
	global_load_u8 v3, v[6:7], off
	s_wait_loadcnt 0x0
	v_lshlrev_b32_e32 v5, 25, v3
	v_lshlrev_b16 v3, 8, v3
	s_wait_xcnt 0x1
	s_delay_alu instid0(VALU_DEP_1) | instskip(SKIP_1) | instid1(VALU_DEP_2)
	v_and_or_b32 v9, 0x7f00, v3, 0.5
	v_bfe_i32 v3, v3, 0, 16
	v_add_f32_e32 v9, -0.5, v9
	v_lshrrev_b32_e32 v8, 4, v5
	v_cmp_gt_u32_e32 vcc_lo, 0x8000000, v5
	s_delay_alu instid0(VALU_DEP_2) | instskip(NEXT) | instid1(VALU_DEP_1)
	v_or_b32_e32 v8, 0x70000000, v8
	v_mul_f32_e32 v8, 0x7800000, v8
	s_delay_alu instid0(VALU_DEP_1) | instskip(NEXT) | instid1(VALU_DEP_1)
	v_cndmask_b32_e32 v5, v8, v9, vcc_lo
	v_and_or_b32 v3, 0x80000000, v3, v5
	v_bfe_u32 v5, v5, 16, 1
	s_delay_alu instid0(VALU_DEP_2) | instskip(NEXT) | instid1(VALU_DEP_2)
	v_cmp_o_f32_e32 vcc_lo, v3, v3
	v_add3_u32 v5, v3, v5, 0x7fff
	s_delay_alu instid0(VALU_DEP_1) | instskip(NEXT) | instid1(VALU_DEP_1)
	v_lshrrev_b32_e32 v5, 16, v5
	v_cndmask_b32_e32 v3, 0x7fc0, v5, vcc_lo
.LBB175_1267:
	s_mov_b32 s58, 0
	s_mov_b32 s35, -1
.LBB175_1268:
	s_and_not1_b32 vcc_lo, exec_lo, s58
	s_cbranch_vccnz .LBB175_1281
; %bb.1269:
	s_cmp_gt_i32 s34, 14
	s_cbranch_scc0 .LBB175_1272
; %bb.1270:
	s_cmp_eq_u32 s34, 15
	s_cbranch_scc0 .LBB175_1275
; %bb.1271:
	s_wait_loadcnt 0x0
	global_load_u16 v3, v[6:7], off
	s_mov_b32 s35, -1
	s_mov_b32 s31, 0
	s_branch .LBB175_1276
.LBB175_1272:
	s_mov_b32 s58, -1
                                        ; implicit-def: $vgpr3
	s_branch .LBB175_1277
.LBB175_1273:
	s_or_saveexec_b32 s58, s58
	v_mov_b32_e32 v5, 0x7f800001
	s_xor_b32 exec_lo, exec_lo, s58
	s_cbranch_execz .LBB175_1254
.LBB175_1274:
	v_cmp_ne_u16_e32 vcc_lo, 0, v3
	v_mov_b32_e32 v5, 0
	s_and_not1_b32 s35, s35, exec_lo
	s_and_b32 s59, vcc_lo, exec_lo
	s_delay_alu instid0(SALU_CYCLE_1)
	s_or_b32 s35, s35, s59
	s_or_b32 exec_lo, exec_lo, s58
	s_and_saveexec_b32 s58, s35
	s_cbranch_execnz .LBB175_1255
	s_branch .LBB175_1256
.LBB175_1275:
	s_mov_b32 s31, -1
                                        ; implicit-def: $vgpr3
.LBB175_1276:
	s_mov_b32 s58, 0
.LBB175_1277:
	s_delay_alu instid0(SALU_CYCLE_1)
	s_and_b32 vcc_lo, exec_lo, s58
	s_cbranch_vccz .LBB175_1281
; %bb.1278:
	s_cmp_eq_u32 s34, 11
	s_cbranch_scc0 .LBB175_1280
; %bb.1279:
	s_wait_loadcnt 0x0
	global_load_u8 v3, v[6:7], off
	s_mov_b32 s31, 0
	s_mov_b32 s35, -1
	s_wait_loadcnt 0x0
	v_cmp_ne_u16_e32 vcc_lo, 0, v3
	v_cndmask_b32_e64 v3, 0, 1.0, vcc_lo
	s_delay_alu instid0(VALU_DEP_1)
	v_lshrrev_b32_e32 v3, 16, v3
	s_branch .LBB175_1281
.LBB175_1280:
	s_mov_b32 s31, -1
                                        ; implicit-def: $vgpr3
.LBB175_1281:
	s_mov_b32 s34, 0
.LBB175_1282:
	s_delay_alu instid0(SALU_CYCLE_1)
	s_and_b32 vcc_lo, exec_lo, s34
	s_cbranch_vccz .LBB175_1331
; %bb.1283:
	s_and_b32 s0, 0xffff, s0
	s_delay_alu instid0(SALU_CYCLE_1)
	s_cmp_lt_i32 s0, 5
	s_cbranch_scc1 .LBB175_1288
; %bb.1284:
	s_cmp_lt_i32 s0, 8
	s_cbranch_scc1 .LBB175_1289
; %bb.1285:
	;; [unrolled: 3-line block ×3, first 2 shown]
	s_cmp_gt_i32 s0, 9
	s_cbranch_scc0 .LBB175_1291
; %bb.1287:
	global_load_b64 v[8:9], v[6:7], off
	s_mov_b32 s34, 0
	s_wait_loadcnt 0x0
	v_cvt_f32_f64_e32 v3, v[8:9]
	s_delay_alu instid0(VALU_DEP_1) | instskip(SKIP_1) | instid1(VALU_DEP_2)
	v_bfe_u32 v5, v3, 16, 1
	v_cmp_o_f32_e32 vcc_lo, v3, v3
	v_add3_u32 v5, v3, v5, 0x7fff
	s_delay_alu instid0(VALU_DEP_1) | instskip(NEXT) | instid1(VALU_DEP_1)
	v_lshrrev_b32_e32 v5, 16, v5
	v_cndmask_b32_e32 v3, 0x7fc0, v5, vcc_lo
	s_branch .LBB175_1292
.LBB175_1288:
	s_mov_b32 s34, -1
                                        ; implicit-def: $vgpr3
	s_branch .LBB175_1310
.LBB175_1289:
	s_mov_b32 s34, -1
                                        ; implicit-def: $vgpr3
	s_branch .LBB175_1298
.LBB175_1290:
	s_mov_b32 s34, -1
                                        ; implicit-def: $vgpr3
	s_branch .LBB175_1295
.LBB175_1291:
	s_mov_b32 s34, -1
                                        ; implicit-def: $vgpr3
.LBB175_1292:
	s_delay_alu instid0(SALU_CYCLE_1)
	s_and_not1_b32 vcc_lo, exec_lo, s34
	s_cbranch_vccnz .LBB175_1294
; %bb.1293:
	s_wait_loadcnt 0x0
	global_load_b32 v3, v[6:7], off
	s_wait_loadcnt 0x0
	v_bfe_u32 v5, v3, 16, 1
	v_cmp_o_f32_e32 vcc_lo, v3, v3
	s_delay_alu instid0(VALU_DEP_2) | instskip(NEXT) | instid1(VALU_DEP_1)
	v_add3_u32 v5, v3, v5, 0x7fff
	v_lshrrev_b32_e32 v5, 16, v5
	s_delay_alu instid0(VALU_DEP_1)
	v_cndmask_b32_e32 v3, 0x7fc0, v5, vcc_lo
.LBB175_1294:
	s_mov_b32 s34, 0
.LBB175_1295:
	s_delay_alu instid0(SALU_CYCLE_1)
	s_and_not1_b32 vcc_lo, exec_lo, s34
	s_cbranch_vccnz .LBB175_1297
; %bb.1296:
	s_wait_loadcnt 0x0
	global_load_b32 v3, v[6:7], off
	s_wait_loadcnt 0x0
	v_cvt_f32_f16_e32 v5, v3
	v_cmp_o_f16_e32 vcc_lo, v3, v3
	s_wait_xcnt 0x1
	s_delay_alu instid0(VALU_DEP_2) | instskip(NEXT) | instid1(VALU_DEP_1)
	v_bfe_u32 v8, v5, 16, 1
	v_add3_u32 v5, v5, v8, 0x7fff
	s_delay_alu instid0(VALU_DEP_1) | instskip(NEXT) | instid1(VALU_DEP_1)
	v_lshrrev_b32_e32 v5, 16, v5
	v_cndmask_b32_e32 v3, 0x7fc0, v5, vcc_lo
.LBB175_1297:
	s_mov_b32 s34, 0
.LBB175_1298:
	s_delay_alu instid0(SALU_CYCLE_1)
	s_and_not1_b32 vcc_lo, exec_lo, s34
	s_cbranch_vccnz .LBB175_1309
; %bb.1299:
	s_cmp_lt_i32 s0, 6
	s_cbranch_scc1 .LBB175_1302
; %bb.1300:
	s_cmp_gt_i32 s0, 6
	s_cbranch_scc0 .LBB175_1303
; %bb.1301:
	global_load_b64 v[8:9], v[6:7], off
	s_mov_b32 s34, 0
	s_wait_loadcnt 0x0
	v_cvt_f32_f64_e32 v3, v[8:9]
	s_delay_alu instid0(VALU_DEP_1) | instskip(SKIP_1) | instid1(VALU_DEP_2)
	v_bfe_u32 v5, v3, 16, 1
	v_cmp_o_f32_e32 vcc_lo, v3, v3
	v_add3_u32 v5, v3, v5, 0x7fff
	s_delay_alu instid0(VALU_DEP_1) | instskip(NEXT) | instid1(VALU_DEP_1)
	v_lshrrev_b32_e32 v5, 16, v5
	v_cndmask_b32_e32 v3, 0x7fc0, v5, vcc_lo
	s_branch .LBB175_1304
.LBB175_1302:
	s_mov_b32 s34, -1
                                        ; implicit-def: $vgpr3
	s_branch .LBB175_1307
.LBB175_1303:
	s_mov_b32 s34, -1
                                        ; implicit-def: $vgpr3
.LBB175_1304:
	s_delay_alu instid0(SALU_CYCLE_1)
	s_and_not1_b32 vcc_lo, exec_lo, s34
	s_cbranch_vccnz .LBB175_1306
; %bb.1305:
	s_wait_loadcnt 0x0
	global_load_b32 v3, v[6:7], off
	s_wait_loadcnt 0x0
	v_bfe_u32 v5, v3, 16, 1
	v_cmp_o_f32_e32 vcc_lo, v3, v3
	s_delay_alu instid0(VALU_DEP_2) | instskip(NEXT) | instid1(VALU_DEP_1)
	v_add3_u32 v5, v3, v5, 0x7fff
	v_lshrrev_b32_e32 v5, 16, v5
	s_delay_alu instid0(VALU_DEP_1)
	v_cndmask_b32_e32 v3, 0x7fc0, v5, vcc_lo
.LBB175_1306:
	s_mov_b32 s34, 0
.LBB175_1307:
	s_delay_alu instid0(SALU_CYCLE_1)
	s_and_not1_b32 vcc_lo, exec_lo, s34
	s_cbranch_vccnz .LBB175_1309
; %bb.1308:
	s_wait_loadcnt 0x0
	global_load_u16 v3, v[6:7], off
	s_wait_loadcnt 0x0
	v_cvt_f32_f16_e32 v5, v3
	v_cmp_o_f16_e32 vcc_lo, v3, v3
	s_wait_xcnt 0x1
	s_delay_alu instid0(VALU_DEP_2) | instskip(NEXT) | instid1(VALU_DEP_1)
	v_bfe_u32 v8, v5, 16, 1
	v_add3_u32 v5, v5, v8, 0x7fff
	s_delay_alu instid0(VALU_DEP_1) | instskip(NEXT) | instid1(VALU_DEP_1)
	v_lshrrev_b32_e32 v5, 16, v5
	v_cndmask_b32_e32 v3, 0x7fc0, v5, vcc_lo
.LBB175_1309:
	s_mov_b32 s34, 0
.LBB175_1310:
	s_delay_alu instid0(SALU_CYCLE_1)
	s_and_not1_b32 vcc_lo, exec_lo, s34
	s_cbranch_vccnz .LBB175_1330
; %bb.1311:
	s_cmp_lt_i32 s0, 2
	s_cbranch_scc1 .LBB175_1315
; %bb.1312:
	s_cmp_lt_i32 s0, 3
	s_cbranch_scc1 .LBB175_1316
; %bb.1313:
	s_cmp_gt_i32 s0, 3
	s_cbranch_scc0 .LBB175_1317
; %bb.1314:
	global_load_b64 v[8:9], v[6:7], off
	s_mov_b32 s34, 0
	s_wait_loadcnt 0x0
	v_xor_b32_e32 v3, v8, v9
	v_cls_i32_e32 v5, v9
	s_delay_alu instid0(VALU_DEP_2) | instskip(NEXT) | instid1(VALU_DEP_1)
	v_ashrrev_i32_e32 v3, 31, v3
	v_add_nc_u32_e32 v3, 32, v3
	s_delay_alu instid0(VALU_DEP_1) | instskip(NEXT) | instid1(VALU_DEP_1)
	v_add_min_u32_e64 v3, v5, -1, v3
	v_lshlrev_b64_e32 v[8:9], v3, v[8:9]
	v_sub_nc_u32_e32 v3, 32, v3
	s_delay_alu instid0(VALU_DEP_2) | instskip(NEXT) | instid1(VALU_DEP_1)
	v_min_u32_e32 v5, 1, v8
	v_or_b32_e32 v5, v9, v5
	s_delay_alu instid0(VALU_DEP_1) | instskip(NEXT) | instid1(VALU_DEP_1)
	v_cvt_f32_i32_e32 v5, v5
	v_ldexp_f32 v3, v5, v3
	s_delay_alu instid0(VALU_DEP_1) | instskip(NEXT) | instid1(VALU_DEP_1)
	v_bfe_u32 v5, v3, 16, 1
	v_add3_u32 v3, v3, v5, 0x7fff
	s_delay_alu instid0(VALU_DEP_1)
	v_lshrrev_b32_e32 v3, 16, v3
	s_branch .LBB175_1318
.LBB175_1315:
	s_mov_b32 s34, -1
                                        ; implicit-def: $vgpr3
	s_branch .LBB175_1324
.LBB175_1316:
	s_mov_b32 s34, -1
                                        ; implicit-def: $vgpr3
	s_branch .LBB175_1321
.LBB175_1317:
	s_mov_b32 s34, -1
                                        ; implicit-def: $vgpr3
.LBB175_1318:
	s_delay_alu instid0(SALU_CYCLE_1)
	s_and_not1_b32 vcc_lo, exec_lo, s34
	s_cbranch_vccnz .LBB175_1320
; %bb.1319:
	s_wait_loadcnt 0x0
	global_load_b32 v3, v[6:7], off
	s_wait_loadcnt 0x0
	v_cvt_f32_i32_e32 v3, v3
	s_delay_alu instid0(VALU_DEP_1) | instskip(NEXT) | instid1(VALU_DEP_1)
	v_bfe_u32 v5, v3, 16, 1
	v_add3_u32 v3, v3, v5, 0x7fff
	s_delay_alu instid0(VALU_DEP_1)
	v_lshrrev_b32_e32 v3, 16, v3
.LBB175_1320:
	s_mov_b32 s34, 0
.LBB175_1321:
	s_delay_alu instid0(SALU_CYCLE_1)
	s_and_not1_b32 vcc_lo, exec_lo, s34
	s_cbranch_vccnz .LBB175_1323
; %bb.1322:
	s_wait_loadcnt 0x0
	global_load_i16 v3, v[6:7], off
	s_wait_loadcnt 0x0
	v_cvt_f32_i32_e32 v3, v3
	s_delay_alu instid0(VALU_DEP_1) | instskip(NEXT) | instid1(VALU_DEP_1)
	v_bfe_u32 v5, v3, 16, 1
	v_add3_u32 v3, v3, v5, 0x7fff
	s_delay_alu instid0(VALU_DEP_1)
	v_lshrrev_b32_e32 v3, 16, v3
.LBB175_1323:
	s_mov_b32 s34, 0
.LBB175_1324:
	s_delay_alu instid0(SALU_CYCLE_1)
	s_and_not1_b32 vcc_lo, exec_lo, s34
	s_cbranch_vccnz .LBB175_1330
; %bb.1325:
	s_cmp_gt_i32 s0, 0
	s_mov_b32 s0, 0
	s_cbranch_scc0 .LBB175_1327
; %bb.1326:
	s_wait_loadcnt 0x0
	global_load_i8 v3, v[6:7], off
	s_wait_loadcnt 0x0
	v_cvt_f32_i32_e32 v3, v3
	s_delay_alu instid0(VALU_DEP_1) | instskip(NEXT) | instid1(VALU_DEP_1)
	v_bfe_u32 v5, v3, 16, 1
	v_add3_u32 v3, v3, v5, 0x7fff
	s_delay_alu instid0(VALU_DEP_1)
	v_lshrrev_b32_e32 v3, 16, v3
	s_branch .LBB175_1328
.LBB175_1327:
	s_mov_b32 s0, -1
                                        ; implicit-def: $vgpr3
.LBB175_1328:
	s_delay_alu instid0(SALU_CYCLE_1)
	s_and_not1_b32 vcc_lo, exec_lo, s0
	s_cbranch_vccnz .LBB175_1330
; %bb.1329:
	s_wait_loadcnt 0x0
	global_load_u8 v3, v[6:7], off
	s_wait_loadcnt 0x0
	v_cvt_f32_ubyte0_e32 v3, v3
	s_delay_alu instid0(VALU_DEP_1) | instskip(NEXT) | instid1(VALU_DEP_1)
	v_bfe_u32 v5, v3, 16, 1
	v_add3_u32 v3, v3, v5, 0x7fff
	s_delay_alu instid0(VALU_DEP_1)
	v_lshrrev_b32_e32 v3, 16, v3
.LBB175_1330:
	s_mov_b32 s35, -1
.LBB175_1331:
	s_delay_alu instid0(SALU_CYCLE_1)
	s_and_not1_b32 vcc_lo, exec_lo, s35
	s_cbranch_vccnz .LBB175_1339
; %bb.1332:
	v_mov_b32_e32 v5, 0
	s_and_b32 s0, 0xffff, s40
	s_delay_alu instid0(SALU_CYCLE_1) | instskip(NEXT) | instid1(VALU_DEP_1)
	s_cmp_lt_i32 s0, 11
	v_add_nc_u64_e32 v[4:5], s[10:11], v[4:5]
	s_cbranch_scc1 .LBB175_1340
; %bb.1333:
	s_cmp_gt_i32 s0, 25
	s_cbranch_scc0 .LBB175_1341
; %bb.1334:
	s_cmp_gt_i32 s0, 28
	s_cbranch_scc0 .LBB175_1342
	;; [unrolled: 3-line block ×4, first 2 shown]
; %bb.1337:
	s_cmp_eq_u32 s0, 46
	s_mov_b32 s58, 0
	s_cbranch_scc0 .LBB175_1347
; %bb.1338:
	global_load_b32 v6, v[4:5], off
	s_mov_b32 s35, -1
	s_mov_b32 s34, 0
	s_branch .LBB175_1349
.LBB175_1339:
	s_mov_b32 s35, 0
	s_mov_b32 s0, s53
	;; [unrolled: 1-line block ×3, first 2 shown]
	s_branch .LBB175_1588
.LBB175_1340:
	s_mov_b32 s58, -1
	s_mov_b32 s35, 0
	s_mov_b32 s34, s54
                                        ; implicit-def: $vgpr6
	s_branch .LBB175_1414
.LBB175_1341:
	s_mov_b32 s58, -1
	s_mov_b32 s35, 0
	s_mov_b32 s34, s54
                                        ; implicit-def: $vgpr6
	s_branch .LBB175_1378
.LBB175_1342:
	s_mov_b32 s58, -1
	s_mov_b32 s35, 0
	s_mov_b32 s34, s54
                                        ; implicit-def: $vgpr6
	s_branch .LBB175_1359
.LBB175_1343:
	s_mov_b32 s58, -1
	s_mov_b32 s35, 0
	s_mov_b32 s34, s54
                                        ; implicit-def: $vgpr6
	s_branch .LBB175_1354
.LBB175_1344:
	s_mov_b32 s58, -1
	s_mov_b32 s35, 0
	s_mov_b32 s34, s54
	s_branch .LBB175_1348
.LBB175_1345:
	s_and_not1_saveexec_b32 s55, s55
	s_cbranch_execz .LBB175_978
.LBB175_1346:
	v_add_f32_e64 v5, 0x42800000, |v6|
	s_and_not1_b32 s54, s54, exec_lo
	s_delay_alu instid0(VALU_DEP_1) | instskip(NEXT) | instid1(VALU_DEP_1)
	v_and_b32_e32 v5, 0xff, v5
	v_cmp_ne_u32_e32 vcc_lo, 0, v5
	s_and_b32 s57, vcc_lo, exec_lo
	s_delay_alu instid0(SALU_CYCLE_1)
	s_or_b32 s54, s54, s57
	s_or_b32 exec_lo, exec_lo, s55
	v_mov_b32_e32 v7, 0
	s_and_saveexec_b32 s55, s54
	s_cbranch_execnz .LBB175_979
	s_branch .LBB175_980
.LBB175_1347:
	s_mov_b32 s34, -1
	s_mov_b32 s35, 0
.LBB175_1348:
                                        ; implicit-def: $vgpr6
.LBB175_1349:
	s_and_b32 vcc_lo, exec_lo, s58
	s_cbranch_vccz .LBB175_1353
; %bb.1350:
	s_cmp_eq_u32 s0, 44
	s_cbranch_scc0 .LBB175_1352
; %bb.1351:
	s_wait_loadcnt 0x0
	global_load_u8 v6, v[4:5], off
	s_mov_b32 s34, 0
	s_mov_b32 s35, -1
	s_wait_loadcnt 0x0
	v_lshlrev_b32_e32 v7, 23, v6
	v_cmp_ne_u32_e32 vcc_lo, 0xff, v6
	s_delay_alu instid0(VALU_DEP_2) | instskip(SKIP_1) | instid1(VALU_DEP_2)
	v_cndmask_b32_e32 v7, 0x7f800001, v7, vcc_lo
	v_cmp_ne_u32_e32 vcc_lo, 0, v6
	v_cndmask_b32_e32 v6, 0x400000, v7, vcc_lo
	s_delay_alu instid0(VALU_DEP_1) | instskip(NEXT) | instid1(VALU_DEP_1)
	v_add_nc_u32_e32 v7, 0x7fff, v6
	v_lshrrev_b32_e32 v7, 16, v7
	v_cmp_o_f32_e32 vcc_lo, v6, v6
	s_delay_alu instid0(VALU_DEP_2)
	v_cndmask_b32_e32 v6, 0x7fc0, v7, vcc_lo
	s_branch .LBB175_1353
.LBB175_1352:
	s_mov_b32 s34, -1
                                        ; implicit-def: $vgpr6
.LBB175_1353:
	s_mov_b32 s58, 0
.LBB175_1354:
	s_delay_alu instid0(SALU_CYCLE_1)
	s_and_b32 vcc_lo, exec_lo, s58
	s_cbranch_vccz .LBB175_1358
; %bb.1355:
	s_cmp_eq_u32 s0, 29
	s_cbranch_scc0 .LBB175_1357
; %bb.1356:
	s_wait_loadcnt 0x0
	global_load_b64 v[6:7], v[4:5], off
	s_mov_b32 s35, -1
	s_mov_b32 s34, 0
	s_mov_b32 s58, 0
	s_wait_loadcnt 0x0
	v_clz_i32_u32_e32 v8, v7
	s_delay_alu instid0(VALU_DEP_1) | instskip(NEXT) | instid1(VALU_DEP_1)
	v_min_u32_e32 v8, 32, v8
	v_lshlrev_b64_e32 v[6:7], v8, v[6:7]
	s_delay_alu instid0(VALU_DEP_1) | instskip(NEXT) | instid1(VALU_DEP_1)
	v_min_u32_e32 v6, 1, v6
	v_dual_sub_nc_u32 v7, 32, v8 :: v_dual_bitop2_b32 v6, v7, v6 bitop3:0x54
	s_delay_alu instid0(VALU_DEP_1) | instskip(NEXT) | instid1(VALU_DEP_1)
	v_cvt_f32_u32_e32 v6, v6
	v_ldexp_f32 v6, v6, v7
	s_delay_alu instid0(VALU_DEP_1) | instskip(NEXT) | instid1(VALU_DEP_1)
	v_bfe_u32 v7, v6, 16, 1
	v_add3_u32 v6, v6, v7, 0x7fff
	s_delay_alu instid0(VALU_DEP_1)
	v_lshrrev_b32_e32 v6, 16, v6
	s_branch .LBB175_1359
.LBB175_1357:
	s_mov_b32 s34, -1
                                        ; implicit-def: $vgpr6
.LBB175_1358:
	s_mov_b32 s58, 0
.LBB175_1359:
	s_delay_alu instid0(SALU_CYCLE_1)
	s_and_b32 vcc_lo, exec_lo, s58
	s_cbranch_vccz .LBB175_1377
; %bb.1360:
	s_cmp_lt_i32 s0, 27
	s_cbranch_scc1 .LBB175_1363
; %bb.1361:
	s_cmp_gt_i32 s0, 27
	s_cbranch_scc0 .LBB175_1364
; %bb.1362:
	s_wait_loadcnt 0x0
	global_load_b32 v6, v[4:5], off
	s_mov_b32 s35, 0
	s_wait_loadcnt 0x0
	v_cvt_f32_u32_e32 v6, v6
	s_delay_alu instid0(VALU_DEP_1) | instskip(NEXT) | instid1(VALU_DEP_1)
	v_bfe_u32 v7, v6, 16, 1
	v_add3_u32 v6, v6, v7, 0x7fff
	s_delay_alu instid0(VALU_DEP_1)
	v_lshrrev_b32_e32 v6, 16, v6
	s_branch .LBB175_1365
.LBB175_1363:
	s_mov_b32 s35, -1
                                        ; implicit-def: $vgpr6
	s_branch .LBB175_1368
.LBB175_1364:
	s_mov_b32 s35, -1
                                        ; implicit-def: $vgpr6
.LBB175_1365:
	s_delay_alu instid0(SALU_CYCLE_1)
	s_and_not1_b32 vcc_lo, exec_lo, s35
	s_cbranch_vccnz .LBB175_1367
; %bb.1366:
	s_wait_loadcnt 0x0
	global_load_u16 v6, v[4:5], off
	s_wait_loadcnt 0x0
	v_cvt_f32_u32_e32 v6, v6
	s_delay_alu instid0(VALU_DEP_1) | instskip(NEXT) | instid1(VALU_DEP_1)
	v_bfe_u32 v7, v6, 16, 1
	v_add3_u32 v6, v6, v7, 0x7fff
	s_delay_alu instid0(VALU_DEP_1)
	v_lshrrev_b32_e32 v6, 16, v6
.LBB175_1367:
	s_mov_b32 s35, 0
.LBB175_1368:
	s_delay_alu instid0(SALU_CYCLE_1)
	s_and_not1_b32 vcc_lo, exec_lo, s35
	s_cbranch_vccnz .LBB175_1376
; %bb.1369:
	s_wait_loadcnt 0x0
	global_load_u8 v6, v[4:5], off
	s_mov_b32 s35, 0
	s_mov_b32 s58, exec_lo
	s_wait_loadcnt 0x0
	v_cmpx_lt_i16_e32 0x7f, v6
	s_xor_b32 s58, exec_lo, s58
	s_cbranch_execz .LBB175_1390
; %bb.1370:
	s_mov_b32 s35, -1
	s_mov_b32 s59, exec_lo
	v_cmpx_eq_u16_e32 0x80, v6
; %bb.1371:
	s_xor_b32 s35, exec_lo, -1
; %bb.1372:
	s_or_b32 exec_lo, exec_lo, s59
	s_delay_alu instid0(SALU_CYCLE_1)
	s_and_b32 s35, s35, exec_lo
	s_or_saveexec_b32 s58, s58
	v_mov_b32_e32 v7, 0x7f800001
	s_xor_b32 exec_lo, exec_lo, s58
	s_cbranch_execnz .LBB175_1391
.LBB175_1373:
	s_or_b32 exec_lo, exec_lo, s58
	s_and_saveexec_b32 s58, s35
	s_cbranch_execz .LBB175_1375
.LBB175_1374:
	v_and_b32_e32 v7, 0xffff, v6
	s_delay_alu instid0(VALU_DEP_1) | instskip(SKIP_1) | instid1(VALU_DEP_2)
	v_and_b32_e32 v8, 7, v7
	v_bfe_u32 v11, v7, 3, 4
	v_clz_i32_u32_e32 v9, v8
	s_delay_alu instid0(VALU_DEP_2) | instskip(NEXT) | instid1(VALU_DEP_2)
	v_cmp_eq_u32_e32 vcc_lo, 0, v11
	v_min_u32_e32 v9, 32, v9
	s_delay_alu instid0(VALU_DEP_1) | instskip(NEXT) | instid1(VALU_DEP_1)
	v_subrev_nc_u32_e32 v10, 28, v9
	v_dual_lshlrev_b32 v7, v10, v7 :: v_dual_sub_nc_u32 v9, 29, v9
	s_delay_alu instid0(VALU_DEP_1) | instskip(NEXT) | instid1(VALU_DEP_1)
	v_dual_lshlrev_b32 v6, 24, v6 :: v_dual_bitop2_b32 v7, 7, v7 bitop3:0x40
	v_dual_cndmask_b32 v9, v11, v9, vcc_lo :: v_dual_cndmask_b32 v7, v8, v7, vcc_lo
	s_delay_alu instid0(VALU_DEP_2) | instskip(NEXT) | instid1(VALU_DEP_2)
	v_and_b32_e32 v6, 0x80000000, v6
	v_lshl_add_u32 v8, v9, 23, 0x3b800000
	s_delay_alu instid0(VALU_DEP_3) | instskip(NEXT) | instid1(VALU_DEP_1)
	v_lshlrev_b32_e32 v7, 20, v7
	v_or3_b32 v7, v6, v8, v7
.LBB175_1375:
	s_or_b32 exec_lo, exec_lo, s58
	s_delay_alu instid0(VALU_DEP_1) | instskip(SKIP_1) | instid1(VALU_DEP_2)
	v_bfe_u32 v6, v7, 16, 1
	v_cmp_o_f32_e32 vcc_lo, v7, v7
	v_add3_u32 v6, v7, v6, 0x7fff
	s_delay_alu instid0(VALU_DEP_1) | instskip(NEXT) | instid1(VALU_DEP_1)
	v_lshrrev_b32_e32 v6, 16, v6
	v_cndmask_b32_e32 v6, 0x7fc0, v6, vcc_lo
.LBB175_1376:
	s_mov_b32 s35, -1
.LBB175_1377:
	s_mov_b32 s58, 0
.LBB175_1378:
	s_delay_alu instid0(SALU_CYCLE_1)
	s_and_b32 vcc_lo, exec_lo, s58
	s_cbranch_vccz .LBB175_1413
; %bb.1379:
	s_cmp_gt_i32 s0, 22
	s_cbranch_scc0 .LBB175_1389
; %bb.1380:
	s_cmp_lt_i32 s0, 24
	s_cbranch_scc1 .LBB175_1392
; %bb.1381:
	s_cmp_gt_i32 s0, 24
	s_cbranch_scc0 .LBB175_1393
; %bb.1382:
	s_wait_loadcnt 0x0
	global_load_u8 v6, v[4:5], off
	s_mov_b32 s35, 0
	s_mov_b32 s58, exec_lo
	s_wait_loadcnt 0x0
	v_cmpx_lt_i16_e32 0x7f, v6
	s_xor_b32 s58, exec_lo, s58
	s_cbranch_execz .LBB175_1405
; %bb.1383:
	s_mov_b32 s35, -1
	s_mov_b32 s59, exec_lo
	v_cmpx_eq_u16_e32 0x80, v6
; %bb.1384:
	s_xor_b32 s35, exec_lo, -1
; %bb.1385:
	s_or_b32 exec_lo, exec_lo, s59
	s_delay_alu instid0(SALU_CYCLE_1)
	s_and_b32 s35, s35, exec_lo
	s_or_saveexec_b32 s58, s58
	v_mov_b32_e32 v7, 0x7f800001
	s_xor_b32 exec_lo, exec_lo, s58
	s_cbranch_execnz .LBB175_1406
.LBB175_1386:
	s_or_b32 exec_lo, exec_lo, s58
	s_and_saveexec_b32 s58, s35
	s_cbranch_execz .LBB175_1388
.LBB175_1387:
	v_and_b32_e32 v7, 0xffff, v6
	s_delay_alu instid0(VALU_DEP_1) | instskip(SKIP_1) | instid1(VALU_DEP_2)
	v_and_b32_e32 v8, 3, v7
	v_bfe_u32 v11, v7, 2, 5
	v_clz_i32_u32_e32 v9, v8
	s_delay_alu instid0(VALU_DEP_2) | instskip(NEXT) | instid1(VALU_DEP_2)
	v_cmp_eq_u32_e32 vcc_lo, 0, v11
	v_min_u32_e32 v9, 32, v9
	s_delay_alu instid0(VALU_DEP_1) | instskip(NEXT) | instid1(VALU_DEP_1)
	v_subrev_nc_u32_e32 v10, 29, v9
	v_dual_lshlrev_b32 v7, v10, v7 :: v_dual_sub_nc_u32 v9, 30, v9
	s_delay_alu instid0(VALU_DEP_1) | instskip(NEXT) | instid1(VALU_DEP_1)
	v_dual_lshlrev_b32 v6, 24, v6 :: v_dual_bitop2_b32 v7, 3, v7 bitop3:0x40
	v_dual_cndmask_b32 v9, v11, v9, vcc_lo :: v_dual_cndmask_b32 v7, v8, v7, vcc_lo
	s_delay_alu instid0(VALU_DEP_2) | instskip(NEXT) | instid1(VALU_DEP_2)
	v_and_b32_e32 v6, 0x80000000, v6
	v_lshl_add_u32 v8, v9, 23, 0x37800000
	s_delay_alu instid0(VALU_DEP_3) | instskip(NEXT) | instid1(VALU_DEP_1)
	v_lshlrev_b32_e32 v7, 21, v7
	v_or3_b32 v7, v6, v8, v7
.LBB175_1388:
	s_or_b32 exec_lo, exec_lo, s58
	s_delay_alu instid0(VALU_DEP_1) | instskip(SKIP_2) | instid1(VALU_DEP_2)
	v_bfe_u32 v6, v7, 16, 1
	v_cmp_o_f32_e32 vcc_lo, v7, v7
	s_mov_b32 s35, 0
	v_add3_u32 v6, v7, v6, 0x7fff
	s_delay_alu instid0(VALU_DEP_1) | instskip(NEXT) | instid1(VALU_DEP_1)
	v_lshrrev_b32_e32 v6, 16, v6
	v_cndmask_b32_e32 v6, 0x7fc0, v6, vcc_lo
	s_branch .LBB175_1394
.LBB175_1389:
	s_mov_b32 s58, -1
                                        ; implicit-def: $vgpr6
	s_branch .LBB175_1400
.LBB175_1390:
	s_or_saveexec_b32 s58, s58
	v_mov_b32_e32 v7, 0x7f800001
	s_xor_b32 exec_lo, exec_lo, s58
	s_cbranch_execz .LBB175_1373
.LBB175_1391:
	v_cmp_ne_u16_e32 vcc_lo, 0, v6
	v_mov_b32_e32 v7, 0
	s_and_not1_b32 s35, s35, exec_lo
	s_and_b32 s59, vcc_lo, exec_lo
	s_delay_alu instid0(SALU_CYCLE_1)
	s_or_b32 s35, s35, s59
	s_or_b32 exec_lo, exec_lo, s58
	s_and_saveexec_b32 s58, s35
	s_cbranch_execnz .LBB175_1374
	s_branch .LBB175_1375
.LBB175_1392:
	s_mov_b32 s35, -1
                                        ; implicit-def: $vgpr6
	s_branch .LBB175_1397
.LBB175_1393:
	s_mov_b32 s35, -1
                                        ; implicit-def: $vgpr6
.LBB175_1394:
	s_delay_alu instid0(SALU_CYCLE_1)
	s_and_b32 vcc_lo, exec_lo, s35
	s_cbranch_vccz .LBB175_1396
; %bb.1395:
	s_wait_loadcnt 0x0
	global_load_u8 v6, v[4:5], off
	s_wait_loadcnt 0x0
	v_lshlrev_b32_e32 v6, 24, v6
	s_delay_alu instid0(VALU_DEP_1) | instskip(NEXT) | instid1(VALU_DEP_1)
	v_and_b32_e32 v7, 0x7f000000, v6
	v_clz_i32_u32_e32 v8, v7
	v_cmp_ne_u32_e32 vcc_lo, 0, v7
	v_add_nc_u32_e32 v10, 0x1000000, v7
	s_delay_alu instid0(VALU_DEP_3) | instskip(NEXT) | instid1(VALU_DEP_1)
	v_min_u32_e32 v8, 32, v8
	v_sub_nc_u32_e64 v8, v8, 4 clamp
	s_delay_alu instid0(VALU_DEP_1) | instskip(NEXT) | instid1(VALU_DEP_1)
	v_dual_lshlrev_b32 v9, v8, v7 :: v_dual_lshlrev_b32 v8, 23, v8
	v_lshrrev_b32_e32 v9, 4, v9
	s_delay_alu instid0(VALU_DEP_1) | instskip(NEXT) | instid1(VALU_DEP_1)
	v_dual_sub_nc_u32 v8, v9, v8 :: v_dual_ashrrev_i32 v9, 8, v10
	v_add_nc_u32_e32 v8, 0x3c000000, v8
	s_delay_alu instid0(VALU_DEP_1) | instskip(NEXT) | instid1(VALU_DEP_1)
	v_and_or_b32 v8, 0x7f800000, v9, v8
	v_cndmask_b32_e32 v7, 0, v8, vcc_lo
	s_delay_alu instid0(VALU_DEP_1) | instskip(SKIP_1) | instid1(VALU_DEP_2)
	v_and_or_b32 v6, 0x80000000, v6, v7
	v_bfe_u32 v7, v7, 16, 1
	v_cmp_o_f32_e32 vcc_lo, v6, v6
	s_delay_alu instid0(VALU_DEP_2) | instskip(NEXT) | instid1(VALU_DEP_1)
	v_add3_u32 v7, v6, v7, 0x7fff
	v_lshrrev_b32_e32 v7, 16, v7
	s_delay_alu instid0(VALU_DEP_1)
	v_cndmask_b32_e32 v6, 0x7fc0, v7, vcc_lo
.LBB175_1396:
	s_mov_b32 s35, 0
.LBB175_1397:
	s_delay_alu instid0(SALU_CYCLE_1)
	s_and_not1_b32 vcc_lo, exec_lo, s35
	s_cbranch_vccnz .LBB175_1399
; %bb.1398:
	s_wait_loadcnt 0x0
	global_load_u8 v6, v[4:5], off
	s_wait_loadcnt 0x0
	v_lshlrev_b32_e32 v7, 25, v6
	v_lshlrev_b16 v6, 8, v6
	s_delay_alu instid0(VALU_DEP_1) | instskip(SKIP_1) | instid1(VALU_DEP_2)
	v_and_or_b32 v9, 0x7f00, v6, 0.5
	v_bfe_i32 v6, v6, 0, 16
	v_dual_add_f32 v9, -0.5, v9 :: v_dual_lshrrev_b32 v8, 4, v7
	v_cmp_gt_u32_e32 vcc_lo, 0x8000000, v7
	s_delay_alu instid0(VALU_DEP_2) | instskip(NEXT) | instid1(VALU_DEP_1)
	v_or_b32_e32 v8, 0x70000000, v8
	v_mul_f32_e32 v8, 0x7800000, v8
	s_delay_alu instid0(VALU_DEP_1) | instskip(NEXT) | instid1(VALU_DEP_1)
	v_cndmask_b32_e32 v7, v8, v9, vcc_lo
	v_and_or_b32 v6, 0x80000000, v6, v7
	v_bfe_u32 v7, v7, 16, 1
	s_delay_alu instid0(VALU_DEP_2) | instskip(NEXT) | instid1(VALU_DEP_2)
	v_cmp_o_f32_e32 vcc_lo, v6, v6
	v_add3_u32 v7, v6, v7, 0x7fff
	s_delay_alu instid0(VALU_DEP_1) | instskip(NEXT) | instid1(VALU_DEP_1)
	v_lshrrev_b32_e32 v7, 16, v7
	v_cndmask_b32_e32 v6, 0x7fc0, v7, vcc_lo
.LBB175_1399:
	s_mov_b32 s58, 0
	s_mov_b32 s35, -1
.LBB175_1400:
	s_and_not1_b32 vcc_lo, exec_lo, s58
	s_cbranch_vccnz .LBB175_1413
; %bb.1401:
	s_cmp_gt_i32 s0, 14
	s_cbranch_scc0 .LBB175_1404
; %bb.1402:
	s_cmp_eq_u32 s0, 15
	s_cbranch_scc0 .LBB175_1407
; %bb.1403:
	s_wait_loadcnt 0x0
	global_load_u16 v6, v[4:5], off
	s_mov_b32 s35, -1
	s_mov_b32 s34, 0
	s_branch .LBB175_1408
.LBB175_1404:
	s_mov_b32 s58, -1
                                        ; implicit-def: $vgpr6
	s_branch .LBB175_1409
.LBB175_1405:
	s_or_saveexec_b32 s58, s58
	v_mov_b32_e32 v7, 0x7f800001
	s_xor_b32 exec_lo, exec_lo, s58
	s_cbranch_execz .LBB175_1386
.LBB175_1406:
	v_cmp_ne_u16_e32 vcc_lo, 0, v6
	v_mov_b32_e32 v7, 0
	s_and_not1_b32 s35, s35, exec_lo
	s_and_b32 s59, vcc_lo, exec_lo
	s_delay_alu instid0(SALU_CYCLE_1)
	s_or_b32 s35, s35, s59
	s_or_b32 exec_lo, exec_lo, s58
	s_and_saveexec_b32 s58, s35
	s_cbranch_execnz .LBB175_1387
	s_branch .LBB175_1388
.LBB175_1407:
	s_mov_b32 s34, -1
                                        ; implicit-def: $vgpr6
.LBB175_1408:
	s_mov_b32 s58, 0
.LBB175_1409:
	s_delay_alu instid0(SALU_CYCLE_1)
	s_and_b32 vcc_lo, exec_lo, s58
	s_cbranch_vccz .LBB175_1413
; %bb.1410:
	s_cmp_eq_u32 s0, 11
	s_cbranch_scc0 .LBB175_1412
; %bb.1411:
	s_wait_loadcnt 0x0
	global_load_u8 v6, v[4:5], off
	s_mov_b32 s34, 0
	s_mov_b32 s35, -1
	s_wait_loadcnt 0x0
	v_cmp_ne_u16_e32 vcc_lo, 0, v6
	v_cndmask_b32_e64 v6, 0, 1.0, vcc_lo
	s_delay_alu instid0(VALU_DEP_1)
	v_lshrrev_b32_e32 v6, 16, v6
	s_branch .LBB175_1413
.LBB175_1412:
	s_mov_b32 s34, -1
                                        ; implicit-def: $vgpr6
.LBB175_1413:
	s_mov_b32 s58, 0
.LBB175_1414:
	s_delay_alu instid0(SALU_CYCLE_1)
	s_and_b32 vcc_lo, exec_lo, s58
	s_cbranch_vccz .LBB175_1463
; %bb.1415:
	s_cmp_lt_i32 s0, 5
	s_cbranch_scc1 .LBB175_1420
; %bb.1416:
	s_cmp_lt_i32 s0, 8
	s_cbranch_scc1 .LBB175_1421
	;; [unrolled: 3-line block ×3, first 2 shown]
; %bb.1418:
	s_cmp_gt_i32 s0, 9
	s_cbranch_scc0 .LBB175_1423
; %bb.1419:
	s_wait_loadcnt 0x0
	global_load_b64 v[6:7], v[4:5], off
	s_mov_b32 s35, 0
	s_wait_loadcnt 0x0
	v_cvt_f32_f64_e32 v6, v[6:7]
	s_delay_alu instid0(VALU_DEP_1) | instskip(SKIP_1) | instid1(VALU_DEP_2)
	v_bfe_u32 v7, v6, 16, 1
	v_cmp_o_f32_e32 vcc_lo, v6, v6
	v_add3_u32 v7, v6, v7, 0x7fff
	s_delay_alu instid0(VALU_DEP_1) | instskip(NEXT) | instid1(VALU_DEP_1)
	v_lshrrev_b32_e32 v7, 16, v7
	v_cndmask_b32_e32 v6, 0x7fc0, v7, vcc_lo
	s_branch .LBB175_1424
.LBB175_1420:
	s_mov_b32 s35, -1
                                        ; implicit-def: $vgpr6
	s_branch .LBB175_1442
.LBB175_1421:
	s_mov_b32 s35, -1
                                        ; implicit-def: $vgpr6
	s_branch .LBB175_1430
.LBB175_1422:
	s_mov_b32 s35, -1
                                        ; implicit-def: $vgpr6
	s_branch .LBB175_1427
.LBB175_1423:
	s_mov_b32 s35, -1
                                        ; implicit-def: $vgpr6
.LBB175_1424:
	s_delay_alu instid0(SALU_CYCLE_1)
	s_and_not1_b32 vcc_lo, exec_lo, s35
	s_cbranch_vccnz .LBB175_1426
; %bb.1425:
	s_wait_loadcnt 0x0
	global_load_b32 v6, v[4:5], off
	s_wait_loadcnt 0x0
	v_bfe_u32 v7, v6, 16, 1
	v_cmp_o_f32_e32 vcc_lo, v6, v6
	s_delay_alu instid0(VALU_DEP_2) | instskip(NEXT) | instid1(VALU_DEP_1)
	v_add3_u32 v7, v6, v7, 0x7fff
	v_lshrrev_b32_e32 v7, 16, v7
	s_delay_alu instid0(VALU_DEP_1)
	v_cndmask_b32_e32 v6, 0x7fc0, v7, vcc_lo
.LBB175_1426:
	s_mov_b32 s35, 0
.LBB175_1427:
	s_delay_alu instid0(SALU_CYCLE_1)
	s_and_not1_b32 vcc_lo, exec_lo, s35
	s_cbranch_vccnz .LBB175_1429
; %bb.1428:
	s_wait_loadcnt 0x0
	global_load_b32 v6, v[4:5], off
	s_wait_loadcnt 0x0
	v_cvt_f32_f16_e32 v7, v6
	v_cmp_o_f16_e32 vcc_lo, v6, v6
	s_delay_alu instid0(VALU_DEP_2) | instskip(NEXT) | instid1(VALU_DEP_1)
	v_bfe_u32 v8, v7, 16, 1
	v_add3_u32 v7, v7, v8, 0x7fff
	s_delay_alu instid0(VALU_DEP_1) | instskip(NEXT) | instid1(VALU_DEP_1)
	v_lshrrev_b32_e32 v7, 16, v7
	v_cndmask_b32_e32 v6, 0x7fc0, v7, vcc_lo
.LBB175_1429:
	s_mov_b32 s35, 0
.LBB175_1430:
	s_delay_alu instid0(SALU_CYCLE_1)
	s_and_not1_b32 vcc_lo, exec_lo, s35
	s_cbranch_vccnz .LBB175_1441
; %bb.1431:
	s_cmp_lt_i32 s0, 6
	s_cbranch_scc1 .LBB175_1434
; %bb.1432:
	s_cmp_gt_i32 s0, 6
	s_cbranch_scc0 .LBB175_1435
; %bb.1433:
	s_wait_loadcnt 0x0
	global_load_b64 v[6:7], v[4:5], off
	s_mov_b32 s35, 0
	s_wait_loadcnt 0x0
	v_cvt_f32_f64_e32 v6, v[6:7]
	s_delay_alu instid0(VALU_DEP_1) | instskip(SKIP_1) | instid1(VALU_DEP_2)
	v_bfe_u32 v7, v6, 16, 1
	v_cmp_o_f32_e32 vcc_lo, v6, v6
	v_add3_u32 v7, v6, v7, 0x7fff
	s_delay_alu instid0(VALU_DEP_1) | instskip(NEXT) | instid1(VALU_DEP_1)
	v_lshrrev_b32_e32 v7, 16, v7
	v_cndmask_b32_e32 v6, 0x7fc0, v7, vcc_lo
	s_branch .LBB175_1436
.LBB175_1434:
	s_mov_b32 s35, -1
                                        ; implicit-def: $vgpr6
	s_branch .LBB175_1439
.LBB175_1435:
	s_mov_b32 s35, -1
                                        ; implicit-def: $vgpr6
.LBB175_1436:
	s_delay_alu instid0(SALU_CYCLE_1)
	s_and_not1_b32 vcc_lo, exec_lo, s35
	s_cbranch_vccnz .LBB175_1438
; %bb.1437:
	s_wait_loadcnt 0x0
	global_load_b32 v6, v[4:5], off
	s_wait_loadcnt 0x0
	v_bfe_u32 v7, v6, 16, 1
	v_cmp_o_f32_e32 vcc_lo, v6, v6
	s_delay_alu instid0(VALU_DEP_2) | instskip(NEXT) | instid1(VALU_DEP_1)
	v_add3_u32 v7, v6, v7, 0x7fff
	v_lshrrev_b32_e32 v7, 16, v7
	s_delay_alu instid0(VALU_DEP_1)
	v_cndmask_b32_e32 v6, 0x7fc0, v7, vcc_lo
.LBB175_1438:
	s_mov_b32 s35, 0
.LBB175_1439:
	s_delay_alu instid0(SALU_CYCLE_1)
	s_and_not1_b32 vcc_lo, exec_lo, s35
	s_cbranch_vccnz .LBB175_1441
; %bb.1440:
	s_wait_loadcnt 0x0
	global_load_u16 v6, v[4:5], off
	s_wait_loadcnt 0x0
	v_cvt_f32_f16_e32 v7, v6
	v_cmp_o_f16_e32 vcc_lo, v6, v6
	s_delay_alu instid0(VALU_DEP_2) | instskip(NEXT) | instid1(VALU_DEP_1)
	v_bfe_u32 v8, v7, 16, 1
	v_add3_u32 v7, v7, v8, 0x7fff
	s_delay_alu instid0(VALU_DEP_1) | instskip(NEXT) | instid1(VALU_DEP_1)
	v_lshrrev_b32_e32 v7, 16, v7
	v_cndmask_b32_e32 v6, 0x7fc0, v7, vcc_lo
.LBB175_1441:
	s_mov_b32 s35, 0
.LBB175_1442:
	s_delay_alu instid0(SALU_CYCLE_1)
	s_and_not1_b32 vcc_lo, exec_lo, s35
	s_cbranch_vccnz .LBB175_1462
; %bb.1443:
	s_cmp_lt_i32 s0, 2
	s_cbranch_scc1 .LBB175_1447
; %bb.1444:
	s_cmp_lt_i32 s0, 3
	s_cbranch_scc1 .LBB175_1448
; %bb.1445:
	s_cmp_gt_i32 s0, 3
	s_cbranch_scc0 .LBB175_1449
; %bb.1446:
	s_wait_loadcnt 0x0
	global_load_b64 v[6:7], v[4:5], off
	s_mov_b32 s35, 0
	s_wait_loadcnt 0x0
	v_xor_b32_e32 v8, v6, v7
	v_cls_i32_e32 v9, v7
	s_delay_alu instid0(VALU_DEP_2) | instskip(NEXT) | instid1(VALU_DEP_1)
	v_ashrrev_i32_e32 v8, 31, v8
	v_add_nc_u32_e32 v8, 32, v8
	s_delay_alu instid0(VALU_DEP_1) | instskip(NEXT) | instid1(VALU_DEP_1)
	v_add_min_u32_e64 v8, v9, -1, v8
	v_lshlrev_b64_e32 v[6:7], v8, v[6:7]
	s_delay_alu instid0(VALU_DEP_1) | instskip(NEXT) | instid1(VALU_DEP_1)
	v_min_u32_e32 v6, 1, v6
	v_dual_sub_nc_u32 v7, 32, v8 :: v_dual_bitop2_b32 v6, v7, v6 bitop3:0x54
	s_delay_alu instid0(VALU_DEP_1) | instskip(NEXT) | instid1(VALU_DEP_1)
	v_cvt_f32_i32_e32 v6, v6
	v_ldexp_f32 v6, v6, v7
	s_delay_alu instid0(VALU_DEP_1) | instskip(NEXT) | instid1(VALU_DEP_1)
	v_bfe_u32 v7, v6, 16, 1
	v_add3_u32 v6, v6, v7, 0x7fff
	s_delay_alu instid0(VALU_DEP_1)
	v_lshrrev_b32_e32 v6, 16, v6
	s_branch .LBB175_1450
.LBB175_1447:
	s_mov_b32 s35, -1
                                        ; implicit-def: $vgpr6
	s_branch .LBB175_1456
.LBB175_1448:
	s_mov_b32 s35, -1
                                        ; implicit-def: $vgpr6
	s_branch .LBB175_1453
.LBB175_1449:
	s_mov_b32 s35, -1
                                        ; implicit-def: $vgpr6
.LBB175_1450:
	s_delay_alu instid0(SALU_CYCLE_1)
	s_and_not1_b32 vcc_lo, exec_lo, s35
	s_cbranch_vccnz .LBB175_1452
; %bb.1451:
	s_wait_loadcnt 0x0
	global_load_b32 v6, v[4:5], off
	s_wait_loadcnt 0x0
	v_cvt_f32_i32_e32 v6, v6
	s_delay_alu instid0(VALU_DEP_1) | instskip(NEXT) | instid1(VALU_DEP_1)
	v_bfe_u32 v7, v6, 16, 1
	v_add3_u32 v6, v6, v7, 0x7fff
	s_delay_alu instid0(VALU_DEP_1)
	v_lshrrev_b32_e32 v6, 16, v6
.LBB175_1452:
	s_mov_b32 s35, 0
.LBB175_1453:
	s_delay_alu instid0(SALU_CYCLE_1)
	s_and_not1_b32 vcc_lo, exec_lo, s35
	s_cbranch_vccnz .LBB175_1455
; %bb.1454:
	s_wait_loadcnt 0x0
	global_load_i16 v6, v[4:5], off
	s_wait_loadcnt 0x0
	v_cvt_f32_i32_e32 v6, v6
	s_delay_alu instid0(VALU_DEP_1) | instskip(NEXT) | instid1(VALU_DEP_1)
	v_bfe_u32 v7, v6, 16, 1
	v_add3_u32 v6, v6, v7, 0x7fff
	s_delay_alu instid0(VALU_DEP_1)
	v_lshrrev_b32_e32 v6, 16, v6
.LBB175_1455:
	s_mov_b32 s35, 0
.LBB175_1456:
	s_delay_alu instid0(SALU_CYCLE_1)
	s_and_not1_b32 vcc_lo, exec_lo, s35
	s_cbranch_vccnz .LBB175_1462
; %bb.1457:
	s_cmp_gt_i32 s0, 0
	s_mov_b32 s0, 0
	s_cbranch_scc0 .LBB175_1459
; %bb.1458:
	s_wait_loadcnt 0x0
	global_load_i8 v6, v[4:5], off
	s_wait_loadcnt 0x0
	v_cvt_f32_i32_e32 v6, v6
	s_delay_alu instid0(VALU_DEP_1) | instskip(NEXT) | instid1(VALU_DEP_1)
	v_bfe_u32 v7, v6, 16, 1
	v_add3_u32 v6, v6, v7, 0x7fff
	s_delay_alu instid0(VALU_DEP_1)
	v_lshrrev_b32_e32 v6, 16, v6
	s_branch .LBB175_1460
.LBB175_1459:
	s_mov_b32 s0, -1
                                        ; implicit-def: $vgpr6
.LBB175_1460:
	s_delay_alu instid0(SALU_CYCLE_1)
	s_and_not1_b32 vcc_lo, exec_lo, s0
	s_cbranch_vccnz .LBB175_1462
; %bb.1461:
	global_load_u8 v4, v[4:5], off
	s_wait_loadcnt 0x0
	v_cvt_f32_ubyte0_e32 v4, v4
	s_delay_alu instid0(VALU_DEP_1) | instskip(NEXT) | instid1(VALU_DEP_1)
	v_bfe_u32 v5, v4, 16, 1
	v_add3_u32 v4, v4, v5, 0x7fff
	s_delay_alu instid0(VALU_DEP_1)
	v_lshrrev_b32_e32 v6, 16, v4
.LBB175_1462:
	s_mov_b32 s35, -1
.LBB175_1463:
	s_delay_alu instid0(SALU_CYCLE_1)
	s_and_not1_b32 vcc_lo, exec_lo, s35
	s_cbranch_vccnz .LBB175_1471
; %bb.1464:
	s_wait_loadcnt 0x0
	v_dual_lshlrev_b32 v3, 16, v3 :: v_dual_lshlrev_b32 v5, 16, v6
	v_mov_b32_e32 v6, s21
	s_and_b32 s35, s1, 0xff
	s_delay_alu instid0(SALU_CYCLE_1) | instskip(NEXT) | instid1(VALU_DEP_2)
	s_cmp_lt_i32 s35, 11
	v_mul_f32_e32 v3, s26, v3
	s_delay_alu instid0(VALU_DEP_1) | instskip(NEXT) | instid1(VALU_DEP_1)
	v_bfe_u32 v4, v3, 16, 1
	v_add3_u32 v4, v3, v4, 0x7fff
	s_delay_alu instid0(VALU_DEP_1) | instskip(SKIP_2) | instid1(VALU_DEP_3)
	v_and_b32_e32 v7, 0xffff0000, v4
	v_lshlrev_b32_e32 v4, 16, v1
	v_cmp_o_f32_e32 vcc_lo, v3, v3
	v_cndmask_b32_e32 v7, 0x7fc00000, v7, vcc_lo
	s_delay_alu instid0(VALU_DEP_1) | instskip(NEXT) | instid1(VALU_DEP_1)
	v_pk_mul_f32 v[4:5], v[6:7], v[4:5]
	v_dual_lshrrev_b32 v1, 16, v5 :: v_dual_lshrrev_b32 v3, 16, v4
	v_cmp_o_f32_e32 vcc_lo, v5, v5
	s_delay_alu instid0(VALU_DEP_2) | instskip(NEXT) | instid1(VALU_DEP_3)
	v_and_b32_e32 v1, 1, v1
	v_and_b32_e32 v3, 1, v3
	s_delay_alu instid0(VALU_DEP_2) | instskip(NEXT) | instid1(VALU_DEP_2)
	v_add3_u32 v1, v5, v1, 0x7fff
	v_add3_u32 v3, v4, v3, 0x7fff
	s_delay_alu instid0(VALU_DEP_2) | instskip(NEXT) | instid1(VALU_DEP_2)
	v_and_b32_e32 v1, 0xffff0000, v1
	v_and_b32_e32 v3, 0xffff0000, v3
	s_delay_alu instid0(VALU_DEP_2) | instskip(SKIP_1) | instid1(VALU_DEP_3)
	v_cndmask_b32_e32 v1, 0x7fc00000, v1, vcc_lo
	v_cmp_o_f32_e32 vcc_lo, v4, v4
	v_cndmask_b32_e32 v3, 0x7fc00000, v3, vcc_lo
	s_delay_alu instid0(VALU_DEP_1) | instskip(NEXT) | instid1(VALU_DEP_1)
	v_add_f32_e32 v1, v3, v1
	v_bfe_u32 v3, v1, 16, 1
	s_delay_alu instid0(VALU_DEP_1) | instskip(SKIP_2) | instid1(VALU_DEP_3)
	v_add3_u32 v4, v1, v3, 0x7fff
	v_mov_b32_e32 v3, 0
	v_cmp_o_f32_e32 vcc_lo, v1, v1
	v_lshrrev_b32_e32 v4, 16, v4
	s_delay_alu instid0(VALU_DEP_3) | instskip(NEXT) | instid1(VALU_DEP_2)
	v_add_nc_u64_e32 v[2:3], s[4:5], v[2:3]
	v_cndmask_b32_e32 v1, 0x7fc0, v4, vcc_lo
	s_cbranch_scc1 .LBB175_1472
; %bb.1465:
	s_and_b32 s58, 0xffff, s35
	s_delay_alu instid0(SALU_CYCLE_1)
	s_cmp_gt_i32 s58, 25
	s_cbranch_scc0 .LBB175_1473
; %bb.1466:
	s_cmp_gt_i32 s58, 28
	s_cbranch_scc0 .LBB175_1474
; %bb.1467:
	;; [unrolled: 3-line block ×4, first 2 shown]
	s_mov_b32 s60, 0
	s_mov_b32 s0, -1
	s_cmp_eq_u32 s58, 46
	s_mov_b32 s59, 0
	s_cbranch_scc0 .LBB175_1477
; %bb.1470:
	v_and_b32_e32 v4, 0xffff, v1
	s_mov_b32 s59, -1
	s_mov_b32 s0, 0
	global_store_b32 v[2:3], v4, off
	s_branch .LBB175_1477
.LBB175_1471:
	s_mov_b32 s35, 0
	s_mov_b32 s0, s53
	s_branch .LBB175_1588
.LBB175_1472:
	s_mov_b32 s58, -1
	s_mov_b32 s59, 0
	s_mov_b32 s0, s53
	s_branch .LBB175_1546
.LBB175_1473:
	s_mov_b32 s60, -1
	s_mov_b32 s59, 0
	s_mov_b32 s0, s53
	s_branch .LBB175_1504
.LBB175_1474:
	s_mov_b32 s60, -1
	s_mov_b32 s59, 0
	s_mov_b32 s0, s53
	s_branch .LBB175_1487
.LBB175_1475:
	s_mov_b32 s60, -1
	s_mov_b32 s59, 0
	s_mov_b32 s0, s53
	s_branch .LBB175_1483
.LBB175_1476:
	s_mov_b32 s60, -1
	s_mov_b32 s59, 0
	s_mov_b32 s0, s53
.LBB175_1477:
	s_and_b32 vcc_lo, exec_lo, s60
	s_cbranch_vccz .LBB175_1482
; %bb.1478:
	s_cmp_eq_u32 s58, 44
	s_mov_b32 s0, -1
	s_cbranch_scc0 .LBB175_1482
; %bb.1479:
	s_wait_xcnt 0x0
	v_and_b32_e32 v4, 0xffff, v1
	v_mov_b32_e32 v5, 0xff
	s_mov_b32 s59, exec_lo
	s_delay_alu instid0(VALU_DEP_2) | instskip(NEXT) | instid1(VALU_DEP_1)
	v_bfe_u32 v6, v4, 7, 8
	v_cmpx_ne_u32_e32 0xff, v6
	s_cbranch_execz .LBB175_1481
; %bb.1480:
	v_dual_lshlrev_b32 v5, 16, v4 :: v_dual_bitop2_b32 v7, 64, v4 bitop3:0x40
	v_lshrrev_b32_e32 v4, 7, v4
	s_delay_alu instid0(VALU_DEP_2) | instskip(NEXT) | instid1(VALU_DEP_3)
	v_and_or_b32 v5, 0x3f0000, v5, v6
	v_cmp_ne_u32_e32 vcc_lo, 0, v7
	s_delay_alu instid0(VALU_DEP_2) | instskip(SKIP_1) | instid1(SALU_CYCLE_1)
	v_cmp_ne_u32_e64 s0, 0, v5
	s_and_b32 s0, vcc_lo, s0
	v_cndmask_b32_e64 v5, 0, 1, s0
	s_delay_alu instid0(VALU_DEP_1)
	v_add_nc_u32_e32 v5, v4, v5
.LBB175_1481:
	s_or_b32 exec_lo, exec_lo, s59
	s_mov_b32 s59, -1
	s_mov_b32 s0, 0
	global_store_b8 v[2:3], v5, off
.LBB175_1482:
	s_mov_b32 s60, 0
.LBB175_1483:
	s_delay_alu instid0(SALU_CYCLE_1)
	s_and_b32 vcc_lo, exec_lo, s60
	s_cbranch_vccz .LBB175_1486
; %bb.1484:
	s_cmp_eq_u32 s58, 29
	s_mov_b32 s0, -1
	s_cbranch_scc0 .LBB175_1486
; %bb.1485:
	s_wait_xcnt 0x0
	v_lshlrev_b32_e32 v4, 16, v1
	s_mov_b32 s59, -1
	s_mov_b32 s0, 0
	s_mov_b32 s60, 0
	s_delay_alu instid0(VALU_DEP_1) | instskip(NEXT) | instid1(VALU_DEP_1)
	v_trunc_f32_e32 v4, v4
	v_mul_f32_e32 v5, 0x2f800000, v4
	s_delay_alu instid0(VALU_DEP_1) | instskip(NEXT) | instid1(VALU_DEP_1)
	v_floor_f32_e32 v5, v5
	v_fmamk_f32 v4, v5, 0xcf800000, v4
	v_cvt_u32_f32_e32 v5, v5
	s_delay_alu instid0(VALU_DEP_2)
	v_cvt_u32_f32_e32 v4, v4
	global_store_b64 v[2:3], v[4:5], off
	s_branch .LBB175_1487
.LBB175_1486:
	s_mov_b32 s60, 0
.LBB175_1487:
	s_delay_alu instid0(SALU_CYCLE_1)
	s_and_b32 vcc_lo, exec_lo, s60
	s_cbranch_vccz .LBB175_1503
; %bb.1488:
	s_cmp_lt_i32 s58, 27
	s_mov_b32 s59, -1
	s_cbranch_scc1 .LBB175_1494
; %bb.1489:
	s_cmp_gt_i32 s58, 27
	s_cbranch_scc0 .LBB175_1491
; %bb.1490:
	s_wait_xcnt 0x0
	v_lshlrev_b32_e32 v4, 16, v1
	s_mov_b32 s59, 0
	s_delay_alu instid0(VALU_DEP_1)
	v_cvt_u32_f32_e32 v4, v4
	global_store_b32 v[2:3], v4, off
.LBB175_1491:
	s_and_not1_b32 vcc_lo, exec_lo, s59
	s_cbranch_vccnz .LBB175_1493
; %bb.1492:
	s_wait_xcnt 0x0
	v_lshlrev_b32_e32 v4, 16, v1
	s_delay_alu instid0(VALU_DEP_1)
	v_cvt_u32_f32_e32 v4, v4
	global_store_b16 v[2:3], v4, off
.LBB175_1493:
	s_mov_b32 s59, 0
.LBB175_1494:
	s_delay_alu instid0(SALU_CYCLE_1)
	s_and_not1_b32 vcc_lo, exec_lo, s59
	s_cbranch_vccnz .LBB175_1502
; %bb.1495:
	v_dual_mov_b32 v7, 0x80 :: v_dual_lshlrev_b32 v6, 16, v1
	s_mov_b32 s59, exec_lo
	s_wait_xcnt 0x0
	s_delay_alu instid0(VALU_DEP_1) | instskip(NEXT) | instid1(VALU_DEP_1)
	v_and_b32_e32 v5, 0x7fffffff, v6
	v_cmpx_gt_u32_e32 0x43800000, v5
	s_cbranch_execz .LBB175_1501
; %bb.1496:
	v_and_b32_e32 v4, 0xffff, v1
	v_cmp_lt_u32_e32 vcc_lo, 0x3bffffff, v5
	s_mov_b32 s60, 0
                                        ; implicit-def: $vgpr5
	s_and_saveexec_b32 s61, vcc_lo
	s_delay_alu instid0(SALU_CYCLE_1)
	s_xor_b32 s61, exec_lo, s61
	s_cbranch_execz .LBB175_2814
; %bb.1497:
	v_bfe_u32 v5, v4, 4, 1
	s_mov_b32 s60, exec_lo
	s_delay_alu instid0(VALU_DEP_1) | instskip(NEXT) | instid1(VALU_DEP_1)
	v_add3_u32 v5, v6, v5, 0x487ffff
                                        ; implicit-def: $vgpr6
	v_lshrrev_b32_e32 v5, 20, v5
	s_and_not1_saveexec_b32 s61, s61
	s_cbranch_execnz .LBB175_2815
.LBB175_1498:
	s_or_b32 exec_lo, exec_lo, s61
	v_mov_b32_e32 v7, 0
	s_and_saveexec_b32 s61, s60
.LBB175_1499:
	v_lshrrev_b32_e32 v4, 8, v4
	s_delay_alu instid0(VALU_DEP_1)
	v_and_or_b32 v7, 0x80, v4, v5
.LBB175_1500:
	s_or_b32 exec_lo, exec_lo, s61
.LBB175_1501:
	s_delay_alu instid0(SALU_CYCLE_1)
	s_or_b32 exec_lo, exec_lo, s59
	global_store_b8 v[2:3], v7, off
.LBB175_1502:
	s_mov_b32 s59, -1
.LBB175_1503:
	s_mov_b32 s60, 0
.LBB175_1504:
	s_delay_alu instid0(SALU_CYCLE_1)
	s_and_b32 vcc_lo, exec_lo, s60
	s_cbranch_vccz .LBB175_1545
; %bb.1505:
	s_cmp_gt_i32 s58, 22
	s_mov_b32 s60, -1
	s_cbranch_scc0 .LBB175_1537
; %bb.1506:
	s_cmp_lt_i32 s58, 24
	s_mov_b32 s59, -1
	s_cbranch_scc1 .LBB175_1526
; %bb.1507:
	s_cmp_gt_i32 s58, 24
	s_cbranch_scc0 .LBB175_1515
; %bb.1508:
	s_wait_xcnt 0x0
	v_dual_mov_b32 v7, 0x80 :: v_dual_lshlrev_b32 v6, 16, v1
	s_mov_b32 s59, exec_lo
	s_delay_alu instid0(VALU_DEP_1) | instskip(NEXT) | instid1(VALU_DEP_1)
	v_and_b32_e32 v5, 0x7fffffff, v6
	v_cmpx_gt_u32_e32 0x47800000, v5
	s_cbranch_execz .LBB175_1514
; %bb.1509:
	v_and_b32_e32 v4, 0xffff, v1
	v_cmp_lt_u32_e32 vcc_lo, 0x37ffffff, v5
	s_mov_b32 s60, 0
                                        ; implicit-def: $vgpr5
	s_and_saveexec_b32 s61, vcc_lo
	s_delay_alu instid0(SALU_CYCLE_1)
	s_xor_b32 s61, exec_lo, s61
	s_cbranch_execz .LBB175_2947
; %bb.1510:
	v_bfe_u32 v5, v4, 5, 1
	s_mov_b32 s60, exec_lo
	s_delay_alu instid0(VALU_DEP_1) | instskip(NEXT) | instid1(VALU_DEP_1)
	v_add3_u32 v5, v6, v5, 0x88fffff
                                        ; implicit-def: $vgpr6
	v_lshrrev_b32_e32 v5, 21, v5
	s_and_not1_saveexec_b32 s61, s61
	s_cbranch_execnz .LBB175_2948
.LBB175_1511:
	s_or_b32 exec_lo, exec_lo, s61
	v_mov_b32_e32 v7, 0
	s_and_saveexec_b32 s61, s60
.LBB175_1512:
	v_lshrrev_b32_e32 v4, 8, v4
	s_delay_alu instid0(VALU_DEP_1)
	v_and_or_b32 v7, 0x80, v4, v5
.LBB175_1513:
	s_or_b32 exec_lo, exec_lo, s61
.LBB175_1514:
	s_delay_alu instid0(SALU_CYCLE_1)
	s_or_b32 exec_lo, exec_lo, s59
	s_mov_b32 s59, 0
	global_store_b8 v[2:3], v7, off
.LBB175_1515:
	s_and_b32 vcc_lo, exec_lo, s59
	s_cbranch_vccz .LBB175_1525
; %bb.1516:
	v_lshlrev_b32_e32 v6, 16, v1
	s_wait_xcnt 0x0
	v_and_b32_e32 v4, 0xffff, v1
	s_mov_b32 s59, exec_lo
                                        ; implicit-def: $vgpr5
	s_delay_alu instid0(VALU_DEP_2) | instskip(NEXT) | instid1(VALU_DEP_1)
	v_and_b32_e32 v7, 0x7fffffff, v6
	v_cmpx_gt_u32_e32 0x43f00000, v7
	s_xor_b32 s59, exec_lo, s59
	s_cbranch_execz .LBB175_1522
; %bb.1517:
	s_mov_b32 s60, exec_lo
                                        ; implicit-def: $vgpr5
	v_cmpx_lt_u32_e32 0x3c7fffff, v7
	s_xor_b32 s60, exec_lo, s60
; %bb.1518:
	v_bfe_u32 v5, v4, 4, 1
	s_delay_alu instid0(VALU_DEP_1) | instskip(NEXT) | instid1(VALU_DEP_1)
	v_add3_u32 v5, v6, v5, 0x407ffff
	v_and_b32_e32 v6, 0xff00000, v5
	v_lshrrev_b32_e32 v5, 20, v5
	s_delay_alu instid0(VALU_DEP_2) | instskip(NEXT) | instid1(VALU_DEP_2)
	v_cmp_ne_u32_e32 vcc_lo, 0x7f00000, v6
                                        ; implicit-def: $vgpr6
	v_cndmask_b32_e32 v5, 0x7e, v5, vcc_lo
; %bb.1519:
	s_and_not1_saveexec_b32 s60, s60
; %bb.1520:
	v_add_f32_e64 v5, 0x46800000, |v6|
; %bb.1521:
	s_or_b32 exec_lo, exec_lo, s60
                                        ; implicit-def: $vgpr7
.LBB175_1522:
	s_and_not1_saveexec_b32 s59, s59
; %bb.1523:
	v_mov_b32_e32 v5, 0x7f
	v_cmp_lt_u32_e32 vcc_lo, 0x7f800000, v7
	s_delay_alu instid0(VALU_DEP_2)
	v_cndmask_b32_e32 v5, 0x7e, v5, vcc_lo
; %bb.1524:
	s_or_b32 exec_lo, exec_lo, s59
	v_lshrrev_b32_e32 v4, 8, v4
	s_delay_alu instid0(VALU_DEP_1)
	v_and_or_b32 v4, 0x80, v4, v5
	global_store_b8 v[2:3], v4, off
.LBB175_1525:
	s_mov_b32 s59, 0
.LBB175_1526:
	s_delay_alu instid0(SALU_CYCLE_1)
	s_and_not1_b32 vcc_lo, exec_lo, s59
	s_cbranch_vccnz .LBB175_1536
; %bb.1527:
	v_lshlrev_b32_e32 v6, 16, v1
	s_wait_xcnt 0x0
	v_and_b32_e32 v4, 0xffff, v1
	s_mov_b32 s59, exec_lo
                                        ; implicit-def: $vgpr5
	s_delay_alu instid0(VALU_DEP_2) | instskip(NEXT) | instid1(VALU_DEP_1)
	v_and_b32_e32 v7, 0x7fffffff, v6
	v_cmpx_gt_u32_e32 0x47800000, v7
	s_xor_b32 s59, exec_lo, s59
	s_cbranch_execz .LBB175_1533
; %bb.1528:
	s_mov_b32 s60, exec_lo
                                        ; implicit-def: $vgpr5
	v_cmpx_lt_u32_e32 0x387fffff, v7
	s_xor_b32 s60, exec_lo, s60
; %bb.1529:
	v_bfe_u32 v5, v4, 5, 1
	s_delay_alu instid0(VALU_DEP_1) | instskip(NEXT) | instid1(VALU_DEP_1)
	v_add3_u32 v5, v6, v5, 0x80fffff
                                        ; implicit-def: $vgpr6
	v_lshrrev_b32_e32 v5, 21, v5
; %bb.1530:
	s_and_not1_saveexec_b32 s60, s60
; %bb.1531:
	v_add_f32_e64 v5, 0x43000000, |v6|
; %bb.1532:
	s_or_b32 exec_lo, exec_lo, s60
                                        ; implicit-def: $vgpr7
.LBB175_1533:
	s_and_not1_saveexec_b32 s59, s59
; %bb.1534:
	v_mov_b32_e32 v5, 0x7f
	v_cmp_lt_u32_e32 vcc_lo, 0x7f800000, v7
	s_delay_alu instid0(VALU_DEP_2)
	v_cndmask_b32_e32 v5, 0x7c, v5, vcc_lo
; %bb.1535:
	s_or_b32 exec_lo, exec_lo, s59
	v_lshrrev_b32_e32 v4, 8, v4
	s_delay_alu instid0(VALU_DEP_1)
	v_and_or_b32 v4, 0x80, v4, v5
	global_store_b8 v[2:3], v4, off
.LBB175_1536:
	s_mov_b32 s60, 0
	s_mov_b32 s59, -1
.LBB175_1537:
	s_and_not1_b32 vcc_lo, exec_lo, s60
	s_cbranch_vccnz .LBB175_1545
; %bb.1538:
	s_cmp_gt_i32 s58, 14
	s_mov_b32 s60, -1
	s_cbranch_scc0 .LBB175_1542
; %bb.1539:
	s_cmp_eq_u32 s58, 15
	s_mov_b32 s0, -1
	s_cbranch_scc0 .LBB175_1541
; %bb.1540:
	s_mov_b32 s59, -1
	s_mov_b32 s0, 0
	global_store_b16 v[2:3], v1, off
.LBB175_1541:
	s_mov_b32 s60, 0
.LBB175_1542:
	s_delay_alu instid0(SALU_CYCLE_1)
	s_and_b32 vcc_lo, exec_lo, s60
	s_cbranch_vccz .LBB175_1545
; %bb.1543:
	s_cmp_eq_u32 s58, 11
	s_mov_b32 s0, -1
	s_cbranch_scc0 .LBB175_1545
; %bb.1544:
	s_wait_xcnt 0x0
	v_and_b32_e32 v4, 0x7fff, v1
	s_mov_b32 s0, 0
	s_mov_b32 s59, -1
	s_delay_alu instid0(VALU_DEP_1)
	v_cmp_ne_u16_e32 vcc_lo, 0, v4
	v_cndmask_b32_e64 v4, 0, 1, vcc_lo
	global_store_b8 v[2:3], v4, off
.LBB175_1545:
	s_mov_b32 s58, 0
.LBB175_1546:
	s_delay_alu instid0(SALU_CYCLE_1)
	s_and_b32 vcc_lo, exec_lo, s58
	s_cbranch_vccz .LBB175_1585
; %bb.1547:
	s_and_b32 s35, 0xffff, s35
	s_mov_b32 s58, -1
	s_cmp_lt_i32 s35, 5
	s_cbranch_scc1 .LBB175_1568
; %bb.1548:
	s_cmp_lt_i32 s35, 8
	s_cbranch_scc1 .LBB175_1558
; %bb.1549:
	;; [unrolled: 3-line block ×3, first 2 shown]
	s_cmp_gt_i32 s35, 9
	s_cbranch_scc0 .LBB175_1552
; %bb.1551:
	s_wait_xcnt 0x0
	v_dual_lshlrev_b32 v4, 16, v1 :: v_dual_mov_b32 v6, 0
	s_mov_b32 s58, 0
	s_delay_alu instid0(VALU_DEP_1) | instskip(NEXT) | instid1(VALU_DEP_2)
	v_cvt_f64_f32_e32 v[4:5], v4
	v_mov_b32_e32 v7, v6
	global_store_b128 v[2:3], v[4:7], off
.LBB175_1552:
	s_and_not1_b32 vcc_lo, exec_lo, s58
	s_cbranch_vccnz .LBB175_1554
; %bb.1553:
	s_wait_xcnt 0x0
	v_dual_mov_b32 v5, 0 :: v_dual_lshlrev_b32 v4, 16, v1
	global_store_b64 v[2:3], v[4:5], off
.LBB175_1554:
	s_mov_b32 s58, 0
.LBB175_1555:
	s_delay_alu instid0(SALU_CYCLE_1)
	s_and_not1_b32 vcc_lo, exec_lo, s58
	s_cbranch_vccnz .LBB175_1557
; %bb.1556:
	s_wait_xcnt 0x0
	v_lshlrev_b32_e32 v4, 16, v1
	s_delay_alu instid0(VALU_DEP_1) | instskip(NEXT) | instid1(VALU_DEP_1)
	v_cvt_f16_f32_e32 v4, v4
	v_and_b32_e32 v4, 0xffff, v4
	global_store_b32 v[2:3], v4, off
.LBB175_1557:
	s_mov_b32 s58, 0
.LBB175_1558:
	s_delay_alu instid0(SALU_CYCLE_1)
	s_and_not1_b32 vcc_lo, exec_lo, s58
	s_cbranch_vccnz .LBB175_1567
; %bb.1559:
	s_cmp_lt_i32 s35, 6
	s_mov_b32 s58, -1
	s_cbranch_scc1 .LBB175_1565
; %bb.1560:
	s_cmp_gt_i32 s35, 6
	s_cbranch_scc0 .LBB175_1562
; %bb.1561:
	s_wait_xcnt 0x0
	v_lshlrev_b32_e32 v4, 16, v1
	s_mov_b32 s58, 0
	s_delay_alu instid0(VALU_DEP_1)
	v_cvt_f64_f32_e32 v[4:5], v4
	global_store_b64 v[2:3], v[4:5], off
.LBB175_1562:
	s_and_not1_b32 vcc_lo, exec_lo, s58
	s_cbranch_vccnz .LBB175_1564
; %bb.1563:
	s_wait_xcnt 0x0
	v_lshlrev_b32_e32 v4, 16, v1
	global_store_b32 v[2:3], v4, off
.LBB175_1564:
	s_mov_b32 s58, 0
.LBB175_1565:
	s_delay_alu instid0(SALU_CYCLE_1)
	s_and_not1_b32 vcc_lo, exec_lo, s58
	s_cbranch_vccnz .LBB175_1567
; %bb.1566:
	s_wait_xcnt 0x0
	v_lshlrev_b32_e32 v4, 16, v1
	s_delay_alu instid0(VALU_DEP_1)
	v_cvt_f16_f32_e32 v4, v4
	global_store_b16 v[2:3], v4, off
.LBB175_1567:
	s_mov_b32 s58, 0
.LBB175_1568:
	s_delay_alu instid0(SALU_CYCLE_1)
	s_and_not1_b32 vcc_lo, exec_lo, s58
	s_cbranch_vccnz .LBB175_1584
; %bb.1569:
	s_cmp_lt_i32 s35, 2
	s_mov_b32 s58, -1
	s_cbranch_scc1 .LBB175_1579
; %bb.1570:
	s_cmp_lt_i32 s35, 3
	s_cbranch_scc1 .LBB175_1576
; %bb.1571:
	s_cmp_gt_i32 s35, 3
	s_cbranch_scc0 .LBB175_1573
; %bb.1572:
	s_wait_xcnt 0x0
	v_lshlrev_b32_e32 v4, 16, v1
	s_mov_b32 s58, 0
	s_delay_alu instid0(VALU_DEP_1) | instskip(NEXT) | instid1(VALU_DEP_1)
	v_trunc_f32_e32 v4, v4
	v_mul_f32_e64 v5, 0x2f800000, |v4|
	s_delay_alu instid0(VALU_DEP_1) | instskip(NEXT) | instid1(VALU_DEP_1)
	v_floor_f32_e32 v5, v5
	v_fma_f32 v6, 0xcf800000, v5, |v4|
	v_ashrrev_i32_e32 v4, 31, v4
	v_cvt_u32_f32_e32 v7, v5
	s_delay_alu instid0(VALU_DEP_3) | instskip(NEXT) | instid1(VALU_DEP_2)
	v_cvt_u32_f32_e32 v6, v6
	v_dual_mov_b32 v5, v4 :: v_dual_bitop2_b32 v7, v7, v4 bitop3:0x14
	s_delay_alu instid0(VALU_DEP_2) | instskip(NEXT) | instid1(VALU_DEP_1)
	v_xor_b32_e32 v6, v6, v4
	v_sub_nc_u64_e32 v[4:5], v[6:7], v[4:5]
	global_store_b64 v[2:3], v[4:5], off
.LBB175_1573:
	s_and_not1_b32 vcc_lo, exec_lo, s58
	s_cbranch_vccnz .LBB175_1575
; %bb.1574:
	s_wait_xcnt 0x0
	v_lshlrev_b32_e32 v4, 16, v1
	s_delay_alu instid0(VALU_DEP_1)
	v_cvt_i32_f32_e32 v4, v4
	global_store_b32 v[2:3], v4, off
.LBB175_1575:
	s_mov_b32 s58, 0
.LBB175_1576:
	s_delay_alu instid0(SALU_CYCLE_1)
	s_and_not1_b32 vcc_lo, exec_lo, s58
	s_cbranch_vccnz .LBB175_1578
; %bb.1577:
	s_wait_xcnt 0x0
	v_lshlrev_b32_e32 v4, 16, v1
	s_delay_alu instid0(VALU_DEP_1)
	v_cvt_i32_f32_e32 v4, v4
	global_store_b16 v[2:3], v4, off
.LBB175_1578:
	s_mov_b32 s58, 0
.LBB175_1579:
	s_delay_alu instid0(SALU_CYCLE_1)
	s_and_not1_b32 vcc_lo, exec_lo, s58
	s_cbranch_vccnz .LBB175_1584
; %bb.1580:
	s_cmp_gt_i32 s35, 0
	s_mov_b32 s35, -1
	s_cbranch_scc0 .LBB175_1582
; %bb.1581:
	s_wait_xcnt 0x0
	v_lshlrev_b32_e32 v4, 16, v1
	s_mov_b32 s35, 0
	s_delay_alu instid0(VALU_DEP_1)
	v_cvt_i32_f32_e32 v4, v4
	global_store_b8 v[2:3], v4, off
.LBB175_1582:
	s_and_not1_b32 vcc_lo, exec_lo, s35
	s_cbranch_vccnz .LBB175_1584
; %bb.1583:
	s_wait_xcnt 0x0
	v_lshlrev_b32_e32 v1, 16, v1
	s_delay_alu instid0(VALU_DEP_1) | instskip(NEXT) | instid1(VALU_DEP_1)
	v_trunc_f32_e32 v1, v1
	v_mul_f32_e64 v4, 0x2f800000, |v1|
	s_delay_alu instid0(VALU_DEP_1) | instskip(NEXT) | instid1(VALU_DEP_1)
	v_floor_f32_e32 v4, v4
	v_fma_f32 v4, 0xcf800000, v4, |v1|
	v_ashrrev_i32_e32 v1, 31, v1
	s_delay_alu instid0(VALU_DEP_2) | instskip(NEXT) | instid1(VALU_DEP_1)
	v_cvt_u32_f32_e32 v4, v4
	v_xor_b32_e32 v4, v4, v1
	s_delay_alu instid0(VALU_DEP_1)
	v_sub_nc_u32_e32 v1, v4, v1
	global_store_b8 v[2:3], v1, off
.LBB175_1584:
	s_mov_b32 s59, -1
.LBB175_1585:
	s_delay_alu instid0(SALU_CYCLE_1)
	s_and_not1_b32 vcc_lo, exec_lo, s59
	s_cbranch_vccnz .LBB175_1587
; %bb.1586:
	v_add_nc_u32_e32 v0, 0x80, v0
	s_mov_b32 s35, -1
	s_branch .LBB175_1589
.LBB175_1587:
	s_mov_b32 s35, 0
.LBB175_1588:
                                        ; implicit-def: $vgpr0
.LBB175_1589:
	s_and_not1_b32 s58, s53, exec_lo
	s_and_b32 s0, s0, exec_lo
	s_and_not1_b32 s59, s54, exec_lo
	s_and_b32 s34, s34, exec_lo
	s_or_b32 s61, s58, s0
	s_or_b32 s59, s59, s34
	s_and_not1_b32 s0, s55, exec_lo
	s_and_b32 s31, s31, exec_lo
	s_and_not1_b32 s34, s52, exec_lo
	s_and_b32 s30, s30, exec_lo
	s_or_b32 s60, s0, s31
	s_or_b32 s58, s34, s30
	s_or_not1_b32 s35, s35, exec_lo
.LBB175_1590:
	s_wait_xcnt 0x0
	s_or_b32 exec_lo, exec_lo, s57
	s_mov_b32 s31, 0
	s_mov_b32 s34, 0
	;; [unrolled: 1-line block ×3, first 2 shown]
                                        ; implicit-def: $sgpr0
                                        ; implicit-def: $vgpr8_vgpr9
                                        ; implicit-def: $vgpr2
                                        ; implicit-def: $vgpr4
                                        ; implicit-def: $vgpr6
                                        ; implicit-def: $vgpr3
	s_and_saveexec_b32 s57, s35
	s_cbranch_execz .LBB175_1683
; %bb.1591:
	v_cmp_gt_i32_e32 vcc_lo, s46, v0
	s_mov_b32 s35, s58
                                        ; implicit-def: $sgpr0
                                        ; implicit-def: $vgpr8_vgpr9
                                        ; implicit-def: $vgpr2
                                        ; implicit-def: $vgpr4
                                        ; implicit-def: $vgpr6
                                        ; implicit-def: $vgpr3
	s_and_saveexec_b32 s46, vcc_lo
	s_cbranch_execz .LBB175_1682
; %bb.1592:
	s_and_not1_b32 vcc_lo, exec_lo, s38
	s_cbranch_vccnz .LBB175_1598
; %bb.1593:
	s_and_not1_b32 vcc_lo, exec_lo, s47
	s_cbranch_vccnz .LBB175_1599
; %bb.1594:
	s_wait_loadcnt 0x0
	v_dual_mov_b32 v6, 0 :: v_dual_mov_b32 v1, v0
	v_dual_mov_b32 v4, 0 :: v_dual_mov_b32 v2, 0
	v_mov_b32_e32 v8, 0
	s_add_co_i32 s0, s44, 1
	s_mov_b64 s[30:31], 0xffffffffffffffe0
	s_and_b32 s0, s0, 30
	s_add_nc_u64 s[30:31], s[2:3], s[30:31]
	s_mov_b64 s[34:35], s[2:3]
.LBB175_1595:                           ; =>This Inner Loop Header: Depth=1
	s_clause 0x1
	s_load_b128 s[72:75], s[34:35], 0x4
	s_load_b64 s[62:63], s[34:35], 0x14
	s_load_b256 s[64:71], s[30:31], 0xe4
	s_add_co_i32 s0, s0, -2
	s_wait_xcnt 0x0
	s_add_nc_u64 s[34:35], s[34:35], 24
	s_cmp_eq_u32 s0, 0
	s_add_nc_u64 s[30:31], s[30:31], 32
	s_wait_kmcnt 0x0
	v_mul_hi_u32 v3, s73, v1
	s_delay_alu instid0(VALU_DEP_1) | instskip(NEXT) | instid1(VALU_DEP_1)
	v_add_nc_u32_e32 v3, v1, v3
	v_lshrrev_b32_e32 v3, s74, v3
	s_delay_alu instid0(VALU_DEP_1) | instskip(SKIP_1) | instid1(VALU_DEP_1)
	v_mul_hi_u32 v5, s62, v3
	v_mul_lo_u32 v7, v3, s72
	v_dual_add_nc_u32 v5, v3, v5 :: v_dual_sub_nc_u32 v7, v1, v7
	s_delay_alu instid0(VALU_DEP_1) | instskip(NEXT) | instid1(VALU_DEP_2)
	v_lshrrev_b32_e32 v1, s63, v5
	v_mad_u32 v8, v7, s65, v8
	v_mad_u32 v2, v7, s64, v2
	;; [unrolled: 1-line block ×4, first 2 shown]
	v_mul_lo_u32 v5, v1, s75
	s_delay_alu instid0(VALU_DEP_1) | instskip(NEXT) | instid1(VALU_DEP_1)
	v_sub_nc_u32_e32 v3, v3, v5
	v_mad_u32 v8, v3, s69, v8
	v_mad_u32 v2, v3, s68, v2
	;; [unrolled: 1-line block ×4, first 2 shown]
	s_cbranch_scc0 .LBB175_1595
; %bb.1596:
	s_bitcmp1_b32 s44, 0
	s_cselect_b32 s0, -1, 0
	s_delay_alu instid0(SALU_CYCLE_1)
	s_and_b32 vcc_lo, exec_lo, s0
	s_cbranch_vccnz .LBB175_1600
; %bb.1597:
	s_load_b96 s[68:70], s[34:35], 0x4
	s_load_b128 s[64:67], s[30:31], 0xe4
	s_wait_kmcnt 0x0
	v_mul_hi_u32 v3, s69, v1
	s_delay_alu instid0(VALU_DEP_1) | instskip(NEXT) | instid1(VALU_DEP_1)
	v_add_nc_u32_e32 v3, v1, v3
	v_lshrrev_b32_e32 v3, s70, v3
	s_delay_alu instid0(VALU_DEP_1) | instskip(NEXT) | instid1(VALU_DEP_1)
	v_mul_lo_u32 v3, v3, s68
	v_sub_nc_u32_e32 v1, v1, v3
	s_delay_alu instid0(VALU_DEP_1)
	v_mad_u32 v2, v1, s64, v2
	v_mad_u32 v8, v1, s65, v8
	;; [unrolled: 1-line block ×4, first 2 shown]
	s_branch .LBB175_1600
.LBB175_1598:
	s_mov_b32 s0, -1
                                        ; implicit-def: $vgpr8
                                        ; implicit-def: $vgpr2
                                        ; implicit-def: $vgpr4
                                        ; implicit-def: $vgpr6
	s_branch .LBB175_1601
.LBB175_1599:
	v_dual_mov_b32 v8, 0 :: v_dual_mov_b32 v2, 0
	s_wait_loadcnt 0x0
	v_dual_mov_b32 v4, 0 :: v_dual_mov_b32 v6, 0
.LBB175_1600:
	s_mov_b32 s0, 0
.LBB175_1601:
	s_delay_alu instid0(SALU_CYCLE_1)
	s_and_not1_b32 vcc_lo, exec_lo, s0
	s_cbranch_vccnz .LBB175_1604
; %bb.1602:
	s_wait_loadcnt 0x0
	v_mov_b32_e32 v1, 0
	s_and_not1_b32 vcc_lo, exec_lo, s43
	s_delay_alu instid0(VALU_DEP_1) | instskip(NEXT) | instid1(VALU_DEP_1)
	v_mul_u64_e32 v[2:3], s[24:25], v[0:1]
	v_add_nc_u32_e32 v2, v0, v3
	s_delay_alu instid0(VALU_DEP_1) | instskip(NEXT) | instid1(VALU_DEP_1)
	v_lshrrev_b32_e32 v10, s22, v2
	v_mul_lo_u32 v2, v10, s20
	s_delay_alu instid0(VALU_DEP_1) | instskip(NEXT) | instid1(VALU_DEP_1)
	v_sub_nc_u32_e32 v0, v0, v2
	v_mul_lo_u32 v8, v0, s13
	v_mul_lo_u32 v2, v0, s12
	;; [unrolled: 1-line block ×4, first 2 shown]
	s_cbranch_vccnz .LBB175_1604
; %bb.1603:
	v_mov_b32_e32 v11, v1
	s_delay_alu instid0(VALU_DEP_1) | instskip(NEXT) | instid1(VALU_DEP_1)
	v_mul_u64_e32 v[0:1], s[28:29], v[10:11]
	v_add_nc_u32_e32 v0, v10, v1
	s_delay_alu instid0(VALU_DEP_1) | instskip(NEXT) | instid1(VALU_DEP_1)
	v_lshrrev_b32_e32 v0, s27, v0
	v_mul_lo_u32 v0, v0, s23
	s_delay_alu instid0(VALU_DEP_1) | instskip(NEXT) | instid1(VALU_DEP_1)
	v_sub_nc_u32_e32 v0, v10, v0
	v_mad_u32 v2, v0, s16, v2
	v_mad_u32 v8, v0, s17, v8
	;; [unrolled: 1-line block ×4, first 2 shown]
.LBB175_1604:
	v_mov_b32_e32 v9, 0
	s_and_b32 s0, s42, 0xff
	s_delay_alu instid0(SALU_CYCLE_1) | instskip(NEXT) | instid1(VALU_DEP_1)
	s_cmp_lt_i32 s0, 11
	v_add_nc_u64_e32 v[8:9], s[6:7], v[8:9]
	s_cbranch_scc1 .LBB175_1611
; %bb.1605:
	s_and_b32 s6, 0xffff, s0
	s_mov_b32 s12, 0
	s_cmp_gt_i32 s6, 25
	s_cbranch_scc0 .LBB175_1612
; %bb.1606:
	s_cmp_gt_i32 s6, 28
	s_cbranch_scc0 .LBB175_1613
; %bb.1607:
	;; [unrolled: 3-line block ×4, first 2 shown]
	s_cmp_eq_u32 s6, 46
	s_mov_b32 s14, 0
	s_cbranch_scc0 .LBB175_1616
; %bb.1610:
	s_wait_loadcnt 0x0
	global_load_b32 v3, v[8:9], off
	s_mov_b32 s7, 0
	s_mov_b32 s13, -1
	s_branch .LBB175_1618
.LBB175_1611:
	s_mov_b32 s6, -1
	s_mov_b32 s13, 0
	s_mov_b32 s12, 0
	;; [unrolled: 1-line block ×3, first 2 shown]
                                        ; implicit-def: $vgpr3
	s_branch .LBB175_1681
.LBB175_1612:
	s_mov_b32 s14, -1
	s_mov_b32 s13, 0
	s_mov_b32 s7, s58
                                        ; implicit-def: $vgpr3
	s_branch .LBB175_1647
.LBB175_1613:
	s_mov_b32 s14, -1
	s_mov_b32 s13, 0
	s_mov_b32 s7, s58
                                        ; implicit-def: $vgpr3
	s_branch .LBB175_1628
.LBB175_1614:
	s_mov_b32 s14, -1
	s_mov_b32 s13, 0
	s_mov_b32 s7, s58
                                        ; implicit-def: $vgpr3
	s_branch .LBB175_1623
.LBB175_1615:
	s_mov_b32 s14, -1
	s_mov_b32 s13, 0
	s_mov_b32 s7, s58
	s_branch .LBB175_1617
.LBB175_1616:
	s_mov_b32 s7, -1
	s_mov_b32 s13, 0
.LBB175_1617:
                                        ; implicit-def: $vgpr3
.LBB175_1618:
	s_and_b32 vcc_lo, exec_lo, s14
	s_cbranch_vccz .LBB175_1622
; %bb.1619:
	s_cmp_eq_u32 s6, 44
	s_cbranch_scc0 .LBB175_1621
; %bb.1620:
	global_load_u8 v0, v[8:9], off
	s_mov_b32 s7, 0
	s_mov_b32 s13, -1
	s_wait_loadcnt 0x0
	v_lshlrev_b32_e32 v1, 23, v0
	v_cmp_ne_u32_e32 vcc_lo, 0xff, v0
	s_delay_alu instid0(VALU_DEP_2) | instskip(SKIP_1) | instid1(VALU_DEP_2)
	v_cndmask_b32_e32 v1, 0x7f800001, v1, vcc_lo
	v_cmp_ne_u32_e32 vcc_lo, 0, v0
	v_cndmask_b32_e32 v0, 0x400000, v1, vcc_lo
	s_delay_alu instid0(VALU_DEP_1) | instskip(NEXT) | instid1(VALU_DEP_1)
	v_add_nc_u32_e32 v1, 0x7fff, v0
	v_lshrrev_b32_e32 v1, 16, v1
	v_cmp_o_f32_e32 vcc_lo, v0, v0
	s_delay_alu instid0(VALU_DEP_2)
	v_cndmask_b32_e32 v3, 0x7fc0, v1, vcc_lo
	s_branch .LBB175_1622
.LBB175_1621:
	s_mov_b32 s7, -1
                                        ; implicit-def: $vgpr3
.LBB175_1622:
	s_mov_b32 s14, 0
.LBB175_1623:
	s_delay_alu instid0(SALU_CYCLE_1)
	s_and_b32 vcc_lo, exec_lo, s14
	s_cbranch_vccz .LBB175_1627
; %bb.1624:
	s_cmp_eq_u32 s6, 29
	s_cbranch_scc0 .LBB175_1626
; %bb.1625:
	s_wait_loadcnt 0x0
	global_load_b64 v[0:1], v[8:9], off
	s_mov_b32 s7, 0
	s_mov_b32 s13, -1
	s_mov_b32 s14, 0
	s_wait_loadcnt 0x0
	v_clz_i32_u32_e32 v3, v1
	s_delay_alu instid0(VALU_DEP_1) | instskip(NEXT) | instid1(VALU_DEP_1)
	v_min_u32_e32 v3, 32, v3
	v_lshlrev_b64_e32 v[0:1], v3, v[0:1]
	s_delay_alu instid0(VALU_DEP_1) | instskip(NEXT) | instid1(VALU_DEP_1)
	v_min_u32_e32 v0, 1, v0
	v_dual_sub_nc_u32 v1, 32, v3 :: v_dual_bitop2_b32 v0, v1, v0 bitop3:0x54
	s_delay_alu instid0(VALU_DEP_1) | instskip(NEXT) | instid1(VALU_DEP_1)
	v_cvt_f32_u32_e32 v0, v0
	v_ldexp_f32 v0, v0, v1
	s_delay_alu instid0(VALU_DEP_1) | instskip(NEXT) | instid1(VALU_DEP_1)
	v_bfe_u32 v1, v0, 16, 1
	v_add3_u32 v0, v0, v1, 0x7fff
	s_delay_alu instid0(VALU_DEP_1)
	v_lshrrev_b32_e32 v3, 16, v0
	s_branch .LBB175_1628
.LBB175_1626:
	s_mov_b32 s7, -1
                                        ; implicit-def: $vgpr3
.LBB175_1627:
	s_mov_b32 s14, 0
.LBB175_1628:
	s_delay_alu instid0(SALU_CYCLE_1)
	s_and_b32 vcc_lo, exec_lo, s14
	s_cbranch_vccz .LBB175_1646
; %bb.1629:
	s_cmp_lt_i32 s6, 27
	s_cbranch_scc1 .LBB175_1632
; %bb.1630:
	s_cmp_gt_i32 s6, 27
	s_cbranch_scc0 .LBB175_1633
; %bb.1631:
	global_load_b32 v0, v[8:9], off
	s_mov_b32 s13, 0
	s_wait_loadcnt 0x0
	v_cvt_f32_u32_e32 v0, v0
	s_delay_alu instid0(VALU_DEP_1) | instskip(NEXT) | instid1(VALU_DEP_1)
	v_bfe_u32 v1, v0, 16, 1
	v_add3_u32 v0, v0, v1, 0x7fff
	s_delay_alu instid0(VALU_DEP_1)
	v_lshrrev_b32_e32 v3, 16, v0
	s_branch .LBB175_1634
.LBB175_1632:
	s_mov_b32 s13, -1
                                        ; implicit-def: $vgpr3
	s_branch .LBB175_1637
.LBB175_1633:
	s_mov_b32 s13, -1
                                        ; implicit-def: $vgpr3
.LBB175_1634:
	s_delay_alu instid0(SALU_CYCLE_1)
	s_and_not1_b32 vcc_lo, exec_lo, s13
	s_cbranch_vccnz .LBB175_1636
; %bb.1635:
	global_load_u16 v0, v[8:9], off
	s_wait_loadcnt 0x0
	v_cvt_f32_u32_e32 v0, v0
	s_delay_alu instid0(VALU_DEP_1) | instskip(NEXT) | instid1(VALU_DEP_1)
	v_bfe_u32 v1, v0, 16, 1
	v_add3_u32 v0, v0, v1, 0x7fff
	s_delay_alu instid0(VALU_DEP_1)
	v_lshrrev_b32_e32 v3, 16, v0
.LBB175_1636:
	s_mov_b32 s13, 0
.LBB175_1637:
	s_delay_alu instid0(SALU_CYCLE_1)
	s_and_not1_b32 vcc_lo, exec_lo, s13
	s_cbranch_vccnz .LBB175_1645
; %bb.1638:
	global_load_u8 v0, v[8:9], off
	s_mov_b32 s13, 0
	s_mov_b32 s14, exec_lo
	s_wait_loadcnt 0x0
	v_cmpx_lt_i16_e32 0x7f, v0
	s_xor_b32 s14, exec_lo, s14
	s_cbranch_execz .LBB175_1659
; %bb.1639:
	s_mov_b32 s13, -1
	s_mov_b32 s15, exec_lo
	v_cmpx_eq_u16_e32 0x80, v0
; %bb.1640:
	s_xor_b32 s13, exec_lo, -1
; %bb.1641:
	s_or_b32 exec_lo, exec_lo, s15
	s_delay_alu instid0(SALU_CYCLE_1)
	s_and_b32 s13, s13, exec_lo
	s_or_saveexec_b32 s14, s14
	v_mov_b32_e32 v1, 0x7f800001
	s_xor_b32 exec_lo, exec_lo, s14
	s_cbranch_execnz .LBB175_1660
.LBB175_1642:
	s_or_b32 exec_lo, exec_lo, s14
	s_and_saveexec_b32 s14, s13
	s_cbranch_execz .LBB175_1644
.LBB175_1643:
	v_and_b32_e32 v1, 0xffff, v0
	s_delay_alu instid0(VALU_DEP_1) | instskip(SKIP_1) | instid1(VALU_DEP_2)
	v_dual_lshlrev_b32 v0, 24, v0 :: v_dual_bitop2_b32 v3, 7, v1 bitop3:0x40
	v_bfe_u32 v10, v1, 3, 4
	v_and_b32_e32 v0, 0x80000000, v0
	s_delay_alu instid0(VALU_DEP_3) | instskip(NEXT) | instid1(VALU_DEP_3)
	v_clz_i32_u32_e32 v5, v3
	v_cmp_eq_u32_e32 vcc_lo, 0, v10
	s_delay_alu instid0(VALU_DEP_2) | instskip(NEXT) | instid1(VALU_DEP_1)
	v_min_u32_e32 v5, 32, v5
	v_subrev_nc_u32_e32 v7, 28, v5
	v_sub_nc_u32_e32 v5, 29, v5
	s_delay_alu instid0(VALU_DEP_2) | instskip(NEXT) | instid1(VALU_DEP_2)
	v_lshlrev_b32_e32 v1, v7, v1
	v_cndmask_b32_e32 v5, v10, v5, vcc_lo
	s_delay_alu instid0(VALU_DEP_2) | instskip(NEXT) | instid1(VALU_DEP_1)
	v_and_b32_e32 v1, 7, v1
	v_cndmask_b32_e32 v1, v3, v1, vcc_lo
	s_delay_alu instid0(VALU_DEP_3) | instskip(NEXT) | instid1(VALU_DEP_2)
	v_lshl_add_u32 v3, v5, 23, 0x3b800000
	v_lshlrev_b32_e32 v1, 20, v1
	s_delay_alu instid0(VALU_DEP_1)
	v_or3_b32 v1, v0, v3, v1
.LBB175_1644:
	s_or_b32 exec_lo, exec_lo, s14
	s_delay_alu instid0(VALU_DEP_1) | instskip(SKIP_1) | instid1(VALU_DEP_2)
	v_bfe_u32 v0, v1, 16, 1
	v_cmp_o_f32_e32 vcc_lo, v1, v1
	v_add3_u32 v0, v1, v0, 0x7fff
	s_delay_alu instid0(VALU_DEP_1) | instskip(NEXT) | instid1(VALU_DEP_1)
	v_lshrrev_b32_e32 v0, 16, v0
	v_cndmask_b32_e32 v3, 0x7fc0, v0, vcc_lo
.LBB175_1645:
	s_mov_b32 s13, -1
.LBB175_1646:
	s_mov_b32 s14, 0
.LBB175_1647:
	s_delay_alu instid0(SALU_CYCLE_1)
	s_and_b32 vcc_lo, exec_lo, s14
	s_cbranch_vccz .LBB175_1680
; %bb.1648:
	s_cmp_gt_i32 s6, 22
	s_cbranch_scc0 .LBB175_1658
; %bb.1649:
	s_cmp_lt_i32 s6, 24
	s_cbranch_scc1 .LBB175_1661
; %bb.1650:
	s_cmp_gt_i32 s6, 24
	s_cbranch_scc0 .LBB175_1662
; %bb.1651:
	global_load_u8 v0, v[8:9], off
	s_mov_b32 s13, exec_lo
	s_wait_loadcnt 0x0
	v_cmpx_lt_i16_e32 0x7f, v0
	s_xor_b32 s13, exec_lo, s13
	s_cbranch_execz .LBB175_1674
; %bb.1652:
	s_mov_b32 s12, -1
	s_mov_b32 s14, exec_lo
	v_cmpx_eq_u16_e32 0x80, v0
; %bb.1653:
	s_xor_b32 s12, exec_lo, -1
; %bb.1654:
	s_or_b32 exec_lo, exec_lo, s14
	s_delay_alu instid0(SALU_CYCLE_1)
	s_and_b32 s12, s12, exec_lo
	s_or_saveexec_b32 s13, s13
	v_mov_b32_e32 v1, 0x7f800001
	s_xor_b32 exec_lo, exec_lo, s13
	s_cbranch_execnz .LBB175_1675
.LBB175_1655:
	s_or_b32 exec_lo, exec_lo, s13
	s_and_saveexec_b32 s13, s12
	s_cbranch_execz .LBB175_1657
.LBB175_1656:
	v_and_b32_e32 v1, 0xffff, v0
	s_delay_alu instid0(VALU_DEP_1) | instskip(SKIP_1) | instid1(VALU_DEP_2)
	v_dual_lshlrev_b32 v0, 24, v0 :: v_dual_bitop2_b32 v3, 3, v1 bitop3:0x40
	v_bfe_u32 v10, v1, 2, 5
	v_and_b32_e32 v0, 0x80000000, v0
	s_delay_alu instid0(VALU_DEP_3) | instskip(NEXT) | instid1(VALU_DEP_3)
	v_clz_i32_u32_e32 v5, v3
	v_cmp_eq_u32_e32 vcc_lo, 0, v10
	s_delay_alu instid0(VALU_DEP_2) | instskip(NEXT) | instid1(VALU_DEP_1)
	v_min_u32_e32 v5, 32, v5
	v_subrev_nc_u32_e32 v7, 29, v5
	v_sub_nc_u32_e32 v5, 30, v5
	s_delay_alu instid0(VALU_DEP_2) | instskip(NEXT) | instid1(VALU_DEP_2)
	v_lshlrev_b32_e32 v1, v7, v1
	v_cndmask_b32_e32 v5, v10, v5, vcc_lo
	s_delay_alu instid0(VALU_DEP_2) | instskip(NEXT) | instid1(VALU_DEP_1)
	v_and_b32_e32 v1, 3, v1
	v_cndmask_b32_e32 v1, v3, v1, vcc_lo
	s_delay_alu instid0(VALU_DEP_3) | instskip(NEXT) | instid1(VALU_DEP_2)
	v_lshl_add_u32 v3, v5, 23, 0x37800000
	v_lshlrev_b32_e32 v1, 21, v1
	s_delay_alu instid0(VALU_DEP_1)
	v_or3_b32 v1, v0, v3, v1
.LBB175_1657:
	s_or_b32 exec_lo, exec_lo, s13
	s_delay_alu instid0(VALU_DEP_1) | instskip(SKIP_2) | instid1(VALU_DEP_2)
	v_bfe_u32 v0, v1, 16, 1
	v_cmp_o_f32_e32 vcc_lo, v1, v1
	s_mov_b32 s12, 0
	v_add3_u32 v0, v1, v0, 0x7fff
	s_delay_alu instid0(VALU_DEP_1) | instskip(NEXT) | instid1(VALU_DEP_1)
	v_lshrrev_b32_e32 v0, 16, v0
	v_cndmask_b32_e32 v3, 0x7fc0, v0, vcc_lo
	s_branch .LBB175_1663
.LBB175_1658:
	s_mov_b32 s12, -1
                                        ; implicit-def: $vgpr3
	s_branch .LBB175_1669
.LBB175_1659:
	s_or_saveexec_b32 s14, s14
	v_mov_b32_e32 v1, 0x7f800001
	s_xor_b32 exec_lo, exec_lo, s14
	s_cbranch_execz .LBB175_1642
.LBB175_1660:
	v_cmp_ne_u16_e32 vcc_lo, 0, v0
	v_mov_b32_e32 v1, 0
	s_and_not1_b32 s13, s13, exec_lo
	s_and_b32 s15, vcc_lo, exec_lo
	s_delay_alu instid0(SALU_CYCLE_1)
	s_or_b32 s13, s13, s15
	s_or_b32 exec_lo, exec_lo, s14
	s_and_saveexec_b32 s14, s13
	s_cbranch_execnz .LBB175_1643
	s_branch .LBB175_1644
.LBB175_1661:
	s_mov_b32 s12, -1
                                        ; implicit-def: $vgpr3
	s_branch .LBB175_1666
.LBB175_1662:
	s_mov_b32 s12, -1
                                        ; implicit-def: $vgpr3
.LBB175_1663:
	s_delay_alu instid0(SALU_CYCLE_1)
	s_and_b32 vcc_lo, exec_lo, s12
	s_cbranch_vccz .LBB175_1665
; %bb.1664:
	global_load_u8 v0, v[8:9], off
	s_wait_loadcnt 0x0
	v_lshlrev_b32_e32 v0, 24, v0
	s_delay_alu instid0(VALU_DEP_1) | instskip(NEXT) | instid1(VALU_DEP_1)
	v_and_b32_e32 v1, 0x7f000000, v0
	v_clz_i32_u32_e32 v3, v1
	v_add_nc_u32_e32 v7, 0x1000000, v1
	v_cmp_ne_u32_e32 vcc_lo, 0, v1
	s_delay_alu instid0(VALU_DEP_3) | instskip(NEXT) | instid1(VALU_DEP_1)
	v_min_u32_e32 v3, 32, v3
	v_sub_nc_u32_e64 v3, v3, 4 clamp
	s_delay_alu instid0(VALU_DEP_1) | instskip(NEXT) | instid1(VALU_DEP_1)
	v_dual_lshlrev_b32 v5, v3, v1 :: v_dual_lshlrev_b32 v3, 23, v3
	v_lshrrev_b32_e32 v5, 4, v5
	s_delay_alu instid0(VALU_DEP_1) | instskip(SKIP_1) | instid1(VALU_DEP_2)
	v_sub_nc_u32_e32 v3, v5, v3
	v_ashrrev_i32_e32 v5, 8, v7
	v_add_nc_u32_e32 v3, 0x3c000000, v3
	s_delay_alu instid0(VALU_DEP_1) | instskip(NEXT) | instid1(VALU_DEP_1)
	v_and_or_b32 v3, 0x7f800000, v5, v3
	v_cndmask_b32_e32 v1, 0, v3, vcc_lo
	s_delay_alu instid0(VALU_DEP_1) | instskip(SKIP_1) | instid1(VALU_DEP_2)
	v_and_or_b32 v0, 0x80000000, v0, v1
	v_bfe_u32 v1, v1, 16, 1
	v_cmp_o_f32_e32 vcc_lo, v0, v0
	s_delay_alu instid0(VALU_DEP_2) | instskip(NEXT) | instid1(VALU_DEP_1)
	v_add3_u32 v1, v0, v1, 0x7fff
	v_lshrrev_b32_e32 v1, 16, v1
	s_delay_alu instid0(VALU_DEP_1)
	v_cndmask_b32_e32 v3, 0x7fc0, v1, vcc_lo
.LBB175_1665:
	s_mov_b32 s12, 0
.LBB175_1666:
	s_delay_alu instid0(SALU_CYCLE_1)
	s_and_not1_b32 vcc_lo, exec_lo, s12
	s_cbranch_vccnz .LBB175_1668
; %bb.1667:
	global_load_u8 v0, v[8:9], off
	s_wait_loadcnt 0x0
	v_lshlrev_b32_e32 v1, 25, v0
	v_lshlrev_b16 v0, 8, v0
	s_delay_alu instid0(VALU_DEP_1) | instskip(SKIP_1) | instid1(VALU_DEP_2)
	v_and_or_b32 v5, 0x7f00, v0, 0.5
	v_bfe_i32 v0, v0, 0, 16
	v_add_f32_e32 v5, -0.5, v5
	v_lshrrev_b32_e32 v3, 4, v1
	v_cmp_gt_u32_e32 vcc_lo, 0x8000000, v1
	s_delay_alu instid0(VALU_DEP_2) | instskip(NEXT) | instid1(VALU_DEP_1)
	v_or_b32_e32 v3, 0x70000000, v3
	v_mul_f32_e32 v3, 0x7800000, v3
	s_delay_alu instid0(VALU_DEP_1) | instskip(NEXT) | instid1(VALU_DEP_1)
	v_cndmask_b32_e32 v1, v3, v5, vcc_lo
	v_and_or_b32 v0, 0x80000000, v0, v1
	v_bfe_u32 v1, v1, 16, 1
	s_delay_alu instid0(VALU_DEP_2) | instskip(NEXT) | instid1(VALU_DEP_2)
	v_cmp_o_f32_e32 vcc_lo, v0, v0
	v_add3_u32 v1, v0, v1, 0x7fff
	s_delay_alu instid0(VALU_DEP_1) | instskip(NEXT) | instid1(VALU_DEP_1)
	v_lshrrev_b32_e32 v1, 16, v1
	v_cndmask_b32_e32 v3, 0x7fc0, v1, vcc_lo
.LBB175_1668:
	s_mov_b32 s12, 0
	s_mov_b32 s13, -1
.LBB175_1669:
	s_and_not1_b32 vcc_lo, exec_lo, s12
	s_mov_b32 s12, 0
	s_cbranch_vccnz .LBB175_1680
; %bb.1670:
	s_cmp_gt_i32 s6, 14
	s_cbranch_scc0 .LBB175_1673
; %bb.1671:
	s_cmp_eq_u32 s6, 15
	s_cbranch_scc0 .LBB175_1676
; %bb.1672:
	s_wait_loadcnt 0x0
	global_load_u16 v3, v[8:9], off
	s_mov_b32 s7, 0
	s_mov_b32 s13, -1
	s_branch .LBB175_1678
.LBB175_1673:
	s_mov_b32 s12, -1
	s_branch .LBB175_1677
.LBB175_1674:
	s_or_saveexec_b32 s13, s13
	v_mov_b32_e32 v1, 0x7f800001
	s_xor_b32 exec_lo, exec_lo, s13
	s_cbranch_execz .LBB175_1655
.LBB175_1675:
	v_cmp_ne_u16_e32 vcc_lo, 0, v0
	v_mov_b32_e32 v1, 0
	s_and_not1_b32 s12, s12, exec_lo
	s_and_b32 s14, vcc_lo, exec_lo
	s_delay_alu instid0(SALU_CYCLE_1)
	s_or_b32 s12, s12, s14
	s_or_b32 exec_lo, exec_lo, s13
	s_and_saveexec_b32 s13, s12
	s_cbranch_execnz .LBB175_1656
	s_branch .LBB175_1657
.LBB175_1676:
	s_mov_b32 s7, -1
.LBB175_1677:
                                        ; implicit-def: $vgpr3
.LBB175_1678:
	s_and_b32 vcc_lo, exec_lo, s12
	s_mov_b32 s12, 0
	s_cbranch_vccz .LBB175_1680
; %bb.1679:
	s_cmp_lg_u32 s6, 11
	s_mov_b32 s12, -1
	s_cselect_b32 s6, -1, 0
	s_and_not1_b32 s7, s7, exec_lo
	s_and_b32 s6, s6, exec_lo
	s_delay_alu instid0(SALU_CYCLE_1)
	s_or_b32 s7, s7, s6
.LBB175_1680:
	s_mov_b32 s6, 0
.LBB175_1681:
	s_delay_alu instid0(SALU_CYCLE_1)
	s_and_b32 s34, s6, exec_lo
	s_and_not1_b32 s6, s58, exec_lo
	s_and_b32 s7, s7, exec_lo
	s_and_b32 s30, s13, exec_lo
	;; [unrolled: 1-line block ×3, first 2 shown]
	s_or_b32 s35, s6, s7
.LBB175_1682:
	s_wait_xcnt 0x0
	s_or_b32 exec_lo, exec_lo, s46
	s_delay_alu instid0(SALU_CYCLE_1)
	s_and_not1_b32 s6, s58, exec_lo
	s_and_b32 s7, s35, exec_lo
	s_and_b32 s30, s30, exec_lo
	s_and_b32 s34, s34, exec_lo
	s_and_b32 s31, s31, exec_lo
	s_or_b32 s58, s6, s7
.LBB175_1683:
	s_or_b32 exec_lo, exec_lo, s57
	s_delay_alu instid0(SALU_CYCLE_1)
	s_and_not1_b32 s6, s53, exec_lo
	s_and_b32 s7, s61, exec_lo
	s_and_not1_b32 s12, s55, exec_lo
	s_or_b32 s53, s6, s7
	s_and_not1_b32 s6, s54, exec_lo
	s_and_b32 s7, s59, exec_lo
	s_and_b32 s13, s60, exec_lo
	s_or_b32 s54, s6, s7
	s_and_not1_b32 s6, s52, exec_lo
	s_and_b32 s7, s58, exec_lo
	s_or_b32 s55, s12, s13
	s_and_b32 s30, s30, exec_lo
	s_and_b32 s34, s34, exec_lo
	;; [unrolled: 1-line block ×3, first 2 shown]
	s_or_b32 s52, s6, s7
.LBB175_1684:
	s_or_b32 exec_lo, exec_lo, s56
	s_delay_alu instid0(SALU_CYCLE_1)
	s_and_not1_b32 s6, s45, exec_lo
	s_and_b32 s7, s53, exec_lo
	s_and_not1_b32 s12, s49, exec_lo
	s_or_b32 s45, s6, s7
	s_and_not1_b32 s6, s48, exec_lo
	s_and_b32 s7, s54, exec_lo
	s_and_b32 s13, s55, exec_lo
	s_or_b32 s48, s6, s7
	s_and_not1_b32 s6, s50, exec_lo
	s_and_b32 s7, s52, exec_lo
	s_or_b32 s49, s12, s13
	s_and_b32 s30, s30, exec_lo
	s_and_b32 s34, s34, exec_lo
	;; [unrolled: 1-line block ×3, first 2 shown]
	s_or_b32 s50, s6, s7
	s_or_b32 exec_lo, exec_lo, s51
	s_mov_b32 s6, 0
	s_and_saveexec_b32 s7, s50
	s_cbranch_execz .LBB175_532
.LBB175_1685:
	s_mov_b32 s6, exec_lo
	s_and_not1_b32 s25, s25, exec_lo
	s_trap 2
	s_or_b32 exec_lo, exec_lo, s7
	s_and_saveexec_b32 s7, s25
	s_delay_alu instid0(SALU_CYCLE_1)
	s_xor_b32 s7, exec_lo, s7
	s_cbranch_execnz .LBB175_533
.LBB175_1686:
	s_or_b32 exec_lo, exec_lo, s7
	s_and_saveexec_b32 s7, s34
	s_cbranch_execz .LBB175_1732
.LBB175_1687:
	s_sext_i32_i16 s12, s0
	s_delay_alu instid0(SALU_CYCLE_1)
	s_cmp_lt_i32 s12, 5
	s_cbranch_scc1 .LBB175_1692
; %bb.1688:
	s_cmp_lt_i32 s12, 8
	s_cbranch_scc1 .LBB175_1693
; %bb.1689:
	;; [unrolled: 3-line block ×3, first 2 shown]
	s_cmp_gt_i32 s12, 9
	s_cbranch_scc0 .LBB175_1695
; %bb.1691:
	s_wait_loadcnt 0x0
	global_load_b64 v[0:1], v[8:9], off
	s_mov_b32 s12, 0
	s_wait_loadcnt 0x0
	v_cvt_f32_f64_e32 v0, v[0:1]
	s_delay_alu instid0(VALU_DEP_1) | instskip(SKIP_1) | instid1(VALU_DEP_2)
	v_bfe_u32 v1, v0, 16, 1
	v_cmp_o_f32_e32 vcc_lo, v0, v0
	v_add3_u32 v1, v0, v1, 0x7fff
	s_delay_alu instid0(VALU_DEP_1) | instskip(NEXT) | instid1(VALU_DEP_1)
	v_lshrrev_b32_e32 v1, 16, v1
	v_cndmask_b32_e32 v3, 0x7fc0, v1, vcc_lo
	s_branch .LBB175_1696
.LBB175_1692:
                                        ; implicit-def: $vgpr3
	s_branch .LBB175_1713
.LBB175_1693:
                                        ; implicit-def: $vgpr3
	s_branch .LBB175_1702
.LBB175_1694:
	s_mov_b32 s12, -1
                                        ; implicit-def: $vgpr3
	s_branch .LBB175_1699
.LBB175_1695:
	s_mov_b32 s12, -1
                                        ; implicit-def: $vgpr3
.LBB175_1696:
	s_delay_alu instid0(SALU_CYCLE_1)
	s_and_not1_b32 vcc_lo, exec_lo, s12
	s_cbranch_vccnz .LBB175_1698
; %bb.1697:
	global_load_b32 v0, v[8:9], off
	s_wait_loadcnt 0x0
	v_bfe_u32 v1, v0, 16, 1
	v_cmp_o_f32_e32 vcc_lo, v0, v0
	s_delay_alu instid0(VALU_DEP_2) | instskip(NEXT) | instid1(VALU_DEP_1)
	v_add3_u32 v1, v0, v1, 0x7fff
	v_lshrrev_b32_e32 v1, 16, v1
	s_delay_alu instid0(VALU_DEP_1)
	v_cndmask_b32_e32 v3, 0x7fc0, v1, vcc_lo
.LBB175_1698:
	s_mov_b32 s12, 0
.LBB175_1699:
	s_delay_alu instid0(SALU_CYCLE_1)
	s_and_not1_b32 vcc_lo, exec_lo, s12
	s_cbranch_vccnz .LBB175_1701
; %bb.1700:
	global_load_b32 v0, v[8:9], off
	s_wait_loadcnt 0x0
	v_cvt_f32_f16_e32 v1, v0
	v_cmp_o_f16_e32 vcc_lo, v0, v0
	s_delay_alu instid0(VALU_DEP_2) | instskip(NEXT) | instid1(VALU_DEP_1)
	v_bfe_u32 v3, v1, 16, 1
	v_add3_u32 v1, v1, v3, 0x7fff
	s_delay_alu instid0(VALU_DEP_1) | instskip(NEXT) | instid1(VALU_DEP_1)
	v_lshrrev_b32_e32 v1, 16, v1
	v_cndmask_b32_e32 v3, 0x7fc0, v1, vcc_lo
.LBB175_1701:
	s_cbranch_execnz .LBB175_1712
.LBB175_1702:
	s_sext_i32_i16 s12, s0
	s_delay_alu instid0(SALU_CYCLE_1)
	s_cmp_lt_i32 s12, 6
	s_cbranch_scc1 .LBB175_1705
; %bb.1703:
	s_cmp_gt_i32 s12, 6
	s_cbranch_scc0 .LBB175_1706
; %bb.1704:
	s_wait_loadcnt 0x0
	global_load_b64 v[0:1], v[8:9], off
	s_mov_b32 s12, 0
	s_wait_loadcnt 0x0
	v_cvt_f32_f64_e32 v0, v[0:1]
	s_delay_alu instid0(VALU_DEP_1) | instskip(SKIP_1) | instid1(VALU_DEP_2)
	v_bfe_u32 v1, v0, 16, 1
	v_cmp_o_f32_e32 vcc_lo, v0, v0
	v_add3_u32 v1, v0, v1, 0x7fff
	s_delay_alu instid0(VALU_DEP_1) | instskip(NEXT) | instid1(VALU_DEP_1)
	v_lshrrev_b32_e32 v1, 16, v1
	v_cndmask_b32_e32 v3, 0x7fc0, v1, vcc_lo
	s_branch .LBB175_1707
.LBB175_1705:
	s_mov_b32 s12, -1
                                        ; implicit-def: $vgpr3
	s_branch .LBB175_1710
.LBB175_1706:
	s_mov_b32 s12, -1
                                        ; implicit-def: $vgpr3
.LBB175_1707:
	s_delay_alu instid0(SALU_CYCLE_1)
	s_and_not1_b32 vcc_lo, exec_lo, s12
	s_cbranch_vccnz .LBB175_1709
; %bb.1708:
	global_load_b32 v0, v[8:9], off
	s_wait_loadcnt 0x0
	v_bfe_u32 v1, v0, 16, 1
	v_cmp_o_f32_e32 vcc_lo, v0, v0
	s_delay_alu instid0(VALU_DEP_2) | instskip(NEXT) | instid1(VALU_DEP_1)
	v_add3_u32 v1, v0, v1, 0x7fff
	v_lshrrev_b32_e32 v1, 16, v1
	s_delay_alu instid0(VALU_DEP_1)
	v_cndmask_b32_e32 v3, 0x7fc0, v1, vcc_lo
.LBB175_1709:
	s_mov_b32 s12, 0
.LBB175_1710:
	s_delay_alu instid0(SALU_CYCLE_1)
	s_and_not1_b32 vcc_lo, exec_lo, s12
	s_cbranch_vccnz .LBB175_1712
; %bb.1711:
	global_load_u16 v0, v[8:9], off
	s_wait_loadcnt 0x0
	v_cvt_f32_f16_e32 v1, v0
	v_cmp_o_f16_e32 vcc_lo, v0, v0
	s_delay_alu instid0(VALU_DEP_2) | instskip(NEXT) | instid1(VALU_DEP_1)
	v_bfe_u32 v3, v1, 16, 1
	v_add3_u32 v1, v1, v3, 0x7fff
	s_delay_alu instid0(VALU_DEP_1) | instskip(NEXT) | instid1(VALU_DEP_1)
	v_lshrrev_b32_e32 v1, 16, v1
	v_cndmask_b32_e32 v3, 0x7fc0, v1, vcc_lo
.LBB175_1712:
	s_cbranch_execnz .LBB175_1731
.LBB175_1713:
	s_sext_i32_i16 s12, s0
	s_delay_alu instid0(SALU_CYCLE_1)
	s_cmp_lt_i32 s12, 2
	s_cbranch_scc1 .LBB175_1717
; %bb.1714:
	s_cmp_lt_i32 s12, 3
	s_cbranch_scc1 .LBB175_1718
; %bb.1715:
	s_cmp_gt_i32 s12, 3
	s_cbranch_scc0 .LBB175_1719
; %bb.1716:
	s_wait_loadcnt 0x0
	global_load_b64 v[0:1], v[8:9], off
	s_mov_b32 s12, 0
	s_wait_loadcnt 0x0
	v_xor_b32_e32 v3, v0, v1
	v_cls_i32_e32 v5, v1
	s_delay_alu instid0(VALU_DEP_2) | instskip(NEXT) | instid1(VALU_DEP_1)
	v_ashrrev_i32_e32 v3, 31, v3
	v_add_nc_u32_e32 v3, 32, v3
	s_delay_alu instid0(VALU_DEP_1) | instskip(NEXT) | instid1(VALU_DEP_1)
	v_add_min_u32_e64 v3, v5, -1, v3
	v_lshlrev_b64_e32 v[0:1], v3, v[0:1]
	s_delay_alu instid0(VALU_DEP_1) | instskip(NEXT) | instid1(VALU_DEP_1)
	v_min_u32_e32 v0, 1, v0
	v_dual_sub_nc_u32 v1, 32, v3 :: v_dual_bitop2_b32 v0, v1, v0 bitop3:0x54
	s_delay_alu instid0(VALU_DEP_1) | instskip(NEXT) | instid1(VALU_DEP_1)
	v_cvt_f32_i32_e32 v0, v0
	v_ldexp_f32 v0, v0, v1
	s_delay_alu instid0(VALU_DEP_1) | instskip(NEXT) | instid1(VALU_DEP_1)
	v_bfe_u32 v1, v0, 16, 1
	v_add3_u32 v0, v0, v1, 0x7fff
	s_delay_alu instid0(VALU_DEP_1)
	v_lshrrev_b32_e32 v3, 16, v0
	s_branch .LBB175_1720
.LBB175_1717:
                                        ; implicit-def: $vgpr3
	s_branch .LBB175_1726
.LBB175_1718:
	s_mov_b32 s12, -1
                                        ; implicit-def: $vgpr3
	s_branch .LBB175_1723
.LBB175_1719:
	s_mov_b32 s12, -1
                                        ; implicit-def: $vgpr3
.LBB175_1720:
	s_delay_alu instid0(SALU_CYCLE_1)
	s_and_not1_b32 vcc_lo, exec_lo, s12
	s_cbranch_vccnz .LBB175_1722
; %bb.1721:
	global_load_b32 v0, v[8:9], off
	s_wait_loadcnt 0x0
	v_cvt_f32_i32_e32 v0, v0
	s_delay_alu instid0(VALU_DEP_1) | instskip(NEXT) | instid1(VALU_DEP_1)
	v_bfe_u32 v1, v0, 16, 1
	v_add3_u32 v0, v0, v1, 0x7fff
	s_delay_alu instid0(VALU_DEP_1)
	v_lshrrev_b32_e32 v3, 16, v0
.LBB175_1722:
	s_mov_b32 s12, 0
.LBB175_1723:
	s_delay_alu instid0(SALU_CYCLE_1)
	s_and_not1_b32 vcc_lo, exec_lo, s12
	s_cbranch_vccnz .LBB175_1725
; %bb.1724:
	global_load_i16 v0, v[8:9], off
	s_wait_loadcnt 0x0
	v_cvt_f32_i32_e32 v0, v0
	s_delay_alu instid0(VALU_DEP_1) | instskip(NEXT) | instid1(VALU_DEP_1)
	v_bfe_u32 v1, v0, 16, 1
	v_add3_u32 v0, v0, v1, 0x7fff
	s_delay_alu instid0(VALU_DEP_1)
	v_lshrrev_b32_e32 v3, 16, v0
.LBB175_1725:
	s_cbranch_execnz .LBB175_1731
.LBB175_1726:
	s_sext_i32_i16 s0, s0
	s_delay_alu instid0(SALU_CYCLE_1)
	s_cmp_gt_i32 s0, 0
	s_mov_b32 s0, 0
	s_cbranch_scc0 .LBB175_1728
; %bb.1727:
	global_load_i8 v0, v[8:9], off
	s_wait_loadcnt 0x0
	v_cvt_f32_i32_e32 v0, v0
	s_delay_alu instid0(VALU_DEP_1) | instskip(NEXT) | instid1(VALU_DEP_1)
	v_bfe_u32 v1, v0, 16, 1
	v_add3_u32 v0, v0, v1, 0x7fff
	s_delay_alu instid0(VALU_DEP_1)
	v_lshrrev_b32_e32 v3, 16, v0
	s_branch .LBB175_1729
.LBB175_1728:
	s_mov_b32 s0, -1
                                        ; implicit-def: $vgpr3
.LBB175_1729:
	s_delay_alu instid0(SALU_CYCLE_1)
	s_and_not1_b32 vcc_lo, exec_lo, s0
	s_cbranch_vccnz .LBB175_1731
; %bb.1730:
	global_load_u8 v0, v[8:9], off
	s_wait_loadcnt 0x0
	v_cvt_f32_ubyte0_e32 v0, v0
	s_delay_alu instid0(VALU_DEP_1) | instskip(NEXT) | instid1(VALU_DEP_1)
	v_bfe_u32 v1, v0, 16, 1
	v_add3_u32 v0, v0, v1, 0x7fff
	s_delay_alu instid0(VALU_DEP_1)
	v_lshrrev_b32_e32 v3, 16, v0
.LBB175_1731:
	s_or_b32 s30, s30, exec_lo
.LBB175_1732:
	s_wait_xcnt 0x0
	s_or_b32 exec_lo, exec_lo, s7
	s_mov_b32 s13, 0
	s_mov_b32 s14, 0
	;; [unrolled: 1-line block ×3, first 2 shown]
                                        ; implicit-def: $sgpr0
                                        ; implicit-def: $vgpr0_vgpr1
                                        ; implicit-def: $vgpr7
	s_and_saveexec_b32 s7, s30
	s_cbranch_execz .LBB175_1740
; %bb.1733:
	v_mov_b32_e32 v7, 0
	s_and_b32 s0, s41, 0xff
	s_delay_alu instid0(SALU_CYCLE_1) | instskip(SKIP_1) | instid1(VALU_DEP_1)
	s_cmp_lt_i32 s0, 11
	s_wait_loadcnt 0x0
	v_add_nc_u64_e32 v[0:1], s[8:9], v[6:7]
	s_cbranch_scc1 .LBB175_1743
; %bb.1734:
	s_and_b32 s8, 0xffff, s0
	s_delay_alu instid0(SALU_CYCLE_1)
	s_cmp_gt_i32 s8, 25
	s_cbranch_scc0 .LBB175_1744
; %bb.1735:
	s_cmp_gt_i32 s8, 28
	s_cbranch_scc0 .LBB175_1745
; %bb.1736:
	;; [unrolled: 3-line block ×4, first 2 shown]
	s_cmp_eq_u32 s8, 46
	s_cbranch_scc0 .LBB175_1748
; %bb.1739:
	global_load_b32 v7, v[0:1], off
	s_mov_b32 s9, 0
	s_mov_b32 s12, -1
	s_branch .LBB175_1750
.LBB175_1740:
	s_or_b32 exec_lo, exec_lo, s7
	s_and_saveexec_b32 s7, s49
	s_cbranch_execnz .LBB175_1813
.LBB175_1741:
	s_or_b32 exec_lo, exec_lo, s7
	s_and_saveexec_b32 s7, s13
	s_delay_alu instid0(SALU_CYCLE_1)
	s_xor_b32 s7, exec_lo, s7
	s_cbranch_execz .LBB175_1814
.LBB175_1742:
	s_wait_loadcnt 0x0
	global_load_u8 v5, v[0:1], off
	s_or_b32 s12, s12, exec_lo
	s_wait_loadcnt 0x0
	v_cmp_ne_u16_e32 vcc_lo, 0, v5
	v_cndmask_b32_e64 v5, 0, 1.0, vcc_lo
	s_delay_alu instid0(VALU_DEP_1)
	v_lshrrev_b32_e32 v7, 16, v5
	s_wait_xcnt 0x0
	s_or_b32 exec_lo, exec_lo, s7
	s_and_saveexec_b32 s7, s14
	s_cbranch_execz .LBB175_1860
	s_branch .LBB175_1815
.LBB175_1743:
	s_mov_b32 s8, -1
	s_mov_b32 s9, s49
                                        ; implicit-def: $vgpr7
	s_branch .LBB175_1812
.LBB175_1744:
	s_mov_b32 s9, s49
                                        ; implicit-def: $vgpr7
	s_cbranch_execnz .LBB175_1779
	s_branch .LBB175_1811
.LBB175_1745:
	s_mov_b32 s14, -1
	s_mov_b32 s9, s49
                                        ; implicit-def: $vgpr7
	s_branch .LBB175_1760
.LBB175_1746:
	s_mov_b32 s14, -1
	s_mov_b32 s9, s49
                                        ; implicit-def: $vgpr7
	s_branch .LBB175_1755
.LBB175_1747:
	s_mov_b32 s14, -1
	s_mov_b32 s9, s49
	s_branch .LBB175_1749
.LBB175_1748:
	s_mov_b32 s9, -1
.LBB175_1749:
                                        ; implicit-def: $vgpr7
.LBB175_1750:
	s_and_b32 vcc_lo, exec_lo, s14
	s_cbranch_vccz .LBB175_1754
; %bb.1751:
	s_cmp_eq_u32 s8, 44
	s_cbranch_scc0 .LBB175_1753
; %bb.1752:
	global_load_u8 v5, v[0:1], off
	s_mov_b32 s9, 0
	s_mov_b32 s12, -1
	s_wait_loadcnt 0x0
	v_lshlrev_b32_e32 v6, 23, v5
	v_cmp_ne_u32_e32 vcc_lo, 0xff, v5
	s_delay_alu instid0(VALU_DEP_2) | instskip(SKIP_1) | instid1(VALU_DEP_2)
	v_cndmask_b32_e32 v6, 0x7f800001, v6, vcc_lo
	v_cmp_ne_u32_e32 vcc_lo, 0, v5
	v_cndmask_b32_e32 v5, 0x400000, v6, vcc_lo
	s_delay_alu instid0(VALU_DEP_1) | instskip(NEXT) | instid1(VALU_DEP_1)
	v_add_nc_u32_e32 v6, 0x7fff, v5
	v_lshrrev_b32_e32 v6, 16, v6
	v_cmp_o_f32_e32 vcc_lo, v5, v5
	s_delay_alu instid0(VALU_DEP_2)
	v_cndmask_b32_e32 v7, 0x7fc0, v6, vcc_lo
	s_branch .LBB175_1754
.LBB175_1753:
	s_mov_b32 s9, -1
                                        ; implicit-def: $vgpr7
.LBB175_1754:
	s_mov_b32 s14, 0
.LBB175_1755:
	s_delay_alu instid0(SALU_CYCLE_1)
	s_and_b32 vcc_lo, exec_lo, s14
	s_cbranch_vccz .LBB175_1759
; %bb.1756:
	s_cmp_eq_u32 s8, 29
	s_cbranch_scc0 .LBB175_1758
; %bb.1757:
	s_wait_loadcnt 0x0
	global_load_b64 v[6:7], v[0:1], off
	s_mov_b32 s9, 0
	s_mov_b32 s12, -1
	s_mov_b32 s14, 0
	s_wait_loadcnt 0x0
	v_clz_i32_u32_e32 v5, v7
	s_delay_alu instid0(VALU_DEP_1) | instskip(NEXT) | instid1(VALU_DEP_1)
	v_min_u32_e32 v5, 32, v5
	v_lshlrev_b64_e32 v[6:7], v5, v[6:7]
	v_sub_nc_u32_e32 v5, 32, v5
	s_delay_alu instid0(VALU_DEP_2) | instskip(NEXT) | instid1(VALU_DEP_1)
	v_min_u32_e32 v6, 1, v6
	v_or_b32_e32 v6, v7, v6
	s_delay_alu instid0(VALU_DEP_1) | instskip(NEXT) | instid1(VALU_DEP_1)
	v_cvt_f32_u32_e32 v6, v6
	v_ldexp_f32 v5, v6, v5
	s_delay_alu instid0(VALU_DEP_1) | instskip(NEXT) | instid1(VALU_DEP_1)
	v_bfe_u32 v6, v5, 16, 1
	v_add3_u32 v5, v5, v6, 0x7fff
	s_delay_alu instid0(VALU_DEP_1)
	v_lshrrev_b32_e32 v7, 16, v5
	s_branch .LBB175_1760
.LBB175_1758:
	s_mov_b32 s9, -1
                                        ; implicit-def: $vgpr7
.LBB175_1759:
	s_mov_b32 s14, 0
.LBB175_1760:
	s_delay_alu instid0(SALU_CYCLE_1)
	s_and_b32 vcc_lo, exec_lo, s14
	s_cbranch_vccz .LBB175_1778
; %bb.1761:
	s_cmp_lt_i32 s8, 27
	s_cbranch_scc1 .LBB175_1764
; %bb.1762:
	s_cmp_gt_i32 s8, 27
	s_cbranch_scc0 .LBB175_1765
; %bb.1763:
	global_load_b32 v5, v[0:1], off
	s_mov_b32 s12, 0
	s_wait_loadcnt 0x0
	v_cvt_f32_u32_e32 v5, v5
	s_delay_alu instid0(VALU_DEP_1) | instskip(NEXT) | instid1(VALU_DEP_1)
	v_bfe_u32 v6, v5, 16, 1
	v_add3_u32 v5, v5, v6, 0x7fff
	s_delay_alu instid0(VALU_DEP_1)
	v_lshrrev_b32_e32 v7, 16, v5
	s_branch .LBB175_1766
.LBB175_1764:
	s_mov_b32 s12, -1
                                        ; implicit-def: $vgpr7
	s_branch .LBB175_1769
.LBB175_1765:
	s_mov_b32 s12, -1
                                        ; implicit-def: $vgpr7
.LBB175_1766:
	s_delay_alu instid0(SALU_CYCLE_1)
	s_and_not1_b32 vcc_lo, exec_lo, s12
	s_cbranch_vccnz .LBB175_1768
; %bb.1767:
	global_load_u16 v5, v[0:1], off
	s_wait_loadcnt 0x0
	v_cvt_f32_u32_e32 v5, v5
	s_delay_alu instid0(VALU_DEP_1) | instskip(NEXT) | instid1(VALU_DEP_1)
	v_bfe_u32 v6, v5, 16, 1
	v_add3_u32 v5, v5, v6, 0x7fff
	s_delay_alu instid0(VALU_DEP_1)
	v_lshrrev_b32_e32 v7, 16, v5
.LBB175_1768:
	s_mov_b32 s12, 0
.LBB175_1769:
	s_delay_alu instid0(SALU_CYCLE_1)
	s_and_not1_b32 vcc_lo, exec_lo, s12
	s_cbranch_vccnz .LBB175_1777
; %bb.1770:
	global_load_u8 v5, v[0:1], off
	s_mov_b32 s12, 0
	s_mov_b32 s14, exec_lo
	s_wait_loadcnt 0x0
	v_cmpx_lt_i16_e32 0x7f, v5
	s_xor_b32 s14, exec_lo, s14
	s_cbranch_execz .LBB175_1790
; %bb.1771:
	s_mov_b32 s12, -1
	s_mov_b32 s15, exec_lo
	v_cmpx_eq_u16_e32 0x80, v5
; %bb.1772:
	s_xor_b32 s12, exec_lo, -1
; %bb.1773:
	s_or_b32 exec_lo, exec_lo, s15
	s_delay_alu instid0(SALU_CYCLE_1)
	s_and_b32 s12, s12, exec_lo
	s_or_saveexec_b32 s14, s14
	v_mov_b32_e32 v6, 0x7f800001
	s_xor_b32 exec_lo, exec_lo, s14
	s_cbranch_execnz .LBB175_1791
.LBB175_1774:
	s_or_b32 exec_lo, exec_lo, s14
	s_and_saveexec_b32 s14, s12
	s_cbranch_execz .LBB175_1776
.LBB175_1775:
	v_and_b32_e32 v6, 0xffff, v5
	s_delay_alu instid0(VALU_DEP_1) | instskip(SKIP_1) | instid1(VALU_DEP_2)
	v_and_b32_e32 v7, 7, v6
	v_bfe_u32 v10, v6, 3, 4
	v_clz_i32_u32_e32 v8, v7
	s_delay_alu instid0(VALU_DEP_2) | instskip(NEXT) | instid1(VALU_DEP_2)
	v_cmp_eq_u32_e32 vcc_lo, 0, v10
	v_min_u32_e32 v8, 32, v8
	s_delay_alu instid0(VALU_DEP_1) | instskip(NEXT) | instid1(VALU_DEP_1)
	v_subrev_nc_u32_e32 v9, 28, v8
	v_dual_lshlrev_b32 v6, v9, v6 :: v_dual_sub_nc_u32 v8, 29, v8
	s_delay_alu instid0(VALU_DEP_1) | instskip(NEXT) | instid1(VALU_DEP_1)
	v_dual_lshlrev_b32 v5, 24, v5 :: v_dual_bitop2_b32 v6, 7, v6 bitop3:0x40
	v_dual_cndmask_b32 v8, v10, v8, vcc_lo :: v_dual_cndmask_b32 v6, v7, v6, vcc_lo
	s_delay_alu instid0(VALU_DEP_2) | instskip(NEXT) | instid1(VALU_DEP_2)
	v_and_b32_e32 v5, 0x80000000, v5
	v_lshl_add_u32 v7, v8, 23, 0x3b800000
	s_delay_alu instid0(VALU_DEP_3) | instskip(NEXT) | instid1(VALU_DEP_1)
	v_lshlrev_b32_e32 v6, 20, v6
	v_or3_b32 v6, v5, v7, v6
.LBB175_1776:
	s_or_b32 exec_lo, exec_lo, s14
	s_delay_alu instid0(VALU_DEP_1) | instskip(SKIP_1) | instid1(VALU_DEP_2)
	v_bfe_u32 v5, v6, 16, 1
	v_cmp_o_f32_e32 vcc_lo, v6, v6
	v_add3_u32 v5, v6, v5, 0x7fff
	s_delay_alu instid0(VALU_DEP_1) | instskip(NEXT) | instid1(VALU_DEP_1)
	v_lshrrev_b32_e32 v5, 16, v5
	v_cndmask_b32_e32 v7, 0x7fc0, v5, vcc_lo
.LBB175_1777:
	s_mov_b32 s12, -1
.LBB175_1778:
	s_branch .LBB175_1811
.LBB175_1779:
	s_cmp_gt_i32 s8, 22
	s_cbranch_scc0 .LBB175_1789
; %bb.1780:
	s_cmp_lt_i32 s8, 24
	s_cbranch_scc1 .LBB175_1792
; %bb.1781:
	s_cmp_gt_i32 s8, 24
	s_cbranch_scc0 .LBB175_1793
; %bb.1782:
	global_load_u8 v5, v[0:1], off
	s_mov_b32 s12, 0
	s_mov_b32 s13, exec_lo
	s_wait_loadcnt 0x0
	v_cmpx_lt_i16_e32 0x7f, v5
	s_xor_b32 s13, exec_lo, s13
	s_cbranch_execz .LBB175_1805
; %bb.1783:
	s_mov_b32 s12, -1
	s_mov_b32 s14, exec_lo
	v_cmpx_eq_u16_e32 0x80, v5
; %bb.1784:
	s_xor_b32 s12, exec_lo, -1
; %bb.1785:
	s_or_b32 exec_lo, exec_lo, s14
	s_delay_alu instid0(SALU_CYCLE_1)
	s_and_b32 s12, s12, exec_lo
	s_or_saveexec_b32 s13, s13
	v_mov_b32_e32 v6, 0x7f800001
	s_xor_b32 exec_lo, exec_lo, s13
	s_cbranch_execnz .LBB175_1806
.LBB175_1786:
	s_or_b32 exec_lo, exec_lo, s13
	s_and_saveexec_b32 s13, s12
	s_cbranch_execz .LBB175_1788
.LBB175_1787:
	v_and_b32_e32 v6, 0xffff, v5
	s_delay_alu instid0(VALU_DEP_1) | instskip(SKIP_1) | instid1(VALU_DEP_2)
	v_and_b32_e32 v7, 3, v6
	v_bfe_u32 v10, v6, 2, 5
	v_clz_i32_u32_e32 v8, v7
	s_delay_alu instid0(VALU_DEP_2) | instskip(NEXT) | instid1(VALU_DEP_2)
	v_cmp_eq_u32_e32 vcc_lo, 0, v10
	v_min_u32_e32 v8, 32, v8
	s_delay_alu instid0(VALU_DEP_1) | instskip(NEXT) | instid1(VALU_DEP_1)
	v_subrev_nc_u32_e32 v9, 29, v8
	v_dual_lshlrev_b32 v6, v9, v6 :: v_dual_sub_nc_u32 v8, 30, v8
	s_delay_alu instid0(VALU_DEP_1) | instskip(NEXT) | instid1(VALU_DEP_1)
	v_dual_lshlrev_b32 v5, 24, v5 :: v_dual_bitop2_b32 v6, 3, v6 bitop3:0x40
	v_dual_cndmask_b32 v8, v10, v8, vcc_lo :: v_dual_cndmask_b32 v6, v7, v6, vcc_lo
	s_delay_alu instid0(VALU_DEP_2) | instskip(NEXT) | instid1(VALU_DEP_2)
	v_and_b32_e32 v5, 0x80000000, v5
	v_lshl_add_u32 v7, v8, 23, 0x37800000
	s_delay_alu instid0(VALU_DEP_3) | instskip(NEXT) | instid1(VALU_DEP_1)
	v_lshlrev_b32_e32 v6, 21, v6
	v_or3_b32 v6, v5, v7, v6
.LBB175_1788:
	s_or_b32 exec_lo, exec_lo, s13
	s_delay_alu instid0(VALU_DEP_1) | instskip(SKIP_2) | instid1(VALU_DEP_2)
	v_bfe_u32 v5, v6, 16, 1
	v_cmp_o_f32_e32 vcc_lo, v6, v6
	s_mov_b32 s12, 0
	v_add3_u32 v5, v6, v5, 0x7fff
	s_delay_alu instid0(VALU_DEP_1) | instskip(NEXT) | instid1(VALU_DEP_1)
	v_lshrrev_b32_e32 v5, 16, v5
	v_cndmask_b32_e32 v7, 0x7fc0, v5, vcc_lo
	s_branch .LBB175_1794
.LBB175_1789:
	s_mov_b32 s13, -1
                                        ; implicit-def: $vgpr7
	s_branch .LBB175_1800
.LBB175_1790:
	s_or_saveexec_b32 s14, s14
	v_mov_b32_e32 v6, 0x7f800001
	s_xor_b32 exec_lo, exec_lo, s14
	s_cbranch_execz .LBB175_1774
.LBB175_1791:
	v_cmp_ne_u16_e32 vcc_lo, 0, v5
	v_mov_b32_e32 v6, 0
	s_and_not1_b32 s12, s12, exec_lo
	s_and_b32 s15, vcc_lo, exec_lo
	s_delay_alu instid0(SALU_CYCLE_1)
	s_or_b32 s12, s12, s15
	s_or_b32 exec_lo, exec_lo, s14
	s_and_saveexec_b32 s14, s12
	s_cbranch_execnz .LBB175_1775
	s_branch .LBB175_1776
.LBB175_1792:
	s_mov_b32 s12, -1
                                        ; implicit-def: $vgpr7
	s_branch .LBB175_1797
.LBB175_1793:
	s_mov_b32 s12, -1
                                        ; implicit-def: $vgpr7
.LBB175_1794:
	s_delay_alu instid0(SALU_CYCLE_1)
	s_and_b32 vcc_lo, exec_lo, s12
	s_cbranch_vccz .LBB175_1796
; %bb.1795:
	global_load_u8 v5, v[0:1], off
	s_wait_loadcnt 0x0
	v_lshlrev_b32_e32 v5, 24, v5
	s_delay_alu instid0(VALU_DEP_1) | instskip(NEXT) | instid1(VALU_DEP_1)
	v_and_b32_e32 v6, 0x7f000000, v5
	v_clz_i32_u32_e32 v7, v6
	v_cmp_ne_u32_e32 vcc_lo, 0, v6
	v_add_nc_u32_e32 v9, 0x1000000, v6
	s_delay_alu instid0(VALU_DEP_3) | instskip(NEXT) | instid1(VALU_DEP_1)
	v_min_u32_e32 v7, 32, v7
	v_sub_nc_u32_e64 v7, v7, 4 clamp
	s_delay_alu instid0(VALU_DEP_1) | instskip(NEXT) | instid1(VALU_DEP_1)
	v_dual_lshlrev_b32 v8, v7, v6 :: v_dual_lshlrev_b32 v7, 23, v7
	v_lshrrev_b32_e32 v8, 4, v8
	s_delay_alu instid0(VALU_DEP_1) | instskip(NEXT) | instid1(VALU_DEP_1)
	v_dual_sub_nc_u32 v7, v8, v7 :: v_dual_ashrrev_i32 v8, 8, v9
	v_add_nc_u32_e32 v7, 0x3c000000, v7
	s_delay_alu instid0(VALU_DEP_1) | instskip(NEXT) | instid1(VALU_DEP_1)
	v_and_or_b32 v7, 0x7f800000, v8, v7
	v_cndmask_b32_e32 v6, 0, v7, vcc_lo
	s_delay_alu instid0(VALU_DEP_1) | instskip(SKIP_1) | instid1(VALU_DEP_2)
	v_and_or_b32 v5, 0x80000000, v5, v6
	v_bfe_u32 v6, v6, 16, 1
	v_cmp_o_f32_e32 vcc_lo, v5, v5
	s_delay_alu instid0(VALU_DEP_2) | instskip(NEXT) | instid1(VALU_DEP_1)
	v_add3_u32 v6, v5, v6, 0x7fff
	v_lshrrev_b32_e32 v6, 16, v6
	s_delay_alu instid0(VALU_DEP_1)
	v_cndmask_b32_e32 v7, 0x7fc0, v6, vcc_lo
.LBB175_1796:
	s_mov_b32 s12, 0
.LBB175_1797:
	s_delay_alu instid0(SALU_CYCLE_1)
	s_and_not1_b32 vcc_lo, exec_lo, s12
	s_cbranch_vccnz .LBB175_1799
; %bb.1798:
	global_load_u8 v5, v[0:1], off
	s_wait_loadcnt 0x0
	v_lshlrev_b32_e32 v6, 25, v5
	v_lshlrev_b16 v5, 8, v5
	s_delay_alu instid0(VALU_DEP_1) | instskip(SKIP_1) | instid1(VALU_DEP_2)
	v_and_or_b32 v8, 0x7f00, v5, 0.5
	v_bfe_i32 v5, v5, 0, 16
	v_dual_add_f32 v8, -0.5, v8 :: v_dual_lshrrev_b32 v7, 4, v6
	v_cmp_gt_u32_e32 vcc_lo, 0x8000000, v6
	s_delay_alu instid0(VALU_DEP_2) | instskip(NEXT) | instid1(VALU_DEP_1)
	v_or_b32_e32 v7, 0x70000000, v7
	v_mul_f32_e32 v7, 0x7800000, v7
	s_delay_alu instid0(VALU_DEP_1) | instskip(NEXT) | instid1(VALU_DEP_1)
	v_cndmask_b32_e32 v6, v7, v8, vcc_lo
	v_and_or_b32 v5, 0x80000000, v5, v6
	v_bfe_u32 v6, v6, 16, 1
	s_delay_alu instid0(VALU_DEP_2) | instskip(NEXT) | instid1(VALU_DEP_2)
	v_cmp_o_f32_e32 vcc_lo, v5, v5
	v_add3_u32 v6, v5, v6, 0x7fff
	s_delay_alu instid0(VALU_DEP_1) | instskip(NEXT) | instid1(VALU_DEP_1)
	v_lshrrev_b32_e32 v6, 16, v6
	v_cndmask_b32_e32 v7, 0x7fc0, v6, vcc_lo
.LBB175_1799:
	s_mov_b32 s13, 0
	s_mov_b32 s12, -1
.LBB175_1800:
	s_and_not1_b32 vcc_lo, exec_lo, s13
	s_mov_b32 s13, 0
	s_cbranch_vccnz .LBB175_1811
; %bb.1801:
	s_cmp_gt_i32 s8, 14
	s_cbranch_scc0 .LBB175_1804
; %bb.1802:
	s_cmp_eq_u32 s8, 15
	s_cbranch_scc0 .LBB175_1807
; %bb.1803:
	s_wait_loadcnt 0x0
	global_load_u16 v7, v[0:1], off
	s_mov_b32 s9, 0
	s_mov_b32 s12, -1
	s_branch .LBB175_1809
.LBB175_1804:
	s_mov_b32 s13, -1
	s_branch .LBB175_1808
.LBB175_1805:
	s_or_saveexec_b32 s13, s13
	v_mov_b32_e32 v6, 0x7f800001
	s_xor_b32 exec_lo, exec_lo, s13
	s_cbranch_execz .LBB175_1786
.LBB175_1806:
	v_cmp_ne_u16_e32 vcc_lo, 0, v5
	v_mov_b32_e32 v6, 0
	s_and_not1_b32 s12, s12, exec_lo
	s_and_b32 s14, vcc_lo, exec_lo
	s_delay_alu instid0(SALU_CYCLE_1)
	s_or_b32 s12, s12, s14
	s_or_b32 exec_lo, exec_lo, s13
	s_and_saveexec_b32 s13, s12
	s_cbranch_execnz .LBB175_1787
	s_branch .LBB175_1788
.LBB175_1807:
	s_mov_b32 s9, -1
.LBB175_1808:
                                        ; implicit-def: $vgpr7
.LBB175_1809:
	s_and_b32 vcc_lo, exec_lo, s13
	s_mov_b32 s13, 0
	s_cbranch_vccz .LBB175_1811
; %bb.1810:
	s_cmp_lg_u32 s8, 11
	s_mov_b32 s13, -1
	s_cselect_b32 s8, -1, 0
	s_and_not1_b32 s9, s9, exec_lo
	s_and_b32 s8, s8, exec_lo
	s_delay_alu instid0(SALU_CYCLE_1)
	s_or_b32 s9, s9, s8
.LBB175_1811:
	s_mov_b32 s8, 0
.LBB175_1812:
	s_delay_alu instid0(SALU_CYCLE_1)
	s_and_b32 s14, s8, exec_lo
	s_and_not1_b32 s8, s49, exec_lo
	s_and_b32 s9, s9, exec_lo
	s_and_b32 s12, s12, exec_lo
	;; [unrolled: 1-line block ×3, first 2 shown]
	s_or_b32 s49, s8, s9
	s_wait_xcnt 0x0
	s_or_b32 exec_lo, exec_lo, s7
	s_and_saveexec_b32 s7, s49
	s_cbranch_execz .LBB175_1741
.LBB175_1813:
	s_or_b32 s6, s6, exec_lo
	s_and_not1_b32 s13, s13, exec_lo
	s_trap 2
	s_or_b32 exec_lo, exec_lo, s7
	s_and_saveexec_b32 s7, s13
	s_delay_alu instid0(SALU_CYCLE_1)
	s_xor_b32 s7, exec_lo, s7
	s_cbranch_execnz .LBB175_1742
.LBB175_1814:
	s_or_b32 exec_lo, exec_lo, s7
	s_and_saveexec_b32 s7, s14
	s_cbranch_execz .LBB175_1860
.LBB175_1815:
	s_sext_i32_i16 s8, s0
	s_delay_alu instid0(SALU_CYCLE_1)
	s_cmp_lt_i32 s8, 5
	s_cbranch_scc1 .LBB175_1820
; %bb.1816:
	s_cmp_lt_i32 s8, 8
	s_cbranch_scc1 .LBB175_1821
; %bb.1817:
	;; [unrolled: 3-line block ×3, first 2 shown]
	s_cmp_gt_i32 s8, 9
	s_cbranch_scc0 .LBB175_1823
; %bb.1819:
	s_wait_loadcnt 0x0
	global_load_b64 v[6:7], v[0:1], off
	s_mov_b32 s8, 0
	s_wait_loadcnt 0x0
	v_cvt_f32_f64_e32 v5, v[6:7]
	s_delay_alu instid0(VALU_DEP_1) | instskip(SKIP_1) | instid1(VALU_DEP_2)
	v_bfe_u32 v6, v5, 16, 1
	v_cmp_o_f32_e32 vcc_lo, v5, v5
	v_add3_u32 v6, v5, v6, 0x7fff
	s_delay_alu instid0(VALU_DEP_1) | instskip(NEXT) | instid1(VALU_DEP_1)
	v_lshrrev_b32_e32 v6, 16, v6
	v_cndmask_b32_e32 v7, 0x7fc0, v6, vcc_lo
	s_branch .LBB175_1824
.LBB175_1820:
                                        ; implicit-def: $vgpr7
	s_branch .LBB175_1841
.LBB175_1821:
                                        ; implicit-def: $vgpr7
	s_branch .LBB175_1830
.LBB175_1822:
	s_mov_b32 s8, -1
                                        ; implicit-def: $vgpr7
	s_branch .LBB175_1827
.LBB175_1823:
	s_mov_b32 s8, -1
                                        ; implicit-def: $vgpr7
.LBB175_1824:
	s_delay_alu instid0(SALU_CYCLE_1)
	s_and_not1_b32 vcc_lo, exec_lo, s8
	s_cbranch_vccnz .LBB175_1826
; %bb.1825:
	s_wait_loadcnt 0x0
	global_load_b32 v5, v[0:1], off
	s_wait_loadcnt 0x0
	v_bfe_u32 v6, v5, 16, 1
	v_cmp_o_f32_e32 vcc_lo, v5, v5
	s_delay_alu instid0(VALU_DEP_2) | instskip(NEXT) | instid1(VALU_DEP_1)
	v_add3_u32 v6, v5, v6, 0x7fff
	v_lshrrev_b32_e32 v6, 16, v6
	s_delay_alu instid0(VALU_DEP_1)
	v_cndmask_b32_e32 v7, 0x7fc0, v6, vcc_lo
.LBB175_1826:
	s_mov_b32 s8, 0
.LBB175_1827:
	s_delay_alu instid0(SALU_CYCLE_1)
	s_and_not1_b32 vcc_lo, exec_lo, s8
	s_cbranch_vccnz .LBB175_1829
; %bb.1828:
	s_wait_loadcnt 0x0
	global_load_b32 v5, v[0:1], off
	s_wait_loadcnt 0x0
	v_cvt_f32_f16_e32 v6, v5
	v_cmp_o_f16_e32 vcc_lo, v5, v5
	s_delay_alu instid0(VALU_DEP_2) | instskip(NEXT) | instid1(VALU_DEP_1)
	v_bfe_u32 v7, v6, 16, 1
	v_add3_u32 v6, v6, v7, 0x7fff
	s_delay_alu instid0(VALU_DEP_1) | instskip(NEXT) | instid1(VALU_DEP_1)
	v_lshrrev_b32_e32 v6, 16, v6
	v_cndmask_b32_e32 v7, 0x7fc0, v6, vcc_lo
.LBB175_1829:
	s_cbranch_execnz .LBB175_1840
.LBB175_1830:
	s_sext_i32_i16 s8, s0
	s_delay_alu instid0(SALU_CYCLE_1)
	s_cmp_lt_i32 s8, 6
	s_cbranch_scc1 .LBB175_1833
; %bb.1831:
	s_cmp_gt_i32 s8, 6
	s_cbranch_scc0 .LBB175_1834
; %bb.1832:
	s_wait_loadcnt 0x0
	global_load_b64 v[6:7], v[0:1], off
	s_mov_b32 s8, 0
	s_wait_loadcnt 0x0
	v_cvt_f32_f64_e32 v5, v[6:7]
	s_delay_alu instid0(VALU_DEP_1) | instskip(SKIP_1) | instid1(VALU_DEP_2)
	v_bfe_u32 v6, v5, 16, 1
	v_cmp_o_f32_e32 vcc_lo, v5, v5
	v_add3_u32 v6, v5, v6, 0x7fff
	s_delay_alu instid0(VALU_DEP_1) | instskip(NEXT) | instid1(VALU_DEP_1)
	v_lshrrev_b32_e32 v6, 16, v6
	v_cndmask_b32_e32 v7, 0x7fc0, v6, vcc_lo
	s_branch .LBB175_1835
.LBB175_1833:
	s_mov_b32 s8, -1
                                        ; implicit-def: $vgpr7
	s_branch .LBB175_1838
.LBB175_1834:
	s_mov_b32 s8, -1
                                        ; implicit-def: $vgpr7
.LBB175_1835:
	s_delay_alu instid0(SALU_CYCLE_1)
	s_and_not1_b32 vcc_lo, exec_lo, s8
	s_cbranch_vccnz .LBB175_1837
; %bb.1836:
	s_wait_loadcnt 0x0
	global_load_b32 v5, v[0:1], off
	s_wait_loadcnt 0x0
	v_bfe_u32 v6, v5, 16, 1
	v_cmp_o_f32_e32 vcc_lo, v5, v5
	s_delay_alu instid0(VALU_DEP_2) | instskip(NEXT) | instid1(VALU_DEP_1)
	v_add3_u32 v6, v5, v6, 0x7fff
	v_lshrrev_b32_e32 v6, 16, v6
	s_delay_alu instid0(VALU_DEP_1)
	v_cndmask_b32_e32 v7, 0x7fc0, v6, vcc_lo
.LBB175_1837:
	s_mov_b32 s8, 0
.LBB175_1838:
	s_delay_alu instid0(SALU_CYCLE_1)
	s_and_not1_b32 vcc_lo, exec_lo, s8
	s_cbranch_vccnz .LBB175_1840
; %bb.1839:
	s_wait_loadcnt 0x0
	global_load_u16 v5, v[0:1], off
	s_wait_loadcnt 0x0
	v_cvt_f32_f16_e32 v6, v5
	v_cmp_o_f16_e32 vcc_lo, v5, v5
	s_delay_alu instid0(VALU_DEP_2) | instskip(NEXT) | instid1(VALU_DEP_1)
	v_bfe_u32 v7, v6, 16, 1
	v_add3_u32 v6, v6, v7, 0x7fff
	s_delay_alu instid0(VALU_DEP_1) | instskip(NEXT) | instid1(VALU_DEP_1)
	v_lshrrev_b32_e32 v6, 16, v6
	v_cndmask_b32_e32 v7, 0x7fc0, v6, vcc_lo
.LBB175_1840:
	s_cbranch_execnz .LBB175_1859
.LBB175_1841:
	s_sext_i32_i16 s8, s0
	s_delay_alu instid0(SALU_CYCLE_1)
	s_cmp_lt_i32 s8, 2
	s_cbranch_scc1 .LBB175_1845
; %bb.1842:
	s_cmp_lt_i32 s8, 3
	s_cbranch_scc1 .LBB175_1846
; %bb.1843:
	s_cmp_gt_i32 s8, 3
	s_cbranch_scc0 .LBB175_1847
; %bb.1844:
	s_wait_loadcnt 0x0
	global_load_b64 v[6:7], v[0:1], off
	s_mov_b32 s8, 0
	s_wait_loadcnt 0x0
	v_xor_b32_e32 v5, v6, v7
	v_cls_i32_e32 v8, v7
	s_delay_alu instid0(VALU_DEP_2) | instskip(NEXT) | instid1(VALU_DEP_1)
	v_ashrrev_i32_e32 v5, 31, v5
	v_add_nc_u32_e32 v5, 32, v5
	s_delay_alu instid0(VALU_DEP_1) | instskip(NEXT) | instid1(VALU_DEP_1)
	v_add_min_u32_e64 v5, v8, -1, v5
	v_lshlrev_b64_e32 v[6:7], v5, v[6:7]
	v_sub_nc_u32_e32 v5, 32, v5
	s_delay_alu instid0(VALU_DEP_2) | instskip(NEXT) | instid1(VALU_DEP_1)
	v_min_u32_e32 v6, 1, v6
	v_or_b32_e32 v6, v7, v6
	s_delay_alu instid0(VALU_DEP_1) | instskip(NEXT) | instid1(VALU_DEP_1)
	v_cvt_f32_i32_e32 v6, v6
	v_ldexp_f32 v5, v6, v5
	s_delay_alu instid0(VALU_DEP_1) | instskip(NEXT) | instid1(VALU_DEP_1)
	v_bfe_u32 v6, v5, 16, 1
	v_add3_u32 v5, v5, v6, 0x7fff
	s_delay_alu instid0(VALU_DEP_1)
	v_lshrrev_b32_e32 v7, 16, v5
	s_branch .LBB175_1848
.LBB175_1845:
                                        ; implicit-def: $vgpr7
	s_branch .LBB175_1854
.LBB175_1846:
	s_mov_b32 s8, -1
                                        ; implicit-def: $vgpr7
	s_branch .LBB175_1851
.LBB175_1847:
	s_mov_b32 s8, -1
                                        ; implicit-def: $vgpr7
.LBB175_1848:
	s_delay_alu instid0(SALU_CYCLE_1)
	s_and_not1_b32 vcc_lo, exec_lo, s8
	s_cbranch_vccnz .LBB175_1850
; %bb.1849:
	s_wait_loadcnt 0x0
	global_load_b32 v5, v[0:1], off
	s_wait_loadcnt 0x0
	v_cvt_f32_i32_e32 v5, v5
	s_delay_alu instid0(VALU_DEP_1) | instskip(NEXT) | instid1(VALU_DEP_1)
	v_bfe_u32 v6, v5, 16, 1
	v_add3_u32 v5, v5, v6, 0x7fff
	s_delay_alu instid0(VALU_DEP_1)
	v_lshrrev_b32_e32 v7, 16, v5
.LBB175_1850:
	s_mov_b32 s8, 0
.LBB175_1851:
	s_delay_alu instid0(SALU_CYCLE_1)
	s_and_not1_b32 vcc_lo, exec_lo, s8
	s_cbranch_vccnz .LBB175_1853
; %bb.1852:
	s_wait_loadcnt 0x0
	global_load_i16 v5, v[0:1], off
	s_wait_loadcnt 0x0
	v_cvt_f32_i32_e32 v5, v5
	s_delay_alu instid0(VALU_DEP_1) | instskip(NEXT) | instid1(VALU_DEP_1)
	v_bfe_u32 v6, v5, 16, 1
	v_add3_u32 v5, v5, v6, 0x7fff
	s_delay_alu instid0(VALU_DEP_1)
	v_lshrrev_b32_e32 v7, 16, v5
.LBB175_1853:
	s_cbranch_execnz .LBB175_1859
.LBB175_1854:
	s_sext_i32_i16 s0, s0
	s_delay_alu instid0(SALU_CYCLE_1)
	s_cmp_gt_i32 s0, 0
	s_mov_b32 s0, 0
	s_cbranch_scc0 .LBB175_1856
; %bb.1855:
	s_wait_loadcnt 0x0
	global_load_i8 v5, v[0:1], off
	s_wait_loadcnt 0x0
	v_cvt_f32_i32_e32 v5, v5
	s_delay_alu instid0(VALU_DEP_1) | instskip(NEXT) | instid1(VALU_DEP_1)
	v_bfe_u32 v6, v5, 16, 1
	v_add3_u32 v5, v5, v6, 0x7fff
	s_delay_alu instid0(VALU_DEP_1)
	v_lshrrev_b32_e32 v7, 16, v5
	s_branch .LBB175_1857
.LBB175_1856:
	s_mov_b32 s0, -1
                                        ; implicit-def: $vgpr7
.LBB175_1857:
	s_delay_alu instid0(SALU_CYCLE_1)
	s_and_not1_b32 vcc_lo, exec_lo, s0
	s_cbranch_vccnz .LBB175_1859
; %bb.1858:
	s_wait_loadcnt 0x0
	global_load_u8 v0, v[0:1], off
	s_wait_loadcnt 0x0
	v_cvt_f32_ubyte0_e32 v0, v0
	s_delay_alu instid0(VALU_DEP_1) | instskip(NEXT) | instid1(VALU_DEP_1)
	v_bfe_u32 v1, v0, 16, 1
	v_add3_u32 v0, v0, v1, 0x7fff
	s_delay_alu instid0(VALU_DEP_1)
	v_lshrrev_b32_e32 v7, 16, v0
.LBB175_1859:
	s_or_b32 s12, s12, exec_lo
.LBB175_1860:
	s_wait_xcnt 0x0
	s_or_b32 exec_lo, exec_lo, s7
	s_mov_b32 s8, 0
	s_mov_b32 s7, 0
	s_mov_b32 s9, 0
                                        ; implicit-def: $vgpr0_vgpr1
                                        ; implicit-def: $vgpr5
	s_and_saveexec_b32 s0, s12
	s_cbranch_execz .LBB175_1868
; %bb.1861:
	v_mov_b32_e32 v5, 0
	s_and_b32 s7, 0xffff, s40
	s_delay_alu instid0(SALU_CYCLE_1) | instskip(SKIP_1) | instid1(VALU_DEP_1)
	s_cmp_lt_i32 s7, 11
	s_wait_loadcnt 0x0
	v_add_nc_u64_e32 v[0:1], s[10:11], v[4:5]
	s_cbranch_scc1 .LBB175_1871
; %bb.1862:
	s_cmp_gt_i32 s7, 25
	s_mov_b32 s10, 0
	s_cbranch_scc0 .LBB175_1872
; %bb.1863:
	s_cmp_gt_i32 s7, 28
	s_cbranch_scc0 .LBB175_1873
; %bb.1864:
	s_cmp_gt_i32 s7, 43
	;; [unrolled: 3-line block ×3, first 2 shown]
	s_cbranch_scc0 .LBB175_1875
; %bb.1866:
	s_cmp_eq_u32 s7, 46
	s_mov_b32 s11, 0
	s_cbranch_scc0 .LBB175_1876
; %bb.1867:
	global_load_b32 v5, v[0:1], off
	s_mov_b32 s9, -1
	s_branch .LBB175_1878
.LBB175_1868:
	s_or_b32 exec_lo, exec_lo, s0
	s_and_saveexec_b32 s0, s48
	s_cbranch_execnz .LBB175_1941
.LBB175_1869:
	s_or_b32 exec_lo, exec_lo, s0
	s_and_saveexec_b32 s0, s8
	s_delay_alu instid0(SALU_CYCLE_1)
	s_xor_b32 s0, exec_lo, s0
	s_cbranch_execz .LBB175_1942
.LBB175_1870:
	s_wait_loadcnt 0x0
	global_load_u8 v4, v[0:1], off
	s_or_b32 s9, s9, exec_lo
	s_wait_loadcnt 0x0
	v_cmp_ne_u16_e32 vcc_lo, 0, v4
	v_cndmask_b32_e64 v4, 0, 1.0, vcc_lo
	s_delay_alu instid0(VALU_DEP_1)
	v_lshrrev_b32_e32 v5, 16, v4
	s_wait_xcnt 0x0
	s_or_b32 exec_lo, exec_lo, s0
	s_and_saveexec_b32 s0, s7
	s_cbranch_execz .LBB175_1988
	s_branch .LBB175_1943
.LBB175_1871:
	s_mov_b32 s7, -1
	s_mov_b32 s10, 0
	s_mov_b32 s8, s48
                                        ; implicit-def: $vgpr5
	s_branch .LBB175_1940
.LBB175_1872:
	s_mov_b32 s8, s48
                                        ; implicit-def: $vgpr5
	s_cbranch_execnz .LBB175_1907
	s_branch .LBB175_1939
.LBB175_1873:
	s_mov_b32 s11, -1
	s_mov_b32 s8, s48
                                        ; implicit-def: $vgpr5
	s_branch .LBB175_1888
.LBB175_1874:
	s_mov_b32 s11, -1
	s_mov_b32 s8, s48
                                        ; implicit-def: $vgpr5
	s_branch .LBB175_1883
.LBB175_1875:
	s_mov_b32 s11, -1
	s_mov_b32 s8, s48
	s_branch .LBB175_1877
.LBB175_1876:
	s_mov_b32 s8, -1
.LBB175_1877:
                                        ; implicit-def: $vgpr5
.LBB175_1878:
	s_and_b32 vcc_lo, exec_lo, s11
	s_cbranch_vccz .LBB175_1882
; %bb.1879:
	s_cmp_eq_u32 s7, 44
	s_cbranch_scc0 .LBB175_1881
; %bb.1880:
	global_load_u8 v4, v[0:1], off
	s_mov_b32 s8, 0
	s_mov_b32 s9, -1
	s_wait_loadcnt 0x0
	v_lshlrev_b32_e32 v5, 23, v4
	v_cmp_ne_u32_e32 vcc_lo, 0xff, v4
	s_delay_alu instid0(VALU_DEP_2) | instskip(SKIP_1) | instid1(VALU_DEP_2)
	v_cndmask_b32_e32 v5, 0x7f800001, v5, vcc_lo
	v_cmp_ne_u32_e32 vcc_lo, 0, v4
	v_cndmask_b32_e32 v4, 0x400000, v5, vcc_lo
	s_delay_alu instid0(VALU_DEP_1) | instskip(NEXT) | instid1(VALU_DEP_1)
	v_add_nc_u32_e32 v5, 0x7fff, v4
	v_lshrrev_b32_e32 v5, 16, v5
	v_cmp_o_f32_e32 vcc_lo, v4, v4
	s_delay_alu instid0(VALU_DEP_2)
	v_cndmask_b32_e32 v5, 0x7fc0, v5, vcc_lo
	s_branch .LBB175_1882
.LBB175_1881:
	s_mov_b32 s8, -1
                                        ; implicit-def: $vgpr5
.LBB175_1882:
	s_mov_b32 s11, 0
.LBB175_1883:
	s_delay_alu instid0(SALU_CYCLE_1)
	s_and_b32 vcc_lo, exec_lo, s11
	s_cbranch_vccz .LBB175_1887
; %bb.1884:
	s_cmp_eq_u32 s7, 29
	s_cbranch_scc0 .LBB175_1886
; %bb.1885:
	s_wait_loadcnt 0x0
	global_load_b64 v[4:5], v[0:1], off
	s_mov_b32 s8, 0
	s_mov_b32 s9, -1
	s_mov_b32 s11, 0
	s_wait_loadcnt 0x0
	v_clz_i32_u32_e32 v6, v5
	s_delay_alu instid0(VALU_DEP_1) | instskip(NEXT) | instid1(VALU_DEP_1)
	v_min_u32_e32 v6, 32, v6
	v_lshlrev_b64_e32 v[4:5], v6, v[4:5]
	s_delay_alu instid0(VALU_DEP_1) | instskip(NEXT) | instid1(VALU_DEP_1)
	v_min_u32_e32 v4, 1, v4
	v_dual_sub_nc_u32 v5, 32, v6 :: v_dual_bitop2_b32 v4, v5, v4 bitop3:0x54
	s_delay_alu instid0(VALU_DEP_1) | instskip(NEXT) | instid1(VALU_DEP_1)
	v_cvt_f32_u32_e32 v4, v4
	v_ldexp_f32 v4, v4, v5
	s_delay_alu instid0(VALU_DEP_1) | instskip(NEXT) | instid1(VALU_DEP_1)
	v_bfe_u32 v5, v4, 16, 1
	v_add3_u32 v4, v4, v5, 0x7fff
	s_delay_alu instid0(VALU_DEP_1)
	v_lshrrev_b32_e32 v5, 16, v4
	s_branch .LBB175_1888
.LBB175_1886:
	s_mov_b32 s8, -1
                                        ; implicit-def: $vgpr5
.LBB175_1887:
	s_mov_b32 s11, 0
.LBB175_1888:
	s_delay_alu instid0(SALU_CYCLE_1)
	s_and_b32 vcc_lo, exec_lo, s11
	s_cbranch_vccz .LBB175_1906
; %bb.1889:
	s_cmp_lt_i32 s7, 27
	s_cbranch_scc1 .LBB175_1892
; %bb.1890:
	s_cmp_gt_i32 s7, 27
	s_cbranch_scc0 .LBB175_1893
; %bb.1891:
	global_load_b32 v4, v[0:1], off
	s_mov_b32 s9, 0
	s_wait_loadcnt 0x0
	v_cvt_f32_u32_e32 v4, v4
	s_delay_alu instid0(VALU_DEP_1) | instskip(NEXT) | instid1(VALU_DEP_1)
	v_bfe_u32 v5, v4, 16, 1
	v_add3_u32 v4, v4, v5, 0x7fff
	s_delay_alu instid0(VALU_DEP_1)
	v_lshrrev_b32_e32 v5, 16, v4
	s_branch .LBB175_1894
.LBB175_1892:
	s_mov_b32 s9, -1
                                        ; implicit-def: $vgpr5
	s_branch .LBB175_1897
.LBB175_1893:
	s_mov_b32 s9, -1
                                        ; implicit-def: $vgpr5
.LBB175_1894:
	s_delay_alu instid0(SALU_CYCLE_1)
	s_and_not1_b32 vcc_lo, exec_lo, s9
	s_cbranch_vccnz .LBB175_1896
; %bb.1895:
	global_load_u16 v4, v[0:1], off
	s_wait_loadcnt 0x0
	v_cvt_f32_u32_e32 v4, v4
	s_delay_alu instid0(VALU_DEP_1) | instskip(NEXT) | instid1(VALU_DEP_1)
	v_bfe_u32 v5, v4, 16, 1
	v_add3_u32 v4, v4, v5, 0x7fff
	s_delay_alu instid0(VALU_DEP_1)
	v_lshrrev_b32_e32 v5, 16, v4
.LBB175_1896:
	s_mov_b32 s9, 0
.LBB175_1897:
	s_delay_alu instid0(SALU_CYCLE_1)
	s_and_not1_b32 vcc_lo, exec_lo, s9
	s_cbranch_vccnz .LBB175_1905
; %bb.1898:
	global_load_u8 v4, v[0:1], off
	s_mov_b32 s9, 0
	s_mov_b32 s11, exec_lo
	s_wait_loadcnt 0x0
	v_cmpx_lt_i16_e32 0x7f, v4
	s_xor_b32 s11, exec_lo, s11
	s_cbranch_execz .LBB175_1918
; %bb.1899:
	s_mov_b32 s9, -1
	s_mov_b32 s12, exec_lo
	v_cmpx_eq_u16_e32 0x80, v4
; %bb.1900:
	s_xor_b32 s9, exec_lo, -1
; %bb.1901:
	s_or_b32 exec_lo, exec_lo, s12
	s_delay_alu instid0(SALU_CYCLE_1)
	s_and_b32 s9, s9, exec_lo
	s_or_saveexec_b32 s11, s11
	v_mov_b32_e32 v5, 0x7f800001
	s_xor_b32 exec_lo, exec_lo, s11
	s_cbranch_execnz .LBB175_1919
.LBB175_1902:
	s_or_b32 exec_lo, exec_lo, s11
	s_and_saveexec_b32 s11, s9
	s_cbranch_execz .LBB175_1904
.LBB175_1903:
	v_and_b32_e32 v5, 0xffff, v4
	s_delay_alu instid0(VALU_DEP_1) | instskip(SKIP_1) | instid1(VALU_DEP_2)
	v_and_b32_e32 v6, 7, v5
	v_bfe_u32 v10, v5, 3, 4
	v_clz_i32_u32_e32 v8, v6
	s_delay_alu instid0(VALU_DEP_2) | instskip(NEXT) | instid1(VALU_DEP_2)
	v_cmp_eq_u32_e32 vcc_lo, 0, v10
	v_min_u32_e32 v8, 32, v8
	s_delay_alu instid0(VALU_DEP_1) | instskip(NEXT) | instid1(VALU_DEP_1)
	v_subrev_nc_u32_e32 v9, 28, v8
	v_dual_lshlrev_b32 v5, v9, v5 :: v_dual_sub_nc_u32 v8, 29, v8
	s_delay_alu instid0(VALU_DEP_1) | instskip(NEXT) | instid1(VALU_DEP_1)
	v_dual_lshlrev_b32 v4, 24, v4 :: v_dual_bitop2_b32 v5, 7, v5 bitop3:0x40
	v_cndmask_b32_e32 v5, v6, v5, vcc_lo
	s_delay_alu instid0(VALU_DEP_3) | instskip(NEXT) | instid1(VALU_DEP_3)
	v_cndmask_b32_e32 v8, v10, v8, vcc_lo
	v_and_b32_e32 v4, 0x80000000, v4
	s_delay_alu instid0(VALU_DEP_3) | instskip(NEXT) | instid1(VALU_DEP_3)
	v_lshlrev_b32_e32 v5, 20, v5
	v_lshl_add_u32 v6, v8, 23, 0x3b800000
	s_delay_alu instid0(VALU_DEP_1)
	v_or3_b32 v5, v4, v6, v5
.LBB175_1904:
	s_or_b32 exec_lo, exec_lo, s11
	s_delay_alu instid0(VALU_DEP_1) | instskip(SKIP_1) | instid1(VALU_DEP_2)
	v_bfe_u32 v4, v5, 16, 1
	v_cmp_o_f32_e32 vcc_lo, v5, v5
	v_add3_u32 v4, v5, v4, 0x7fff
	s_delay_alu instid0(VALU_DEP_1) | instskip(NEXT) | instid1(VALU_DEP_1)
	v_lshrrev_b32_e32 v4, 16, v4
	v_cndmask_b32_e32 v5, 0x7fc0, v4, vcc_lo
.LBB175_1905:
	s_mov_b32 s9, -1
.LBB175_1906:
	s_branch .LBB175_1939
.LBB175_1907:
	s_cmp_gt_i32 s7, 22
	s_cbranch_scc0 .LBB175_1917
; %bb.1908:
	s_cmp_lt_i32 s7, 24
	s_cbranch_scc1 .LBB175_1920
; %bb.1909:
	s_cmp_gt_i32 s7, 24
	s_cbranch_scc0 .LBB175_1921
; %bb.1910:
	global_load_u8 v4, v[0:1], off
	s_mov_b32 s9, 0
	s_mov_b32 s10, exec_lo
	s_wait_loadcnt 0x0
	v_cmpx_lt_i16_e32 0x7f, v4
	s_xor_b32 s10, exec_lo, s10
	s_cbranch_execz .LBB175_1933
; %bb.1911:
	s_mov_b32 s9, -1
	s_mov_b32 s11, exec_lo
	v_cmpx_eq_u16_e32 0x80, v4
; %bb.1912:
	s_xor_b32 s9, exec_lo, -1
; %bb.1913:
	s_or_b32 exec_lo, exec_lo, s11
	s_delay_alu instid0(SALU_CYCLE_1)
	s_and_b32 s9, s9, exec_lo
	s_or_saveexec_b32 s10, s10
	v_mov_b32_e32 v5, 0x7f800001
	s_xor_b32 exec_lo, exec_lo, s10
	s_cbranch_execnz .LBB175_1934
.LBB175_1914:
	s_or_b32 exec_lo, exec_lo, s10
	s_and_saveexec_b32 s10, s9
	s_cbranch_execz .LBB175_1916
.LBB175_1915:
	v_and_b32_e32 v5, 0xffff, v4
	s_delay_alu instid0(VALU_DEP_1) | instskip(SKIP_1) | instid1(VALU_DEP_2)
	v_and_b32_e32 v6, 3, v5
	v_bfe_u32 v10, v5, 2, 5
	v_clz_i32_u32_e32 v8, v6
	s_delay_alu instid0(VALU_DEP_2) | instskip(NEXT) | instid1(VALU_DEP_2)
	v_cmp_eq_u32_e32 vcc_lo, 0, v10
	v_min_u32_e32 v8, 32, v8
	s_delay_alu instid0(VALU_DEP_1) | instskip(NEXT) | instid1(VALU_DEP_1)
	v_subrev_nc_u32_e32 v9, 29, v8
	v_dual_lshlrev_b32 v5, v9, v5 :: v_dual_sub_nc_u32 v8, 30, v8
	s_delay_alu instid0(VALU_DEP_1) | instskip(NEXT) | instid1(VALU_DEP_1)
	v_dual_lshlrev_b32 v4, 24, v4 :: v_dual_bitop2_b32 v5, 3, v5 bitop3:0x40
	v_cndmask_b32_e32 v5, v6, v5, vcc_lo
	s_delay_alu instid0(VALU_DEP_3) | instskip(NEXT) | instid1(VALU_DEP_3)
	v_cndmask_b32_e32 v8, v10, v8, vcc_lo
	v_and_b32_e32 v4, 0x80000000, v4
	s_delay_alu instid0(VALU_DEP_3) | instskip(NEXT) | instid1(VALU_DEP_3)
	v_lshlrev_b32_e32 v5, 21, v5
	v_lshl_add_u32 v6, v8, 23, 0x37800000
	s_delay_alu instid0(VALU_DEP_1)
	v_or3_b32 v5, v4, v6, v5
.LBB175_1916:
	s_or_b32 exec_lo, exec_lo, s10
	s_delay_alu instid0(VALU_DEP_1) | instskip(SKIP_2) | instid1(VALU_DEP_2)
	v_bfe_u32 v4, v5, 16, 1
	v_cmp_o_f32_e32 vcc_lo, v5, v5
	s_mov_b32 s9, 0
	v_add3_u32 v4, v5, v4, 0x7fff
	s_delay_alu instid0(VALU_DEP_1) | instskip(NEXT) | instid1(VALU_DEP_1)
	v_lshrrev_b32_e32 v4, 16, v4
	v_cndmask_b32_e32 v5, 0x7fc0, v4, vcc_lo
	s_branch .LBB175_1922
.LBB175_1917:
	s_mov_b32 s10, -1
                                        ; implicit-def: $vgpr5
	s_branch .LBB175_1928
.LBB175_1918:
	s_or_saveexec_b32 s11, s11
	v_mov_b32_e32 v5, 0x7f800001
	s_xor_b32 exec_lo, exec_lo, s11
	s_cbranch_execz .LBB175_1902
.LBB175_1919:
	v_cmp_ne_u16_e32 vcc_lo, 0, v4
	v_mov_b32_e32 v5, 0
	s_and_not1_b32 s9, s9, exec_lo
	s_and_b32 s12, vcc_lo, exec_lo
	s_delay_alu instid0(SALU_CYCLE_1)
	s_or_b32 s9, s9, s12
	s_or_b32 exec_lo, exec_lo, s11
	s_and_saveexec_b32 s11, s9
	s_cbranch_execnz .LBB175_1903
	s_branch .LBB175_1904
.LBB175_1920:
	s_mov_b32 s9, -1
                                        ; implicit-def: $vgpr5
	s_branch .LBB175_1925
.LBB175_1921:
	s_mov_b32 s9, -1
                                        ; implicit-def: $vgpr5
.LBB175_1922:
	s_delay_alu instid0(SALU_CYCLE_1)
	s_and_b32 vcc_lo, exec_lo, s9
	s_cbranch_vccz .LBB175_1924
; %bb.1923:
	global_load_u8 v4, v[0:1], off
	s_wait_loadcnt 0x0
	v_lshlrev_b32_e32 v4, 24, v4
	s_delay_alu instid0(VALU_DEP_1) | instskip(NEXT) | instid1(VALU_DEP_1)
	v_and_b32_e32 v5, 0x7f000000, v4
	v_clz_i32_u32_e32 v6, v5
	v_add_nc_u32_e32 v9, 0x1000000, v5
	v_cmp_ne_u32_e32 vcc_lo, 0, v5
	s_delay_alu instid0(VALU_DEP_3) | instskip(NEXT) | instid1(VALU_DEP_1)
	v_min_u32_e32 v6, 32, v6
	v_sub_nc_u32_e64 v6, v6, 4 clamp
	s_delay_alu instid0(VALU_DEP_1) | instskip(NEXT) | instid1(VALU_DEP_1)
	v_dual_lshlrev_b32 v8, v6, v5 :: v_dual_lshlrev_b32 v6, 23, v6
	v_lshrrev_b32_e32 v8, 4, v8
	s_delay_alu instid0(VALU_DEP_1) | instskip(NEXT) | instid1(VALU_DEP_1)
	v_dual_sub_nc_u32 v6, v8, v6 :: v_dual_ashrrev_i32 v8, 8, v9
	v_add_nc_u32_e32 v6, 0x3c000000, v6
	s_delay_alu instid0(VALU_DEP_1) | instskip(NEXT) | instid1(VALU_DEP_1)
	v_and_or_b32 v6, 0x7f800000, v8, v6
	v_cndmask_b32_e32 v5, 0, v6, vcc_lo
	s_delay_alu instid0(VALU_DEP_1) | instskip(SKIP_1) | instid1(VALU_DEP_2)
	v_and_or_b32 v4, 0x80000000, v4, v5
	v_bfe_u32 v5, v5, 16, 1
	v_cmp_o_f32_e32 vcc_lo, v4, v4
	s_delay_alu instid0(VALU_DEP_2) | instskip(NEXT) | instid1(VALU_DEP_1)
	v_add3_u32 v5, v4, v5, 0x7fff
	v_lshrrev_b32_e32 v5, 16, v5
	s_delay_alu instid0(VALU_DEP_1)
	v_cndmask_b32_e32 v5, 0x7fc0, v5, vcc_lo
.LBB175_1924:
	s_mov_b32 s9, 0
.LBB175_1925:
	s_delay_alu instid0(SALU_CYCLE_1)
	s_and_not1_b32 vcc_lo, exec_lo, s9
	s_cbranch_vccnz .LBB175_1927
; %bb.1926:
	global_load_u8 v4, v[0:1], off
	s_wait_loadcnt 0x0
	v_lshlrev_b32_e32 v5, 25, v4
	v_lshlrev_b16 v4, 8, v4
	s_delay_alu instid0(VALU_DEP_1) | instskip(NEXT) | instid1(VALU_DEP_3)
	v_and_or_b32 v8, 0x7f00, v4, 0.5
	v_lshrrev_b32_e32 v6, 4, v5
	v_bfe_i32 v4, v4, 0, 16
	s_delay_alu instid0(VALU_DEP_3) | instskip(NEXT) | instid1(VALU_DEP_3)
	v_add_f32_e32 v8, -0.5, v8
	v_or_b32_e32 v6, 0x70000000, v6
	s_delay_alu instid0(VALU_DEP_1) | instskip(SKIP_1) | instid1(VALU_DEP_2)
	v_mul_f32_e32 v6, 0x7800000, v6
	v_cmp_gt_u32_e32 vcc_lo, 0x8000000, v5
	v_cndmask_b32_e32 v5, v6, v8, vcc_lo
	s_delay_alu instid0(VALU_DEP_1) | instskip(SKIP_1) | instid1(VALU_DEP_2)
	v_and_or_b32 v4, 0x80000000, v4, v5
	v_bfe_u32 v5, v5, 16, 1
	v_cmp_o_f32_e32 vcc_lo, v4, v4
	s_delay_alu instid0(VALU_DEP_2) | instskip(NEXT) | instid1(VALU_DEP_1)
	v_add3_u32 v5, v4, v5, 0x7fff
	v_lshrrev_b32_e32 v5, 16, v5
	s_delay_alu instid0(VALU_DEP_1)
	v_cndmask_b32_e32 v5, 0x7fc0, v5, vcc_lo
.LBB175_1927:
	s_mov_b32 s10, 0
	s_mov_b32 s9, -1
.LBB175_1928:
	s_and_not1_b32 vcc_lo, exec_lo, s10
	s_mov_b32 s10, 0
	s_cbranch_vccnz .LBB175_1939
; %bb.1929:
	s_cmp_gt_i32 s7, 14
	s_cbranch_scc0 .LBB175_1932
; %bb.1930:
	s_cmp_eq_u32 s7, 15
	s_cbranch_scc0 .LBB175_1935
; %bb.1931:
	s_wait_loadcnt 0x0
	global_load_u16 v5, v[0:1], off
	s_mov_b32 s8, 0
	s_mov_b32 s9, -1
	s_branch .LBB175_1937
.LBB175_1932:
	s_mov_b32 s10, -1
	s_branch .LBB175_1936
.LBB175_1933:
	s_or_saveexec_b32 s10, s10
	v_mov_b32_e32 v5, 0x7f800001
	s_xor_b32 exec_lo, exec_lo, s10
	s_cbranch_execz .LBB175_1914
.LBB175_1934:
	v_cmp_ne_u16_e32 vcc_lo, 0, v4
	v_mov_b32_e32 v5, 0
	s_and_not1_b32 s9, s9, exec_lo
	s_and_b32 s11, vcc_lo, exec_lo
	s_delay_alu instid0(SALU_CYCLE_1)
	s_or_b32 s9, s9, s11
	s_or_b32 exec_lo, exec_lo, s10
	s_and_saveexec_b32 s10, s9
	s_cbranch_execnz .LBB175_1915
	s_branch .LBB175_1916
.LBB175_1935:
	s_mov_b32 s8, -1
.LBB175_1936:
                                        ; implicit-def: $vgpr5
.LBB175_1937:
	s_and_b32 vcc_lo, exec_lo, s10
	s_mov_b32 s10, 0
	s_cbranch_vccz .LBB175_1939
; %bb.1938:
	s_cmp_lg_u32 s7, 11
	s_mov_b32 s10, -1
	s_cselect_b32 s7, -1, 0
	s_and_not1_b32 s8, s8, exec_lo
	s_and_b32 s7, s7, exec_lo
	s_delay_alu instid0(SALU_CYCLE_1)
	s_or_b32 s8, s8, s7
.LBB175_1939:
	s_mov_b32 s7, 0
.LBB175_1940:
	s_and_not1_b32 s11, s48, exec_lo
	s_and_b32 s12, s8, exec_lo
	s_and_b32 s9, s9, exec_lo
	;; [unrolled: 1-line block ×4, first 2 shown]
	s_or_b32 s48, s11, s12
	s_wait_xcnt 0x0
	s_or_b32 exec_lo, exec_lo, s0
	s_and_saveexec_b32 s0, s48
	s_cbranch_execz .LBB175_1869
.LBB175_1941:
	s_or_b32 s6, s6, exec_lo
	s_and_not1_b32 s8, s8, exec_lo
	s_trap 2
	s_or_b32 exec_lo, exec_lo, s0
	s_and_saveexec_b32 s0, s8
	s_delay_alu instid0(SALU_CYCLE_1)
	s_xor_b32 s0, exec_lo, s0
	s_cbranch_execnz .LBB175_1870
.LBB175_1942:
	s_or_b32 exec_lo, exec_lo, s0
	s_and_saveexec_b32 s0, s7
	s_cbranch_execz .LBB175_1988
.LBB175_1943:
	s_sext_i32_i16 s7, s40
	s_delay_alu instid0(SALU_CYCLE_1)
	s_cmp_lt_i32 s7, 5
	s_cbranch_scc1 .LBB175_1948
; %bb.1944:
	s_cmp_lt_i32 s7, 8
	s_cbranch_scc1 .LBB175_1949
; %bb.1945:
	;; [unrolled: 3-line block ×3, first 2 shown]
	s_cmp_gt_i32 s7, 9
	s_cbranch_scc0 .LBB175_1951
; %bb.1947:
	s_wait_loadcnt 0x0
	global_load_b64 v[4:5], v[0:1], off
	s_mov_b32 s7, 0
	s_wait_loadcnt 0x0
	v_cvt_f32_f64_e32 v4, v[4:5]
	s_delay_alu instid0(VALU_DEP_1) | instskip(SKIP_1) | instid1(VALU_DEP_2)
	v_bfe_u32 v5, v4, 16, 1
	v_cmp_o_f32_e32 vcc_lo, v4, v4
	v_add3_u32 v5, v4, v5, 0x7fff
	s_delay_alu instid0(VALU_DEP_1) | instskip(NEXT) | instid1(VALU_DEP_1)
	v_lshrrev_b32_e32 v5, 16, v5
	v_cndmask_b32_e32 v5, 0x7fc0, v5, vcc_lo
	s_branch .LBB175_1952
.LBB175_1948:
                                        ; implicit-def: $vgpr5
	s_branch .LBB175_1969
.LBB175_1949:
                                        ; implicit-def: $vgpr5
	s_branch .LBB175_1958
.LBB175_1950:
	s_mov_b32 s7, -1
                                        ; implicit-def: $vgpr5
	s_branch .LBB175_1955
.LBB175_1951:
	s_mov_b32 s7, -1
                                        ; implicit-def: $vgpr5
.LBB175_1952:
	s_delay_alu instid0(SALU_CYCLE_1)
	s_and_not1_b32 vcc_lo, exec_lo, s7
	s_cbranch_vccnz .LBB175_1954
; %bb.1953:
	s_wait_loadcnt 0x0
	global_load_b32 v4, v[0:1], off
	s_wait_loadcnt 0x0
	v_bfe_u32 v5, v4, 16, 1
	v_cmp_o_f32_e32 vcc_lo, v4, v4
	s_delay_alu instid0(VALU_DEP_2) | instskip(NEXT) | instid1(VALU_DEP_1)
	v_add3_u32 v5, v4, v5, 0x7fff
	v_lshrrev_b32_e32 v5, 16, v5
	s_delay_alu instid0(VALU_DEP_1)
	v_cndmask_b32_e32 v5, 0x7fc0, v5, vcc_lo
.LBB175_1954:
	s_mov_b32 s7, 0
.LBB175_1955:
	s_delay_alu instid0(SALU_CYCLE_1)
	s_and_not1_b32 vcc_lo, exec_lo, s7
	s_cbranch_vccnz .LBB175_1957
; %bb.1956:
	s_wait_loadcnt 0x0
	global_load_b32 v4, v[0:1], off
	s_wait_loadcnt 0x0
	v_cvt_f32_f16_e32 v5, v4
	v_cmp_o_f16_e32 vcc_lo, v4, v4
	s_delay_alu instid0(VALU_DEP_2) | instskip(NEXT) | instid1(VALU_DEP_1)
	v_bfe_u32 v6, v5, 16, 1
	v_add3_u32 v5, v5, v6, 0x7fff
	s_delay_alu instid0(VALU_DEP_1) | instskip(NEXT) | instid1(VALU_DEP_1)
	v_lshrrev_b32_e32 v5, 16, v5
	v_cndmask_b32_e32 v5, 0x7fc0, v5, vcc_lo
.LBB175_1957:
	s_cbranch_execnz .LBB175_1968
.LBB175_1958:
	s_sext_i32_i16 s7, s40
	s_delay_alu instid0(SALU_CYCLE_1)
	s_cmp_lt_i32 s7, 6
	s_cbranch_scc1 .LBB175_1961
; %bb.1959:
	s_cmp_gt_i32 s7, 6
	s_cbranch_scc0 .LBB175_1962
; %bb.1960:
	s_wait_loadcnt 0x0
	global_load_b64 v[4:5], v[0:1], off
	s_mov_b32 s7, 0
	s_wait_loadcnt 0x0
	v_cvt_f32_f64_e32 v4, v[4:5]
	s_delay_alu instid0(VALU_DEP_1) | instskip(SKIP_1) | instid1(VALU_DEP_2)
	v_bfe_u32 v5, v4, 16, 1
	v_cmp_o_f32_e32 vcc_lo, v4, v4
	v_add3_u32 v5, v4, v5, 0x7fff
	s_delay_alu instid0(VALU_DEP_1) | instskip(NEXT) | instid1(VALU_DEP_1)
	v_lshrrev_b32_e32 v5, 16, v5
	v_cndmask_b32_e32 v5, 0x7fc0, v5, vcc_lo
	s_branch .LBB175_1963
.LBB175_1961:
	s_mov_b32 s7, -1
                                        ; implicit-def: $vgpr5
	s_branch .LBB175_1966
.LBB175_1962:
	s_mov_b32 s7, -1
                                        ; implicit-def: $vgpr5
.LBB175_1963:
	s_delay_alu instid0(SALU_CYCLE_1)
	s_and_not1_b32 vcc_lo, exec_lo, s7
	s_cbranch_vccnz .LBB175_1965
; %bb.1964:
	s_wait_loadcnt 0x0
	global_load_b32 v4, v[0:1], off
	s_wait_loadcnt 0x0
	v_bfe_u32 v5, v4, 16, 1
	v_cmp_o_f32_e32 vcc_lo, v4, v4
	s_delay_alu instid0(VALU_DEP_2) | instskip(NEXT) | instid1(VALU_DEP_1)
	v_add3_u32 v5, v4, v5, 0x7fff
	v_lshrrev_b32_e32 v5, 16, v5
	s_delay_alu instid0(VALU_DEP_1)
	v_cndmask_b32_e32 v5, 0x7fc0, v5, vcc_lo
.LBB175_1965:
	s_mov_b32 s7, 0
.LBB175_1966:
	s_delay_alu instid0(SALU_CYCLE_1)
	s_and_not1_b32 vcc_lo, exec_lo, s7
	s_cbranch_vccnz .LBB175_1968
; %bb.1967:
	s_wait_loadcnt 0x0
	global_load_u16 v4, v[0:1], off
	s_wait_loadcnt 0x0
	v_cvt_f32_f16_e32 v5, v4
	v_cmp_o_f16_e32 vcc_lo, v4, v4
	s_delay_alu instid0(VALU_DEP_2) | instskip(NEXT) | instid1(VALU_DEP_1)
	v_bfe_u32 v6, v5, 16, 1
	v_add3_u32 v5, v5, v6, 0x7fff
	s_delay_alu instid0(VALU_DEP_1) | instskip(NEXT) | instid1(VALU_DEP_1)
	v_lshrrev_b32_e32 v5, 16, v5
	v_cndmask_b32_e32 v5, 0x7fc0, v5, vcc_lo
.LBB175_1968:
	s_cbranch_execnz .LBB175_1987
.LBB175_1969:
	s_sext_i32_i16 s7, s40
	s_delay_alu instid0(SALU_CYCLE_1)
	s_cmp_lt_i32 s7, 2
	s_cbranch_scc1 .LBB175_1973
; %bb.1970:
	s_cmp_lt_i32 s7, 3
	s_cbranch_scc1 .LBB175_1974
; %bb.1971:
	s_cmp_gt_i32 s7, 3
	s_cbranch_scc0 .LBB175_1975
; %bb.1972:
	s_wait_loadcnt 0x0
	global_load_b64 v[4:5], v[0:1], off
	s_mov_b32 s7, 0
	s_wait_loadcnt 0x0
	v_xor_b32_e32 v6, v4, v5
	v_cls_i32_e32 v8, v5
	s_delay_alu instid0(VALU_DEP_2) | instskip(NEXT) | instid1(VALU_DEP_1)
	v_ashrrev_i32_e32 v6, 31, v6
	v_add_nc_u32_e32 v6, 32, v6
	s_delay_alu instid0(VALU_DEP_1) | instskip(NEXT) | instid1(VALU_DEP_1)
	v_add_min_u32_e64 v6, v8, -1, v6
	v_lshlrev_b64_e32 v[4:5], v6, v[4:5]
	s_delay_alu instid0(VALU_DEP_1) | instskip(NEXT) | instid1(VALU_DEP_1)
	v_min_u32_e32 v4, 1, v4
	v_dual_sub_nc_u32 v5, 32, v6 :: v_dual_bitop2_b32 v4, v5, v4 bitop3:0x54
	s_delay_alu instid0(VALU_DEP_1) | instskip(NEXT) | instid1(VALU_DEP_1)
	v_cvt_f32_i32_e32 v4, v4
	v_ldexp_f32 v4, v4, v5
	s_delay_alu instid0(VALU_DEP_1) | instskip(NEXT) | instid1(VALU_DEP_1)
	v_bfe_u32 v5, v4, 16, 1
	v_add3_u32 v4, v4, v5, 0x7fff
	s_delay_alu instid0(VALU_DEP_1)
	v_lshrrev_b32_e32 v5, 16, v4
	s_branch .LBB175_1976
.LBB175_1973:
                                        ; implicit-def: $vgpr5
	s_branch .LBB175_1982
.LBB175_1974:
	s_mov_b32 s7, -1
                                        ; implicit-def: $vgpr5
	s_branch .LBB175_1979
.LBB175_1975:
	s_mov_b32 s7, -1
                                        ; implicit-def: $vgpr5
.LBB175_1976:
	s_delay_alu instid0(SALU_CYCLE_1)
	s_and_not1_b32 vcc_lo, exec_lo, s7
	s_cbranch_vccnz .LBB175_1978
; %bb.1977:
	s_wait_loadcnt 0x0
	global_load_b32 v4, v[0:1], off
	s_wait_loadcnt 0x0
	v_cvt_f32_i32_e32 v4, v4
	s_delay_alu instid0(VALU_DEP_1) | instskip(NEXT) | instid1(VALU_DEP_1)
	v_bfe_u32 v5, v4, 16, 1
	v_add3_u32 v4, v4, v5, 0x7fff
	s_delay_alu instid0(VALU_DEP_1)
	v_lshrrev_b32_e32 v5, 16, v4
.LBB175_1978:
	s_mov_b32 s7, 0
.LBB175_1979:
	s_delay_alu instid0(SALU_CYCLE_1)
	s_and_not1_b32 vcc_lo, exec_lo, s7
	s_cbranch_vccnz .LBB175_1981
; %bb.1980:
	s_wait_loadcnt 0x0
	global_load_i16 v4, v[0:1], off
	s_wait_loadcnt 0x0
	v_cvt_f32_i32_e32 v4, v4
	s_delay_alu instid0(VALU_DEP_1) | instskip(NEXT) | instid1(VALU_DEP_1)
	v_bfe_u32 v5, v4, 16, 1
	v_add3_u32 v4, v4, v5, 0x7fff
	s_delay_alu instid0(VALU_DEP_1)
	v_lshrrev_b32_e32 v5, 16, v4
.LBB175_1981:
	s_cbranch_execnz .LBB175_1987
.LBB175_1982:
	s_sext_i32_i16 s7, s40
	s_delay_alu instid0(SALU_CYCLE_1)
	s_cmp_gt_i32 s7, 0
	s_mov_b32 s7, 0
	s_cbranch_scc0 .LBB175_1984
; %bb.1983:
	s_wait_loadcnt 0x0
	global_load_i8 v4, v[0:1], off
	s_wait_loadcnt 0x0
	v_cvt_f32_i32_e32 v4, v4
	s_delay_alu instid0(VALU_DEP_1) | instskip(NEXT) | instid1(VALU_DEP_1)
	v_bfe_u32 v5, v4, 16, 1
	v_add3_u32 v4, v4, v5, 0x7fff
	s_delay_alu instid0(VALU_DEP_1)
	v_lshrrev_b32_e32 v5, 16, v4
	s_branch .LBB175_1985
.LBB175_1984:
	s_mov_b32 s7, -1
                                        ; implicit-def: $vgpr5
.LBB175_1985:
	s_delay_alu instid0(SALU_CYCLE_1)
	s_and_not1_b32 vcc_lo, exec_lo, s7
	s_cbranch_vccnz .LBB175_1987
; %bb.1986:
	s_wait_loadcnt 0x0
	global_load_u8 v0, v[0:1], off
	s_wait_loadcnt 0x0
	v_cvt_f32_ubyte0_e32 v0, v0
	s_delay_alu instid0(VALU_DEP_1) | instskip(NEXT) | instid1(VALU_DEP_1)
	v_bfe_u32 v1, v0, 16, 1
	v_add3_u32 v0, v0, v1, 0x7fff
	s_delay_alu instid0(VALU_DEP_1)
	v_lshrrev_b32_e32 v5, 16, v0
.LBB175_1987:
	s_or_b32 s9, s9, exec_lo
.LBB175_1988:
	s_wait_xcnt 0x0
	s_or_b32 exec_lo, exec_lo, s0
	s_mov_b32 s0, 0
	s_mov_b32 s10, 0
                                        ; implicit-def: $sgpr7
                                        ; implicit-def: $vgpr0_vgpr1
                                        ; implicit-def: $vgpr4
	s_and_saveexec_b32 s8, s9
	s_cbranch_execz .LBB175_1996
; %bb.1989:
	s_wait_loadcnt 0x0
	v_dual_lshlrev_b32 v0, 16, v7 :: v_dual_lshlrev_b32 v1, 16, v5
	v_mov_b32_e32 v4, s21
	s_and_b32 s7, s1, 0xff
	s_delay_alu instid0(SALU_CYCLE_1) | instskip(NEXT) | instid1(VALU_DEP_2)
	s_cmp_lt_i32 s7, 11
	v_mul_f32_e32 v6, s26, v0
	s_delay_alu instid0(VALU_DEP_1) | instskip(NEXT) | instid1(VALU_DEP_1)
	v_bfe_u32 v0, v6, 16, 1
	v_add3_u32 v0, v6, v0, 0x7fff
	s_delay_alu instid0(VALU_DEP_1) | instskip(SKIP_2) | instid1(VALU_DEP_3)
	v_and_b32_e32 v7, 0xffff0000, v0
	v_lshlrev_b32_e32 v0, 16, v3
	v_cmp_o_f32_e32 vcc_lo, v6, v6
	v_cndmask_b32_e32 v5, 0x7fc00000, v7, vcc_lo
	s_delay_alu instid0(VALU_DEP_1) | instskip(NEXT) | instid1(VALU_DEP_1)
	v_pk_mul_f32 v[0:1], v[4:5], v[0:1]
	v_dual_lshrrev_b32 v3, 16, v1 :: v_dual_lshrrev_b32 v4, 16, v0
	v_cmp_o_f32_e32 vcc_lo, v1, v1
	s_delay_alu instid0(VALU_DEP_2) | instskip(NEXT) | instid1(VALU_DEP_3)
	v_and_b32_e32 v3, 1, v3
	v_and_b32_e32 v4, 1, v4
	s_delay_alu instid0(VALU_DEP_2) | instskip(NEXT) | instid1(VALU_DEP_1)
	v_add3_u32 v3, v1, v3, 0x7fff
	v_and_b32_e32 v3, 0xffff0000, v3
	s_delay_alu instid0(VALU_DEP_1) | instskip(SKIP_3) | instid1(VALU_DEP_2)
	v_cndmask_b32_e32 v1, 0x7fc00000, v3, vcc_lo
	v_mov_b32_e32 v3, 0
	v_add3_u32 v4, v0, v4, 0x7fff
	v_cmp_o_f32_e32 vcc_lo, v0, v0
	v_and_b32_e32 v4, 0xffff0000, v4
	s_delay_alu instid0(VALU_DEP_1) | instskip(NEXT) | instid1(VALU_DEP_1)
	v_cndmask_b32_e32 v0, 0x7fc00000, v4, vcc_lo
	v_add_f32_e32 v4, v0, v1
	s_delay_alu instid0(VALU_DEP_1) | instskip(SKIP_1) | instid1(VALU_DEP_2)
	v_bfe_u32 v0, v4, 16, 1
	v_cmp_o_f32_e32 vcc_lo, v4, v4
	v_add3_u32 v0, v4, v0, 0x7fff
	s_delay_alu instid0(VALU_DEP_1) | instskip(SKIP_1) | instid1(VALU_DEP_2)
	v_lshrrev_b32_e32 v5, 16, v0
	v_add_nc_u64_e32 v[0:1], s[4:5], v[2:3]
	v_cndmask_b32_e32 v4, 0x7fc0, v5, vcc_lo
	s_cbranch_scc1 .LBB175_1999
; %bb.1990:
	s_and_b32 s1, 0xffff, s7
	s_mov_b32 s4, -1
	s_cmp_gt_i32 s1, 25
	s_mov_b32 s0, s45
	s_cbranch_scc0 .LBB175_2027
; %bb.1991:
	s_cmp_gt_i32 s1, 28
	s_mov_b32 s0, s45
	s_cbranch_scc0 .LBB175_2011
; %bb.1992:
	;; [unrolled: 4-line block ×4, first 2 shown]
	s_cmp_eq_u32 s1, 46
	s_mov_b32 s0, -1
	s_cbranch_scc0 .LBB175_2000
; %bb.1995:
	v_and_b32_e32 v2, 0xffff, v4
	s_mov_b32 s0, 0
	s_mov_b32 s4, 0
	global_store_b32 v[0:1], v2, off
	s_branch .LBB175_2001
.LBB175_1996:
	s_or_b32 exec_lo, exec_lo, s8
	s_and_saveexec_b32 s1, s45
	s_cbranch_execnz .LBB175_2069
.LBB175_1997:
	s_or_b32 exec_lo, exec_lo, s1
	s_and_saveexec_b32 s1, s0
	s_delay_alu instid0(SALU_CYCLE_1)
	s_xor_b32 s0, exec_lo, s1
	s_cbranch_execz .LBB175_2070
.LBB175_1998:
	v_and_b32_e32 v2, 0x7fff, v4
	s_delay_alu instid0(VALU_DEP_1)
	v_cmp_ne_u16_e32 vcc_lo, 0, v2
	v_cndmask_b32_e64 v2, 0, 1, vcc_lo
	s_wait_loadcnt 0x0
	global_store_b8 v[0:1], v2, off
	s_wait_xcnt 0x0
	s_or_b32 exec_lo, exec_lo, s0
	s_and_saveexec_b32 s0, s10
	s_delay_alu instid0(SALU_CYCLE_1)
	s_xor_b32 s0, exec_lo, s0
	s_cbranch_execz .LBB175_2108
	s_branch .LBB175_2071
.LBB175_1999:
	s_mov_b32 s5, 0
	s_mov_b32 s4, -1
	s_mov_b32 s0, s45
	s_branch .LBB175_2068
.LBB175_2000:
	s_mov_b32 s4, 0
.LBB175_2001:
	s_delay_alu instid0(SALU_CYCLE_1)
	s_and_b32 vcc_lo, exec_lo, s4
	s_cbranch_vccz .LBB175_2006
; %bb.2002:
	s_cmp_eq_u32 s1, 44
	s_mov_b32 s0, -1
	s_cbranch_scc0 .LBB175_2006
; %bb.2003:
	s_wait_xcnt 0x0
	v_and_b32_e32 v2, 0xffff, v4
	v_mov_b32_e32 v3, 0xff
	s_mov_b32 s4, exec_lo
	s_delay_alu instid0(VALU_DEP_2) | instskip(NEXT) | instid1(VALU_DEP_1)
	v_bfe_u32 v5, v2, 7, 8
	v_cmpx_ne_u32_e32 0xff, v5
	s_cbranch_execz .LBB175_2005
; %bb.2004:
	v_dual_lshlrev_b32 v3, 16, v2 :: v_dual_bitop2_b32 v6, 64, v2 bitop3:0x40
	v_lshrrev_b32_e32 v2, 7, v2
	s_delay_alu instid0(VALU_DEP_2) | instskip(NEXT) | instid1(VALU_DEP_3)
	v_and_or_b32 v3, 0x3f0000, v3, v5
	v_cmp_ne_u32_e32 vcc_lo, 0, v6
	s_delay_alu instid0(VALU_DEP_2) | instskip(SKIP_1) | instid1(SALU_CYCLE_1)
	v_cmp_ne_u32_e64 s0, 0, v3
	s_and_b32 s0, vcc_lo, s0
	v_cndmask_b32_e64 v3, 0, 1, s0
	s_delay_alu instid0(VALU_DEP_1)
	v_add_nc_u32_e32 v3, v2, v3
.LBB175_2005:
	s_or_b32 exec_lo, exec_lo, s4
	s_mov_b32 s0, 0
	global_store_b8 v[0:1], v3, off
.LBB175_2006:
	s_mov_b32 s4, 0
.LBB175_2007:
	s_delay_alu instid0(SALU_CYCLE_1)
	s_and_b32 vcc_lo, exec_lo, s4
	s_cbranch_vccz .LBB175_2010
; %bb.2008:
	s_cmp_eq_u32 s1, 29
	s_mov_b32 s0, -1
	s_cbranch_scc0 .LBB175_2010
; %bb.2009:
	s_wait_xcnt 0x0
	v_lshlrev_b32_e32 v2, 16, v4
	s_mov_b32 s0, 0
	s_mov_b32 s4, 0
	s_delay_alu instid0(VALU_DEP_1) | instskip(NEXT) | instid1(VALU_DEP_1)
	v_trunc_f32_e32 v2, v2
	v_mul_f32_e32 v3, 0x2f800000, v2
	s_delay_alu instid0(VALU_DEP_1) | instskip(NEXT) | instid1(VALU_DEP_1)
	v_floor_f32_e32 v3, v3
	v_fmamk_f32 v2, v3, 0xcf800000, v2
	v_cvt_u32_f32_e32 v3, v3
	s_delay_alu instid0(VALU_DEP_2)
	v_cvt_u32_f32_e32 v2, v2
	global_store_b64 v[0:1], v[2:3], off
	s_branch .LBB175_2011
.LBB175_2010:
	s_mov_b32 s4, 0
.LBB175_2011:
	s_delay_alu instid0(SALU_CYCLE_1)
	s_and_b32 vcc_lo, exec_lo, s4
	s_cbranch_vccz .LBB175_2026
; %bb.2012:
	s_cmp_lt_i32 s1, 27
	s_mov_b32 s4, -1
	s_cbranch_scc1 .LBB175_2018
; %bb.2013:
	s_cmp_gt_i32 s1, 27
	s_cbranch_scc0 .LBB175_2015
; %bb.2014:
	s_wait_xcnt 0x0
	v_lshlrev_b32_e32 v2, 16, v4
	s_mov_b32 s4, 0
	s_delay_alu instid0(VALU_DEP_1)
	v_cvt_u32_f32_e32 v2, v2
	global_store_b32 v[0:1], v2, off
.LBB175_2015:
	s_and_not1_b32 vcc_lo, exec_lo, s4
	s_cbranch_vccnz .LBB175_2017
; %bb.2016:
	s_wait_xcnt 0x0
	v_lshlrev_b32_e32 v2, 16, v4
	s_delay_alu instid0(VALU_DEP_1)
	v_cvt_u32_f32_e32 v2, v2
	global_store_b16 v[0:1], v2, off
.LBB175_2017:
	s_mov_b32 s4, 0
.LBB175_2018:
	s_delay_alu instid0(SALU_CYCLE_1)
	s_and_not1_b32 vcc_lo, exec_lo, s4
	s_cbranch_vccnz .LBB175_2026
; %bb.2019:
	v_dual_mov_b32 v6, 0x80 :: v_dual_lshlrev_b32 v5, 16, v4
	s_mov_b32 s4, exec_lo
	s_wait_xcnt 0x0
	s_delay_alu instid0(VALU_DEP_1) | instskip(NEXT) | instid1(VALU_DEP_1)
	v_and_b32_e32 v3, 0x7fffffff, v5
	v_cmpx_gt_u32_e32 0x43800000, v3
	s_cbranch_execz .LBB175_2025
; %bb.2020:
	v_and_b32_e32 v2, 0xffff, v4
	v_cmp_lt_u32_e32 vcc_lo, 0x3bffffff, v3
	s_mov_b32 s5, 0
                                        ; implicit-def: $vgpr3
	s_and_saveexec_b32 s9, vcc_lo
	s_delay_alu instid0(SALU_CYCLE_1)
	s_xor_b32 s9, exec_lo, s9
	s_cbranch_execz .LBB175_2167
; %bb.2021:
	v_bfe_u32 v3, v2, 4, 1
	s_mov_b32 s5, exec_lo
	s_delay_alu instid0(VALU_DEP_1) | instskip(NEXT) | instid1(VALU_DEP_1)
	v_add3_u32 v3, v5, v3, 0x487ffff
                                        ; implicit-def: $vgpr5
	v_lshrrev_b32_e32 v3, 20, v3
	s_and_not1_saveexec_b32 s9, s9
	s_cbranch_execnz .LBB175_2168
.LBB175_2022:
	s_or_b32 exec_lo, exec_lo, s9
	v_mov_b32_e32 v6, 0
	s_and_saveexec_b32 s9, s5
.LBB175_2023:
	v_lshrrev_b32_e32 v2, 8, v2
	s_delay_alu instid0(VALU_DEP_1)
	v_and_or_b32 v6, 0x80, v2, v3
.LBB175_2024:
	s_or_b32 exec_lo, exec_lo, s9
.LBB175_2025:
	s_delay_alu instid0(SALU_CYCLE_1)
	s_or_b32 exec_lo, exec_lo, s4
	global_store_b8 v[0:1], v6, off
.LBB175_2026:
	s_mov_b32 s4, 0
.LBB175_2027:
	s_delay_alu instid0(SALU_CYCLE_1)
	s_and_b32 vcc_lo, exec_lo, s4
	s_mov_b32 s4, 0
	s_cbranch_vccz .LBB175_2067
; %bb.2028:
	s_cmp_gt_i32 s1, 22
	s_mov_b32 s5, -1
	s_cbranch_scc0 .LBB175_2060
; %bb.2029:
	s_cmp_lt_i32 s1, 24
	s_cbranch_scc1 .LBB175_2049
; %bb.2030:
	s_cmp_gt_i32 s1, 24
	s_cbranch_scc0 .LBB175_2038
; %bb.2031:
	s_wait_xcnt 0x0
	v_dual_mov_b32 v6, 0x80 :: v_dual_lshlrev_b32 v5, 16, v4
	s_mov_b32 s5, exec_lo
	s_delay_alu instid0(VALU_DEP_1) | instskip(NEXT) | instid1(VALU_DEP_1)
	v_and_b32_e32 v3, 0x7fffffff, v5
	v_cmpx_gt_u32_e32 0x47800000, v3
	s_cbranch_execz .LBB175_2037
; %bb.2032:
	v_and_b32_e32 v2, 0xffff, v4
	v_cmp_lt_u32_e32 vcc_lo, 0x37ffffff, v3
	s_mov_b32 s9, 0
                                        ; implicit-def: $vgpr3
	s_and_saveexec_b32 s10, vcc_lo
	s_delay_alu instid0(SALU_CYCLE_1)
	s_xor_b32 s10, exec_lo, s10
	s_cbranch_execz .LBB175_2293
; %bb.2033:
	v_bfe_u32 v3, v2, 5, 1
	s_mov_b32 s9, exec_lo
	s_delay_alu instid0(VALU_DEP_1) | instskip(NEXT) | instid1(VALU_DEP_1)
	v_add3_u32 v3, v5, v3, 0x88fffff
                                        ; implicit-def: $vgpr5
	v_lshrrev_b32_e32 v3, 21, v3
	s_and_not1_saveexec_b32 s10, s10
	s_cbranch_execnz .LBB175_2294
.LBB175_2034:
	s_or_b32 exec_lo, exec_lo, s10
	v_mov_b32_e32 v6, 0
	s_and_saveexec_b32 s10, s9
.LBB175_2035:
	v_lshrrev_b32_e32 v2, 8, v2
	s_delay_alu instid0(VALU_DEP_1)
	v_and_or_b32 v6, 0x80, v2, v3
.LBB175_2036:
	s_or_b32 exec_lo, exec_lo, s10
.LBB175_2037:
	s_delay_alu instid0(SALU_CYCLE_1)
	s_or_b32 exec_lo, exec_lo, s5
	s_mov_b32 s5, 0
	global_store_b8 v[0:1], v6, off
.LBB175_2038:
	s_and_b32 vcc_lo, exec_lo, s5
	s_cbranch_vccz .LBB175_2048
; %bb.2039:
	v_lshlrev_b32_e32 v5, 16, v4
	s_wait_xcnt 0x0
	v_and_b32_e32 v2, 0xffff, v4
	s_mov_b32 s5, exec_lo
                                        ; implicit-def: $vgpr3
	s_delay_alu instid0(VALU_DEP_2) | instskip(NEXT) | instid1(VALU_DEP_1)
	v_and_b32_e32 v6, 0x7fffffff, v5
	v_cmpx_gt_u32_e32 0x43f00000, v6
	s_xor_b32 s5, exec_lo, s5
	s_cbranch_execz .LBB175_2045
; %bb.2040:
	s_mov_b32 s9, exec_lo
                                        ; implicit-def: $vgpr3
	v_cmpx_lt_u32_e32 0x3c7fffff, v6
	s_xor_b32 s9, exec_lo, s9
; %bb.2041:
	v_bfe_u32 v3, v2, 4, 1
	s_delay_alu instid0(VALU_DEP_1) | instskip(NEXT) | instid1(VALU_DEP_1)
	v_add3_u32 v3, v5, v3, 0x407ffff
	v_and_b32_e32 v5, 0xff00000, v3
	v_lshrrev_b32_e32 v3, 20, v3
	s_delay_alu instid0(VALU_DEP_2) | instskip(NEXT) | instid1(VALU_DEP_2)
	v_cmp_ne_u32_e32 vcc_lo, 0x7f00000, v5
                                        ; implicit-def: $vgpr5
	v_cndmask_b32_e32 v3, 0x7e, v3, vcc_lo
; %bb.2042:
	s_and_not1_saveexec_b32 s9, s9
; %bb.2043:
	v_add_f32_e64 v3, 0x46800000, |v5|
; %bb.2044:
	s_or_b32 exec_lo, exec_lo, s9
                                        ; implicit-def: $vgpr6
.LBB175_2045:
	s_and_not1_saveexec_b32 s5, s5
; %bb.2046:
	v_mov_b32_e32 v3, 0x7f
	v_cmp_lt_u32_e32 vcc_lo, 0x7f800000, v6
	s_delay_alu instid0(VALU_DEP_2)
	v_cndmask_b32_e32 v3, 0x7e, v3, vcc_lo
; %bb.2047:
	s_or_b32 exec_lo, exec_lo, s5
	v_lshrrev_b32_e32 v2, 8, v2
	s_delay_alu instid0(VALU_DEP_1)
	v_and_or_b32 v2, 0x80, v2, v3
	global_store_b8 v[0:1], v2, off
.LBB175_2048:
	s_mov_b32 s5, 0
.LBB175_2049:
	s_delay_alu instid0(SALU_CYCLE_1)
	s_and_not1_b32 vcc_lo, exec_lo, s5
	s_cbranch_vccnz .LBB175_2059
; %bb.2050:
	v_lshlrev_b32_e32 v5, 16, v4
	s_wait_xcnt 0x0
	v_and_b32_e32 v2, 0xffff, v4
	s_mov_b32 s5, exec_lo
                                        ; implicit-def: $vgpr3
	s_delay_alu instid0(VALU_DEP_2) | instskip(NEXT) | instid1(VALU_DEP_1)
	v_and_b32_e32 v6, 0x7fffffff, v5
	v_cmpx_gt_u32_e32 0x47800000, v6
	s_xor_b32 s5, exec_lo, s5
	s_cbranch_execz .LBB175_2056
; %bb.2051:
	s_mov_b32 s9, exec_lo
                                        ; implicit-def: $vgpr3
	v_cmpx_lt_u32_e32 0x387fffff, v6
	s_xor_b32 s9, exec_lo, s9
; %bb.2052:
	v_bfe_u32 v3, v2, 5, 1
	s_delay_alu instid0(VALU_DEP_1) | instskip(NEXT) | instid1(VALU_DEP_1)
	v_add3_u32 v3, v5, v3, 0x80fffff
                                        ; implicit-def: $vgpr5
	v_lshrrev_b32_e32 v3, 21, v3
; %bb.2053:
	s_and_not1_saveexec_b32 s9, s9
; %bb.2054:
	v_add_f32_e64 v3, 0x43000000, |v5|
; %bb.2055:
	s_or_b32 exec_lo, exec_lo, s9
                                        ; implicit-def: $vgpr6
.LBB175_2056:
	s_and_not1_saveexec_b32 s5, s5
; %bb.2057:
	v_mov_b32_e32 v3, 0x7f
	v_cmp_lt_u32_e32 vcc_lo, 0x7f800000, v6
	s_delay_alu instid0(VALU_DEP_2)
	v_cndmask_b32_e32 v3, 0x7c, v3, vcc_lo
; %bb.2058:
	s_or_b32 exec_lo, exec_lo, s5
	v_lshrrev_b32_e32 v2, 8, v2
	s_delay_alu instid0(VALU_DEP_1)
	v_and_or_b32 v2, 0x80, v2, v3
	global_store_b8 v[0:1], v2, off
.LBB175_2059:
	s_mov_b32 s5, 0
.LBB175_2060:
	s_delay_alu instid0(SALU_CYCLE_1)
	s_and_not1_b32 vcc_lo, exec_lo, s5
	s_mov_b32 s5, 0
	s_cbranch_vccnz .LBB175_2068
; %bb.2061:
	s_cmp_gt_i32 s1, 14
	s_mov_b32 s5, -1
	s_cbranch_scc0 .LBB175_2065
; %bb.2062:
	s_cmp_eq_u32 s1, 15
	s_mov_b32 s0, -1
	s_cbranch_scc0 .LBB175_2064
; %bb.2063:
	s_mov_b32 s0, 0
	global_store_b16 v[0:1], v4, off
.LBB175_2064:
	s_mov_b32 s5, 0
.LBB175_2065:
	s_delay_alu instid0(SALU_CYCLE_1)
	s_and_b32 vcc_lo, exec_lo, s5
	s_mov_b32 s5, 0
	s_cbranch_vccz .LBB175_2068
; %bb.2066:
	s_cmp_lg_u32 s1, 11
	s_mov_b32 s5, -1
	s_cselect_b32 s1, -1, 0
	s_and_not1_b32 s0, s0, exec_lo
	s_and_b32 s1, s1, exec_lo
	s_delay_alu instid0(SALU_CYCLE_1)
	s_or_b32 s0, s0, s1
	s_branch .LBB175_2068
.LBB175_2067:
	s_mov_b32 s5, 0
.LBB175_2068:
	s_and_b32 s10, s4, exec_lo
	s_and_not1_b32 s1, s45, exec_lo
	s_and_b32 s4, s0, exec_lo
	s_and_b32 s0, s5, exec_lo
	s_or_b32 s45, s1, s4
	s_wait_xcnt 0x0
	s_or_b32 exec_lo, exec_lo, s8
	s_and_saveexec_b32 s1, s45
	s_cbranch_execz .LBB175_1997
.LBB175_2069:
	s_or_b32 s6, s6, exec_lo
	s_and_not1_b32 s0, s0, exec_lo
	s_trap 2
	s_or_b32 exec_lo, exec_lo, s1
	s_and_saveexec_b32 s1, s0
	s_delay_alu instid0(SALU_CYCLE_1)
	s_xor_b32 s0, exec_lo, s1
	s_cbranch_execnz .LBB175_1998
.LBB175_2070:
	s_or_b32 exec_lo, exec_lo, s0
	s_and_saveexec_b32 s0, s10
	s_delay_alu instid0(SALU_CYCLE_1)
	s_xor_b32 s0, exec_lo, s0
	s_cbranch_execz .LBB175_2108
.LBB175_2071:
	s_sext_i32_i16 s4, s7
	s_mov_b32 s1, -1
	s_cmp_lt_i32 s4, 5
	s_cbranch_scc1 .LBB175_2092
; %bb.2072:
	s_cmp_lt_i32 s4, 8
	s_cbranch_scc1 .LBB175_2082
; %bb.2073:
	;; [unrolled: 3-line block ×3, first 2 shown]
	s_cmp_gt_i32 s4, 9
	s_cbranch_scc0 .LBB175_2076
; %bb.2075:
	v_dual_lshlrev_b32 v2, 16, v4 :: v_dual_mov_b32 v8, 0
	s_mov_b32 s1, 0
	s_wait_loadcnt 0x0
	s_delay_alu instid0(VALU_DEP_1) | instskip(NEXT) | instid1(VALU_DEP_2)
	v_cvt_f64_f32_e32 v[6:7], v2
	v_mov_b32_e32 v9, v8
	global_store_b128 v[0:1], v[6:9], off
.LBB175_2076:
	s_and_not1_b32 vcc_lo, exec_lo, s1
	s_cbranch_vccnz .LBB175_2078
; %bb.2077:
	s_wait_loadcnt 0x0
	v_dual_mov_b32 v3, 0 :: v_dual_lshlrev_b32 v2, 16, v4
	global_store_b64 v[0:1], v[2:3], off
.LBB175_2078:
	s_mov_b32 s1, 0
.LBB175_2079:
	s_delay_alu instid0(SALU_CYCLE_1)
	s_and_not1_b32 vcc_lo, exec_lo, s1
	s_cbranch_vccnz .LBB175_2081
; %bb.2080:
	s_wait_xcnt 0x0
	v_lshlrev_b32_e32 v2, 16, v4
	s_delay_alu instid0(VALU_DEP_1) | instskip(NEXT) | instid1(VALU_DEP_1)
	v_cvt_f16_f32_e32 v2, v2
	v_and_b32_e32 v2, 0xffff, v2
	s_wait_loadcnt 0x0
	global_store_b32 v[0:1], v2, off
.LBB175_2081:
	s_mov_b32 s1, 0
.LBB175_2082:
	s_delay_alu instid0(SALU_CYCLE_1)
	s_and_not1_b32 vcc_lo, exec_lo, s1
	s_cbranch_vccnz .LBB175_2091
; %bb.2083:
	s_sext_i32_i16 s4, s7
	s_mov_b32 s1, -1
	s_cmp_lt_i32 s4, 6
	s_cbranch_scc1 .LBB175_2089
; %bb.2084:
	s_cmp_gt_i32 s4, 6
	s_cbranch_scc0 .LBB175_2086
; %bb.2085:
	s_wait_xcnt 0x0
	v_lshlrev_b32_e32 v2, 16, v4
	s_mov_b32 s1, 0
	s_wait_loadcnt 0x0
	s_delay_alu instid0(VALU_DEP_1)
	v_cvt_f64_f32_e32 v[2:3], v2
	global_store_b64 v[0:1], v[2:3], off
.LBB175_2086:
	s_and_not1_b32 vcc_lo, exec_lo, s1
	s_cbranch_vccnz .LBB175_2088
; %bb.2087:
	s_wait_xcnt 0x0
	v_lshlrev_b32_e32 v2, 16, v4
	s_wait_loadcnt 0x0
	global_store_b32 v[0:1], v2, off
.LBB175_2088:
	s_mov_b32 s1, 0
.LBB175_2089:
	s_delay_alu instid0(SALU_CYCLE_1)
	s_and_not1_b32 vcc_lo, exec_lo, s1
	s_cbranch_vccnz .LBB175_2091
; %bb.2090:
	s_wait_xcnt 0x0
	v_lshlrev_b32_e32 v2, 16, v4
	s_delay_alu instid0(VALU_DEP_1)
	v_cvt_f16_f32_e32 v2, v2
	s_wait_loadcnt 0x0
	global_store_b16 v[0:1], v2, off
.LBB175_2091:
	s_mov_b32 s1, 0
.LBB175_2092:
	s_delay_alu instid0(SALU_CYCLE_1)
	s_and_not1_b32 vcc_lo, exec_lo, s1
	s_cbranch_vccnz .LBB175_2108
; %bb.2093:
	s_sext_i32_i16 s4, s7
	s_mov_b32 s1, -1
	s_cmp_lt_i32 s4, 2
	s_cbranch_scc1 .LBB175_2103
; %bb.2094:
	s_cmp_lt_i32 s4, 3
	s_cbranch_scc1 .LBB175_2100
; %bb.2095:
	s_cmp_gt_i32 s4, 3
	s_cbranch_scc0 .LBB175_2097
; %bb.2096:
	s_wait_xcnt 0x0
	v_lshlrev_b32_e32 v2, 16, v4
	s_mov_b32 s1, 0
	s_delay_alu instid0(VALU_DEP_1) | instskip(SKIP_1) | instid1(VALU_DEP_1)
	v_trunc_f32_e32 v2, v2
	s_wait_loadcnt 0x0
	v_mul_f32_e64 v3, 0x2f800000, |v2|
	s_delay_alu instid0(VALU_DEP_1) | instskip(NEXT) | instid1(VALU_DEP_1)
	v_floor_f32_e32 v3, v3
	v_fma_f32 v5, 0xcf800000, v3, |v2|
	v_ashrrev_i32_e32 v2, 31, v2
	v_cvt_u32_f32_e32 v6, v3
	s_delay_alu instid0(VALU_DEP_3) | instskip(NEXT) | instid1(VALU_DEP_3)
	v_cvt_u32_f32_e32 v5, v5
	v_mov_b32_e32 v3, v2
	s_delay_alu instid0(VALU_DEP_3) | instskip(NEXT) | instid1(VALU_DEP_3)
	v_xor_b32_e32 v7, v6, v2
	v_xor_b32_e32 v6, v5, v2
	s_delay_alu instid0(VALU_DEP_1)
	v_sub_nc_u64_e32 v[2:3], v[6:7], v[2:3]
	global_store_b64 v[0:1], v[2:3], off
.LBB175_2097:
	s_and_not1_b32 vcc_lo, exec_lo, s1
	s_cbranch_vccnz .LBB175_2099
; %bb.2098:
	s_wait_xcnt 0x0
	v_lshlrev_b32_e32 v2, 16, v4
	s_delay_alu instid0(VALU_DEP_1)
	v_cvt_i32_f32_e32 v2, v2
	s_wait_loadcnt 0x0
	global_store_b32 v[0:1], v2, off
.LBB175_2099:
	s_mov_b32 s1, 0
.LBB175_2100:
	s_delay_alu instid0(SALU_CYCLE_1)
	s_and_not1_b32 vcc_lo, exec_lo, s1
	s_cbranch_vccnz .LBB175_2102
; %bb.2101:
	s_wait_xcnt 0x0
	v_lshlrev_b32_e32 v2, 16, v4
	s_delay_alu instid0(VALU_DEP_1)
	v_cvt_i32_f32_e32 v2, v2
	s_wait_loadcnt 0x0
	global_store_b16 v[0:1], v2, off
.LBB175_2102:
	s_mov_b32 s1, 0
.LBB175_2103:
	s_delay_alu instid0(SALU_CYCLE_1)
	s_and_not1_b32 vcc_lo, exec_lo, s1
	s_cbranch_vccnz .LBB175_2108
; %bb.2104:
	s_wait_xcnt 0x0
	v_lshlrev_b32_e32 v2, 16, v4
	s_sext_i32_i16 s1, s7
	s_delay_alu instid0(SALU_CYCLE_1)
	s_cmp_gt_i32 s1, 0
	s_mov_b32 s1, -1
	s_cbranch_scc0 .LBB175_2106
; %bb.2105:
	s_wait_loadcnt 0x0
	v_cvt_i32_f32_e32 v3, v2
	s_mov_b32 s1, 0
	global_store_b8 v[0:1], v3, off
.LBB175_2106:
	s_and_not1_b32 vcc_lo, exec_lo, s1
	s_cbranch_vccnz .LBB175_2108
; %bb.2107:
	v_trunc_f32_e32 v2, v2
	s_wait_loadcnt 0x0
	s_delay_alu instid0(VALU_DEP_1) | instskip(NEXT) | instid1(VALU_DEP_1)
	v_mul_f32_e64 v3, 0x2f800000, |v2|
	v_floor_f32_e32 v3, v3
	s_delay_alu instid0(VALU_DEP_1) | instskip(SKIP_1) | instid1(VALU_DEP_2)
	v_fma_f32 v3, 0xcf800000, v3, |v2|
	v_ashrrev_i32_e32 v2, 31, v2
	v_cvt_u32_f32_e32 v3, v3
	s_delay_alu instid0(VALU_DEP_1) | instskip(NEXT) | instid1(VALU_DEP_1)
	v_xor_b32_e32 v3, v3, v2
	v_sub_nc_u32_e32 v2, v3, v2
	global_store_b8 v[0:1], v2, off
.LBB175_2108:
	s_wait_xcnt 0x0
	s_or_b32 exec_lo, exec_lo, s0
	s_delay_alu instid0(SALU_CYCLE_1)
	s_and_b32 s12, s6, exec_lo
                                        ; implicit-def: $vgpr5
                                        ; implicit-def: $vgpr0
.LBB175_2109:
	s_or_saveexec_b32 s13, s39
	s_mov_b32 s0, 0
                                        ; implicit-def: $vgpr2_vgpr3
                                        ; implicit-def: $sgpr6
                                        ; implicit-def: $vgpr1
	s_xor_b32 exec_lo, exec_lo, s13
	s_cbranch_execz .LBB175_4157
; %bb.2110:
	s_wait_loadcnt 0x0
	v_cndmask_b32_e64 v1, 0, 1, s38
	s_and_not1_b32 vcc_lo, exec_lo, s38
	s_cbranch_vccnz .LBB175_2116
; %bb.2111:
	s_cmp_lg_u32 s33, 0
	s_mov_b32 s6, 0
	s_cbranch_scc0 .LBB175_2120
; %bb.2112:
	s_min_u32 s7, s36, 15
	v_dual_mov_b32 v28, 0 :: v_dual_mov_b32 v2, v0
	v_dual_mov_b32 v26, 0 :: v_dual_mov_b32 v6, 0
	v_mov_b32_e32 v30, 0
	s_add_co_i32 s4, s7, 1
	s_mov_b64 s[0:1], 0xffffffffffffffe0
	s_and_b32 s8, s4, 30
	s_add_nc_u64 s[0:1], s[2:3], s[0:1]
	s_mov_b64 s[4:5], s[2:3]
.LBB175_2113:                           ; =>This Inner Loop Header: Depth=1
	s_clause 0x1
	s_load_b128 s[24:27], s[4:5], 0x4
	s_load_b64 s[10:11], s[4:5], 0x14
	s_load_b256 s[16:23], s[0:1], 0xe4
	s_add_co_i32 s8, s8, -2
	s_wait_xcnt 0x0
	s_add_nc_u64 s[4:5], s[4:5], 24
	s_cmp_lg_u32 s8, 0
	s_add_nc_u64 s[0:1], s[0:1], 32
	s_wait_kmcnt 0x0
	v_mul_hi_u32 v3, s25, v2
	s_delay_alu instid0(VALU_DEP_1) | instskip(NEXT) | instid1(VALU_DEP_1)
	v_add_nc_u32_e32 v3, v2, v3
	v_lshrrev_b32_e32 v3, s26, v3
	s_delay_alu instid0(VALU_DEP_1) | instskip(SKIP_1) | instid1(VALU_DEP_1)
	v_mul_hi_u32 v4, s10, v3
	v_mul_lo_u32 v7, v3, s24
	v_dual_add_nc_u32 v4, v3, v4 :: v_dual_sub_nc_u32 v7, v2, v7
	s_delay_alu instid0(VALU_DEP_1) | instskip(NEXT) | instid1(VALU_DEP_2)
	v_lshrrev_b32_e32 v2, s11, v4
	v_mad_u32 v8, v7, s17, v30
	v_mad_u32 v6, v7, s16, v6
	;; [unrolled: 1-line block ×4, first 2 shown]
	v_mul_lo_u32 v4, v2, s27
	s_delay_alu instid0(VALU_DEP_1) | instskip(NEXT) | instid1(VALU_DEP_1)
	v_sub_nc_u32_e32 v3, v3, v4
	v_mad_u32 v30, v3, s21, v8
	v_mad_u32 v6, v3, s20, v6
	;; [unrolled: 1-line block ×4, first 2 shown]
	s_cbranch_scc1 .LBB175_2113
; %bb.2114:
	s_bitcmp1_b32 s7, 0
	s_cselect_b32 s7, -1, 0
	s_delay_alu instid0(SALU_CYCLE_1)
	s_and_b32 vcc_lo, exec_lo, s7
	s_cbranch_vccnz .LBB175_2117
; %bb.2115:
	s_load_b96 s[16:18], s[4:5], 0x4
	s_load_b128 s[8:11], s[0:1], 0xe4
	s_wait_kmcnt 0x0
	v_mul_hi_u32 v3, s17, v2
	s_delay_alu instid0(VALU_DEP_1) | instskip(NEXT) | instid1(VALU_DEP_1)
	v_add_nc_u32_e32 v3, v2, v3
	v_lshrrev_b32_e32 v3, s18, v3
	s_delay_alu instid0(VALU_DEP_1) | instskip(NEXT) | instid1(VALU_DEP_1)
	v_mul_lo_u32 v3, v3, s16
	v_sub_nc_u32_e32 v2, v2, v3
	s_delay_alu instid0(VALU_DEP_1)
	v_mad_u32 v6, v2, s8, v6
	v_mad_u32 v30, v2, s9, v30
	;; [unrolled: 1-line block ×4, first 2 shown]
	s_and_not1_b32 vcc_lo, exec_lo, s6
	s_cbranch_vccz .LBB175_2118
	s_branch .LBB175_2121
.LBB175_2116:
	s_mov_b32 s6, -1
                                        ; implicit-def: $vgpr30
                                        ; implicit-def: $vgpr6
                                        ; implicit-def: $vgpr26
                                        ; implicit-def: $vgpr28
.LBB175_2117:
	s_delay_alu instid0(SALU_CYCLE_1)
	s_and_not1_b32 vcc_lo, exec_lo, s6
	s_cbranch_vccnz .LBB175_2121
.LBB175_2118:
	s_clause 0x1
	s_load_b96 s[8:10], s[2:3], 0x4
	s_load_b128 s[4:7], s[2:3], 0xc4
	s_cmp_lt_u32 s33, 2
	s_wait_kmcnt 0x0
	v_mul_hi_u32 v2, s9, v0
	s_delay_alu instid0(VALU_DEP_1) | instskip(NEXT) | instid1(VALU_DEP_1)
	v_add_nc_u32_e32 v2, v0, v2
	v_lshrrev_b32_e32 v2, s10, v2
	s_delay_alu instid0(VALU_DEP_1) | instskip(NEXT) | instid1(VALU_DEP_1)
	v_mul_lo_u32 v3, v2, s8
	v_sub_nc_u32_e32 v3, v0, v3
	s_delay_alu instid0(VALU_DEP_1)
	v_mul_lo_u32 v30, v3, s5
	v_mul_lo_u32 v6, v3, s4
	;; [unrolled: 1-line block ×4, first 2 shown]
	s_cbranch_scc1 .LBB175_2121
; %bb.2119:
	s_clause 0x1
	s_load_b96 s[8:10], s[2:3], 0x10
	s_load_b128 s[4:7], s[2:3], 0xd4
	s_wait_kmcnt 0x0
	v_mul_hi_u32 v3, s9, v2
	s_delay_alu instid0(VALU_DEP_1) | instskip(NEXT) | instid1(VALU_DEP_1)
	v_add_nc_u32_e32 v3, v2, v3
	v_lshrrev_b32_e32 v3, s10, v3
	s_delay_alu instid0(VALU_DEP_1) | instskip(NEXT) | instid1(VALU_DEP_1)
	v_mul_lo_u32 v3, v3, s8
	v_sub_nc_u32_e32 v2, v2, v3
	s_delay_alu instid0(VALU_DEP_1)
	v_mad_u32 v6, v2, s4, v6
	v_mad_u32 v30, v2, s5, v30
	;; [unrolled: 1-line block ×4, first 2 shown]
	s_branch .LBB175_2121
.LBB175_2120:
	v_dual_mov_b32 v30, 0 :: v_dual_mov_b32 v6, 0
	v_dual_mov_b32 v26, 0 :: v_dual_mov_b32 v28, 0
	s_and_not1_b32 vcc_lo, exec_lo, s6
	s_cbranch_vccz .LBB175_2118
.LBB175_2121:
	v_cmp_ne_u32_e32 vcc_lo, 1, v1
	v_add_nc_u32_e32 v2, 0x80, v0
	s_cbranch_vccnz .LBB175_2127
; %bb.2122:
	s_cmp_lg_u32 s33, 0
	s_mov_b32 s6, 0
	s_cbranch_scc0 .LBB175_2131
; %bb.2123:
	s_min_u32 s7, s36, 15
	v_dual_mov_b32 v22, 0 :: v_dual_mov_b32 v3, v2
	v_dual_mov_b32 v20, 0 :: v_dual_mov_b32 v4, 0
	v_mov_b32_e32 v24, 0
	s_add_co_i32 s4, s7, 1
	s_mov_b64 s[0:1], 0xffffffffffffffe0
	s_and_b32 s8, s4, 30
	s_add_nc_u64 s[0:1], s[2:3], s[0:1]
	s_mov_b64 s[4:5], s[2:3]
.LBB175_2124:                           ; =>This Inner Loop Header: Depth=1
	s_clause 0x1
	s_load_b128 s[24:27], s[4:5], 0x4
	s_load_b64 s[10:11], s[4:5], 0x14
	s_load_b256 s[16:23], s[0:1], 0xe4
	s_add_co_i32 s8, s8, -2
	s_wait_xcnt 0x0
	s_add_nc_u64 s[4:5], s[4:5], 24
	s_cmp_lg_u32 s8, 0
	s_add_nc_u64 s[0:1], s[0:1], 32
	s_wait_kmcnt 0x0
	v_mul_hi_u32 v7, s25, v3
	s_delay_alu instid0(VALU_DEP_1) | instskip(NEXT) | instid1(VALU_DEP_1)
	v_add_nc_u32_e32 v7, v3, v7
	v_lshrrev_b32_e32 v7, s26, v7
	s_delay_alu instid0(VALU_DEP_1) | instskip(SKIP_1) | instid1(VALU_DEP_2)
	v_mul_hi_u32 v8, s10, v7
	v_mul_lo_u32 v9, v7, s24
	v_add_nc_u32_e32 v8, v7, v8
	s_delay_alu instid0(VALU_DEP_1) | instskip(NEXT) | instid1(VALU_DEP_1)
	v_dual_sub_nc_u32 v9, v3, v9 :: v_dual_lshrrev_b32 v3, s11, v8
	v_mad_u32 v10, v9, s17, v24
	v_mad_u32 v4, v9, s16, v4
	;; [unrolled: 1-line block ×4, first 2 shown]
	v_mul_lo_u32 v8, v3, s27
	s_delay_alu instid0(VALU_DEP_1) | instskip(NEXT) | instid1(VALU_DEP_1)
	v_sub_nc_u32_e32 v7, v7, v8
	v_mad_u32 v24, v7, s21, v10
	v_mad_u32 v4, v7, s20, v4
	v_mad_u32 v20, v7, s23, v11
	v_mad_u32 v22, v7, s22, v9
	s_cbranch_scc1 .LBB175_2124
; %bb.2125:
	s_bitcmp1_b32 s7, 0
	s_cselect_b32 s7, -1, 0
	s_delay_alu instid0(SALU_CYCLE_1)
	s_and_b32 vcc_lo, exec_lo, s7
	s_cbranch_vccnz .LBB175_2128
; %bb.2126:
	s_load_b96 s[16:18], s[4:5], 0x4
	s_load_b128 s[8:11], s[0:1], 0xe4
	s_wait_kmcnt 0x0
	v_mul_hi_u32 v7, s17, v3
	s_delay_alu instid0(VALU_DEP_1) | instskip(NEXT) | instid1(VALU_DEP_1)
	v_add_nc_u32_e32 v7, v3, v7
	v_lshrrev_b32_e32 v7, s18, v7
	s_delay_alu instid0(VALU_DEP_1) | instskip(NEXT) | instid1(VALU_DEP_1)
	v_mul_lo_u32 v7, v7, s16
	v_sub_nc_u32_e32 v3, v3, v7
	s_delay_alu instid0(VALU_DEP_1)
	v_mad_u32 v4, v3, s8, v4
	v_mad_u32 v24, v3, s9, v24
	;; [unrolled: 1-line block ×4, first 2 shown]
	s_and_not1_b32 vcc_lo, exec_lo, s6
	s_cbranch_vccz .LBB175_2129
	s_branch .LBB175_2132
.LBB175_2127:
	s_mov_b32 s6, -1
                                        ; implicit-def: $vgpr24
                                        ; implicit-def: $vgpr4
                                        ; implicit-def: $vgpr20
                                        ; implicit-def: $vgpr22
.LBB175_2128:
	s_delay_alu instid0(SALU_CYCLE_1)
	s_and_not1_b32 vcc_lo, exec_lo, s6
	s_cbranch_vccnz .LBB175_2132
.LBB175_2129:
	s_clause 0x1
	s_load_b96 s[8:10], s[2:3], 0x4
	s_load_b128 s[4:7], s[2:3], 0xc4
	s_cmp_lt_u32 s33, 2
	s_wait_kmcnt 0x0
	v_mul_hi_u32 v3, s9, v2
	s_delay_alu instid0(VALU_DEP_1) | instskip(NEXT) | instid1(VALU_DEP_1)
	v_add_nc_u32_e32 v3, v2, v3
	v_lshrrev_b32_e32 v3, s10, v3
	s_delay_alu instid0(VALU_DEP_1) | instskip(NEXT) | instid1(VALU_DEP_1)
	v_mul_lo_u32 v4, v3, s8
	v_sub_nc_u32_e32 v2, v2, v4
	s_delay_alu instid0(VALU_DEP_1)
	v_mul_lo_u32 v24, v2, s5
	v_mul_lo_u32 v4, v2, s4
	;; [unrolled: 1-line block ×4, first 2 shown]
	s_cbranch_scc1 .LBB175_2132
; %bb.2130:
	s_clause 0x1
	s_load_b96 s[8:10], s[2:3], 0x10
	s_load_b128 s[4:7], s[2:3], 0xd4
	s_wait_kmcnt 0x0
	v_mul_hi_u32 v2, s9, v3
	s_delay_alu instid0(VALU_DEP_1) | instskip(NEXT) | instid1(VALU_DEP_1)
	v_add_nc_u32_e32 v2, v3, v2
	v_lshrrev_b32_e32 v2, s10, v2
	s_delay_alu instid0(VALU_DEP_1) | instskip(NEXT) | instid1(VALU_DEP_1)
	v_mul_lo_u32 v2, v2, s8
	v_sub_nc_u32_e32 v2, v3, v2
	s_delay_alu instid0(VALU_DEP_1)
	v_mad_u32 v4, v2, s4, v4
	v_mad_u32 v24, v2, s5, v24
	;; [unrolled: 1-line block ×4, first 2 shown]
	s_branch .LBB175_2132
.LBB175_2131:
	v_dual_mov_b32 v24, 0 :: v_dual_mov_b32 v4, 0
	v_dual_mov_b32 v20, 0 :: v_dual_mov_b32 v22, 0
	s_and_not1_b32 vcc_lo, exec_lo, s6
	s_cbranch_vccz .LBB175_2129
.LBB175_2132:
	v_cmp_ne_u32_e32 vcc_lo, 1, v1
	v_add_nc_u32_e32 v0, 0x100, v0
	s_cbranch_vccnz .LBB175_2138
; %bb.2133:
	s_cmp_lg_u32 s33, 0
	s_mov_b32 s6, 0
	s_cbranch_scc0 .LBB175_2142
; %bb.2134:
	s_min_u32 s7, s36, 15
	v_dual_mov_b32 v16, 0 :: v_dual_mov_b32 v3, v0
	v_dual_mov_b32 v14, 0 :: v_dual_mov_b32 v2, 0
	v_mov_b32_e32 v18, 0
	s_add_co_i32 s4, s7, 1
	s_mov_b64 s[0:1], 0xffffffffffffffe0
	s_and_b32 s8, s4, 30
	s_add_nc_u64 s[0:1], s[2:3], s[0:1]
	s_mov_b64 s[4:5], s[2:3]
.LBB175_2135:                           ; =>This Inner Loop Header: Depth=1
	s_clause 0x1
	s_load_b128 s[24:27], s[4:5], 0x4
	s_load_b64 s[10:11], s[4:5], 0x14
	s_load_b256 s[16:23], s[0:1], 0xe4
	s_add_co_i32 s8, s8, -2
	s_wait_xcnt 0x0
	s_add_nc_u64 s[4:5], s[4:5], 24
	s_cmp_lg_u32 s8, 0
	s_add_nc_u64 s[0:1], s[0:1], 32
	s_wait_kmcnt 0x0
	v_mul_hi_u32 v7, s25, v3
	s_delay_alu instid0(VALU_DEP_1) | instskip(NEXT) | instid1(VALU_DEP_1)
	v_add_nc_u32_e32 v7, v3, v7
	v_lshrrev_b32_e32 v7, s26, v7
	s_delay_alu instid0(VALU_DEP_1) | instskip(SKIP_1) | instid1(VALU_DEP_2)
	v_mul_hi_u32 v8, s10, v7
	v_mul_lo_u32 v9, v7, s24
	v_add_nc_u32_e32 v8, v7, v8
	s_delay_alu instid0(VALU_DEP_1) | instskip(NEXT) | instid1(VALU_DEP_1)
	v_dual_sub_nc_u32 v9, v3, v9 :: v_dual_lshrrev_b32 v3, s11, v8
	v_mad_u32 v10, v9, s17, v18
	v_mad_u32 v2, v9, s16, v2
	;; [unrolled: 1-line block ×4, first 2 shown]
	v_mul_lo_u32 v8, v3, s27
	s_delay_alu instid0(VALU_DEP_1) | instskip(NEXT) | instid1(VALU_DEP_1)
	v_sub_nc_u32_e32 v7, v7, v8
	v_mad_u32 v18, v7, s21, v10
	v_mad_u32 v2, v7, s20, v2
	;; [unrolled: 1-line block ×4, first 2 shown]
	s_cbranch_scc1 .LBB175_2135
; %bb.2136:
	s_bitcmp1_b32 s7, 0
	s_cselect_b32 s7, -1, 0
	s_delay_alu instid0(SALU_CYCLE_1)
	s_and_b32 vcc_lo, exec_lo, s7
	s_cbranch_vccnz .LBB175_2139
; %bb.2137:
	s_load_b96 s[16:18], s[4:5], 0x4
	s_load_b128 s[8:11], s[0:1], 0xe4
	s_wait_kmcnt 0x0
	v_mul_hi_u32 v7, s17, v3
	s_delay_alu instid0(VALU_DEP_1) | instskip(NEXT) | instid1(VALU_DEP_1)
	v_add_nc_u32_e32 v7, v3, v7
	v_lshrrev_b32_e32 v7, s18, v7
	s_delay_alu instid0(VALU_DEP_1) | instskip(NEXT) | instid1(VALU_DEP_1)
	v_mul_lo_u32 v7, v7, s16
	v_sub_nc_u32_e32 v3, v3, v7
	s_delay_alu instid0(VALU_DEP_1)
	v_mad_u32 v2, v3, s8, v2
	v_mad_u32 v18, v3, s9, v18
	;; [unrolled: 1-line block ×4, first 2 shown]
	s_and_not1_b32 vcc_lo, exec_lo, s6
	s_cbranch_vccz .LBB175_2140
	s_branch .LBB175_2143
.LBB175_2138:
	s_mov_b32 s6, -1
                                        ; implicit-def: $vgpr18
                                        ; implicit-def: $vgpr2
                                        ; implicit-def: $vgpr14
                                        ; implicit-def: $vgpr16
.LBB175_2139:
	s_delay_alu instid0(SALU_CYCLE_1)
	s_and_not1_b32 vcc_lo, exec_lo, s6
	s_cbranch_vccnz .LBB175_2143
.LBB175_2140:
	s_clause 0x1
	s_load_b96 s[8:10], s[2:3], 0x4
	s_load_b128 s[4:7], s[2:3], 0xc4
	s_cmp_lt_u32 s33, 2
	s_wait_kmcnt 0x0
	v_mul_hi_u32 v2, s9, v0
	s_delay_alu instid0(VALU_DEP_1) | instskip(NEXT) | instid1(VALU_DEP_1)
	v_add_nc_u32_e32 v2, v0, v2
	v_lshrrev_b32_e32 v3, s10, v2
	s_delay_alu instid0(VALU_DEP_1) | instskip(NEXT) | instid1(VALU_DEP_1)
	v_mul_lo_u32 v2, v3, s8
	v_sub_nc_u32_e32 v0, v0, v2
	s_delay_alu instid0(VALU_DEP_1)
	v_mul_lo_u32 v18, v0, s5
	v_mul_lo_u32 v2, v0, s4
	;; [unrolled: 1-line block ×4, first 2 shown]
	s_cbranch_scc1 .LBB175_2143
; %bb.2141:
	s_clause 0x1
	s_load_b96 s[8:10], s[2:3], 0x10
	s_load_b128 s[4:7], s[2:3], 0xd4
	s_wait_kmcnt 0x0
	v_mul_hi_u32 v0, s9, v3
	s_delay_alu instid0(VALU_DEP_1) | instskip(NEXT) | instid1(VALU_DEP_1)
	v_add_nc_u32_e32 v0, v3, v0
	v_lshrrev_b32_e32 v0, s10, v0
	s_delay_alu instid0(VALU_DEP_1) | instskip(NEXT) | instid1(VALU_DEP_1)
	v_mul_lo_u32 v0, v0, s8
	v_sub_nc_u32_e32 v0, v3, v0
	s_delay_alu instid0(VALU_DEP_1)
	v_mad_u32 v2, v0, s4, v2
	v_mad_u32 v18, v0, s5, v18
	;; [unrolled: 1-line block ×4, first 2 shown]
	s_branch .LBB175_2143
.LBB175_2142:
	v_dual_mov_b32 v18, 0 :: v_dual_mov_b32 v2, 0
	v_dual_mov_b32 v14, 0 :: v_dual_mov_b32 v16, 0
	s_and_not1_b32 vcc_lo, exec_lo, s6
	s_cbranch_vccz .LBB175_2140
.LBB175_2143:
	v_cmp_ne_u32_e32 vcc_lo, 1, v1
	s_cbranch_vccnz .LBB175_2149
; %bb.2144:
	s_cmp_lg_u32 s33, 0
	s_mov_b32 s6, 0
	s_cbranch_scc0 .LBB175_2153
; %bb.2145:
	s_min_u32 s7, s36, 15
	v_dual_mov_b32 v10, 0 :: v_dual_mov_b32 v1, v5
	v_dual_mov_b32 v8, 0 :: v_dual_mov_b32 v0, 0
	v_mov_b32_e32 v12, 0
	s_add_co_i32 s4, s7, 1
	s_mov_b64 s[0:1], 0xffffffffffffffe0
	s_and_b32 s8, s4, 30
	s_add_nc_u64 s[0:1], s[2:3], s[0:1]
	s_mov_b64 s[4:5], s[2:3]
.LBB175_2146:                           ; =>This Inner Loop Header: Depth=1
	s_clause 0x1
	s_load_b128 s[24:27], s[4:5], 0x4
	s_load_b64 s[10:11], s[4:5], 0x14
	s_load_b256 s[16:23], s[0:1], 0xe4
	s_add_co_i32 s8, s8, -2
	s_wait_xcnt 0x0
	s_add_nc_u64 s[4:5], s[4:5], 24
	s_cmp_lg_u32 s8, 0
	s_add_nc_u64 s[0:1], s[0:1], 32
	s_wait_kmcnt 0x0
	v_mul_hi_u32 v3, s25, v1
	s_delay_alu instid0(VALU_DEP_1) | instskip(NEXT) | instid1(VALU_DEP_1)
	v_add_nc_u32_e32 v3, v1, v3
	v_lshrrev_b32_e32 v3, s26, v3
	s_delay_alu instid0(VALU_DEP_1) | instskip(SKIP_1) | instid1(VALU_DEP_1)
	v_mul_hi_u32 v7, s10, v3
	v_mul_lo_u32 v9, v3, s24
	v_dual_add_nc_u32 v7, v3, v7 :: v_dual_sub_nc_u32 v9, v1, v9
	s_delay_alu instid0(VALU_DEP_1) | instskip(NEXT) | instid1(VALU_DEP_2)
	v_lshrrev_b32_e32 v1, s11, v7
	v_mad_u32 v11, v9, s17, v12
	v_mad_u32 v0, v9, s16, v0
	;; [unrolled: 1-line block ×4, first 2 shown]
	v_mul_lo_u32 v7, v1, s27
	s_delay_alu instid0(VALU_DEP_1) | instskip(NEXT) | instid1(VALU_DEP_1)
	v_sub_nc_u32_e32 v3, v3, v7
	v_mad_u32 v12, v3, s21, v11
	v_mad_u32 v0, v3, s20, v0
	;; [unrolled: 1-line block ×4, first 2 shown]
	s_cbranch_scc1 .LBB175_2146
; %bb.2147:
	s_bitcmp1_b32 s7, 0
	s_cselect_b32 s7, -1, 0
	s_delay_alu instid0(SALU_CYCLE_1)
	s_and_b32 vcc_lo, exec_lo, s7
	s_cbranch_vccnz .LBB175_2150
; %bb.2148:
	s_load_b96 s[16:18], s[4:5], 0x4
	s_load_b128 s[8:11], s[0:1], 0xe4
	s_wait_kmcnt 0x0
	v_mul_hi_u32 v3, s17, v1
	s_delay_alu instid0(VALU_DEP_1) | instskip(NEXT) | instid1(VALU_DEP_1)
	v_add_nc_u32_e32 v3, v1, v3
	v_lshrrev_b32_e32 v3, s18, v3
	s_delay_alu instid0(VALU_DEP_1) | instskip(NEXT) | instid1(VALU_DEP_1)
	v_mul_lo_u32 v3, v3, s16
	v_sub_nc_u32_e32 v1, v1, v3
	s_delay_alu instid0(VALU_DEP_1)
	v_mad_u32 v0, v1, s8, v0
	v_mad_u32 v12, v1, s9, v12
	;; [unrolled: 1-line block ×4, first 2 shown]
	s_and_not1_b32 vcc_lo, exec_lo, s6
	s_cbranch_vccz .LBB175_2151
	s_branch .LBB175_2154
.LBB175_2149:
	s_mov_b32 s6, -1
                                        ; implicit-def: $vgpr12
                                        ; implicit-def: $vgpr0
                                        ; implicit-def: $vgpr8
                                        ; implicit-def: $vgpr10
.LBB175_2150:
	s_delay_alu instid0(SALU_CYCLE_1)
	s_and_not1_b32 vcc_lo, exec_lo, s6
	s_cbranch_vccnz .LBB175_2154
.LBB175_2151:
	s_clause 0x1
	s_load_b96 s[8:10], s[2:3], 0x4
	s_load_b128 s[4:7], s[2:3], 0xc4
	s_cmp_lt_u32 s33, 2
	s_wait_kmcnt 0x0
	v_mul_hi_u32 v0, s9, v5
	s_delay_alu instid0(VALU_DEP_1) | instskip(NEXT) | instid1(VALU_DEP_1)
	v_add_nc_u32_e32 v0, v5, v0
	v_lshrrev_b32_e32 v1, s10, v0
	s_delay_alu instid0(VALU_DEP_1) | instskip(NEXT) | instid1(VALU_DEP_1)
	v_mul_lo_u32 v0, v1, s8
	v_sub_nc_u32_e32 v3, v5, v0
	s_delay_alu instid0(VALU_DEP_1)
	v_mul_lo_u32 v12, v3, s5
	v_mul_lo_u32 v0, v3, s4
	;; [unrolled: 1-line block ×4, first 2 shown]
	s_cbranch_scc1 .LBB175_2154
; %bb.2152:
	s_clause 0x1
	s_load_b96 s[8:10], s[2:3], 0x10
	s_load_b128 s[4:7], s[2:3], 0xd4
	s_wait_kmcnt 0x0
	v_mul_hi_u32 v3, s9, v1
	s_delay_alu instid0(VALU_DEP_1) | instskip(NEXT) | instid1(VALU_DEP_1)
	v_add_nc_u32_e32 v3, v1, v3
	v_lshrrev_b32_e32 v3, s10, v3
	s_delay_alu instid0(VALU_DEP_1) | instskip(NEXT) | instid1(VALU_DEP_1)
	v_mul_lo_u32 v3, v3, s8
	v_sub_nc_u32_e32 v1, v1, v3
	s_delay_alu instid0(VALU_DEP_1)
	v_mad_u32 v0, v1, s4, v0
	v_mad_u32 v12, v1, s5, v12
	;; [unrolled: 1-line block ×4, first 2 shown]
	s_branch .LBB175_2154
.LBB175_2153:
	v_dual_mov_b32 v12, 0 :: v_dual_mov_b32 v0, 0
	v_dual_mov_b32 v8, 0 :: v_dual_mov_b32 v10, 0
	s_and_not1_b32 vcc_lo, exec_lo, s6
	s_cbranch_vccz .LBB175_2151
.LBB175_2154:
	s_clause 0x1
	s_load_b64 s[0:1], s[2:3], 0x1e8
	s_load_b128 s[4:7], s[2:3], 0x1c8
	v_mov_b32_e32 v31, 0
	s_wait_kmcnt 0x0
	s_pack_hl_b32_b16 s14, s0, s1
	s_delay_alu instid0(VALU_DEP_1) | instskip(SKIP_1) | instid1(SALU_CYCLE_1)
	v_add_nc_u64_e32 v[30:31], s[6:7], v[30:31]
	s_lshr_b32 s15, s14, 24
	s_cmp_lt_i32 s15, 11
	s_cbranch_scc1 .LBB175_2161
; %bb.2155:
	s_and_b32 s1, 0xffff, s15
	s_mov_b32 s9, 0
	s_cmp_gt_i32 s1, 25
	s_cbranch_scc0 .LBB175_2163
; %bb.2156:
	s_cmp_gt_i32 s1, 28
	s_cbranch_scc0 .LBB175_2164
; %bb.2157:
	;; [unrolled: 3-line block ×4, first 2 shown]
	s_cmp_eq_u32 s1, 46
	s_mov_b32 s11, 0
	s_cbranch_scc0 .LBB175_2169
; %bb.2160:
	global_load_b32 v1, v[30:31], off
	s_mov_b32 s8, 0
	s_mov_b32 s10, -1
	s_branch .LBB175_2171
.LBB175_2161:
	s_mov_b32 s10, 0
	s_mov_b32 s1, s12
                                        ; implicit-def: $vgpr1
	s_cbranch_execnz .LBB175_2234
.LBB175_2162:
	s_and_not1_b32 vcc_lo, exec_lo, s10
	s_cbranch_vccz .LBB175_2279
	s_branch .LBB175_4155
.LBB175_2163:
	s_mov_b32 s10, 0
	s_mov_b32 s8, 0
                                        ; implicit-def: $vgpr1
	s_cbranch_execnz .LBB175_2199
	s_branch .LBB175_2230
.LBB175_2164:
	s_mov_b32 s11, -1
	s_mov_b32 s10, 0
	s_mov_b32 s8, 0
                                        ; implicit-def: $vgpr1
	s_branch .LBB175_2180
.LBB175_2165:
	s_mov_b32 s10, 0
	s_mov_b32 s8, 0
                                        ; implicit-def: $vgpr1
	s_cbranch_execnz .LBB175_2176
	s_branch .LBB175_2179
.LBB175_2166:
	s_mov_b32 s11, -1
	s_mov_b32 s10, 0
	s_mov_b32 s8, 0
	s_branch .LBB175_2170
.LBB175_2167:
	s_and_not1_saveexec_b32 s9, s9
	s_cbranch_execz .LBB175_2022
.LBB175_2168:
	v_add_f32_e64 v3, 0x46000000, |v5|
	s_and_not1_b32 s5, s5, exec_lo
	s_delay_alu instid0(VALU_DEP_1) | instskip(NEXT) | instid1(VALU_DEP_1)
	v_and_b32_e32 v3, 0xff, v3
	v_cmp_ne_u32_e32 vcc_lo, 0, v3
	s_and_b32 s10, vcc_lo, exec_lo
	s_delay_alu instid0(SALU_CYCLE_1)
	s_or_b32 s5, s5, s10
	s_or_b32 exec_lo, exec_lo, s9
	v_mov_b32_e32 v6, 0
	s_and_saveexec_b32 s9, s5
	s_cbranch_execnz .LBB175_2023
	s_branch .LBB175_2024
.LBB175_2169:
	s_mov_b32 s8, -1
	s_mov_b32 s10, 0
.LBB175_2170:
                                        ; implicit-def: $vgpr1
.LBB175_2171:
	s_and_b32 vcc_lo, exec_lo, s11
	s_cbranch_vccz .LBB175_2174
; %bb.2172:
	s_cmp_eq_u32 s1, 44
	s_cbranch_scc0 .LBB175_2175
; %bb.2173:
	s_wait_loadcnt 0x0
	global_load_u8 v1, v[30:31], off
	s_mov_b32 s8, 0
	s_mov_b32 s10, -1
	s_wait_loadcnt 0x0
	v_lshlrev_b32_e32 v3, 23, v1
	v_cmp_ne_u32_e32 vcc_lo, 0xff, v1
	s_delay_alu instid0(VALU_DEP_2) | instskip(SKIP_1) | instid1(VALU_DEP_2)
	v_cndmask_b32_e32 v3, 0x7f800001, v3, vcc_lo
	v_cmp_ne_u32_e32 vcc_lo, 0, v1
	v_cndmask_b32_e32 v1, 0x400000, v3, vcc_lo
	s_delay_alu instid0(VALU_DEP_1) | instskip(SKIP_1) | instid1(VALU_DEP_2)
	v_add_nc_u32_e32 v3, 0x7fff, v1
	v_cmp_o_f32_e32 vcc_lo, v1, v1
	v_lshrrev_b32_e32 v3, 16, v3
	s_delay_alu instid0(VALU_DEP_1)
	v_cndmask_b32_e32 v1, 0x7fc0, v3, vcc_lo
.LBB175_2174:
	s_branch .LBB175_2179
.LBB175_2175:
	s_mov_b32 s8, -1
                                        ; implicit-def: $vgpr1
	s_branch .LBB175_2179
.LBB175_2176:
	s_cmp_eq_u32 s1, 29
	s_cbranch_scc0 .LBB175_2178
; %bb.2177:
	global_load_b64 v[32:33], v[30:31], off
	s_mov_b32 s8, 0
	s_mov_b32 s10, -1
	s_mov_b32 s11, 0
	s_wait_loadcnt 0x0
	v_clz_i32_u32_e32 v1, v33
	s_delay_alu instid0(VALU_DEP_1) | instskip(NEXT) | instid1(VALU_DEP_1)
	v_min_u32_e32 v1, 32, v1
	v_lshlrev_b64_e32 v[32:33], v1, v[32:33]
	v_sub_nc_u32_e32 v1, 32, v1
	s_delay_alu instid0(VALU_DEP_2) | instskip(NEXT) | instid1(VALU_DEP_1)
	v_min_u32_e32 v3, 1, v32
	v_or_b32_e32 v3, v33, v3
	s_delay_alu instid0(VALU_DEP_1) | instskip(NEXT) | instid1(VALU_DEP_1)
	v_cvt_f32_u32_e32 v3, v3
	v_ldexp_f32 v1, v3, v1
	s_delay_alu instid0(VALU_DEP_1) | instskip(NEXT) | instid1(VALU_DEP_1)
	v_bfe_u32 v3, v1, 16, 1
	v_add3_u32 v1, v1, v3, 0x7fff
	s_delay_alu instid0(VALU_DEP_1)
	v_lshrrev_b32_e32 v1, 16, v1
	s_branch .LBB175_2180
.LBB175_2178:
	s_mov_b32 s8, -1
                                        ; implicit-def: $vgpr1
.LBB175_2179:
	s_mov_b32 s11, 0
.LBB175_2180:
	s_delay_alu instid0(SALU_CYCLE_1)
	s_and_b32 vcc_lo, exec_lo, s11
	s_cbranch_vccz .LBB175_2198
; %bb.2181:
	s_cmp_lt_i32 s1, 27
	s_cbranch_scc1 .LBB175_2184
; %bb.2182:
	s_cmp_gt_i32 s1, 27
	s_cbranch_scc0 .LBB175_2185
; %bb.2183:
	s_wait_loadcnt 0x0
	global_load_b32 v1, v[30:31], off
	s_mov_b32 s10, 0
	s_wait_loadcnt 0x0
	v_cvt_f32_u32_e32 v1, v1
	s_delay_alu instid0(VALU_DEP_1) | instskip(NEXT) | instid1(VALU_DEP_1)
	v_bfe_u32 v3, v1, 16, 1
	v_add3_u32 v1, v1, v3, 0x7fff
	s_delay_alu instid0(VALU_DEP_1)
	v_lshrrev_b32_e32 v1, 16, v1
	s_branch .LBB175_2186
.LBB175_2184:
	s_mov_b32 s10, -1
                                        ; implicit-def: $vgpr1
	s_branch .LBB175_2189
.LBB175_2185:
	s_mov_b32 s10, -1
                                        ; implicit-def: $vgpr1
.LBB175_2186:
	s_delay_alu instid0(SALU_CYCLE_1)
	s_and_not1_b32 vcc_lo, exec_lo, s10
	s_cbranch_vccnz .LBB175_2188
; %bb.2187:
	s_wait_loadcnt 0x0
	global_load_u16 v1, v[30:31], off
	s_wait_loadcnt 0x0
	v_cvt_f32_u32_e32 v1, v1
	s_delay_alu instid0(VALU_DEP_1) | instskip(NEXT) | instid1(VALU_DEP_1)
	v_bfe_u32 v3, v1, 16, 1
	v_add3_u32 v1, v1, v3, 0x7fff
	s_delay_alu instid0(VALU_DEP_1)
	v_lshrrev_b32_e32 v1, 16, v1
.LBB175_2188:
	s_mov_b32 s10, 0
.LBB175_2189:
	s_delay_alu instid0(SALU_CYCLE_1)
	s_and_not1_b32 vcc_lo, exec_lo, s10
	s_cbranch_vccnz .LBB175_2197
; %bb.2190:
	s_wait_loadcnt 0x0
	global_load_u8 v1, v[30:31], off
	s_mov_b32 s10, 0
	s_mov_b32 s11, exec_lo
	s_wait_loadcnt 0x0
	v_cmpx_lt_i16_e32 0x7f, v1
	s_xor_b32 s11, exec_lo, s11
	s_cbranch_execz .LBB175_2210
; %bb.2191:
	s_mov_b32 s10, -1
	s_mov_b32 s16, exec_lo
	v_cmpx_eq_u16_e32 0x80, v1
; %bb.2192:
	s_xor_b32 s10, exec_lo, -1
; %bb.2193:
	s_or_b32 exec_lo, exec_lo, s16
	s_delay_alu instid0(SALU_CYCLE_1)
	s_and_b32 s10, s10, exec_lo
	s_or_saveexec_b32 s11, s11
	v_mov_b32_e32 v3, 0x7f800001
	s_xor_b32 exec_lo, exec_lo, s11
	s_cbranch_execnz .LBB175_2211
.LBB175_2194:
	s_or_b32 exec_lo, exec_lo, s11
	s_and_saveexec_b32 s11, s10
	s_cbranch_execz .LBB175_2196
.LBB175_2195:
	v_and_b32_e32 v3, 0xffff, v1
	s_delay_alu instid0(VALU_DEP_1) | instskip(SKIP_1) | instid1(VALU_DEP_2)
	v_dual_lshlrev_b32 v1, 24, v1 :: v_dual_bitop2_b32 v5, 7, v3 bitop3:0x40
	v_bfe_u32 v11, v3, 3, 4
	v_and_b32_e32 v1, 0x80000000, v1
	s_delay_alu instid0(VALU_DEP_3) | instskip(NEXT) | instid1(VALU_DEP_3)
	v_clz_i32_u32_e32 v7, v5
	v_cmp_eq_u32_e32 vcc_lo, 0, v11
	s_delay_alu instid0(VALU_DEP_2) | instskip(NEXT) | instid1(VALU_DEP_1)
	v_min_u32_e32 v7, 32, v7
	v_subrev_nc_u32_e32 v9, 28, v7
	v_sub_nc_u32_e32 v7, 29, v7
	s_delay_alu instid0(VALU_DEP_2) | instskip(NEXT) | instid1(VALU_DEP_2)
	v_lshlrev_b32_e32 v3, v9, v3
	v_cndmask_b32_e32 v7, v11, v7, vcc_lo
	s_delay_alu instid0(VALU_DEP_2) | instskip(NEXT) | instid1(VALU_DEP_1)
	v_and_b32_e32 v3, 7, v3
	v_cndmask_b32_e32 v3, v5, v3, vcc_lo
	s_delay_alu instid0(VALU_DEP_3) | instskip(NEXT) | instid1(VALU_DEP_2)
	v_lshl_add_u32 v5, v7, 23, 0x3b800000
	v_lshlrev_b32_e32 v3, 20, v3
	s_delay_alu instid0(VALU_DEP_1)
	v_or3_b32 v3, v1, v5, v3
.LBB175_2196:
	s_or_b32 exec_lo, exec_lo, s11
	s_delay_alu instid0(VALU_DEP_1) | instskip(SKIP_1) | instid1(VALU_DEP_2)
	v_bfe_u32 v1, v3, 16, 1
	v_cmp_o_f32_e32 vcc_lo, v3, v3
	v_add3_u32 v1, v3, v1, 0x7fff
	s_delay_alu instid0(VALU_DEP_1) | instskip(NEXT) | instid1(VALU_DEP_1)
	v_lshrrev_b32_e32 v1, 16, v1
	v_cndmask_b32_e32 v1, 0x7fc0, v1, vcc_lo
.LBB175_2197:
	s_mov_b32 s10, -1
.LBB175_2198:
	s_branch .LBB175_2230
.LBB175_2199:
	s_cmp_gt_i32 s1, 22
	s_cbranch_scc0 .LBB175_2209
; %bb.2200:
	s_cmp_lt_i32 s1, 24
	s_cbranch_scc1 .LBB175_2212
; %bb.2201:
	s_cmp_gt_i32 s1, 24
	s_cbranch_scc0 .LBB175_2213
; %bb.2202:
	s_wait_loadcnt 0x0
	global_load_u8 v1, v[30:31], off
	s_mov_b32 s10, exec_lo
	s_wait_loadcnt 0x0
	v_cmpx_lt_i16_e32 0x7f, v1
	s_xor_b32 s10, exec_lo, s10
	s_cbranch_execz .LBB175_2224
; %bb.2203:
	s_mov_b32 s9, -1
	s_mov_b32 s11, exec_lo
	v_cmpx_eq_u16_e32 0x80, v1
; %bb.2204:
	s_xor_b32 s9, exec_lo, -1
; %bb.2205:
	s_or_b32 exec_lo, exec_lo, s11
	s_delay_alu instid0(SALU_CYCLE_1)
	s_and_b32 s9, s9, exec_lo
	s_or_saveexec_b32 s10, s10
	v_mov_b32_e32 v3, 0x7f800001
	s_xor_b32 exec_lo, exec_lo, s10
	s_cbranch_execnz .LBB175_2225
.LBB175_2206:
	s_or_b32 exec_lo, exec_lo, s10
	s_and_saveexec_b32 s10, s9
	s_cbranch_execz .LBB175_2208
.LBB175_2207:
	v_and_b32_e32 v3, 0xffff, v1
	s_delay_alu instid0(VALU_DEP_1) | instskip(SKIP_1) | instid1(VALU_DEP_2)
	v_dual_lshlrev_b32 v1, 24, v1 :: v_dual_bitop2_b32 v5, 3, v3 bitop3:0x40
	v_bfe_u32 v11, v3, 2, 5
	v_and_b32_e32 v1, 0x80000000, v1
	s_delay_alu instid0(VALU_DEP_3) | instskip(NEXT) | instid1(VALU_DEP_3)
	v_clz_i32_u32_e32 v7, v5
	v_cmp_eq_u32_e32 vcc_lo, 0, v11
	s_delay_alu instid0(VALU_DEP_2) | instskip(NEXT) | instid1(VALU_DEP_1)
	v_min_u32_e32 v7, 32, v7
	v_subrev_nc_u32_e32 v9, 29, v7
	v_sub_nc_u32_e32 v7, 30, v7
	s_delay_alu instid0(VALU_DEP_2) | instskip(NEXT) | instid1(VALU_DEP_2)
	v_lshlrev_b32_e32 v3, v9, v3
	v_cndmask_b32_e32 v7, v11, v7, vcc_lo
	s_delay_alu instid0(VALU_DEP_2) | instskip(NEXT) | instid1(VALU_DEP_1)
	v_and_b32_e32 v3, 3, v3
	v_cndmask_b32_e32 v3, v5, v3, vcc_lo
	s_delay_alu instid0(VALU_DEP_3) | instskip(NEXT) | instid1(VALU_DEP_2)
	v_lshl_add_u32 v5, v7, 23, 0x37800000
	v_lshlrev_b32_e32 v3, 21, v3
	s_delay_alu instid0(VALU_DEP_1)
	v_or3_b32 v3, v1, v5, v3
.LBB175_2208:
	s_or_b32 exec_lo, exec_lo, s10
	s_delay_alu instid0(VALU_DEP_1) | instskip(SKIP_2) | instid1(VALU_DEP_2)
	v_bfe_u32 v1, v3, 16, 1
	v_cmp_o_f32_e32 vcc_lo, v3, v3
	s_mov_b32 s9, 0
	v_add3_u32 v1, v3, v1, 0x7fff
	s_delay_alu instid0(VALU_DEP_1) | instskip(NEXT) | instid1(VALU_DEP_1)
	v_lshrrev_b32_e32 v1, 16, v1
	v_cndmask_b32_e32 v1, 0x7fc0, v1, vcc_lo
	s_branch .LBB175_2214
.LBB175_2209:
                                        ; implicit-def: $vgpr1
	s_mov_b32 s9, 0
	s_branch .LBB175_2220
.LBB175_2210:
	s_or_saveexec_b32 s11, s11
	v_mov_b32_e32 v3, 0x7f800001
	s_xor_b32 exec_lo, exec_lo, s11
	s_cbranch_execz .LBB175_2194
.LBB175_2211:
	v_cmp_ne_u16_e32 vcc_lo, 0, v1
	v_mov_b32_e32 v3, 0
	s_and_not1_b32 s10, s10, exec_lo
	s_and_b32 s16, vcc_lo, exec_lo
	s_delay_alu instid0(SALU_CYCLE_1)
	s_or_b32 s10, s10, s16
	s_or_b32 exec_lo, exec_lo, s11
	s_and_saveexec_b32 s11, s10
	s_cbranch_execnz .LBB175_2195
	s_branch .LBB175_2196
.LBB175_2212:
	s_mov_b32 s9, -1
                                        ; implicit-def: $vgpr1
	s_branch .LBB175_2217
.LBB175_2213:
	s_mov_b32 s9, -1
                                        ; implicit-def: $vgpr1
.LBB175_2214:
	s_delay_alu instid0(SALU_CYCLE_1)
	s_and_b32 vcc_lo, exec_lo, s9
	s_cbranch_vccz .LBB175_2216
; %bb.2215:
	s_wait_loadcnt 0x0
	global_load_u8 v1, v[30:31], off
	s_wait_loadcnt 0x0
	v_lshlrev_b32_e32 v1, 24, v1
	s_delay_alu instid0(VALU_DEP_1) | instskip(NEXT) | instid1(VALU_DEP_1)
	v_and_b32_e32 v3, 0x7f000000, v1
	v_clz_i32_u32_e32 v5, v3
	v_add_nc_u32_e32 v9, 0x1000000, v3
	v_cmp_ne_u32_e32 vcc_lo, 0, v3
	s_delay_alu instid0(VALU_DEP_3) | instskip(NEXT) | instid1(VALU_DEP_1)
	v_min_u32_e32 v5, 32, v5
	v_sub_nc_u32_e64 v5, v5, 4 clamp
	s_delay_alu instid0(VALU_DEP_1) | instskip(NEXT) | instid1(VALU_DEP_1)
	v_dual_lshlrev_b32 v7, v5, v3 :: v_dual_lshlrev_b32 v5, 23, v5
	v_lshrrev_b32_e32 v7, 4, v7
	s_delay_alu instid0(VALU_DEP_1) | instskip(SKIP_1) | instid1(VALU_DEP_2)
	v_sub_nc_u32_e32 v5, v7, v5
	v_ashrrev_i32_e32 v7, 8, v9
	v_add_nc_u32_e32 v5, 0x3c000000, v5
	s_delay_alu instid0(VALU_DEP_1) | instskip(NEXT) | instid1(VALU_DEP_1)
	v_and_or_b32 v5, 0x7f800000, v7, v5
	v_cndmask_b32_e32 v3, 0, v5, vcc_lo
	s_delay_alu instid0(VALU_DEP_1) | instskip(SKIP_1) | instid1(VALU_DEP_2)
	v_and_or_b32 v1, 0x80000000, v1, v3
	v_bfe_u32 v3, v3, 16, 1
	v_cmp_o_f32_e32 vcc_lo, v1, v1
	s_delay_alu instid0(VALU_DEP_2) | instskip(NEXT) | instid1(VALU_DEP_1)
	v_add3_u32 v3, v1, v3, 0x7fff
	v_lshrrev_b32_e32 v3, 16, v3
	s_delay_alu instid0(VALU_DEP_1)
	v_cndmask_b32_e32 v1, 0x7fc0, v3, vcc_lo
.LBB175_2216:
	s_mov_b32 s9, 0
.LBB175_2217:
	s_delay_alu instid0(SALU_CYCLE_1)
	s_and_not1_b32 vcc_lo, exec_lo, s9
	s_cbranch_vccnz .LBB175_2219
; %bb.2218:
	s_wait_loadcnt 0x0
	global_load_u8 v1, v[30:31], off
	s_wait_loadcnt 0x0
	v_lshlrev_b32_e32 v3, 25, v1
	v_lshlrev_b16 v1, 8, v1
	s_delay_alu instid0(VALU_DEP_1) | instskip(SKIP_1) | instid1(VALU_DEP_2)
	v_and_or_b32 v7, 0x7f00, v1, 0.5
	v_bfe_i32 v1, v1, 0, 16
	v_add_f32_e32 v7, -0.5, v7
	v_lshrrev_b32_e32 v5, 4, v3
	v_cmp_gt_u32_e32 vcc_lo, 0x8000000, v3
	s_delay_alu instid0(VALU_DEP_2) | instskip(NEXT) | instid1(VALU_DEP_1)
	v_or_b32_e32 v5, 0x70000000, v5
	v_mul_f32_e32 v5, 0x7800000, v5
	s_delay_alu instid0(VALU_DEP_1) | instskip(NEXT) | instid1(VALU_DEP_1)
	v_cndmask_b32_e32 v3, v5, v7, vcc_lo
	v_and_or_b32 v1, 0x80000000, v1, v3
	v_bfe_u32 v3, v3, 16, 1
	s_delay_alu instid0(VALU_DEP_2) | instskip(NEXT) | instid1(VALU_DEP_2)
	v_cmp_o_f32_e32 vcc_lo, v1, v1
	v_add3_u32 v3, v1, v3, 0x7fff
	s_delay_alu instid0(VALU_DEP_1) | instskip(NEXT) | instid1(VALU_DEP_1)
	v_lshrrev_b32_e32 v3, 16, v3
	v_cndmask_b32_e32 v1, 0x7fc0, v3, vcc_lo
.LBB175_2219:
	s_mov_b32 s10, -1
	s_mov_b32 s9, 0
	s_cbranch_execnz .LBB175_2230
.LBB175_2220:
	s_cmp_gt_i32 s1, 14
	s_cbranch_scc0 .LBB175_2223
; %bb.2221:
	s_cmp_eq_u32 s1, 15
	s_cbranch_scc0 .LBB175_2226
; %bb.2222:
	s_wait_loadcnt 0x0
	global_load_u16 v1, v[30:31], off
	s_mov_b32 s8, 0
	s_mov_b32 s10, -1
	s_branch .LBB175_2228
.LBB175_2223:
	s_mov_b32 s9, -1
	s_branch .LBB175_2227
.LBB175_2224:
	s_or_saveexec_b32 s10, s10
	v_mov_b32_e32 v3, 0x7f800001
	s_xor_b32 exec_lo, exec_lo, s10
	s_cbranch_execz .LBB175_2206
.LBB175_2225:
	v_cmp_ne_u16_e32 vcc_lo, 0, v1
	v_mov_b32_e32 v3, 0
	s_and_not1_b32 s9, s9, exec_lo
	s_and_b32 s11, vcc_lo, exec_lo
	s_delay_alu instid0(SALU_CYCLE_1)
	s_or_b32 s9, s9, s11
	s_or_b32 exec_lo, exec_lo, s10
	s_and_saveexec_b32 s10, s9
	s_cbranch_execnz .LBB175_2207
	s_branch .LBB175_2208
.LBB175_2226:
	s_mov_b32 s8, -1
.LBB175_2227:
                                        ; implicit-def: $vgpr1
.LBB175_2228:
	s_and_b32 vcc_lo, exec_lo, s9
	s_mov_b32 s9, 0
	s_cbranch_vccz .LBB175_2230
; %bb.2229:
	s_cmp_lg_u32 s1, 11
	s_mov_b32 s9, -1
	s_cselect_b32 s8, -1, 0
.LBB175_2230:
	s_delay_alu instid0(SALU_CYCLE_1)
	s_and_b32 vcc_lo, exec_lo, s8
	s_mov_b32 s1, s12
	s_cbranch_vccnz .LBB175_2291
; %bb.2231:
	s_and_not1_b32 vcc_lo, exec_lo, s9
	s_cbranch_vccnz .LBB175_2233
.LBB175_2232:
	s_wait_loadcnt 0x0
	global_load_u8 v1, v[30:31], off
	s_mov_b32 s10, -1
	s_wait_loadcnt 0x0
	v_cmp_ne_u16_e32 vcc_lo, 0, v1
	v_cndmask_b32_e64 v1, 0, 1.0, vcc_lo
	s_delay_alu instid0(VALU_DEP_1)
	v_lshrrev_b32_e32 v1, 16, v1
.LBB175_2233:
	s_branch .LBB175_2162
.LBB175_2234:
	s_and_b32 s8, 0xffff, s15
	s_delay_alu instid0(SALU_CYCLE_1)
	s_cmp_lt_i32 s8, 5
	s_cbranch_scc1 .LBB175_2239
; %bb.2235:
	s_cmp_lt_i32 s8, 8
	s_cbranch_scc1 .LBB175_2240
; %bb.2236:
	;; [unrolled: 3-line block ×3, first 2 shown]
	s_cmp_gt_i32 s8, 9
	s_cbranch_scc0 .LBB175_2242
; %bb.2238:
	global_load_b64 v[32:33], v[30:31], off
	s_mov_b32 s9, 0
	s_wait_loadcnt 0x0
	v_cvt_f32_f64_e32 v1, v[32:33]
	s_delay_alu instid0(VALU_DEP_1) | instskip(SKIP_1) | instid1(VALU_DEP_2)
	v_bfe_u32 v3, v1, 16, 1
	v_cmp_o_f32_e32 vcc_lo, v1, v1
	v_add3_u32 v3, v1, v3, 0x7fff
	s_delay_alu instid0(VALU_DEP_1) | instskip(NEXT) | instid1(VALU_DEP_1)
	v_lshrrev_b32_e32 v3, 16, v3
	v_cndmask_b32_e32 v1, 0x7fc0, v3, vcc_lo
	s_branch .LBB175_2243
.LBB175_2239:
                                        ; implicit-def: $vgpr1
	s_branch .LBB175_2260
.LBB175_2240:
                                        ; implicit-def: $vgpr1
	s_branch .LBB175_2249
.LBB175_2241:
	s_mov_b32 s9, -1
                                        ; implicit-def: $vgpr1
	s_branch .LBB175_2246
.LBB175_2242:
	s_mov_b32 s9, -1
                                        ; implicit-def: $vgpr1
.LBB175_2243:
	s_delay_alu instid0(SALU_CYCLE_1)
	s_and_not1_b32 vcc_lo, exec_lo, s9
	s_cbranch_vccnz .LBB175_2245
; %bb.2244:
	s_wait_loadcnt 0x0
	global_load_b32 v1, v[30:31], off
	s_wait_loadcnt 0x0
	v_bfe_u32 v3, v1, 16, 1
	v_cmp_o_f32_e32 vcc_lo, v1, v1
	s_delay_alu instid0(VALU_DEP_2) | instskip(NEXT) | instid1(VALU_DEP_1)
	v_add3_u32 v3, v1, v3, 0x7fff
	v_lshrrev_b32_e32 v3, 16, v3
	s_delay_alu instid0(VALU_DEP_1)
	v_cndmask_b32_e32 v1, 0x7fc0, v3, vcc_lo
.LBB175_2245:
	s_mov_b32 s9, 0
.LBB175_2246:
	s_delay_alu instid0(SALU_CYCLE_1)
	s_and_not1_b32 vcc_lo, exec_lo, s9
	s_cbranch_vccnz .LBB175_2248
; %bb.2247:
	s_wait_loadcnt 0x0
	global_load_b32 v1, v[30:31], off
	s_wait_loadcnt 0x0
	v_cvt_f32_f16_e32 v3, v1
	v_cmp_o_f16_e32 vcc_lo, v1, v1
	s_delay_alu instid0(VALU_DEP_2) | instskip(NEXT) | instid1(VALU_DEP_1)
	v_bfe_u32 v5, v3, 16, 1
	v_add3_u32 v3, v3, v5, 0x7fff
	s_delay_alu instid0(VALU_DEP_1) | instskip(NEXT) | instid1(VALU_DEP_1)
	v_lshrrev_b32_e32 v3, 16, v3
	v_cndmask_b32_e32 v1, 0x7fc0, v3, vcc_lo
.LBB175_2248:
	s_cbranch_execnz .LBB175_2259
.LBB175_2249:
	s_cmp_lt_i32 s8, 6
	s_cbranch_scc1 .LBB175_2252
; %bb.2250:
	s_cmp_gt_i32 s8, 6
	s_cbranch_scc0 .LBB175_2253
; %bb.2251:
	global_load_b64 v[32:33], v[30:31], off
	s_mov_b32 s9, 0
	s_wait_loadcnt 0x0
	v_cvt_f32_f64_e32 v1, v[32:33]
	s_delay_alu instid0(VALU_DEP_1) | instskip(SKIP_1) | instid1(VALU_DEP_2)
	v_bfe_u32 v3, v1, 16, 1
	v_cmp_o_f32_e32 vcc_lo, v1, v1
	v_add3_u32 v3, v1, v3, 0x7fff
	s_delay_alu instid0(VALU_DEP_1) | instskip(NEXT) | instid1(VALU_DEP_1)
	v_lshrrev_b32_e32 v3, 16, v3
	v_cndmask_b32_e32 v1, 0x7fc0, v3, vcc_lo
	s_branch .LBB175_2254
.LBB175_2252:
	s_mov_b32 s9, -1
                                        ; implicit-def: $vgpr1
	s_branch .LBB175_2257
.LBB175_2253:
	s_mov_b32 s9, -1
                                        ; implicit-def: $vgpr1
.LBB175_2254:
	s_delay_alu instid0(SALU_CYCLE_1)
	s_and_not1_b32 vcc_lo, exec_lo, s9
	s_cbranch_vccnz .LBB175_2256
; %bb.2255:
	s_wait_loadcnt 0x0
	global_load_b32 v1, v[30:31], off
	s_wait_loadcnt 0x0
	v_bfe_u32 v3, v1, 16, 1
	v_cmp_o_f32_e32 vcc_lo, v1, v1
	s_delay_alu instid0(VALU_DEP_2) | instskip(NEXT) | instid1(VALU_DEP_1)
	v_add3_u32 v3, v1, v3, 0x7fff
	v_lshrrev_b32_e32 v3, 16, v3
	s_delay_alu instid0(VALU_DEP_1)
	v_cndmask_b32_e32 v1, 0x7fc0, v3, vcc_lo
.LBB175_2256:
	s_mov_b32 s9, 0
.LBB175_2257:
	s_delay_alu instid0(SALU_CYCLE_1)
	s_and_not1_b32 vcc_lo, exec_lo, s9
	s_cbranch_vccnz .LBB175_2259
; %bb.2258:
	s_wait_loadcnt 0x0
	global_load_u16 v1, v[30:31], off
	s_wait_loadcnt 0x0
	v_cvt_f32_f16_e32 v3, v1
	v_cmp_o_f16_e32 vcc_lo, v1, v1
	s_delay_alu instid0(VALU_DEP_2) | instskip(NEXT) | instid1(VALU_DEP_1)
	v_bfe_u32 v5, v3, 16, 1
	v_add3_u32 v3, v3, v5, 0x7fff
	s_delay_alu instid0(VALU_DEP_1) | instskip(NEXT) | instid1(VALU_DEP_1)
	v_lshrrev_b32_e32 v3, 16, v3
	v_cndmask_b32_e32 v1, 0x7fc0, v3, vcc_lo
.LBB175_2259:
	s_cbranch_execnz .LBB175_2278
.LBB175_2260:
	s_cmp_lt_i32 s8, 2
	s_cbranch_scc1 .LBB175_2264
; %bb.2261:
	s_cmp_lt_i32 s8, 3
	s_cbranch_scc1 .LBB175_2265
; %bb.2262:
	s_cmp_gt_i32 s8, 3
	s_cbranch_scc0 .LBB175_2266
; %bb.2263:
	global_load_b64 v[32:33], v[30:31], off
	s_mov_b32 s9, 0
	s_wait_loadcnt 0x0
	v_xor_b32_e32 v1, v32, v33
	v_cls_i32_e32 v3, v33
	s_delay_alu instid0(VALU_DEP_2) | instskip(NEXT) | instid1(VALU_DEP_1)
	v_ashrrev_i32_e32 v1, 31, v1
	v_add_nc_u32_e32 v1, 32, v1
	s_delay_alu instid0(VALU_DEP_1) | instskip(NEXT) | instid1(VALU_DEP_1)
	v_add_min_u32_e64 v1, v3, -1, v1
	v_lshlrev_b64_e32 v[32:33], v1, v[32:33]
	v_sub_nc_u32_e32 v1, 32, v1
	s_delay_alu instid0(VALU_DEP_2) | instskip(NEXT) | instid1(VALU_DEP_1)
	v_min_u32_e32 v3, 1, v32
	v_or_b32_e32 v3, v33, v3
	s_delay_alu instid0(VALU_DEP_1) | instskip(NEXT) | instid1(VALU_DEP_1)
	v_cvt_f32_i32_e32 v3, v3
	v_ldexp_f32 v1, v3, v1
	s_delay_alu instid0(VALU_DEP_1) | instskip(NEXT) | instid1(VALU_DEP_1)
	v_bfe_u32 v3, v1, 16, 1
	v_add3_u32 v1, v1, v3, 0x7fff
	s_delay_alu instid0(VALU_DEP_1)
	v_lshrrev_b32_e32 v1, 16, v1
	s_branch .LBB175_2267
.LBB175_2264:
                                        ; implicit-def: $vgpr1
	s_branch .LBB175_2273
.LBB175_2265:
	s_mov_b32 s9, -1
                                        ; implicit-def: $vgpr1
	s_branch .LBB175_2270
.LBB175_2266:
	s_mov_b32 s9, -1
                                        ; implicit-def: $vgpr1
.LBB175_2267:
	s_delay_alu instid0(SALU_CYCLE_1)
	s_and_not1_b32 vcc_lo, exec_lo, s9
	s_cbranch_vccnz .LBB175_2269
; %bb.2268:
	s_wait_loadcnt 0x0
	global_load_b32 v1, v[30:31], off
	s_wait_loadcnt 0x0
	v_cvt_f32_i32_e32 v1, v1
	s_delay_alu instid0(VALU_DEP_1) | instskip(NEXT) | instid1(VALU_DEP_1)
	v_bfe_u32 v3, v1, 16, 1
	v_add3_u32 v1, v1, v3, 0x7fff
	s_delay_alu instid0(VALU_DEP_1)
	v_lshrrev_b32_e32 v1, 16, v1
.LBB175_2269:
	s_mov_b32 s9, 0
.LBB175_2270:
	s_delay_alu instid0(SALU_CYCLE_1)
	s_and_not1_b32 vcc_lo, exec_lo, s9
	s_cbranch_vccnz .LBB175_2272
; %bb.2271:
	s_wait_loadcnt 0x0
	global_load_i16 v1, v[30:31], off
	s_wait_loadcnt 0x0
	v_cvt_f32_i32_e32 v1, v1
	s_delay_alu instid0(VALU_DEP_1) | instskip(NEXT) | instid1(VALU_DEP_1)
	v_bfe_u32 v3, v1, 16, 1
	v_add3_u32 v1, v1, v3, 0x7fff
	s_delay_alu instid0(VALU_DEP_1)
	v_lshrrev_b32_e32 v1, 16, v1
.LBB175_2272:
	s_cbranch_execnz .LBB175_2278
.LBB175_2273:
	s_cmp_gt_i32 s8, 0
	s_mov_b32 s8, 0
	s_cbranch_scc0 .LBB175_2275
; %bb.2274:
	s_wait_loadcnt 0x0
	global_load_i8 v1, v[30:31], off
	s_wait_loadcnt 0x0
	v_cvt_f32_i32_e32 v1, v1
	s_delay_alu instid0(VALU_DEP_1) | instskip(NEXT) | instid1(VALU_DEP_1)
	v_bfe_u32 v3, v1, 16, 1
	v_add3_u32 v1, v1, v3, 0x7fff
	s_delay_alu instid0(VALU_DEP_1)
	v_lshrrev_b32_e32 v1, 16, v1
	s_branch .LBB175_2276
.LBB175_2275:
	s_mov_b32 s8, -1
                                        ; implicit-def: $vgpr1
.LBB175_2276:
	s_delay_alu instid0(SALU_CYCLE_1)
	s_and_not1_b32 vcc_lo, exec_lo, s8
	s_cbranch_vccnz .LBB175_2278
; %bb.2277:
	s_wait_loadcnt 0x0
	global_load_u8 v1, v[30:31], off
	s_wait_loadcnt 0x0
	v_cvt_f32_ubyte0_e32 v1, v1
	s_delay_alu instid0(VALU_DEP_1) | instskip(NEXT) | instid1(VALU_DEP_1)
	v_bfe_u32 v3, v1, 16, 1
	v_add3_u32 v1, v1, v3, 0x7fff
	s_delay_alu instid0(VALU_DEP_1)
	v_lshrrev_b32_e32 v1, 16, v1
.LBB175_2278:
.LBB175_2279:
	v_mov_b32_e32 v29, 0
	s_load_b64 s[8:9], s[2:3], 0x1d8
	global_load_u8 v3, v29, s[2:3] offset:494
	s_wait_kmcnt 0x0
	v_add_nc_u64_e32 v[28:29], s[8:9], v[28:29]
	s_wait_loadcnt 0x0
	v_and_b32_e32 v5, 0xffff, v3
	v_readfirstlane_b32 s16, v3
	s_delay_alu instid0(VALU_DEP_2)
	v_cmp_gt_i32_e32 vcc_lo, 11, v5
	s_cbranch_vccnz .LBB175_2286
; %bb.2280:
	s_and_b32 s10, 0xffff, s16
	s_mov_b32 s17, 0
	s_cmp_gt_i32 s10, 25
	s_cbranch_scc0 .LBB175_2288
; %bb.2281:
	s_cmp_gt_i32 s10, 28
	s_cbranch_scc0 .LBB175_2289
; %bb.2282:
	;; [unrolled: 3-line block ×4, first 2 shown]
	s_cmp_eq_u32 s10, 46
	s_mov_b32 s19, 0
	s_cbranch_scc0 .LBB175_2295
; %bb.2285:
	global_load_b32 v3, v[28:29], off
	s_mov_b32 s11, 0
	s_mov_b32 s18, -1
	s_branch .LBB175_2297
.LBB175_2286:
	s_mov_b32 s18, 0
                                        ; implicit-def: $vgpr3
	s_cbranch_execnz .LBB175_2362
.LBB175_2287:
	s_and_not1_b32 vcc_lo, exec_lo, s18
	s_cbranch_vccnz .LBB175_4155
	s_branch .LBB175_2409
.LBB175_2288:
	s_mov_b32 s18, 0
	s_mov_b32 s11, 0
                                        ; implicit-def: $vgpr3
	s_cbranch_execnz .LBB175_2326
	s_branch .LBB175_2358
.LBB175_2289:
	s_mov_b32 s19, -1
	s_mov_b32 s18, 0
	s_mov_b32 s11, 0
                                        ; implicit-def: $vgpr3
	s_branch .LBB175_2307
.LBB175_2290:
	s_mov_b32 s19, -1
	s_mov_b32 s18, 0
	s_mov_b32 s11, 0
                                        ; implicit-def: $vgpr3
	s_branch .LBB175_2302
.LBB175_2291:
	s_or_b32 s1, s12, exec_lo
	s_trap 2
	s_cbranch_execz .LBB175_2232
	s_branch .LBB175_2233
.LBB175_2292:
	s_mov_b32 s19, -1
	s_mov_b32 s18, 0
	s_mov_b32 s11, 0
	s_branch .LBB175_2296
.LBB175_2293:
	s_and_not1_saveexec_b32 s10, s10
	s_cbranch_execz .LBB175_2034
.LBB175_2294:
	v_add_f32_e64 v3, 0x42800000, |v5|
	s_and_not1_b32 s9, s9, exec_lo
	s_delay_alu instid0(VALU_DEP_1) | instskip(NEXT) | instid1(VALU_DEP_1)
	v_and_b32_e32 v3, 0xff, v3
	v_cmp_ne_u32_e32 vcc_lo, 0, v3
	s_and_b32 s11, vcc_lo, exec_lo
	s_delay_alu instid0(SALU_CYCLE_1)
	s_or_b32 s9, s9, s11
	s_or_b32 exec_lo, exec_lo, s10
	v_mov_b32_e32 v6, 0
	s_and_saveexec_b32 s10, s9
	s_cbranch_execnz .LBB175_2035
	s_branch .LBB175_2036
.LBB175_2295:
	s_mov_b32 s11, -1
	s_mov_b32 s18, 0
.LBB175_2296:
                                        ; implicit-def: $vgpr3
.LBB175_2297:
	s_and_b32 vcc_lo, exec_lo, s19
	s_cbranch_vccz .LBB175_2301
; %bb.2298:
	s_cmp_eq_u32 s10, 44
	s_cbranch_scc0 .LBB175_2300
; %bb.2299:
	s_wait_loadcnt 0x0
	global_load_u8 v3, v[28:29], off
	s_mov_b32 s11, 0
	s_mov_b32 s18, -1
	s_wait_loadcnt 0x0
	v_lshlrev_b32_e32 v5, 23, v3
	v_cmp_ne_u32_e32 vcc_lo, 0xff, v3
	s_delay_alu instid0(VALU_DEP_2) | instskip(SKIP_1) | instid1(VALU_DEP_2)
	v_cndmask_b32_e32 v5, 0x7f800001, v5, vcc_lo
	v_cmp_ne_u32_e32 vcc_lo, 0, v3
	v_cndmask_b32_e32 v3, 0x400000, v5, vcc_lo
	s_delay_alu instid0(VALU_DEP_1) | instskip(SKIP_1) | instid1(VALU_DEP_2)
	v_add_nc_u32_e32 v5, 0x7fff, v3
	v_cmp_o_f32_e32 vcc_lo, v3, v3
	v_lshrrev_b32_e32 v5, 16, v5
	s_delay_alu instid0(VALU_DEP_1)
	v_cndmask_b32_e32 v3, 0x7fc0, v5, vcc_lo
	s_branch .LBB175_2301
.LBB175_2300:
	s_mov_b32 s11, -1
                                        ; implicit-def: $vgpr3
.LBB175_2301:
	s_mov_b32 s19, 0
.LBB175_2302:
	s_delay_alu instid0(SALU_CYCLE_1)
	s_and_b32 vcc_lo, exec_lo, s19
	s_cbranch_vccz .LBB175_2306
; %bb.2303:
	s_cmp_eq_u32 s10, 29
	s_cbranch_scc0 .LBB175_2305
; %bb.2304:
	global_load_b64 v[30:31], v[28:29], off
	s_mov_b32 s11, 0
	s_mov_b32 s18, -1
	s_mov_b32 s19, 0
	s_wait_loadcnt 0x0
	v_clz_i32_u32_e32 v3, v31
	s_delay_alu instid0(VALU_DEP_1) | instskip(NEXT) | instid1(VALU_DEP_1)
	v_min_u32_e32 v3, 32, v3
	v_lshlrev_b64_e32 v[30:31], v3, v[30:31]
	v_sub_nc_u32_e32 v3, 32, v3
	s_delay_alu instid0(VALU_DEP_2) | instskip(NEXT) | instid1(VALU_DEP_1)
	v_min_u32_e32 v5, 1, v30
	v_or_b32_e32 v5, v31, v5
	s_delay_alu instid0(VALU_DEP_1) | instskip(NEXT) | instid1(VALU_DEP_1)
	v_cvt_f32_u32_e32 v5, v5
	v_ldexp_f32 v3, v5, v3
	s_delay_alu instid0(VALU_DEP_1) | instskip(NEXT) | instid1(VALU_DEP_1)
	v_bfe_u32 v5, v3, 16, 1
	v_add3_u32 v3, v3, v5, 0x7fff
	s_delay_alu instid0(VALU_DEP_1)
	v_lshrrev_b32_e32 v3, 16, v3
	s_branch .LBB175_2307
.LBB175_2305:
	s_mov_b32 s11, -1
                                        ; implicit-def: $vgpr3
.LBB175_2306:
	s_mov_b32 s19, 0
.LBB175_2307:
	s_delay_alu instid0(SALU_CYCLE_1)
	s_and_b32 vcc_lo, exec_lo, s19
	s_cbranch_vccz .LBB175_2325
; %bb.2308:
	s_cmp_lt_i32 s10, 27
	s_cbranch_scc1 .LBB175_2311
; %bb.2309:
	s_cmp_gt_i32 s10, 27
	s_cbranch_scc0 .LBB175_2312
; %bb.2310:
	s_wait_loadcnt 0x0
	global_load_b32 v3, v[28:29], off
	s_mov_b32 s18, 0
	s_wait_loadcnt 0x0
	v_cvt_f32_u32_e32 v3, v3
	s_delay_alu instid0(VALU_DEP_1) | instskip(NEXT) | instid1(VALU_DEP_1)
	v_bfe_u32 v5, v3, 16, 1
	v_add3_u32 v3, v3, v5, 0x7fff
	s_delay_alu instid0(VALU_DEP_1)
	v_lshrrev_b32_e32 v3, 16, v3
	s_branch .LBB175_2313
.LBB175_2311:
	s_mov_b32 s18, -1
                                        ; implicit-def: $vgpr3
	s_branch .LBB175_2316
.LBB175_2312:
	s_mov_b32 s18, -1
                                        ; implicit-def: $vgpr3
.LBB175_2313:
	s_delay_alu instid0(SALU_CYCLE_1)
	s_and_not1_b32 vcc_lo, exec_lo, s18
	s_cbranch_vccnz .LBB175_2315
; %bb.2314:
	s_wait_loadcnt 0x0
	global_load_u16 v3, v[28:29], off
	s_wait_loadcnt 0x0
	v_cvt_f32_u32_e32 v3, v3
	s_delay_alu instid0(VALU_DEP_1) | instskip(NEXT) | instid1(VALU_DEP_1)
	v_bfe_u32 v5, v3, 16, 1
	v_add3_u32 v3, v3, v5, 0x7fff
	s_delay_alu instid0(VALU_DEP_1)
	v_lshrrev_b32_e32 v3, 16, v3
.LBB175_2315:
	s_mov_b32 s18, 0
.LBB175_2316:
	s_delay_alu instid0(SALU_CYCLE_1)
	s_and_not1_b32 vcc_lo, exec_lo, s18
	s_cbranch_vccnz .LBB175_2324
; %bb.2317:
	s_wait_loadcnt 0x0
	global_load_u8 v3, v[28:29], off
	s_mov_b32 s18, 0
	s_mov_b32 s19, exec_lo
	s_wait_loadcnt 0x0
	v_cmpx_lt_i16_e32 0x7f, v3
	s_xor_b32 s19, exec_lo, s19
	s_cbranch_execz .LBB175_2337
; %bb.2318:
	s_mov_b32 s18, -1
	s_mov_b32 s20, exec_lo
	v_cmpx_eq_u16_e32 0x80, v3
; %bb.2319:
	s_xor_b32 s18, exec_lo, -1
; %bb.2320:
	s_or_b32 exec_lo, exec_lo, s20
	s_delay_alu instid0(SALU_CYCLE_1)
	s_and_b32 s18, s18, exec_lo
	s_or_saveexec_b32 s19, s19
	v_mov_b32_e32 v5, 0x7f800001
	s_xor_b32 exec_lo, exec_lo, s19
	s_cbranch_execnz .LBB175_2338
.LBB175_2321:
	s_or_b32 exec_lo, exec_lo, s19
	s_and_saveexec_b32 s19, s18
	s_cbranch_execz .LBB175_2323
.LBB175_2322:
	v_and_b32_e32 v5, 0xffff, v3
	s_delay_alu instid0(VALU_DEP_1) | instskip(SKIP_1) | instid1(VALU_DEP_2)
	v_dual_lshlrev_b32 v3, 24, v3 :: v_dual_bitop2_b32 v7, 7, v5 bitop3:0x40
	v_bfe_u32 v13, v5, 3, 4
	v_and_b32_e32 v3, 0x80000000, v3
	s_delay_alu instid0(VALU_DEP_3) | instskip(NEXT) | instid1(VALU_DEP_3)
	v_clz_i32_u32_e32 v9, v7
	v_cmp_eq_u32_e32 vcc_lo, 0, v13
	s_delay_alu instid0(VALU_DEP_2) | instskip(NEXT) | instid1(VALU_DEP_1)
	v_min_u32_e32 v9, 32, v9
	v_subrev_nc_u32_e32 v11, 28, v9
	v_sub_nc_u32_e32 v9, 29, v9
	s_delay_alu instid0(VALU_DEP_2) | instskip(NEXT) | instid1(VALU_DEP_2)
	v_lshlrev_b32_e32 v5, v11, v5
	v_cndmask_b32_e32 v9, v13, v9, vcc_lo
	s_delay_alu instid0(VALU_DEP_2) | instskip(NEXT) | instid1(VALU_DEP_1)
	v_and_b32_e32 v5, 7, v5
	v_cndmask_b32_e32 v5, v7, v5, vcc_lo
	s_delay_alu instid0(VALU_DEP_3) | instskip(NEXT) | instid1(VALU_DEP_2)
	v_lshl_add_u32 v7, v9, 23, 0x3b800000
	v_lshlrev_b32_e32 v5, 20, v5
	s_delay_alu instid0(VALU_DEP_1)
	v_or3_b32 v5, v3, v7, v5
.LBB175_2323:
	s_or_b32 exec_lo, exec_lo, s19
	s_delay_alu instid0(VALU_DEP_1) | instskip(SKIP_1) | instid1(VALU_DEP_2)
	v_bfe_u32 v3, v5, 16, 1
	v_cmp_o_f32_e32 vcc_lo, v5, v5
	v_add3_u32 v3, v5, v3, 0x7fff
	s_delay_alu instid0(VALU_DEP_1) | instskip(NEXT) | instid1(VALU_DEP_1)
	v_lshrrev_b32_e32 v3, 16, v3
	v_cndmask_b32_e32 v3, 0x7fc0, v3, vcc_lo
.LBB175_2324:
	s_mov_b32 s18, -1
.LBB175_2325:
	s_branch .LBB175_2358
.LBB175_2326:
	s_cmp_gt_i32 s10, 22
	s_cbranch_scc0 .LBB175_2336
; %bb.2327:
	s_cmp_lt_i32 s10, 24
	s_cbranch_scc1 .LBB175_2339
; %bb.2328:
	s_cmp_gt_i32 s10, 24
	s_cbranch_scc0 .LBB175_2340
; %bb.2329:
	s_wait_loadcnt 0x0
	global_load_u8 v3, v[28:29], off
	s_mov_b32 s18, exec_lo
	s_wait_loadcnt 0x0
	v_cmpx_lt_i16_e32 0x7f, v3
	s_xor_b32 s18, exec_lo, s18
	s_cbranch_execz .LBB175_2352
; %bb.2330:
	s_mov_b32 s17, -1
	s_mov_b32 s19, exec_lo
	v_cmpx_eq_u16_e32 0x80, v3
; %bb.2331:
	s_xor_b32 s17, exec_lo, -1
; %bb.2332:
	s_or_b32 exec_lo, exec_lo, s19
	s_delay_alu instid0(SALU_CYCLE_1)
	s_and_b32 s17, s17, exec_lo
	s_or_saveexec_b32 s18, s18
	v_mov_b32_e32 v5, 0x7f800001
	s_xor_b32 exec_lo, exec_lo, s18
	s_cbranch_execnz .LBB175_2353
.LBB175_2333:
	s_or_b32 exec_lo, exec_lo, s18
	s_and_saveexec_b32 s18, s17
	s_cbranch_execz .LBB175_2335
.LBB175_2334:
	v_and_b32_e32 v5, 0xffff, v3
	s_delay_alu instid0(VALU_DEP_1) | instskip(SKIP_1) | instid1(VALU_DEP_2)
	v_dual_lshlrev_b32 v3, 24, v3 :: v_dual_bitop2_b32 v7, 3, v5 bitop3:0x40
	v_bfe_u32 v13, v5, 2, 5
	v_and_b32_e32 v3, 0x80000000, v3
	s_delay_alu instid0(VALU_DEP_3) | instskip(NEXT) | instid1(VALU_DEP_3)
	v_clz_i32_u32_e32 v9, v7
	v_cmp_eq_u32_e32 vcc_lo, 0, v13
	s_delay_alu instid0(VALU_DEP_2) | instskip(NEXT) | instid1(VALU_DEP_1)
	v_min_u32_e32 v9, 32, v9
	v_subrev_nc_u32_e32 v11, 29, v9
	v_sub_nc_u32_e32 v9, 30, v9
	s_delay_alu instid0(VALU_DEP_2) | instskip(NEXT) | instid1(VALU_DEP_2)
	v_lshlrev_b32_e32 v5, v11, v5
	v_cndmask_b32_e32 v9, v13, v9, vcc_lo
	s_delay_alu instid0(VALU_DEP_2) | instskip(NEXT) | instid1(VALU_DEP_1)
	v_and_b32_e32 v5, 3, v5
	v_cndmask_b32_e32 v5, v7, v5, vcc_lo
	s_delay_alu instid0(VALU_DEP_3) | instskip(NEXT) | instid1(VALU_DEP_2)
	v_lshl_add_u32 v7, v9, 23, 0x37800000
	v_lshlrev_b32_e32 v5, 21, v5
	s_delay_alu instid0(VALU_DEP_1)
	v_or3_b32 v5, v3, v7, v5
.LBB175_2335:
	s_or_b32 exec_lo, exec_lo, s18
	s_delay_alu instid0(VALU_DEP_1) | instskip(SKIP_2) | instid1(VALU_DEP_2)
	v_bfe_u32 v3, v5, 16, 1
	v_cmp_o_f32_e32 vcc_lo, v5, v5
	s_mov_b32 s17, 0
	v_add3_u32 v3, v5, v3, 0x7fff
	s_delay_alu instid0(VALU_DEP_1) | instskip(NEXT) | instid1(VALU_DEP_1)
	v_lshrrev_b32_e32 v3, 16, v3
	v_cndmask_b32_e32 v3, 0x7fc0, v3, vcc_lo
	s_branch .LBB175_2341
.LBB175_2336:
	s_mov_b32 s17, -1
                                        ; implicit-def: $vgpr3
	s_branch .LBB175_2347
.LBB175_2337:
	s_or_saveexec_b32 s19, s19
	v_mov_b32_e32 v5, 0x7f800001
	s_xor_b32 exec_lo, exec_lo, s19
	s_cbranch_execz .LBB175_2321
.LBB175_2338:
	v_cmp_ne_u16_e32 vcc_lo, 0, v3
	v_mov_b32_e32 v5, 0
	s_and_not1_b32 s18, s18, exec_lo
	s_and_b32 s20, vcc_lo, exec_lo
	s_delay_alu instid0(SALU_CYCLE_1)
	s_or_b32 s18, s18, s20
	s_or_b32 exec_lo, exec_lo, s19
	s_and_saveexec_b32 s19, s18
	s_cbranch_execnz .LBB175_2322
	s_branch .LBB175_2323
.LBB175_2339:
	s_mov_b32 s17, -1
                                        ; implicit-def: $vgpr3
	s_branch .LBB175_2344
.LBB175_2340:
	s_mov_b32 s17, -1
                                        ; implicit-def: $vgpr3
.LBB175_2341:
	s_delay_alu instid0(SALU_CYCLE_1)
	s_and_b32 vcc_lo, exec_lo, s17
	s_cbranch_vccz .LBB175_2343
; %bb.2342:
	s_wait_loadcnt 0x0
	global_load_u8 v3, v[28:29], off
	s_wait_loadcnt 0x0
	v_lshlrev_b32_e32 v3, 24, v3
	s_delay_alu instid0(VALU_DEP_1) | instskip(NEXT) | instid1(VALU_DEP_1)
	v_and_b32_e32 v5, 0x7f000000, v3
	v_clz_i32_u32_e32 v7, v5
	v_add_nc_u32_e32 v11, 0x1000000, v5
	v_cmp_ne_u32_e32 vcc_lo, 0, v5
	s_delay_alu instid0(VALU_DEP_3) | instskip(NEXT) | instid1(VALU_DEP_1)
	v_min_u32_e32 v7, 32, v7
	v_sub_nc_u32_e64 v7, v7, 4 clamp
	s_delay_alu instid0(VALU_DEP_1) | instskip(NEXT) | instid1(VALU_DEP_1)
	v_dual_lshlrev_b32 v9, v7, v5 :: v_dual_lshlrev_b32 v7, 23, v7
	v_lshrrev_b32_e32 v9, 4, v9
	s_delay_alu instid0(VALU_DEP_1) | instskip(SKIP_1) | instid1(VALU_DEP_2)
	v_sub_nc_u32_e32 v7, v9, v7
	v_ashrrev_i32_e32 v9, 8, v11
	v_add_nc_u32_e32 v7, 0x3c000000, v7
	s_delay_alu instid0(VALU_DEP_1) | instskip(NEXT) | instid1(VALU_DEP_1)
	v_and_or_b32 v7, 0x7f800000, v9, v7
	v_cndmask_b32_e32 v5, 0, v7, vcc_lo
	s_delay_alu instid0(VALU_DEP_1) | instskip(SKIP_1) | instid1(VALU_DEP_2)
	v_and_or_b32 v3, 0x80000000, v3, v5
	v_bfe_u32 v5, v5, 16, 1
	v_cmp_o_f32_e32 vcc_lo, v3, v3
	s_delay_alu instid0(VALU_DEP_2) | instskip(NEXT) | instid1(VALU_DEP_1)
	v_add3_u32 v5, v3, v5, 0x7fff
	v_lshrrev_b32_e32 v5, 16, v5
	s_delay_alu instid0(VALU_DEP_1)
	v_cndmask_b32_e32 v3, 0x7fc0, v5, vcc_lo
.LBB175_2343:
	s_mov_b32 s17, 0
.LBB175_2344:
	s_delay_alu instid0(SALU_CYCLE_1)
	s_and_not1_b32 vcc_lo, exec_lo, s17
	s_cbranch_vccnz .LBB175_2346
; %bb.2345:
	s_wait_loadcnt 0x0
	global_load_u8 v3, v[28:29], off
	s_wait_loadcnt 0x0
	v_lshlrev_b32_e32 v5, 25, v3
	v_lshlrev_b16 v3, 8, v3
	s_delay_alu instid0(VALU_DEP_1) | instskip(SKIP_1) | instid1(VALU_DEP_2)
	v_and_or_b32 v9, 0x7f00, v3, 0.5
	v_bfe_i32 v3, v3, 0, 16
	v_add_f32_e32 v9, -0.5, v9
	v_lshrrev_b32_e32 v7, 4, v5
	v_cmp_gt_u32_e32 vcc_lo, 0x8000000, v5
	s_delay_alu instid0(VALU_DEP_2) | instskip(NEXT) | instid1(VALU_DEP_1)
	v_or_b32_e32 v7, 0x70000000, v7
	v_mul_f32_e32 v7, 0x7800000, v7
	s_delay_alu instid0(VALU_DEP_1) | instskip(NEXT) | instid1(VALU_DEP_1)
	v_cndmask_b32_e32 v5, v7, v9, vcc_lo
	v_and_or_b32 v3, 0x80000000, v3, v5
	v_bfe_u32 v5, v5, 16, 1
	s_delay_alu instid0(VALU_DEP_2) | instskip(NEXT) | instid1(VALU_DEP_2)
	v_cmp_o_f32_e32 vcc_lo, v3, v3
	v_add3_u32 v5, v3, v5, 0x7fff
	s_delay_alu instid0(VALU_DEP_1) | instskip(NEXT) | instid1(VALU_DEP_1)
	v_lshrrev_b32_e32 v5, 16, v5
	v_cndmask_b32_e32 v3, 0x7fc0, v5, vcc_lo
.LBB175_2346:
	s_mov_b32 s17, 0
	s_mov_b32 s18, -1
.LBB175_2347:
	s_and_not1_b32 vcc_lo, exec_lo, s17
	s_mov_b32 s17, 0
	s_cbranch_vccnz .LBB175_2358
; %bb.2348:
	s_cmp_gt_i32 s10, 14
	s_cbranch_scc0 .LBB175_2351
; %bb.2349:
	s_cmp_eq_u32 s10, 15
	s_cbranch_scc0 .LBB175_2354
; %bb.2350:
	s_wait_loadcnt 0x0
	global_load_u16 v3, v[28:29], off
	s_mov_b32 s11, 0
	s_mov_b32 s18, -1
	s_branch .LBB175_2356
.LBB175_2351:
	s_mov_b32 s17, -1
	s_branch .LBB175_2355
.LBB175_2352:
	s_or_saveexec_b32 s18, s18
	v_mov_b32_e32 v5, 0x7f800001
	s_xor_b32 exec_lo, exec_lo, s18
	s_cbranch_execz .LBB175_2333
.LBB175_2353:
	v_cmp_ne_u16_e32 vcc_lo, 0, v3
	v_mov_b32_e32 v5, 0
	s_and_not1_b32 s17, s17, exec_lo
	s_and_b32 s19, vcc_lo, exec_lo
	s_delay_alu instid0(SALU_CYCLE_1)
	s_or_b32 s17, s17, s19
	s_or_b32 exec_lo, exec_lo, s18
	s_and_saveexec_b32 s18, s17
	s_cbranch_execnz .LBB175_2334
	s_branch .LBB175_2335
.LBB175_2354:
	s_mov_b32 s11, -1
.LBB175_2355:
                                        ; implicit-def: $vgpr3
.LBB175_2356:
	s_and_b32 vcc_lo, exec_lo, s17
	s_mov_b32 s17, 0
	s_cbranch_vccz .LBB175_2358
; %bb.2357:
	s_cmp_lg_u32 s10, 11
	s_mov_b32 s17, -1
	s_cselect_b32 s11, -1, 0
.LBB175_2358:
	s_delay_alu instid0(SALU_CYCLE_1)
	s_and_b32 vcc_lo, exec_lo, s11
	s_cbranch_vccnz .LBB175_2421
; %bb.2359:
	s_and_not1_b32 vcc_lo, exec_lo, s17
	s_cbranch_vccnz .LBB175_2361
.LBB175_2360:
	s_wait_loadcnt 0x0
	global_load_u8 v3, v[28:29], off
	s_mov_b32 s18, -1
	s_wait_loadcnt 0x0
	v_cmp_ne_u16_e32 vcc_lo, 0, v3
	v_cndmask_b32_e64 v3, 0, 1.0, vcc_lo
	s_delay_alu instid0(VALU_DEP_1)
	v_lshrrev_b32_e32 v3, 16, v3
.LBB175_2361:
	s_branch .LBB175_2287
.LBB175_2362:
	s_and_b32 s10, 0xffff, s16
	s_delay_alu instid0(SALU_CYCLE_1)
	s_cmp_lt_i32 s10, 5
	s_cbranch_scc1 .LBB175_2367
; %bb.2363:
	s_cmp_lt_i32 s10, 8
	s_cbranch_scc1 .LBB175_2368
; %bb.2364:
	;; [unrolled: 3-line block ×3, first 2 shown]
	s_cmp_gt_i32 s10, 9
	s_cbranch_scc0 .LBB175_2370
; %bb.2366:
	global_load_b64 v[30:31], v[28:29], off
	s_mov_b32 s11, 0
	s_wait_loadcnt 0x0
	v_cvt_f32_f64_e32 v3, v[30:31]
	s_delay_alu instid0(VALU_DEP_1) | instskip(SKIP_1) | instid1(VALU_DEP_2)
	v_bfe_u32 v5, v3, 16, 1
	v_cmp_o_f32_e32 vcc_lo, v3, v3
	v_add3_u32 v5, v3, v5, 0x7fff
	s_delay_alu instid0(VALU_DEP_1) | instskip(NEXT) | instid1(VALU_DEP_1)
	v_lshrrev_b32_e32 v5, 16, v5
	v_cndmask_b32_e32 v3, 0x7fc0, v5, vcc_lo
	s_branch .LBB175_2371
.LBB175_2367:
                                        ; implicit-def: $vgpr3
	s_branch .LBB175_2389
.LBB175_2368:
	s_mov_b32 s11, -1
                                        ; implicit-def: $vgpr3
	s_branch .LBB175_2377
.LBB175_2369:
	s_mov_b32 s11, -1
                                        ; implicit-def: $vgpr3
	s_branch .LBB175_2374
.LBB175_2370:
	s_mov_b32 s11, -1
                                        ; implicit-def: $vgpr3
.LBB175_2371:
	s_delay_alu instid0(SALU_CYCLE_1)
	s_and_not1_b32 vcc_lo, exec_lo, s11
	s_cbranch_vccnz .LBB175_2373
; %bb.2372:
	s_wait_loadcnt 0x0
	global_load_b32 v3, v[28:29], off
	s_wait_loadcnt 0x0
	v_bfe_u32 v5, v3, 16, 1
	v_cmp_o_f32_e32 vcc_lo, v3, v3
	s_delay_alu instid0(VALU_DEP_2) | instskip(NEXT) | instid1(VALU_DEP_1)
	v_add3_u32 v5, v3, v5, 0x7fff
	v_lshrrev_b32_e32 v5, 16, v5
	s_delay_alu instid0(VALU_DEP_1)
	v_cndmask_b32_e32 v3, 0x7fc0, v5, vcc_lo
.LBB175_2373:
	s_mov_b32 s11, 0
.LBB175_2374:
	s_delay_alu instid0(SALU_CYCLE_1)
	s_and_not1_b32 vcc_lo, exec_lo, s11
	s_cbranch_vccnz .LBB175_2376
; %bb.2375:
	s_wait_loadcnt 0x0
	global_load_b32 v3, v[28:29], off
	s_wait_loadcnt 0x0
	v_cvt_f32_f16_e32 v5, v3
	v_cmp_o_f16_e32 vcc_lo, v3, v3
	s_delay_alu instid0(VALU_DEP_2) | instskip(NEXT) | instid1(VALU_DEP_1)
	v_bfe_u32 v7, v5, 16, 1
	v_add3_u32 v5, v5, v7, 0x7fff
	s_delay_alu instid0(VALU_DEP_1) | instskip(NEXT) | instid1(VALU_DEP_1)
	v_lshrrev_b32_e32 v5, 16, v5
	v_cndmask_b32_e32 v3, 0x7fc0, v5, vcc_lo
.LBB175_2376:
	s_mov_b32 s11, 0
.LBB175_2377:
	s_delay_alu instid0(SALU_CYCLE_1)
	s_and_not1_b32 vcc_lo, exec_lo, s11
	s_cbranch_vccnz .LBB175_2388
; %bb.2378:
	s_cmp_lt_i32 s10, 6
	s_cbranch_scc1 .LBB175_2381
; %bb.2379:
	s_cmp_gt_i32 s10, 6
	s_cbranch_scc0 .LBB175_2382
; %bb.2380:
	global_load_b64 v[30:31], v[28:29], off
	s_mov_b32 s11, 0
	s_wait_loadcnt 0x0
	v_cvt_f32_f64_e32 v3, v[30:31]
	s_delay_alu instid0(VALU_DEP_1) | instskip(SKIP_1) | instid1(VALU_DEP_2)
	v_bfe_u32 v5, v3, 16, 1
	v_cmp_o_f32_e32 vcc_lo, v3, v3
	v_add3_u32 v5, v3, v5, 0x7fff
	s_delay_alu instid0(VALU_DEP_1) | instskip(NEXT) | instid1(VALU_DEP_1)
	v_lshrrev_b32_e32 v5, 16, v5
	v_cndmask_b32_e32 v3, 0x7fc0, v5, vcc_lo
	s_branch .LBB175_2383
.LBB175_2381:
	s_mov_b32 s11, -1
                                        ; implicit-def: $vgpr3
	s_branch .LBB175_2386
.LBB175_2382:
	s_mov_b32 s11, -1
                                        ; implicit-def: $vgpr3
.LBB175_2383:
	s_delay_alu instid0(SALU_CYCLE_1)
	s_and_not1_b32 vcc_lo, exec_lo, s11
	s_cbranch_vccnz .LBB175_2385
; %bb.2384:
	s_wait_loadcnt 0x0
	global_load_b32 v3, v[28:29], off
	s_wait_loadcnt 0x0
	v_bfe_u32 v5, v3, 16, 1
	v_cmp_o_f32_e32 vcc_lo, v3, v3
	s_delay_alu instid0(VALU_DEP_2) | instskip(NEXT) | instid1(VALU_DEP_1)
	v_add3_u32 v5, v3, v5, 0x7fff
	v_lshrrev_b32_e32 v5, 16, v5
	s_delay_alu instid0(VALU_DEP_1)
	v_cndmask_b32_e32 v3, 0x7fc0, v5, vcc_lo
.LBB175_2385:
	s_mov_b32 s11, 0
.LBB175_2386:
	s_delay_alu instid0(SALU_CYCLE_1)
	s_and_not1_b32 vcc_lo, exec_lo, s11
	s_cbranch_vccnz .LBB175_2388
; %bb.2387:
	s_wait_loadcnt 0x0
	global_load_u16 v3, v[28:29], off
	s_wait_loadcnt 0x0
	v_cvt_f32_f16_e32 v5, v3
	v_cmp_o_f16_e32 vcc_lo, v3, v3
	s_delay_alu instid0(VALU_DEP_2) | instskip(NEXT) | instid1(VALU_DEP_1)
	v_bfe_u32 v7, v5, 16, 1
	v_add3_u32 v5, v5, v7, 0x7fff
	s_delay_alu instid0(VALU_DEP_1) | instskip(NEXT) | instid1(VALU_DEP_1)
	v_lshrrev_b32_e32 v5, 16, v5
	v_cndmask_b32_e32 v3, 0x7fc0, v5, vcc_lo
.LBB175_2388:
	s_cbranch_execnz .LBB175_2408
.LBB175_2389:
	s_cmp_lt_i32 s10, 2
	s_cbranch_scc1 .LBB175_2393
; %bb.2390:
	s_cmp_lt_i32 s10, 3
	s_cbranch_scc1 .LBB175_2394
; %bb.2391:
	s_cmp_gt_i32 s10, 3
	s_cbranch_scc0 .LBB175_2395
; %bb.2392:
	global_load_b64 v[30:31], v[28:29], off
	s_mov_b32 s11, 0
	s_wait_loadcnt 0x0
	v_xor_b32_e32 v3, v30, v31
	v_cls_i32_e32 v5, v31
	s_delay_alu instid0(VALU_DEP_2) | instskip(NEXT) | instid1(VALU_DEP_1)
	v_ashrrev_i32_e32 v3, 31, v3
	v_add_nc_u32_e32 v3, 32, v3
	s_delay_alu instid0(VALU_DEP_1) | instskip(NEXT) | instid1(VALU_DEP_1)
	v_add_min_u32_e64 v3, v5, -1, v3
	v_lshlrev_b64_e32 v[30:31], v3, v[30:31]
	v_sub_nc_u32_e32 v3, 32, v3
	s_delay_alu instid0(VALU_DEP_2) | instskip(NEXT) | instid1(VALU_DEP_1)
	v_min_u32_e32 v5, 1, v30
	v_or_b32_e32 v5, v31, v5
	s_delay_alu instid0(VALU_DEP_1) | instskip(NEXT) | instid1(VALU_DEP_1)
	v_cvt_f32_i32_e32 v5, v5
	v_ldexp_f32 v3, v5, v3
	s_delay_alu instid0(VALU_DEP_1) | instskip(NEXT) | instid1(VALU_DEP_1)
	v_bfe_u32 v5, v3, 16, 1
	v_add3_u32 v3, v3, v5, 0x7fff
	s_delay_alu instid0(VALU_DEP_1)
	v_lshrrev_b32_e32 v3, 16, v3
	s_branch .LBB175_2396
.LBB175_2393:
	s_mov_b32 s11, -1
                                        ; implicit-def: $vgpr3
	s_branch .LBB175_2402
.LBB175_2394:
	s_mov_b32 s11, -1
                                        ; implicit-def: $vgpr3
	s_branch .LBB175_2399
.LBB175_2395:
	s_mov_b32 s11, -1
                                        ; implicit-def: $vgpr3
.LBB175_2396:
	s_delay_alu instid0(SALU_CYCLE_1)
	s_and_not1_b32 vcc_lo, exec_lo, s11
	s_cbranch_vccnz .LBB175_2398
; %bb.2397:
	s_wait_loadcnt 0x0
	global_load_b32 v3, v[28:29], off
	s_wait_loadcnt 0x0
	v_cvt_f32_i32_e32 v3, v3
	s_delay_alu instid0(VALU_DEP_1) | instskip(NEXT) | instid1(VALU_DEP_1)
	v_bfe_u32 v5, v3, 16, 1
	v_add3_u32 v3, v3, v5, 0x7fff
	s_delay_alu instid0(VALU_DEP_1)
	v_lshrrev_b32_e32 v3, 16, v3
.LBB175_2398:
	s_mov_b32 s11, 0
.LBB175_2399:
	s_delay_alu instid0(SALU_CYCLE_1)
	s_and_not1_b32 vcc_lo, exec_lo, s11
	s_cbranch_vccnz .LBB175_2401
; %bb.2400:
	s_wait_loadcnt 0x0
	global_load_i16 v3, v[28:29], off
	s_wait_loadcnt 0x0
	v_cvt_f32_i32_e32 v3, v3
	s_delay_alu instid0(VALU_DEP_1) | instskip(NEXT) | instid1(VALU_DEP_1)
	v_bfe_u32 v5, v3, 16, 1
	v_add3_u32 v3, v3, v5, 0x7fff
	s_delay_alu instid0(VALU_DEP_1)
	v_lshrrev_b32_e32 v3, 16, v3
.LBB175_2401:
	s_mov_b32 s11, 0
.LBB175_2402:
	s_delay_alu instid0(SALU_CYCLE_1)
	s_and_not1_b32 vcc_lo, exec_lo, s11
	s_cbranch_vccnz .LBB175_2408
; %bb.2403:
	s_cmp_gt_i32 s10, 0
	s_mov_b32 s10, 0
	s_cbranch_scc0 .LBB175_2405
; %bb.2404:
	s_wait_loadcnt 0x0
	global_load_i8 v3, v[28:29], off
	s_wait_loadcnt 0x0
	v_cvt_f32_i32_e32 v3, v3
	s_delay_alu instid0(VALU_DEP_1) | instskip(NEXT) | instid1(VALU_DEP_1)
	v_bfe_u32 v5, v3, 16, 1
	v_add3_u32 v3, v3, v5, 0x7fff
	s_delay_alu instid0(VALU_DEP_1)
	v_lshrrev_b32_e32 v3, 16, v3
	s_branch .LBB175_2406
.LBB175_2405:
	s_mov_b32 s10, -1
                                        ; implicit-def: $vgpr3
.LBB175_2406:
	s_delay_alu instid0(SALU_CYCLE_1)
	s_and_not1_b32 vcc_lo, exec_lo, s10
	s_cbranch_vccnz .LBB175_2408
; %bb.2407:
	s_wait_loadcnt 0x0
	global_load_u8 v3, v[28:29], off
	s_wait_loadcnt 0x0
	v_cvt_f32_ubyte0_e32 v3, v3
	s_delay_alu instid0(VALU_DEP_1) | instskip(NEXT) | instid1(VALU_DEP_1)
	v_bfe_u32 v5, v3, 16, 1
	v_add3_u32 v3, v3, v5, 0x7fff
	s_delay_alu instid0(VALU_DEP_1)
	v_lshrrev_b32_e32 v3, 16, v3
.LBB175_2408:
.LBB175_2409:
	v_mov_b32_e32 v27, 0
	s_load_b64 s[10:11], s[2:3], 0x1e0
	global_load_u8 v5, v27, s[2:3] offset:495
	s_wait_kmcnt 0x0
	v_add_nc_u64_e32 v[26:27], s[10:11], v[26:27]
	s_wait_loadcnt 0x0
	v_and_b32_e32 v7, 0xffff, v5
	v_readfirstlane_b32 s17, v5
	s_delay_alu instid0(VALU_DEP_2)
	v_cmp_gt_i32_e32 vcc_lo, 11, v7
	s_cbranch_vccnz .LBB175_2416
; %bb.2410:
	s_and_b32 s18, 0xffff, s17
	s_mov_b32 s20, 0
	s_cmp_gt_i32 s18, 25
	s_cbranch_scc0 .LBB175_2418
; %bb.2411:
	s_cmp_gt_i32 s18, 28
	s_cbranch_scc0 .LBB175_2419
; %bb.2412:
	;; [unrolled: 3-line block ×4, first 2 shown]
	s_cmp_eq_u32 s18, 46
	s_mov_b32 s22, 0
	s_cbranch_scc0 .LBB175_2423
; %bb.2415:
	global_load_b32 v5, v[26:27], off
	s_mov_b32 s19, 0
	s_mov_b32 s21, -1
	s_branch .LBB175_2425
.LBB175_2416:
	s_mov_b32 s21, 0
                                        ; implicit-def: $vgpr5
	s_cbranch_execnz .LBB175_2491
.LBB175_2417:
	s_and_not1_b32 vcc_lo, exec_lo, s21
	s_cbranch_vccnz .LBB175_4155
	s_branch .LBB175_2539
.LBB175_2418:
	s_mov_b32 s22, -1
	s_mov_b32 s21, 0
	s_mov_b32 s19, 0
                                        ; implicit-def: $vgpr5
	s_branch .LBB175_2454
.LBB175_2419:
	s_mov_b32 s22, -1
	s_mov_b32 s21, 0
	s_mov_b32 s19, 0
                                        ; implicit-def: $vgpr5
	s_branch .LBB175_2435
.LBB175_2420:
	s_mov_b32 s22, -1
	s_mov_b32 s21, 0
	s_mov_b32 s19, 0
                                        ; implicit-def: $vgpr5
	s_branch .LBB175_2430
.LBB175_2421:
	s_or_b32 s1, s1, exec_lo
	s_trap 2
	s_cbranch_execz .LBB175_2360
	s_branch .LBB175_2361
.LBB175_2422:
	s_mov_b32 s22, -1
	s_mov_b32 s21, 0
	s_mov_b32 s19, 0
	s_branch .LBB175_2424
.LBB175_2423:
	s_mov_b32 s19, -1
	s_mov_b32 s21, 0
.LBB175_2424:
                                        ; implicit-def: $vgpr5
.LBB175_2425:
	s_and_b32 vcc_lo, exec_lo, s22
	s_cbranch_vccz .LBB175_2429
; %bb.2426:
	s_cmp_eq_u32 s18, 44
	s_cbranch_scc0 .LBB175_2428
; %bb.2427:
	s_wait_loadcnt 0x0
	global_load_u8 v5, v[26:27], off
	s_mov_b32 s19, 0
	s_mov_b32 s21, -1
	s_wait_loadcnt 0x0
	v_lshlrev_b32_e32 v7, 23, v5
	v_cmp_ne_u32_e32 vcc_lo, 0xff, v5
	s_delay_alu instid0(VALU_DEP_2) | instskip(SKIP_1) | instid1(VALU_DEP_2)
	v_cndmask_b32_e32 v7, 0x7f800001, v7, vcc_lo
	v_cmp_ne_u32_e32 vcc_lo, 0, v5
	v_cndmask_b32_e32 v5, 0x400000, v7, vcc_lo
	s_delay_alu instid0(VALU_DEP_1) | instskip(SKIP_1) | instid1(VALU_DEP_2)
	v_add_nc_u32_e32 v7, 0x7fff, v5
	v_cmp_o_f32_e32 vcc_lo, v5, v5
	v_lshrrev_b32_e32 v7, 16, v7
	s_delay_alu instid0(VALU_DEP_1)
	v_cndmask_b32_e32 v5, 0x7fc0, v7, vcc_lo
	s_branch .LBB175_2429
.LBB175_2428:
	s_mov_b32 s19, -1
                                        ; implicit-def: $vgpr5
.LBB175_2429:
	s_mov_b32 s22, 0
.LBB175_2430:
	s_delay_alu instid0(SALU_CYCLE_1)
	s_and_b32 vcc_lo, exec_lo, s22
	s_cbranch_vccz .LBB175_2434
; %bb.2431:
	s_cmp_eq_u32 s18, 29
	s_cbranch_scc0 .LBB175_2433
; %bb.2432:
	global_load_b64 v[28:29], v[26:27], off
	s_mov_b32 s19, 0
	s_mov_b32 s21, -1
	s_mov_b32 s22, 0
	s_wait_loadcnt 0x0
	v_clz_i32_u32_e32 v5, v29
	s_delay_alu instid0(VALU_DEP_1) | instskip(NEXT) | instid1(VALU_DEP_1)
	v_min_u32_e32 v5, 32, v5
	v_lshlrev_b64_e32 v[28:29], v5, v[28:29]
	v_sub_nc_u32_e32 v5, 32, v5
	s_delay_alu instid0(VALU_DEP_2) | instskip(NEXT) | instid1(VALU_DEP_1)
	v_min_u32_e32 v7, 1, v28
	v_or_b32_e32 v7, v29, v7
	s_delay_alu instid0(VALU_DEP_1) | instskip(NEXT) | instid1(VALU_DEP_1)
	v_cvt_f32_u32_e32 v7, v7
	v_ldexp_f32 v5, v7, v5
	s_delay_alu instid0(VALU_DEP_1) | instskip(NEXT) | instid1(VALU_DEP_1)
	v_bfe_u32 v7, v5, 16, 1
	v_add3_u32 v5, v5, v7, 0x7fff
	s_delay_alu instid0(VALU_DEP_1)
	v_lshrrev_b32_e32 v5, 16, v5
	s_branch .LBB175_2435
.LBB175_2433:
	s_mov_b32 s19, -1
                                        ; implicit-def: $vgpr5
.LBB175_2434:
	s_mov_b32 s22, 0
.LBB175_2435:
	s_delay_alu instid0(SALU_CYCLE_1)
	s_and_b32 vcc_lo, exec_lo, s22
	s_cbranch_vccz .LBB175_2453
; %bb.2436:
	s_cmp_lt_i32 s18, 27
	s_cbranch_scc1 .LBB175_2439
; %bb.2437:
	s_cmp_gt_i32 s18, 27
	s_cbranch_scc0 .LBB175_2440
; %bb.2438:
	s_wait_loadcnt 0x0
	global_load_b32 v5, v[26:27], off
	s_mov_b32 s21, 0
	s_wait_loadcnt 0x0
	v_cvt_f32_u32_e32 v5, v5
	s_delay_alu instid0(VALU_DEP_1) | instskip(NEXT) | instid1(VALU_DEP_1)
	v_bfe_u32 v7, v5, 16, 1
	v_add3_u32 v5, v5, v7, 0x7fff
	s_delay_alu instid0(VALU_DEP_1)
	v_lshrrev_b32_e32 v5, 16, v5
	s_branch .LBB175_2441
.LBB175_2439:
	s_mov_b32 s21, -1
                                        ; implicit-def: $vgpr5
	s_branch .LBB175_2444
.LBB175_2440:
	s_mov_b32 s21, -1
                                        ; implicit-def: $vgpr5
.LBB175_2441:
	s_delay_alu instid0(SALU_CYCLE_1)
	s_and_not1_b32 vcc_lo, exec_lo, s21
	s_cbranch_vccnz .LBB175_2443
; %bb.2442:
	s_wait_loadcnt 0x0
	global_load_u16 v5, v[26:27], off
	s_wait_loadcnt 0x0
	v_cvt_f32_u32_e32 v5, v5
	s_delay_alu instid0(VALU_DEP_1) | instskip(NEXT) | instid1(VALU_DEP_1)
	v_bfe_u32 v7, v5, 16, 1
	v_add3_u32 v5, v5, v7, 0x7fff
	s_delay_alu instid0(VALU_DEP_1)
	v_lshrrev_b32_e32 v5, 16, v5
.LBB175_2443:
	s_mov_b32 s21, 0
.LBB175_2444:
	s_delay_alu instid0(SALU_CYCLE_1)
	s_and_not1_b32 vcc_lo, exec_lo, s21
	s_cbranch_vccnz .LBB175_2452
; %bb.2445:
	s_wait_loadcnt 0x0
	global_load_u8 v5, v[26:27], off
	s_mov_b32 s21, 0
	s_mov_b32 s22, exec_lo
	s_wait_loadcnt 0x0
	v_cmpx_lt_i16_e32 0x7f, v5
	s_xor_b32 s22, exec_lo, s22
	s_cbranch_execz .LBB175_2466
; %bb.2446:
	s_mov_b32 s21, -1
	s_mov_b32 s23, exec_lo
	v_cmpx_eq_u16_e32 0x80, v5
; %bb.2447:
	s_xor_b32 s21, exec_lo, -1
; %bb.2448:
	s_or_b32 exec_lo, exec_lo, s23
	s_delay_alu instid0(SALU_CYCLE_1)
	s_and_b32 s21, s21, exec_lo
	s_or_saveexec_b32 s22, s22
	v_mov_b32_e32 v7, 0x7f800001
	s_xor_b32 exec_lo, exec_lo, s22
	s_cbranch_execnz .LBB175_2467
.LBB175_2449:
	s_or_b32 exec_lo, exec_lo, s22
	s_and_saveexec_b32 s22, s21
	s_cbranch_execz .LBB175_2451
.LBB175_2450:
	v_and_b32_e32 v7, 0xffff, v5
	s_delay_alu instid0(VALU_DEP_1) | instskip(SKIP_1) | instid1(VALU_DEP_2)
	v_dual_lshlrev_b32 v5, 24, v5 :: v_dual_bitop2_b32 v9, 7, v7 bitop3:0x40
	v_bfe_u32 v15, v7, 3, 4
	v_and_b32_e32 v5, 0x80000000, v5
	s_delay_alu instid0(VALU_DEP_3) | instskip(NEXT) | instid1(VALU_DEP_3)
	v_clz_i32_u32_e32 v11, v9
	v_cmp_eq_u32_e32 vcc_lo, 0, v15
	s_delay_alu instid0(VALU_DEP_2) | instskip(NEXT) | instid1(VALU_DEP_1)
	v_min_u32_e32 v11, 32, v11
	v_subrev_nc_u32_e32 v13, 28, v11
	v_sub_nc_u32_e32 v11, 29, v11
	s_delay_alu instid0(VALU_DEP_2) | instskip(NEXT) | instid1(VALU_DEP_2)
	v_lshlrev_b32_e32 v7, v13, v7
	v_cndmask_b32_e32 v11, v15, v11, vcc_lo
	s_delay_alu instid0(VALU_DEP_2) | instskip(NEXT) | instid1(VALU_DEP_1)
	v_and_b32_e32 v7, 7, v7
	v_cndmask_b32_e32 v7, v9, v7, vcc_lo
	s_delay_alu instid0(VALU_DEP_3) | instskip(NEXT) | instid1(VALU_DEP_2)
	v_lshl_add_u32 v9, v11, 23, 0x3b800000
	v_lshlrev_b32_e32 v7, 20, v7
	s_delay_alu instid0(VALU_DEP_1)
	v_or3_b32 v7, v5, v9, v7
.LBB175_2451:
	s_or_b32 exec_lo, exec_lo, s22
	s_delay_alu instid0(VALU_DEP_1) | instskip(SKIP_1) | instid1(VALU_DEP_2)
	v_bfe_u32 v5, v7, 16, 1
	v_cmp_o_f32_e32 vcc_lo, v7, v7
	v_add3_u32 v5, v7, v5, 0x7fff
	s_delay_alu instid0(VALU_DEP_1) | instskip(NEXT) | instid1(VALU_DEP_1)
	v_lshrrev_b32_e32 v5, 16, v5
	v_cndmask_b32_e32 v5, 0x7fc0, v5, vcc_lo
.LBB175_2452:
	s_mov_b32 s21, -1
.LBB175_2453:
	s_mov_b32 s22, 0
.LBB175_2454:
	s_delay_alu instid0(SALU_CYCLE_1)
	s_and_b32 vcc_lo, exec_lo, s22
	s_cbranch_vccz .LBB175_2487
; %bb.2455:
	s_cmp_gt_i32 s18, 22
	s_cbranch_scc0 .LBB175_2465
; %bb.2456:
	s_cmp_lt_i32 s18, 24
	s_cbranch_scc1 .LBB175_2468
; %bb.2457:
	s_cmp_gt_i32 s18, 24
	s_cbranch_scc0 .LBB175_2469
; %bb.2458:
	s_wait_loadcnt 0x0
	global_load_u8 v5, v[26:27], off
	s_mov_b32 s21, exec_lo
	s_wait_loadcnt 0x0
	v_cmpx_lt_i16_e32 0x7f, v5
	s_xor_b32 s21, exec_lo, s21
	s_cbranch_execz .LBB175_2481
; %bb.2459:
	s_mov_b32 s20, -1
	s_mov_b32 s22, exec_lo
	v_cmpx_eq_u16_e32 0x80, v5
; %bb.2460:
	s_xor_b32 s20, exec_lo, -1
; %bb.2461:
	s_or_b32 exec_lo, exec_lo, s22
	s_delay_alu instid0(SALU_CYCLE_1)
	s_and_b32 s20, s20, exec_lo
	s_or_saveexec_b32 s21, s21
	v_mov_b32_e32 v7, 0x7f800001
	s_xor_b32 exec_lo, exec_lo, s21
	s_cbranch_execnz .LBB175_2482
.LBB175_2462:
	s_or_b32 exec_lo, exec_lo, s21
	s_and_saveexec_b32 s21, s20
	s_cbranch_execz .LBB175_2464
.LBB175_2463:
	v_and_b32_e32 v7, 0xffff, v5
	s_delay_alu instid0(VALU_DEP_1) | instskip(SKIP_1) | instid1(VALU_DEP_2)
	v_dual_lshlrev_b32 v5, 24, v5 :: v_dual_bitop2_b32 v9, 3, v7 bitop3:0x40
	v_bfe_u32 v15, v7, 2, 5
	v_and_b32_e32 v5, 0x80000000, v5
	s_delay_alu instid0(VALU_DEP_3) | instskip(NEXT) | instid1(VALU_DEP_3)
	v_clz_i32_u32_e32 v11, v9
	v_cmp_eq_u32_e32 vcc_lo, 0, v15
	s_delay_alu instid0(VALU_DEP_2) | instskip(NEXT) | instid1(VALU_DEP_1)
	v_min_u32_e32 v11, 32, v11
	v_subrev_nc_u32_e32 v13, 29, v11
	v_sub_nc_u32_e32 v11, 30, v11
	s_delay_alu instid0(VALU_DEP_2) | instskip(NEXT) | instid1(VALU_DEP_2)
	v_lshlrev_b32_e32 v7, v13, v7
	v_cndmask_b32_e32 v11, v15, v11, vcc_lo
	s_delay_alu instid0(VALU_DEP_2) | instskip(NEXT) | instid1(VALU_DEP_1)
	v_and_b32_e32 v7, 3, v7
	v_cndmask_b32_e32 v7, v9, v7, vcc_lo
	s_delay_alu instid0(VALU_DEP_3) | instskip(NEXT) | instid1(VALU_DEP_2)
	v_lshl_add_u32 v9, v11, 23, 0x37800000
	v_lshlrev_b32_e32 v7, 21, v7
	s_delay_alu instid0(VALU_DEP_1)
	v_or3_b32 v7, v5, v9, v7
.LBB175_2464:
	s_or_b32 exec_lo, exec_lo, s21
	s_delay_alu instid0(VALU_DEP_1) | instskip(SKIP_2) | instid1(VALU_DEP_2)
	v_bfe_u32 v5, v7, 16, 1
	v_cmp_o_f32_e32 vcc_lo, v7, v7
	s_mov_b32 s20, 0
	v_add3_u32 v5, v7, v5, 0x7fff
	s_delay_alu instid0(VALU_DEP_1) | instskip(NEXT) | instid1(VALU_DEP_1)
	v_lshrrev_b32_e32 v5, 16, v5
	v_cndmask_b32_e32 v5, 0x7fc0, v5, vcc_lo
	s_branch .LBB175_2470
.LBB175_2465:
	s_mov_b32 s20, -1
                                        ; implicit-def: $vgpr5
	s_branch .LBB175_2476
.LBB175_2466:
	s_or_saveexec_b32 s22, s22
	v_mov_b32_e32 v7, 0x7f800001
	s_xor_b32 exec_lo, exec_lo, s22
	s_cbranch_execz .LBB175_2449
.LBB175_2467:
	v_cmp_ne_u16_e32 vcc_lo, 0, v5
	v_mov_b32_e32 v7, 0
	s_and_not1_b32 s21, s21, exec_lo
	s_and_b32 s23, vcc_lo, exec_lo
	s_delay_alu instid0(SALU_CYCLE_1)
	s_or_b32 s21, s21, s23
	s_or_b32 exec_lo, exec_lo, s22
	s_and_saveexec_b32 s22, s21
	s_cbranch_execnz .LBB175_2450
	s_branch .LBB175_2451
.LBB175_2468:
	s_mov_b32 s20, -1
                                        ; implicit-def: $vgpr5
	s_branch .LBB175_2473
.LBB175_2469:
	s_mov_b32 s20, -1
                                        ; implicit-def: $vgpr5
.LBB175_2470:
	s_delay_alu instid0(SALU_CYCLE_1)
	s_and_b32 vcc_lo, exec_lo, s20
	s_cbranch_vccz .LBB175_2472
; %bb.2471:
	s_wait_loadcnt 0x0
	global_load_u8 v5, v[26:27], off
	s_wait_loadcnt 0x0
	v_lshlrev_b32_e32 v5, 24, v5
	s_delay_alu instid0(VALU_DEP_1) | instskip(NEXT) | instid1(VALU_DEP_1)
	v_and_b32_e32 v7, 0x7f000000, v5
	v_clz_i32_u32_e32 v9, v7
	v_add_nc_u32_e32 v13, 0x1000000, v7
	v_cmp_ne_u32_e32 vcc_lo, 0, v7
	s_delay_alu instid0(VALU_DEP_3) | instskip(NEXT) | instid1(VALU_DEP_1)
	v_min_u32_e32 v9, 32, v9
	v_sub_nc_u32_e64 v9, v9, 4 clamp
	s_delay_alu instid0(VALU_DEP_1) | instskip(NEXT) | instid1(VALU_DEP_1)
	v_dual_lshlrev_b32 v11, v9, v7 :: v_dual_lshlrev_b32 v9, 23, v9
	v_lshrrev_b32_e32 v11, 4, v11
	s_delay_alu instid0(VALU_DEP_1) | instskip(SKIP_1) | instid1(VALU_DEP_2)
	v_sub_nc_u32_e32 v9, v11, v9
	v_ashrrev_i32_e32 v11, 8, v13
	v_add_nc_u32_e32 v9, 0x3c000000, v9
	s_delay_alu instid0(VALU_DEP_1) | instskip(NEXT) | instid1(VALU_DEP_1)
	v_and_or_b32 v9, 0x7f800000, v11, v9
	v_cndmask_b32_e32 v7, 0, v9, vcc_lo
	s_delay_alu instid0(VALU_DEP_1) | instskip(SKIP_1) | instid1(VALU_DEP_2)
	v_and_or_b32 v5, 0x80000000, v5, v7
	v_bfe_u32 v7, v7, 16, 1
	v_cmp_o_f32_e32 vcc_lo, v5, v5
	s_delay_alu instid0(VALU_DEP_2) | instskip(NEXT) | instid1(VALU_DEP_1)
	v_add3_u32 v7, v5, v7, 0x7fff
	v_lshrrev_b32_e32 v7, 16, v7
	s_delay_alu instid0(VALU_DEP_1)
	v_cndmask_b32_e32 v5, 0x7fc0, v7, vcc_lo
.LBB175_2472:
	s_mov_b32 s20, 0
.LBB175_2473:
	s_delay_alu instid0(SALU_CYCLE_1)
	s_and_not1_b32 vcc_lo, exec_lo, s20
	s_cbranch_vccnz .LBB175_2475
; %bb.2474:
	s_wait_loadcnt 0x0
	global_load_u8 v5, v[26:27], off
	s_wait_loadcnt 0x0
	v_lshlrev_b32_e32 v7, 25, v5
	v_lshlrev_b16 v5, 8, v5
	s_delay_alu instid0(VALU_DEP_1) | instskip(SKIP_1) | instid1(VALU_DEP_2)
	v_and_or_b32 v11, 0x7f00, v5, 0.5
	v_bfe_i32 v5, v5, 0, 16
	v_add_f32_e32 v11, -0.5, v11
	v_lshrrev_b32_e32 v9, 4, v7
	v_cmp_gt_u32_e32 vcc_lo, 0x8000000, v7
	s_delay_alu instid0(VALU_DEP_2) | instskip(NEXT) | instid1(VALU_DEP_1)
	v_or_b32_e32 v9, 0x70000000, v9
	v_mul_f32_e32 v9, 0x7800000, v9
	s_delay_alu instid0(VALU_DEP_1) | instskip(NEXT) | instid1(VALU_DEP_1)
	v_cndmask_b32_e32 v7, v9, v11, vcc_lo
	v_and_or_b32 v5, 0x80000000, v5, v7
	v_bfe_u32 v7, v7, 16, 1
	s_delay_alu instid0(VALU_DEP_2) | instskip(NEXT) | instid1(VALU_DEP_2)
	v_cmp_o_f32_e32 vcc_lo, v5, v5
	v_add3_u32 v7, v5, v7, 0x7fff
	s_delay_alu instid0(VALU_DEP_1) | instskip(NEXT) | instid1(VALU_DEP_1)
	v_lshrrev_b32_e32 v7, 16, v7
	v_cndmask_b32_e32 v5, 0x7fc0, v7, vcc_lo
.LBB175_2475:
	s_mov_b32 s20, 0
	s_mov_b32 s21, -1
.LBB175_2476:
	s_and_not1_b32 vcc_lo, exec_lo, s20
	s_mov_b32 s20, 0
	s_cbranch_vccnz .LBB175_2487
; %bb.2477:
	s_cmp_gt_i32 s18, 14
	s_cbranch_scc0 .LBB175_2480
; %bb.2478:
	s_cmp_eq_u32 s18, 15
	s_cbranch_scc0 .LBB175_2483
; %bb.2479:
	s_wait_loadcnt 0x0
	global_load_u16 v5, v[26:27], off
	s_mov_b32 s19, 0
	s_mov_b32 s21, -1
	s_branch .LBB175_2485
.LBB175_2480:
	s_mov_b32 s20, -1
	s_branch .LBB175_2484
.LBB175_2481:
	s_or_saveexec_b32 s21, s21
	v_mov_b32_e32 v7, 0x7f800001
	s_xor_b32 exec_lo, exec_lo, s21
	s_cbranch_execz .LBB175_2462
.LBB175_2482:
	v_cmp_ne_u16_e32 vcc_lo, 0, v5
	v_mov_b32_e32 v7, 0
	s_and_not1_b32 s20, s20, exec_lo
	s_and_b32 s22, vcc_lo, exec_lo
	s_delay_alu instid0(SALU_CYCLE_1)
	s_or_b32 s20, s20, s22
	s_or_b32 exec_lo, exec_lo, s21
	s_and_saveexec_b32 s21, s20
	s_cbranch_execnz .LBB175_2463
	s_branch .LBB175_2464
.LBB175_2483:
	s_mov_b32 s19, -1
.LBB175_2484:
                                        ; implicit-def: $vgpr5
.LBB175_2485:
	s_and_b32 vcc_lo, exec_lo, s20
	s_mov_b32 s20, 0
	s_cbranch_vccz .LBB175_2487
; %bb.2486:
	s_cmp_lg_u32 s18, 11
	s_mov_b32 s20, -1
	s_cselect_b32 s19, -1, 0
.LBB175_2487:
	s_delay_alu instid0(SALU_CYCLE_1)
	s_and_b32 vcc_lo, exec_lo, s19
	s_cbranch_vccnz .LBB175_2550
; %bb.2488:
	s_and_not1_b32 vcc_lo, exec_lo, s20
	s_cbranch_vccnz .LBB175_2490
.LBB175_2489:
	s_wait_loadcnt 0x0
	global_load_u8 v5, v[26:27], off
	s_mov_b32 s21, -1
	s_wait_loadcnt 0x0
	v_cmp_ne_u16_e32 vcc_lo, 0, v5
	v_cndmask_b32_e64 v5, 0, 1.0, vcc_lo
	s_delay_alu instid0(VALU_DEP_1)
	v_lshrrev_b32_e32 v5, 16, v5
.LBB175_2490:
	s_branch .LBB175_2417
.LBB175_2491:
	s_and_b32 s18, 0xffff, s17
	s_delay_alu instid0(SALU_CYCLE_1)
	s_cmp_lt_i32 s18, 5
	s_cbranch_scc1 .LBB175_2496
; %bb.2492:
	s_cmp_lt_i32 s18, 8
	s_cbranch_scc1 .LBB175_2497
; %bb.2493:
	;; [unrolled: 3-line block ×3, first 2 shown]
	s_cmp_gt_i32 s18, 9
	s_cbranch_scc0 .LBB175_2499
; %bb.2495:
	global_load_b64 v[28:29], v[26:27], off
	s_mov_b32 s19, 0
	s_wait_loadcnt 0x0
	v_cvt_f32_f64_e32 v5, v[28:29]
	s_delay_alu instid0(VALU_DEP_1) | instskip(SKIP_1) | instid1(VALU_DEP_2)
	v_bfe_u32 v7, v5, 16, 1
	v_cmp_o_f32_e32 vcc_lo, v5, v5
	v_add3_u32 v7, v5, v7, 0x7fff
	s_delay_alu instid0(VALU_DEP_1) | instskip(NEXT) | instid1(VALU_DEP_1)
	v_lshrrev_b32_e32 v7, 16, v7
	v_cndmask_b32_e32 v5, 0x7fc0, v7, vcc_lo
	s_branch .LBB175_2500
.LBB175_2496:
	s_mov_b32 s19, -1
                                        ; implicit-def: $vgpr5
	s_branch .LBB175_2518
.LBB175_2497:
	s_mov_b32 s19, -1
                                        ; implicit-def: $vgpr5
	s_branch .LBB175_2506
.LBB175_2498:
	s_mov_b32 s19, -1
                                        ; implicit-def: $vgpr5
	s_branch .LBB175_2503
.LBB175_2499:
	s_mov_b32 s19, -1
                                        ; implicit-def: $vgpr5
.LBB175_2500:
	s_delay_alu instid0(SALU_CYCLE_1)
	s_and_not1_b32 vcc_lo, exec_lo, s19
	s_cbranch_vccnz .LBB175_2502
; %bb.2501:
	s_wait_loadcnt 0x0
	global_load_b32 v5, v[26:27], off
	s_wait_loadcnt 0x0
	v_bfe_u32 v7, v5, 16, 1
	v_cmp_o_f32_e32 vcc_lo, v5, v5
	s_delay_alu instid0(VALU_DEP_2) | instskip(NEXT) | instid1(VALU_DEP_1)
	v_add3_u32 v7, v5, v7, 0x7fff
	v_lshrrev_b32_e32 v7, 16, v7
	s_delay_alu instid0(VALU_DEP_1)
	v_cndmask_b32_e32 v5, 0x7fc0, v7, vcc_lo
.LBB175_2502:
	s_mov_b32 s19, 0
.LBB175_2503:
	s_delay_alu instid0(SALU_CYCLE_1)
	s_and_not1_b32 vcc_lo, exec_lo, s19
	s_cbranch_vccnz .LBB175_2505
; %bb.2504:
	s_wait_loadcnt 0x0
	global_load_b32 v5, v[26:27], off
	s_wait_loadcnt 0x0
	v_cvt_f32_f16_e32 v7, v5
	v_cmp_o_f16_e32 vcc_lo, v5, v5
	s_delay_alu instid0(VALU_DEP_2) | instskip(NEXT) | instid1(VALU_DEP_1)
	v_bfe_u32 v9, v7, 16, 1
	v_add3_u32 v7, v7, v9, 0x7fff
	s_delay_alu instid0(VALU_DEP_1) | instskip(NEXT) | instid1(VALU_DEP_1)
	v_lshrrev_b32_e32 v7, 16, v7
	v_cndmask_b32_e32 v5, 0x7fc0, v7, vcc_lo
.LBB175_2505:
	s_mov_b32 s19, 0
.LBB175_2506:
	s_delay_alu instid0(SALU_CYCLE_1)
	s_and_not1_b32 vcc_lo, exec_lo, s19
	s_cbranch_vccnz .LBB175_2517
; %bb.2507:
	s_cmp_lt_i32 s18, 6
	s_cbranch_scc1 .LBB175_2510
; %bb.2508:
	s_cmp_gt_i32 s18, 6
	s_cbranch_scc0 .LBB175_2511
; %bb.2509:
	global_load_b64 v[28:29], v[26:27], off
	s_mov_b32 s19, 0
	s_wait_loadcnt 0x0
	v_cvt_f32_f64_e32 v5, v[28:29]
	s_delay_alu instid0(VALU_DEP_1) | instskip(SKIP_1) | instid1(VALU_DEP_2)
	v_bfe_u32 v7, v5, 16, 1
	v_cmp_o_f32_e32 vcc_lo, v5, v5
	v_add3_u32 v7, v5, v7, 0x7fff
	s_delay_alu instid0(VALU_DEP_1) | instskip(NEXT) | instid1(VALU_DEP_1)
	v_lshrrev_b32_e32 v7, 16, v7
	v_cndmask_b32_e32 v5, 0x7fc0, v7, vcc_lo
	s_branch .LBB175_2512
.LBB175_2510:
	s_mov_b32 s19, -1
                                        ; implicit-def: $vgpr5
	s_branch .LBB175_2515
.LBB175_2511:
	s_mov_b32 s19, -1
                                        ; implicit-def: $vgpr5
.LBB175_2512:
	s_delay_alu instid0(SALU_CYCLE_1)
	s_and_not1_b32 vcc_lo, exec_lo, s19
	s_cbranch_vccnz .LBB175_2514
; %bb.2513:
	s_wait_loadcnt 0x0
	global_load_b32 v5, v[26:27], off
	s_wait_loadcnt 0x0
	v_bfe_u32 v7, v5, 16, 1
	v_cmp_o_f32_e32 vcc_lo, v5, v5
	s_delay_alu instid0(VALU_DEP_2) | instskip(NEXT) | instid1(VALU_DEP_1)
	v_add3_u32 v7, v5, v7, 0x7fff
	v_lshrrev_b32_e32 v7, 16, v7
	s_delay_alu instid0(VALU_DEP_1)
	v_cndmask_b32_e32 v5, 0x7fc0, v7, vcc_lo
.LBB175_2514:
	s_mov_b32 s19, 0
.LBB175_2515:
	s_delay_alu instid0(SALU_CYCLE_1)
	s_and_not1_b32 vcc_lo, exec_lo, s19
	s_cbranch_vccnz .LBB175_2517
; %bb.2516:
	s_wait_loadcnt 0x0
	global_load_u16 v5, v[26:27], off
	s_wait_loadcnt 0x0
	v_cvt_f32_f16_e32 v7, v5
	v_cmp_o_f16_e32 vcc_lo, v5, v5
	s_delay_alu instid0(VALU_DEP_2) | instskip(NEXT) | instid1(VALU_DEP_1)
	v_bfe_u32 v9, v7, 16, 1
	v_add3_u32 v7, v7, v9, 0x7fff
	s_delay_alu instid0(VALU_DEP_1) | instskip(NEXT) | instid1(VALU_DEP_1)
	v_lshrrev_b32_e32 v7, 16, v7
	v_cndmask_b32_e32 v5, 0x7fc0, v7, vcc_lo
.LBB175_2517:
	s_mov_b32 s19, 0
.LBB175_2518:
	s_delay_alu instid0(SALU_CYCLE_1)
	s_and_not1_b32 vcc_lo, exec_lo, s19
	s_cbranch_vccnz .LBB175_2538
; %bb.2519:
	s_cmp_lt_i32 s18, 2
	s_cbranch_scc1 .LBB175_2523
; %bb.2520:
	s_cmp_lt_i32 s18, 3
	s_cbranch_scc1 .LBB175_2524
; %bb.2521:
	s_cmp_gt_i32 s18, 3
	s_cbranch_scc0 .LBB175_2525
; %bb.2522:
	global_load_b64 v[28:29], v[26:27], off
	s_mov_b32 s19, 0
	s_wait_loadcnt 0x0
	v_xor_b32_e32 v5, v28, v29
	v_cls_i32_e32 v7, v29
	s_delay_alu instid0(VALU_DEP_2) | instskip(NEXT) | instid1(VALU_DEP_1)
	v_ashrrev_i32_e32 v5, 31, v5
	v_add_nc_u32_e32 v5, 32, v5
	s_delay_alu instid0(VALU_DEP_1) | instskip(NEXT) | instid1(VALU_DEP_1)
	v_add_min_u32_e64 v5, v7, -1, v5
	v_lshlrev_b64_e32 v[28:29], v5, v[28:29]
	v_sub_nc_u32_e32 v5, 32, v5
	s_delay_alu instid0(VALU_DEP_2) | instskip(NEXT) | instid1(VALU_DEP_1)
	v_min_u32_e32 v7, 1, v28
	v_or_b32_e32 v7, v29, v7
	s_delay_alu instid0(VALU_DEP_1) | instskip(NEXT) | instid1(VALU_DEP_1)
	v_cvt_f32_i32_e32 v7, v7
	v_ldexp_f32 v5, v7, v5
	s_delay_alu instid0(VALU_DEP_1) | instskip(NEXT) | instid1(VALU_DEP_1)
	v_bfe_u32 v7, v5, 16, 1
	v_add3_u32 v5, v5, v7, 0x7fff
	s_delay_alu instid0(VALU_DEP_1)
	v_lshrrev_b32_e32 v5, 16, v5
	s_branch .LBB175_2526
.LBB175_2523:
	s_mov_b32 s19, -1
                                        ; implicit-def: $vgpr5
	s_branch .LBB175_2532
.LBB175_2524:
	s_mov_b32 s19, -1
                                        ; implicit-def: $vgpr5
	s_branch .LBB175_2529
.LBB175_2525:
	s_mov_b32 s19, -1
                                        ; implicit-def: $vgpr5
.LBB175_2526:
	s_delay_alu instid0(SALU_CYCLE_1)
	s_and_not1_b32 vcc_lo, exec_lo, s19
	s_cbranch_vccnz .LBB175_2528
; %bb.2527:
	s_wait_loadcnt 0x0
	global_load_b32 v5, v[26:27], off
	s_wait_loadcnt 0x0
	v_cvt_f32_i32_e32 v5, v5
	s_delay_alu instid0(VALU_DEP_1) | instskip(NEXT) | instid1(VALU_DEP_1)
	v_bfe_u32 v7, v5, 16, 1
	v_add3_u32 v5, v5, v7, 0x7fff
	s_delay_alu instid0(VALU_DEP_1)
	v_lshrrev_b32_e32 v5, 16, v5
.LBB175_2528:
	s_mov_b32 s19, 0
.LBB175_2529:
	s_delay_alu instid0(SALU_CYCLE_1)
	s_and_not1_b32 vcc_lo, exec_lo, s19
	s_cbranch_vccnz .LBB175_2531
; %bb.2530:
	s_wait_loadcnt 0x0
	global_load_i16 v5, v[26:27], off
	s_wait_loadcnt 0x0
	v_cvt_f32_i32_e32 v5, v5
	s_delay_alu instid0(VALU_DEP_1) | instskip(NEXT) | instid1(VALU_DEP_1)
	v_bfe_u32 v7, v5, 16, 1
	v_add3_u32 v5, v5, v7, 0x7fff
	s_delay_alu instid0(VALU_DEP_1)
	v_lshrrev_b32_e32 v5, 16, v5
.LBB175_2531:
	s_mov_b32 s19, 0
.LBB175_2532:
	s_delay_alu instid0(SALU_CYCLE_1)
	s_and_not1_b32 vcc_lo, exec_lo, s19
	s_cbranch_vccnz .LBB175_2538
; %bb.2533:
	s_cmp_gt_i32 s18, 0
	s_mov_b32 s18, 0
	s_cbranch_scc0 .LBB175_2535
; %bb.2534:
	s_wait_loadcnt 0x0
	global_load_i8 v5, v[26:27], off
	s_wait_loadcnt 0x0
	v_cvt_f32_i32_e32 v5, v5
	s_delay_alu instid0(VALU_DEP_1) | instskip(NEXT) | instid1(VALU_DEP_1)
	v_bfe_u32 v7, v5, 16, 1
	v_add3_u32 v5, v5, v7, 0x7fff
	s_delay_alu instid0(VALU_DEP_1)
	v_lshrrev_b32_e32 v5, 16, v5
	s_branch .LBB175_2536
.LBB175_2535:
	s_mov_b32 s18, -1
                                        ; implicit-def: $vgpr5
.LBB175_2536:
	s_delay_alu instid0(SALU_CYCLE_1)
	s_and_not1_b32 vcc_lo, exec_lo, s18
	s_cbranch_vccnz .LBB175_2538
; %bb.2537:
	s_wait_loadcnt 0x0
	global_load_u8 v5, v[26:27], off
	s_wait_loadcnt 0x0
	v_cvt_f32_ubyte0_e32 v5, v5
	s_delay_alu instid0(VALU_DEP_1) | instskip(NEXT) | instid1(VALU_DEP_1)
	v_bfe_u32 v7, v5, 16, 1
	v_add3_u32 v5, v5, v7, 0x7fff
	s_delay_alu instid0(VALU_DEP_1)
	v_lshrrev_b32_e32 v5, 16, v5
.LBB175_2538:
.LBB175_2539:
	v_mov_b32_e32 v25, 0
	s_and_b32 s15, 0xffff, s15
	s_delay_alu instid0(SALU_CYCLE_1) | instskip(NEXT) | instid1(VALU_DEP_1)
	s_cmp_lt_i32 s15, 11
	v_add_nc_u64_e32 v[24:25], s[6:7], v[24:25]
	s_cbranch_scc1 .LBB175_2546
; %bb.2540:
	s_cmp_gt_i32 s15, 25
	s_mov_b32 s19, 0
	s_cbranch_scc0 .LBB175_2547
; %bb.2541:
	s_cmp_gt_i32 s15, 28
	s_cbranch_scc0 .LBB175_2548
; %bb.2542:
	s_cmp_gt_i32 s15, 43
	;; [unrolled: 3-line block ×3, first 2 shown]
	s_cbranch_scc0 .LBB175_2551
; %bb.2544:
	s_cmp_eq_u32 s15, 46
	s_mov_b32 s21, 0
	s_cbranch_scc0 .LBB175_2552
; %bb.2545:
	global_load_b32 v26, v[24:25], off
	s_mov_b32 s18, 0
	s_mov_b32 s20, -1
	s_branch .LBB175_2554
.LBB175_2546:
	s_mov_b32 s18, -1
	s_mov_b32 s20, 0
                                        ; implicit-def: $vgpr26
	s_branch .LBB175_2620
.LBB175_2547:
	s_mov_b32 s21, -1
	s_mov_b32 s20, 0
	s_mov_b32 s18, 0
                                        ; implicit-def: $vgpr26
	s_branch .LBB175_2583
.LBB175_2548:
	s_mov_b32 s21, -1
	s_mov_b32 s20, 0
	s_mov_b32 s18, 0
                                        ; implicit-def: $vgpr26
	s_branch .LBB175_2564
.LBB175_2549:
	s_mov_b32 s21, -1
	s_mov_b32 s20, 0
	s_mov_b32 s18, 0
                                        ; implicit-def: $vgpr26
	s_branch .LBB175_2559
.LBB175_2550:
	s_or_b32 s1, s1, exec_lo
	s_trap 2
	s_cbranch_execz .LBB175_2489
	s_branch .LBB175_2490
.LBB175_2551:
	s_mov_b32 s21, -1
	s_mov_b32 s20, 0
	s_mov_b32 s18, 0
	s_branch .LBB175_2553
.LBB175_2552:
	s_mov_b32 s18, -1
	s_mov_b32 s20, 0
.LBB175_2553:
                                        ; implicit-def: $vgpr26
.LBB175_2554:
	s_and_b32 vcc_lo, exec_lo, s21
	s_cbranch_vccz .LBB175_2558
; %bb.2555:
	s_cmp_eq_u32 s15, 44
	s_cbranch_scc0 .LBB175_2557
; %bb.2556:
	global_load_u8 v7, v[24:25], off
	s_mov_b32 s18, 0
	s_mov_b32 s20, -1
	s_wait_loadcnt 0x0
	v_lshlrev_b32_e32 v9, 23, v7
	v_cmp_ne_u32_e32 vcc_lo, 0xff, v7
	s_delay_alu instid0(VALU_DEP_2) | instskip(SKIP_1) | instid1(VALU_DEP_2)
	v_cndmask_b32_e32 v9, 0x7f800001, v9, vcc_lo
	v_cmp_ne_u32_e32 vcc_lo, 0, v7
	v_cndmask_b32_e32 v7, 0x400000, v9, vcc_lo
	s_delay_alu instid0(VALU_DEP_1) | instskip(SKIP_1) | instid1(VALU_DEP_2)
	v_add_nc_u32_e32 v9, 0x7fff, v7
	v_cmp_o_f32_e32 vcc_lo, v7, v7
	v_lshrrev_b32_e32 v9, 16, v9
	s_wait_xcnt 0x1
	s_delay_alu instid0(VALU_DEP_1)
	v_cndmask_b32_e32 v26, 0x7fc0, v9, vcc_lo
	s_branch .LBB175_2558
.LBB175_2557:
	s_mov_b32 s18, -1
                                        ; implicit-def: $vgpr26
.LBB175_2558:
	s_mov_b32 s21, 0
.LBB175_2559:
	s_delay_alu instid0(SALU_CYCLE_1)
	s_and_b32 vcc_lo, exec_lo, s21
	s_cbranch_vccz .LBB175_2563
; %bb.2560:
	s_cmp_eq_u32 s15, 29
	s_cbranch_scc0 .LBB175_2562
; %bb.2561:
	s_wait_loadcnt 0x0
	global_load_b64 v[26:27], v[24:25], off
	s_mov_b32 s18, 0
	s_mov_b32 s20, -1
	s_mov_b32 s21, 0
	s_wait_loadcnt 0x0
	v_clz_i32_u32_e32 v7, v27
	s_delay_alu instid0(VALU_DEP_1) | instskip(NEXT) | instid1(VALU_DEP_1)
	v_min_u32_e32 v7, 32, v7
	v_lshlrev_b64_e32 v[26:27], v7, v[26:27]
	v_sub_nc_u32_e32 v7, 32, v7
	s_delay_alu instid0(VALU_DEP_2) | instskip(NEXT) | instid1(VALU_DEP_1)
	v_min_u32_e32 v9, 1, v26
	v_or_b32_e32 v9, v27, v9
	s_delay_alu instid0(VALU_DEP_1) | instskip(NEXT) | instid1(VALU_DEP_1)
	v_cvt_f32_u32_e32 v9, v9
	v_ldexp_f32 v7, v9, v7
	s_delay_alu instid0(VALU_DEP_1) | instskip(NEXT) | instid1(VALU_DEP_1)
	v_bfe_u32 v9, v7, 16, 1
	v_add3_u32 v7, v7, v9, 0x7fff
	s_delay_alu instid0(VALU_DEP_1)
	v_lshrrev_b32_e32 v26, 16, v7
	s_branch .LBB175_2564
.LBB175_2562:
	s_mov_b32 s18, -1
                                        ; implicit-def: $vgpr26
.LBB175_2563:
	s_mov_b32 s21, 0
.LBB175_2564:
	s_delay_alu instid0(SALU_CYCLE_1)
	s_and_b32 vcc_lo, exec_lo, s21
	s_cbranch_vccz .LBB175_2582
; %bb.2565:
	s_cmp_lt_i32 s15, 27
	s_cbranch_scc1 .LBB175_2568
; %bb.2566:
	s_cmp_gt_i32 s15, 27
	s_cbranch_scc0 .LBB175_2569
; %bb.2567:
	global_load_b32 v7, v[24:25], off
	s_mov_b32 s20, 0
	s_wait_loadcnt 0x0
	v_cvt_f32_u32_e32 v7, v7
	s_delay_alu instid0(VALU_DEP_1) | instskip(NEXT) | instid1(VALU_DEP_1)
	v_bfe_u32 v9, v7, 16, 1
	v_add3_u32 v7, v7, v9, 0x7fff
	s_wait_xcnt 0x1
	s_delay_alu instid0(VALU_DEP_1)
	v_lshrrev_b32_e32 v26, 16, v7
	s_branch .LBB175_2570
.LBB175_2568:
	s_mov_b32 s20, -1
                                        ; implicit-def: $vgpr26
	s_branch .LBB175_2573
.LBB175_2569:
	s_mov_b32 s20, -1
                                        ; implicit-def: $vgpr26
.LBB175_2570:
	s_delay_alu instid0(SALU_CYCLE_1)
	s_and_not1_b32 vcc_lo, exec_lo, s20
	s_cbranch_vccnz .LBB175_2572
; %bb.2571:
	global_load_u16 v7, v[24:25], off
	s_wait_loadcnt 0x0
	v_cvt_f32_u32_e32 v7, v7
	s_delay_alu instid0(VALU_DEP_1) | instskip(NEXT) | instid1(VALU_DEP_1)
	v_bfe_u32 v9, v7, 16, 1
	v_add3_u32 v7, v7, v9, 0x7fff
	s_wait_xcnt 0x1
	s_delay_alu instid0(VALU_DEP_1)
	v_lshrrev_b32_e32 v26, 16, v7
.LBB175_2572:
	s_mov_b32 s20, 0
.LBB175_2573:
	s_delay_alu instid0(SALU_CYCLE_1)
	s_and_not1_b32 vcc_lo, exec_lo, s20
	s_cbranch_vccnz .LBB175_2581
; %bb.2574:
	global_load_u8 v7, v[24:25], off
	s_mov_b32 s20, 0
	s_mov_b32 s21, exec_lo
	s_wait_loadcnt 0x0
	v_cmpx_lt_i16_e32 0x7f, v7
	s_xor_b32 s21, exec_lo, s21
	s_cbranch_execz .LBB175_2595
; %bb.2575:
	s_mov_b32 s20, -1
	s_mov_b32 s22, exec_lo
	v_cmpx_eq_u16_e32 0x80, v7
; %bb.2576:
	s_xor_b32 s20, exec_lo, -1
; %bb.2577:
	s_or_b32 exec_lo, exec_lo, s22
	s_delay_alu instid0(SALU_CYCLE_1)
	s_and_b32 s20, s20, exec_lo
	s_or_saveexec_b32 s21, s21
	v_mov_b32_e32 v9, 0x7f800001
	s_xor_b32 exec_lo, exec_lo, s21
	s_cbranch_execnz .LBB175_2596
.LBB175_2578:
	s_or_b32 exec_lo, exec_lo, s21
	s_and_saveexec_b32 s21, s20
	s_cbranch_execz .LBB175_2580
.LBB175_2579:
	v_and_b32_e32 v9, 0xffff, v7
	s_delay_alu instid0(VALU_DEP_1) | instskip(SKIP_1) | instid1(VALU_DEP_2)
	v_dual_lshlrev_b32 v7, 24, v7 :: v_dual_bitop2_b32 v11, 7, v9 bitop3:0x40
	v_bfe_u32 v17, v9, 3, 4
	v_and_b32_e32 v7, 0x80000000, v7
	s_delay_alu instid0(VALU_DEP_3) | instskip(NEXT) | instid1(VALU_DEP_3)
	v_clz_i32_u32_e32 v13, v11
	v_cmp_eq_u32_e32 vcc_lo, 0, v17
	s_delay_alu instid0(VALU_DEP_2) | instskip(NEXT) | instid1(VALU_DEP_1)
	v_min_u32_e32 v13, 32, v13
	v_subrev_nc_u32_e32 v15, 28, v13
	v_sub_nc_u32_e32 v13, 29, v13
	s_delay_alu instid0(VALU_DEP_2) | instskip(NEXT) | instid1(VALU_DEP_2)
	v_lshlrev_b32_e32 v9, v15, v9
	v_cndmask_b32_e32 v13, v17, v13, vcc_lo
	s_delay_alu instid0(VALU_DEP_2) | instskip(NEXT) | instid1(VALU_DEP_1)
	v_and_b32_e32 v9, 7, v9
	v_cndmask_b32_e32 v9, v11, v9, vcc_lo
	s_delay_alu instid0(VALU_DEP_3) | instskip(NEXT) | instid1(VALU_DEP_2)
	v_lshl_add_u32 v11, v13, 23, 0x3b800000
	v_lshlrev_b32_e32 v9, 20, v9
	s_delay_alu instid0(VALU_DEP_1)
	v_or3_b32 v9, v7, v11, v9
.LBB175_2580:
	s_or_b32 exec_lo, exec_lo, s21
	s_delay_alu instid0(VALU_DEP_1) | instskip(SKIP_1) | instid1(VALU_DEP_2)
	v_bfe_u32 v7, v9, 16, 1
	v_cmp_o_f32_e32 vcc_lo, v9, v9
	v_add3_u32 v7, v9, v7, 0x7fff
	s_delay_alu instid0(VALU_DEP_1) | instskip(NEXT) | instid1(VALU_DEP_1)
	v_lshrrev_b32_e32 v7, 16, v7
	v_cndmask_b32_e32 v26, 0x7fc0, v7, vcc_lo
.LBB175_2581:
	s_mov_b32 s20, -1
.LBB175_2582:
	s_mov_b32 s21, 0
.LBB175_2583:
	s_delay_alu instid0(SALU_CYCLE_1)
	s_and_b32 vcc_lo, exec_lo, s21
	s_cbranch_vccz .LBB175_2616
; %bb.2584:
	s_cmp_gt_i32 s15, 22
	s_cbranch_scc0 .LBB175_2594
; %bb.2585:
	s_cmp_lt_i32 s15, 24
	s_cbranch_scc1 .LBB175_2597
; %bb.2586:
	s_cmp_gt_i32 s15, 24
	s_cbranch_scc0 .LBB175_2598
; %bb.2587:
	global_load_u8 v7, v[24:25], off
	s_mov_b32 s20, exec_lo
	s_wait_loadcnt 0x0
	v_cmpx_lt_i16_e32 0x7f, v7
	s_xor_b32 s20, exec_lo, s20
	s_cbranch_execz .LBB175_2610
; %bb.2588:
	s_mov_b32 s19, -1
	s_mov_b32 s21, exec_lo
	v_cmpx_eq_u16_e32 0x80, v7
; %bb.2589:
	s_xor_b32 s19, exec_lo, -1
; %bb.2590:
	s_or_b32 exec_lo, exec_lo, s21
	s_delay_alu instid0(SALU_CYCLE_1)
	s_and_b32 s19, s19, exec_lo
	s_or_saveexec_b32 s20, s20
	v_mov_b32_e32 v9, 0x7f800001
	s_xor_b32 exec_lo, exec_lo, s20
	s_cbranch_execnz .LBB175_2611
.LBB175_2591:
	s_or_b32 exec_lo, exec_lo, s20
	s_and_saveexec_b32 s20, s19
	s_cbranch_execz .LBB175_2593
.LBB175_2592:
	v_and_b32_e32 v9, 0xffff, v7
	s_delay_alu instid0(VALU_DEP_1) | instskip(SKIP_1) | instid1(VALU_DEP_2)
	v_dual_lshlrev_b32 v7, 24, v7 :: v_dual_bitop2_b32 v11, 3, v9 bitop3:0x40
	v_bfe_u32 v17, v9, 2, 5
	v_and_b32_e32 v7, 0x80000000, v7
	s_delay_alu instid0(VALU_DEP_3) | instskip(NEXT) | instid1(VALU_DEP_3)
	v_clz_i32_u32_e32 v13, v11
	v_cmp_eq_u32_e32 vcc_lo, 0, v17
	s_delay_alu instid0(VALU_DEP_2) | instskip(NEXT) | instid1(VALU_DEP_1)
	v_min_u32_e32 v13, 32, v13
	v_subrev_nc_u32_e32 v15, 29, v13
	v_sub_nc_u32_e32 v13, 30, v13
	s_delay_alu instid0(VALU_DEP_2) | instskip(NEXT) | instid1(VALU_DEP_2)
	v_lshlrev_b32_e32 v9, v15, v9
	v_cndmask_b32_e32 v13, v17, v13, vcc_lo
	s_delay_alu instid0(VALU_DEP_2) | instskip(NEXT) | instid1(VALU_DEP_1)
	v_and_b32_e32 v9, 3, v9
	v_cndmask_b32_e32 v9, v11, v9, vcc_lo
	s_delay_alu instid0(VALU_DEP_3) | instskip(NEXT) | instid1(VALU_DEP_2)
	v_lshl_add_u32 v11, v13, 23, 0x37800000
	v_lshlrev_b32_e32 v9, 21, v9
	s_delay_alu instid0(VALU_DEP_1)
	v_or3_b32 v9, v7, v11, v9
.LBB175_2593:
	s_or_b32 exec_lo, exec_lo, s20
	s_delay_alu instid0(VALU_DEP_1) | instskip(SKIP_2) | instid1(VALU_DEP_2)
	v_bfe_u32 v7, v9, 16, 1
	v_cmp_o_f32_e32 vcc_lo, v9, v9
	s_mov_b32 s19, 0
	v_add3_u32 v7, v9, v7, 0x7fff
	s_delay_alu instid0(VALU_DEP_1) | instskip(NEXT) | instid1(VALU_DEP_1)
	v_lshrrev_b32_e32 v7, 16, v7
	v_cndmask_b32_e32 v26, 0x7fc0, v7, vcc_lo
	s_branch .LBB175_2599
.LBB175_2594:
	s_mov_b32 s19, -1
                                        ; implicit-def: $vgpr26
	s_branch .LBB175_2605
.LBB175_2595:
	s_or_saveexec_b32 s21, s21
	v_mov_b32_e32 v9, 0x7f800001
	s_xor_b32 exec_lo, exec_lo, s21
	s_cbranch_execz .LBB175_2578
.LBB175_2596:
	v_cmp_ne_u16_e32 vcc_lo, 0, v7
	v_mov_b32_e32 v9, 0
	s_and_not1_b32 s20, s20, exec_lo
	s_and_b32 s22, vcc_lo, exec_lo
	s_delay_alu instid0(SALU_CYCLE_1)
	s_or_b32 s20, s20, s22
	s_or_b32 exec_lo, exec_lo, s21
	s_and_saveexec_b32 s21, s20
	s_cbranch_execnz .LBB175_2579
	s_branch .LBB175_2580
.LBB175_2597:
	s_mov_b32 s19, -1
                                        ; implicit-def: $vgpr26
	s_branch .LBB175_2602
.LBB175_2598:
	s_mov_b32 s19, -1
                                        ; implicit-def: $vgpr26
.LBB175_2599:
	s_delay_alu instid0(SALU_CYCLE_1)
	s_and_b32 vcc_lo, exec_lo, s19
	s_cbranch_vccz .LBB175_2601
; %bb.2600:
	global_load_u8 v7, v[24:25], off
	s_wait_loadcnt 0x0
	v_lshlrev_b32_e32 v7, 24, v7
	s_delay_alu instid0(VALU_DEP_1) | instskip(NEXT) | instid1(VALU_DEP_1)
	v_and_b32_e32 v9, 0x7f000000, v7
	v_clz_i32_u32_e32 v11, v9
	v_add_nc_u32_e32 v15, 0x1000000, v9
	v_cmp_ne_u32_e32 vcc_lo, 0, v9
	s_delay_alu instid0(VALU_DEP_3) | instskip(NEXT) | instid1(VALU_DEP_1)
	v_min_u32_e32 v11, 32, v11
	v_sub_nc_u32_e64 v11, v11, 4 clamp
	s_delay_alu instid0(VALU_DEP_1) | instskip(NEXT) | instid1(VALU_DEP_1)
	v_dual_lshlrev_b32 v13, v11, v9 :: v_dual_lshlrev_b32 v11, 23, v11
	v_lshrrev_b32_e32 v13, 4, v13
	s_delay_alu instid0(VALU_DEP_1) | instskip(SKIP_1) | instid1(VALU_DEP_2)
	v_sub_nc_u32_e32 v11, v13, v11
	v_ashrrev_i32_e32 v13, 8, v15
	v_add_nc_u32_e32 v11, 0x3c000000, v11
	s_delay_alu instid0(VALU_DEP_1) | instskip(NEXT) | instid1(VALU_DEP_1)
	v_and_or_b32 v11, 0x7f800000, v13, v11
	v_cndmask_b32_e32 v9, 0, v11, vcc_lo
	s_delay_alu instid0(VALU_DEP_1) | instskip(SKIP_1) | instid1(VALU_DEP_2)
	v_and_or_b32 v7, 0x80000000, v7, v9
	v_bfe_u32 v9, v9, 16, 1
	v_cmp_o_f32_e32 vcc_lo, v7, v7
	s_delay_alu instid0(VALU_DEP_2) | instskip(NEXT) | instid1(VALU_DEP_1)
	v_add3_u32 v9, v7, v9, 0x7fff
	v_lshrrev_b32_e32 v9, 16, v9
	s_wait_xcnt 0x1
	s_delay_alu instid0(VALU_DEP_1)
	v_cndmask_b32_e32 v26, 0x7fc0, v9, vcc_lo
.LBB175_2601:
	s_mov_b32 s19, 0
.LBB175_2602:
	s_delay_alu instid0(SALU_CYCLE_1)
	s_and_not1_b32 vcc_lo, exec_lo, s19
	s_cbranch_vccnz .LBB175_2604
; %bb.2603:
	global_load_u8 v7, v[24:25], off
	s_wait_loadcnt 0x0
	v_lshlrev_b32_e32 v9, 25, v7
	v_lshlrev_b16 v7, 8, v7
	s_delay_alu instid0(VALU_DEP_1) | instskip(SKIP_1) | instid1(VALU_DEP_2)
	v_and_or_b32 v13, 0x7f00, v7, 0.5
	v_bfe_i32 v7, v7, 0, 16
	v_add_f32_e32 v13, -0.5, v13
	v_lshrrev_b32_e32 v11, 4, v9
	v_cmp_gt_u32_e32 vcc_lo, 0x8000000, v9
	s_delay_alu instid0(VALU_DEP_2) | instskip(NEXT) | instid1(VALU_DEP_1)
	v_or_b32_e32 v11, 0x70000000, v11
	v_mul_f32_e32 v11, 0x7800000, v11
	s_delay_alu instid0(VALU_DEP_1) | instskip(NEXT) | instid1(VALU_DEP_1)
	v_cndmask_b32_e32 v9, v11, v13, vcc_lo
	v_and_or_b32 v7, 0x80000000, v7, v9
	v_bfe_u32 v9, v9, 16, 1
	s_delay_alu instid0(VALU_DEP_2) | instskip(NEXT) | instid1(VALU_DEP_2)
	v_cmp_o_f32_e32 vcc_lo, v7, v7
	v_add3_u32 v9, v7, v9, 0x7fff
	s_delay_alu instid0(VALU_DEP_1) | instskip(SKIP_1) | instid1(VALU_DEP_1)
	v_lshrrev_b32_e32 v9, 16, v9
	s_wait_xcnt 0x1
	v_cndmask_b32_e32 v26, 0x7fc0, v9, vcc_lo
.LBB175_2604:
	s_mov_b32 s19, 0
	s_mov_b32 s20, -1
.LBB175_2605:
	s_and_not1_b32 vcc_lo, exec_lo, s19
	s_mov_b32 s19, 0
	s_cbranch_vccnz .LBB175_2616
; %bb.2606:
	s_cmp_gt_i32 s15, 14
	s_cbranch_scc0 .LBB175_2609
; %bb.2607:
	s_cmp_eq_u32 s15, 15
	s_cbranch_scc0 .LBB175_2612
; %bb.2608:
	s_wait_loadcnt 0x0
	global_load_u16 v26, v[24:25], off
	s_mov_b32 s18, 0
	s_mov_b32 s20, -1
	s_branch .LBB175_2614
.LBB175_2609:
	s_mov_b32 s19, -1
	s_branch .LBB175_2613
.LBB175_2610:
	s_or_saveexec_b32 s20, s20
	v_mov_b32_e32 v9, 0x7f800001
	s_xor_b32 exec_lo, exec_lo, s20
	s_cbranch_execz .LBB175_2591
.LBB175_2611:
	v_cmp_ne_u16_e32 vcc_lo, 0, v7
	v_mov_b32_e32 v9, 0
	s_and_not1_b32 s19, s19, exec_lo
	s_and_b32 s21, vcc_lo, exec_lo
	s_delay_alu instid0(SALU_CYCLE_1)
	s_or_b32 s19, s19, s21
	s_or_b32 exec_lo, exec_lo, s20
	s_and_saveexec_b32 s20, s19
	s_cbranch_execnz .LBB175_2592
	s_branch .LBB175_2593
.LBB175_2612:
	s_mov_b32 s18, -1
.LBB175_2613:
                                        ; implicit-def: $vgpr26
.LBB175_2614:
	s_and_b32 vcc_lo, exec_lo, s19
	s_mov_b32 s19, 0
	s_cbranch_vccz .LBB175_2616
; %bb.2615:
	s_cmp_lg_u32 s15, 11
	s_mov_b32 s19, -1
	s_cselect_b32 s18, -1, 0
.LBB175_2616:
	s_delay_alu instid0(SALU_CYCLE_1)
	s_and_b32 vcc_lo, exec_lo, s18
	s_cbranch_vccnz .LBB175_2681
; %bb.2617:
	s_and_not1_b32 vcc_lo, exec_lo, s19
	s_cbranch_vccnz .LBB175_2619
.LBB175_2618:
	global_load_u8 v7, v[24:25], off
	s_mov_b32 s20, -1
	s_wait_loadcnt 0x0
	v_cmp_ne_u16_e32 vcc_lo, 0, v7
	v_cndmask_b32_e64 v7, 0, 1.0, vcc_lo
	s_wait_xcnt 0x1
	s_delay_alu instid0(VALU_DEP_1)
	v_lshrrev_b32_e32 v26, 16, v7
.LBB175_2619:
	s_mov_b32 s18, 0
.LBB175_2620:
	s_delay_alu instid0(SALU_CYCLE_1)
	s_and_b32 vcc_lo, exec_lo, s18
	s_cbranch_vccz .LBB175_2669
; %bb.2621:
	s_cmp_lt_i32 s15, 5
	s_cbranch_scc1 .LBB175_2626
; %bb.2622:
	s_cmp_lt_i32 s15, 8
	s_cbranch_scc1 .LBB175_2627
; %bb.2623:
	s_cmp_lt_i32 s15, 9
	s_cbranch_scc1 .LBB175_2628
; %bb.2624:
	s_cmp_gt_i32 s15, 9
	s_cbranch_scc0 .LBB175_2629
; %bb.2625:
	s_wait_loadcnt 0x0
	global_load_b64 v[26:27], v[24:25], off
	s_mov_b32 s18, 0
	s_wait_loadcnt 0x0
	v_cvt_f32_f64_e32 v7, v[26:27]
	s_delay_alu instid0(VALU_DEP_1) | instskip(SKIP_1) | instid1(VALU_DEP_2)
	v_bfe_u32 v9, v7, 16, 1
	v_cmp_o_f32_e32 vcc_lo, v7, v7
	v_add3_u32 v9, v7, v9, 0x7fff
	s_delay_alu instid0(VALU_DEP_1) | instskip(NEXT) | instid1(VALU_DEP_1)
	v_lshrrev_b32_e32 v9, 16, v9
	v_cndmask_b32_e32 v26, 0x7fc0, v9, vcc_lo
	s_branch .LBB175_2630
.LBB175_2626:
	s_mov_b32 s18, -1
                                        ; implicit-def: $vgpr26
	s_branch .LBB175_2648
.LBB175_2627:
	s_mov_b32 s18, -1
                                        ; implicit-def: $vgpr26
	s_branch .LBB175_2636
.LBB175_2628:
	s_mov_b32 s18, -1
                                        ; implicit-def: $vgpr26
	s_branch .LBB175_2633
.LBB175_2629:
	s_mov_b32 s18, -1
                                        ; implicit-def: $vgpr26
.LBB175_2630:
	s_delay_alu instid0(SALU_CYCLE_1)
	s_and_not1_b32 vcc_lo, exec_lo, s18
	s_cbranch_vccnz .LBB175_2632
; %bb.2631:
	global_load_b32 v7, v[24:25], off
	s_wait_loadcnt 0x0
	v_bfe_u32 v9, v7, 16, 1
	v_cmp_o_f32_e32 vcc_lo, v7, v7
	s_delay_alu instid0(VALU_DEP_2) | instskip(NEXT) | instid1(VALU_DEP_1)
	v_add3_u32 v9, v7, v9, 0x7fff
	v_lshrrev_b32_e32 v9, 16, v9
	s_wait_xcnt 0x1
	s_delay_alu instid0(VALU_DEP_1)
	v_cndmask_b32_e32 v26, 0x7fc0, v9, vcc_lo
.LBB175_2632:
	s_mov_b32 s18, 0
.LBB175_2633:
	s_delay_alu instid0(SALU_CYCLE_1)
	s_and_not1_b32 vcc_lo, exec_lo, s18
	s_cbranch_vccnz .LBB175_2635
; %bb.2634:
	global_load_b32 v7, v[24:25], off
	s_wait_loadcnt 0x0
	v_cvt_f32_f16_e32 v9, v7
	v_cmp_o_f16_e32 vcc_lo, v7, v7
	s_delay_alu instid0(VALU_DEP_2) | instskip(NEXT) | instid1(VALU_DEP_1)
	v_bfe_u32 v11, v9, 16, 1
	v_add3_u32 v9, v9, v11, 0x7fff
	s_delay_alu instid0(VALU_DEP_1) | instskip(SKIP_1) | instid1(VALU_DEP_1)
	v_lshrrev_b32_e32 v9, 16, v9
	s_wait_xcnt 0x1
	v_cndmask_b32_e32 v26, 0x7fc0, v9, vcc_lo
.LBB175_2635:
	s_mov_b32 s18, 0
.LBB175_2636:
	s_delay_alu instid0(SALU_CYCLE_1)
	s_and_not1_b32 vcc_lo, exec_lo, s18
	s_cbranch_vccnz .LBB175_2647
; %bb.2637:
	s_cmp_lt_i32 s15, 6
	s_cbranch_scc1 .LBB175_2640
; %bb.2638:
	s_cmp_gt_i32 s15, 6
	s_cbranch_scc0 .LBB175_2641
; %bb.2639:
	s_wait_loadcnt 0x0
	global_load_b64 v[26:27], v[24:25], off
	s_mov_b32 s18, 0
	s_wait_loadcnt 0x0
	v_cvt_f32_f64_e32 v7, v[26:27]
	s_delay_alu instid0(VALU_DEP_1) | instskip(SKIP_1) | instid1(VALU_DEP_2)
	v_bfe_u32 v9, v7, 16, 1
	v_cmp_o_f32_e32 vcc_lo, v7, v7
	v_add3_u32 v9, v7, v9, 0x7fff
	s_delay_alu instid0(VALU_DEP_1) | instskip(NEXT) | instid1(VALU_DEP_1)
	v_lshrrev_b32_e32 v9, 16, v9
	v_cndmask_b32_e32 v26, 0x7fc0, v9, vcc_lo
	s_branch .LBB175_2642
.LBB175_2640:
	s_mov_b32 s18, -1
                                        ; implicit-def: $vgpr26
	s_branch .LBB175_2645
.LBB175_2641:
	s_mov_b32 s18, -1
                                        ; implicit-def: $vgpr26
.LBB175_2642:
	s_delay_alu instid0(SALU_CYCLE_1)
	s_and_not1_b32 vcc_lo, exec_lo, s18
	s_cbranch_vccnz .LBB175_2644
; %bb.2643:
	global_load_b32 v7, v[24:25], off
	s_wait_loadcnt 0x0
	v_bfe_u32 v9, v7, 16, 1
	v_cmp_o_f32_e32 vcc_lo, v7, v7
	s_delay_alu instid0(VALU_DEP_2) | instskip(NEXT) | instid1(VALU_DEP_1)
	v_add3_u32 v9, v7, v9, 0x7fff
	v_lshrrev_b32_e32 v9, 16, v9
	s_wait_xcnt 0x1
	s_delay_alu instid0(VALU_DEP_1)
	v_cndmask_b32_e32 v26, 0x7fc0, v9, vcc_lo
.LBB175_2644:
	s_mov_b32 s18, 0
.LBB175_2645:
	s_delay_alu instid0(SALU_CYCLE_1)
	s_and_not1_b32 vcc_lo, exec_lo, s18
	s_cbranch_vccnz .LBB175_2647
; %bb.2646:
	global_load_u16 v7, v[24:25], off
	s_wait_loadcnt 0x0
	v_cvt_f32_f16_e32 v9, v7
	v_cmp_o_f16_e32 vcc_lo, v7, v7
	s_delay_alu instid0(VALU_DEP_2) | instskip(NEXT) | instid1(VALU_DEP_1)
	v_bfe_u32 v11, v9, 16, 1
	v_add3_u32 v9, v9, v11, 0x7fff
	s_delay_alu instid0(VALU_DEP_1) | instskip(SKIP_1) | instid1(VALU_DEP_1)
	v_lshrrev_b32_e32 v9, 16, v9
	s_wait_xcnt 0x1
	v_cndmask_b32_e32 v26, 0x7fc0, v9, vcc_lo
.LBB175_2647:
	s_mov_b32 s18, 0
.LBB175_2648:
	s_delay_alu instid0(SALU_CYCLE_1)
	s_and_not1_b32 vcc_lo, exec_lo, s18
	s_cbranch_vccnz .LBB175_2668
; %bb.2649:
	s_cmp_lt_i32 s15, 2
	s_cbranch_scc1 .LBB175_2653
; %bb.2650:
	s_cmp_lt_i32 s15, 3
	s_cbranch_scc1 .LBB175_2654
; %bb.2651:
	s_cmp_gt_i32 s15, 3
	s_cbranch_scc0 .LBB175_2655
; %bb.2652:
	s_wait_loadcnt 0x0
	global_load_b64 v[26:27], v[24:25], off
	s_mov_b32 s18, 0
	s_wait_loadcnt 0x0
	v_xor_b32_e32 v7, v26, v27
	v_cls_i32_e32 v9, v27
	s_delay_alu instid0(VALU_DEP_2) | instskip(NEXT) | instid1(VALU_DEP_1)
	v_ashrrev_i32_e32 v7, 31, v7
	v_add_nc_u32_e32 v7, 32, v7
	s_delay_alu instid0(VALU_DEP_1) | instskip(NEXT) | instid1(VALU_DEP_1)
	v_add_min_u32_e64 v7, v9, -1, v7
	v_lshlrev_b64_e32 v[26:27], v7, v[26:27]
	v_sub_nc_u32_e32 v7, 32, v7
	s_delay_alu instid0(VALU_DEP_2) | instskip(NEXT) | instid1(VALU_DEP_1)
	v_min_u32_e32 v9, 1, v26
	v_or_b32_e32 v9, v27, v9
	s_delay_alu instid0(VALU_DEP_1) | instskip(NEXT) | instid1(VALU_DEP_1)
	v_cvt_f32_i32_e32 v9, v9
	v_ldexp_f32 v7, v9, v7
	s_delay_alu instid0(VALU_DEP_1) | instskip(NEXT) | instid1(VALU_DEP_1)
	v_bfe_u32 v9, v7, 16, 1
	v_add3_u32 v7, v7, v9, 0x7fff
	s_delay_alu instid0(VALU_DEP_1)
	v_lshrrev_b32_e32 v26, 16, v7
	s_branch .LBB175_2656
.LBB175_2653:
	s_mov_b32 s18, -1
                                        ; implicit-def: $vgpr26
	s_branch .LBB175_2662
.LBB175_2654:
	s_mov_b32 s18, -1
                                        ; implicit-def: $vgpr26
	s_branch .LBB175_2659
.LBB175_2655:
	s_mov_b32 s18, -1
                                        ; implicit-def: $vgpr26
.LBB175_2656:
	s_delay_alu instid0(SALU_CYCLE_1)
	s_and_not1_b32 vcc_lo, exec_lo, s18
	s_cbranch_vccnz .LBB175_2658
; %bb.2657:
	global_load_b32 v7, v[24:25], off
	s_wait_loadcnt 0x0
	v_cvt_f32_i32_e32 v7, v7
	s_delay_alu instid0(VALU_DEP_1) | instskip(NEXT) | instid1(VALU_DEP_1)
	v_bfe_u32 v9, v7, 16, 1
	v_add3_u32 v7, v7, v9, 0x7fff
	s_wait_xcnt 0x1
	s_delay_alu instid0(VALU_DEP_1)
	v_lshrrev_b32_e32 v26, 16, v7
.LBB175_2658:
	s_mov_b32 s18, 0
.LBB175_2659:
	s_delay_alu instid0(SALU_CYCLE_1)
	s_and_not1_b32 vcc_lo, exec_lo, s18
	s_cbranch_vccnz .LBB175_2661
; %bb.2660:
	global_load_i16 v7, v[24:25], off
	s_wait_loadcnt 0x0
	v_cvt_f32_i32_e32 v7, v7
	s_delay_alu instid0(VALU_DEP_1) | instskip(NEXT) | instid1(VALU_DEP_1)
	v_bfe_u32 v9, v7, 16, 1
	v_add3_u32 v7, v7, v9, 0x7fff
	s_wait_xcnt 0x1
	s_delay_alu instid0(VALU_DEP_1)
	v_lshrrev_b32_e32 v26, 16, v7
.LBB175_2661:
	s_mov_b32 s18, 0
.LBB175_2662:
	s_delay_alu instid0(SALU_CYCLE_1)
	s_and_not1_b32 vcc_lo, exec_lo, s18
	s_cbranch_vccnz .LBB175_2668
; %bb.2663:
	s_cmp_gt_i32 s15, 0
	s_mov_b32 s18, 0
	s_cbranch_scc0 .LBB175_2665
; %bb.2664:
	global_load_i8 v7, v[24:25], off
	s_wait_loadcnt 0x0
	v_cvt_f32_i32_e32 v7, v7
	s_delay_alu instid0(VALU_DEP_1) | instskip(NEXT) | instid1(VALU_DEP_1)
	v_bfe_u32 v9, v7, 16, 1
	v_add3_u32 v7, v7, v9, 0x7fff
	s_wait_xcnt 0x1
	s_delay_alu instid0(VALU_DEP_1)
	v_lshrrev_b32_e32 v26, 16, v7
	s_branch .LBB175_2666
.LBB175_2665:
	s_mov_b32 s18, -1
                                        ; implicit-def: $vgpr26
.LBB175_2666:
	s_delay_alu instid0(SALU_CYCLE_1)
	s_and_not1_b32 vcc_lo, exec_lo, s18
	s_cbranch_vccnz .LBB175_2668
; %bb.2667:
	global_load_u8 v7, v[24:25], off
	s_wait_loadcnt 0x0
	v_cvt_f32_ubyte0_e32 v7, v7
	s_delay_alu instid0(VALU_DEP_1) | instskip(NEXT) | instid1(VALU_DEP_1)
	v_bfe_u32 v9, v7, 16, 1
	v_add3_u32 v7, v7, v9, 0x7fff
	s_wait_xcnt 0x1
	s_delay_alu instid0(VALU_DEP_1)
	v_lshrrev_b32_e32 v26, 16, v7
.LBB175_2668:
	s_mov_b32 s20, -1
.LBB175_2669:
	s_delay_alu instid0(SALU_CYCLE_1)
	s_and_not1_b32 vcc_lo, exec_lo, s20
	s_cbranch_vccnz .LBB175_4155
; %bb.2670:
	v_mov_b32_e32 v23, 0
	s_and_b32 s16, 0xffff, s16
	s_delay_alu instid0(SALU_CYCLE_1) | instskip(NEXT) | instid1(VALU_DEP_1)
	s_cmp_lt_i32 s16, 11
	v_add_nc_u64_e32 v[22:23], s[8:9], v[22:23]
	s_cbranch_scc1 .LBB175_2677
; %bb.2671:
	s_cmp_gt_i32 s16, 25
	s_mov_b32 s19, 0
	s_cbranch_scc0 .LBB175_2678
; %bb.2672:
	s_cmp_gt_i32 s16, 28
	s_cbranch_scc0 .LBB175_2679
; %bb.2673:
	s_cmp_gt_i32 s16, 43
	;; [unrolled: 3-line block ×3, first 2 shown]
	s_cbranch_scc0 .LBB175_2682
; %bb.2675:
	s_cmp_eq_u32 s16, 46
	s_mov_b32 s21, 0
	s_cbranch_scc0 .LBB175_2683
; %bb.2676:
	global_load_b32 v24, v[22:23], off
	s_mov_b32 s18, 0
	s_mov_b32 s20, -1
	s_branch .LBB175_2685
.LBB175_2677:
	s_mov_b32 s18, -1
	s_mov_b32 s20, 0
                                        ; implicit-def: $vgpr24
	s_branch .LBB175_2751
.LBB175_2678:
	s_mov_b32 s21, -1
	s_mov_b32 s20, 0
	s_mov_b32 s18, 0
                                        ; implicit-def: $vgpr24
	s_branch .LBB175_2714
.LBB175_2679:
	s_mov_b32 s21, -1
	s_mov_b32 s20, 0
	s_mov_b32 s18, 0
                                        ; implicit-def: $vgpr24
	s_branch .LBB175_2695
.LBB175_2680:
	s_mov_b32 s21, -1
	s_mov_b32 s20, 0
	s_mov_b32 s18, 0
                                        ; implicit-def: $vgpr24
	s_branch .LBB175_2690
.LBB175_2681:
	s_or_b32 s1, s1, exec_lo
	s_trap 2
	s_cbranch_execz .LBB175_2618
	s_branch .LBB175_2619
.LBB175_2682:
	s_mov_b32 s21, -1
	s_mov_b32 s20, 0
	s_mov_b32 s18, 0
	s_branch .LBB175_2684
.LBB175_2683:
	s_mov_b32 s18, -1
	s_mov_b32 s20, 0
.LBB175_2684:
                                        ; implicit-def: $vgpr24
.LBB175_2685:
	s_and_b32 vcc_lo, exec_lo, s21
	s_cbranch_vccz .LBB175_2689
; %bb.2686:
	s_cmp_eq_u32 s16, 44
	s_cbranch_scc0 .LBB175_2688
; %bb.2687:
	global_load_u8 v7, v[22:23], off
	s_mov_b32 s18, 0
	s_mov_b32 s20, -1
	s_wait_loadcnt 0x0
	v_lshlrev_b32_e32 v9, 23, v7
	v_cmp_ne_u32_e32 vcc_lo, 0xff, v7
	s_delay_alu instid0(VALU_DEP_2) | instskip(SKIP_1) | instid1(VALU_DEP_2)
	v_cndmask_b32_e32 v9, 0x7f800001, v9, vcc_lo
	v_cmp_ne_u32_e32 vcc_lo, 0, v7
	v_cndmask_b32_e32 v7, 0x400000, v9, vcc_lo
	s_delay_alu instid0(VALU_DEP_1) | instskip(SKIP_1) | instid1(VALU_DEP_2)
	v_add_nc_u32_e32 v9, 0x7fff, v7
	v_cmp_o_f32_e32 vcc_lo, v7, v7
	v_lshrrev_b32_e32 v9, 16, v9
	s_wait_xcnt 0x1
	s_delay_alu instid0(VALU_DEP_1)
	v_cndmask_b32_e32 v24, 0x7fc0, v9, vcc_lo
	s_branch .LBB175_2689
.LBB175_2688:
	s_mov_b32 s18, -1
                                        ; implicit-def: $vgpr24
.LBB175_2689:
	s_mov_b32 s21, 0
.LBB175_2690:
	s_delay_alu instid0(SALU_CYCLE_1)
	s_and_b32 vcc_lo, exec_lo, s21
	s_cbranch_vccz .LBB175_2694
; %bb.2691:
	s_cmp_eq_u32 s16, 29
	s_cbranch_scc0 .LBB175_2693
; %bb.2692:
	s_wait_loadcnt 0x0
	global_load_b64 v[24:25], v[22:23], off
	s_mov_b32 s18, 0
	s_mov_b32 s20, -1
	s_mov_b32 s21, 0
	s_wait_loadcnt 0x0
	v_clz_i32_u32_e32 v7, v25
	s_delay_alu instid0(VALU_DEP_1) | instskip(NEXT) | instid1(VALU_DEP_1)
	v_min_u32_e32 v7, 32, v7
	v_lshlrev_b64_e32 v[24:25], v7, v[24:25]
	v_sub_nc_u32_e32 v7, 32, v7
	s_delay_alu instid0(VALU_DEP_2) | instskip(NEXT) | instid1(VALU_DEP_1)
	v_min_u32_e32 v9, 1, v24
	v_or_b32_e32 v9, v25, v9
	s_delay_alu instid0(VALU_DEP_1) | instskip(NEXT) | instid1(VALU_DEP_1)
	v_cvt_f32_u32_e32 v9, v9
	v_ldexp_f32 v7, v9, v7
	s_delay_alu instid0(VALU_DEP_1) | instskip(NEXT) | instid1(VALU_DEP_1)
	v_bfe_u32 v9, v7, 16, 1
	v_add3_u32 v7, v7, v9, 0x7fff
	s_delay_alu instid0(VALU_DEP_1)
	v_lshrrev_b32_e32 v24, 16, v7
	s_branch .LBB175_2695
.LBB175_2693:
	s_mov_b32 s18, -1
                                        ; implicit-def: $vgpr24
.LBB175_2694:
	s_mov_b32 s21, 0
.LBB175_2695:
	s_delay_alu instid0(SALU_CYCLE_1)
	s_and_b32 vcc_lo, exec_lo, s21
	s_cbranch_vccz .LBB175_2713
; %bb.2696:
	s_cmp_lt_i32 s16, 27
	s_cbranch_scc1 .LBB175_2699
; %bb.2697:
	s_cmp_gt_i32 s16, 27
	s_cbranch_scc0 .LBB175_2700
; %bb.2698:
	global_load_b32 v7, v[22:23], off
	s_mov_b32 s20, 0
	s_wait_loadcnt 0x0
	v_cvt_f32_u32_e32 v7, v7
	s_delay_alu instid0(VALU_DEP_1) | instskip(NEXT) | instid1(VALU_DEP_1)
	v_bfe_u32 v9, v7, 16, 1
	v_add3_u32 v7, v7, v9, 0x7fff
	s_wait_xcnt 0x1
	s_delay_alu instid0(VALU_DEP_1)
	v_lshrrev_b32_e32 v24, 16, v7
	s_branch .LBB175_2701
.LBB175_2699:
	s_mov_b32 s20, -1
                                        ; implicit-def: $vgpr24
	s_branch .LBB175_2704
.LBB175_2700:
	s_mov_b32 s20, -1
                                        ; implicit-def: $vgpr24
.LBB175_2701:
	s_delay_alu instid0(SALU_CYCLE_1)
	s_and_not1_b32 vcc_lo, exec_lo, s20
	s_cbranch_vccnz .LBB175_2703
; %bb.2702:
	global_load_u16 v7, v[22:23], off
	s_wait_loadcnt 0x0
	v_cvt_f32_u32_e32 v7, v7
	s_delay_alu instid0(VALU_DEP_1) | instskip(NEXT) | instid1(VALU_DEP_1)
	v_bfe_u32 v9, v7, 16, 1
	v_add3_u32 v7, v7, v9, 0x7fff
	s_wait_xcnt 0x1
	s_delay_alu instid0(VALU_DEP_1)
	v_lshrrev_b32_e32 v24, 16, v7
.LBB175_2703:
	s_mov_b32 s20, 0
.LBB175_2704:
	s_delay_alu instid0(SALU_CYCLE_1)
	s_and_not1_b32 vcc_lo, exec_lo, s20
	s_cbranch_vccnz .LBB175_2712
; %bb.2705:
	global_load_u8 v7, v[22:23], off
	s_mov_b32 s20, 0
	s_mov_b32 s21, exec_lo
	s_wait_loadcnt 0x0
	v_cmpx_lt_i16_e32 0x7f, v7
	s_xor_b32 s21, exec_lo, s21
	s_cbranch_execz .LBB175_2726
; %bb.2706:
	s_mov_b32 s20, -1
	s_mov_b32 s22, exec_lo
	v_cmpx_eq_u16_e32 0x80, v7
; %bb.2707:
	s_xor_b32 s20, exec_lo, -1
; %bb.2708:
	s_or_b32 exec_lo, exec_lo, s22
	s_delay_alu instid0(SALU_CYCLE_1)
	s_and_b32 s20, s20, exec_lo
	s_or_saveexec_b32 s21, s21
	v_mov_b32_e32 v9, 0x7f800001
	s_xor_b32 exec_lo, exec_lo, s21
	s_cbranch_execnz .LBB175_2727
.LBB175_2709:
	s_or_b32 exec_lo, exec_lo, s21
	s_and_saveexec_b32 s21, s20
	s_cbranch_execz .LBB175_2711
.LBB175_2710:
	v_and_b32_e32 v9, 0xffff, v7
	s_delay_alu instid0(VALU_DEP_1) | instskip(SKIP_1) | instid1(VALU_DEP_2)
	v_dual_lshlrev_b32 v7, 24, v7 :: v_dual_bitop2_b32 v11, 7, v9 bitop3:0x40
	v_bfe_u32 v17, v9, 3, 4
	v_and_b32_e32 v7, 0x80000000, v7
	s_delay_alu instid0(VALU_DEP_3) | instskip(NEXT) | instid1(VALU_DEP_3)
	v_clz_i32_u32_e32 v13, v11
	v_cmp_eq_u32_e32 vcc_lo, 0, v17
	s_delay_alu instid0(VALU_DEP_2) | instskip(NEXT) | instid1(VALU_DEP_1)
	v_min_u32_e32 v13, 32, v13
	v_subrev_nc_u32_e32 v15, 28, v13
	v_sub_nc_u32_e32 v13, 29, v13
	s_delay_alu instid0(VALU_DEP_2) | instskip(NEXT) | instid1(VALU_DEP_2)
	v_lshlrev_b32_e32 v9, v15, v9
	v_cndmask_b32_e32 v13, v17, v13, vcc_lo
	s_delay_alu instid0(VALU_DEP_2) | instskip(NEXT) | instid1(VALU_DEP_1)
	v_and_b32_e32 v9, 7, v9
	v_cndmask_b32_e32 v9, v11, v9, vcc_lo
	s_delay_alu instid0(VALU_DEP_3) | instskip(NEXT) | instid1(VALU_DEP_2)
	v_lshl_add_u32 v11, v13, 23, 0x3b800000
	v_lshlrev_b32_e32 v9, 20, v9
	s_delay_alu instid0(VALU_DEP_1)
	v_or3_b32 v9, v7, v11, v9
.LBB175_2711:
	s_or_b32 exec_lo, exec_lo, s21
	s_delay_alu instid0(VALU_DEP_1) | instskip(SKIP_1) | instid1(VALU_DEP_2)
	v_bfe_u32 v7, v9, 16, 1
	v_cmp_o_f32_e32 vcc_lo, v9, v9
	v_add3_u32 v7, v9, v7, 0x7fff
	s_delay_alu instid0(VALU_DEP_1) | instskip(NEXT) | instid1(VALU_DEP_1)
	v_lshrrev_b32_e32 v7, 16, v7
	v_cndmask_b32_e32 v24, 0x7fc0, v7, vcc_lo
.LBB175_2712:
	s_mov_b32 s20, -1
.LBB175_2713:
	s_mov_b32 s21, 0
.LBB175_2714:
	s_delay_alu instid0(SALU_CYCLE_1)
	s_and_b32 vcc_lo, exec_lo, s21
	s_cbranch_vccz .LBB175_2747
; %bb.2715:
	s_cmp_gt_i32 s16, 22
	s_cbranch_scc0 .LBB175_2725
; %bb.2716:
	s_cmp_lt_i32 s16, 24
	s_cbranch_scc1 .LBB175_2728
; %bb.2717:
	s_cmp_gt_i32 s16, 24
	s_cbranch_scc0 .LBB175_2729
; %bb.2718:
	global_load_u8 v7, v[22:23], off
	s_mov_b32 s20, exec_lo
	s_wait_loadcnt 0x0
	v_cmpx_lt_i16_e32 0x7f, v7
	s_xor_b32 s20, exec_lo, s20
	s_cbranch_execz .LBB175_2741
; %bb.2719:
	s_mov_b32 s19, -1
	s_mov_b32 s21, exec_lo
	v_cmpx_eq_u16_e32 0x80, v7
; %bb.2720:
	s_xor_b32 s19, exec_lo, -1
; %bb.2721:
	s_or_b32 exec_lo, exec_lo, s21
	s_delay_alu instid0(SALU_CYCLE_1)
	s_and_b32 s19, s19, exec_lo
	s_or_saveexec_b32 s20, s20
	v_mov_b32_e32 v9, 0x7f800001
	s_xor_b32 exec_lo, exec_lo, s20
	s_cbranch_execnz .LBB175_2742
.LBB175_2722:
	s_or_b32 exec_lo, exec_lo, s20
	s_and_saveexec_b32 s20, s19
	s_cbranch_execz .LBB175_2724
.LBB175_2723:
	v_and_b32_e32 v9, 0xffff, v7
	s_delay_alu instid0(VALU_DEP_1) | instskip(SKIP_1) | instid1(VALU_DEP_2)
	v_dual_lshlrev_b32 v7, 24, v7 :: v_dual_bitop2_b32 v11, 3, v9 bitop3:0x40
	v_bfe_u32 v17, v9, 2, 5
	v_and_b32_e32 v7, 0x80000000, v7
	s_delay_alu instid0(VALU_DEP_3) | instskip(NEXT) | instid1(VALU_DEP_3)
	v_clz_i32_u32_e32 v13, v11
	v_cmp_eq_u32_e32 vcc_lo, 0, v17
	s_delay_alu instid0(VALU_DEP_2) | instskip(NEXT) | instid1(VALU_DEP_1)
	v_min_u32_e32 v13, 32, v13
	v_subrev_nc_u32_e32 v15, 29, v13
	v_sub_nc_u32_e32 v13, 30, v13
	s_delay_alu instid0(VALU_DEP_2) | instskip(NEXT) | instid1(VALU_DEP_2)
	v_lshlrev_b32_e32 v9, v15, v9
	v_cndmask_b32_e32 v13, v17, v13, vcc_lo
	s_delay_alu instid0(VALU_DEP_2) | instskip(NEXT) | instid1(VALU_DEP_1)
	v_and_b32_e32 v9, 3, v9
	v_cndmask_b32_e32 v9, v11, v9, vcc_lo
	s_delay_alu instid0(VALU_DEP_3) | instskip(NEXT) | instid1(VALU_DEP_2)
	v_lshl_add_u32 v11, v13, 23, 0x37800000
	v_lshlrev_b32_e32 v9, 21, v9
	s_delay_alu instid0(VALU_DEP_1)
	v_or3_b32 v9, v7, v11, v9
.LBB175_2724:
	s_or_b32 exec_lo, exec_lo, s20
	s_delay_alu instid0(VALU_DEP_1) | instskip(SKIP_2) | instid1(VALU_DEP_2)
	v_bfe_u32 v7, v9, 16, 1
	v_cmp_o_f32_e32 vcc_lo, v9, v9
	s_mov_b32 s19, 0
	v_add3_u32 v7, v9, v7, 0x7fff
	s_delay_alu instid0(VALU_DEP_1) | instskip(NEXT) | instid1(VALU_DEP_1)
	v_lshrrev_b32_e32 v7, 16, v7
	v_cndmask_b32_e32 v24, 0x7fc0, v7, vcc_lo
	s_branch .LBB175_2730
.LBB175_2725:
	s_mov_b32 s19, -1
                                        ; implicit-def: $vgpr24
	s_branch .LBB175_2736
.LBB175_2726:
	s_or_saveexec_b32 s21, s21
	v_mov_b32_e32 v9, 0x7f800001
	s_xor_b32 exec_lo, exec_lo, s21
	s_cbranch_execz .LBB175_2709
.LBB175_2727:
	v_cmp_ne_u16_e32 vcc_lo, 0, v7
	v_mov_b32_e32 v9, 0
	s_and_not1_b32 s20, s20, exec_lo
	s_and_b32 s22, vcc_lo, exec_lo
	s_delay_alu instid0(SALU_CYCLE_1)
	s_or_b32 s20, s20, s22
	s_or_b32 exec_lo, exec_lo, s21
	s_and_saveexec_b32 s21, s20
	s_cbranch_execnz .LBB175_2710
	s_branch .LBB175_2711
.LBB175_2728:
	s_mov_b32 s19, -1
                                        ; implicit-def: $vgpr24
	s_branch .LBB175_2733
.LBB175_2729:
	s_mov_b32 s19, -1
                                        ; implicit-def: $vgpr24
.LBB175_2730:
	s_delay_alu instid0(SALU_CYCLE_1)
	s_and_b32 vcc_lo, exec_lo, s19
	s_cbranch_vccz .LBB175_2732
; %bb.2731:
	global_load_u8 v7, v[22:23], off
	s_wait_loadcnt 0x0
	v_lshlrev_b32_e32 v7, 24, v7
	s_delay_alu instid0(VALU_DEP_1) | instskip(NEXT) | instid1(VALU_DEP_1)
	v_and_b32_e32 v9, 0x7f000000, v7
	v_clz_i32_u32_e32 v11, v9
	v_add_nc_u32_e32 v15, 0x1000000, v9
	v_cmp_ne_u32_e32 vcc_lo, 0, v9
	s_delay_alu instid0(VALU_DEP_3) | instskip(NEXT) | instid1(VALU_DEP_1)
	v_min_u32_e32 v11, 32, v11
	v_sub_nc_u32_e64 v11, v11, 4 clamp
	s_delay_alu instid0(VALU_DEP_1) | instskip(NEXT) | instid1(VALU_DEP_1)
	v_dual_lshlrev_b32 v13, v11, v9 :: v_dual_lshlrev_b32 v11, 23, v11
	v_lshrrev_b32_e32 v13, 4, v13
	s_delay_alu instid0(VALU_DEP_1) | instskip(SKIP_1) | instid1(VALU_DEP_2)
	v_sub_nc_u32_e32 v11, v13, v11
	v_ashrrev_i32_e32 v13, 8, v15
	v_add_nc_u32_e32 v11, 0x3c000000, v11
	s_delay_alu instid0(VALU_DEP_1) | instskip(NEXT) | instid1(VALU_DEP_1)
	v_and_or_b32 v11, 0x7f800000, v13, v11
	v_cndmask_b32_e32 v9, 0, v11, vcc_lo
	s_delay_alu instid0(VALU_DEP_1) | instskip(SKIP_1) | instid1(VALU_DEP_2)
	v_and_or_b32 v7, 0x80000000, v7, v9
	v_bfe_u32 v9, v9, 16, 1
	v_cmp_o_f32_e32 vcc_lo, v7, v7
	s_delay_alu instid0(VALU_DEP_2) | instskip(NEXT) | instid1(VALU_DEP_1)
	v_add3_u32 v9, v7, v9, 0x7fff
	v_lshrrev_b32_e32 v9, 16, v9
	s_wait_xcnt 0x1
	s_delay_alu instid0(VALU_DEP_1)
	v_cndmask_b32_e32 v24, 0x7fc0, v9, vcc_lo
.LBB175_2732:
	s_mov_b32 s19, 0
.LBB175_2733:
	s_delay_alu instid0(SALU_CYCLE_1)
	s_and_not1_b32 vcc_lo, exec_lo, s19
	s_cbranch_vccnz .LBB175_2735
; %bb.2734:
	global_load_u8 v7, v[22:23], off
	s_wait_loadcnt 0x0
	v_lshlrev_b32_e32 v9, 25, v7
	v_lshlrev_b16 v7, 8, v7
	s_delay_alu instid0(VALU_DEP_1) | instskip(SKIP_1) | instid1(VALU_DEP_2)
	v_and_or_b32 v13, 0x7f00, v7, 0.5
	v_bfe_i32 v7, v7, 0, 16
	v_add_f32_e32 v13, -0.5, v13
	v_lshrrev_b32_e32 v11, 4, v9
	v_cmp_gt_u32_e32 vcc_lo, 0x8000000, v9
	s_delay_alu instid0(VALU_DEP_2) | instskip(NEXT) | instid1(VALU_DEP_1)
	v_or_b32_e32 v11, 0x70000000, v11
	v_mul_f32_e32 v11, 0x7800000, v11
	s_delay_alu instid0(VALU_DEP_1) | instskip(NEXT) | instid1(VALU_DEP_1)
	v_cndmask_b32_e32 v9, v11, v13, vcc_lo
	v_and_or_b32 v7, 0x80000000, v7, v9
	v_bfe_u32 v9, v9, 16, 1
	s_delay_alu instid0(VALU_DEP_2) | instskip(NEXT) | instid1(VALU_DEP_2)
	v_cmp_o_f32_e32 vcc_lo, v7, v7
	v_add3_u32 v9, v7, v9, 0x7fff
	s_delay_alu instid0(VALU_DEP_1) | instskip(SKIP_1) | instid1(VALU_DEP_1)
	v_lshrrev_b32_e32 v9, 16, v9
	s_wait_xcnt 0x1
	v_cndmask_b32_e32 v24, 0x7fc0, v9, vcc_lo
.LBB175_2735:
	s_mov_b32 s19, 0
	s_mov_b32 s20, -1
.LBB175_2736:
	s_and_not1_b32 vcc_lo, exec_lo, s19
	s_mov_b32 s19, 0
	s_cbranch_vccnz .LBB175_2747
; %bb.2737:
	s_cmp_gt_i32 s16, 14
	s_cbranch_scc0 .LBB175_2740
; %bb.2738:
	s_cmp_eq_u32 s16, 15
	s_cbranch_scc0 .LBB175_2743
; %bb.2739:
	s_wait_loadcnt 0x0
	global_load_u16 v24, v[22:23], off
	s_mov_b32 s18, 0
	s_mov_b32 s20, -1
	s_branch .LBB175_2745
.LBB175_2740:
	s_mov_b32 s19, -1
	s_branch .LBB175_2744
.LBB175_2741:
	s_or_saveexec_b32 s20, s20
	v_mov_b32_e32 v9, 0x7f800001
	s_xor_b32 exec_lo, exec_lo, s20
	s_cbranch_execz .LBB175_2722
.LBB175_2742:
	v_cmp_ne_u16_e32 vcc_lo, 0, v7
	v_mov_b32_e32 v9, 0
	s_and_not1_b32 s19, s19, exec_lo
	s_and_b32 s21, vcc_lo, exec_lo
	s_delay_alu instid0(SALU_CYCLE_1)
	s_or_b32 s19, s19, s21
	s_or_b32 exec_lo, exec_lo, s20
	s_and_saveexec_b32 s20, s19
	s_cbranch_execnz .LBB175_2723
	s_branch .LBB175_2724
.LBB175_2743:
	s_mov_b32 s18, -1
.LBB175_2744:
                                        ; implicit-def: $vgpr24
.LBB175_2745:
	s_and_b32 vcc_lo, exec_lo, s19
	s_mov_b32 s19, 0
	s_cbranch_vccz .LBB175_2747
; %bb.2746:
	s_cmp_lg_u32 s16, 11
	s_mov_b32 s19, -1
	s_cselect_b32 s18, -1, 0
.LBB175_2747:
	s_delay_alu instid0(SALU_CYCLE_1)
	s_and_b32 vcc_lo, exec_lo, s18
	s_cbranch_vccnz .LBB175_2812
; %bb.2748:
	s_and_not1_b32 vcc_lo, exec_lo, s19
	s_cbranch_vccnz .LBB175_2750
.LBB175_2749:
	global_load_u8 v7, v[22:23], off
	s_mov_b32 s20, -1
	s_wait_loadcnt 0x0
	v_cmp_ne_u16_e32 vcc_lo, 0, v7
	v_cndmask_b32_e64 v7, 0, 1.0, vcc_lo
	s_wait_xcnt 0x1
	s_delay_alu instid0(VALU_DEP_1)
	v_lshrrev_b32_e32 v24, 16, v7
.LBB175_2750:
	s_mov_b32 s18, 0
.LBB175_2751:
	s_delay_alu instid0(SALU_CYCLE_1)
	s_and_b32 vcc_lo, exec_lo, s18
	s_cbranch_vccz .LBB175_2800
; %bb.2752:
	s_cmp_lt_i32 s16, 5
	s_cbranch_scc1 .LBB175_2757
; %bb.2753:
	s_cmp_lt_i32 s16, 8
	s_cbranch_scc1 .LBB175_2758
	;; [unrolled: 3-line block ×3, first 2 shown]
; %bb.2755:
	s_cmp_gt_i32 s16, 9
	s_cbranch_scc0 .LBB175_2760
; %bb.2756:
	s_wait_loadcnt 0x0
	global_load_b64 v[24:25], v[22:23], off
	s_mov_b32 s18, 0
	s_wait_loadcnt 0x0
	v_cvt_f32_f64_e32 v7, v[24:25]
	s_delay_alu instid0(VALU_DEP_1) | instskip(SKIP_1) | instid1(VALU_DEP_2)
	v_bfe_u32 v9, v7, 16, 1
	v_cmp_o_f32_e32 vcc_lo, v7, v7
	v_add3_u32 v9, v7, v9, 0x7fff
	s_delay_alu instid0(VALU_DEP_1) | instskip(NEXT) | instid1(VALU_DEP_1)
	v_lshrrev_b32_e32 v9, 16, v9
	v_cndmask_b32_e32 v24, 0x7fc0, v9, vcc_lo
	s_branch .LBB175_2761
.LBB175_2757:
	s_mov_b32 s18, -1
                                        ; implicit-def: $vgpr24
	s_branch .LBB175_2779
.LBB175_2758:
	s_mov_b32 s18, -1
                                        ; implicit-def: $vgpr24
	s_branch .LBB175_2767
.LBB175_2759:
	s_mov_b32 s18, -1
                                        ; implicit-def: $vgpr24
	s_branch .LBB175_2764
.LBB175_2760:
	s_mov_b32 s18, -1
                                        ; implicit-def: $vgpr24
.LBB175_2761:
	s_delay_alu instid0(SALU_CYCLE_1)
	s_and_not1_b32 vcc_lo, exec_lo, s18
	s_cbranch_vccnz .LBB175_2763
; %bb.2762:
	global_load_b32 v7, v[22:23], off
	s_wait_loadcnt 0x0
	v_bfe_u32 v9, v7, 16, 1
	v_cmp_o_f32_e32 vcc_lo, v7, v7
	s_delay_alu instid0(VALU_DEP_2) | instskip(NEXT) | instid1(VALU_DEP_1)
	v_add3_u32 v9, v7, v9, 0x7fff
	v_lshrrev_b32_e32 v9, 16, v9
	s_wait_xcnt 0x1
	s_delay_alu instid0(VALU_DEP_1)
	v_cndmask_b32_e32 v24, 0x7fc0, v9, vcc_lo
.LBB175_2763:
	s_mov_b32 s18, 0
.LBB175_2764:
	s_delay_alu instid0(SALU_CYCLE_1)
	s_and_not1_b32 vcc_lo, exec_lo, s18
	s_cbranch_vccnz .LBB175_2766
; %bb.2765:
	global_load_b32 v7, v[22:23], off
	s_wait_loadcnt 0x0
	v_cvt_f32_f16_e32 v9, v7
	v_cmp_o_f16_e32 vcc_lo, v7, v7
	s_delay_alu instid0(VALU_DEP_2) | instskip(NEXT) | instid1(VALU_DEP_1)
	v_bfe_u32 v11, v9, 16, 1
	v_add3_u32 v9, v9, v11, 0x7fff
	s_delay_alu instid0(VALU_DEP_1) | instskip(SKIP_1) | instid1(VALU_DEP_1)
	v_lshrrev_b32_e32 v9, 16, v9
	s_wait_xcnt 0x1
	v_cndmask_b32_e32 v24, 0x7fc0, v9, vcc_lo
.LBB175_2766:
	s_mov_b32 s18, 0
.LBB175_2767:
	s_delay_alu instid0(SALU_CYCLE_1)
	s_and_not1_b32 vcc_lo, exec_lo, s18
	s_cbranch_vccnz .LBB175_2778
; %bb.2768:
	s_cmp_lt_i32 s16, 6
	s_cbranch_scc1 .LBB175_2771
; %bb.2769:
	s_cmp_gt_i32 s16, 6
	s_cbranch_scc0 .LBB175_2772
; %bb.2770:
	s_wait_loadcnt 0x0
	global_load_b64 v[24:25], v[22:23], off
	s_mov_b32 s18, 0
	s_wait_loadcnt 0x0
	v_cvt_f32_f64_e32 v7, v[24:25]
	s_delay_alu instid0(VALU_DEP_1) | instskip(SKIP_1) | instid1(VALU_DEP_2)
	v_bfe_u32 v9, v7, 16, 1
	v_cmp_o_f32_e32 vcc_lo, v7, v7
	v_add3_u32 v9, v7, v9, 0x7fff
	s_delay_alu instid0(VALU_DEP_1) | instskip(NEXT) | instid1(VALU_DEP_1)
	v_lshrrev_b32_e32 v9, 16, v9
	v_cndmask_b32_e32 v24, 0x7fc0, v9, vcc_lo
	s_branch .LBB175_2773
.LBB175_2771:
	s_mov_b32 s18, -1
                                        ; implicit-def: $vgpr24
	s_branch .LBB175_2776
.LBB175_2772:
	s_mov_b32 s18, -1
                                        ; implicit-def: $vgpr24
.LBB175_2773:
	s_delay_alu instid0(SALU_CYCLE_1)
	s_and_not1_b32 vcc_lo, exec_lo, s18
	s_cbranch_vccnz .LBB175_2775
; %bb.2774:
	global_load_b32 v7, v[22:23], off
	s_wait_loadcnt 0x0
	v_bfe_u32 v9, v7, 16, 1
	v_cmp_o_f32_e32 vcc_lo, v7, v7
	s_delay_alu instid0(VALU_DEP_2) | instskip(NEXT) | instid1(VALU_DEP_1)
	v_add3_u32 v9, v7, v9, 0x7fff
	v_lshrrev_b32_e32 v9, 16, v9
	s_wait_xcnt 0x1
	s_delay_alu instid0(VALU_DEP_1)
	v_cndmask_b32_e32 v24, 0x7fc0, v9, vcc_lo
.LBB175_2775:
	s_mov_b32 s18, 0
.LBB175_2776:
	s_delay_alu instid0(SALU_CYCLE_1)
	s_and_not1_b32 vcc_lo, exec_lo, s18
	s_cbranch_vccnz .LBB175_2778
; %bb.2777:
	global_load_u16 v7, v[22:23], off
	s_wait_loadcnt 0x0
	v_cvt_f32_f16_e32 v9, v7
	v_cmp_o_f16_e32 vcc_lo, v7, v7
	s_delay_alu instid0(VALU_DEP_2) | instskip(NEXT) | instid1(VALU_DEP_1)
	v_bfe_u32 v11, v9, 16, 1
	v_add3_u32 v9, v9, v11, 0x7fff
	s_delay_alu instid0(VALU_DEP_1) | instskip(SKIP_1) | instid1(VALU_DEP_1)
	v_lshrrev_b32_e32 v9, 16, v9
	s_wait_xcnt 0x1
	v_cndmask_b32_e32 v24, 0x7fc0, v9, vcc_lo
.LBB175_2778:
	s_mov_b32 s18, 0
.LBB175_2779:
	s_delay_alu instid0(SALU_CYCLE_1)
	s_and_not1_b32 vcc_lo, exec_lo, s18
	s_cbranch_vccnz .LBB175_2799
; %bb.2780:
	s_cmp_lt_i32 s16, 2
	s_cbranch_scc1 .LBB175_2784
; %bb.2781:
	s_cmp_lt_i32 s16, 3
	s_cbranch_scc1 .LBB175_2785
; %bb.2782:
	s_cmp_gt_i32 s16, 3
	s_cbranch_scc0 .LBB175_2786
; %bb.2783:
	s_wait_loadcnt 0x0
	global_load_b64 v[24:25], v[22:23], off
	s_mov_b32 s18, 0
	s_wait_loadcnt 0x0
	v_xor_b32_e32 v7, v24, v25
	v_cls_i32_e32 v9, v25
	s_delay_alu instid0(VALU_DEP_2) | instskip(NEXT) | instid1(VALU_DEP_1)
	v_ashrrev_i32_e32 v7, 31, v7
	v_add_nc_u32_e32 v7, 32, v7
	s_delay_alu instid0(VALU_DEP_1) | instskip(NEXT) | instid1(VALU_DEP_1)
	v_add_min_u32_e64 v7, v9, -1, v7
	v_lshlrev_b64_e32 v[24:25], v7, v[24:25]
	v_sub_nc_u32_e32 v7, 32, v7
	s_delay_alu instid0(VALU_DEP_2) | instskip(NEXT) | instid1(VALU_DEP_1)
	v_min_u32_e32 v9, 1, v24
	v_or_b32_e32 v9, v25, v9
	s_delay_alu instid0(VALU_DEP_1) | instskip(NEXT) | instid1(VALU_DEP_1)
	v_cvt_f32_i32_e32 v9, v9
	v_ldexp_f32 v7, v9, v7
	s_delay_alu instid0(VALU_DEP_1) | instskip(NEXT) | instid1(VALU_DEP_1)
	v_bfe_u32 v9, v7, 16, 1
	v_add3_u32 v7, v7, v9, 0x7fff
	s_delay_alu instid0(VALU_DEP_1)
	v_lshrrev_b32_e32 v24, 16, v7
	s_branch .LBB175_2787
.LBB175_2784:
	s_mov_b32 s18, -1
                                        ; implicit-def: $vgpr24
	s_branch .LBB175_2793
.LBB175_2785:
	s_mov_b32 s18, -1
                                        ; implicit-def: $vgpr24
	s_branch .LBB175_2790
.LBB175_2786:
	s_mov_b32 s18, -1
                                        ; implicit-def: $vgpr24
.LBB175_2787:
	s_delay_alu instid0(SALU_CYCLE_1)
	s_and_not1_b32 vcc_lo, exec_lo, s18
	s_cbranch_vccnz .LBB175_2789
; %bb.2788:
	global_load_b32 v7, v[22:23], off
	s_wait_loadcnt 0x0
	v_cvt_f32_i32_e32 v7, v7
	s_delay_alu instid0(VALU_DEP_1) | instskip(NEXT) | instid1(VALU_DEP_1)
	v_bfe_u32 v9, v7, 16, 1
	v_add3_u32 v7, v7, v9, 0x7fff
	s_wait_xcnt 0x1
	s_delay_alu instid0(VALU_DEP_1)
	v_lshrrev_b32_e32 v24, 16, v7
.LBB175_2789:
	s_mov_b32 s18, 0
.LBB175_2790:
	s_delay_alu instid0(SALU_CYCLE_1)
	s_and_not1_b32 vcc_lo, exec_lo, s18
	s_cbranch_vccnz .LBB175_2792
; %bb.2791:
	global_load_i16 v7, v[22:23], off
	s_wait_loadcnt 0x0
	v_cvt_f32_i32_e32 v7, v7
	s_delay_alu instid0(VALU_DEP_1) | instskip(NEXT) | instid1(VALU_DEP_1)
	v_bfe_u32 v9, v7, 16, 1
	v_add3_u32 v7, v7, v9, 0x7fff
	s_wait_xcnt 0x1
	s_delay_alu instid0(VALU_DEP_1)
	v_lshrrev_b32_e32 v24, 16, v7
.LBB175_2792:
	s_mov_b32 s18, 0
.LBB175_2793:
	s_delay_alu instid0(SALU_CYCLE_1)
	s_and_not1_b32 vcc_lo, exec_lo, s18
	s_cbranch_vccnz .LBB175_2799
; %bb.2794:
	s_cmp_gt_i32 s16, 0
	s_mov_b32 s18, 0
	s_cbranch_scc0 .LBB175_2796
; %bb.2795:
	global_load_i8 v7, v[22:23], off
	s_wait_loadcnt 0x0
	v_cvt_f32_i32_e32 v7, v7
	s_delay_alu instid0(VALU_DEP_1) | instskip(NEXT) | instid1(VALU_DEP_1)
	v_bfe_u32 v9, v7, 16, 1
	v_add3_u32 v7, v7, v9, 0x7fff
	s_wait_xcnt 0x1
	s_delay_alu instid0(VALU_DEP_1)
	v_lshrrev_b32_e32 v24, 16, v7
	s_branch .LBB175_2797
.LBB175_2796:
	s_mov_b32 s18, -1
                                        ; implicit-def: $vgpr24
.LBB175_2797:
	s_delay_alu instid0(SALU_CYCLE_1)
	s_and_not1_b32 vcc_lo, exec_lo, s18
	s_cbranch_vccnz .LBB175_2799
; %bb.2798:
	global_load_u8 v7, v[22:23], off
	s_wait_loadcnt 0x0
	v_cvt_f32_ubyte0_e32 v7, v7
	s_delay_alu instid0(VALU_DEP_1) | instskip(NEXT) | instid1(VALU_DEP_1)
	v_bfe_u32 v9, v7, 16, 1
	v_add3_u32 v7, v7, v9, 0x7fff
	s_wait_xcnt 0x1
	s_delay_alu instid0(VALU_DEP_1)
	v_lshrrev_b32_e32 v24, 16, v7
.LBB175_2799:
	s_mov_b32 s20, -1
.LBB175_2800:
	s_delay_alu instid0(SALU_CYCLE_1)
	s_and_not1_b32 vcc_lo, exec_lo, s20
	s_cbranch_vccnz .LBB175_4155
; %bb.2801:
	v_mov_b32_e32 v21, 0
	s_and_b32 s17, 0xffff, s17
	s_delay_alu instid0(SALU_CYCLE_1) | instskip(NEXT) | instid1(VALU_DEP_1)
	s_cmp_lt_i32 s17, 11
	v_add_nc_u64_e32 v[20:21], s[10:11], v[20:21]
	s_cbranch_scc1 .LBB175_2808
; %bb.2802:
	s_cmp_gt_i32 s17, 25
	s_mov_b32 s19, 0
	s_cbranch_scc0 .LBB175_2809
; %bb.2803:
	s_cmp_gt_i32 s17, 28
	s_cbranch_scc0 .LBB175_2810
; %bb.2804:
	s_cmp_gt_i32 s17, 43
	;; [unrolled: 3-line block ×3, first 2 shown]
	s_cbranch_scc0 .LBB175_2813
; %bb.2806:
	s_cmp_eq_u32 s17, 46
	s_mov_b32 s21, 0
	s_cbranch_scc0 .LBB175_2816
; %bb.2807:
	global_load_b32 v22, v[20:21], off
	s_mov_b32 s18, 0
	s_mov_b32 s20, -1
	s_branch .LBB175_2818
.LBB175_2808:
	s_mov_b32 s18, -1
	s_mov_b32 s20, 0
                                        ; implicit-def: $vgpr22
	s_branch .LBB175_2884
.LBB175_2809:
	s_mov_b32 s21, -1
	s_mov_b32 s20, 0
	s_mov_b32 s18, 0
                                        ; implicit-def: $vgpr22
	s_branch .LBB175_2847
.LBB175_2810:
	s_mov_b32 s21, -1
	s_mov_b32 s20, 0
	s_mov_b32 s18, 0
                                        ; implicit-def: $vgpr22
	s_branch .LBB175_2828
.LBB175_2811:
	s_mov_b32 s21, -1
	s_mov_b32 s20, 0
	s_mov_b32 s18, 0
                                        ; implicit-def: $vgpr22
	s_branch .LBB175_2823
.LBB175_2812:
	s_or_b32 s1, s1, exec_lo
	s_trap 2
	s_cbranch_execz .LBB175_2749
	s_branch .LBB175_2750
.LBB175_2813:
	s_mov_b32 s21, -1
	s_mov_b32 s20, 0
	s_mov_b32 s18, 0
	s_branch .LBB175_2817
.LBB175_2814:
	s_and_not1_saveexec_b32 s61, s61
	s_cbranch_execz .LBB175_1498
.LBB175_2815:
	v_add_f32_e64 v5, 0x46000000, |v6|
	s_and_not1_b32 s60, s60, exec_lo
	s_delay_alu instid0(VALU_DEP_1) | instskip(NEXT) | instid1(VALU_DEP_1)
	v_and_b32_e32 v5, 0xff, v5
	v_cmp_ne_u32_e32 vcc_lo, 0, v5
	s_and_b32 s62, vcc_lo, exec_lo
	s_delay_alu instid0(SALU_CYCLE_1)
	s_or_b32 s60, s60, s62
	s_or_b32 exec_lo, exec_lo, s61
	v_mov_b32_e32 v7, 0
	s_and_saveexec_b32 s61, s60
	s_cbranch_execnz .LBB175_1499
	s_branch .LBB175_1500
.LBB175_2816:
	s_mov_b32 s18, -1
	s_mov_b32 s20, 0
.LBB175_2817:
                                        ; implicit-def: $vgpr22
.LBB175_2818:
	s_and_b32 vcc_lo, exec_lo, s21
	s_cbranch_vccz .LBB175_2822
; %bb.2819:
	s_cmp_eq_u32 s17, 44
	s_cbranch_scc0 .LBB175_2821
; %bb.2820:
	global_load_u8 v7, v[20:21], off
	s_mov_b32 s18, 0
	s_mov_b32 s20, -1
	s_wait_loadcnt 0x0
	v_lshlrev_b32_e32 v9, 23, v7
	v_cmp_ne_u32_e32 vcc_lo, 0xff, v7
	s_delay_alu instid0(VALU_DEP_2) | instskip(SKIP_1) | instid1(VALU_DEP_2)
	v_cndmask_b32_e32 v9, 0x7f800001, v9, vcc_lo
	v_cmp_ne_u32_e32 vcc_lo, 0, v7
	v_cndmask_b32_e32 v7, 0x400000, v9, vcc_lo
	s_delay_alu instid0(VALU_DEP_1) | instskip(SKIP_1) | instid1(VALU_DEP_2)
	v_add_nc_u32_e32 v9, 0x7fff, v7
	v_cmp_o_f32_e32 vcc_lo, v7, v7
	v_lshrrev_b32_e32 v9, 16, v9
	s_wait_xcnt 0x1
	s_delay_alu instid0(VALU_DEP_1)
	v_cndmask_b32_e32 v22, 0x7fc0, v9, vcc_lo
	s_branch .LBB175_2822
.LBB175_2821:
	s_mov_b32 s18, -1
                                        ; implicit-def: $vgpr22
.LBB175_2822:
	s_mov_b32 s21, 0
.LBB175_2823:
	s_delay_alu instid0(SALU_CYCLE_1)
	s_and_b32 vcc_lo, exec_lo, s21
	s_cbranch_vccz .LBB175_2827
; %bb.2824:
	s_cmp_eq_u32 s17, 29
	s_cbranch_scc0 .LBB175_2826
; %bb.2825:
	s_wait_loadcnt 0x0
	global_load_b64 v[22:23], v[20:21], off
	s_mov_b32 s18, 0
	s_mov_b32 s20, -1
	s_mov_b32 s21, 0
	s_wait_loadcnt 0x0
	v_clz_i32_u32_e32 v7, v23
	s_delay_alu instid0(VALU_DEP_1) | instskip(NEXT) | instid1(VALU_DEP_1)
	v_min_u32_e32 v7, 32, v7
	v_lshlrev_b64_e32 v[22:23], v7, v[22:23]
	v_sub_nc_u32_e32 v7, 32, v7
	s_delay_alu instid0(VALU_DEP_2) | instskip(NEXT) | instid1(VALU_DEP_1)
	v_min_u32_e32 v9, 1, v22
	v_or_b32_e32 v9, v23, v9
	s_delay_alu instid0(VALU_DEP_1) | instskip(NEXT) | instid1(VALU_DEP_1)
	v_cvt_f32_u32_e32 v9, v9
	v_ldexp_f32 v7, v9, v7
	s_delay_alu instid0(VALU_DEP_1) | instskip(NEXT) | instid1(VALU_DEP_1)
	v_bfe_u32 v9, v7, 16, 1
	v_add3_u32 v7, v7, v9, 0x7fff
	s_delay_alu instid0(VALU_DEP_1)
	v_lshrrev_b32_e32 v22, 16, v7
	s_branch .LBB175_2828
.LBB175_2826:
	s_mov_b32 s18, -1
                                        ; implicit-def: $vgpr22
.LBB175_2827:
	s_mov_b32 s21, 0
.LBB175_2828:
	s_delay_alu instid0(SALU_CYCLE_1)
	s_and_b32 vcc_lo, exec_lo, s21
	s_cbranch_vccz .LBB175_2846
; %bb.2829:
	s_cmp_lt_i32 s17, 27
	s_cbranch_scc1 .LBB175_2832
; %bb.2830:
	s_cmp_gt_i32 s17, 27
	s_cbranch_scc0 .LBB175_2833
; %bb.2831:
	global_load_b32 v7, v[20:21], off
	s_mov_b32 s20, 0
	s_wait_loadcnt 0x0
	v_cvt_f32_u32_e32 v7, v7
	s_delay_alu instid0(VALU_DEP_1) | instskip(NEXT) | instid1(VALU_DEP_1)
	v_bfe_u32 v9, v7, 16, 1
	v_add3_u32 v7, v7, v9, 0x7fff
	s_wait_xcnt 0x1
	s_delay_alu instid0(VALU_DEP_1)
	v_lshrrev_b32_e32 v22, 16, v7
	s_branch .LBB175_2834
.LBB175_2832:
	s_mov_b32 s20, -1
                                        ; implicit-def: $vgpr22
	s_branch .LBB175_2837
.LBB175_2833:
	s_mov_b32 s20, -1
                                        ; implicit-def: $vgpr22
.LBB175_2834:
	s_delay_alu instid0(SALU_CYCLE_1)
	s_and_not1_b32 vcc_lo, exec_lo, s20
	s_cbranch_vccnz .LBB175_2836
; %bb.2835:
	global_load_u16 v7, v[20:21], off
	s_wait_loadcnt 0x0
	v_cvt_f32_u32_e32 v7, v7
	s_delay_alu instid0(VALU_DEP_1) | instskip(NEXT) | instid1(VALU_DEP_1)
	v_bfe_u32 v9, v7, 16, 1
	v_add3_u32 v7, v7, v9, 0x7fff
	s_wait_xcnt 0x1
	s_delay_alu instid0(VALU_DEP_1)
	v_lshrrev_b32_e32 v22, 16, v7
.LBB175_2836:
	s_mov_b32 s20, 0
.LBB175_2837:
	s_delay_alu instid0(SALU_CYCLE_1)
	s_and_not1_b32 vcc_lo, exec_lo, s20
	s_cbranch_vccnz .LBB175_2845
; %bb.2838:
	global_load_u8 v7, v[20:21], off
	s_mov_b32 s20, 0
	s_mov_b32 s21, exec_lo
	s_wait_loadcnt 0x0
	v_cmpx_lt_i16_e32 0x7f, v7
	s_xor_b32 s21, exec_lo, s21
	s_cbranch_execz .LBB175_2859
; %bb.2839:
	s_mov_b32 s20, -1
	s_mov_b32 s22, exec_lo
	v_cmpx_eq_u16_e32 0x80, v7
; %bb.2840:
	s_xor_b32 s20, exec_lo, -1
; %bb.2841:
	s_or_b32 exec_lo, exec_lo, s22
	s_delay_alu instid0(SALU_CYCLE_1)
	s_and_b32 s20, s20, exec_lo
	s_or_saveexec_b32 s21, s21
	v_mov_b32_e32 v9, 0x7f800001
	s_xor_b32 exec_lo, exec_lo, s21
	s_cbranch_execnz .LBB175_2860
.LBB175_2842:
	s_or_b32 exec_lo, exec_lo, s21
	s_and_saveexec_b32 s21, s20
	s_cbranch_execz .LBB175_2844
.LBB175_2843:
	v_and_b32_e32 v9, 0xffff, v7
	s_delay_alu instid0(VALU_DEP_1) | instskip(SKIP_1) | instid1(VALU_DEP_2)
	v_dual_lshlrev_b32 v7, 24, v7 :: v_dual_bitop2_b32 v11, 7, v9 bitop3:0x40
	v_bfe_u32 v17, v9, 3, 4
	v_and_b32_e32 v7, 0x80000000, v7
	s_delay_alu instid0(VALU_DEP_3) | instskip(NEXT) | instid1(VALU_DEP_3)
	v_clz_i32_u32_e32 v13, v11
	v_cmp_eq_u32_e32 vcc_lo, 0, v17
	s_delay_alu instid0(VALU_DEP_2) | instskip(NEXT) | instid1(VALU_DEP_1)
	v_min_u32_e32 v13, 32, v13
	v_subrev_nc_u32_e32 v15, 28, v13
	v_sub_nc_u32_e32 v13, 29, v13
	s_delay_alu instid0(VALU_DEP_2) | instskip(NEXT) | instid1(VALU_DEP_2)
	v_lshlrev_b32_e32 v9, v15, v9
	v_cndmask_b32_e32 v13, v17, v13, vcc_lo
	s_delay_alu instid0(VALU_DEP_2) | instskip(NEXT) | instid1(VALU_DEP_1)
	v_and_b32_e32 v9, 7, v9
	v_cndmask_b32_e32 v9, v11, v9, vcc_lo
	s_delay_alu instid0(VALU_DEP_3) | instskip(NEXT) | instid1(VALU_DEP_2)
	v_lshl_add_u32 v11, v13, 23, 0x3b800000
	v_lshlrev_b32_e32 v9, 20, v9
	s_delay_alu instid0(VALU_DEP_1)
	v_or3_b32 v9, v7, v11, v9
.LBB175_2844:
	s_or_b32 exec_lo, exec_lo, s21
	s_delay_alu instid0(VALU_DEP_1) | instskip(SKIP_1) | instid1(VALU_DEP_2)
	v_bfe_u32 v7, v9, 16, 1
	v_cmp_o_f32_e32 vcc_lo, v9, v9
	v_add3_u32 v7, v9, v7, 0x7fff
	s_delay_alu instid0(VALU_DEP_1) | instskip(NEXT) | instid1(VALU_DEP_1)
	v_lshrrev_b32_e32 v7, 16, v7
	v_cndmask_b32_e32 v22, 0x7fc0, v7, vcc_lo
.LBB175_2845:
	s_mov_b32 s20, -1
.LBB175_2846:
	s_mov_b32 s21, 0
.LBB175_2847:
	s_delay_alu instid0(SALU_CYCLE_1)
	s_and_b32 vcc_lo, exec_lo, s21
	s_cbranch_vccz .LBB175_2880
; %bb.2848:
	s_cmp_gt_i32 s17, 22
	s_cbranch_scc0 .LBB175_2858
; %bb.2849:
	s_cmp_lt_i32 s17, 24
	s_cbranch_scc1 .LBB175_2861
; %bb.2850:
	s_cmp_gt_i32 s17, 24
	s_cbranch_scc0 .LBB175_2862
; %bb.2851:
	global_load_u8 v7, v[20:21], off
	s_mov_b32 s20, exec_lo
	s_wait_loadcnt 0x0
	v_cmpx_lt_i16_e32 0x7f, v7
	s_xor_b32 s20, exec_lo, s20
	s_cbranch_execz .LBB175_2874
; %bb.2852:
	s_mov_b32 s19, -1
	s_mov_b32 s21, exec_lo
	v_cmpx_eq_u16_e32 0x80, v7
; %bb.2853:
	s_xor_b32 s19, exec_lo, -1
; %bb.2854:
	s_or_b32 exec_lo, exec_lo, s21
	s_delay_alu instid0(SALU_CYCLE_1)
	s_and_b32 s19, s19, exec_lo
	s_or_saveexec_b32 s20, s20
	v_mov_b32_e32 v9, 0x7f800001
	s_xor_b32 exec_lo, exec_lo, s20
	s_cbranch_execnz .LBB175_2875
.LBB175_2855:
	s_or_b32 exec_lo, exec_lo, s20
	s_and_saveexec_b32 s20, s19
	s_cbranch_execz .LBB175_2857
.LBB175_2856:
	v_and_b32_e32 v9, 0xffff, v7
	s_delay_alu instid0(VALU_DEP_1) | instskip(SKIP_1) | instid1(VALU_DEP_2)
	v_dual_lshlrev_b32 v7, 24, v7 :: v_dual_bitop2_b32 v11, 3, v9 bitop3:0x40
	v_bfe_u32 v17, v9, 2, 5
	v_and_b32_e32 v7, 0x80000000, v7
	s_delay_alu instid0(VALU_DEP_3) | instskip(NEXT) | instid1(VALU_DEP_3)
	v_clz_i32_u32_e32 v13, v11
	v_cmp_eq_u32_e32 vcc_lo, 0, v17
	s_delay_alu instid0(VALU_DEP_2) | instskip(NEXT) | instid1(VALU_DEP_1)
	v_min_u32_e32 v13, 32, v13
	v_subrev_nc_u32_e32 v15, 29, v13
	v_sub_nc_u32_e32 v13, 30, v13
	s_delay_alu instid0(VALU_DEP_2) | instskip(NEXT) | instid1(VALU_DEP_2)
	v_lshlrev_b32_e32 v9, v15, v9
	v_cndmask_b32_e32 v13, v17, v13, vcc_lo
	s_delay_alu instid0(VALU_DEP_2) | instskip(NEXT) | instid1(VALU_DEP_1)
	v_and_b32_e32 v9, 3, v9
	v_cndmask_b32_e32 v9, v11, v9, vcc_lo
	s_delay_alu instid0(VALU_DEP_3) | instskip(NEXT) | instid1(VALU_DEP_2)
	v_lshl_add_u32 v11, v13, 23, 0x37800000
	v_lshlrev_b32_e32 v9, 21, v9
	s_delay_alu instid0(VALU_DEP_1)
	v_or3_b32 v9, v7, v11, v9
.LBB175_2857:
	s_or_b32 exec_lo, exec_lo, s20
	s_delay_alu instid0(VALU_DEP_1) | instskip(SKIP_2) | instid1(VALU_DEP_2)
	v_bfe_u32 v7, v9, 16, 1
	v_cmp_o_f32_e32 vcc_lo, v9, v9
	s_mov_b32 s19, 0
	v_add3_u32 v7, v9, v7, 0x7fff
	s_delay_alu instid0(VALU_DEP_1) | instskip(NEXT) | instid1(VALU_DEP_1)
	v_lshrrev_b32_e32 v7, 16, v7
	v_cndmask_b32_e32 v22, 0x7fc0, v7, vcc_lo
	s_branch .LBB175_2863
.LBB175_2858:
	s_mov_b32 s19, -1
                                        ; implicit-def: $vgpr22
	s_branch .LBB175_2869
.LBB175_2859:
	s_or_saveexec_b32 s21, s21
	v_mov_b32_e32 v9, 0x7f800001
	s_xor_b32 exec_lo, exec_lo, s21
	s_cbranch_execz .LBB175_2842
.LBB175_2860:
	v_cmp_ne_u16_e32 vcc_lo, 0, v7
	v_mov_b32_e32 v9, 0
	s_and_not1_b32 s20, s20, exec_lo
	s_and_b32 s22, vcc_lo, exec_lo
	s_delay_alu instid0(SALU_CYCLE_1)
	s_or_b32 s20, s20, s22
	s_or_b32 exec_lo, exec_lo, s21
	s_and_saveexec_b32 s21, s20
	s_cbranch_execnz .LBB175_2843
	s_branch .LBB175_2844
.LBB175_2861:
	s_mov_b32 s19, -1
                                        ; implicit-def: $vgpr22
	s_branch .LBB175_2866
.LBB175_2862:
	s_mov_b32 s19, -1
                                        ; implicit-def: $vgpr22
.LBB175_2863:
	s_delay_alu instid0(SALU_CYCLE_1)
	s_and_b32 vcc_lo, exec_lo, s19
	s_cbranch_vccz .LBB175_2865
; %bb.2864:
	global_load_u8 v7, v[20:21], off
	s_wait_loadcnt 0x0
	v_lshlrev_b32_e32 v7, 24, v7
	s_delay_alu instid0(VALU_DEP_1) | instskip(NEXT) | instid1(VALU_DEP_1)
	v_and_b32_e32 v9, 0x7f000000, v7
	v_clz_i32_u32_e32 v11, v9
	v_add_nc_u32_e32 v15, 0x1000000, v9
	v_cmp_ne_u32_e32 vcc_lo, 0, v9
	s_delay_alu instid0(VALU_DEP_3) | instskip(NEXT) | instid1(VALU_DEP_1)
	v_min_u32_e32 v11, 32, v11
	v_sub_nc_u32_e64 v11, v11, 4 clamp
	s_delay_alu instid0(VALU_DEP_1) | instskip(NEXT) | instid1(VALU_DEP_1)
	v_dual_lshlrev_b32 v13, v11, v9 :: v_dual_lshlrev_b32 v11, 23, v11
	v_lshrrev_b32_e32 v13, 4, v13
	s_delay_alu instid0(VALU_DEP_1) | instskip(SKIP_1) | instid1(VALU_DEP_2)
	v_sub_nc_u32_e32 v11, v13, v11
	v_ashrrev_i32_e32 v13, 8, v15
	v_add_nc_u32_e32 v11, 0x3c000000, v11
	s_delay_alu instid0(VALU_DEP_1) | instskip(NEXT) | instid1(VALU_DEP_1)
	v_and_or_b32 v11, 0x7f800000, v13, v11
	v_cndmask_b32_e32 v9, 0, v11, vcc_lo
	s_delay_alu instid0(VALU_DEP_1) | instskip(SKIP_1) | instid1(VALU_DEP_2)
	v_and_or_b32 v7, 0x80000000, v7, v9
	v_bfe_u32 v9, v9, 16, 1
	v_cmp_o_f32_e32 vcc_lo, v7, v7
	s_delay_alu instid0(VALU_DEP_2) | instskip(NEXT) | instid1(VALU_DEP_1)
	v_add3_u32 v9, v7, v9, 0x7fff
	v_lshrrev_b32_e32 v9, 16, v9
	s_wait_xcnt 0x1
	s_delay_alu instid0(VALU_DEP_1)
	v_cndmask_b32_e32 v22, 0x7fc0, v9, vcc_lo
.LBB175_2865:
	s_mov_b32 s19, 0
.LBB175_2866:
	s_delay_alu instid0(SALU_CYCLE_1)
	s_and_not1_b32 vcc_lo, exec_lo, s19
	s_cbranch_vccnz .LBB175_2868
; %bb.2867:
	global_load_u8 v7, v[20:21], off
	s_wait_loadcnt 0x0
	v_lshlrev_b32_e32 v9, 25, v7
	v_lshlrev_b16 v7, 8, v7
	s_delay_alu instid0(VALU_DEP_1) | instskip(SKIP_1) | instid1(VALU_DEP_2)
	v_and_or_b32 v13, 0x7f00, v7, 0.5
	v_bfe_i32 v7, v7, 0, 16
	v_add_f32_e32 v13, -0.5, v13
	v_lshrrev_b32_e32 v11, 4, v9
	v_cmp_gt_u32_e32 vcc_lo, 0x8000000, v9
	s_delay_alu instid0(VALU_DEP_2) | instskip(NEXT) | instid1(VALU_DEP_1)
	v_or_b32_e32 v11, 0x70000000, v11
	v_mul_f32_e32 v11, 0x7800000, v11
	s_delay_alu instid0(VALU_DEP_1) | instskip(NEXT) | instid1(VALU_DEP_1)
	v_cndmask_b32_e32 v9, v11, v13, vcc_lo
	v_and_or_b32 v7, 0x80000000, v7, v9
	v_bfe_u32 v9, v9, 16, 1
	s_delay_alu instid0(VALU_DEP_2) | instskip(NEXT) | instid1(VALU_DEP_2)
	v_cmp_o_f32_e32 vcc_lo, v7, v7
	v_add3_u32 v9, v7, v9, 0x7fff
	s_delay_alu instid0(VALU_DEP_1) | instskip(SKIP_1) | instid1(VALU_DEP_1)
	v_lshrrev_b32_e32 v9, 16, v9
	s_wait_xcnt 0x1
	v_cndmask_b32_e32 v22, 0x7fc0, v9, vcc_lo
.LBB175_2868:
	s_mov_b32 s19, 0
	s_mov_b32 s20, -1
.LBB175_2869:
	s_and_not1_b32 vcc_lo, exec_lo, s19
	s_mov_b32 s19, 0
	s_cbranch_vccnz .LBB175_2880
; %bb.2870:
	s_cmp_gt_i32 s17, 14
	s_cbranch_scc0 .LBB175_2873
; %bb.2871:
	s_cmp_eq_u32 s17, 15
	s_cbranch_scc0 .LBB175_2876
; %bb.2872:
	s_wait_loadcnt 0x0
	global_load_u16 v22, v[20:21], off
	s_mov_b32 s18, 0
	s_mov_b32 s20, -1
	s_branch .LBB175_2878
.LBB175_2873:
	s_mov_b32 s19, -1
	s_branch .LBB175_2877
.LBB175_2874:
	s_or_saveexec_b32 s20, s20
	v_mov_b32_e32 v9, 0x7f800001
	s_xor_b32 exec_lo, exec_lo, s20
	s_cbranch_execz .LBB175_2855
.LBB175_2875:
	v_cmp_ne_u16_e32 vcc_lo, 0, v7
	v_mov_b32_e32 v9, 0
	s_and_not1_b32 s19, s19, exec_lo
	s_and_b32 s21, vcc_lo, exec_lo
	s_delay_alu instid0(SALU_CYCLE_1)
	s_or_b32 s19, s19, s21
	s_or_b32 exec_lo, exec_lo, s20
	s_and_saveexec_b32 s20, s19
	s_cbranch_execnz .LBB175_2856
	s_branch .LBB175_2857
.LBB175_2876:
	s_mov_b32 s18, -1
.LBB175_2877:
                                        ; implicit-def: $vgpr22
.LBB175_2878:
	s_and_b32 vcc_lo, exec_lo, s19
	s_mov_b32 s19, 0
	s_cbranch_vccz .LBB175_2880
; %bb.2879:
	s_cmp_lg_u32 s17, 11
	s_mov_b32 s19, -1
	s_cselect_b32 s18, -1, 0
.LBB175_2880:
	s_delay_alu instid0(SALU_CYCLE_1)
	s_and_b32 vcc_lo, exec_lo, s18
	s_cbranch_vccnz .LBB175_2945
; %bb.2881:
	s_and_not1_b32 vcc_lo, exec_lo, s19
	s_cbranch_vccnz .LBB175_2883
.LBB175_2882:
	global_load_u8 v7, v[20:21], off
	s_mov_b32 s20, -1
	s_wait_loadcnt 0x0
	v_cmp_ne_u16_e32 vcc_lo, 0, v7
	v_cndmask_b32_e64 v7, 0, 1.0, vcc_lo
	s_wait_xcnt 0x1
	s_delay_alu instid0(VALU_DEP_1)
	v_lshrrev_b32_e32 v22, 16, v7
.LBB175_2883:
	s_mov_b32 s18, 0
.LBB175_2884:
	s_delay_alu instid0(SALU_CYCLE_1)
	s_and_b32 vcc_lo, exec_lo, s18
	s_cbranch_vccz .LBB175_2933
; %bb.2885:
	s_cmp_lt_i32 s17, 5
	s_cbranch_scc1 .LBB175_2890
; %bb.2886:
	s_cmp_lt_i32 s17, 8
	s_cbranch_scc1 .LBB175_2891
	;; [unrolled: 3-line block ×3, first 2 shown]
; %bb.2888:
	s_cmp_gt_i32 s17, 9
	s_cbranch_scc0 .LBB175_2893
; %bb.2889:
	s_wait_loadcnt 0x0
	global_load_b64 v[22:23], v[20:21], off
	s_mov_b32 s18, 0
	s_wait_loadcnt 0x0
	v_cvt_f32_f64_e32 v7, v[22:23]
	s_delay_alu instid0(VALU_DEP_1) | instskip(SKIP_1) | instid1(VALU_DEP_2)
	v_bfe_u32 v9, v7, 16, 1
	v_cmp_o_f32_e32 vcc_lo, v7, v7
	v_add3_u32 v9, v7, v9, 0x7fff
	s_delay_alu instid0(VALU_DEP_1) | instskip(NEXT) | instid1(VALU_DEP_1)
	v_lshrrev_b32_e32 v9, 16, v9
	v_cndmask_b32_e32 v22, 0x7fc0, v9, vcc_lo
	s_branch .LBB175_2894
.LBB175_2890:
	s_mov_b32 s18, -1
                                        ; implicit-def: $vgpr22
	s_branch .LBB175_2912
.LBB175_2891:
	s_mov_b32 s18, -1
                                        ; implicit-def: $vgpr22
	s_branch .LBB175_2900
.LBB175_2892:
	s_mov_b32 s18, -1
                                        ; implicit-def: $vgpr22
	s_branch .LBB175_2897
.LBB175_2893:
	s_mov_b32 s18, -1
                                        ; implicit-def: $vgpr22
.LBB175_2894:
	s_delay_alu instid0(SALU_CYCLE_1)
	s_and_not1_b32 vcc_lo, exec_lo, s18
	s_cbranch_vccnz .LBB175_2896
; %bb.2895:
	global_load_b32 v7, v[20:21], off
	s_wait_loadcnt 0x0
	v_bfe_u32 v9, v7, 16, 1
	v_cmp_o_f32_e32 vcc_lo, v7, v7
	s_delay_alu instid0(VALU_DEP_2) | instskip(NEXT) | instid1(VALU_DEP_1)
	v_add3_u32 v9, v7, v9, 0x7fff
	v_lshrrev_b32_e32 v9, 16, v9
	s_wait_xcnt 0x1
	s_delay_alu instid0(VALU_DEP_1)
	v_cndmask_b32_e32 v22, 0x7fc0, v9, vcc_lo
.LBB175_2896:
	s_mov_b32 s18, 0
.LBB175_2897:
	s_delay_alu instid0(SALU_CYCLE_1)
	s_and_not1_b32 vcc_lo, exec_lo, s18
	s_cbranch_vccnz .LBB175_2899
; %bb.2898:
	global_load_b32 v7, v[20:21], off
	s_wait_loadcnt 0x0
	v_cvt_f32_f16_e32 v9, v7
	v_cmp_o_f16_e32 vcc_lo, v7, v7
	s_delay_alu instid0(VALU_DEP_2) | instskip(NEXT) | instid1(VALU_DEP_1)
	v_bfe_u32 v11, v9, 16, 1
	v_add3_u32 v9, v9, v11, 0x7fff
	s_delay_alu instid0(VALU_DEP_1) | instskip(SKIP_1) | instid1(VALU_DEP_1)
	v_lshrrev_b32_e32 v9, 16, v9
	s_wait_xcnt 0x1
	v_cndmask_b32_e32 v22, 0x7fc0, v9, vcc_lo
.LBB175_2899:
	s_mov_b32 s18, 0
.LBB175_2900:
	s_delay_alu instid0(SALU_CYCLE_1)
	s_and_not1_b32 vcc_lo, exec_lo, s18
	s_cbranch_vccnz .LBB175_2911
; %bb.2901:
	s_cmp_lt_i32 s17, 6
	s_cbranch_scc1 .LBB175_2904
; %bb.2902:
	s_cmp_gt_i32 s17, 6
	s_cbranch_scc0 .LBB175_2905
; %bb.2903:
	s_wait_loadcnt 0x0
	global_load_b64 v[22:23], v[20:21], off
	s_mov_b32 s18, 0
	s_wait_loadcnt 0x0
	v_cvt_f32_f64_e32 v7, v[22:23]
	s_delay_alu instid0(VALU_DEP_1) | instskip(SKIP_1) | instid1(VALU_DEP_2)
	v_bfe_u32 v9, v7, 16, 1
	v_cmp_o_f32_e32 vcc_lo, v7, v7
	v_add3_u32 v9, v7, v9, 0x7fff
	s_delay_alu instid0(VALU_DEP_1) | instskip(NEXT) | instid1(VALU_DEP_1)
	v_lshrrev_b32_e32 v9, 16, v9
	v_cndmask_b32_e32 v22, 0x7fc0, v9, vcc_lo
	s_branch .LBB175_2906
.LBB175_2904:
	s_mov_b32 s18, -1
                                        ; implicit-def: $vgpr22
	s_branch .LBB175_2909
.LBB175_2905:
	s_mov_b32 s18, -1
                                        ; implicit-def: $vgpr22
.LBB175_2906:
	s_delay_alu instid0(SALU_CYCLE_1)
	s_and_not1_b32 vcc_lo, exec_lo, s18
	s_cbranch_vccnz .LBB175_2908
; %bb.2907:
	global_load_b32 v7, v[20:21], off
	s_wait_loadcnt 0x0
	v_bfe_u32 v9, v7, 16, 1
	v_cmp_o_f32_e32 vcc_lo, v7, v7
	s_delay_alu instid0(VALU_DEP_2) | instskip(NEXT) | instid1(VALU_DEP_1)
	v_add3_u32 v9, v7, v9, 0x7fff
	v_lshrrev_b32_e32 v9, 16, v9
	s_wait_xcnt 0x1
	s_delay_alu instid0(VALU_DEP_1)
	v_cndmask_b32_e32 v22, 0x7fc0, v9, vcc_lo
.LBB175_2908:
	s_mov_b32 s18, 0
.LBB175_2909:
	s_delay_alu instid0(SALU_CYCLE_1)
	s_and_not1_b32 vcc_lo, exec_lo, s18
	s_cbranch_vccnz .LBB175_2911
; %bb.2910:
	global_load_u16 v7, v[20:21], off
	s_wait_loadcnt 0x0
	v_cvt_f32_f16_e32 v9, v7
	v_cmp_o_f16_e32 vcc_lo, v7, v7
	s_delay_alu instid0(VALU_DEP_2) | instskip(NEXT) | instid1(VALU_DEP_1)
	v_bfe_u32 v11, v9, 16, 1
	v_add3_u32 v9, v9, v11, 0x7fff
	s_delay_alu instid0(VALU_DEP_1) | instskip(SKIP_1) | instid1(VALU_DEP_1)
	v_lshrrev_b32_e32 v9, 16, v9
	s_wait_xcnt 0x1
	v_cndmask_b32_e32 v22, 0x7fc0, v9, vcc_lo
.LBB175_2911:
	s_mov_b32 s18, 0
.LBB175_2912:
	s_delay_alu instid0(SALU_CYCLE_1)
	s_and_not1_b32 vcc_lo, exec_lo, s18
	s_cbranch_vccnz .LBB175_2932
; %bb.2913:
	s_cmp_lt_i32 s17, 2
	s_cbranch_scc1 .LBB175_2917
; %bb.2914:
	s_cmp_lt_i32 s17, 3
	s_cbranch_scc1 .LBB175_2918
; %bb.2915:
	s_cmp_gt_i32 s17, 3
	s_cbranch_scc0 .LBB175_2919
; %bb.2916:
	s_wait_loadcnt 0x0
	global_load_b64 v[22:23], v[20:21], off
	s_mov_b32 s18, 0
	s_wait_loadcnt 0x0
	v_xor_b32_e32 v7, v22, v23
	v_cls_i32_e32 v9, v23
	s_delay_alu instid0(VALU_DEP_2) | instskip(NEXT) | instid1(VALU_DEP_1)
	v_ashrrev_i32_e32 v7, 31, v7
	v_add_nc_u32_e32 v7, 32, v7
	s_delay_alu instid0(VALU_DEP_1) | instskip(NEXT) | instid1(VALU_DEP_1)
	v_add_min_u32_e64 v7, v9, -1, v7
	v_lshlrev_b64_e32 v[22:23], v7, v[22:23]
	v_sub_nc_u32_e32 v7, 32, v7
	s_delay_alu instid0(VALU_DEP_2) | instskip(NEXT) | instid1(VALU_DEP_1)
	v_min_u32_e32 v9, 1, v22
	v_or_b32_e32 v9, v23, v9
	s_delay_alu instid0(VALU_DEP_1) | instskip(NEXT) | instid1(VALU_DEP_1)
	v_cvt_f32_i32_e32 v9, v9
	v_ldexp_f32 v7, v9, v7
	s_delay_alu instid0(VALU_DEP_1) | instskip(NEXT) | instid1(VALU_DEP_1)
	v_bfe_u32 v9, v7, 16, 1
	v_add3_u32 v7, v7, v9, 0x7fff
	s_delay_alu instid0(VALU_DEP_1)
	v_lshrrev_b32_e32 v22, 16, v7
	s_branch .LBB175_2920
.LBB175_2917:
	s_mov_b32 s18, -1
                                        ; implicit-def: $vgpr22
	s_branch .LBB175_2926
.LBB175_2918:
	s_mov_b32 s18, -1
                                        ; implicit-def: $vgpr22
	s_branch .LBB175_2923
.LBB175_2919:
	s_mov_b32 s18, -1
                                        ; implicit-def: $vgpr22
.LBB175_2920:
	s_delay_alu instid0(SALU_CYCLE_1)
	s_and_not1_b32 vcc_lo, exec_lo, s18
	s_cbranch_vccnz .LBB175_2922
; %bb.2921:
	global_load_b32 v7, v[20:21], off
	s_wait_loadcnt 0x0
	v_cvt_f32_i32_e32 v7, v7
	s_delay_alu instid0(VALU_DEP_1) | instskip(NEXT) | instid1(VALU_DEP_1)
	v_bfe_u32 v9, v7, 16, 1
	v_add3_u32 v7, v7, v9, 0x7fff
	s_wait_xcnt 0x1
	s_delay_alu instid0(VALU_DEP_1)
	v_lshrrev_b32_e32 v22, 16, v7
.LBB175_2922:
	s_mov_b32 s18, 0
.LBB175_2923:
	s_delay_alu instid0(SALU_CYCLE_1)
	s_and_not1_b32 vcc_lo, exec_lo, s18
	s_cbranch_vccnz .LBB175_2925
; %bb.2924:
	global_load_i16 v7, v[20:21], off
	s_wait_loadcnt 0x0
	v_cvt_f32_i32_e32 v7, v7
	s_delay_alu instid0(VALU_DEP_1) | instskip(NEXT) | instid1(VALU_DEP_1)
	v_bfe_u32 v9, v7, 16, 1
	v_add3_u32 v7, v7, v9, 0x7fff
	s_wait_xcnt 0x1
	s_delay_alu instid0(VALU_DEP_1)
	v_lshrrev_b32_e32 v22, 16, v7
.LBB175_2925:
	s_mov_b32 s18, 0
.LBB175_2926:
	s_delay_alu instid0(SALU_CYCLE_1)
	s_and_not1_b32 vcc_lo, exec_lo, s18
	s_cbranch_vccnz .LBB175_2932
; %bb.2927:
	s_cmp_gt_i32 s17, 0
	s_mov_b32 s18, 0
	s_cbranch_scc0 .LBB175_2929
; %bb.2928:
	global_load_i8 v7, v[20:21], off
	s_wait_loadcnt 0x0
	v_cvt_f32_i32_e32 v7, v7
	s_delay_alu instid0(VALU_DEP_1) | instskip(NEXT) | instid1(VALU_DEP_1)
	v_bfe_u32 v9, v7, 16, 1
	v_add3_u32 v7, v7, v9, 0x7fff
	s_wait_xcnt 0x1
	s_delay_alu instid0(VALU_DEP_1)
	v_lshrrev_b32_e32 v22, 16, v7
	s_branch .LBB175_2930
.LBB175_2929:
	s_mov_b32 s18, -1
                                        ; implicit-def: $vgpr22
.LBB175_2930:
	s_delay_alu instid0(SALU_CYCLE_1)
	s_and_not1_b32 vcc_lo, exec_lo, s18
	s_cbranch_vccnz .LBB175_2932
; %bb.2931:
	global_load_u8 v7, v[20:21], off
	s_wait_loadcnt 0x0
	v_cvt_f32_ubyte0_e32 v7, v7
	s_delay_alu instid0(VALU_DEP_1) | instskip(NEXT) | instid1(VALU_DEP_1)
	v_bfe_u32 v9, v7, 16, 1
	v_add3_u32 v7, v7, v9, 0x7fff
	s_wait_xcnt 0x1
	s_delay_alu instid0(VALU_DEP_1)
	v_lshrrev_b32_e32 v22, 16, v7
.LBB175_2932:
	s_mov_b32 s20, -1
.LBB175_2933:
	s_delay_alu instid0(SALU_CYCLE_1)
	s_and_not1_b32 vcc_lo, exec_lo, s20
	s_cbranch_vccnz .LBB175_4155
; %bb.2934:
	v_mov_b32_e32 v19, 0
	s_cmp_lt_i32 s15, 11
	s_delay_alu instid0(VALU_DEP_1)
	v_add_nc_u64_e32 v[18:19], s[6:7], v[18:19]
	s_cbranch_scc1 .LBB175_2941
; %bb.2935:
	s_cmp_gt_i32 s15, 25
	s_mov_b32 s19, 0
	s_cbranch_scc0 .LBB175_2942
; %bb.2936:
	s_cmp_gt_i32 s15, 28
	s_cbranch_scc0 .LBB175_2943
; %bb.2937:
	s_cmp_gt_i32 s15, 43
	;; [unrolled: 3-line block ×3, first 2 shown]
	s_cbranch_scc0 .LBB175_2946
; %bb.2939:
	s_cmp_eq_u32 s15, 46
	s_mov_b32 s21, 0
	s_cbranch_scc0 .LBB175_2949
; %bb.2940:
	global_load_b32 v20, v[18:19], off
	s_mov_b32 s18, 0
	s_mov_b32 s20, -1
	s_branch .LBB175_2951
.LBB175_2941:
	s_mov_b32 s18, -1
	s_mov_b32 s20, 0
                                        ; implicit-def: $vgpr20
	s_branch .LBB175_3017
.LBB175_2942:
	s_mov_b32 s21, -1
	s_mov_b32 s20, 0
	s_mov_b32 s18, 0
                                        ; implicit-def: $vgpr20
	s_branch .LBB175_2980
.LBB175_2943:
	s_mov_b32 s21, -1
	s_mov_b32 s20, 0
	s_mov_b32 s18, 0
                                        ; implicit-def: $vgpr20
	s_branch .LBB175_2961
.LBB175_2944:
	s_mov_b32 s21, -1
	s_mov_b32 s20, 0
	s_mov_b32 s18, 0
                                        ; implicit-def: $vgpr20
	s_branch .LBB175_2956
.LBB175_2945:
	s_or_b32 s1, s1, exec_lo
	s_trap 2
	s_cbranch_execz .LBB175_2882
	s_branch .LBB175_2883
.LBB175_2946:
	s_mov_b32 s21, -1
	s_mov_b32 s20, 0
	s_mov_b32 s18, 0
	s_branch .LBB175_2950
.LBB175_2947:
	s_and_not1_saveexec_b32 s61, s61
	s_cbranch_execz .LBB175_1511
.LBB175_2948:
	v_add_f32_e64 v5, 0x42800000, |v6|
	s_and_not1_b32 s60, s60, exec_lo
	s_delay_alu instid0(VALU_DEP_1) | instskip(NEXT) | instid1(VALU_DEP_1)
	v_and_b32_e32 v5, 0xff, v5
	v_cmp_ne_u32_e32 vcc_lo, 0, v5
	s_and_b32 s62, vcc_lo, exec_lo
	s_delay_alu instid0(SALU_CYCLE_1)
	s_or_b32 s60, s60, s62
	s_or_b32 exec_lo, exec_lo, s61
	v_mov_b32_e32 v7, 0
	s_and_saveexec_b32 s61, s60
	s_cbranch_execnz .LBB175_1512
	s_branch .LBB175_1513
.LBB175_2949:
	s_mov_b32 s18, -1
	s_mov_b32 s20, 0
.LBB175_2950:
                                        ; implicit-def: $vgpr20
.LBB175_2951:
	s_and_b32 vcc_lo, exec_lo, s21
	s_cbranch_vccz .LBB175_2955
; %bb.2952:
	s_cmp_eq_u32 s15, 44
	s_cbranch_scc0 .LBB175_2954
; %bb.2953:
	global_load_u8 v7, v[18:19], off
	s_mov_b32 s18, 0
	s_mov_b32 s20, -1
	s_wait_loadcnt 0x0
	v_lshlrev_b32_e32 v9, 23, v7
	v_cmp_ne_u32_e32 vcc_lo, 0xff, v7
	s_delay_alu instid0(VALU_DEP_2) | instskip(SKIP_1) | instid1(VALU_DEP_2)
	v_cndmask_b32_e32 v9, 0x7f800001, v9, vcc_lo
	v_cmp_ne_u32_e32 vcc_lo, 0, v7
	v_cndmask_b32_e32 v7, 0x400000, v9, vcc_lo
	s_delay_alu instid0(VALU_DEP_1) | instskip(SKIP_1) | instid1(VALU_DEP_2)
	v_add_nc_u32_e32 v9, 0x7fff, v7
	v_cmp_o_f32_e32 vcc_lo, v7, v7
	v_lshrrev_b32_e32 v9, 16, v9
	s_wait_xcnt 0x1
	s_delay_alu instid0(VALU_DEP_1)
	v_cndmask_b32_e32 v20, 0x7fc0, v9, vcc_lo
	s_branch .LBB175_2955
.LBB175_2954:
	s_mov_b32 s18, -1
                                        ; implicit-def: $vgpr20
.LBB175_2955:
	s_mov_b32 s21, 0
.LBB175_2956:
	s_delay_alu instid0(SALU_CYCLE_1)
	s_and_b32 vcc_lo, exec_lo, s21
	s_cbranch_vccz .LBB175_2960
; %bb.2957:
	s_cmp_eq_u32 s15, 29
	s_cbranch_scc0 .LBB175_2959
; %bb.2958:
	s_wait_loadcnt 0x0
	global_load_b64 v[20:21], v[18:19], off
	s_mov_b32 s18, 0
	s_mov_b32 s20, -1
	s_mov_b32 s21, 0
	s_wait_loadcnt 0x0
	v_clz_i32_u32_e32 v7, v21
	s_delay_alu instid0(VALU_DEP_1) | instskip(NEXT) | instid1(VALU_DEP_1)
	v_min_u32_e32 v7, 32, v7
	v_lshlrev_b64_e32 v[20:21], v7, v[20:21]
	v_sub_nc_u32_e32 v7, 32, v7
	s_delay_alu instid0(VALU_DEP_2) | instskip(NEXT) | instid1(VALU_DEP_1)
	v_min_u32_e32 v9, 1, v20
	v_or_b32_e32 v9, v21, v9
	s_delay_alu instid0(VALU_DEP_1) | instskip(NEXT) | instid1(VALU_DEP_1)
	v_cvt_f32_u32_e32 v9, v9
	v_ldexp_f32 v7, v9, v7
	s_delay_alu instid0(VALU_DEP_1) | instskip(NEXT) | instid1(VALU_DEP_1)
	v_bfe_u32 v9, v7, 16, 1
	v_add3_u32 v7, v7, v9, 0x7fff
	s_delay_alu instid0(VALU_DEP_1)
	v_lshrrev_b32_e32 v20, 16, v7
	s_branch .LBB175_2961
.LBB175_2959:
	s_mov_b32 s18, -1
                                        ; implicit-def: $vgpr20
.LBB175_2960:
	s_mov_b32 s21, 0
.LBB175_2961:
	s_delay_alu instid0(SALU_CYCLE_1)
	s_and_b32 vcc_lo, exec_lo, s21
	s_cbranch_vccz .LBB175_2979
; %bb.2962:
	s_cmp_lt_i32 s15, 27
	s_cbranch_scc1 .LBB175_2965
; %bb.2963:
	s_cmp_gt_i32 s15, 27
	s_cbranch_scc0 .LBB175_2966
; %bb.2964:
	global_load_b32 v7, v[18:19], off
	s_mov_b32 s20, 0
	s_wait_loadcnt 0x0
	v_cvt_f32_u32_e32 v7, v7
	s_delay_alu instid0(VALU_DEP_1) | instskip(NEXT) | instid1(VALU_DEP_1)
	v_bfe_u32 v9, v7, 16, 1
	v_add3_u32 v7, v7, v9, 0x7fff
	s_wait_xcnt 0x1
	s_delay_alu instid0(VALU_DEP_1)
	v_lshrrev_b32_e32 v20, 16, v7
	s_branch .LBB175_2967
.LBB175_2965:
	s_mov_b32 s20, -1
                                        ; implicit-def: $vgpr20
	s_branch .LBB175_2970
.LBB175_2966:
	s_mov_b32 s20, -1
                                        ; implicit-def: $vgpr20
.LBB175_2967:
	s_delay_alu instid0(SALU_CYCLE_1)
	s_and_not1_b32 vcc_lo, exec_lo, s20
	s_cbranch_vccnz .LBB175_2969
; %bb.2968:
	global_load_u16 v7, v[18:19], off
	s_wait_loadcnt 0x0
	v_cvt_f32_u32_e32 v7, v7
	s_delay_alu instid0(VALU_DEP_1) | instskip(NEXT) | instid1(VALU_DEP_1)
	v_bfe_u32 v9, v7, 16, 1
	v_add3_u32 v7, v7, v9, 0x7fff
	s_wait_xcnt 0x1
	s_delay_alu instid0(VALU_DEP_1)
	v_lshrrev_b32_e32 v20, 16, v7
.LBB175_2969:
	s_mov_b32 s20, 0
.LBB175_2970:
	s_delay_alu instid0(SALU_CYCLE_1)
	s_and_not1_b32 vcc_lo, exec_lo, s20
	s_cbranch_vccnz .LBB175_2978
; %bb.2971:
	global_load_u8 v7, v[18:19], off
	s_mov_b32 s20, 0
	s_mov_b32 s21, exec_lo
	s_wait_loadcnt 0x0
	v_cmpx_lt_i16_e32 0x7f, v7
	s_xor_b32 s21, exec_lo, s21
	s_cbranch_execz .LBB175_2992
; %bb.2972:
	s_mov_b32 s20, -1
	s_mov_b32 s22, exec_lo
	v_cmpx_eq_u16_e32 0x80, v7
; %bb.2973:
	s_xor_b32 s20, exec_lo, -1
; %bb.2974:
	s_or_b32 exec_lo, exec_lo, s22
	s_delay_alu instid0(SALU_CYCLE_1)
	s_and_b32 s20, s20, exec_lo
	s_or_saveexec_b32 s21, s21
	v_mov_b32_e32 v9, 0x7f800001
	s_xor_b32 exec_lo, exec_lo, s21
	s_cbranch_execnz .LBB175_2993
.LBB175_2975:
	s_or_b32 exec_lo, exec_lo, s21
	s_and_saveexec_b32 s21, s20
	s_cbranch_execz .LBB175_2977
.LBB175_2976:
	v_and_b32_e32 v9, 0xffff, v7
	s_delay_alu instid0(VALU_DEP_1) | instskip(SKIP_1) | instid1(VALU_DEP_2)
	v_dual_lshlrev_b32 v7, 24, v7 :: v_dual_bitop2_b32 v11, 7, v9 bitop3:0x40
	v_bfe_u32 v17, v9, 3, 4
	v_and_b32_e32 v7, 0x80000000, v7
	s_delay_alu instid0(VALU_DEP_3) | instskip(NEXT) | instid1(VALU_DEP_3)
	v_clz_i32_u32_e32 v13, v11
	v_cmp_eq_u32_e32 vcc_lo, 0, v17
	s_delay_alu instid0(VALU_DEP_2) | instskip(NEXT) | instid1(VALU_DEP_1)
	v_min_u32_e32 v13, 32, v13
	v_subrev_nc_u32_e32 v15, 28, v13
	v_sub_nc_u32_e32 v13, 29, v13
	s_delay_alu instid0(VALU_DEP_2) | instskip(NEXT) | instid1(VALU_DEP_2)
	v_lshlrev_b32_e32 v9, v15, v9
	v_cndmask_b32_e32 v13, v17, v13, vcc_lo
	s_delay_alu instid0(VALU_DEP_2) | instskip(NEXT) | instid1(VALU_DEP_1)
	v_and_b32_e32 v9, 7, v9
	v_cndmask_b32_e32 v9, v11, v9, vcc_lo
	s_delay_alu instid0(VALU_DEP_3) | instskip(NEXT) | instid1(VALU_DEP_2)
	v_lshl_add_u32 v11, v13, 23, 0x3b800000
	v_lshlrev_b32_e32 v9, 20, v9
	s_delay_alu instid0(VALU_DEP_1)
	v_or3_b32 v9, v7, v11, v9
.LBB175_2977:
	s_or_b32 exec_lo, exec_lo, s21
	s_delay_alu instid0(VALU_DEP_1) | instskip(SKIP_1) | instid1(VALU_DEP_2)
	v_bfe_u32 v7, v9, 16, 1
	v_cmp_o_f32_e32 vcc_lo, v9, v9
	v_add3_u32 v7, v9, v7, 0x7fff
	s_delay_alu instid0(VALU_DEP_1) | instskip(NEXT) | instid1(VALU_DEP_1)
	v_lshrrev_b32_e32 v7, 16, v7
	v_cndmask_b32_e32 v20, 0x7fc0, v7, vcc_lo
.LBB175_2978:
	s_mov_b32 s20, -1
.LBB175_2979:
	s_mov_b32 s21, 0
.LBB175_2980:
	s_delay_alu instid0(SALU_CYCLE_1)
	s_and_b32 vcc_lo, exec_lo, s21
	s_cbranch_vccz .LBB175_3013
; %bb.2981:
	s_cmp_gt_i32 s15, 22
	s_cbranch_scc0 .LBB175_2991
; %bb.2982:
	s_cmp_lt_i32 s15, 24
	s_cbranch_scc1 .LBB175_2994
; %bb.2983:
	s_cmp_gt_i32 s15, 24
	s_cbranch_scc0 .LBB175_2995
; %bb.2984:
	global_load_u8 v7, v[18:19], off
	s_mov_b32 s20, exec_lo
	s_wait_loadcnt 0x0
	v_cmpx_lt_i16_e32 0x7f, v7
	s_xor_b32 s20, exec_lo, s20
	s_cbranch_execz .LBB175_3007
; %bb.2985:
	s_mov_b32 s19, -1
	s_mov_b32 s21, exec_lo
	v_cmpx_eq_u16_e32 0x80, v7
; %bb.2986:
	s_xor_b32 s19, exec_lo, -1
; %bb.2987:
	s_or_b32 exec_lo, exec_lo, s21
	s_delay_alu instid0(SALU_CYCLE_1)
	s_and_b32 s19, s19, exec_lo
	s_or_saveexec_b32 s20, s20
	v_mov_b32_e32 v9, 0x7f800001
	s_xor_b32 exec_lo, exec_lo, s20
	s_cbranch_execnz .LBB175_3008
.LBB175_2988:
	s_or_b32 exec_lo, exec_lo, s20
	s_and_saveexec_b32 s20, s19
	s_cbranch_execz .LBB175_2990
.LBB175_2989:
	v_and_b32_e32 v9, 0xffff, v7
	s_delay_alu instid0(VALU_DEP_1) | instskip(SKIP_1) | instid1(VALU_DEP_2)
	v_dual_lshlrev_b32 v7, 24, v7 :: v_dual_bitop2_b32 v11, 3, v9 bitop3:0x40
	v_bfe_u32 v17, v9, 2, 5
	v_and_b32_e32 v7, 0x80000000, v7
	s_delay_alu instid0(VALU_DEP_3) | instskip(NEXT) | instid1(VALU_DEP_3)
	v_clz_i32_u32_e32 v13, v11
	v_cmp_eq_u32_e32 vcc_lo, 0, v17
	s_delay_alu instid0(VALU_DEP_2) | instskip(NEXT) | instid1(VALU_DEP_1)
	v_min_u32_e32 v13, 32, v13
	v_subrev_nc_u32_e32 v15, 29, v13
	v_sub_nc_u32_e32 v13, 30, v13
	s_delay_alu instid0(VALU_DEP_2) | instskip(NEXT) | instid1(VALU_DEP_2)
	v_lshlrev_b32_e32 v9, v15, v9
	v_cndmask_b32_e32 v13, v17, v13, vcc_lo
	s_delay_alu instid0(VALU_DEP_2) | instskip(NEXT) | instid1(VALU_DEP_1)
	v_and_b32_e32 v9, 3, v9
	v_cndmask_b32_e32 v9, v11, v9, vcc_lo
	s_delay_alu instid0(VALU_DEP_3) | instskip(NEXT) | instid1(VALU_DEP_2)
	v_lshl_add_u32 v11, v13, 23, 0x37800000
	v_lshlrev_b32_e32 v9, 21, v9
	s_delay_alu instid0(VALU_DEP_1)
	v_or3_b32 v9, v7, v11, v9
.LBB175_2990:
	s_or_b32 exec_lo, exec_lo, s20
	s_delay_alu instid0(VALU_DEP_1) | instskip(SKIP_2) | instid1(VALU_DEP_2)
	v_bfe_u32 v7, v9, 16, 1
	v_cmp_o_f32_e32 vcc_lo, v9, v9
	s_mov_b32 s19, 0
	v_add3_u32 v7, v9, v7, 0x7fff
	s_delay_alu instid0(VALU_DEP_1) | instskip(NEXT) | instid1(VALU_DEP_1)
	v_lshrrev_b32_e32 v7, 16, v7
	v_cndmask_b32_e32 v20, 0x7fc0, v7, vcc_lo
	s_branch .LBB175_2996
.LBB175_2991:
	s_mov_b32 s19, -1
                                        ; implicit-def: $vgpr20
	s_branch .LBB175_3002
.LBB175_2992:
	s_or_saveexec_b32 s21, s21
	v_mov_b32_e32 v9, 0x7f800001
	s_xor_b32 exec_lo, exec_lo, s21
	s_cbranch_execz .LBB175_2975
.LBB175_2993:
	v_cmp_ne_u16_e32 vcc_lo, 0, v7
	v_mov_b32_e32 v9, 0
	s_and_not1_b32 s20, s20, exec_lo
	s_and_b32 s22, vcc_lo, exec_lo
	s_delay_alu instid0(SALU_CYCLE_1)
	s_or_b32 s20, s20, s22
	s_or_b32 exec_lo, exec_lo, s21
	s_and_saveexec_b32 s21, s20
	s_cbranch_execnz .LBB175_2976
	s_branch .LBB175_2977
.LBB175_2994:
	s_mov_b32 s19, -1
                                        ; implicit-def: $vgpr20
	s_branch .LBB175_2999
.LBB175_2995:
	s_mov_b32 s19, -1
                                        ; implicit-def: $vgpr20
.LBB175_2996:
	s_delay_alu instid0(SALU_CYCLE_1)
	s_and_b32 vcc_lo, exec_lo, s19
	s_cbranch_vccz .LBB175_2998
; %bb.2997:
	global_load_u8 v7, v[18:19], off
	s_wait_loadcnt 0x0
	v_lshlrev_b32_e32 v7, 24, v7
	s_delay_alu instid0(VALU_DEP_1) | instskip(NEXT) | instid1(VALU_DEP_1)
	v_and_b32_e32 v9, 0x7f000000, v7
	v_clz_i32_u32_e32 v11, v9
	v_add_nc_u32_e32 v15, 0x1000000, v9
	v_cmp_ne_u32_e32 vcc_lo, 0, v9
	s_delay_alu instid0(VALU_DEP_3) | instskip(NEXT) | instid1(VALU_DEP_1)
	v_min_u32_e32 v11, 32, v11
	v_sub_nc_u32_e64 v11, v11, 4 clamp
	s_delay_alu instid0(VALU_DEP_1) | instskip(NEXT) | instid1(VALU_DEP_1)
	v_dual_lshlrev_b32 v13, v11, v9 :: v_dual_lshlrev_b32 v11, 23, v11
	v_lshrrev_b32_e32 v13, 4, v13
	s_delay_alu instid0(VALU_DEP_1) | instskip(SKIP_1) | instid1(VALU_DEP_2)
	v_sub_nc_u32_e32 v11, v13, v11
	v_ashrrev_i32_e32 v13, 8, v15
	v_add_nc_u32_e32 v11, 0x3c000000, v11
	s_delay_alu instid0(VALU_DEP_1) | instskip(NEXT) | instid1(VALU_DEP_1)
	v_and_or_b32 v11, 0x7f800000, v13, v11
	v_cndmask_b32_e32 v9, 0, v11, vcc_lo
	s_delay_alu instid0(VALU_DEP_1) | instskip(SKIP_1) | instid1(VALU_DEP_2)
	v_and_or_b32 v7, 0x80000000, v7, v9
	v_bfe_u32 v9, v9, 16, 1
	v_cmp_o_f32_e32 vcc_lo, v7, v7
	s_delay_alu instid0(VALU_DEP_2) | instskip(NEXT) | instid1(VALU_DEP_1)
	v_add3_u32 v9, v7, v9, 0x7fff
	v_lshrrev_b32_e32 v9, 16, v9
	s_wait_xcnt 0x1
	s_delay_alu instid0(VALU_DEP_1)
	v_cndmask_b32_e32 v20, 0x7fc0, v9, vcc_lo
.LBB175_2998:
	s_mov_b32 s19, 0
.LBB175_2999:
	s_delay_alu instid0(SALU_CYCLE_1)
	s_and_not1_b32 vcc_lo, exec_lo, s19
	s_cbranch_vccnz .LBB175_3001
; %bb.3000:
	global_load_u8 v7, v[18:19], off
	s_wait_loadcnt 0x0
	v_lshlrev_b32_e32 v9, 25, v7
	v_lshlrev_b16 v7, 8, v7
	s_delay_alu instid0(VALU_DEP_1) | instskip(SKIP_1) | instid1(VALU_DEP_2)
	v_and_or_b32 v13, 0x7f00, v7, 0.5
	v_bfe_i32 v7, v7, 0, 16
	v_add_f32_e32 v13, -0.5, v13
	v_lshrrev_b32_e32 v11, 4, v9
	v_cmp_gt_u32_e32 vcc_lo, 0x8000000, v9
	s_delay_alu instid0(VALU_DEP_2) | instskip(NEXT) | instid1(VALU_DEP_1)
	v_or_b32_e32 v11, 0x70000000, v11
	v_mul_f32_e32 v11, 0x7800000, v11
	s_delay_alu instid0(VALU_DEP_1) | instskip(NEXT) | instid1(VALU_DEP_1)
	v_cndmask_b32_e32 v9, v11, v13, vcc_lo
	v_and_or_b32 v7, 0x80000000, v7, v9
	v_bfe_u32 v9, v9, 16, 1
	s_delay_alu instid0(VALU_DEP_2) | instskip(NEXT) | instid1(VALU_DEP_2)
	v_cmp_o_f32_e32 vcc_lo, v7, v7
	v_add3_u32 v9, v7, v9, 0x7fff
	s_delay_alu instid0(VALU_DEP_1) | instskip(SKIP_1) | instid1(VALU_DEP_1)
	v_lshrrev_b32_e32 v9, 16, v9
	s_wait_xcnt 0x1
	v_cndmask_b32_e32 v20, 0x7fc0, v9, vcc_lo
.LBB175_3001:
	s_mov_b32 s19, 0
	s_mov_b32 s20, -1
.LBB175_3002:
	s_and_not1_b32 vcc_lo, exec_lo, s19
	s_mov_b32 s19, 0
	s_cbranch_vccnz .LBB175_3013
; %bb.3003:
	s_cmp_gt_i32 s15, 14
	s_cbranch_scc0 .LBB175_3006
; %bb.3004:
	s_cmp_eq_u32 s15, 15
	s_cbranch_scc0 .LBB175_3009
; %bb.3005:
	s_wait_loadcnt 0x0
	global_load_u16 v20, v[18:19], off
	s_mov_b32 s18, 0
	s_mov_b32 s20, -1
	s_branch .LBB175_3011
.LBB175_3006:
	s_mov_b32 s19, -1
	s_branch .LBB175_3010
.LBB175_3007:
	s_or_saveexec_b32 s20, s20
	v_mov_b32_e32 v9, 0x7f800001
	s_xor_b32 exec_lo, exec_lo, s20
	s_cbranch_execz .LBB175_2988
.LBB175_3008:
	v_cmp_ne_u16_e32 vcc_lo, 0, v7
	v_mov_b32_e32 v9, 0
	s_and_not1_b32 s19, s19, exec_lo
	s_and_b32 s21, vcc_lo, exec_lo
	s_delay_alu instid0(SALU_CYCLE_1)
	s_or_b32 s19, s19, s21
	s_or_b32 exec_lo, exec_lo, s20
	s_and_saveexec_b32 s20, s19
	s_cbranch_execnz .LBB175_2989
	s_branch .LBB175_2990
.LBB175_3009:
	s_mov_b32 s18, -1
.LBB175_3010:
                                        ; implicit-def: $vgpr20
.LBB175_3011:
	s_and_b32 vcc_lo, exec_lo, s19
	s_mov_b32 s19, 0
	s_cbranch_vccz .LBB175_3013
; %bb.3012:
	s_cmp_lg_u32 s15, 11
	s_mov_b32 s19, -1
	s_cselect_b32 s18, -1, 0
.LBB175_3013:
	s_delay_alu instid0(SALU_CYCLE_1)
	s_and_b32 vcc_lo, exec_lo, s18
	s_cbranch_vccnz .LBB175_3078
; %bb.3014:
	s_and_not1_b32 vcc_lo, exec_lo, s19
	s_cbranch_vccnz .LBB175_3016
.LBB175_3015:
	global_load_u8 v7, v[18:19], off
	s_mov_b32 s20, -1
	s_wait_loadcnt 0x0
	v_cmp_ne_u16_e32 vcc_lo, 0, v7
	v_cndmask_b32_e64 v7, 0, 1.0, vcc_lo
	s_wait_xcnt 0x1
	s_delay_alu instid0(VALU_DEP_1)
	v_lshrrev_b32_e32 v20, 16, v7
.LBB175_3016:
	s_mov_b32 s18, 0
.LBB175_3017:
	s_delay_alu instid0(SALU_CYCLE_1)
	s_and_b32 vcc_lo, exec_lo, s18
	s_cbranch_vccz .LBB175_3066
; %bb.3018:
	s_cmp_lt_i32 s15, 5
	s_cbranch_scc1 .LBB175_3023
; %bb.3019:
	s_cmp_lt_i32 s15, 8
	s_cbranch_scc1 .LBB175_3024
	;; [unrolled: 3-line block ×3, first 2 shown]
; %bb.3021:
	s_cmp_gt_i32 s15, 9
	s_cbranch_scc0 .LBB175_3026
; %bb.3022:
	s_wait_loadcnt 0x0
	global_load_b64 v[20:21], v[18:19], off
	s_mov_b32 s18, 0
	s_wait_loadcnt 0x0
	v_cvt_f32_f64_e32 v7, v[20:21]
	s_delay_alu instid0(VALU_DEP_1) | instskip(SKIP_1) | instid1(VALU_DEP_2)
	v_bfe_u32 v9, v7, 16, 1
	v_cmp_o_f32_e32 vcc_lo, v7, v7
	v_add3_u32 v9, v7, v9, 0x7fff
	s_delay_alu instid0(VALU_DEP_1) | instskip(NEXT) | instid1(VALU_DEP_1)
	v_lshrrev_b32_e32 v9, 16, v9
	v_cndmask_b32_e32 v20, 0x7fc0, v9, vcc_lo
	s_branch .LBB175_3027
.LBB175_3023:
	s_mov_b32 s18, -1
                                        ; implicit-def: $vgpr20
	s_branch .LBB175_3045
.LBB175_3024:
	s_mov_b32 s18, -1
                                        ; implicit-def: $vgpr20
	s_branch .LBB175_3033
.LBB175_3025:
	s_mov_b32 s18, -1
                                        ; implicit-def: $vgpr20
	s_branch .LBB175_3030
.LBB175_3026:
	s_mov_b32 s18, -1
                                        ; implicit-def: $vgpr20
.LBB175_3027:
	s_delay_alu instid0(SALU_CYCLE_1)
	s_and_not1_b32 vcc_lo, exec_lo, s18
	s_cbranch_vccnz .LBB175_3029
; %bb.3028:
	global_load_b32 v7, v[18:19], off
	s_wait_loadcnt 0x0
	v_bfe_u32 v9, v7, 16, 1
	v_cmp_o_f32_e32 vcc_lo, v7, v7
	s_delay_alu instid0(VALU_DEP_2) | instskip(NEXT) | instid1(VALU_DEP_1)
	v_add3_u32 v9, v7, v9, 0x7fff
	v_lshrrev_b32_e32 v9, 16, v9
	s_wait_xcnt 0x1
	s_delay_alu instid0(VALU_DEP_1)
	v_cndmask_b32_e32 v20, 0x7fc0, v9, vcc_lo
.LBB175_3029:
	s_mov_b32 s18, 0
.LBB175_3030:
	s_delay_alu instid0(SALU_CYCLE_1)
	s_and_not1_b32 vcc_lo, exec_lo, s18
	s_cbranch_vccnz .LBB175_3032
; %bb.3031:
	global_load_b32 v7, v[18:19], off
	s_wait_loadcnt 0x0
	v_cvt_f32_f16_e32 v9, v7
	v_cmp_o_f16_e32 vcc_lo, v7, v7
	s_delay_alu instid0(VALU_DEP_2) | instskip(NEXT) | instid1(VALU_DEP_1)
	v_bfe_u32 v11, v9, 16, 1
	v_add3_u32 v9, v9, v11, 0x7fff
	s_delay_alu instid0(VALU_DEP_1) | instskip(SKIP_1) | instid1(VALU_DEP_1)
	v_lshrrev_b32_e32 v9, 16, v9
	s_wait_xcnt 0x1
	v_cndmask_b32_e32 v20, 0x7fc0, v9, vcc_lo
.LBB175_3032:
	s_mov_b32 s18, 0
.LBB175_3033:
	s_delay_alu instid0(SALU_CYCLE_1)
	s_and_not1_b32 vcc_lo, exec_lo, s18
	s_cbranch_vccnz .LBB175_3044
; %bb.3034:
	s_cmp_lt_i32 s15, 6
	s_cbranch_scc1 .LBB175_3037
; %bb.3035:
	s_cmp_gt_i32 s15, 6
	s_cbranch_scc0 .LBB175_3038
; %bb.3036:
	s_wait_loadcnt 0x0
	global_load_b64 v[20:21], v[18:19], off
	s_mov_b32 s18, 0
	s_wait_loadcnt 0x0
	v_cvt_f32_f64_e32 v7, v[20:21]
	s_delay_alu instid0(VALU_DEP_1) | instskip(SKIP_1) | instid1(VALU_DEP_2)
	v_bfe_u32 v9, v7, 16, 1
	v_cmp_o_f32_e32 vcc_lo, v7, v7
	v_add3_u32 v9, v7, v9, 0x7fff
	s_delay_alu instid0(VALU_DEP_1) | instskip(NEXT) | instid1(VALU_DEP_1)
	v_lshrrev_b32_e32 v9, 16, v9
	v_cndmask_b32_e32 v20, 0x7fc0, v9, vcc_lo
	s_branch .LBB175_3039
.LBB175_3037:
	s_mov_b32 s18, -1
                                        ; implicit-def: $vgpr20
	s_branch .LBB175_3042
.LBB175_3038:
	s_mov_b32 s18, -1
                                        ; implicit-def: $vgpr20
.LBB175_3039:
	s_delay_alu instid0(SALU_CYCLE_1)
	s_and_not1_b32 vcc_lo, exec_lo, s18
	s_cbranch_vccnz .LBB175_3041
; %bb.3040:
	global_load_b32 v7, v[18:19], off
	s_wait_loadcnt 0x0
	v_bfe_u32 v9, v7, 16, 1
	v_cmp_o_f32_e32 vcc_lo, v7, v7
	s_delay_alu instid0(VALU_DEP_2) | instskip(NEXT) | instid1(VALU_DEP_1)
	v_add3_u32 v9, v7, v9, 0x7fff
	v_lshrrev_b32_e32 v9, 16, v9
	s_wait_xcnt 0x1
	s_delay_alu instid0(VALU_DEP_1)
	v_cndmask_b32_e32 v20, 0x7fc0, v9, vcc_lo
.LBB175_3041:
	s_mov_b32 s18, 0
.LBB175_3042:
	s_delay_alu instid0(SALU_CYCLE_1)
	s_and_not1_b32 vcc_lo, exec_lo, s18
	s_cbranch_vccnz .LBB175_3044
; %bb.3043:
	global_load_u16 v7, v[18:19], off
	s_wait_loadcnt 0x0
	v_cvt_f32_f16_e32 v9, v7
	v_cmp_o_f16_e32 vcc_lo, v7, v7
	s_delay_alu instid0(VALU_DEP_2) | instskip(NEXT) | instid1(VALU_DEP_1)
	v_bfe_u32 v11, v9, 16, 1
	v_add3_u32 v9, v9, v11, 0x7fff
	s_delay_alu instid0(VALU_DEP_1) | instskip(SKIP_1) | instid1(VALU_DEP_1)
	v_lshrrev_b32_e32 v9, 16, v9
	s_wait_xcnt 0x1
	v_cndmask_b32_e32 v20, 0x7fc0, v9, vcc_lo
.LBB175_3044:
	s_mov_b32 s18, 0
.LBB175_3045:
	s_delay_alu instid0(SALU_CYCLE_1)
	s_and_not1_b32 vcc_lo, exec_lo, s18
	s_cbranch_vccnz .LBB175_3065
; %bb.3046:
	s_cmp_lt_i32 s15, 2
	s_cbranch_scc1 .LBB175_3050
; %bb.3047:
	s_cmp_lt_i32 s15, 3
	s_cbranch_scc1 .LBB175_3051
; %bb.3048:
	s_cmp_gt_i32 s15, 3
	s_cbranch_scc0 .LBB175_3052
; %bb.3049:
	s_wait_loadcnt 0x0
	global_load_b64 v[20:21], v[18:19], off
	s_mov_b32 s18, 0
	s_wait_loadcnt 0x0
	v_xor_b32_e32 v7, v20, v21
	v_cls_i32_e32 v9, v21
	s_delay_alu instid0(VALU_DEP_2) | instskip(NEXT) | instid1(VALU_DEP_1)
	v_ashrrev_i32_e32 v7, 31, v7
	v_add_nc_u32_e32 v7, 32, v7
	s_delay_alu instid0(VALU_DEP_1) | instskip(NEXT) | instid1(VALU_DEP_1)
	v_add_min_u32_e64 v7, v9, -1, v7
	v_lshlrev_b64_e32 v[20:21], v7, v[20:21]
	v_sub_nc_u32_e32 v7, 32, v7
	s_delay_alu instid0(VALU_DEP_2) | instskip(NEXT) | instid1(VALU_DEP_1)
	v_min_u32_e32 v9, 1, v20
	v_or_b32_e32 v9, v21, v9
	s_delay_alu instid0(VALU_DEP_1) | instskip(NEXT) | instid1(VALU_DEP_1)
	v_cvt_f32_i32_e32 v9, v9
	v_ldexp_f32 v7, v9, v7
	s_delay_alu instid0(VALU_DEP_1) | instskip(NEXT) | instid1(VALU_DEP_1)
	v_bfe_u32 v9, v7, 16, 1
	v_add3_u32 v7, v7, v9, 0x7fff
	s_delay_alu instid0(VALU_DEP_1)
	v_lshrrev_b32_e32 v20, 16, v7
	s_branch .LBB175_3053
.LBB175_3050:
	s_mov_b32 s18, -1
                                        ; implicit-def: $vgpr20
	s_branch .LBB175_3059
.LBB175_3051:
	s_mov_b32 s18, -1
                                        ; implicit-def: $vgpr20
	s_branch .LBB175_3056
.LBB175_3052:
	s_mov_b32 s18, -1
                                        ; implicit-def: $vgpr20
.LBB175_3053:
	s_delay_alu instid0(SALU_CYCLE_1)
	s_and_not1_b32 vcc_lo, exec_lo, s18
	s_cbranch_vccnz .LBB175_3055
; %bb.3054:
	global_load_b32 v7, v[18:19], off
	s_wait_loadcnt 0x0
	v_cvt_f32_i32_e32 v7, v7
	s_delay_alu instid0(VALU_DEP_1) | instskip(NEXT) | instid1(VALU_DEP_1)
	v_bfe_u32 v9, v7, 16, 1
	v_add3_u32 v7, v7, v9, 0x7fff
	s_wait_xcnt 0x1
	s_delay_alu instid0(VALU_DEP_1)
	v_lshrrev_b32_e32 v20, 16, v7
.LBB175_3055:
	s_mov_b32 s18, 0
.LBB175_3056:
	s_delay_alu instid0(SALU_CYCLE_1)
	s_and_not1_b32 vcc_lo, exec_lo, s18
	s_cbranch_vccnz .LBB175_3058
; %bb.3057:
	global_load_i16 v7, v[18:19], off
	s_wait_loadcnt 0x0
	v_cvt_f32_i32_e32 v7, v7
	s_delay_alu instid0(VALU_DEP_1) | instskip(NEXT) | instid1(VALU_DEP_1)
	v_bfe_u32 v9, v7, 16, 1
	v_add3_u32 v7, v7, v9, 0x7fff
	s_wait_xcnt 0x1
	s_delay_alu instid0(VALU_DEP_1)
	v_lshrrev_b32_e32 v20, 16, v7
.LBB175_3058:
	s_mov_b32 s18, 0
.LBB175_3059:
	s_delay_alu instid0(SALU_CYCLE_1)
	s_and_not1_b32 vcc_lo, exec_lo, s18
	s_cbranch_vccnz .LBB175_3065
; %bb.3060:
	s_cmp_gt_i32 s15, 0
	s_mov_b32 s18, 0
	s_cbranch_scc0 .LBB175_3062
; %bb.3061:
	global_load_i8 v7, v[18:19], off
	s_wait_loadcnt 0x0
	v_cvt_f32_i32_e32 v7, v7
	s_delay_alu instid0(VALU_DEP_1) | instskip(NEXT) | instid1(VALU_DEP_1)
	v_bfe_u32 v9, v7, 16, 1
	v_add3_u32 v7, v7, v9, 0x7fff
	s_wait_xcnt 0x1
	s_delay_alu instid0(VALU_DEP_1)
	v_lshrrev_b32_e32 v20, 16, v7
	s_branch .LBB175_3063
.LBB175_3062:
	s_mov_b32 s18, -1
                                        ; implicit-def: $vgpr20
.LBB175_3063:
	s_delay_alu instid0(SALU_CYCLE_1)
	s_and_not1_b32 vcc_lo, exec_lo, s18
	s_cbranch_vccnz .LBB175_3065
; %bb.3064:
	global_load_u8 v7, v[18:19], off
	s_wait_loadcnt 0x0
	v_cvt_f32_ubyte0_e32 v7, v7
	s_delay_alu instid0(VALU_DEP_1) | instskip(NEXT) | instid1(VALU_DEP_1)
	v_bfe_u32 v9, v7, 16, 1
	v_add3_u32 v7, v7, v9, 0x7fff
	s_wait_xcnt 0x1
	s_delay_alu instid0(VALU_DEP_1)
	v_lshrrev_b32_e32 v20, 16, v7
.LBB175_3065:
	s_mov_b32 s20, -1
.LBB175_3066:
	s_delay_alu instid0(SALU_CYCLE_1)
	s_and_not1_b32 vcc_lo, exec_lo, s20
	s_cbranch_vccnz .LBB175_4155
; %bb.3067:
	v_mov_b32_e32 v17, 0
	s_cmp_lt_i32 s16, 11
	s_delay_alu instid0(VALU_DEP_1)
	v_add_nc_u64_e32 v[16:17], s[8:9], v[16:17]
	s_cbranch_scc1 .LBB175_3074
; %bb.3068:
	s_cmp_gt_i32 s16, 25
	s_mov_b32 s19, 0
	s_cbranch_scc0 .LBB175_3075
; %bb.3069:
	s_cmp_gt_i32 s16, 28
	s_cbranch_scc0 .LBB175_3076
; %bb.3070:
	s_cmp_gt_i32 s16, 43
	;; [unrolled: 3-line block ×3, first 2 shown]
	s_cbranch_scc0 .LBB175_3079
; %bb.3072:
	s_cmp_eq_u32 s16, 46
	s_mov_b32 s21, 0
	s_cbranch_scc0 .LBB175_3080
; %bb.3073:
	global_load_b32 v18, v[16:17], off
	s_mov_b32 s18, 0
	s_mov_b32 s20, -1
	s_branch .LBB175_3082
.LBB175_3074:
	s_mov_b32 s18, -1
	s_mov_b32 s20, 0
                                        ; implicit-def: $vgpr18
	s_branch .LBB175_3148
.LBB175_3075:
	s_mov_b32 s21, -1
	s_mov_b32 s20, 0
	s_mov_b32 s18, 0
                                        ; implicit-def: $vgpr18
	s_branch .LBB175_3111
.LBB175_3076:
	s_mov_b32 s21, -1
	s_mov_b32 s20, 0
	s_mov_b32 s18, 0
                                        ; implicit-def: $vgpr18
	s_branch .LBB175_3092
.LBB175_3077:
	s_mov_b32 s21, -1
	s_mov_b32 s20, 0
	s_mov_b32 s18, 0
                                        ; implicit-def: $vgpr18
	s_branch .LBB175_3087
.LBB175_3078:
	s_or_b32 s1, s1, exec_lo
	s_trap 2
	s_cbranch_execz .LBB175_3015
	s_branch .LBB175_3016
.LBB175_3079:
	s_mov_b32 s21, -1
	s_mov_b32 s20, 0
	s_mov_b32 s18, 0
	s_branch .LBB175_3081
.LBB175_3080:
	s_mov_b32 s18, -1
	s_mov_b32 s20, 0
.LBB175_3081:
                                        ; implicit-def: $vgpr18
.LBB175_3082:
	s_and_b32 vcc_lo, exec_lo, s21
	s_cbranch_vccz .LBB175_3086
; %bb.3083:
	s_cmp_eq_u32 s16, 44
	s_cbranch_scc0 .LBB175_3085
; %bb.3084:
	global_load_u8 v7, v[16:17], off
	s_mov_b32 s18, 0
	s_mov_b32 s20, -1
	s_wait_loadcnt 0x0
	v_lshlrev_b32_e32 v9, 23, v7
	v_cmp_ne_u32_e32 vcc_lo, 0xff, v7
	s_delay_alu instid0(VALU_DEP_2) | instskip(SKIP_1) | instid1(VALU_DEP_2)
	v_cndmask_b32_e32 v9, 0x7f800001, v9, vcc_lo
	v_cmp_ne_u32_e32 vcc_lo, 0, v7
	v_cndmask_b32_e32 v7, 0x400000, v9, vcc_lo
	s_delay_alu instid0(VALU_DEP_1) | instskip(SKIP_1) | instid1(VALU_DEP_2)
	v_add_nc_u32_e32 v9, 0x7fff, v7
	v_cmp_o_f32_e32 vcc_lo, v7, v7
	v_lshrrev_b32_e32 v9, 16, v9
	s_wait_xcnt 0x1
	s_delay_alu instid0(VALU_DEP_1)
	v_cndmask_b32_e32 v18, 0x7fc0, v9, vcc_lo
	s_branch .LBB175_3086
.LBB175_3085:
	s_mov_b32 s18, -1
                                        ; implicit-def: $vgpr18
.LBB175_3086:
	s_mov_b32 s21, 0
.LBB175_3087:
	s_delay_alu instid0(SALU_CYCLE_1)
	s_and_b32 vcc_lo, exec_lo, s21
	s_cbranch_vccz .LBB175_3091
; %bb.3088:
	s_cmp_eq_u32 s16, 29
	s_cbranch_scc0 .LBB175_3090
; %bb.3089:
	s_wait_loadcnt 0x0
	global_load_b64 v[18:19], v[16:17], off
	s_mov_b32 s18, 0
	s_mov_b32 s20, -1
	s_mov_b32 s21, 0
	s_wait_loadcnt 0x0
	v_clz_i32_u32_e32 v7, v19
	s_delay_alu instid0(VALU_DEP_1) | instskip(NEXT) | instid1(VALU_DEP_1)
	v_min_u32_e32 v7, 32, v7
	v_lshlrev_b64_e32 v[18:19], v7, v[18:19]
	v_sub_nc_u32_e32 v7, 32, v7
	s_delay_alu instid0(VALU_DEP_2) | instskip(NEXT) | instid1(VALU_DEP_1)
	v_min_u32_e32 v9, 1, v18
	v_or_b32_e32 v9, v19, v9
	s_delay_alu instid0(VALU_DEP_1) | instskip(NEXT) | instid1(VALU_DEP_1)
	v_cvt_f32_u32_e32 v9, v9
	v_ldexp_f32 v7, v9, v7
	s_delay_alu instid0(VALU_DEP_1) | instskip(NEXT) | instid1(VALU_DEP_1)
	v_bfe_u32 v9, v7, 16, 1
	v_add3_u32 v7, v7, v9, 0x7fff
	s_delay_alu instid0(VALU_DEP_1)
	v_lshrrev_b32_e32 v18, 16, v7
	s_branch .LBB175_3092
.LBB175_3090:
	s_mov_b32 s18, -1
                                        ; implicit-def: $vgpr18
.LBB175_3091:
	s_mov_b32 s21, 0
.LBB175_3092:
	s_delay_alu instid0(SALU_CYCLE_1)
	s_and_b32 vcc_lo, exec_lo, s21
	s_cbranch_vccz .LBB175_3110
; %bb.3093:
	s_cmp_lt_i32 s16, 27
	s_cbranch_scc1 .LBB175_3096
; %bb.3094:
	s_cmp_gt_i32 s16, 27
	s_cbranch_scc0 .LBB175_3097
; %bb.3095:
	global_load_b32 v7, v[16:17], off
	s_mov_b32 s20, 0
	s_wait_loadcnt 0x0
	v_cvt_f32_u32_e32 v7, v7
	s_delay_alu instid0(VALU_DEP_1) | instskip(NEXT) | instid1(VALU_DEP_1)
	v_bfe_u32 v9, v7, 16, 1
	v_add3_u32 v7, v7, v9, 0x7fff
	s_wait_xcnt 0x1
	s_delay_alu instid0(VALU_DEP_1)
	v_lshrrev_b32_e32 v18, 16, v7
	s_branch .LBB175_3098
.LBB175_3096:
	s_mov_b32 s20, -1
                                        ; implicit-def: $vgpr18
	s_branch .LBB175_3101
.LBB175_3097:
	s_mov_b32 s20, -1
                                        ; implicit-def: $vgpr18
.LBB175_3098:
	s_delay_alu instid0(SALU_CYCLE_1)
	s_and_not1_b32 vcc_lo, exec_lo, s20
	s_cbranch_vccnz .LBB175_3100
; %bb.3099:
	global_load_u16 v7, v[16:17], off
	s_wait_loadcnt 0x0
	v_cvt_f32_u32_e32 v7, v7
	s_delay_alu instid0(VALU_DEP_1) | instskip(NEXT) | instid1(VALU_DEP_1)
	v_bfe_u32 v9, v7, 16, 1
	v_add3_u32 v7, v7, v9, 0x7fff
	s_wait_xcnt 0x1
	s_delay_alu instid0(VALU_DEP_1)
	v_lshrrev_b32_e32 v18, 16, v7
.LBB175_3100:
	s_mov_b32 s20, 0
.LBB175_3101:
	s_delay_alu instid0(SALU_CYCLE_1)
	s_and_not1_b32 vcc_lo, exec_lo, s20
	s_cbranch_vccnz .LBB175_3109
; %bb.3102:
	global_load_u8 v7, v[16:17], off
	s_mov_b32 s20, 0
	s_mov_b32 s21, exec_lo
	s_wait_loadcnt 0x0
	v_cmpx_lt_i16_e32 0x7f, v7
	s_xor_b32 s21, exec_lo, s21
	s_cbranch_execz .LBB175_3123
; %bb.3103:
	s_mov_b32 s20, -1
	s_mov_b32 s22, exec_lo
	v_cmpx_eq_u16_e32 0x80, v7
; %bb.3104:
	s_xor_b32 s20, exec_lo, -1
; %bb.3105:
	s_or_b32 exec_lo, exec_lo, s22
	s_delay_alu instid0(SALU_CYCLE_1)
	s_and_b32 s20, s20, exec_lo
	s_or_saveexec_b32 s21, s21
	v_mov_b32_e32 v9, 0x7f800001
	s_xor_b32 exec_lo, exec_lo, s21
	s_cbranch_execnz .LBB175_3124
.LBB175_3106:
	s_or_b32 exec_lo, exec_lo, s21
	s_and_saveexec_b32 s21, s20
	s_cbranch_execz .LBB175_3108
.LBB175_3107:
	v_and_b32_e32 v9, 0xffff, v7
	s_delay_alu instid0(VALU_DEP_1) | instskip(SKIP_1) | instid1(VALU_DEP_2)
	v_dual_lshlrev_b32 v7, 24, v7 :: v_dual_bitop2_b32 v11, 7, v9 bitop3:0x40
	v_bfe_u32 v18, v9, 3, 4
	v_and_b32_e32 v7, 0x80000000, v7
	s_delay_alu instid0(VALU_DEP_3) | instskip(NEXT) | instid1(VALU_DEP_3)
	v_clz_i32_u32_e32 v13, v11
	v_cmp_eq_u32_e32 vcc_lo, 0, v18
	s_delay_alu instid0(VALU_DEP_2) | instskip(NEXT) | instid1(VALU_DEP_1)
	v_min_u32_e32 v13, 32, v13
	v_subrev_nc_u32_e32 v15, 28, v13
	v_sub_nc_u32_e32 v13, 29, v13
	s_delay_alu instid0(VALU_DEP_2) | instskip(NEXT) | instid1(VALU_DEP_2)
	v_lshlrev_b32_e32 v9, v15, v9
	v_cndmask_b32_e32 v13, v18, v13, vcc_lo
	s_delay_alu instid0(VALU_DEP_2) | instskip(NEXT) | instid1(VALU_DEP_1)
	v_and_b32_e32 v9, 7, v9
	v_cndmask_b32_e32 v9, v11, v9, vcc_lo
	s_delay_alu instid0(VALU_DEP_3) | instskip(NEXT) | instid1(VALU_DEP_2)
	v_lshl_add_u32 v11, v13, 23, 0x3b800000
	v_lshlrev_b32_e32 v9, 20, v9
	s_delay_alu instid0(VALU_DEP_1)
	v_or3_b32 v9, v7, v11, v9
.LBB175_3108:
	s_or_b32 exec_lo, exec_lo, s21
	s_delay_alu instid0(VALU_DEP_1) | instskip(SKIP_1) | instid1(VALU_DEP_2)
	v_bfe_u32 v7, v9, 16, 1
	v_cmp_o_f32_e32 vcc_lo, v9, v9
	v_add3_u32 v7, v9, v7, 0x7fff
	s_delay_alu instid0(VALU_DEP_1) | instskip(NEXT) | instid1(VALU_DEP_1)
	v_lshrrev_b32_e32 v7, 16, v7
	v_cndmask_b32_e32 v18, 0x7fc0, v7, vcc_lo
.LBB175_3109:
	s_mov_b32 s20, -1
.LBB175_3110:
	s_mov_b32 s21, 0
.LBB175_3111:
	s_delay_alu instid0(SALU_CYCLE_1)
	s_and_b32 vcc_lo, exec_lo, s21
	s_cbranch_vccz .LBB175_3144
; %bb.3112:
	s_cmp_gt_i32 s16, 22
	s_cbranch_scc0 .LBB175_3122
; %bb.3113:
	s_cmp_lt_i32 s16, 24
	s_cbranch_scc1 .LBB175_3125
; %bb.3114:
	s_cmp_gt_i32 s16, 24
	s_cbranch_scc0 .LBB175_3126
; %bb.3115:
	global_load_u8 v7, v[16:17], off
	s_mov_b32 s20, exec_lo
	s_wait_loadcnt 0x0
	v_cmpx_lt_i16_e32 0x7f, v7
	s_xor_b32 s20, exec_lo, s20
	s_cbranch_execz .LBB175_3138
; %bb.3116:
	s_mov_b32 s19, -1
	s_mov_b32 s21, exec_lo
	v_cmpx_eq_u16_e32 0x80, v7
; %bb.3117:
	s_xor_b32 s19, exec_lo, -1
; %bb.3118:
	s_or_b32 exec_lo, exec_lo, s21
	s_delay_alu instid0(SALU_CYCLE_1)
	s_and_b32 s19, s19, exec_lo
	s_or_saveexec_b32 s20, s20
	v_mov_b32_e32 v9, 0x7f800001
	s_xor_b32 exec_lo, exec_lo, s20
	s_cbranch_execnz .LBB175_3139
.LBB175_3119:
	s_or_b32 exec_lo, exec_lo, s20
	s_and_saveexec_b32 s20, s19
	s_cbranch_execz .LBB175_3121
.LBB175_3120:
	v_and_b32_e32 v9, 0xffff, v7
	s_delay_alu instid0(VALU_DEP_1) | instskip(SKIP_1) | instid1(VALU_DEP_2)
	v_dual_lshlrev_b32 v7, 24, v7 :: v_dual_bitop2_b32 v11, 3, v9 bitop3:0x40
	v_bfe_u32 v18, v9, 2, 5
	v_and_b32_e32 v7, 0x80000000, v7
	s_delay_alu instid0(VALU_DEP_3) | instskip(NEXT) | instid1(VALU_DEP_3)
	v_clz_i32_u32_e32 v13, v11
	v_cmp_eq_u32_e32 vcc_lo, 0, v18
	s_delay_alu instid0(VALU_DEP_2) | instskip(NEXT) | instid1(VALU_DEP_1)
	v_min_u32_e32 v13, 32, v13
	v_subrev_nc_u32_e32 v15, 29, v13
	v_sub_nc_u32_e32 v13, 30, v13
	s_delay_alu instid0(VALU_DEP_2) | instskip(NEXT) | instid1(VALU_DEP_2)
	v_lshlrev_b32_e32 v9, v15, v9
	v_cndmask_b32_e32 v13, v18, v13, vcc_lo
	s_delay_alu instid0(VALU_DEP_2) | instskip(NEXT) | instid1(VALU_DEP_1)
	v_and_b32_e32 v9, 3, v9
	v_cndmask_b32_e32 v9, v11, v9, vcc_lo
	s_delay_alu instid0(VALU_DEP_3) | instskip(NEXT) | instid1(VALU_DEP_2)
	v_lshl_add_u32 v11, v13, 23, 0x37800000
	v_lshlrev_b32_e32 v9, 21, v9
	s_delay_alu instid0(VALU_DEP_1)
	v_or3_b32 v9, v7, v11, v9
.LBB175_3121:
	s_or_b32 exec_lo, exec_lo, s20
	s_delay_alu instid0(VALU_DEP_1) | instskip(SKIP_2) | instid1(VALU_DEP_2)
	v_bfe_u32 v7, v9, 16, 1
	v_cmp_o_f32_e32 vcc_lo, v9, v9
	s_mov_b32 s19, 0
	v_add3_u32 v7, v9, v7, 0x7fff
	s_delay_alu instid0(VALU_DEP_1) | instskip(NEXT) | instid1(VALU_DEP_1)
	v_lshrrev_b32_e32 v7, 16, v7
	v_cndmask_b32_e32 v18, 0x7fc0, v7, vcc_lo
	s_branch .LBB175_3127
.LBB175_3122:
	s_mov_b32 s19, -1
                                        ; implicit-def: $vgpr18
	s_branch .LBB175_3133
.LBB175_3123:
	s_or_saveexec_b32 s21, s21
	v_mov_b32_e32 v9, 0x7f800001
	s_xor_b32 exec_lo, exec_lo, s21
	s_cbranch_execz .LBB175_3106
.LBB175_3124:
	v_cmp_ne_u16_e32 vcc_lo, 0, v7
	v_mov_b32_e32 v9, 0
	s_and_not1_b32 s20, s20, exec_lo
	s_and_b32 s22, vcc_lo, exec_lo
	s_delay_alu instid0(SALU_CYCLE_1)
	s_or_b32 s20, s20, s22
	s_or_b32 exec_lo, exec_lo, s21
	s_and_saveexec_b32 s21, s20
	s_cbranch_execnz .LBB175_3107
	s_branch .LBB175_3108
.LBB175_3125:
	s_mov_b32 s19, -1
                                        ; implicit-def: $vgpr18
	s_branch .LBB175_3130
.LBB175_3126:
	s_mov_b32 s19, -1
                                        ; implicit-def: $vgpr18
.LBB175_3127:
	s_delay_alu instid0(SALU_CYCLE_1)
	s_and_b32 vcc_lo, exec_lo, s19
	s_cbranch_vccz .LBB175_3129
; %bb.3128:
	global_load_u8 v7, v[16:17], off
	s_wait_loadcnt 0x0
	v_lshlrev_b32_e32 v7, 24, v7
	s_delay_alu instid0(VALU_DEP_1) | instskip(NEXT) | instid1(VALU_DEP_1)
	v_and_b32_e32 v9, 0x7f000000, v7
	v_clz_i32_u32_e32 v11, v9
	v_add_nc_u32_e32 v15, 0x1000000, v9
	v_cmp_ne_u32_e32 vcc_lo, 0, v9
	s_delay_alu instid0(VALU_DEP_3) | instskip(NEXT) | instid1(VALU_DEP_1)
	v_min_u32_e32 v11, 32, v11
	v_sub_nc_u32_e64 v11, v11, 4 clamp
	s_delay_alu instid0(VALU_DEP_1) | instskip(NEXT) | instid1(VALU_DEP_1)
	v_dual_lshlrev_b32 v13, v11, v9 :: v_dual_lshlrev_b32 v11, 23, v11
	v_lshrrev_b32_e32 v13, 4, v13
	s_delay_alu instid0(VALU_DEP_1) | instskip(SKIP_1) | instid1(VALU_DEP_2)
	v_sub_nc_u32_e32 v11, v13, v11
	v_ashrrev_i32_e32 v13, 8, v15
	v_add_nc_u32_e32 v11, 0x3c000000, v11
	s_delay_alu instid0(VALU_DEP_1) | instskip(NEXT) | instid1(VALU_DEP_1)
	v_and_or_b32 v11, 0x7f800000, v13, v11
	v_cndmask_b32_e32 v9, 0, v11, vcc_lo
	s_delay_alu instid0(VALU_DEP_1) | instskip(SKIP_1) | instid1(VALU_DEP_2)
	v_and_or_b32 v7, 0x80000000, v7, v9
	v_bfe_u32 v9, v9, 16, 1
	v_cmp_o_f32_e32 vcc_lo, v7, v7
	s_delay_alu instid0(VALU_DEP_2) | instskip(NEXT) | instid1(VALU_DEP_1)
	v_add3_u32 v9, v7, v9, 0x7fff
	v_lshrrev_b32_e32 v9, 16, v9
	s_wait_xcnt 0x1
	s_delay_alu instid0(VALU_DEP_1)
	v_cndmask_b32_e32 v18, 0x7fc0, v9, vcc_lo
.LBB175_3129:
	s_mov_b32 s19, 0
.LBB175_3130:
	s_delay_alu instid0(SALU_CYCLE_1)
	s_and_not1_b32 vcc_lo, exec_lo, s19
	s_cbranch_vccnz .LBB175_3132
; %bb.3131:
	global_load_u8 v7, v[16:17], off
	s_wait_loadcnt 0x0
	v_lshlrev_b32_e32 v9, 25, v7
	v_lshlrev_b16 v7, 8, v7
	s_delay_alu instid0(VALU_DEP_1) | instskip(SKIP_1) | instid1(VALU_DEP_2)
	v_and_or_b32 v13, 0x7f00, v7, 0.5
	v_bfe_i32 v7, v7, 0, 16
	v_add_f32_e32 v13, -0.5, v13
	v_lshrrev_b32_e32 v11, 4, v9
	v_cmp_gt_u32_e32 vcc_lo, 0x8000000, v9
	s_delay_alu instid0(VALU_DEP_2) | instskip(NEXT) | instid1(VALU_DEP_1)
	v_or_b32_e32 v11, 0x70000000, v11
	v_mul_f32_e32 v11, 0x7800000, v11
	s_delay_alu instid0(VALU_DEP_1) | instskip(NEXT) | instid1(VALU_DEP_1)
	v_cndmask_b32_e32 v9, v11, v13, vcc_lo
	v_and_or_b32 v7, 0x80000000, v7, v9
	v_bfe_u32 v9, v9, 16, 1
	s_delay_alu instid0(VALU_DEP_2) | instskip(NEXT) | instid1(VALU_DEP_2)
	v_cmp_o_f32_e32 vcc_lo, v7, v7
	v_add3_u32 v9, v7, v9, 0x7fff
	s_delay_alu instid0(VALU_DEP_1) | instskip(SKIP_1) | instid1(VALU_DEP_1)
	v_lshrrev_b32_e32 v9, 16, v9
	s_wait_xcnt 0x1
	v_cndmask_b32_e32 v18, 0x7fc0, v9, vcc_lo
.LBB175_3132:
	s_mov_b32 s19, 0
	s_mov_b32 s20, -1
.LBB175_3133:
	s_and_not1_b32 vcc_lo, exec_lo, s19
	s_mov_b32 s19, 0
	s_cbranch_vccnz .LBB175_3144
; %bb.3134:
	s_cmp_gt_i32 s16, 14
	s_cbranch_scc0 .LBB175_3137
; %bb.3135:
	s_cmp_eq_u32 s16, 15
	s_cbranch_scc0 .LBB175_3140
; %bb.3136:
	s_wait_loadcnt 0x0
	global_load_u16 v18, v[16:17], off
	s_mov_b32 s18, 0
	s_mov_b32 s20, -1
	s_branch .LBB175_3142
.LBB175_3137:
	s_mov_b32 s19, -1
	s_branch .LBB175_3141
.LBB175_3138:
	s_or_saveexec_b32 s20, s20
	v_mov_b32_e32 v9, 0x7f800001
	s_xor_b32 exec_lo, exec_lo, s20
	s_cbranch_execz .LBB175_3119
.LBB175_3139:
	v_cmp_ne_u16_e32 vcc_lo, 0, v7
	v_mov_b32_e32 v9, 0
	s_and_not1_b32 s19, s19, exec_lo
	s_and_b32 s21, vcc_lo, exec_lo
	s_delay_alu instid0(SALU_CYCLE_1)
	s_or_b32 s19, s19, s21
	s_or_b32 exec_lo, exec_lo, s20
	s_and_saveexec_b32 s20, s19
	s_cbranch_execnz .LBB175_3120
	s_branch .LBB175_3121
.LBB175_3140:
	s_mov_b32 s18, -1
.LBB175_3141:
                                        ; implicit-def: $vgpr18
.LBB175_3142:
	s_and_b32 vcc_lo, exec_lo, s19
	s_mov_b32 s19, 0
	s_cbranch_vccz .LBB175_3144
; %bb.3143:
	s_cmp_lg_u32 s16, 11
	s_mov_b32 s19, -1
	s_cselect_b32 s18, -1, 0
.LBB175_3144:
	s_delay_alu instid0(SALU_CYCLE_1)
	s_and_b32 vcc_lo, exec_lo, s18
	s_cbranch_vccnz .LBB175_3209
; %bb.3145:
	s_and_not1_b32 vcc_lo, exec_lo, s19
	s_cbranch_vccnz .LBB175_3147
.LBB175_3146:
	global_load_u8 v7, v[16:17], off
	s_mov_b32 s20, -1
	s_wait_loadcnt 0x0
	v_cmp_ne_u16_e32 vcc_lo, 0, v7
	v_cndmask_b32_e64 v7, 0, 1.0, vcc_lo
	s_wait_xcnt 0x1
	s_delay_alu instid0(VALU_DEP_1)
	v_lshrrev_b32_e32 v18, 16, v7
.LBB175_3147:
	s_mov_b32 s18, 0
.LBB175_3148:
	s_delay_alu instid0(SALU_CYCLE_1)
	s_and_b32 vcc_lo, exec_lo, s18
	s_cbranch_vccz .LBB175_3197
; %bb.3149:
	s_cmp_lt_i32 s16, 5
	s_cbranch_scc1 .LBB175_3154
; %bb.3150:
	s_cmp_lt_i32 s16, 8
	s_cbranch_scc1 .LBB175_3155
	;; [unrolled: 3-line block ×3, first 2 shown]
; %bb.3152:
	s_cmp_gt_i32 s16, 9
	s_cbranch_scc0 .LBB175_3157
; %bb.3153:
	s_wait_loadcnt 0x0
	global_load_b64 v[18:19], v[16:17], off
	s_mov_b32 s18, 0
	s_wait_loadcnt 0x0
	v_cvt_f32_f64_e32 v7, v[18:19]
	s_delay_alu instid0(VALU_DEP_1) | instskip(SKIP_1) | instid1(VALU_DEP_2)
	v_bfe_u32 v9, v7, 16, 1
	v_cmp_o_f32_e32 vcc_lo, v7, v7
	v_add3_u32 v9, v7, v9, 0x7fff
	s_delay_alu instid0(VALU_DEP_1) | instskip(NEXT) | instid1(VALU_DEP_1)
	v_lshrrev_b32_e32 v9, 16, v9
	v_cndmask_b32_e32 v18, 0x7fc0, v9, vcc_lo
	s_branch .LBB175_3158
.LBB175_3154:
	s_mov_b32 s18, -1
                                        ; implicit-def: $vgpr18
	s_branch .LBB175_3176
.LBB175_3155:
	s_mov_b32 s18, -1
                                        ; implicit-def: $vgpr18
	s_branch .LBB175_3164
.LBB175_3156:
	s_mov_b32 s18, -1
                                        ; implicit-def: $vgpr18
	s_branch .LBB175_3161
.LBB175_3157:
	s_mov_b32 s18, -1
                                        ; implicit-def: $vgpr18
.LBB175_3158:
	s_delay_alu instid0(SALU_CYCLE_1)
	s_and_not1_b32 vcc_lo, exec_lo, s18
	s_cbranch_vccnz .LBB175_3160
; %bb.3159:
	global_load_b32 v7, v[16:17], off
	s_wait_loadcnt 0x0
	v_bfe_u32 v9, v7, 16, 1
	v_cmp_o_f32_e32 vcc_lo, v7, v7
	s_delay_alu instid0(VALU_DEP_2) | instskip(NEXT) | instid1(VALU_DEP_1)
	v_add3_u32 v9, v7, v9, 0x7fff
	v_lshrrev_b32_e32 v9, 16, v9
	s_wait_xcnt 0x1
	s_delay_alu instid0(VALU_DEP_1)
	v_cndmask_b32_e32 v18, 0x7fc0, v9, vcc_lo
.LBB175_3160:
	s_mov_b32 s18, 0
.LBB175_3161:
	s_delay_alu instid0(SALU_CYCLE_1)
	s_and_not1_b32 vcc_lo, exec_lo, s18
	s_cbranch_vccnz .LBB175_3163
; %bb.3162:
	global_load_b32 v7, v[16:17], off
	s_wait_loadcnt 0x0
	v_cvt_f32_f16_e32 v9, v7
	v_cmp_o_f16_e32 vcc_lo, v7, v7
	s_delay_alu instid0(VALU_DEP_2) | instskip(NEXT) | instid1(VALU_DEP_1)
	v_bfe_u32 v11, v9, 16, 1
	v_add3_u32 v9, v9, v11, 0x7fff
	s_delay_alu instid0(VALU_DEP_1) | instskip(SKIP_1) | instid1(VALU_DEP_1)
	v_lshrrev_b32_e32 v9, 16, v9
	s_wait_xcnt 0x1
	v_cndmask_b32_e32 v18, 0x7fc0, v9, vcc_lo
.LBB175_3163:
	s_mov_b32 s18, 0
.LBB175_3164:
	s_delay_alu instid0(SALU_CYCLE_1)
	s_and_not1_b32 vcc_lo, exec_lo, s18
	s_cbranch_vccnz .LBB175_3175
; %bb.3165:
	s_cmp_lt_i32 s16, 6
	s_cbranch_scc1 .LBB175_3168
; %bb.3166:
	s_cmp_gt_i32 s16, 6
	s_cbranch_scc0 .LBB175_3169
; %bb.3167:
	s_wait_loadcnt 0x0
	global_load_b64 v[18:19], v[16:17], off
	s_mov_b32 s18, 0
	s_wait_loadcnt 0x0
	v_cvt_f32_f64_e32 v7, v[18:19]
	s_delay_alu instid0(VALU_DEP_1) | instskip(SKIP_1) | instid1(VALU_DEP_2)
	v_bfe_u32 v9, v7, 16, 1
	v_cmp_o_f32_e32 vcc_lo, v7, v7
	v_add3_u32 v9, v7, v9, 0x7fff
	s_delay_alu instid0(VALU_DEP_1) | instskip(NEXT) | instid1(VALU_DEP_1)
	v_lshrrev_b32_e32 v9, 16, v9
	v_cndmask_b32_e32 v18, 0x7fc0, v9, vcc_lo
	s_branch .LBB175_3170
.LBB175_3168:
	s_mov_b32 s18, -1
                                        ; implicit-def: $vgpr18
	s_branch .LBB175_3173
.LBB175_3169:
	s_mov_b32 s18, -1
                                        ; implicit-def: $vgpr18
.LBB175_3170:
	s_delay_alu instid0(SALU_CYCLE_1)
	s_and_not1_b32 vcc_lo, exec_lo, s18
	s_cbranch_vccnz .LBB175_3172
; %bb.3171:
	global_load_b32 v7, v[16:17], off
	s_wait_loadcnt 0x0
	v_bfe_u32 v9, v7, 16, 1
	v_cmp_o_f32_e32 vcc_lo, v7, v7
	s_delay_alu instid0(VALU_DEP_2) | instskip(NEXT) | instid1(VALU_DEP_1)
	v_add3_u32 v9, v7, v9, 0x7fff
	v_lshrrev_b32_e32 v9, 16, v9
	s_wait_xcnt 0x1
	s_delay_alu instid0(VALU_DEP_1)
	v_cndmask_b32_e32 v18, 0x7fc0, v9, vcc_lo
.LBB175_3172:
	s_mov_b32 s18, 0
.LBB175_3173:
	s_delay_alu instid0(SALU_CYCLE_1)
	s_and_not1_b32 vcc_lo, exec_lo, s18
	s_cbranch_vccnz .LBB175_3175
; %bb.3174:
	global_load_u16 v7, v[16:17], off
	s_wait_loadcnt 0x0
	v_cvt_f32_f16_e32 v9, v7
	v_cmp_o_f16_e32 vcc_lo, v7, v7
	s_delay_alu instid0(VALU_DEP_2) | instskip(NEXT) | instid1(VALU_DEP_1)
	v_bfe_u32 v11, v9, 16, 1
	v_add3_u32 v9, v9, v11, 0x7fff
	s_delay_alu instid0(VALU_DEP_1) | instskip(SKIP_1) | instid1(VALU_DEP_1)
	v_lshrrev_b32_e32 v9, 16, v9
	s_wait_xcnt 0x1
	v_cndmask_b32_e32 v18, 0x7fc0, v9, vcc_lo
.LBB175_3175:
	s_mov_b32 s18, 0
.LBB175_3176:
	s_delay_alu instid0(SALU_CYCLE_1)
	s_and_not1_b32 vcc_lo, exec_lo, s18
	s_cbranch_vccnz .LBB175_3196
; %bb.3177:
	s_cmp_lt_i32 s16, 2
	s_cbranch_scc1 .LBB175_3181
; %bb.3178:
	s_cmp_lt_i32 s16, 3
	s_cbranch_scc1 .LBB175_3182
; %bb.3179:
	s_cmp_gt_i32 s16, 3
	s_cbranch_scc0 .LBB175_3183
; %bb.3180:
	s_wait_loadcnt 0x0
	global_load_b64 v[18:19], v[16:17], off
	s_mov_b32 s18, 0
	s_wait_loadcnt 0x0
	v_xor_b32_e32 v7, v18, v19
	v_cls_i32_e32 v9, v19
	s_delay_alu instid0(VALU_DEP_2) | instskip(NEXT) | instid1(VALU_DEP_1)
	v_ashrrev_i32_e32 v7, 31, v7
	v_add_nc_u32_e32 v7, 32, v7
	s_delay_alu instid0(VALU_DEP_1) | instskip(NEXT) | instid1(VALU_DEP_1)
	v_add_min_u32_e64 v7, v9, -1, v7
	v_lshlrev_b64_e32 v[18:19], v7, v[18:19]
	v_sub_nc_u32_e32 v7, 32, v7
	s_delay_alu instid0(VALU_DEP_2) | instskip(NEXT) | instid1(VALU_DEP_1)
	v_min_u32_e32 v9, 1, v18
	v_or_b32_e32 v9, v19, v9
	s_delay_alu instid0(VALU_DEP_1) | instskip(NEXT) | instid1(VALU_DEP_1)
	v_cvt_f32_i32_e32 v9, v9
	v_ldexp_f32 v7, v9, v7
	s_delay_alu instid0(VALU_DEP_1) | instskip(NEXT) | instid1(VALU_DEP_1)
	v_bfe_u32 v9, v7, 16, 1
	v_add3_u32 v7, v7, v9, 0x7fff
	s_delay_alu instid0(VALU_DEP_1)
	v_lshrrev_b32_e32 v18, 16, v7
	s_branch .LBB175_3184
.LBB175_3181:
	s_mov_b32 s18, -1
                                        ; implicit-def: $vgpr18
	s_branch .LBB175_3190
.LBB175_3182:
	s_mov_b32 s18, -1
                                        ; implicit-def: $vgpr18
	s_branch .LBB175_3187
.LBB175_3183:
	s_mov_b32 s18, -1
                                        ; implicit-def: $vgpr18
.LBB175_3184:
	s_delay_alu instid0(SALU_CYCLE_1)
	s_and_not1_b32 vcc_lo, exec_lo, s18
	s_cbranch_vccnz .LBB175_3186
; %bb.3185:
	global_load_b32 v7, v[16:17], off
	s_wait_loadcnt 0x0
	v_cvt_f32_i32_e32 v7, v7
	s_delay_alu instid0(VALU_DEP_1) | instskip(NEXT) | instid1(VALU_DEP_1)
	v_bfe_u32 v9, v7, 16, 1
	v_add3_u32 v7, v7, v9, 0x7fff
	s_wait_xcnt 0x1
	s_delay_alu instid0(VALU_DEP_1)
	v_lshrrev_b32_e32 v18, 16, v7
.LBB175_3186:
	s_mov_b32 s18, 0
.LBB175_3187:
	s_delay_alu instid0(SALU_CYCLE_1)
	s_and_not1_b32 vcc_lo, exec_lo, s18
	s_cbranch_vccnz .LBB175_3189
; %bb.3188:
	global_load_i16 v7, v[16:17], off
	s_wait_loadcnt 0x0
	v_cvt_f32_i32_e32 v7, v7
	s_delay_alu instid0(VALU_DEP_1) | instskip(NEXT) | instid1(VALU_DEP_1)
	v_bfe_u32 v9, v7, 16, 1
	v_add3_u32 v7, v7, v9, 0x7fff
	s_wait_xcnt 0x1
	s_delay_alu instid0(VALU_DEP_1)
	v_lshrrev_b32_e32 v18, 16, v7
.LBB175_3189:
	s_mov_b32 s18, 0
.LBB175_3190:
	s_delay_alu instid0(SALU_CYCLE_1)
	s_and_not1_b32 vcc_lo, exec_lo, s18
	s_cbranch_vccnz .LBB175_3196
; %bb.3191:
	s_cmp_gt_i32 s16, 0
	s_mov_b32 s18, 0
	s_cbranch_scc0 .LBB175_3193
; %bb.3192:
	global_load_i8 v7, v[16:17], off
	s_wait_loadcnt 0x0
	v_cvt_f32_i32_e32 v7, v7
	s_delay_alu instid0(VALU_DEP_1) | instskip(NEXT) | instid1(VALU_DEP_1)
	v_bfe_u32 v9, v7, 16, 1
	v_add3_u32 v7, v7, v9, 0x7fff
	s_wait_xcnt 0x1
	s_delay_alu instid0(VALU_DEP_1)
	v_lshrrev_b32_e32 v18, 16, v7
	s_branch .LBB175_3194
.LBB175_3193:
	s_mov_b32 s18, -1
                                        ; implicit-def: $vgpr18
.LBB175_3194:
	s_delay_alu instid0(SALU_CYCLE_1)
	s_and_not1_b32 vcc_lo, exec_lo, s18
	s_cbranch_vccnz .LBB175_3196
; %bb.3195:
	global_load_u8 v7, v[16:17], off
	s_wait_loadcnt 0x0
	v_cvt_f32_ubyte0_e32 v7, v7
	s_delay_alu instid0(VALU_DEP_1) | instskip(NEXT) | instid1(VALU_DEP_1)
	v_bfe_u32 v9, v7, 16, 1
	v_add3_u32 v7, v7, v9, 0x7fff
	s_wait_xcnt 0x1
	s_delay_alu instid0(VALU_DEP_1)
	v_lshrrev_b32_e32 v18, 16, v7
.LBB175_3196:
	s_mov_b32 s20, -1
.LBB175_3197:
	s_delay_alu instid0(SALU_CYCLE_1)
	s_and_not1_b32 vcc_lo, exec_lo, s20
	s_cbranch_vccnz .LBB175_4155
; %bb.3198:
	v_mov_b32_e32 v15, 0
	s_cmp_lt_i32 s17, 11
	s_delay_alu instid0(VALU_DEP_1)
	v_add_nc_u64_e32 v[14:15], s[10:11], v[14:15]
	s_cbranch_scc1 .LBB175_3205
; %bb.3199:
	s_cmp_gt_i32 s17, 25
	s_mov_b32 s19, 0
	s_cbranch_scc0 .LBB175_3206
; %bb.3200:
	s_cmp_gt_i32 s17, 28
	s_cbranch_scc0 .LBB175_3207
; %bb.3201:
	s_cmp_gt_i32 s17, 43
	;; [unrolled: 3-line block ×3, first 2 shown]
	s_cbranch_scc0 .LBB175_3210
; %bb.3203:
	s_cmp_eq_u32 s17, 46
	s_mov_b32 s21, 0
	s_cbranch_scc0 .LBB175_3211
; %bb.3204:
	global_load_b32 v16, v[14:15], off
	s_mov_b32 s18, 0
	s_mov_b32 s20, -1
	s_branch .LBB175_3213
.LBB175_3205:
	s_mov_b32 s18, -1
	s_mov_b32 s20, 0
                                        ; implicit-def: $vgpr16
	s_branch .LBB175_3279
.LBB175_3206:
	s_mov_b32 s21, -1
	s_mov_b32 s20, 0
	s_mov_b32 s18, 0
                                        ; implicit-def: $vgpr16
	s_branch .LBB175_3242
.LBB175_3207:
	s_mov_b32 s21, -1
	s_mov_b32 s20, 0
	s_mov_b32 s18, 0
                                        ; implicit-def: $vgpr16
	s_branch .LBB175_3223
.LBB175_3208:
	s_mov_b32 s21, -1
	s_mov_b32 s20, 0
	s_mov_b32 s18, 0
                                        ; implicit-def: $vgpr16
	s_branch .LBB175_3218
.LBB175_3209:
	s_or_b32 s1, s1, exec_lo
	s_trap 2
	s_cbranch_execz .LBB175_3146
	s_branch .LBB175_3147
.LBB175_3210:
	s_mov_b32 s21, -1
	s_mov_b32 s20, 0
	s_mov_b32 s18, 0
	s_branch .LBB175_3212
.LBB175_3211:
	s_mov_b32 s18, -1
	s_mov_b32 s20, 0
.LBB175_3212:
                                        ; implicit-def: $vgpr16
.LBB175_3213:
	s_and_b32 vcc_lo, exec_lo, s21
	s_cbranch_vccz .LBB175_3217
; %bb.3214:
	s_cmp_eq_u32 s17, 44
	s_cbranch_scc0 .LBB175_3216
; %bb.3215:
	global_load_u8 v7, v[14:15], off
	s_mov_b32 s18, 0
	s_mov_b32 s20, -1
	s_wait_loadcnt 0x0
	v_lshlrev_b32_e32 v9, 23, v7
	v_cmp_ne_u32_e32 vcc_lo, 0xff, v7
	s_delay_alu instid0(VALU_DEP_2) | instskip(SKIP_1) | instid1(VALU_DEP_2)
	v_cndmask_b32_e32 v9, 0x7f800001, v9, vcc_lo
	v_cmp_ne_u32_e32 vcc_lo, 0, v7
	v_cndmask_b32_e32 v7, 0x400000, v9, vcc_lo
	s_delay_alu instid0(VALU_DEP_1) | instskip(SKIP_1) | instid1(VALU_DEP_2)
	v_add_nc_u32_e32 v9, 0x7fff, v7
	v_cmp_o_f32_e32 vcc_lo, v7, v7
	v_lshrrev_b32_e32 v9, 16, v9
	s_wait_xcnt 0x1
	s_delay_alu instid0(VALU_DEP_1)
	v_cndmask_b32_e32 v16, 0x7fc0, v9, vcc_lo
	s_branch .LBB175_3217
.LBB175_3216:
	s_mov_b32 s18, -1
                                        ; implicit-def: $vgpr16
.LBB175_3217:
	s_mov_b32 s21, 0
.LBB175_3218:
	s_delay_alu instid0(SALU_CYCLE_1)
	s_and_b32 vcc_lo, exec_lo, s21
	s_cbranch_vccz .LBB175_3222
; %bb.3219:
	s_cmp_eq_u32 s17, 29
	s_cbranch_scc0 .LBB175_3221
; %bb.3220:
	s_wait_loadcnt 0x0
	global_load_b64 v[16:17], v[14:15], off
	s_mov_b32 s18, 0
	s_mov_b32 s20, -1
	s_mov_b32 s21, 0
	s_wait_loadcnt 0x0
	v_clz_i32_u32_e32 v7, v17
	s_delay_alu instid0(VALU_DEP_1) | instskip(NEXT) | instid1(VALU_DEP_1)
	v_min_u32_e32 v7, 32, v7
	v_lshlrev_b64_e32 v[16:17], v7, v[16:17]
	v_sub_nc_u32_e32 v7, 32, v7
	s_delay_alu instid0(VALU_DEP_2) | instskip(NEXT) | instid1(VALU_DEP_1)
	v_min_u32_e32 v9, 1, v16
	v_or_b32_e32 v9, v17, v9
	s_delay_alu instid0(VALU_DEP_1) | instskip(NEXT) | instid1(VALU_DEP_1)
	v_cvt_f32_u32_e32 v9, v9
	v_ldexp_f32 v7, v9, v7
	s_delay_alu instid0(VALU_DEP_1) | instskip(NEXT) | instid1(VALU_DEP_1)
	v_bfe_u32 v9, v7, 16, 1
	v_add3_u32 v7, v7, v9, 0x7fff
	s_delay_alu instid0(VALU_DEP_1)
	v_lshrrev_b32_e32 v16, 16, v7
	s_branch .LBB175_3223
.LBB175_3221:
	s_mov_b32 s18, -1
                                        ; implicit-def: $vgpr16
.LBB175_3222:
	s_mov_b32 s21, 0
.LBB175_3223:
	s_delay_alu instid0(SALU_CYCLE_1)
	s_and_b32 vcc_lo, exec_lo, s21
	s_cbranch_vccz .LBB175_3241
; %bb.3224:
	s_cmp_lt_i32 s17, 27
	s_cbranch_scc1 .LBB175_3227
; %bb.3225:
	s_cmp_gt_i32 s17, 27
	s_cbranch_scc0 .LBB175_3228
; %bb.3226:
	global_load_b32 v7, v[14:15], off
	s_mov_b32 s20, 0
	s_wait_loadcnt 0x0
	v_cvt_f32_u32_e32 v7, v7
	s_delay_alu instid0(VALU_DEP_1) | instskip(NEXT) | instid1(VALU_DEP_1)
	v_bfe_u32 v9, v7, 16, 1
	v_add3_u32 v7, v7, v9, 0x7fff
	s_wait_xcnt 0x1
	s_delay_alu instid0(VALU_DEP_1)
	v_lshrrev_b32_e32 v16, 16, v7
	s_branch .LBB175_3229
.LBB175_3227:
	s_mov_b32 s20, -1
                                        ; implicit-def: $vgpr16
	s_branch .LBB175_3232
.LBB175_3228:
	s_mov_b32 s20, -1
                                        ; implicit-def: $vgpr16
.LBB175_3229:
	s_delay_alu instid0(SALU_CYCLE_1)
	s_and_not1_b32 vcc_lo, exec_lo, s20
	s_cbranch_vccnz .LBB175_3231
; %bb.3230:
	global_load_u16 v7, v[14:15], off
	s_wait_loadcnt 0x0
	v_cvt_f32_u32_e32 v7, v7
	s_delay_alu instid0(VALU_DEP_1) | instskip(NEXT) | instid1(VALU_DEP_1)
	v_bfe_u32 v9, v7, 16, 1
	v_add3_u32 v7, v7, v9, 0x7fff
	s_wait_xcnt 0x1
	s_delay_alu instid0(VALU_DEP_1)
	v_lshrrev_b32_e32 v16, 16, v7
.LBB175_3231:
	s_mov_b32 s20, 0
.LBB175_3232:
	s_delay_alu instid0(SALU_CYCLE_1)
	s_and_not1_b32 vcc_lo, exec_lo, s20
	s_cbranch_vccnz .LBB175_3240
; %bb.3233:
	global_load_u8 v7, v[14:15], off
	s_mov_b32 s20, 0
	s_mov_b32 s21, exec_lo
	s_wait_loadcnt 0x0
	v_cmpx_lt_i16_e32 0x7f, v7
	s_xor_b32 s21, exec_lo, s21
	s_cbranch_execz .LBB175_3254
; %bb.3234:
	s_mov_b32 s20, -1
	s_mov_b32 s22, exec_lo
	v_cmpx_eq_u16_e32 0x80, v7
; %bb.3235:
	s_xor_b32 s20, exec_lo, -1
; %bb.3236:
	s_or_b32 exec_lo, exec_lo, s22
	s_delay_alu instid0(SALU_CYCLE_1)
	s_and_b32 s20, s20, exec_lo
	s_or_saveexec_b32 s21, s21
	v_mov_b32_e32 v9, 0x7f800001
	s_xor_b32 exec_lo, exec_lo, s21
	s_cbranch_execnz .LBB175_3255
.LBB175_3237:
	s_or_b32 exec_lo, exec_lo, s21
	s_and_saveexec_b32 s21, s20
	s_cbranch_execz .LBB175_3239
.LBB175_3238:
	v_and_b32_e32 v9, 0xffff, v7
	s_delay_alu instid0(VALU_DEP_1) | instskip(SKIP_1) | instid1(VALU_DEP_2)
	v_dual_lshlrev_b32 v7, 24, v7 :: v_dual_bitop2_b32 v11, 7, v9 bitop3:0x40
	v_bfe_u32 v17, v9, 3, 4
	v_and_b32_e32 v7, 0x80000000, v7
	s_delay_alu instid0(VALU_DEP_3) | instskip(NEXT) | instid1(VALU_DEP_3)
	v_clz_i32_u32_e32 v13, v11
	v_cmp_eq_u32_e32 vcc_lo, 0, v17
	s_delay_alu instid0(VALU_DEP_2) | instskip(NEXT) | instid1(VALU_DEP_1)
	v_min_u32_e32 v13, 32, v13
	v_subrev_nc_u32_e32 v16, 28, v13
	v_sub_nc_u32_e32 v13, 29, v13
	s_delay_alu instid0(VALU_DEP_2) | instskip(NEXT) | instid1(VALU_DEP_2)
	v_lshlrev_b32_e32 v9, v16, v9
	v_cndmask_b32_e32 v13, v17, v13, vcc_lo
	s_delay_alu instid0(VALU_DEP_2) | instskip(NEXT) | instid1(VALU_DEP_1)
	v_and_b32_e32 v9, 7, v9
	v_cndmask_b32_e32 v9, v11, v9, vcc_lo
	s_delay_alu instid0(VALU_DEP_3) | instskip(NEXT) | instid1(VALU_DEP_2)
	v_lshl_add_u32 v11, v13, 23, 0x3b800000
	v_lshlrev_b32_e32 v9, 20, v9
	s_delay_alu instid0(VALU_DEP_1)
	v_or3_b32 v9, v7, v11, v9
.LBB175_3239:
	s_or_b32 exec_lo, exec_lo, s21
	s_delay_alu instid0(VALU_DEP_1) | instskip(SKIP_1) | instid1(VALU_DEP_2)
	v_bfe_u32 v7, v9, 16, 1
	v_cmp_o_f32_e32 vcc_lo, v9, v9
	v_add3_u32 v7, v9, v7, 0x7fff
	s_delay_alu instid0(VALU_DEP_1) | instskip(NEXT) | instid1(VALU_DEP_1)
	v_lshrrev_b32_e32 v7, 16, v7
	v_cndmask_b32_e32 v16, 0x7fc0, v7, vcc_lo
.LBB175_3240:
	s_mov_b32 s20, -1
.LBB175_3241:
	s_mov_b32 s21, 0
.LBB175_3242:
	s_delay_alu instid0(SALU_CYCLE_1)
	s_and_b32 vcc_lo, exec_lo, s21
	s_cbranch_vccz .LBB175_3275
; %bb.3243:
	s_cmp_gt_i32 s17, 22
	s_cbranch_scc0 .LBB175_3253
; %bb.3244:
	s_cmp_lt_i32 s17, 24
	s_cbranch_scc1 .LBB175_3256
; %bb.3245:
	s_cmp_gt_i32 s17, 24
	s_cbranch_scc0 .LBB175_3257
; %bb.3246:
	global_load_u8 v7, v[14:15], off
	s_mov_b32 s20, exec_lo
	s_wait_loadcnt 0x0
	v_cmpx_lt_i16_e32 0x7f, v7
	s_xor_b32 s20, exec_lo, s20
	s_cbranch_execz .LBB175_3269
; %bb.3247:
	s_mov_b32 s19, -1
	s_mov_b32 s21, exec_lo
	v_cmpx_eq_u16_e32 0x80, v7
; %bb.3248:
	s_xor_b32 s19, exec_lo, -1
; %bb.3249:
	s_or_b32 exec_lo, exec_lo, s21
	s_delay_alu instid0(SALU_CYCLE_1)
	s_and_b32 s19, s19, exec_lo
	s_or_saveexec_b32 s20, s20
	v_mov_b32_e32 v9, 0x7f800001
	s_xor_b32 exec_lo, exec_lo, s20
	s_cbranch_execnz .LBB175_3270
.LBB175_3250:
	s_or_b32 exec_lo, exec_lo, s20
	s_and_saveexec_b32 s20, s19
	s_cbranch_execz .LBB175_3252
.LBB175_3251:
	v_and_b32_e32 v9, 0xffff, v7
	s_delay_alu instid0(VALU_DEP_1) | instskip(SKIP_1) | instid1(VALU_DEP_2)
	v_dual_lshlrev_b32 v7, 24, v7 :: v_dual_bitop2_b32 v11, 3, v9 bitop3:0x40
	v_bfe_u32 v17, v9, 2, 5
	v_and_b32_e32 v7, 0x80000000, v7
	s_delay_alu instid0(VALU_DEP_3) | instskip(NEXT) | instid1(VALU_DEP_3)
	v_clz_i32_u32_e32 v13, v11
	v_cmp_eq_u32_e32 vcc_lo, 0, v17
	s_delay_alu instid0(VALU_DEP_2) | instskip(NEXT) | instid1(VALU_DEP_1)
	v_min_u32_e32 v13, 32, v13
	v_subrev_nc_u32_e32 v16, 29, v13
	v_sub_nc_u32_e32 v13, 30, v13
	s_delay_alu instid0(VALU_DEP_2) | instskip(NEXT) | instid1(VALU_DEP_2)
	v_lshlrev_b32_e32 v9, v16, v9
	v_cndmask_b32_e32 v13, v17, v13, vcc_lo
	s_delay_alu instid0(VALU_DEP_2) | instskip(NEXT) | instid1(VALU_DEP_1)
	v_and_b32_e32 v9, 3, v9
	v_cndmask_b32_e32 v9, v11, v9, vcc_lo
	s_delay_alu instid0(VALU_DEP_3) | instskip(NEXT) | instid1(VALU_DEP_2)
	v_lshl_add_u32 v11, v13, 23, 0x37800000
	v_lshlrev_b32_e32 v9, 21, v9
	s_delay_alu instid0(VALU_DEP_1)
	v_or3_b32 v9, v7, v11, v9
.LBB175_3252:
	s_or_b32 exec_lo, exec_lo, s20
	s_delay_alu instid0(VALU_DEP_1) | instskip(SKIP_2) | instid1(VALU_DEP_2)
	v_bfe_u32 v7, v9, 16, 1
	v_cmp_o_f32_e32 vcc_lo, v9, v9
	s_mov_b32 s19, 0
	v_add3_u32 v7, v9, v7, 0x7fff
	s_delay_alu instid0(VALU_DEP_1) | instskip(NEXT) | instid1(VALU_DEP_1)
	v_lshrrev_b32_e32 v7, 16, v7
	v_cndmask_b32_e32 v16, 0x7fc0, v7, vcc_lo
	s_branch .LBB175_3258
.LBB175_3253:
	s_mov_b32 s19, -1
                                        ; implicit-def: $vgpr16
	s_branch .LBB175_3264
.LBB175_3254:
	s_or_saveexec_b32 s21, s21
	v_mov_b32_e32 v9, 0x7f800001
	s_xor_b32 exec_lo, exec_lo, s21
	s_cbranch_execz .LBB175_3237
.LBB175_3255:
	v_cmp_ne_u16_e32 vcc_lo, 0, v7
	v_mov_b32_e32 v9, 0
	s_and_not1_b32 s20, s20, exec_lo
	s_and_b32 s22, vcc_lo, exec_lo
	s_delay_alu instid0(SALU_CYCLE_1)
	s_or_b32 s20, s20, s22
	s_or_b32 exec_lo, exec_lo, s21
	s_and_saveexec_b32 s21, s20
	s_cbranch_execnz .LBB175_3238
	s_branch .LBB175_3239
.LBB175_3256:
	s_mov_b32 s19, -1
                                        ; implicit-def: $vgpr16
	s_branch .LBB175_3261
.LBB175_3257:
	s_mov_b32 s19, -1
                                        ; implicit-def: $vgpr16
.LBB175_3258:
	s_delay_alu instid0(SALU_CYCLE_1)
	s_and_b32 vcc_lo, exec_lo, s19
	s_cbranch_vccz .LBB175_3260
; %bb.3259:
	global_load_u8 v7, v[14:15], off
	s_wait_loadcnt 0x0
	v_lshlrev_b32_e32 v7, 24, v7
	s_delay_alu instid0(VALU_DEP_1) | instskip(NEXT) | instid1(VALU_DEP_1)
	v_and_b32_e32 v9, 0x7f000000, v7
	v_clz_i32_u32_e32 v11, v9
	v_cmp_ne_u32_e32 vcc_lo, 0, v9
	s_wait_xcnt 0x1
	v_add_nc_u32_e32 v16, 0x1000000, v9
	s_delay_alu instid0(VALU_DEP_3) | instskip(NEXT) | instid1(VALU_DEP_1)
	v_min_u32_e32 v11, 32, v11
	v_sub_nc_u32_e64 v11, v11, 4 clamp
	s_delay_alu instid0(VALU_DEP_1) | instskip(NEXT) | instid1(VALU_DEP_1)
	v_dual_lshlrev_b32 v13, v11, v9 :: v_dual_lshlrev_b32 v11, 23, v11
	v_lshrrev_b32_e32 v13, 4, v13
	s_delay_alu instid0(VALU_DEP_1) | instskip(NEXT) | instid1(VALU_DEP_1)
	v_dual_sub_nc_u32 v11, v13, v11 :: v_dual_ashrrev_i32 v13, 8, v16
	v_add_nc_u32_e32 v11, 0x3c000000, v11
	s_delay_alu instid0(VALU_DEP_1) | instskip(NEXT) | instid1(VALU_DEP_1)
	v_and_or_b32 v11, 0x7f800000, v13, v11
	v_cndmask_b32_e32 v9, 0, v11, vcc_lo
	s_delay_alu instid0(VALU_DEP_1) | instskip(SKIP_1) | instid1(VALU_DEP_2)
	v_and_or_b32 v7, 0x80000000, v7, v9
	v_bfe_u32 v9, v9, 16, 1
	v_cmp_o_f32_e32 vcc_lo, v7, v7
	s_delay_alu instid0(VALU_DEP_2) | instskip(NEXT) | instid1(VALU_DEP_1)
	v_add3_u32 v9, v7, v9, 0x7fff
	v_lshrrev_b32_e32 v9, 16, v9
	s_delay_alu instid0(VALU_DEP_1)
	v_cndmask_b32_e32 v16, 0x7fc0, v9, vcc_lo
.LBB175_3260:
	s_mov_b32 s19, 0
.LBB175_3261:
	s_delay_alu instid0(SALU_CYCLE_1)
	s_and_not1_b32 vcc_lo, exec_lo, s19
	s_cbranch_vccnz .LBB175_3263
; %bb.3262:
	global_load_u8 v7, v[14:15], off
	s_wait_loadcnt 0x0
	v_lshlrev_b32_e32 v9, 25, v7
	v_lshlrev_b16 v7, 8, v7
	s_delay_alu instid0(VALU_DEP_1) | instskip(SKIP_1) | instid1(VALU_DEP_2)
	v_and_or_b32 v13, 0x7f00, v7, 0.5
	v_bfe_i32 v7, v7, 0, 16
	v_add_f32_e32 v13, -0.5, v13
	v_lshrrev_b32_e32 v11, 4, v9
	v_cmp_gt_u32_e32 vcc_lo, 0x8000000, v9
	s_delay_alu instid0(VALU_DEP_2) | instskip(NEXT) | instid1(VALU_DEP_1)
	v_or_b32_e32 v11, 0x70000000, v11
	v_mul_f32_e32 v11, 0x7800000, v11
	s_delay_alu instid0(VALU_DEP_1) | instskip(NEXT) | instid1(VALU_DEP_1)
	v_cndmask_b32_e32 v9, v11, v13, vcc_lo
	v_and_or_b32 v7, 0x80000000, v7, v9
	v_bfe_u32 v9, v9, 16, 1
	s_delay_alu instid0(VALU_DEP_2) | instskip(NEXT) | instid1(VALU_DEP_2)
	v_cmp_o_f32_e32 vcc_lo, v7, v7
	v_add3_u32 v9, v7, v9, 0x7fff
	s_delay_alu instid0(VALU_DEP_1) | instskip(SKIP_1) | instid1(VALU_DEP_1)
	v_lshrrev_b32_e32 v9, 16, v9
	s_wait_xcnt 0x1
	v_cndmask_b32_e32 v16, 0x7fc0, v9, vcc_lo
.LBB175_3263:
	s_mov_b32 s19, 0
	s_mov_b32 s20, -1
.LBB175_3264:
	s_and_not1_b32 vcc_lo, exec_lo, s19
	s_mov_b32 s19, 0
	s_cbranch_vccnz .LBB175_3275
; %bb.3265:
	s_cmp_gt_i32 s17, 14
	s_cbranch_scc0 .LBB175_3268
; %bb.3266:
	s_cmp_eq_u32 s17, 15
	s_cbranch_scc0 .LBB175_3271
; %bb.3267:
	s_wait_loadcnt 0x0
	global_load_u16 v16, v[14:15], off
	s_mov_b32 s18, 0
	s_mov_b32 s20, -1
	s_branch .LBB175_3273
.LBB175_3268:
	s_mov_b32 s19, -1
	s_branch .LBB175_3272
.LBB175_3269:
	s_or_saveexec_b32 s20, s20
	v_mov_b32_e32 v9, 0x7f800001
	s_xor_b32 exec_lo, exec_lo, s20
	s_cbranch_execz .LBB175_3250
.LBB175_3270:
	v_cmp_ne_u16_e32 vcc_lo, 0, v7
	v_mov_b32_e32 v9, 0
	s_and_not1_b32 s19, s19, exec_lo
	s_and_b32 s21, vcc_lo, exec_lo
	s_delay_alu instid0(SALU_CYCLE_1)
	s_or_b32 s19, s19, s21
	s_or_b32 exec_lo, exec_lo, s20
	s_and_saveexec_b32 s20, s19
	s_cbranch_execnz .LBB175_3251
	s_branch .LBB175_3252
.LBB175_3271:
	s_mov_b32 s18, -1
.LBB175_3272:
                                        ; implicit-def: $vgpr16
.LBB175_3273:
	s_and_b32 vcc_lo, exec_lo, s19
	s_mov_b32 s19, 0
	s_cbranch_vccz .LBB175_3275
; %bb.3274:
	s_cmp_lg_u32 s17, 11
	s_mov_b32 s19, -1
	s_cselect_b32 s18, -1, 0
.LBB175_3275:
	s_delay_alu instid0(SALU_CYCLE_1)
	s_and_b32 vcc_lo, exec_lo, s18
	s_cbranch_vccnz .LBB175_3340
; %bb.3276:
	s_and_not1_b32 vcc_lo, exec_lo, s19
	s_cbranch_vccnz .LBB175_3278
.LBB175_3277:
	global_load_u8 v7, v[14:15], off
	s_mov_b32 s20, -1
	s_wait_loadcnt 0x0
	v_cmp_ne_u16_e32 vcc_lo, 0, v7
	v_cndmask_b32_e64 v7, 0, 1.0, vcc_lo
	s_wait_xcnt 0x1
	s_delay_alu instid0(VALU_DEP_1)
	v_lshrrev_b32_e32 v16, 16, v7
.LBB175_3278:
	s_mov_b32 s18, 0
.LBB175_3279:
	s_delay_alu instid0(SALU_CYCLE_1)
	s_and_b32 vcc_lo, exec_lo, s18
	s_cbranch_vccz .LBB175_3328
; %bb.3280:
	s_cmp_lt_i32 s17, 5
	s_cbranch_scc1 .LBB175_3285
; %bb.3281:
	s_cmp_lt_i32 s17, 8
	s_cbranch_scc1 .LBB175_3286
	;; [unrolled: 3-line block ×3, first 2 shown]
; %bb.3283:
	s_cmp_gt_i32 s17, 9
	s_cbranch_scc0 .LBB175_3288
; %bb.3284:
	s_wait_loadcnt 0x0
	global_load_b64 v[16:17], v[14:15], off
	s_mov_b32 s18, 0
	s_wait_loadcnt 0x0
	v_cvt_f32_f64_e32 v7, v[16:17]
	s_delay_alu instid0(VALU_DEP_1) | instskip(SKIP_1) | instid1(VALU_DEP_2)
	v_bfe_u32 v9, v7, 16, 1
	v_cmp_o_f32_e32 vcc_lo, v7, v7
	v_add3_u32 v9, v7, v9, 0x7fff
	s_delay_alu instid0(VALU_DEP_1) | instskip(NEXT) | instid1(VALU_DEP_1)
	v_lshrrev_b32_e32 v9, 16, v9
	v_cndmask_b32_e32 v16, 0x7fc0, v9, vcc_lo
	s_branch .LBB175_3289
.LBB175_3285:
	s_mov_b32 s18, -1
                                        ; implicit-def: $vgpr16
	s_branch .LBB175_3307
.LBB175_3286:
	s_mov_b32 s18, -1
                                        ; implicit-def: $vgpr16
	s_branch .LBB175_3295
.LBB175_3287:
	s_mov_b32 s18, -1
                                        ; implicit-def: $vgpr16
	s_branch .LBB175_3292
.LBB175_3288:
	s_mov_b32 s18, -1
                                        ; implicit-def: $vgpr16
.LBB175_3289:
	s_delay_alu instid0(SALU_CYCLE_1)
	s_and_not1_b32 vcc_lo, exec_lo, s18
	s_cbranch_vccnz .LBB175_3291
; %bb.3290:
	global_load_b32 v7, v[14:15], off
	s_wait_loadcnt 0x0
	v_bfe_u32 v9, v7, 16, 1
	v_cmp_o_f32_e32 vcc_lo, v7, v7
	s_delay_alu instid0(VALU_DEP_2) | instskip(NEXT) | instid1(VALU_DEP_1)
	v_add3_u32 v9, v7, v9, 0x7fff
	v_lshrrev_b32_e32 v9, 16, v9
	s_wait_xcnt 0x1
	s_delay_alu instid0(VALU_DEP_1)
	v_cndmask_b32_e32 v16, 0x7fc0, v9, vcc_lo
.LBB175_3291:
	s_mov_b32 s18, 0
.LBB175_3292:
	s_delay_alu instid0(SALU_CYCLE_1)
	s_and_not1_b32 vcc_lo, exec_lo, s18
	s_cbranch_vccnz .LBB175_3294
; %bb.3293:
	global_load_b32 v7, v[14:15], off
	s_wait_loadcnt 0x0
	v_cvt_f32_f16_e32 v9, v7
	v_cmp_o_f16_e32 vcc_lo, v7, v7
	s_delay_alu instid0(VALU_DEP_2) | instskip(NEXT) | instid1(VALU_DEP_1)
	v_bfe_u32 v11, v9, 16, 1
	v_add3_u32 v9, v9, v11, 0x7fff
	s_delay_alu instid0(VALU_DEP_1) | instskip(SKIP_1) | instid1(VALU_DEP_1)
	v_lshrrev_b32_e32 v9, 16, v9
	s_wait_xcnt 0x1
	v_cndmask_b32_e32 v16, 0x7fc0, v9, vcc_lo
.LBB175_3294:
	s_mov_b32 s18, 0
.LBB175_3295:
	s_delay_alu instid0(SALU_CYCLE_1)
	s_and_not1_b32 vcc_lo, exec_lo, s18
	s_cbranch_vccnz .LBB175_3306
; %bb.3296:
	s_cmp_lt_i32 s17, 6
	s_cbranch_scc1 .LBB175_3299
; %bb.3297:
	s_cmp_gt_i32 s17, 6
	s_cbranch_scc0 .LBB175_3300
; %bb.3298:
	s_wait_loadcnt 0x0
	global_load_b64 v[16:17], v[14:15], off
	s_mov_b32 s18, 0
	s_wait_loadcnt 0x0
	v_cvt_f32_f64_e32 v7, v[16:17]
	s_delay_alu instid0(VALU_DEP_1) | instskip(SKIP_1) | instid1(VALU_DEP_2)
	v_bfe_u32 v9, v7, 16, 1
	v_cmp_o_f32_e32 vcc_lo, v7, v7
	v_add3_u32 v9, v7, v9, 0x7fff
	s_delay_alu instid0(VALU_DEP_1) | instskip(NEXT) | instid1(VALU_DEP_1)
	v_lshrrev_b32_e32 v9, 16, v9
	v_cndmask_b32_e32 v16, 0x7fc0, v9, vcc_lo
	s_branch .LBB175_3301
.LBB175_3299:
	s_mov_b32 s18, -1
                                        ; implicit-def: $vgpr16
	s_branch .LBB175_3304
.LBB175_3300:
	s_mov_b32 s18, -1
                                        ; implicit-def: $vgpr16
.LBB175_3301:
	s_delay_alu instid0(SALU_CYCLE_1)
	s_and_not1_b32 vcc_lo, exec_lo, s18
	s_cbranch_vccnz .LBB175_3303
; %bb.3302:
	global_load_b32 v7, v[14:15], off
	s_wait_loadcnt 0x0
	v_bfe_u32 v9, v7, 16, 1
	v_cmp_o_f32_e32 vcc_lo, v7, v7
	s_delay_alu instid0(VALU_DEP_2) | instskip(NEXT) | instid1(VALU_DEP_1)
	v_add3_u32 v9, v7, v9, 0x7fff
	v_lshrrev_b32_e32 v9, 16, v9
	s_wait_xcnt 0x1
	s_delay_alu instid0(VALU_DEP_1)
	v_cndmask_b32_e32 v16, 0x7fc0, v9, vcc_lo
.LBB175_3303:
	s_mov_b32 s18, 0
.LBB175_3304:
	s_delay_alu instid0(SALU_CYCLE_1)
	s_and_not1_b32 vcc_lo, exec_lo, s18
	s_cbranch_vccnz .LBB175_3306
; %bb.3305:
	global_load_u16 v7, v[14:15], off
	s_wait_loadcnt 0x0
	v_cvt_f32_f16_e32 v9, v7
	v_cmp_o_f16_e32 vcc_lo, v7, v7
	s_delay_alu instid0(VALU_DEP_2) | instskip(NEXT) | instid1(VALU_DEP_1)
	v_bfe_u32 v11, v9, 16, 1
	v_add3_u32 v9, v9, v11, 0x7fff
	s_delay_alu instid0(VALU_DEP_1) | instskip(SKIP_1) | instid1(VALU_DEP_1)
	v_lshrrev_b32_e32 v9, 16, v9
	s_wait_xcnt 0x1
	v_cndmask_b32_e32 v16, 0x7fc0, v9, vcc_lo
.LBB175_3306:
	s_mov_b32 s18, 0
.LBB175_3307:
	s_delay_alu instid0(SALU_CYCLE_1)
	s_and_not1_b32 vcc_lo, exec_lo, s18
	s_cbranch_vccnz .LBB175_3327
; %bb.3308:
	s_cmp_lt_i32 s17, 2
	s_cbranch_scc1 .LBB175_3312
; %bb.3309:
	s_cmp_lt_i32 s17, 3
	s_cbranch_scc1 .LBB175_3313
; %bb.3310:
	s_cmp_gt_i32 s17, 3
	s_cbranch_scc0 .LBB175_3314
; %bb.3311:
	s_wait_loadcnt 0x0
	global_load_b64 v[16:17], v[14:15], off
	s_mov_b32 s18, 0
	s_wait_loadcnt 0x0
	v_xor_b32_e32 v7, v16, v17
	v_cls_i32_e32 v9, v17
	s_delay_alu instid0(VALU_DEP_2) | instskip(NEXT) | instid1(VALU_DEP_1)
	v_ashrrev_i32_e32 v7, 31, v7
	v_add_nc_u32_e32 v7, 32, v7
	s_delay_alu instid0(VALU_DEP_1) | instskip(NEXT) | instid1(VALU_DEP_1)
	v_add_min_u32_e64 v7, v9, -1, v7
	v_lshlrev_b64_e32 v[16:17], v7, v[16:17]
	v_sub_nc_u32_e32 v7, 32, v7
	s_delay_alu instid0(VALU_DEP_2) | instskip(NEXT) | instid1(VALU_DEP_1)
	v_min_u32_e32 v9, 1, v16
	v_or_b32_e32 v9, v17, v9
	s_delay_alu instid0(VALU_DEP_1) | instskip(NEXT) | instid1(VALU_DEP_1)
	v_cvt_f32_i32_e32 v9, v9
	v_ldexp_f32 v7, v9, v7
	s_delay_alu instid0(VALU_DEP_1) | instskip(NEXT) | instid1(VALU_DEP_1)
	v_bfe_u32 v9, v7, 16, 1
	v_add3_u32 v7, v7, v9, 0x7fff
	s_delay_alu instid0(VALU_DEP_1)
	v_lshrrev_b32_e32 v16, 16, v7
	s_branch .LBB175_3315
.LBB175_3312:
	s_mov_b32 s18, -1
                                        ; implicit-def: $vgpr16
	s_branch .LBB175_3321
.LBB175_3313:
	s_mov_b32 s18, -1
                                        ; implicit-def: $vgpr16
	s_branch .LBB175_3318
.LBB175_3314:
	s_mov_b32 s18, -1
                                        ; implicit-def: $vgpr16
.LBB175_3315:
	s_delay_alu instid0(SALU_CYCLE_1)
	s_and_not1_b32 vcc_lo, exec_lo, s18
	s_cbranch_vccnz .LBB175_3317
; %bb.3316:
	global_load_b32 v7, v[14:15], off
	s_wait_loadcnt 0x0
	v_cvt_f32_i32_e32 v7, v7
	s_delay_alu instid0(VALU_DEP_1) | instskip(NEXT) | instid1(VALU_DEP_1)
	v_bfe_u32 v9, v7, 16, 1
	v_add3_u32 v7, v7, v9, 0x7fff
	s_wait_xcnt 0x1
	s_delay_alu instid0(VALU_DEP_1)
	v_lshrrev_b32_e32 v16, 16, v7
.LBB175_3317:
	s_mov_b32 s18, 0
.LBB175_3318:
	s_delay_alu instid0(SALU_CYCLE_1)
	s_and_not1_b32 vcc_lo, exec_lo, s18
	s_cbranch_vccnz .LBB175_3320
; %bb.3319:
	global_load_i16 v7, v[14:15], off
	s_wait_loadcnt 0x0
	v_cvt_f32_i32_e32 v7, v7
	s_delay_alu instid0(VALU_DEP_1) | instskip(NEXT) | instid1(VALU_DEP_1)
	v_bfe_u32 v9, v7, 16, 1
	v_add3_u32 v7, v7, v9, 0x7fff
	s_wait_xcnt 0x1
	s_delay_alu instid0(VALU_DEP_1)
	v_lshrrev_b32_e32 v16, 16, v7
.LBB175_3320:
	s_mov_b32 s18, 0
.LBB175_3321:
	s_delay_alu instid0(SALU_CYCLE_1)
	s_and_not1_b32 vcc_lo, exec_lo, s18
	s_cbranch_vccnz .LBB175_3327
; %bb.3322:
	s_cmp_gt_i32 s17, 0
	s_mov_b32 s18, 0
	s_cbranch_scc0 .LBB175_3324
; %bb.3323:
	global_load_i8 v7, v[14:15], off
	s_wait_loadcnt 0x0
	v_cvt_f32_i32_e32 v7, v7
	s_delay_alu instid0(VALU_DEP_1) | instskip(NEXT) | instid1(VALU_DEP_1)
	v_bfe_u32 v9, v7, 16, 1
	v_add3_u32 v7, v7, v9, 0x7fff
	s_wait_xcnt 0x1
	s_delay_alu instid0(VALU_DEP_1)
	v_lshrrev_b32_e32 v16, 16, v7
	s_branch .LBB175_3325
.LBB175_3324:
	s_mov_b32 s18, -1
                                        ; implicit-def: $vgpr16
.LBB175_3325:
	s_delay_alu instid0(SALU_CYCLE_1)
	s_and_not1_b32 vcc_lo, exec_lo, s18
	s_cbranch_vccnz .LBB175_3327
; %bb.3326:
	global_load_u8 v7, v[14:15], off
	s_wait_loadcnt 0x0
	v_cvt_f32_ubyte0_e32 v7, v7
	s_delay_alu instid0(VALU_DEP_1) | instskip(NEXT) | instid1(VALU_DEP_1)
	v_bfe_u32 v9, v7, 16, 1
	v_add3_u32 v7, v7, v9, 0x7fff
	s_wait_xcnt 0x1
	s_delay_alu instid0(VALU_DEP_1)
	v_lshrrev_b32_e32 v16, 16, v7
.LBB175_3327:
	s_mov_b32 s20, -1
.LBB175_3328:
	s_delay_alu instid0(SALU_CYCLE_1)
	s_and_not1_b32 vcc_lo, exec_lo, s20
	s_cbranch_vccnz .LBB175_4155
; %bb.3329:
	v_mov_b32_e32 v13, 0
	s_cmp_lt_i32 s15, 11
	s_delay_alu instid0(VALU_DEP_1)
	v_add_nc_u64_e32 v[12:13], s[6:7], v[12:13]
	s_cbranch_scc1 .LBB175_3336
; %bb.3330:
	s_cmp_gt_i32 s15, 25
	s_mov_b32 s7, 0
	s_cbranch_scc0 .LBB175_3337
; %bb.3331:
	s_cmp_gt_i32 s15, 28
	s_cbranch_scc0 .LBB175_3338
; %bb.3332:
	s_cmp_gt_i32 s15, 43
	;; [unrolled: 3-line block ×3, first 2 shown]
	s_cbranch_scc0 .LBB175_3341
; %bb.3334:
	s_cmp_eq_u32 s15, 46
	s_mov_b32 s19, 0
	s_cbranch_scc0 .LBB175_3342
; %bb.3335:
	global_load_b32 v14, v[12:13], off
	s_mov_b32 s6, 0
	s_mov_b32 s18, -1
	s_branch .LBB175_3344
.LBB175_3336:
	s_mov_b32 s6, -1
	s_mov_b32 s18, 0
                                        ; implicit-def: $vgpr14
	s_branch .LBB175_3410
.LBB175_3337:
	s_mov_b32 s19, -1
	s_mov_b32 s18, 0
	s_mov_b32 s6, 0
                                        ; implicit-def: $vgpr14
	s_branch .LBB175_3373
.LBB175_3338:
	s_mov_b32 s19, -1
	s_mov_b32 s18, 0
	s_mov_b32 s6, 0
                                        ; implicit-def: $vgpr14
	s_branch .LBB175_3354
.LBB175_3339:
	s_mov_b32 s19, -1
	s_mov_b32 s18, 0
	s_mov_b32 s6, 0
                                        ; implicit-def: $vgpr14
	s_branch .LBB175_3349
.LBB175_3340:
	s_or_b32 s1, s1, exec_lo
	s_trap 2
	s_cbranch_execz .LBB175_3277
	s_branch .LBB175_3278
.LBB175_3341:
	s_mov_b32 s19, -1
	s_mov_b32 s18, 0
	s_mov_b32 s6, 0
	s_branch .LBB175_3343
.LBB175_3342:
	s_mov_b32 s6, -1
	s_mov_b32 s18, 0
.LBB175_3343:
                                        ; implicit-def: $vgpr14
.LBB175_3344:
	s_and_b32 vcc_lo, exec_lo, s19
	s_cbranch_vccz .LBB175_3348
; %bb.3345:
	s_cmp_eq_u32 s15, 44
	s_cbranch_scc0 .LBB175_3347
; %bb.3346:
	global_load_u8 v7, v[12:13], off
	s_mov_b32 s6, 0
	s_mov_b32 s18, -1
	s_wait_loadcnt 0x0
	v_lshlrev_b32_e32 v9, 23, v7
	v_cmp_ne_u32_e32 vcc_lo, 0xff, v7
	s_delay_alu instid0(VALU_DEP_2) | instskip(SKIP_1) | instid1(VALU_DEP_2)
	v_cndmask_b32_e32 v9, 0x7f800001, v9, vcc_lo
	v_cmp_ne_u32_e32 vcc_lo, 0, v7
	v_cndmask_b32_e32 v7, 0x400000, v9, vcc_lo
	s_delay_alu instid0(VALU_DEP_1) | instskip(SKIP_1) | instid1(VALU_DEP_2)
	v_add_nc_u32_e32 v9, 0x7fff, v7
	v_cmp_o_f32_e32 vcc_lo, v7, v7
	v_lshrrev_b32_e32 v9, 16, v9
	s_wait_xcnt 0x1
	s_delay_alu instid0(VALU_DEP_1)
	v_cndmask_b32_e32 v14, 0x7fc0, v9, vcc_lo
	s_branch .LBB175_3348
.LBB175_3347:
	s_mov_b32 s6, -1
                                        ; implicit-def: $vgpr14
.LBB175_3348:
	s_mov_b32 s19, 0
.LBB175_3349:
	s_delay_alu instid0(SALU_CYCLE_1)
	s_and_b32 vcc_lo, exec_lo, s19
	s_cbranch_vccz .LBB175_3353
; %bb.3350:
	s_cmp_eq_u32 s15, 29
	s_cbranch_scc0 .LBB175_3352
; %bb.3351:
	s_wait_loadcnt 0x0
	global_load_b64 v[14:15], v[12:13], off
	s_mov_b32 s6, 0
	s_mov_b32 s18, -1
	s_mov_b32 s19, 0
	s_wait_loadcnt 0x0
	v_clz_i32_u32_e32 v7, v15
	s_delay_alu instid0(VALU_DEP_1) | instskip(NEXT) | instid1(VALU_DEP_1)
	v_min_u32_e32 v7, 32, v7
	v_lshlrev_b64_e32 v[14:15], v7, v[14:15]
	v_sub_nc_u32_e32 v7, 32, v7
	s_delay_alu instid0(VALU_DEP_2) | instskip(NEXT) | instid1(VALU_DEP_1)
	v_min_u32_e32 v9, 1, v14
	v_or_b32_e32 v9, v15, v9
	s_delay_alu instid0(VALU_DEP_1) | instskip(NEXT) | instid1(VALU_DEP_1)
	v_cvt_f32_u32_e32 v9, v9
	v_ldexp_f32 v7, v9, v7
	s_delay_alu instid0(VALU_DEP_1) | instskip(NEXT) | instid1(VALU_DEP_1)
	v_bfe_u32 v9, v7, 16, 1
	v_add3_u32 v7, v7, v9, 0x7fff
	s_delay_alu instid0(VALU_DEP_1)
	v_lshrrev_b32_e32 v14, 16, v7
	s_branch .LBB175_3354
.LBB175_3352:
	s_mov_b32 s6, -1
                                        ; implicit-def: $vgpr14
.LBB175_3353:
	s_mov_b32 s19, 0
.LBB175_3354:
	s_delay_alu instid0(SALU_CYCLE_1)
	s_and_b32 vcc_lo, exec_lo, s19
	s_cbranch_vccz .LBB175_3372
; %bb.3355:
	s_cmp_lt_i32 s15, 27
	s_cbranch_scc1 .LBB175_3358
; %bb.3356:
	s_cmp_gt_i32 s15, 27
	s_cbranch_scc0 .LBB175_3359
; %bb.3357:
	global_load_b32 v7, v[12:13], off
	s_mov_b32 s18, 0
	s_wait_loadcnt 0x0
	v_cvt_f32_u32_e32 v7, v7
	s_delay_alu instid0(VALU_DEP_1) | instskip(NEXT) | instid1(VALU_DEP_1)
	v_bfe_u32 v9, v7, 16, 1
	v_add3_u32 v7, v7, v9, 0x7fff
	s_wait_xcnt 0x1
	s_delay_alu instid0(VALU_DEP_1)
	v_lshrrev_b32_e32 v14, 16, v7
	s_branch .LBB175_3360
.LBB175_3358:
	s_mov_b32 s18, -1
                                        ; implicit-def: $vgpr14
	s_branch .LBB175_3363
.LBB175_3359:
	s_mov_b32 s18, -1
                                        ; implicit-def: $vgpr14
.LBB175_3360:
	s_delay_alu instid0(SALU_CYCLE_1)
	s_and_not1_b32 vcc_lo, exec_lo, s18
	s_cbranch_vccnz .LBB175_3362
; %bb.3361:
	global_load_u16 v7, v[12:13], off
	s_wait_loadcnt 0x0
	v_cvt_f32_u32_e32 v7, v7
	s_delay_alu instid0(VALU_DEP_1) | instskip(NEXT) | instid1(VALU_DEP_1)
	v_bfe_u32 v9, v7, 16, 1
	v_add3_u32 v7, v7, v9, 0x7fff
	s_wait_xcnt 0x1
	s_delay_alu instid0(VALU_DEP_1)
	v_lshrrev_b32_e32 v14, 16, v7
.LBB175_3362:
	s_mov_b32 s18, 0
.LBB175_3363:
	s_delay_alu instid0(SALU_CYCLE_1)
	s_and_not1_b32 vcc_lo, exec_lo, s18
	s_cbranch_vccnz .LBB175_3371
; %bb.3364:
	global_load_u8 v7, v[12:13], off
	s_mov_b32 s18, 0
	s_mov_b32 s19, exec_lo
	s_wait_loadcnt 0x0
	v_cmpx_lt_i16_e32 0x7f, v7
	s_xor_b32 s19, exec_lo, s19
	s_cbranch_execz .LBB175_3385
; %bb.3365:
	s_mov_b32 s18, -1
	s_mov_b32 s20, exec_lo
	v_cmpx_eq_u16_e32 0x80, v7
; %bb.3366:
	s_xor_b32 s18, exec_lo, -1
; %bb.3367:
	s_or_b32 exec_lo, exec_lo, s20
	s_delay_alu instid0(SALU_CYCLE_1)
	s_and_b32 s18, s18, exec_lo
	s_or_saveexec_b32 s19, s19
	v_mov_b32_e32 v9, 0x7f800001
	s_xor_b32 exec_lo, exec_lo, s19
	s_cbranch_execnz .LBB175_3386
.LBB175_3368:
	s_or_b32 exec_lo, exec_lo, s19
	s_and_saveexec_b32 s19, s18
	s_cbranch_execz .LBB175_3370
.LBB175_3369:
	v_and_b32_e32 v9, 0xffff, v7
	s_delay_alu instid0(VALU_DEP_1) | instskip(SKIP_1) | instid1(VALU_DEP_2)
	v_and_b32_e32 v11, 7, v9
	v_bfe_u32 v17, v9, 3, 4
	v_clz_i32_u32_e32 v14, v11
	s_delay_alu instid0(VALU_DEP_2) | instskip(NEXT) | instid1(VALU_DEP_2)
	v_cmp_eq_u32_e32 vcc_lo, 0, v17
	v_min_u32_e32 v14, 32, v14
	s_delay_alu instid0(VALU_DEP_1) | instskip(NEXT) | instid1(VALU_DEP_1)
	v_subrev_nc_u32_e32 v15, 28, v14
	v_dual_lshlrev_b32 v9, v15, v9 :: v_dual_sub_nc_u32 v14, 29, v14
	s_delay_alu instid0(VALU_DEP_1) | instskip(NEXT) | instid1(VALU_DEP_1)
	v_dual_lshlrev_b32 v7, 24, v7 :: v_dual_bitop2_b32 v9, 7, v9 bitop3:0x40
	v_dual_cndmask_b32 v14, v17, v14 :: v_dual_cndmask_b32 v9, v11, v9
	s_delay_alu instid0(VALU_DEP_2) | instskip(NEXT) | instid1(VALU_DEP_2)
	v_and_b32_e32 v7, 0x80000000, v7
	v_lshl_add_u32 v11, v14, 23, 0x3b800000
	s_delay_alu instid0(VALU_DEP_3) | instskip(NEXT) | instid1(VALU_DEP_1)
	v_lshlrev_b32_e32 v9, 20, v9
	v_or3_b32 v9, v7, v11, v9
.LBB175_3370:
	s_or_b32 exec_lo, exec_lo, s19
	s_delay_alu instid0(VALU_DEP_1) | instskip(SKIP_1) | instid1(VALU_DEP_2)
	v_bfe_u32 v7, v9, 16, 1
	v_cmp_o_f32_e32 vcc_lo, v9, v9
	v_add3_u32 v7, v9, v7, 0x7fff
	s_delay_alu instid0(VALU_DEP_1) | instskip(NEXT) | instid1(VALU_DEP_1)
	v_lshrrev_b32_e32 v7, 16, v7
	v_cndmask_b32_e32 v14, 0x7fc0, v7, vcc_lo
.LBB175_3371:
	s_mov_b32 s18, -1
.LBB175_3372:
	s_mov_b32 s19, 0
.LBB175_3373:
	s_delay_alu instid0(SALU_CYCLE_1)
	s_and_b32 vcc_lo, exec_lo, s19
	s_cbranch_vccz .LBB175_3406
; %bb.3374:
	s_cmp_gt_i32 s15, 22
	s_cbranch_scc0 .LBB175_3384
; %bb.3375:
	s_cmp_lt_i32 s15, 24
	s_cbranch_scc1 .LBB175_3387
; %bb.3376:
	s_cmp_gt_i32 s15, 24
	s_cbranch_scc0 .LBB175_3388
; %bb.3377:
	global_load_u8 v7, v[12:13], off
	s_mov_b32 s18, exec_lo
	s_wait_loadcnt 0x0
	v_cmpx_lt_i16_e32 0x7f, v7
	s_xor_b32 s18, exec_lo, s18
	s_cbranch_execz .LBB175_3400
; %bb.3378:
	s_mov_b32 s7, -1
	s_mov_b32 s19, exec_lo
	v_cmpx_eq_u16_e32 0x80, v7
; %bb.3379:
	s_xor_b32 s7, exec_lo, -1
; %bb.3380:
	s_or_b32 exec_lo, exec_lo, s19
	s_delay_alu instid0(SALU_CYCLE_1)
	s_and_b32 s7, s7, exec_lo
	s_or_saveexec_b32 s18, s18
	v_mov_b32_e32 v9, 0x7f800001
	s_xor_b32 exec_lo, exec_lo, s18
	s_cbranch_execnz .LBB175_3401
.LBB175_3381:
	s_or_b32 exec_lo, exec_lo, s18
	s_and_saveexec_b32 s18, s7
	s_cbranch_execz .LBB175_3383
.LBB175_3382:
	v_and_b32_e32 v9, 0xffff, v7
	s_delay_alu instid0(VALU_DEP_1) | instskip(SKIP_1) | instid1(VALU_DEP_2)
	v_and_b32_e32 v11, 3, v9
	v_bfe_u32 v17, v9, 2, 5
	v_clz_i32_u32_e32 v14, v11
	s_delay_alu instid0(VALU_DEP_2) | instskip(NEXT) | instid1(VALU_DEP_2)
	v_cmp_eq_u32_e32 vcc_lo, 0, v17
	v_min_u32_e32 v14, 32, v14
	s_delay_alu instid0(VALU_DEP_1) | instskip(NEXT) | instid1(VALU_DEP_1)
	v_subrev_nc_u32_e32 v15, 29, v14
	v_dual_lshlrev_b32 v9, v15, v9 :: v_dual_sub_nc_u32 v14, 30, v14
	s_delay_alu instid0(VALU_DEP_1) | instskip(NEXT) | instid1(VALU_DEP_1)
	v_dual_lshlrev_b32 v7, 24, v7 :: v_dual_bitop2_b32 v9, 3, v9 bitop3:0x40
	v_dual_cndmask_b32 v14, v17, v14 :: v_dual_cndmask_b32 v9, v11, v9
	s_delay_alu instid0(VALU_DEP_2) | instskip(NEXT) | instid1(VALU_DEP_2)
	v_and_b32_e32 v7, 0x80000000, v7
	v_lshl_add_u32 v11, v14, 23, 0x37800000
	s_delay_alu instid0(VALU_DEP_3) | instskip(NEXT) | instid1(VALU_DEP_1)
	v_lshlrev_b32_e32 v9, 21, v9
	v_or3_b32 v9, v7, v11, v9
.LBB175_3383:
	s_or_b32 exec_lo, exec_lo, s18
	s_delay_alu instid0(VALU_DEP_1) | instskip(SKIP_2) | instid1(VALU_DEP_2)
	v_bfe_u32 v7, v9, 16, 1
	v_cmp_o_f32_e32 vcc_lo, v9, v9
	s_mov_b32 s7, 0
	v_add3_u32 v7, v9, v7, 0x7fff
	s_delay_alu instid0(VALU_DEP_1) | instskip(NEXT) | instid1(VALU_DEP_1)
	v_lshrrev_b32_e32 v7, 16, v7
	v_cndmask_b32_e32 v14, 0x7fc0, v7, vcc_lo
	s_branch .LBB175_3389
.LBB175_3384:
	s_mov_b32 s7, -1
                                        ; implicit-def: $vgpr14
	s_branch .LBB175_3395
.LBB175_3385:
	s_or_saveexec_b32 s19, s19
	v_mov_b32_e32 v9, 0x7f800001
	s_xor_b32 exec_lo, exec_lo, s19
	s_cbranch_execz .LBB175_3368
.LBB175_3386:
	v_cmp_ne_u16_e32 vcc_lo, 0, v7
	v_mov_b32_e32 v9, 0
	s_and_not1_b32 s18, s18, exec_lo
	s_and_b32 s20, vcc_lo, exec_lo
	s_delay_alu instid0(SALU_CYCLE_1)
	s_or_b32 s18, s18, s20
	s_or_b32 exec_lo, exec_lo, s19
	s_and_saveexec_b32 s19, s18
	s_cbranch_execnz .LBB175_3369
	s_branch .LBB175_3370
.LBB175_3387:
	s_mov_b32 s7, -1
                                        ; implicit-def: $vgpr14
	s_branch .LBB175_3392
.LBB175_3388:
	s_mov_b32 s7, -1
                                        ; implicit-def: $vgpr14
.LBB175_3389:
	s_delay_alu instid0(SALU_CYCLE_1)
	s_and_b32 vcc_lo, exec_lo, s7
	s_cbranch_vccz .LBB175_3391
; %bb.3390:
	global_load_u8 v7, v[12:13], off
	s_wait_loadcnt 0x0
	v_lshlrev_b32_e32 v7, 24, v7
	s_delay_alu instid0(VALU_DEP_1) | instskip(NEXT) | instid1(VALU_DEP_1)
	v_and_b32_e32 v9, 0x7f000000, v7
	v_clz_i32_u32_e32 v11, v9
	s_wait_xcnt 0x1
	v_add_nc_u32_e32 v15, 0x1000000, v9
	v_cmp_ne_u32_e32 vcc_lo, 0, v9
	s_delay_alu instid0(VALU_DEP_3) | instskip(NEXT) | instid1(VALU_DEP_1)
	v_min_u32_e32 v11, 32, v11
	v_sub_nc_u32_e64 v11, v11, 4 clamp
	s_delay_alu instid0(VALU_DEP_1) | instskip(NEXT) | instid1(VALU_DEP_1)
	v_dual_lshlrev_b32 v14, v11, v9 :: v_dual_lshlrev_b32 v11, 23, v11
	v_lshrrev_b32_e32 v14, 4, v14
	s_delay_alu instid0(VALU_DEP_1) | instskip(SKIP_1) | instid1(VALU_DEP_2)
	v_sub_nc_u32_e32 v11, v14, v11
	v_ashrrev_i32_e32 v14, 8, v15
	v_add_nc_u32_e32 v11, 0x3c000000, v11
	s_delay_alu instid0(VALU_DEP_1) | instskip(NEXT) | instid1(VALU_DEP_1)
	v_and_or_b32 v11, 0x7f800000, v14, v11
	v_cndmask_b32_e32 v9, 0, v11, vcc_lo
	s_delay_alu instid0(VALU_DEP_1) | instskip(SKIP_1) | instid1(VALU_DEP_2)
	v_and_or_b32 v7, 0x80000000, v7, v9
	v_bfe_u32 v9, v9, 16, 1
	v_cmp_o_f32_e32 vcc_lo, v7, v7
	s_delay_alu instid0(VALU_DEP_2) | instskip(NEXT) | instid1(VALU_DEP_1)
	v_add3_u32 v9, v7, v9, 0x7fff
	v_lshrrev_b32_e32 v9, 16, v9
	s_delay_alu instid0(VALU_DEP_1)
	v_cndmask_b32_e32 v14, 0x7fc0, v9, vcc_lo
.LBB175_3391:
	s_mov_b32 s7, 0
.LBB175_3392:
	s_delay_alu instid0(SALU_CYCLE_1)
	s_and_not1_b32 vcc_lo, exec_lo, s7
	s_cbranch_vccnz .LBB175_3394
; %bb.3393:
	global_load_u8 v7, v[12:13], off
	s_wait_loadcnt 0x0
	v_lshlrev_b32_e32 v9, 25, v7
	v_lshlrev_b16 v7, 8, v7
	s_wait_xcnt 0x1
	s_delay_alu instid0(VALU_DEP_1) | instskip(SKIP_1) | instid1(VALU_DEP_2)
	v_and_or_b32 v14, 0x7f00, v7, 0.5
	v_bfe_i32 v7, v7, 0, 16
	v_dual_add_f32 v14, -0.5, v14 :: v_dual_lshrrev_b32 v11, 4, v9
	v_cmp_gt_u32_e32 vcc_lo, 0x8000000, v9
	s_delay_alu instid0(VALU_DEP_2) | instskip(NEXT) | instid1(VALU_DEP_1)
	v_or_b32_e32 v11, 0x70000000, v11
	v_mul_f32_e32 v11, 0x7800000, v11
	s_delay_alu instid0(VALU_DEP_1) | instskip(NEXT) | instid1(VALU_DEP_1)
	v_cndmask_b32_e32 v9, v11, v14, vcc_lo
	v_and_or_b32 v7, 0x80000000, v7, v9
	v_bfe_u32 v9, v9, 16, 1
	s_delay_alu instid0(VALU_DEP_2) | instskip(NEXT) | instid1(VALU_DEP_2)
	v_cmp_o_f32_e32 vcc_lo, v7, v7
	v_add3_u32 v9, v7, v9, 0x7fff
	s_delay_alu instid0(VALU_DEP_1) | instskip(NEXT) | instid1(VALU_DEP_1)
	v_lshrrev_b32_e32 v9, 16, v9
	v_cndmask_b32_e32 v14, 0x7fc0, v9, vcc_lo
.LBB175_3394:
	s_mov_b32 s7, 0
	s_mov_b32 s18, -1
.LBB175_3395:
	s_and_not1_b32 vcc_lo, exec_lo, s7
	s_mov_b32 s7, 0
	s_cbranch_vccnz .LBB175_3406
; %bb.3396:
	s_cmp_gt_i32 s15, 14
	s_cbranch_scc0 .LBB175_3399
; %bb.3397:
	s_cmp_eq_u32 s15, 15
	s_cbranch_scc0 .LBB175_3402
; %bb.3398:
	s_wait_loadcnt 0x0
	global_load_u16 v14, v[12:13], off
	s_mov_b32 s6, 0
	s_mov_b32 s18, -1
	s_branch .LBB175_3404
.LBB175_3399:
	s_mov_b32 s7, -1
	s_branch .LBB175_3403
.LBB175_3400:
	s_or_saveexec_b32 s18, s18
	v_mov_b32_e32 v9, 0x7f800001
	s_xor_b32 exec_lo, exec_lo, s18
	s_cbranch_execz .LBB175_3381
.LBB175_3401:
	v_cmp_ne_u16_e32 vcc_lo, 0, v7
	v_mov_b32_e32 v9, 0
	s_and_not1_b32 s7, s7, exec_lo
	s_and_b32 s19, vcc_lo, exec_lo
	s_delay_alu instid0(SALU_CYCLE_1)
	s_or_b32 s7, s7, s19
	s_or_b32 exec_lo, exec_lo, s18
	s_and_saveexec_b32 s18, s7
	s_cbranch_execnz .LBB175_3382
	s_branch .LBB175_3383
.LBB175_3402:
	s_mov_b32 s6, -1
.LBB175_3403:
                                        ; implicit-def: $vgpr14
.LBB175_3404:
	s_and_b32 vcc_lo, exec_lo, s7
	s_mov_b32 s7, 0
	s_cbranch_vccz .LBB175_3406
; %bb.3405:
	s_cmp_lg_u32 s15, 11
	s_mov_b32 s7, -1
	s_cselect_b32 s6, -1, 0
.LBB175_3406:
	s_delay_alu instid0(SALU_CYCLE_1)
	s_and_b32 vcc_lo, exec_lo, s6
	s_cbranch_vccnz .LBB175_3471
; %bb.3407:
	s_and_not1_b32 vcc_lo, exec_lo, s7
	s_cbranch_vccnz .LBB175_3409
.LBB175_3408:
	global_load_u8 v7, v[12:13], off
	s_mov_b32 s18, -1
	s_wait_loadcnt 0x0
	v_cmp_ne_u16_e32 vcc_lo, 0, v7
	v_cndmask_b32_e64 v7, 0, 1.0, vcc_lo
	s_wait_xcnt 0x1
	s_delay_alu instid0(VALU_DEP_1)
	v_lshrrev_b32_e32 v14, 16, v7
.LBB175_3409:
	s_mov_b32 s6, 0
.LBB175_3410:
	s_delay_alu instid0(SALU_CYCLE_1)
	s_and_b32 vcc_lo, exec_lo, s6
	s_cbranch_vccz .LBB175_3459
; %bb.3411:
	s_cmp_lt_i32 s15, 5
	s_cbranch_scc1 .LBB175_3416
; %bb.3412:
	s_cmp_lt_i32 s15, 8
	s_cbranch_scc1 .LBB175_3417
	;; [unrolled: 3-line block ×3, first 2 shown]
; %bb.3414:
	s_cmp_gt_i32 s15, 9
	s_cbranch_scc0 .LBB175_3419
; %bb.3415:
	s_wait_loadcnt 0x0
	global_load_b64 v[14:15], v[12:13], off
	s_mov_b32 s6, 0
	s_wait_loadcnt 0x0
	v_cvt_f32_f64_e32 v7, v[14:15]
	s_delay_alu instid0(VALU_DEP_1) | instskip(SKIP_1) | instid1(VALU_DEP_2)
	v_bfe_u32 v9, v7, 16, 1
	v_cmp_o_f32_e32 vcc_lo, v7, v7
	v_add3_u32 v9, v7, v9, 0x7fff
	s_delay_alu instid0(VALU_DEP_1) | instskip(NEXT) | instid1(VALU_DEP_1)
	v_lshrrev_b32_e32 v9, 16, v9
	v_cndmask_b32_e32 v14, 0x7fc0, v9, vcc_lo
	s_branch .LBB175_3420
.LBB175_3416:
	s_mov_b32 s6, -1
                                        ; implicit-def: $vgpr14
	s_branch .LBB175_3438
.LBB175_3417:
	s_mov_b32 s6, -1
                                        ; implicit-def: $vgpr14
	s_branch .LBB175_3426
.LBB175_3418:
	s_mov_b32 s6, -1
                                        ; implicit-def: $vgpr14
	s_branch .LBB175_3423
.LBB175_3419:
	s_mov_b32 s6, -1
                                        ; implicit-def: $vgpr14
.LBB175_3420:
	s_delay_alu instid0(SALU_CYCLE_1)
	s_and_not1_b32 vcc_lo, exec_lo, s6
	s_cbranch_vccnz .LBB175_3422
; %bb.3421:
	global_load_b32 v7, v[12:13], off
	s_wait_loadcnt 0x0
	v_bfe_u32 v9, v7, 16, 1
	v_cmp_o_f32_e32 vcc_lo, v7, v7
	s_delay_alu instid0(VALU_DEP_2) | instskip(NEXT) | instid1(VALU_DEP_1)
	v_add3_u32 v9, v7, v9, 0x7fff
	v_lshrrev_b32_e32 v9, 16, v9
	s_wait_xcnt 0x1
	s_delay_alu instid0(VALU_DEP_1)
	v_cndmask_b32_e32 v14, 0x7fc0, v9, vcc_lo
.LBB175_3422:
	s_mov_b32 s6, 0
.LBB175_3423:
	s_delay_alu instid0(SALU_CYCLE_1)
	s_and_not1_b32 vcc_lo, exec_lo, s6
	s_cbranch_vccnz .LBB175_3425
; %bb.3424:
	global_load_b32 v7, v[12:13], off
	s_wait_loadcnt 0x0
	v_cvt_f32_f16_e32 v9, v7
	v_cmp_o_f16_e32 vcc_lo, v7, v7
	s_delay_alu instid0(VALU_DEP_2) | instskip(NEXT) | instid1(VALU_DEP_1)
	v_bfe_u32 v11, v9, 16, 1
	v_add3_u32 v9, v9, v11, 0x7fff
	s_delay_alu instid0(VALU_DEP_1) | instskip(SKIP_1) | instid1(VALU_DEP_1)
	v_lshrrev_b32_e32 v9, 16, v9
	s_wait_xcnt 0x1
	v_cndmask_b32_e32 v14, 0x7fc0, v9, vcc_lo
.LBB175_3425:
	s_mov_b32 s6, 0
.LBB175_3426:
	s_delay_alu instid0(SALU_CYCLE_1)
	s_and_not1_b32 vcc_lo, exec_lo, s6
	s_cbranch_vccnz .LBB175_3437
; %bb.3427:
	s_cmp_lt_i32 s15, 6
	s_cbranch_scc1 .LBB175_3430
; %bb.3428:
	s_cmp_gt_i32 s15, 6
	s_cbranch_scc0 .LBB175_3431
; %bb.3429:
	s_wait_loadcnt 0x0
	global_load_b64 v[14:15], v[12:13], off
	s_mov_b32 s6, 0
	s_wait_loadcnt 0x0
	v_cvt_f32_f64_e32 v7, v[14:15]
	s_delay_alu instid0(VALU_DEP_1) | instskip(SKIP_1) | instid1(VALU_DEP_2)
	v_bfe_u32 v9, v7, 16, 1
	v_cmp_o_f32_e32 vcc_lo, v7, v7
	v_add3_u32 v9, v7, v9, 0x7fff
	s_delay_alu instid0(VALU_DEP_1) | instskip(NEXT) | instid1(VALU_DEP_1)
	v_lshrrev_b32_e32 v9, 16, v9
	v_cndmask_b32_e32 v14, 0x7fc0, v9, vcc_lo
	s_branch .LBB175_3432
.LBB175_3430:
	s_mov_b32 s6, -1
                                        ; implicit-def: $vgpr14
	s_branch .LBB175_3435
.LBB175_3431:
	s_mov_b32 s6, -1
                                        ; implicit-def: $vgpr14
.LBB175_3432:
	s_delay_alu instid0(SALU_CYCLE_1)
	s_and_not1_b32 vcc_lo, exec_lo, s6
	s_cbranch_vccnz .LBB175_3434
; %bb.3433:
	global_load_b32 v7, v[12:13], off
	s_wait_loadcnt 0x0
	v_bfe_u32 v9, v7, 16, 1
	v_cmp_o_f32_e32 vcc_lo, v7, v7
	s_delay_alu instid0(VALU_DEP_2) | instskip(NEXT) | instid1(VALU_DEP_1)
	v_add3_u32 v9, v7, v9, 0x7fff
	v_lshrrev_b32_e32 v9, 16, v9
	s_wait_xcnt 0x1
	s_delay_alu instid0(VALU_DEP_1)
	v_cndmask_b32_e32 v14, 0x7fc0, v9, vcc_lo
.LBB175_3434:
	s_mov_b32 s6, 0
.LBB175_3435:
	s_delay_alu instid0(SALU_CYCLE_1)
	s_and_not1_b32 vcc_lo, exec_lo, s6
	s_cbranch_vccnz .LBB175_3437
; %bb.3436:
	global_load_u16 v7, v[12:13], off
	s_wait_loadcnt 0x0
	v_cvt_f32_f16_e32 v9, v7
	v_cmp_o_f16_e32 vcc_lo, v7, v7
	s_delay_alu instid0(VALU_DEP_2) | instskip(NEXT) | instid1(VALU_DEP_1)
	v_bfe_u32 v11, v9, 16, 1
	v_add3_u32 v9, v9, v11, 0x7fff
	s_delay_alu instid0(VALU_DEP_1) | instskip(SKIP_1) | instid1(VALU_DEP_1)
	v_lshrrev_b32_e32 v9, 16, v9
	s_wait_xcnt 0x1
	v_cndmask_b32_e32 v14, 0x7fc0, v9, vcc_lo
.LBB175_3437:
	s_mov_b32 s6, 0
.LBB175_3438:
	s_delay_alu instid0(SALU_CYCLE_1)
	s_and_not1_b32 vcc_lo, exec_lo, s6
	s_cbranch_vccnz .LBB175_3458
; %bb.3439:
	s_cmp_lt_i32 s15, 2
	s_cbranch_scc1 .LBB175_3443
; %bb.3440:
	s_cmp_lt_i32 s15, 3
	s_cbranch_scc1 .LBB175_3444
; %bb.3441:
	s_cmp_gt_i32 s15, 3
	s_cbranch_scc0 .LBB175_3445
; %bb.3442:
	s_wait_loadcnt 0x0
	global_load_b64 v[14:15], v[12:13], off
	s_mov_b32 s6, 0
	s_wait_loadcnt 0x0
	v_xor_b32_e32 v7, v14, v15
	v_cls_i32_e32 v9, v15
	s_delay_alu instid0(VALU_DEP_2) | instskip(NEXT) | instid1(VALU_DEP_1)
	v_ashrrev_i32_e32 v7, 31, v7
	v_add_nc_u32_e32 v7, 32, v7
	s_delay_alu instid0(VALU_DEP_1) | instskip(NEXT) | instid1(VALU_DEP_1)
	v_add_min_u32_e64 v7, v9, -1, v7
	v_lshlrev_b64_e32 v[14:15], v7, v[14:15]
	v_sub_nc_u32_e32 v7, 32, v7
	s_delay_alu instid0(VALU_DEP_2) | instskip(NEXT) | instid1(VALU_DEP_1)
	v_min_u32_e32 v9, 1, v14
	v_or_b32_e32 v9, v15, v9
	s_delay_alu instid0(VALU_DEP_1) | instskip(NEXT) | instid1(VALU_DEP_1)
	v_cvt_f32_i32_e32 v9, v9
	v_ldexp_f32 v7, v9, v7
	s_delay_alu instid0(VALU_DEP_1) | instskip(NEXT) | instid1(VALU_DEP_1)
	v_bfe_u32 v9, v7, 16, 1
	v_add3_u32 v7, v7, v9, 0x7fff
	s_delay_alu instid0(VALU_DEP_1)
	v_lshrrev_b32_e32 v14, 16, v7
	s_branch .LBB175_3446
.LBB175_3443:
	s_mov_b32 s6, -1
                                        ; implicit-def: $vgpr14
	s_branch .LBB175_3452
.LBB175_3444:
	s_mov_b32 s6, -1
                                        ; implicit-def: $vgpr14
	s_branch .LBB175_3449
.LBB175_3445:
	s_mov_b32 s6, -1
                                        ; implicit-def: $vgpr14
.LBB175_3446:
	s_delay_alu instid0(SALU_CYCLE_1)
	s_and_not1_b32 vcc_lo, exec_lo, s6
	s_cbranch_vccnz .LBB175_3448
; %bb.3447:
	global_load_b32 v7, v[12:13], off
	s_wait_loadcnt 0x0
	v_cvt_f32_i32_e32 v7, v7
	s_delay_alu instid0(VALU_DEP_1) | instskip(NEXT) | instid1(VALU_DEP_1)
	v_bfe_u32 v9, v7, 16, 1
	v_add3_u32 v7, v7, v9, 0x7fff
	s_wait_xcnt 0x1
	s_delay_alu instid0(VALU_DEP_1)
	v_lshrrev_b32_e32 v14, 16, v7
.LBB175_3448:
	s_mov_b32 s6, 0
.LBB175_3449:
	s_delay_alu instid0(SALU_CYCLE_1)
	s_and_not1_b32 vcc_lo, exec_lo, s6
	s_cbranch_vccnz .LBB175_3451
; %bb.3450:
	global_load_i16 v7, v[12:13], off
	s_wait_loadcnt 0x0
	v_cvt_f32_i32_e32 v7, v7
	s_delay_alu instid0(VALU_DEP_1) | instskip(NEXT) | instid1(VALU_DEP_1)
	v_bfe_u32 v9, v7, 16, 1
	v_add3_u32 v7, v7, v9, 0x7fff
	s_wait_xcnt 0x1
	s_delay_alu instid0(VALU_DEP_1)
	v_lshrrev_b32_e32 v14, 16, v7
.LBB175_3451:
	s_mov_b32 s6, 0
.LBB175_3452:
	s_delay_alu instid0(SALU_CYCLE_1)
	s_and_not1_b32 vcc_lo, exec_lo, s6
	s_cbranch_vccnz .LBB175_3458
; %bb.3453:
	s_cmp_gt_i32 s15, 0
	s_mov_b32 s6, 0
	s_cbranch_scc0 .LBB175_3455
; %bb.3454:
	global_load_i8 v7, v[12:13], off
	s_wait_loadcnt 0x0
	v_cvt_f32_i32_e32 v7, v7
	s_delay_alu instid0(VALU_DEP_1) | instskip(NEXT) | instid1(VALU_DEP_1)
	v_bfe_u32 v9, v7, 16, 1
	v_add3_u32 v7, v7, v9, 0x7fff
	s_wait_xcnt 0x1
	s_delay_alu instid0(VALU_DEP_1)
	v_lshrrev_b32_e32 v14, 16, v7
	s_branch .LBB175_3456
.LBB175_3455:
	s_mov_b32 s6, -1
                                        ; implicit-def: $vgpr14
.LBB175_3456:
	s_delay_alu instid0(SALU_CYCLE_1)
	s_and_not1_b32 vcc_lo, exec_lo, s6
	s_cbranch_vccnz .LBB175_3458
; %bb.3457:
	global_load_u8 v7, v[12:13], off
	s_wait_loadcnt 0x0
	v_cvt_f32_ubyte0_e32 v7, v7
	s_delay_alu instid0(VALU_DEP_1) | instskip(NEXT) | instid1(VALU_DEP_1)
	v_bfe_u32 v9, v7, 16, 1
	v_add3_u32 v7, v7, v9, 0x7fff
	s_wait_xcnt 0x1
	s_delay_alu instid0(VALU_DEP_1)
	v_lshrrev_b32_e32 v14, 16, v7
.LBB175_3458:
	s_mov_b32 s18, -1
.LBB175_3459:
	s_delay_alu instid0(SALU_CYCLE_1)
	s_and_not1_b32 vcc_lo, exec_lo, s18
	s_cbranch_vccnz .LBB175_4155
; %bb.3460:
	v_mov_b32_e32 v11, 0
	s_cmp_lt_i32 s16, 11
	s_delay_alu instid0(VALU_DEP_1)
	v_add_nc_u64_e32 v[10:11], s[8:9], v[10:11]
	s_cbranch_scc1 .LBB175_3467
; %bb.3461:
	s_cmp_gt_i32 s16, 25
	s_mov_b32 s7, 0
	s_cbranch_scc0 .LBB175_3468
; %bb.3462:
	s_cmp_gt_i32 s16, 28
	s_cbranch_scc0 .LBB175_3469
; %bb.3463:
	s_cmp_gt_i32 s16, 43
	;; [unrolled: 3-line block ×3, first 2 shown]
	s_cbranch_scc0 .LBB175_3472
; %bb.3465:
	s_cmp_eq_u32 s16, 46
	s_mov_b32 s9, 0
	s_cbranch_scc0 .LBB175_3473
; %bb.3466:
	global_load_b32 v12, v[10:11], off
	s_mov_b32 s6, 0
	s_mov_b32 s8, -1
	s_branch .LBB175_3475
.LBB175_3467:
	s_mov_b32 s6, -1
	s_mov_b32 s8, 0
                                        ; implicit-def: $vgpr12
	s_branch .LBB175_3541
.LBB175_3468:
	s_mov_b32 s9, -1
	s_mov_b32 s8, 0
	s_mov_b32 s6, 0
                                        ; implicit-def: $vgpr12
	s_branch .LBB175_3504
.LBB175_3469:
	s_mov_b32 s9, -1
	s_mov_b32 s8, 0
	s_mov_b32 s6, 0
                                        ; implicit-def: $vgpr12
	s_branch .LBB175_3485
.LBB175_3470:
	s_mov_b32 s9, -1
	s_mov_b32 s8, 0
	s_mov_b32 s6, 0
                                        ; implicit-def: $vgpr12
	s_branch .LBB175_3480
.LBB175_3471:
	s_or_b32 s1, s1, exec_lo
	s_trap 2
	s_cbranch_execz .LBB175_3408
	s_branch .LBB175_3409
.LBB175_3472:
	s_mov_b32 s9, -1
	s_mov_b32 s8, 0
	s_mov_b32 s6, 0
	s_branch .LBB175_3474
.LBB175_3473:
	s_mov_b32 s6, -1
	s_mov_b32 s8, 0
.LBB175_3474:
                                        ; implicit-def: $vgpr12
.LBB175_3475:
	s_and_b32 vcc_lo, exec_lo, s9
	s_cbranch_vccz .LBB175_3479
; %bb.3476:
	s_cmp_eq_u32 s16, 44
	s_cbranch_scc0 .LBB175_3478
; %bb.3477:
	global_load_u8 v7, v[10:11], off
	s_mov_b32 s6, 0
	s_mov_b32 s8, -1
	s_wait_loadcnt 0x0
	v_lshlrev_b32_e32 v9, 23, v7
	v_cmp_ne_u32_e32 vcc_lo, 0xff, v7
	s_delay_alu instid0(VALU_DEP_2) | instskip(SKIP_1) | instid1(VALU_DEP_2)
	v_cndmask_b32_e32 v9, 0x7f800001, v9, vcc_lo
	v_cmp_ne_u32_e32 vcc_lo, 0, v7
	v_cndmask_b32_e32 v7, 0x400000, v9, vcc_lo
	s_delay_alu instid0(VALU_DEP_1) | instskip(SKIP_1) | instid1(VALU_DEP_2)
	v_add_nc_u32_e32 v9, 0x7fff, v7
	v_cmp_o_f32_e32 vcc_lo, v7, v7
	v_lshrrev_b32_e32 v9, 16, v9
	s_wait_xcnt 0x1
	s_delay_alu instid0(VALU_DEP_1)
	v_cndmask_b32_e32 v12, 0x7fc0, v9, vcc_lo
	s_branch .LBB175_3479
.LBB175_3478:
	s_mov_b32 s6, -1
                                        ; implicit-def: $vgpr12
.LBB175_3479:
	s_mov_b32 s9, 0
.LBB175_3480:
	s_delay_alu instid0(SALU_CYCLE_1)
	s_and_b32 vcc_lo, exec_lo, s9
	s_cbranch_vccz .LBB175_3484
; %bb.3481:
	s_cmp_eq_u32 s16, 29
	s_cbranch_scc0 .LBB175_3483
; %bb.3482:
	s_wait_loadcnt 0x0
	global_load_b64 v[12:13], v[10:11], off
	s_mov_b32 s6, 0
	s_mov_b32 s8, -1
	s_mov_b32 s9, 0
	s_wait_loadcnt 0x0
	v_clz_i32_u32_e32 v7, v13
	s_delay_alu instid0(VALU_DEP_1) | instskip(NEXT) | instid1(VALU_DEP_1)
	v_min_u32_e32 v7, 32, v7
	v_lshlrev_b64_e32 v[12:13], v7, v[12:13]
	v_sub_nc_u32_e32 v7, 32, v7
	s_delay_alu instid0(VALU_DEP_2) | instskip(NEXT) | instid1(VALU_DEP_1)
	v_min_u32_e32 v9, 1, v12
	v_or_b32_e32 v9, v13, v9
	s_delay_alu instid0(VALU_DEP_1) | instskip(NEXT) | instid1(VALU_DEP_1)
	v_cvt_f32_u32_e32 v9, v9
	v_ldexp_f32 v7, v9, v7
	s_delay_alu instid0(VALU_DEP_1) | instskip(NEXT) | instid1(VALU_DEP_1)
	v_bfe_u32 v9, v7, 16, 1
	v_add3_u32 v7, v7, v9, 0x7fff
	s_delay_alu instid0(VALU_DEP_1)
	v_lshrrev_b32_e32 v12, 16, v7
	s_branch .LBB175_3485
.LBB175_3483:
	s_mov_b32 s6, -1
                                        ; implicit-def: $vgpr12
.LBB175_3484:
	s_mov_b32 s9, 0
.LBB175_3485:
	s_delay_alu instid0(SALU_CYCLE_1)
	s_and_b32 vcc_lo, exec_lo, s9
	s_cbranch_vccz .LBB175_3503
; %bb.3486:
	s_cmp_lt_i32 s16, 27
	s_cbranch_scc1 .LBB175_3489
; %bb.3487:
	s_cmp_gt_i32 s16, 27
	s_cbranch_scc0 .LBB175_3490
; %bb.3488:
	global_load_b32 v7, v[10:11], off
	s_mov_b32 s8, 0
	s_wait_loadcnt 0x0
	v_cvt_f32_u32_e32 v7, v7
	s_delay_alu instid0(VALU_DEP_1) | instskip(NEXT) | instid1(VALU_DEP_1)
	v_bfe_u32 v9, v7, 16, 1
	v_add3_u32 v7, v7, v9, 0x7fff
	s_wait_xcnt 0x1
	s_delay_alu instid0(VALU_DEP_1)
	v_lshrrev_b32_e32 v12, 16, v7
	s_branch .LBB175_3491
.LBB175_3489:
	s_mov_b32 s8, -1
                                        ; implicit-def: $vgpr12
	s_branch .LBB175_3494
.LBB175_3490:
	s_mov_b32 s8, -1
                                        ; implicit-def: $vgpr12
.LBB175_3491:
	s_delay_alu instid0(SALU_CYCLE_1)
	s_and_not1_b32 vcc_lo, exec_lo, s8
	s_cbranch_vccnz .LBB175_3493
; %bb.3492:
	global_load_u16 v7, v[10:11], off
	s_wait_loadcnt 0x0
	v_cvt_f32_u32_e32 v7, v7
	s_delay_alu instid0(VALU_DEP_1) | instskip(NEXT) | instid1(VALU_DEP_1)
	v_bfe_u32 v9, v7, 16, 1
	v_add3_u32 v7, v7, v9, 0x7fff
	s_wait_xcnt 0x1
	s_delay_alu instid0(VALU_DEP_1)
	v_lshrrev_b32_e32 v12, 16, v7
.LBB175_3493:
	s_mov_b32 s8, 0
.LBB175_3494:
	s_delay_alu instid0(SALU_CYCLE_1)
	s_and_not1_b32 vcc_lo, exec_lo, s8
	s_cbranch_vccnz .LBB175_3502
; %bb.3495:
	global_load_u8 v7, v[10:11], off
	s_mov_b32 s8, 0
	s_mov_b32 s9, exec_lo
	s_wait_loadcnt 0x0
	v_cmpx_lt_i16_e32 0x7f, v7
	s_xor_b32 s9, exec_lo, s9
	s_cbranch_execz .LBB175_3516
; %bb.3496:
	s_mov_b32 s8, -1
	s_mov_b32 s15, exec_lo
	v_cmpx_eq_u16_e32 0x80, v7
; %bb.3497:
	s_xor_b32 s8, exec_lo, -1
; %bb.3498:
	s_or_b32 exec_lo, exec_lo, s15
	s_delay_alu instid0(SALU_CYCLE_1)
	s_and_b32 s8, s8, exec_lo
	s_or_saveexec_b32 s9, s9
	v_mov_b32_e32 v9, 0x7f800001
	s_xor_b32 exec_lo, exec_lo, s9
	s_cbranch_execnz .LBB175_3517
.LBB175_3499:
	s_or_b32 exec_lo, exec_lo, s9
	s_and_saveexec_b32 s9, s8
	s_cbranch_execz .LBB175_3501
.LBB175_3500:
	v_and_b32_e32 v9, 0xffff, v7
	s_delay_alu instid0(VALU_DEP_1) | instskip(SKIP_1) | instid1(VALU_DEP_2)
	v_dual_lshlrev_b32 v7, 24, v7 :: v_dual_bitop2_b32 v12, 7, v9 bitop3:0x40
	v_bfe_u32 v17, v9, 3, 4
	v_and_b32_e32 v7, 0x80000000, v7
	s_delay_alu instid0(VALU_DEP_3) | instskip(NEXT) | instid1(VALU_DEP_3)
	v_clz_i32_u32_e32 v13, v12
	v_cmp_eq_u32_e32 vcc_lo, 0, v17
	s_delay_alu instid0(VALU_DEP_2) | instskip(NEXT) | instid1(VALU_DEP_1)
	v_min_u32_e32 v13, 32, v13
	v_subrev_nc_u32_e32 v15, 28, v13
	v_sub_nc_u32_e32 v13, 29, v13
	s_delay_alu instid0(VALU_DEP_2) | instskip(NEXT) | instid1(VALU_DEP_2)
	v_lshlrev_b32_e32 v9, v15, v9
	v_cndmask_b32_e32 v13, v17, v13, vcc_lo
	s_delay_alu instid0(VALU_DEP_2) | instskip(NEXT) | instid1(VALU_DEP_1)
	v_and_b32_e32 v9, 7, v9
	v_cndmask_b32_e32 v9, v12, v9, vcc_lo
	s_delay_alu instid0(VALU_DEP_3) | instskip(NEXT) | instid1(VALU_DEP_2)
	v_lshl_add_u32 v12, v13, 23, 0x3b800000
	v_lshlrev_b32_e32 v9, 20, v9
	s_delay_alu instid0(VALU_DEP_1)
	v_or3_b32 v9, v7, v12, v9
.LBB175_3501:
	s_or_b32 exec_lo, exec_lo, s9
	s_delay_alu instid0(VALU_DEP_1) | instskip(SKIP_1) | instid1(VALU_DEP_2)
	v_bfe_u32 v7, v9, 16, 1
	v_cmp_o_f32_e32 vcc_lo, v9, v9
	v_add3_u32 v7, v9, v7, 0x7fff
	s_delay_alu instid0(VALU_DEP_1) | instskip(NEXT) | instid1(VALU_DEP_1)
	v_lshrrev_b32_e32 v7, 16, v7
	v_cndmask_b32_e32 v12, 0x7fc0, v7, vcc_lo
.LBB175_3502:
	s_mov_b32 s8, -1
.LBB175_3503:
	s_mov_b32 s9, 0
.LBB175_3504:
	s_delay_alu instid0(SALU_CYCLE_1)
	s_and_b32 vcc_lo, exec_lo, s9
	s_cbranch_vccz .LBB175_3537
; %bb.3505:
	s_cmp_gt_i32 s16, 22
	s_cbranch_scc0 .LBB175_3515
; %bb.3506:
	s_cmp_lt_i32 s16, 24
	s_cbranch_scc1 .LBB175_3518
; %bb.3507:
	s_cmp_gt_i32 s16, 24
	s_cbranch_scc0 .LBB175_3519
; %bb.3508:
	global_load_u8 v7, v[10:11], off
	s_mov_b32 s8, exec_lo
	s_wait_loadcnt 0x0
	v_cmpx_lt_i16_e32 0x7f, v7
	s_xor_b32 s8, exec_lo, s8
	s_cbranch_execz .LBB175_3531
; %bb.3509:
	s_mov_b32 s7, -1
	s_mov_b32 s9, exec_lo
	v_cmpx_eq_u16_e32 0x80, v7
; %bb.3510:
	s_xor_b32 s7, exec_lo, -1
; %bb.3511:
	s_or_b32 exec_lo, exec_lo, s9
	s_delay_alu instid0(SALU_CYCLE_1)
	s_and_b32 s7, s7, exec_lo
	s_or_saveexec_b32 s8, s8
	v_mov_b32_e32 v9, 0x7f800001
	s_xor_b32 exec_lo, exec_lo, s8
	s_cbranch_execnz .LBB175_3532
.LBB175_3512:
	s_or_b32 exec_lo, exec_lo, s8
	s_and_saveexec_b32 s8, s7
	s_cbranch_execz .LBB175_3514
.LBB175_3513:
	v_and_b32_e32 v9, 0xffff, v7
	s_delay_alu instid0(VALU_DEP_1) | instskip(SKIP_1) | instid1(VALU_DEP_2)
	v_dual_lshlrev_b32 v7, 24, v7 :: v_dual_bitop2_b32 v12, 3, v9 bitop3:0x40
	v_bfe_u32 v17, v9, 2, 5
	v_and_b32_e32 v7, 0x80000000, v7
	s_delay_alu instid0(VALU_DEP_3) | instskip(NEXT) | instid1(VALU_DEP_3)
	v_clz_i32_u32_e32 v13, v12
	v_cmp_eq_u32_e32 vcc_lo, 0, v17
	s_delay_alu instid0(VALU_DEP_2) | instskip(NEXT) | instid1(VALU_DEP_1)
	v_min_u32_e32 v13, 32, v13
	v_subrev_nc_u32_e32 v15, 29, v13
	v_sub_nc_u32_e32 v13, 30, v13
	s_delay_alu instid0(VALU_DEP_2) | instskip(NEXT) | instid1(VALU_DEP_2)
	v_lshlrev_b32_e32 v9, v15, v9
	v_cndmask_b32_e32 v13, v17, v13, vcc_lo
	s_delay_alu instid0(VALU_DEP_2) | instskip(NEXT) | instid1(VALU_DEP_1)
	v_and_b32_e32 v9, 3, v9
	v_cndmask_b32_e32 v9, v12, v9, vcc_lo
	s_delay_alu instid0(VALU_DEP_3) | instskip(NEXT) | instid1(VALU_DEP_2)
	v_lshl_add_u32 v12, v13, 23, 0x37800000
	v_lshlrev_b32_e32 v9, 21, v9
	s_delay_alu instid0(VALU_DEP_1)
	v_or3_b32 v9, v7, v12, v9
.LBB175_3514:
	s_or_b32 exec_lo, exec_lo, s8
	s_delay_alu instid0(VALU_DEP_1) | instskip(SKIP_2) | instid1(VALU_DEP_2)
	v_bfe_u32 v7, v9, 16, 1
	v_cmp_o_f32_e32 vcc_lo, v9, v9
	s_mov_b32 s7, 0
	v_add3_u32 v7, v9, v7, 0x7fff
	s_delay_alu instid0(VALU_DEP_1) | instskip(NEXT) | instid1(VALU_DEP_1)
	v_lshrrev_b32_e32 v7, 16, v7
	v_cndmask_b32_e32 v12, 0x7fc0, v7, vcc_lo
	s_branch .LBB175_3520
.LBB175_3515:
	s_mov_b32 s7, -1
                                        ; implicit-def: $vgpr12
	s_branch .LBB175_3526
.LBB175_3516:
	s_or_saveexec_b32 s9, s9
	v_mov_b32_e32 v9, 0x7f800001
	s_xor_b32 exec_lo, exec_lo, s9
	s_cbranch_execz .LBB175_3499
.LBB175_3517:
	v_cmp_ne_u16_e32 vcc_lo, 0, v7
	v_mov_b32_e32 v9, 0
	s_and_not1_b32 s8, s8, exec_lo
	s_and_b32 s15, vcc_lo, exec_lo
	s_delay_alu instid0(SALU_CYCLE_1)
	s_or_b32 s8, s8, s15
	s_or_b32 exec_lo, exec_lo, s9
	s_and_saveexec_b32 s9, s8
	s_cbranch_execnz .LBB175_3500
	s_branch .LBB175_3501
.LBB175_3518:
	s_mov_b32 s7, -1
                                        ; implicit-def: $vgpr12
	s_branch .LBB175_3523
.LBB175_3519:
	s_mov_b32 s7, -1
                                        ; implicit-def: $vgpr12
.LBB175_3520:
	s_delay_alu instid0(SALU_CYCLE_1)
	s_and_b32 vcc_lo, exec_lo, s7
	s_cbranch_vccz .LBB175_3522
; %bb.3521:
	global_load_u8 v7, v[10:11], off
	s_wait_loadcnt 0x0
	v_lshlrev_b32_e32 v7, 24, v7
	s_delay_alu instid0(VALU_DEP_1) | instskip(SKIP_1) | instid1(VALU_DEP_1)
	v_and_b32_e32 v9, 0x7f000000, v7
	s_wait_xcnt 0x1
	v_clz_i32_u32_e32 v12, v9
	v_add_nc_u32_e32 v15, 0x1000000, v9
	v_cmp_ne_u32_e32 vcc_lo, 0, v9
	s_delay_alu instid0(VALU_DEP_3) | instskip(NEXT) | instid1(VALU_DEP_1)
	v_min_u32_e32 v12, 32, v12
	v_sub_nc_u32_e64 v12, v12, 4 clamp
	s_delay_alu instid0(VALU_DEP_1) | instskip(NEXT) | instid1(VALU_DEP_1)
	v_dual_lshlrev_b32 v13, v12, v9 :: v_dual_lshlrev_b32 v12, 23, v12
	v_lshrrev_b32_e32 v13, 4, v13
	s_delay_alu instid0(VALU_DEP_1) | instskip(NEXT) | instid1(VALU_DEP_1)
	v_dual_sub_nc_u32 v12, v13, v12 :: v_dual_ashrrev_i32 v13, 8, v15
	v_add_nc_u32_e32 v12, 0x3c000000, v12
	s_delay_alu instid0(VALU_DEP_1) | instskip(NEXT) | instid1(VALU_DEP_1)
	v_and_or_b32 v12, 0x7f800000, v13, v12
	v_cndmask_b32_e32 v9, 0, v12, vcc_lo
	s_delay_alu instid0(VALU_DEP_1) | instskip(SKIP_1) | instid1(VALU_DEP_2)
	v_and_or_b32 v7, 0x80000000, v7, v9
	v_bfe_u32 v9, v9, 16, 1
	v_cmp_o_f32_e32 vcc_lo, v7, v7
	s_delay_alu instid0(VALU_DEP_2) | instskip(NEXT) | instid1(VALU_DEP_1)
	v_add3_u32 v9, v7, v9, 0x7fff
	v_lshrrev_b32_e32 v9, 16, v9
	s_delay_alu instid0(VALU_DEP_1)
	v_cndmask_b32_e32 v12, 0x7fc0, v9, vcc_lo
.LBB175_3522:
	s_mov_b32 s7, 0
.LBB175_3523:
	s_delay_alu instid0(SALU_CYCLE_1)
	s_and_not1_b32 vcc_lo, exec_lo, s7
	s_cbranch_vccnz .LBB175_3525
; %bb.3524:
	global_load_u8 v7, v[10:11], off
	s_wait_loadcnt 0x0
	v_lshlrev_b32_e32 v9, 25, v7
	v_lshlrev_b16 v7, 8, v7
	s_wait_xcnt 0x1
	s_delay_alu instid0(VALU_DEP_1) | instskip(SKIP_1) | instid1(VALU_DEP_2)
	v_and_or_b32 v13, 0x7f00, v7, 0.5
	v_bfe_i32 v7, v7, 0, 16
	v_add_f32_e32 v13, -0.5, v13
	v_lshrrev_b32_e32 v12, 4, v9
	v_cmp_gt_u32_e32 vcc_lo, 0x8000000, v9
	s_delay_alu instid0(VALU_DEP_2) | instskip(NEXT) | instid1(VALU_DEP_1)
	v_or_b32_e32 v12, 0x70000000, v12
	v_mul_f32_e32 v12, 0x7800000, v12
	s_delay_alu instid0(VALU_DEP_1) | instskip(NEXT) | instid1(VALU_DEP_1)
	v_cndmask_b32_e32 v9, v12, v13, vcc_lo
	v_and_or_b32 v7, 0x80000000, v7, v9
	v_bfe_u32 v9, v9, 16, 1
	s_delay_alu instid0(VALU_DEP_2) | instskip(NEXT) | instid1(VALU_DEP_2)
	v_cmp_o_f32_e32 vcc_lo, v7, v7
	v_add3_u32 v9, v7, v9, 0x7fff
	s_delay_alu instid0(VALU_DEP_1) | instskip(NEXT) | instid1(VALU_DEP_1)
	v_lshrrev_b32_e32 v9, 16, v9
	v_cndmask_b32_e32 v12, 0x7fc0, v9, vcc_lo
.LBB175_3525:
	s_mov_b32 s7, 0
	s_mov_b32 s8, -1
.LBB175_3526:
	s_and_not1_b32 vcc_lo, exec_lo, s7
	s_mov_b32 s7, 0
	s_cbranch_vccnz .LBB175_3537
; %bb.3527:
	s_cmp_gt_i32 s16, 14
	s_cbranch_scc0 .LBB175_3530
; %bb.3528:
	s_cmp_eq_u32 s16, 15
	s_cbranch_scc0 .LBB175_3533
; %bb.3529:
	s_wait_loadcnt 0x0
	global_load_u16 v12, v[10:11], off
	s_mov_b32 s6, 0
	s_mov_b32 s8, -1
	s_branch .LBB175_3535
.LBB175_3530:
	s_mov_b32 s7, -1
	s_branch .LBB175_3534
.LBB175_3531:
	s_or_saveexec_b32 s8, s8
	v_mov_b32_e32 v9, 0x7f800001
	s_xor_b32 exec_lo, exec_lo, s8
	s_cbranch_execz .LBB175_3512
.LBB175_3532:
	v_cmp_ne_u16_e32 vcc_lo, 0, v7
	v_mov_b32_e32 v9, 0
	s_and_not1_b32 s7, s7, exec_lo
	s_and_b32 s9, vcc_lo, exec_lo
	s_delay_alu instid0(SALU_CYCLE_1)
	s_or_b32 s7, s7, s9
	s_or_b32 exec_lo, exec_lo, s8
	s_and_saveexec_b32 s8, s7
	s_cbranch_execnz .LBB175_3513
	s_branch .LBB175_3514
.LBB175_3533:
	s_mov_b32 s6, -1
.LBB175_3534:
                                        ; implicit-def: $vgpr12
.LBB175_3535:
	s_and_b32 vcc_lo, exec_lo, s7
	s_mov_b32 s7, 0
	s_cbranch_vccz .LBB175_3537
; %bb.3536:
	s_cmp_lg_u32 s16, 11
	s_mov_b32 s7, -1
	s_cselect_b32 s6, -1, 0
.LBB175_3537:
	s_delay_alu instid0(SALU_CYCLE_1)
	s_and_b32 vcc_lo, exec_lo, s6
	s_cbranch_vccnz .LBB175_3602
; %bb.3538:
	s_and_not1_b32 vcc_lo, exec_lo, s7
	s_cbranch_vccnz .LBB175_3540
.LBB175_3539:
	global_load_u8 v7, v[10:11], off
	s_mov_b32 s8, -1
	s_wait_loadcnt 0x0
	v_cmp_ne_u16_e32 vcc_lo, 0, v7
	v_cndmask_b32_e64 v7, 0, 1.0, vcc_lo
	s_wait_xcnt 0x1
	s_delay_alu instid0(VALU_DEP_1)
	v_lshrrev_b32_e32 v12, 16, v7
.LBB175_3540:
	s_mov_b32 s6, 0
.LBB175_3541:
	s_delay_alu instid0(SALU_CYCLE_1)
	s_and_b32 vcc_lo, exec_lo, s6
	s_cbranch_vccz .LBB175_3590
; %bb.3542:
	s_cmp_lt_i32 s16, 5
	s_cbranch_scc1 .LBB175_3547
; %bb.3543:
	s_cmp_lt_i32 s16, 8
	s_cbranch_scc1 .LBB175_3548
	;; [unrolled: 3-line block ×3, first 2 shown]
; %bb.3545:
	s_cmp_gt_i32 s16, 9
	s_cbranch_scc0 .LBB175_3550
; %bb.3546:
	s_wait_loadcnt 0x0
	global_load_b64 v[12:13], v[10:11], off
	s_mov_b32 s6, 0
	s_wait_loadcnt 0x0
	v_cvt_f32_f64_e32 v7, v[12:13]
	s_delay_alu instid0(VALU_DEP_1) | instskip(SKIP_1) | instid1(VALU_DEP_2)
	v_bfe_u32 v9, v7, 16, 1
	v_cmp_o_f32_e32 vcc_lo, v7, v7
	v_add3_u32 v9, v7, v9, 0x7fff
	s_delay_alu instid0(VALU_DEP_1) | instskip(NEXT) | instid1(VALU_DEP_1)
	v_lshrrev_b32_e32 v9, 16, v9
	v_cndmask_b32_e32 v12, 0x7fc0, v9, vcc_lo
	s_branch .LBB175_3551
.LBB175_3547:
	s_mov_b32 s6, -1
                                        ; implicit-def: $vgpr12
	s_branch .LBB175_3569
.LBB175_3548:
	s_mov_b32 s6, -1
                                        ; implicit-def: $vgpr12
	s_branch .LBB175_3557
.LBB175_3549:
	s_mov_b32 s6, -1
                                        ; implicit-def: $vgpr12
	s_branch .LBB175_3554
.LBB175_3550:
	s_mov_b32 s6, -1
                                        ; implicit-def: $vgpr12
.LBB175_3551:
	s_delay_alu instid0(SALU_CYCLE_1)
	s_and_not1_b32 vcc_lo, exec_lo, s6
	s_cbranch_vccnz .LBB175_3553
; %bb.3552:
	global_load_b32 v7, v[10:11], off
	s_wait_loadcnt 0x0
	v_bfe_u32 v9, v7, 16, 1
	v_cmp_o_f32_e32 vcc_lo, v7, v7
	s_delay_alu instid0(VALU_DEP_2) | instskip(NEXT) | instid1(VALU_DEP_1)
	v_add3_u32 v9, v7, v9, 0x7fff
	v_lshrrev_b32_e32 v9, 16, v9
	s_wait_xcnt 0x1
	s_delay_alu instid0(VALU_DEP_1)
	v_cndmask_b32_e32 v12, 0x7fc0, v9, vcc_lo
.LBB175_3553:
	s_mov_b32 s6, 0
.LBB175_3554:
	s_delay_alu instid0(SALU_CYCLE_1)
	s_and_not1_b32 vcc_lo, exec_lo, s6
	s_cbranch_vccnz .LBB175_3556
; %bb.3555:
	global_load_b32 v7, v[10:11], off
	s_wait_loadcnt 0x0
	v_cvt_f32_f16_e32 v9, v7
	v_cmp_o_f16_e32 vcc_lo, v7, v7
	s_wait_xcnt 0x1
	s_delay_alu instid0(VALU_DEP_2) | instskip(NEXT) | instid1(VALU_DEP_1)
	v_bfe_u32 v12, v9, 16, 1
	v_add3_u32 v9, v9, v12, 0x7fff
	s_delay_alu instid0(VALU_DEP_1) | instskip(NEXT) | instid1(VALU_DEP_1)
	v_lshrrev_b32_e32 v9, 16, v9
	v_cndmask_b32_e32 v12, 0x7fc0, v9, vcc_lo
.LBB175_3556:
	s_mov_b32 s6, 0
.LBB175_3557:
	s_delay_alu instid0(SALU_CYCLE_1)
	s_and_not1_b32 vcc_lo, exec_lo, s6
	s_cbranch_vccnz .LBB175_3568
; %bb.3558:
	s_cmp_lt_i32 s16, 6
	s_cbranch_scc1 .LBB175_3561
; %bb.3559:
	s_cmp_gt_i32 s16, 6
	s_cbranch_scc0 .LBB175_3562
; %bb.3560:
	s_wait_loadcnt 0x0
	global_load_b64 v[12:13], v[10:11], off
	s_mov_b32 s6, 0
	s_wait_loadcnt 0x0
	v_cvt_f32_f64_e32 v7, v[12:13]
	s_delay_alu instid0(VALU_DEP_1) | instskip(SKIP_1) | instid1(VALU_DEP_2)
	v_bfe_u32 v9, v7, 16, 1
	v_cmp_o_f32_e32 vcc_lo, v7, v7
	v_add3_u32 v9, v7, v9, 0x7fff
	s_delay_alu instid0(VALU_DEP_1) | instskip(NEXT) | instid1(VALU_DEP_1)
	v_lshrrev_b32_e32 v9, 16, v9
	v_cndmask_b32_e32 v12, 0x7fc0, v9, vcc_lo
	s_branch .LBB175_3563
.LBB175_3561:
	s_mov_b32 s6, -1
                                        ; implicit-def: $vgpr12
	s_branch .LBB175_3566
.LBB175_3562:
	s_mov_b32 s6, -1
                                        ; implicit-def: $vgpr12
.LBB175_3563:
	s_delay_alu instid0(SALU_CYCLE_1)
	s_and_not1_b32 vcc_lo, exec_lo, s6
	s_cbranch_vccnz .LBB175_3565
; %bb.3564:
	global_load_b32 v7, v[10:11], off
	s_wait_loadcnt 0x0
	v_bfe_u32 v9, v7, 16, 1
	v_cmp_o_f32_e32 vcc_lo, v7, v7
	s_delay_alu instid0(VALU_DEP_2) | instskip(NEXT) | instid1(VALU_DEP_1)
	v_add3_u32 v9, v7, v9, 0x7fff
	v_lshrrev_b32_e32 v9, 16, v9
	s_wait_xcnt 0x1
	s_delay_alu instid0(VALU_DEP_1)
	v_cndmask_b32_e32 v12, 0x7fc0, v9, vcc_lo
.LBB175_3565:
	s_mov_b32 s6, 0
.LBB175_3566:
	s_delay_alu instid0(SALU_CYCLE_1)
	s_and_not1_b32 vcc_lo, exec_lo, s6
	s_cbranch_vccnz .LBB175_3568
; %bb.3567:
	global_load_u16 v7, v[10:11], off
	s_wait_loadcnt 0x0
	v_cvt_f32_f16_e32 v9, v7
	v_cmp_o_f16_e32 vcc_lo, v7, v7
	s_wait_xcnt 0x1
	s_delay_alu instid0(VALU_DEP_2) | instskip(NEXT) | instid1(VALU_DEP_1)
	v_bfe_u32 v12, v9, 16, 1
	v_add3_u32 v9, v9, v12, 0x7fff
	s_delay_alu instid0(VALU_DEP_1) | instskip(NEXT) | instid1(VALU_DEP_1)
	v_lshrrev_b32_e32 v9, 16, v9
	v_cndmask_b32_e32 v12, 0x7fc0, v9, vcc_lo
.LBB175_3568:
	s_mov_b32 s6, 0
.LBB175_3569:
	s_delay_alu instid0(SALU_CYCLE_1)
	s_and_not1_b32 vcc_lo, exec_lo, s6
	s_cbranch_vccnz .LBB175_3589
; %bb.3570:
	s_cmp_lt_i32 s16, 2
	s_cbranch_scc1 .LBB175_3574
; %bb.3571:
	s_cmp_lt_i32 s16, 3
	s_cbranch_scc1 .LBB175_3575
; %bb.3572:
	s_cmp_gt_i32 s16, 3
	s_cbranch_scc0 .LBB175_3576
; %bb.3573:
	s_wait_loadcnt 0x0
	global_load_b64 v[12:13], v[10:11], off
	s_mov_b32 s6, 0
	s_wait_loadcnt 0x0
	v_xor_b32_e32 v7, v12, v13
	v_cls_i32_e32 v9, v13
	s_delay_alu instid0(VALU_DEP_2) | instskip(NEXT) | instid1(VALU_DEP_1)
	v_ashrrev_i32_e32 v7, 31, v7
	v_add_nc_u32_e32 v7, 32, v7
	s_delay_alu instid0(VALU_DEP_1) | instskip(NEXT) | instid1(VALU_DEP_1)
	v_add_min_u32_e64 v7, v9, -1, v7
	v_lshlrev_b64_e32 v[12:13], v7, v[12:13]
	v_sub_nc_u32_e32 v7, 32, v7
	s_delay_alu instid0(VALU_DEP_2) | instskip(NEXT) | instid1(VALU_DEP_1)
	v_min_u32_e32 v9, 1, v12
	v_or_b32_e32 v9, v13, v9
	s_delay_alu instid0(VALU_DEP_1) | instskip(NEXT) | instid1(VALU_DEP_1)
	v_cvt_f32_i32_e32 v9, v9
	v_ldexp_f32 v7, v9, v7
	s_delay_alu instid0(VALU_DEP_1) | instskip(NEXT) | instid1(VALU_DEP_1)
	v_bfe_u32 v9, v7, 16, 1
	v_add3_u32 v7, v7, v9, 0x7fff
	s_delay_alu instid0(VALU_DEP_1)
	v_lshrrev_b32_e32 v12, 16, v7
	s_branch .LBB175_3577
.LBB175_3574:
	s_mov_b32 s6, -1
                                        ; implicit-def: $vgpr12
	s_branch .LBB175_3583
.LBB175_3575:
	s_mov_b32 s6, -1
                                        ; implicit-def: $vgpr12
	s_branch .LBB175_3580
.LBB175_3576:
	s_mov_b32 s6, -1
                                        ; implicit-def: $vgpr12
.LBB175_3577:
	s_delay_alu instid0(SALU_CYCLE_1)
	s_and_not1_b32 vcc_lo, exec_lo, s6
	s_cbranch_vccnz .LBB175_3579
; %bb.3578:
	global_load_b32 v7, v[10:11], off
	s_wait_loadcnt 0x0
	v_cvt_f32_i32_e32 v7, v7
	s_delay_alu instid0(VALU_DEP_1) | instskip(NEXT) | instid1(VALU_DEP_1)
	v_bfe_u32 v9, v7, 16, 1
	v_add3_u32 v7, v7, v9, 0x7fff
	s_wait_xcnt 0x1
	s_delay_alu instid0(VALU_DEP_1)
	v_lshrrev_b32_e32 v12, 16, v7
.LBB175_3579:
	s_mov_b32 s6, 0
.LBB175_3580:
	s_delay_alu instid0(SALU_CYCLE_1)
	s_and_not1_b32 vcc_lo, exec_lo, s6
	s_cbranch_vccnz .LBB175_3582
; %bb.3581:
	global_load_i16 v7, v[10:11], off
	s_wait_loadcnt 0x0
	v_cvt_f32_i32_e32 v7, v7
	s_delay_alu instid0(VALU_DEP_1) | instskip(NEXT) | instid1(VALU_DEP_1)
	v_bfe_u32 v9, v7, 16, 1
	v_add3_u32 v7, v7, v9, 0x7fff
	s_wait_xcnt 0x1
	s_delay_alu instid0(VALU_DEP_1)
	v_lshrrev_b32_e32 v12, 16, v7
.LBB175_3582:
	s_mov_b32 s6, 0
.LBB175_3583:
	s_delay_alu instid0(SALU_CYCLE_1)
	s_and_not1_b32 vcc_lo, exec_lo, s6
	s_cbranch_vccnz .LBB175_3589
; %bb.3584:
	s_cmp_gt_i32 s16, 0
	s_mov_b32 s6, 0
	s_cbranch_scc0 .LBB175_3586
; %bb.3585:
	global_load_i8 v7, v[10:11], off
	s_wait_loadcnt 0x0
	v_cvt_f32_i32_e32 v7, v7
	s_delay_alu instid0(VALU_DEP_1) | instskip(NEXT) | instid1(VALU_DEP_1)
	v_bfe_u32 v9, v7, 16, 1
	v_add3_u32 v7, v7, v9, 0x7fff
	s_wait_xcnt 0x1
	s_delay_alu instid0(VALU_DEP_1)
	v_lshrrev_b32_e32 v12, 16, v7
	s_branch .LBB175_3587
.LBB175_3586:
	s_mov_b32 s6, -1
                                        ; implicit-def: $vgpr12
.LBB175_3587:
	s_delay_alu instid0(SALU_CYCLE_1)
	s_and_not1_b32 vcc_lo, exec_lo, s6
	s_cbranch_vccnz .LBB175_3589
; %bb.3588:
	global_load_u8 v7, v[10:11], off
	s_wait_loadcnt 0x0
	v_cvt_f32_ubyte0_e32 v7, v7
	s_delay_alu instid0(VALU_DEP_1) | instskip(NEXT) | instid1(VALU_DEP_1)
	v_bfe_u32 v9, v7, 16, 1
	v_add3_u32 v7, v7, v9, 0x7fff
	s_wait_xcnt 0x1
	s_delay_alu instid0(VALU_DEP_1)
	v_lshrrev_b32_e32 v12, 16, v7
.LBB175_3589:
	s_mov_b32 s8, -1
.LBB175_3590:
	s_delay_alu instid0(SALU_CYCLE_1)
	s_and_not1_b32 vcc_lo, exec_lo, s8
	s_cbranch_vccnz .LBB175_4155
; %bb.3591:
	v_mov_b32_e32 v9, 0
	s_cmp_lt_i32 s17, 11
	s_delay_alu instid0(VALU_DEP_1)
	v_add_nc_u64_e32 v[8:9], s[10:11], v[8:9]
	s_cbranch_scc1 .LBB175_3598
; %bb.3592:
	s_cmp_gt_i32 s17, 25
	s_mov_b32 s7, 0
	s_cbranch_scc0 .LBB175_3599
; %bb.3593:
	s_cmp_gt_i32 s17, 28
	s_cbranch_scc0 .LBB175_3600
; %bb.3594:
	s_cmp_gt_i32 s17, 43
	;; [unrolled: 3-line block ×3, first 2 shown]
	s_cbranch_scc0 .LBB175_3603
; %bb.3596:
	s_cmp_eq_u32 s17, 46
	s_mov_b32 s9, 0
	s_cbranch_scc0 .LBB175_3604
; %bb.3597:
	global_load_b32 v10, v[8:9], off
	s_mov_b32 s6, 0
	s_mov_b32 s8, -1
	s_branch .LBB175_3606
.LBB175_3598:
	s_mov_b32 s6, -1
	s_mov_b32 s8, 0
                                        ; implicit-def: $vgpr10
	s_branch .LBB175_3672
.LBB175_3599:
	s_mov_b32 s9, -1
	s_mov_b32 s8, 0
	s_mov_b32 s6, 0
                                        ; implicit-def: $vgpr10
	s_branch .LBB175_3635
.LBB175_3600:
	s_mov_b32 s9, -1
	s_mov_b32 s8, 0
	s_mov_b32 s6, 0
                                        ; implicit-def: $vgpr10
	s_branch .LBB175_3616
.LBB175_3601:
	s_mov_b32 s9, -1
	s_mov_b32 s8, 0
	s_mov_b32 s6, 0
                                        ; implicit-def: $vgpr10
	s_branch .LBB175_3611
.LBB175_3602:
	s_or_b32 s1, s1, exec_lo
	s_trap 2
	s_cbranch_execz .LBB175_3539
	s_branch .LBB175_3540
.LBB175_3603:
	s_mov_b32 s9, -1
	s_mov_b32 s8, 0
	s_mov_b32 s6, 0
	s_branch .LBB175_3605
.LBB175_3604:
	s_mov_b32 s6, -1
	s_mov_b32 s8, 0
.LBB175_3605:
                                        ; implicit-def: $vgpr10
.LBB175_3606:
	s_and_b32 vcc_lo, exec_lo, s9
	s_cbranch_vccz .LBB175_3610
; %bb.3607:
	s_cmp_eq_u32 s17, 44
	s_cbranch_scc0 .LBB175_3609
; %bb.3608:
	global_load_u8 v7, v[8:9], off
	s_mov_b32 s6, 0
	s_mov_b32 s8, -1
	s_wait_loadcnt 0x0
	s_wait_xcnt 0x1
	v_lshlrev_b32_e32 v10, 23, v7
	v_cmp_ne_u32_e32 vcc_lo, 0xff, v7
	s_delay_alu instid0(VALU_DEP_2) | instskip(SKIP_1) | instid1(VALU_DEP_2)
	v_cndmask_b32_e32 v10, 0x7f800001, v10, vcc_lo
	v_cmp_ne_u32_e32 vcc_lo, 0, v7
	v_cndmask_b32_e32 v7, 0x400000, v10, vcc_lo
	s_delay_alu instid0(VALU_DEP_1) | instskip(NEXT) | instid1(VALU_DEP_1)
	v_add_nc_u32_e32 v10, 0x7fff, v7
	v_lshrrev_b32_e32 v10, 16, v10
	v_cmp_o_f32_e32 vcc_lo, v7, v7
	s_delay_alu instid0(VALU_DEP_2)
	v_cndmask_b32_e32 v10, 0x7fc0, v10, vcc_lo
	s_branch .LBB175_3610
.LBB175_3609:
	s_mov_b32 s6, -1
                                        ; implicit-def: $vgpr10
.LBB175_3610:
	s_mov_b32 s9, 0
.LBB175_3611:
	s_delay_alu instid0(SALU_CYCLE_1)
	s_and_b32 vcc_lo, exec_lo, s9
	s_cbranch_vccz .LBB175_3615
; %bb.3612:
	s_cmp_eq_u32 s17, 29
	s_cbranch_scc0 .LBB175_3614
; %bb.3613:
	s_wait_loadcnt 0x0
	global_load_b64 v[10:11], v[8:9], off
	s_mov_b32 s6, 0
	s_mov_b32 s8, -1
	s_mov_b32 s9, 0
	s_wait_loadcnt 0x0
	v_clz_i32_u32_e32 v7, v11
	s_delay_alu instid0(VALU_DEP_1) | instskip(NEXT) | instid1(VALU_DEP_1)
	v_min_u32_e32 v7, 32, v7
	v_lshlrev_b64_e32 v[10:11], v7, v[10:11]
	v_sub_nc_u32_e32 v7, 32, v7
	s_delay_alu instid0(VALU_DEP_2) | instskip(NEXT) | instid1(VALU_DEP_1)
	v_min_u32_e32 v10, 1, v10
	v_or_b32_e32 v10, v11, v10
	s_delay_alu instid0(VALU_DEP_1) | instskip(NEXT) | instid1(VALU_DEP_1)
	v_cvt_f32_u32_e32 v10, v10
	v_ldexp_f32 v7, v10, v7
	s_delay_alu instid0(VALU_DEP_1) | instskip(NEXT) | instid1(VALU_DEP_1)
	v_bfe_u32 v10, v7, 16, 1
	v_add3_u32 v7, v7, v10, 0x7fff
	s_delay_alu instid0(VALU_DEP_1)
	v_lshrrev_b32_e32 v10, 16, v7
	s_branch .LBB175_3616
.LBB175_3614:
	s_mov_b32 s6, -1
                                        ; implicit-def: $vgpr10
.LBB175_3615:
	s_mov_b32 s9, 0
.LBB175_3616:
	s_delay_alu instid0(SALU_CYCLE_1)
	s_and_b32 vcc_lo, exec_lo, s9
	s_cbranch_vccz .LBB175_3634
; %bb.3617:
	s_cmp_lt_i32 s17, 27
	s_cbranch_scc1 .LBB175_3620
; %bb.3618:
	s_cmp_gt_i32 s17, 27
	s_cbranch_scc0 .LBB175_3621
; %bb.3619:
	global_load_b32 v7, v[8:9], off
	s_mov_b32 s8, 0
	s_wait_loadcnt 0x0
	v_cvt_f32_u32_e32 v7, v7
	s_wait_xcnt 0x1
	s_delay_alu instid0(VALU_DEP_1) | instskip(NEXT) | instid1(VALU_DEP_1)
	v_bfe_u32 v10, v7, 16, 1
	v_add3_u32 v7, v7, v10, 0x7fff
	s_delay_alu instid0(VALU_DEP_1)
	v_lshrrev_b32_e32 v10, 16, v7
	s_branch .LBB175_3622
.LBB175_3620:
	s_mov_b32 s8, -1
                                        ; implicit-def: $vgpr10
	s_branch .LBB175_3625
.LBB175_3621:
	s_mov_b32 s8, -1
                                        ; implicit-def: $vgpr10
.LBB175_3622:
	s_delay_alu instid0(SALU_CYCLE_1)
	s_and_not1_b32 vcc_lo, exec_lo, s8
	s_cbranch_vccnz .LBB175_3624
; %bb.3623:
	global_load_u16 v7, v[8:9], off
	s_wait_loadcnt 0x0
	v_cvt_f32_u32_e32 v7, v7
	s_wait_xcnt 0x1
	s_delay_alu instid0(VALU_DEP_1) | instskip(NEXT) | instid1(VALU_DEP_1)
	v_bfe_u32 v10, v7, 16, 1
	v_add3_u32 v7, v7, v10, 0x7fff
	s_delay_alu instid0(VALU_DEP_1)
	v_lshrrev_b32_e32 v10, 16, v7
.LBB175_3624:
	s_mov_b32 s8, 0
.LBB175_3625:
	s_delay_alu instid0(SALU_CYCLE_1)
	s_and_not1_b32 vcc_lo, exec_lo, s8
	s_cbranch_vccnz .LBB175_3633
; %bb.3626:
	global_load_u8 v7, v[8:9], off
	s_mov_b32 s8, 0
	s_mov_b32 s9, exec_lo
	s_wait_loadcnt 0x0
	v_cmpx_lt_i16_e32 0x7f, v7
	s_xor_b32 s9, exec_lo, s9
	s_cbranch_execz .LBB175_3647
; %bb.3627:
	s_mov_b32 s8, -1
	s_mov_b32 s10, exec_lo
	v_cmpx_eq_u16_e32 0x80, v7
; %bb.3628:
	s_xor_b32 s8, exec_lo, -1
; %bb.3629:
	s_or_b32 exec_lo, exec_lo, s10
	s_delay_alu instid0(SALU_CYCLE_1)
	s_and_b32 s8, s8, exec_lo
	s_or_saveexec_b32 s9, s9
	v_mov_b32_e32 v10, 0x7f800001
	s_xor_b32 exec_lo, exec_lo, s9
	s_cbranch_execnz .LBB175_3648
.LBB175_3630:
	s_or_b32 exec_lo, exec_lo, s9
	s_and_saveexec_b32 s9, s8
	s_cbranch_execz .LBB175_3632
.LBB175_3631:
	v_and_b32_e32 v10, 0xffff, v7
	s_delay_alu instid0(VALU_DEP_1) | instskip(SKIP_1) | instid1(VALU_DEP_2)
	v_and_b32_e32 v11, 7, v10
	v_bfe_u32 v17, v10, 3, 4
	v_clz_i32_u32_e32 v13, v11
	s_delay_alu instid0(VALU_DEP_2) | instskip(NEXT) | instid1(VALU_DEP_2)
	v_cmp_eq_u32_e32 vcc_lo, 0, v17
	v_min_u32_e32 v13, 32, v13
	s_delay_alu instid0(VALU_DEP_1) | instskip(NEXT) | instid1(VALU_DEP_1)
	v_subrev_nc_u32_e32 v15, 28, v13
	v_dual_lshlrev_b32 v10, v15, v10 :: v_dual_sub_nc_u32 v13, 29, v13
	s_delay_alu instid0(VALU_DEP_1) | instskip(NEXT) | instid1(VALU_DEP_1)
	v_dual_lshlrev_b32 v7, 24, v7 :: v_dual_bitop2_b32 v10, 7, v10 bitop3:0x40
	v_dual_cndmask_b32 v13, v17, v13 :: v_dual_cndmask_b32 v10, v11, v10
	s_delay_alu instid0(VALU_DEP_2) | instskip(NEXT) | instid1(VALU_DEP_2)
	v_and_b32_e32 v7, 0x80000000, v7
	v_lshl_add_u32 v11, v13, 23, 0x3b800000
	s_delay_alu instid0(VALU_DEP_3) | instskip(NEXT) | instid1(VALU_DEP_1)
	v_lshlrev_b32_e32 v10, 20, v10
	v_or3_b32 v10, v7, v11, v10
.LBB175_3632:
	s_or_b32 exec_lo, exec_lo, s9
	s_delay_alu instid0(VALU_DEP_1) | instskip(SKIP_1) | instid1(VALU_DEP_2)
	v_bfe_u32 v7, v10, 16, 1
	v_cmp_o_f32_e32 vcc_lo, v10, v10
	v_add3_u32 v7, v10, v7, 0x7fff
	s_delay_alu instid0(VALU_DEP_1) | instskip(NEXT) | instid1(VALU_DEP_1)
	v_lshrrev_b32_e32 v7, 16, v7
	v_cndmask_b32_e32 v10, 0x7fc0, v7, vcc_lo
.LBB175_3633:
	s_mov_b32 s8, -1
.LBB175_3634:
	s_mov_b32 s9, 0
.LBB175_3635:
	s_delay_alu instid0(SALU_CYCLE_1)
	s_and_b32 vcc_lo, exec_lo, s9
	s_cbranch_vccz .LBB175_3668
; %bb.3636:
	s_cmp_gt_i32 s17, 22
	s_cbranch_scc0 .LBB175_3646
; %bb.3637:
	s_cmp_lt_i32 s17, 24
	s_cbranch_scc1 .LBB175_3649
; %bb.3638:
	s_cmp_gt_i32 s17, 24
	s_cbranch_scc0 .LBB175_3650
; %bb.3639:
	global_load_u8 v7, v[8:9], off
	s_mov_b32 s8, exec_lo
	s_wait_loadcnt 0x0
	v_cmpx_lt_i16_e32 0x7f, v7
	s_xor_b32 s8, exec_lo, s8
	s_cbranch_execz .LBB175_3662
; %bb.3640:
	s_mov_b32 s7, -1
	s_mov_b32 s9, exec_lo
	v_cmpx_eq_u16_e32 0x80, v7
; %bb.3641:
	s_xor_b32 s7, exec_lo, -1
; %bb.3642:
	s_or_b32 exec_lo, exec_lo, s9
	s_delay_alu instid0(SALU_CYCLE_1)
	s_and_b32 s7, s7, exec_lo
	s_or_saveexec_b32 s8, s8
	v_mov_b32_e32 v10, 0x7f800001
	s_xor_b32 exec_lo, exec_lo, s8
	s_cbranch_execnz .LBB175_3663
.LBB175_3643:
	s_or_b32 exec_lo, exec_lo, s8
	s_and_saveexec_b32 s8, s7
	s_cbranch_execz .LBB175_3645
.LBB175_3644:
	v_and_b32_e32 v10, 0xffff, v7
	s_delay_alu instid0(VALU_DEP_1) | instskip(SKIP_1) | instid1(VALU_DEP_2)
	v_and_b32_e32 v11, 3, v10
	v_bfe_u32 v17, v10, 2, 5
	v_clz_i32_u32_e32 v13, v11
	s_delay_alu instid0(VALU_DEP_2) | instskip(NEXT) | instid1(VALU_DEP_2)
	v_cmp_eq_u32_e32 vcc_lo, 0, v17
	v_min_u32_e32 v13, 32, v13
	s_delay_alu instid0(VALU_DEP_1) | instskip(NEXT) | instid1(VALU_DEP_1)
	v_subrev_nc_u32_e32 v15, 29, v13
	v_dual_lshlrev_b32 v10, v15, v10 :: v_dual_sub_nc_u32 v13, 30, v13
	s_delay_alu instid0(VALU_DEP_1) | instskip(NEXT) | instid1(VALU_DEP_1)
	v_dual_lshlrev_b32 v7, 24, v7 :: v_dual_bitop2_b32 v10, 3, v10 bitop3:0x40
	v_dual_cndmask_b32 v13, v17, v13 :: v_dual_cndmask_b32 v10, v11, v10
	s_delay_alu instid0(VALU_DEP_2) | instskip(NEXT) | instid1(VALU_DEP_2)
	v_and_b32_e32 v7, 0x80000000, v7
	v_lshl_add_u32 v11, v13, 23, 0x37800000
	s_delay_alu instid0(VALU_DEP_3) | instskip(NEXT) | instid1(VALU_DEP_1)
	v_lshlrev_b32_e32 v10, 21, v10
	v_or3_b32 v10, v7, v11, v10
.LBB175_3645:
	s_or_b32 exec_lo, exec_lo, s8
	s_delay_alu instid0(VALU_DEP_1) | instskip(SKIP_2) | instid1(VALU_DEP_2)
	v_bfe_u32 v7, v10, 16, 1
	v_cmp_o_f32_e32 vcc_lo, v10, v10
	s_mov_b32 s7, 0
	v_add3_u32 v7, v10, v7, 0x7fff
	s_delay_alu instid0(VALU_DEP_1) | instskip(NEXT) | instid1(VALU_DEP_1)
	v_lshrrev_b32_e32 v7, 16, v7
	v_cndmask_b32_e32 v10, 0x7fc0, v7, vcc_lo
	s_branch .LBB175_3651
.LBB175_3646:
	s_mov_b32 s7, -1
                                        ; implicit-def: $vgpr10
	s_branch .LBB175_3657
.LBB175_3647:
	s_or_saveexec_b32 s9, s9
	v_mov_b32_e32 v10, 0x7f800001
	s_xor_b32 exec_lo, exec_lo, s9
	s_cbranch_execz .LBB175_3630
.LBB175_3648:
	v_cmp_ne_u16_e32 vcc_lo, 0, v7
	v_mov_b32_e32 v10, 0
	s_and_not1_b32 s8, s8, exec_lo
	s_and_b32 s10, vcc_lo, exec_lo
	s_delay_alu instid0(SALU_CYCLE_1)
	s_or_b32 s8, s8, s10
	s_or_b32 exec_lo, exec_lo, s9
	s_and_saveexec_b32 s9, s8
	s_cbranch_execnz .LBB175_3631
	s_branch .LBB175_3632
.LBB175_3649:
	s_mov_b32 s7, -1
                                        ; implicit-def: $vgpr10
	s_branch .LBB175_3654
.LBB175_3650:
	s_mov_b32 s7, -1
                                        ; implicit-def: $vgpr10
.LBB175_3651:
	s_delay_alu instid0(SALU_CYCLE_1)
	s_and_b32 vcc_lo, exec_lo, s7
	s_cbranch_vccz .LBB175_3653
; %bb.3652:
	global_load_u8 v7, v[8:9], off
	s_wait_loadcnt 0x0
	v_lshlrev_b32_e32 v7, 24, v7
	s_wait_xcnt 0x1
	s_delay_alu instid0(VALU_DEP_1) | instskip(NEXT) | instid1(VALU_DEP_1)
	v_and_b32_e32 v10, 0x7f000000, v7
	v_clz_i32_u32_e32 v11, v10
	v_cmp_ne_u32_e32 vcc_lo, 0, v10
	v_add_nc_u32_e32 v15, 0x1000000, v10
	s_delay_alu instid0(VALU_DEP_3) | instskip(NEXT) | instid1(VALU_DEP_1)
	v_min_u32_e32 v11, 32, v11
	v_sub_nc_u32_e64 v11, v11, 4 clamp
	s_delay_alu instid0(VALU_DEP_1) | instskip(NEXT) | instid1(VALU_DEP_1)
	v_dual_lshlrev_b32 v13, v11, v10 :: v_dual_lshlrev_b32 v11, 23, v11
	v_lshrrev_b32_e32 v13, 4, v13
	s_delay_alu instid0(VALU_DEP_1) | instskip(SKIP_1) | instid1(VALU_DEP_2)
	v_sub_nc_u32_e32 v11, v13, v11
	v_ashrrev_i32_e32 v13, 8, v15
	v_add_nc_u32_e32 v11, 0x3c000000, v11
	s_delay_alu instid0(VALU_DEP_1) | instskip(NEXT) | instid1(VALU_DEP_1)
	v_and_or_b32 v11, 0x7f800000, v13, v11
	v_cndmask_b32_e32 v10, 0, v11, vcc_lo
	s_delay_alu instid0(VALU_DEP_1) | instskip(SKIP_1) | instid1(VALU_DEP_2)
	v_and_or_b32 v7, 0x80000000, v7, v10
	v_bfe_u32 v10, v10, 16, 1
	v_cmp_o_f32_e32 vcc_lo, v7, v7
	s_delay_alu instid0(VALU_DEP_2) | instskip(NEXT) | instid1(VALU_DEP_1)
	v_add3_u32 v10, v7, v10, 0x7fff
	v_lshrrev_b32_e32 v10, 16, v10
	s_delay_alu instid0(VALU_DEP_1)
	v_cndmask_b32_e32 v10, 0x7fc0, v10, vcc_lo
.LBB175_3653:
	s_mov_b32 s7, 0
.LBB175_3654:
	s_delay_alu instid0(SALU_CYCLE_1)
	s_and_not1_b32 vcc_lo, exec_lo, s7
	s_cbranch_vccnz .LBB175_3656
; %bb.3655:
	global_load_u8 v7, v[8:9], off
	s_wait_loadcnt 0x0
	s_wait_xcnt 0x1
	v_lshlrev_b32_e32 v10, 25, v7
	v_lshlrev_b16 v7, 8, v7
	s_delay_alu instid0(VALU_DEP_1) | instskip(SKIP_1) | instid1(VALU_DEP_2)
	v_and_or_b32 v13, 0x7f00, v7, 0.5
	v_bfe_i32 v7, v7, 0, 16
	v_dual_add_f32 v13, -0.5, v13 :: v_dual_lshrrev_b32 v11, 4, v10
	v_cmp_gt_u32_e32 vcc_lo, 0x8000000, v10
	s_delay_alu instid0(VALU_DEP_2) | instskip(NEXT) | instid1(VALU_DEP_1)
	v_or_b32_e32 v11, 0x70000000, v11
	v_mul_f32_e32 v11, 0x7800000, v11
	s_delay_alu instid0(VALU_DEP_1) | instskip(NEXT) | instid1(VALU_DEP_1)
	v_cndmask_b32_e32 v10, v11, v13, vcc_lo
	v_and_or_b32 v7, 0x80000000, v7, v10
	v_bfe_u32 v10, v10, 16, 1
	s_delay_alu instid0(VALU_DEP_2) | instskip(NEXT) | instid1(VALU_DEP_2)
	v_cmp_o_f32_e32 vcc_lo, v7, v7
	v_add3_u32 v10, v7, v10, 0x7fff
	s_delay_alu instid0(VALU_DEP_1) | instskip(NEXT) | instid1(VALU_DEP_1)
	v_lshrrev_b32_e32 v10, 16, v10
	v_cndmask_b32_e32 v10, 0x7fc0, v10, vcc_lo
.LBB175_3656:
	s_mov_b32 s7, 0
	s_mov_b32 s8, -1
.LBB175_3657:
	s_and_not1_b32 vcc_lo, exec_lo, s7
	s_mov_b32 s7, 0
	s_cbranch_vccnz .LBB175_3668
; %bb.3658:
	s_cmp_gt_i32 s17, 14
	s_cbranch_scc0 .LBB175_3661
; %bb.3659:
	s_cmp_eq_u32 s17, 15
	s_cbranch_scc0 .LBB175_3664
; %bb.3660:
	s_wait_loadcnt 0x0
	global_load_u16 v10, v[8:9], off
	s_mov_b32 s6, 0
	s_mov_b32 s8, -1
	s_branch .LBB175_3666
.LBB175_3661:
	s_mov_b32 s7, -1
	s_branch .LBB175_3665
.LBB175_3662:
	s_or_saveexec_b32 s8, s8
	v_mov_b32_e32 v10, 0x7f800001
	s_xor_b32 exec_lo, exec_lo, s8
	s_cbranch_execz .LBB175_3643
.LBB175_3663:
	v_cmp_ne_u16_e32 vcc_lo, 0, v7
	v_mov_b32_e32 v10, 0
	s_and_not1_b32 s7, s7, exec_lo
	s_and_b32 s9, vcc_lo, exec_lo
	s_delay_alu instid0(SALU_CYCLE_1)
	s_or_b32 s7, s7, s9
	s_or_b32 exec_lo, exec_lo, s8
	s_and_saveexec_b32 s8, s7
	s_cbranch_execnz .LBB175_3644
	s_branch .LBB175_3645
.LBB175_3664:
	s_mov_b32 s6, -1
.LBB175_3665:
                                        ; implicit-def: $vgpr10
.LBB175_3666:
	s_and_b32 vcc_lo, exec_lo, s7
	s_mov_b32 s7, 0
	s_cbranch_vccz .LBB175_3668
; %bb.3667:
	s_cmp_lg_u32 s17, 11
	s_mov_b32 s7, -1
	s_cselect_b32 s6, -1, 0
.LBB175_3668:
	s_delay_alu instid0(SALU_CYCLE_1)
	s_and_b32 vcc_lo, exec_lo, s6
	s_cbranch_vccnz .LBB175_4201
; %bb.3669:
	s_and_not1_b32 vcc_lo, exec_lo, s7
	s_cbranch_vccnz .LBB175_3671
.LBB175_3670:
	global_load_u8 v7, v[8:9], off
	s_mov_b32 s8, -1
	s_wait_loadcnt 0x0
	v_cmp_ne_u16_e32 vcc_lo, 0, v7
	v_cndmask_b32_e64 v7, 0, 1.0, vcc_lo
	s_wait_xcnt 0x1
	s_delay_alu instid0(VALU_DEP_1)
	v_lshrrev_b32_e32 v10, 16, v7
.LBB175_3671:
	s_mov_b32 s6, 0
.LBB175_3672:
	s_delay_alu instid0(SALU_CYCLE_1)
	s_and_b32 vcc_lo, exec_lo, s6
	s_cbranch_vccz .LBB175_3721
; %bb.3673:
	s_cmp_lt_i32 s17, 5
	s_cbranch_scc1 .LBB175_3678
; %bb.3674:
	s_cmp_lt_i32 s17, 8
	s_cbranch_scc1 .LBB175_3679
	;; [unrolled: 3-line block ×3, first 2 shown]
; %bb.3676:
	s_cmp_gt_i32 s17, 9
	s_cbranch_scc0 .LBB175_3681
; %bb.3677:
	s_wait_loadcnt 0x0
	global_load_b64 v[10:11], v[8:9], off
	s_mov_b32 s6, 0
	s_wait_loadcnt 0x0
	v_cvt_f32_f64_e32 v7, v[10:11]
	s_delay_alu instid0(VALU_DEP_1) | instskip(SKIP_1) | instid1(VALU_DEP_2)
	v_bfe_u32 v10, v7, 16, 1
	v_cmp_o_f32_e32 vcc_lo, v7, v7
	v_add3_u32 v10, v7, v10, 0x7fff
	s_delay_alu instid0(VALU_DEP_1) | instskip(NEXT) | instid1(VALU_DEP_1)
	v_lshrrev_b32_e32 v10, 16, v10
	v_cndmask_b32_e32 v10, 0x7fc0, v10, vcc_lo
	s_branch .LBB175_3682
.LBB175_3678:
	s_mov_b32 s6, -1
                                        ; implicit-def: $vgpr10
	s_branch .LBB175_3700
.LBB175_3679:
	s_mov_b32 s6, -1
                                        ; implicit-def: $vgpr10
	s_branch .LBB175_3688
.LBB175_3680:
	s_mov_b32 s6, -1
                                        ; implicit-def: $vgpr10
	s_branch .LBB175_3685
.LBB175_3681:
	s_mov_b32 s6, -1
                                        ; implicit-def: $vgpr10
.LBB175_3682:
	s_delay_alu instid0(SALU_CYCLE_1)
	s_and_not1_b32 vcc_lo, exec_lo, s6
	s_cbranch_vccnz .LBB175_3684
; %bb.3683:
	global_load_b32 v7, v[8:9], off
	s_wait_loadcnt 0x0
	s_wait_xcnt 0x1
	v_bfe_u32 v10, v7, 16, 1
	v_cmp_o_f32_e32 vcc_lo, v7, v7
	s_delay_alu instid0(VALU_DEP_2) | instskip(NEXT) | instid1(VALU_DEP_1)
	v_add3_u32 v10, v7, v10, 0x7fff
	v_lshrrev_b32_e32 v10, 16, v10
	s_delay_alu instid0(VALU_DEP_1)
	v_cndmask_b32_e32 v10, 0x7fc0, v10, vcc_lo
.LBB175_3684:
	s_mov_b32 s6, 0
.LBB175_3685:
	s_delay_alu instid0(SALU_CYCLE_1)
	s_and_not1_b32 vcc_lo, exec_lo, s6
	s_cbranch_vccnz .LBB175_3687
; %bb.3686:
	global_load_b32 v7, v[8:9], off
	s_wait_loadcnt 0x0
	s_wait_xcnt 0x1
	v_cvt_f32_f16_e32 v10, v7
	v_cmp_o_f16_e32 vcc_lo, v7, v7
	s_delay_alu instid0(VALU_DEP_2) | instskip(NEXT) | instid1(VALU_DEP_1)
	v_bfe_u32 v11, v10, 16, 1
	v_add3_u32 v10, v10, v11, 0x7fff
	s_delay_alu instid0(VALU_DEP_1) | instskip(NEXT) | instid1(VALU_DEP_1)
	v_lshrrev_b32_e32 v10, 16, v10
	v_cndmask_b32_e32 v10, 0x7fc0, v10, vcc_lo
.LBB175_3687:
	s_mov_b32 s6, 0
.LBB175_3688:
	s_delay_alu instid0(SALU_CYCLE_1)
	s_and_not1_b32 vcc_lo, exec_lo, s6
	s_cbranch_vccnz .LBB175_3699
; %bb.3689:
	s_cmp_lt_i32 s17, 6
	s_cbranch_scc1 .LBB175_3692
; %bb.3690:
	s_cmp_gt_i32 s17, 6
	s_cbranch_scc0 .LBB175_3693
; %bb.3691:
	s_wait_loadcnt 0x0
	global_load_b64 v[10:11], v[8:9], off
	s_mov_b32 s6, 0
	s_wait_loadcnt 0x0
	v_cvt_f32_f64_e32 v7, v[10:11]
	s_delay_alu instid0(VALU_DEP_1) | instskip(SKIP_1) | instid1(VALU_DEP_2)
	v_bfe_u32 v10, v7, 16, 1
	v_cmp_o_f32_e32 vcc_lo, v7, v7
	v_add3_u32 v10, v7, v10, 0x7fff
	s_delay_alu instid0(VALU_DEP_1) | instskip(NEXT) | instid1(VALU_DEP_1)
	v_lshrrev_b32_e32 v10, 16, v10
	v_cndmask_b32_e32 v10, 0x7fc0, v10, vcc_lo
	s_branch .LBB175_3694
.LBB175_3692:
	s_mov_b32 s6, -1
                                        ; implicit-def: $vgpr10
	s_branch .LBB175_3697
.LBB175_3693:
	s_mov_b32 s6, -1
                                        ; implicit-def: $vgpr10
.LBB175_3694:
	s_delay_alu instid0(SALU_CYCLE_1)
	s_and_not1_b32 vcc_lo, exec_lo, s6
	s_cbranch_vccnz .LBB175_3696
; %bb.3695:
	global_load_b32 v7, v[8:9], off
	s_wait_loadcnt 0x0
	s_wait_xcnt 0x1
	v_bfe_u32 v10, v7, 16, 1
	v_cmp_o_f32_e32 vcc_lo, v7, v7
	s_delay_alu instid0(VALU_DEP_2) | instskip(NEXT) | instid1(VALU_DEP_1)
	v_add3_u32 v10, v7, v10, 0x7fff
	v_lshrrev_b32_e32 v10, 16, v10
	s_delay_alu instid0(VALU_DEP_1)
	v_cndmask_b32_e32 v10, 0x7fc0, v10, vcc_lo
.LBB175_3696:
	s_mov_b32 s6, 0
.LBB175_3697:
	s_delay_alu instid0(SALU_CYCLE_1)
	s_and_not1_b32 vcc_lo, exec_lo, s6
	s_cbranch_vccnz .LBB175_3699
; %bb.3698:
	global_load_u16 v7, v[8:9], off
	s_wait_loadcnt 0x0
	s_wait_xcnt 0x1
	v_cvt_f32_f16_e32 v10, v7
	v_cmp_o_f16_e32 vcc_lo, v7, v7
	s_delay_alu instid0(VALU_DEP_2) | instskip(NEXT) | instid1(VALU_DEP_1)
	v_bfe_u32 v11, v10, 16, 1
	v_add3_u32 v10, v10, v11, 0x7fff
	s_delay_alu instid0(VALU_DEP_1) | instskip(NEXT) | instid1(VALU_DEP_1)
	v_lshrrev_b32_e32 v10, 16, v10
	v_cndmask_b32_e32 v10, 0x7fc0, v10, vcc_lo
.LBB175_3699:
	s_mov_b32 s6, 0
.LBB175_3700:
	s_delay_alu instid0(SALU_CYCLE_1)
	s_and_not1_b32 vcc_lo, exec_lo, s6
	s_cbranch_vccnz .LBB175_3720
; %bb.3701:
	s_cmp_lt_i32 s17, 2
	s_cbranch_scc1 .LBB175_3705
; %bb.3702:
	s_cmp_lt_i32 s17, 3
	s_cbranch_scc1 .LBB175_3706
; %bb.3703:
	s_cmp_gt_i32 s17, 3
	s_cbranch_scc0 .LBB175_3707
; %bb.3704:
	s_wait_loadcnt 0x0
	global_load_b64 v[10:11], v[8:9], off
	s_mov_b32 s6, 0
	s_wait_loadcnt 0x0
	v_xor_b32_e32 v7, v10, v11
	v_cls_i32_e32 v13, v11
	s_delay_alu instid0(VALU_DEP_2) | instskip(NEXT) | instid1(VALU_DEP_1)
	v_ashrrev_i32_e32 v7, 31, v7
	v_add_nc_u32_e32 v7, 32, v7
	s_delay_alu instid0(VALU_DEP_1) | instskip(NEXT) | instid1(VALU_DEP_1)
	v_add_min_u32_e64 v7, v13, -1, v7
	v_lshlrev_b64_e32 v[10:11], v7, v[10:11]
	v_sub_nc_u32_e32 v7, 32, v7
	s_delay_alu instid0(VALU_DEP_2) | instskip(NEXT) | instid1(VALU_DEP_1)
	v_min_u32_e32 v10, 1, v10
	v_or_b32_e32 v10, v11, v10
	s_delay_alu instid0(VALU_DEP_1) | instskip(NEXT) | instid1(VALU_DEP_1)
	v_cvt_f32_i32_e32 v10, v10
	v_ldexp_f32 v7, v10, v7
	s_delay_alu instid0(VALU_DEP_1) | instskip(NEXT) | instid1(VALU_DEP_1)
	v_bfe_u32 v10, v7, 16, 1
	v_add3_u32 v7, v7, v10, 0x7fff
	s_delay_alu instid0(VALU_DEP_1)
	v_lshrrev_b32_e32 v10, 16, v7
	s_branch .LBB175_3708
.LBB175_3705:
	s_mov_b32 s6, -1
                                        ; implicit-def: $vgpr10
	s_branch .LBB175_3714
.LBB175_3706:
	s_mov_b32 s6, -1
                                        ; implicit-def: $vgpr10
	s_branch .LBB175_3711
.LBB175_3707:
	s_mov_b32 s6, -1
                                        ; implicit-def: $vgpr10
.LBB175_3708:
	s_delay_alu instid0(SALU_CYCLE_1)
	s_and_not1_b32 vcc_lo, exec_lo, s6
	s_cbranch_vccnz .LBB175_3710
; %bb.3709:
	global_load_b32 v7, v[8:9], off
	s_wait_loadcnt 0x0
	v_cvt_f32_i32_e32 v7, v7
	s_wait_xcnt 0x1
	s_delay_alu instid0(VALU_DEP_1) | instskip(NEXT) | instid1(VALU_DEP_1)
	v_bfe_u32 v10, v7, 16, 1
	v_add3_u32 v7, v7, v10, 0x7fff
	s_delay_alu instid0(VALU_DEP_1)
	v_lshrrev_b32_e32 v10, 16, v7
.LBB175_3710:
	s_mov_b32 s6, 0
.LBB175_3711:
	s_delay_alu instid0(SALU_CYCLE_1)
	s_and_not1_b32 vcc_lo, exec_lo, s6
	s_cbranch_vccnz .LBB175_3713
; %bb.3712:
	global_load_i16 v7, v[8:9], off
	s_wait_loadcnt 0x0
	v_cvt_f32_i32_e32 v7, v7
	s_wait_xcnt 0x1
	s_delay_alu instid0(VALU_DEP_1) | instskip(NEXT) | instid1(VALU_DEP_1)
	v_bfe_u32 v10, v7, 16, 1
	v_add3_u32 v7, v7, v10, 0x7fff
	s_delay_alu instid0(VALU_DEP_1)
	v_lshrrev_b32_e32 v10, 16, v7
.LBB175_3713:
	s_mov_b32 s6, 0
.LBB175_3714:
	s_delay_alu instid0(SALU_CYCLE_1)
	s_and_not1_b32 vcc_lo, exec_lo, s6
	s_cbranch_vccnz .LBB175_3720
; %bb.3715:
	s_cmp_gt_i32 s17, 0
	s_mov_b32 s6, 0
	s_cbranch_scc0 .LBB175_3717
; %bb.3716:
	global_load_i8 v7, v[8:9], off
	s_wait_loadcnt 0x0
	v_cvt_f32_i32_e32 v7, v7
	s_wait_xcnt 0x1
	s_delay_alu instid0(VALU_DEP_1) | instskip(NEXT) | instid1(VALU_DEP_1)
	v_bfe_u32 v10, v7, 16, 1
	v_add3_u32 v7, v7, v10, 0x7fff
	s_delay_alu instid0(VALU_DEP_1)
	v_lshrrev_b32_e32 v10, 16, v7
	s_branch .LBB175_3718
.LBB175_3717:
	s_mov_b32 s6, -1
                                        ; implicit-def: $vgpr10
.LBB175_3718:
	s_delay_alu instid0(SALU_CYCLE_1)
	s_and_not1_b32 vcc_lo, exec_lo, s6
	s_cbranch_vccnz .LBB175_3720
; %bb.3719:
	global_load_u8 v7, v[8:9], off
	s_wait_loadcnt 0x0
	v_cvt_f32_ubyte0_e32 v7, v7
	s_wait_xcnt 0x0
	s_delay_alu instid0(VALU_DEP_1) | instskip(NEXT) | instid1(VALU_DEP_1)
	v_bfe_u32 v8, v7, 16, 1
	v_add3_u32 v7, v7, v8, 0x7fff
	s_delay_alu instid0(VALU_DEP_1)
	v_lshrrev_b32_e32 v10, 16, v7
.LBB175_3720:
	s_mov_b32 s8, -1
.LBB175_3721:
	s_delay_alu instid0(SALU_CYCLE_1)
	s_and_not1_b32 vcc_lo, exec_lo, s8
	s_cbranch_vccnz .LBB175_4155
; %bb.3722:
	s_wait_loadcnt 0x0
	v_dual_lshlrev_b32 v3, 16, v3 :: v_dual_lshlrev_b32 v9, 16, v5
	s_lshl_b32 s6, s14, 16
	s_lshl_b32 s7, s0, 16
	s_load_b32 s0, s[2:3], 0x1ec
	s_delay_alu instid0(VALU_DEP_1) | instskip(SKIP_1) | instid1(VALU_DEP_2)
	v_dual_mul_f32 v3, s6, v3 :: v_dual_lshlrev_b32 v8, 16, v1
	v_mov_b32_e32 v28, s7
	v_bfe_u32 v7, v3, 16, 1
	v_cmp_o_f32_e32 vcc_lo, v3, v3
	s_delay_alu instid0(VALU_DEP_2) | instskip(NEXT) | instid1(VALU_DEP_1)
	v_add3_u32 v7, v3, v7, 0x7fff
	v_and_b32_e32 v7, 0xffff0000, v7
	s_delay_alu instid0(VALU_DEP_1) | instskip(SKIP_1) | instid1(VALU_DEP_2)
	v_cndmask_b32_e32 v29, 0x7fc00000, v7, vcc_lo
	v_mov_b32_e32 v7, 0
	v_pk_mul_f32 v[8:9], v[28:29], v[8:9]
	s_delay_alu instid0(VALU_DEP_2) | instskip(NEXT) | instid1(VALU_DEP_2)
	v_add_nc_u64_e32 v[6:7], s[4:5], v[6:7]
	v_dual_lshrrev_b32 v1, 16, v9 :: v_dual_lshrrev_b32 v3, 16, v8
	v_cmp_o_f32_e32 vcc_lo, v9, v9
	s_delay_alu instid0(VALU_DEP_2) | instskip(NEXT) | instid1(VALU_DEP_3)
	v_and_b32_e32 v1, 1, v1
	v_and_b32_e32 v3, 1, v3
	s_delay_alu instid0(VALU_DEP_2) | instskip(NEXT) | instid1(VALU_DEP_2)
	v_add3_u32 v1, v9, v1, 0x7fff
	v_add3_u32 v3, v8, v3, 0x7fff
	s_delay_alu instid0(VALU_DEP_2) | instskip(NEXT) | instid1(VALU_DEP_2)
	v_and_b32_e32 v1, 0xffff0000, v1
	v_and_b32_e32 v3, 0xffff0000, v3
	s_delay_alu instid0(VALU_DEP_2) | instskip(SKIP_1) | instid1(VALU_DEP_3)
	v_cndmask_b32_e32 v1, 0x7fc00000, v1, vcc_lo
	v_cmp_o_f32_e32 vcc_lo, v8, v8
	v_cndmask_b32_e32 v3, 0x7fc00000, v3, vcc_lo
	s_delay_alu instid0(VALU_DEP_1) | instskip(NEXT) | instid1(VALU_DEP_1)
	v_add_f32_e32 v3, v3, v1
	v_bfe_u32 v1, v3, 16, 1
	s_delay_alu instid0(VALU_DEP_1) | instskip(NEXT) | instid1(VALU_DEP_1)
	v_add3_u32 v1, v3, v1, 0x7fff
	v_lshrrev_b32_e32 v5, 16, v1
	v_cmp_o_f32_e32 vcc_lo, v3, v3
	v_mov_b32_e32 v1, s6
	s_wait_kmcnt 0x0
	s_and_b32 s6, s0, 0xff
	s_delay_alu instid0(SALU_CYCLE_1)
	s_cmp_lt_i32 s6, 11
	v_cndmask_b32_e32 v3, 0x7fc0, v5, vcc_lo
	s_cbranch_scc1 .LBB175_3800
; %bb.3723:
	s_and_b32 s2, 0xffff, s6
	s_mov_b32 s9, -1
	s_mov_b32 s3, 0
	s_cmp_gt_i32 s2, 25
	s_mov_b32 s8, 0
	s_mov_b32 s0, 0
	s_cbranch_scc0 .LBB175_3756
; %bb.3724:
	s_cmp_gt_i32 s2, 28
	s_cbranch_scc0 .LBB175_3739
; %bb.3725:
	s_cmp_gt_i32 s2, 43
	s_cbranch_scc0 .LBB175_3735
; %bb.3726:
	s_cmp_gt_i32 s2, 45
	s_cbranch_scc0 .LBB175_3729
; %bb.3727:
	s_mov_b32 s0, -1
	s_mov_b32 s9, 0
	s_cmp_eq_u32 s2, 46
	s_cbranch_scc0 .LBB175_3729
; %bb.3728:
	v_and_b32_e32 v5, 0xffff, v3
	s_mov_b32 s0, 0
	s_mov_b32 s8, -1
	global_store_b32 v[6:7], v5, off
.LBB175_3729:
	s_and_b32 vcc_lo, exec_lo, s9
	s_cbranch_vccz .LBB175_3734
; %bb.3730:
	s_cmp_eq_u32 s2, 44
	s_mov_b32 s0, -1
	s_cbranch_scc0 .LBB175_3734
; %bb.3731:
	s_wait_xcnt 0x0
	v_and_b32_e32 v5, 0xffff, v3
	v_mov_b32_e32 v8, 0xff
	s_mov_b32 s8, exec_lo
	s_delay_alu instid0(VALU_DEP_2) | instskip(NEXT) | instid1(VALU_DEP_1)
	v_bfe_u32 v9, v5, 7, 8
	v_cmpx_ne_u32_e32 0xff, v9
	s_cbranch_execz .LBB175_3733
; %bb.3732:
	v_dual_lshlrev_b32 v8, 16, v5 :: v_dual_bitop2_b32 v11, 64, v5 bitop3:0x40
	v_lshrrev_b32_e32 v5, 7, v5
	s_delay_alu instid0(VALU_DEP_2) | instskip(NEXT) | instid1(VALU_DEP_3)
	v_and_or_b32 v8, 0x3f0000, v8, v9
	v_cmp_ne_u32_e32 vcc_lo, 0, v11
	s_delay_alu instid0(VALU_DEP_2) | instskip(SKIP_1) | instid1(SALU_CYCLE_1)
	v_cmp_ne_u32_e64 s0, 0, v8
	s_and_b32 s0, vcc_lo, s0
	v_cndmask_b32_e64 v8, 0, 1, s0
	s_delay_alu instid0(VALU_DEP_1)
	v_add_nc_u32_e32 v8, v5, v8
.LBB175_3733:
	s_or_b32 exec_lo, exec_lo, s8
	s_mov_b32 s0, 0
	s_mov_b32 s8, -1
	global_store_b8 v[6:7], v8, off
.LBB175_3734:
	s_mov_b32 s9, 0
.LBB175_3735:
	s_delay_alu instid0(SALU_CYCLE_1)
	s_and_b32 vcc_lo, exec_lo, s9
	s_cbranch_vccz .LBB175_3738
; %bb.3736:
	s_cmp_eq_u32 s2, 29
	s_mov_b32 s0, -1
	s_cbranch_scc0 .LBB175_3738
; %bb.3737:
	s_wait_xcnt 0x0
	v_lshlrev_b32_e32 v5, 16, v3
	s_mov_b32 s0, 0
	s_mov_b32 s8, -1
	s_delay_alu instid0(VALU_DEP_1) | instskip(NEXT) | instid1(VALU_DEP_1)
	v_trunc_f32_e32 v5, v5
	v_mul_f32_e32 v8, 0x2f800000, v5
	s_delay_alu instid0(VALU_DEP_1) | instskip(NEXT) | instid1(VALU_DEP_1)
	v_floor_f32_e32 v8, v8
	v_fmamk_f32 v5, v8, 0xcf800000, v5
	v_cvt_u32_f32_e32 v9, v8
	s_delay_alu instid0(VALU_DEP_2)
	v_cvt_u32_f32_e32 v8, v5
	global_store_b64 v[6:7], v[8:9], off
.LBB175_3738:
	s_mov_b32 s9, 0
.LBB175_3739:
	s_delay_alu instid0(SALU_CYCLE_1)
	s_and_b32 vcc_lo, exec_lo, s9
	s_cbranch_vccz .LBB175_3755
; %bb.3740:
	s_cmp_lt_i32 s2, 27
	s_mov_b32 s8, -1
	s_cbranch_scc1 .LBB175_3746
; %bb.3741:
	s_cmp_gt_i32 s2, 27
	s_cbranch_scc0 .LBB175_3743
; %bb.3742:
	s_wait_xcnt 0x0
	v_lshlrev_b32_e32 v5, 16, v3
	s_mov_b32 s8, 0
	s_delay_alu instid0(VALU_DEP_1)
	v_cvt_u32_f32_e32 v5, v5
	global_store_b32 v[6:7], v5, off
.LBB175_3743:
	s_and_not1_b32 vcc_lo, exec_lo, s8
	s_cbranch_vccnz .LBB175_3745
; %bb.3744:
	s_wait_xcnt 0x0
	v_lshlrev_b32_e32 v5, 16, v3
	s_delay_alu instid0(VALU_DEP_1)
	v_cvt_u32_f32_e32 v5, v5
	global_store_b16 v[6:7], v5, off
.LBB175_3745:
	s_mov_b32 s8, 0
.LBB175_3746:
	s_delay_alu instid0(SALU_CYCLE_1)
	s_and_not1_b32 vcc_lo, exec_lo, s8
	s_cbranch_vccnz .LBB175_3754
; %bb.3747:
	s_wait_xcnt 0x0
	v_lshlrev_b32_e32 v9, 16, v3
	v_mov_b32_e32 v11, 0x80
	s_mov_b32 s8, exec_lo
	s_delay_alu instid0(VALU_DEP_2) | instskip(NEXT) | instid1(VALU_DEP_1)
	v_and_b32_e32 v8, 0x7fffffff, v9
	v_cmpx_gt_u32_e32 0x43800000, v8
	s_cbranch_execz .LBB175_3753
; %bb.3748:
	v_and_b32_e32 v5, 0xffff, v3
	v_cmp_lt_u32_e32 vcc_lo, 0x3bffffff, v8
	s_mov_b32 s9, 0
                                        ; implicit-def: $vgpr8
	s_and_saveexec_b32 s10, vcc_lo
	s_delay_alu instid0(SALU_CYCLE_1)
	s_xor_b32 s10, exec_lo, s10
	s_cbranch_execz .LBB175_4202
; %bb.3749:
	v_bfe_u32 v8, v5, 4, 1
	s_mov_b32 s9, exec_lo
	s_delay_alu instid0(VALU_DEP_1) | instskip(NEXT) | instid1(VALU_DEP_1)
	v_add3_u32 v8, v9, v8, 0x487ffff
                                        ; implicit-def: $vgpr9
	v_lshrrev_b32_e32 v8, 20, v8
	s_and_not1_saveexec_b32 s10, s10
	s_cbranch_execnz .LBB175_4203
.LBB175_3750:
	s_or_b32 exec_lo, exec_lo, s10
	v_mov_b32_e32 v11, 0
	s_and_saveexec_b32 s10, s9
.LBB175_3751:
	v_lshrrev_b32_e32 v5, 8, v5
	s_delay_alu instid0(VALU_DEP_1)
	v_and_or_b32 v11, 0x80, v5, v8
.LBB175_3752:
	s_or_b32 exec_lo, exec_lo, s10
.LBB175_3753:
	s_delay_alu instid0(SALU_CYCLE_1)
	s_or_b32 exec_lo, exec_lo, s8
	global_store_b8 v[6:7], v11, off
.LBB175_3754:
	s_mov_b32 s8, -1
.LBB175_3755:
	s_mov_b32 s9, 0
.LBB175_3756:
	s_delay_alu instid0(SALU_CYCLE_1)
	s_and_b32 vcc_lo, exec_lo, s9
	s_cbranch_vccz .LBB175_3796
; %bb.3757:
	s_cmp_gt_i32 s2, 22
	s_mov_b32 s3, -1
	s_cbranch_scc0 .LBB175_3789
; %bb.3758:
	s_cmp_lt_i32 s2, 24
	s_cbranch_scc1 .LBB175_3778
; %bb.3759:
	s_cmp_gt_i32 s2, 24
	s_cbranch_scc0 .LBB175_3767
; %bb.3760:
	s_wait_xcnt 0x0
	v_lshlrev_b32_e32 v9, 16, v3
	v_mov_b32_e32 v11, 0x80
	s_mov_b32 s3, exec_lo
	s_delay_alu instid0(VALU_DEP_2) | instskip(NEXT) | instid1(VALU_DEP_1)
	v_and_b32_e32 v8, 0x7fffffff, v9
	v_cmpx_gt_u32_e32 0x47800000, v8
	s_cbranch_execz .LBB175_3766
; %bb.3761:
	v_and_b32_e32 v5, 0xffff, v3
	v_cmp_lt_u32_e32 vcc_lo, 0x37ffffff, v8
	s_mov_b32 s8, 0
                                        ; implicit-def: $vgpr8
	s_and_saveexec_b32 s9, vcc_lo
	s_delay_alu instid0(SALU_CYCLE_1)
	s_xor_b32 s9, exec_lo, s9
	s_cbranch_execz .LBB175_4205
; %bb.3762:
	v_bfe_u32 v8, v5, 5, 1
	s_mov_b32 s8, exec_lo
	s_delay_alu instid0(VALU_DEP_1) | instskip(NEXT) | instid1(VALU_DEP_1)
	v_add3_u32 v8, v9, v8, 0x88fffff
                                        ; implicit-def: $vgpr9
	v_lshrrev_b32_e32 v8, 21, v8
	s_and_not1_saveexec_b32 s9, s9
	s_cbranch_execnz .LBB175_4206
.LBB175_3763:
	s_or_b32 exec_lo, exec_lo, s9
	v_mov_b32_e32 v11, 0
	s_and_saveexec_b32 s9, s8
.LBB175_3764:
	v_lshrrev_b32_e32 v5, 8, v5
	s_delay_alu instid0(VALU_DEP_1)
	v_and_or_b32 v11, 0x80, v5, v8
.LBB175_3765:
	s_or_b32 exec_lo, exec_lo, s9
.LBB175_3766:
	s_delay_alu instid0(SALU_CYCLE_1)
	s_or_b32 exec_lo, exec_lo, s3
	s_mov_b32 s3, 0
	global_store_b8 v[6:7], v11, off
.LBB175_3767:
	s_and_b32 vcc_lo, exec_lo, s3
	s_cbranch_vccz .LBB175_3777
; %bb.3768:
	s_wait_xcnt 0x0
	v_lshlrev_b32_e32 v9, 16, v3
	v_and_b32_e32 v5, 0xffff, v3
	s_mov_b32 s3, exec_lo
                                        ; implicit-def: $vgpr8
	s_delay_alu instid0(VALU_DEP_2) | instskip(NEXT) | instid1(VALU_DEP_1)
	v_and_b32_e32 v11, 0x7fffffff, v9
	v_cmpx_gt_u32_e32 0x43f00000, v11
	s_xor_b32 s3, exec_lo, s3
	s_cbranch_execz .LBB175_3774
; %bb.3769:
	s_mov_b32 s8, exec_lo
                                        ; implicit-def: $vgpr8
	v_cmpx_lt_u32_e32 0x3c7fffff, v11
	s_xor_b32 s8, exec_lo, s8
; %bb.3770:
	v_bfe_u32 v8, v5, 4, 1
	s_delay_alu instid0(VALU_DEP_1) | instskip(NEXT) | instid1(VALU_DEP_1)
	v_add3_u32 v8, v9, v8, 0x407ffff
	v_and_b32_e32 v9, 0xff00000, v8
	v_lshrrev_b32_e32 v8, 20, v8
	s_delay_alu instid0(VALU_DEP_2) | instskip(NEXT) | instid1(VALU_DEP_2)
	v_cmp_ne_u32_e32 vcc_lo, 0x7f00000, v9
                                        ; implicit-def: $vgpr9
	v_cndmask_b32_e32 v8, 0x7e, v8, vcc_lo
; %bb.3771:
	s_and_not1_saveexec_b32 s8, s8
; %bb.3772:
	v_add_f32_e64 v8, 0x46800000, |v9|
; %bb.3773:
	s_or_b32 exec_lo, exec_lo, s8
                                        ; implicit-def: $vgpr11
.LBB175_3774:
	s_and_not1_saveexec_b32 s3, s3
; %bb.3775:
	v_mov_b32_e32 v8, 0x7f
	v_cmp_lt_u32_e32 vcc_lo, 0x7f800000, v11
	s_delay_alu instid0(VALU_DEP_2)
	v_cndmask_b32_e32 v8, 0x7e, v8, vcc_lo
; %bb.3776:
	s_or_b32 exec_lo, exec_lo, s3
	v_lshrrev_b32_e32 v5, 8, v5
	s_delay_alu instid0(VALU_DEP_1)
	v_and_or_b32 v5, 0x80, v5, v8
	global_store_b8 v[6:7], v5, off
.LBB175_3777:
	s_mov_b32 s3, 0
.LBB175_3778:
	s_delay_alu instid0(SALU_CYCLE_1)
	s_and_not1_b32 vcc_lo, exec_lo, s3
	s_cbranch_vccnz .LBB175_3788
; %bb.3779:
	s_wait_xcnt 0x0
	v_lshlrev_b32_e32 v9, 16, v3
	v_and_b32_e32 v5, 0xffff, v3
	s_mov_b32 s3, exec_lo
                                        ; implicit-def: $vgpr8
	s_delay_alu instid0(VALU_DEP_2) | instskip(NEXT) | instid1(VALU_DEP_1)
	v_and_b32_e32 v11, 0x7fffffff, v9
	v_cmpx_gt_u32_e32 0x47800000, v11
	s_xor_b32 s3, exec_lo, s3
	s_cbranch_execz .LBB175_3785
; %bb.3780:
	s_mov_b32 s8, exec_lo
                                        ; implicit-def: $vgpr8
	v_cmpx_lt_u32_e32 0x387fffff, v11
	s_xor_b32 s8, exec_lo, s8
; %bb.3781:
	v_bfe_u32 v8, v5, 5, 1
	s_delay_alu instid0(VALU_DEP_1) | instskip(NEXT) | instid1(VALU_DEP_1)
	v_add3_u32 v8, v9, v8, 0x80fffff
                                        ; implicit-def: $vgpr9
	v_lshrrev_b32_e32 v8, 21, v8
; %bb.3782:
	s_and_not1_saveexec_b32 s8, s8
; %bb.3783:
	v_add_f32_e64 v8, 0x43000000, |v9|
; %bb.3784:
	s_or_b32 exec_lo, exec_lo, s8
                                        ; implicit-def: $vgpr11
.LBB175_3785:
	s_and_not1_saveexec_b32 s3, s3
; %bb.3786:
	v_mov_b32_e32 v8, 0x7f
	v_cmp_lt_u32_e32 vcc_lo, 0x7f800000, v11
	s_delay_alu instid0(VALU_DEP_2)
	v_cndmask_b32_e32 v8, 0x7c, v8, vcc_lo
; %bb.3787:
	s_or_b32 exec_lo, exec_lo, s3
	v_lshrrev_b32_e32 v5, 8, v5
	s_delay_alu instid0(VALU_DEP_1)
	v_and_or_b32 v5, 0x80, v5, v8
	global_store_b8 v[6:7], v5, off
.LBB175_3788:
	s_mov_b32 s3, 0
	s_mov_b32 s8, -1
.LBB175_3789:
	s_and_not1_b32 vcc_lo, exec_lo, s3
	s_mov_b32 s3, 0
	s_cbranch_vccnz .LBB175_3796
; %bb.3790:
	s_cmp_gt_i32 s2, 14
	s_mov_b32 s3, -1
	s_cbranch_scc0 .LBB175_3794
; %bb.3791:
	s_cmp_eq_u32 s2, 15
	s_mov_b32 s0, -1
	s_cbranch_scc0 .LBB175_3793
; %bb.3792:
	s_mov_b32 s0, 0
	s_mov_b32 s8, -1
	global_store_b16 v[6:7], v3, off
.LBB175_3793:
	s_mov_b32 s3, 0
.LBB175_3794:
	s_delay_alu instid0(SALU_CYCLE_1)
	s_and_b32 vcc_lo, exec_lo, s3
	s_mov_b32 s3, 0
	s_cbranch_vccz .LBB175_3796
; %bb.3795:
	s_cmp_lg_u32 s2, 11
	s_mov_b32 s3, -1
	s_cselect_b32 s0, -1, 0
.LBB175_3796:
	s_delay_alu instid0(SALU_CYCLE_1)
	s_and_b32 vcc_lo, exec_lo, s0
	s_cbranch_vccnz .LBB175_4204
; %bb.3797:
	s_and_not1_b32 vcc_lo, exec_lo, s3
	s_cbranch_vccnz .LBB175_3799
.LBB175_3798:
	s_wait_xcnt 0x0
	v_and_b32_e32 v5, 0x7fff, v3
	s_mov_b32 s8, -1
	s_delay_alu instid0(VALU_DEP_1)
	v_cmp_ne_u16_e32 vcc_lo, 0, v5
	v_cndmask_b32_e64 v5, 0, 1, vcc_lo
	global_store_b8 v[6:7], v5, off
.LBB175_3799:
	s_mov_b32 s0, 0
	s_branch .LBB175_3801
.LBB175_3800:
	s_mov_b32 s0, -1
	s_mov_b32 s8, 0
.LBB175_3801:
	s_and_b32 vcc_lo, exec_lo, s0
	s_cbranch_vccz .LBB175_3840
; %bb.3802:
	s_and_b32 s0, 0xffff, s6
	s_mov_b32 s2, -1
	s_cmp_lt_i32 s0, 5
	s_cbranch_scc1 .LBB175_3823
; %bb.3803:
	s_cmp_lt_i32 s0, 8
	s_cbranch_scc1 .LBB175_3813
; %bb.3804:
	;; [unrolled: 3-line block ×3, first 2 shown]
	s_cmp_gt_i32 s0, 9
	s_cbranch_scc0 .LBB175_3807
; %bb.3806:
	s_wait_xcnt 0x0
	v_dual_mov_b32 v30, 0 :: v_dual_lshlrev_b32 v5, 16, v3
	s_mov_b32 s2, 0
	s_delay_alu instid0(VALU_DEP_1) | instskip(NEXT) | instid1(VALU_DEP_2)
	v_cvt_f64_f32_e32 v[28:29], v5
	v_mov_b32_e32 v31, v30
	global_store_b128 v[6:7], v[28:31], off
.LBB175_3807:
	s_and_not1_b32 vcc_lo, exec_lo, s2
	s_cbranch_vccnz .LBB175_3809
; %bb.3808:
	s_wait_xcnt 0x0
	v_dual_mov_b32 v9, 0 :: v_dual_lshlrev_b32 v8, 16, v3
	global_store_b64 v[6:7], v[8:9], off
.LBB175_3809:
	s_mov_b32 s2, 0
.LBB175_3810:
	s_delay_alu instid0(SALU_CYCLE_1)
	s_and_not1_b32 vcc_lo, exec_lo, s2
	s_cbranch_vccnz .LBB175_3812
; %bb.3811:
	s_wait_xcnt 0x0
	v_lshlrev_b32_e32 v5, 16, v3
	s_delay_alu instid0(VALU_DEP_1) | instskip(NEXT) | instid1(VALU_DEP_1)
	v_cvt_f16_f32_e32 v5, v5
	v_and_b32_e32 v5, 0xffff, v5
	global_store_b32 v[6:7], v5, off
.LBB175_3812:
	s_mov_b32 s2, 0
.LBB175_3813:
	s_delay_alu instid0(SALU_CYCLE_1)
	s_and_not1_b32 vcc_lo, exec_lo, s2
	s_cbranch_vccnz .LBB175_3822
; %bb.3814:
	s_cmp_lt_i32 s0, 6
	s_mov_b32 s2, -1
	s_cbranch_scc1 .LBB175_3820
; %bb.3815:
	s_cmp_gt_i32 s0, 6
	s_cbranch_scc0 .LBB175_3817
; %bb.3816:
	s_wait_xcnt 0x0
	v_lshlrev_b32_e32 v5, 16, v3
	s_mov_b32 s2, 0
	s_delay_alu instid0(VALU_DEP_1)
	v_cvt_f64_f32_e32 v[8:9], v5
	global_store_b64 v[6:7], v[8:9], off
.LBB175_3817:
	s_and_not1_b32 vcc_lo, exec_lo, s2
	s_cbranch_vccnz .LBB175_3819
; %bb.3818:
	s_wait_xcnt 0x0
	v_lshlrev_b32_e32 v5, 16, v3
	global_store_b32 v[6:7], v5, off
.LBB175_3819:
	s_mov_b32 s2, 0
.LBB175_3820:
	s_delay_alu instid0(SALU_CYCLE_1)
	s_and_not1_b32 vcc_lo, exec_lo, s2
	s_cbranch_vccnz .LBB175_3822
; %bb.3821:
	s_wait_xcnt 0x0
	v_lshlrev_b32_e32 v5, 16, v3
	s_delay_alu instid0(VALU_DEP_1)
	v_cvt_f16_f32_e32 v5, v5
	global_store_b16 v[6:7], v5, off
.LBB175_3822:
	s_mov_b32 s2, 0
.LBB175_3823:
	s_delay_alu instid0(SALU_CYCLE_1)
	s_and_not1_b32 vcc_lo, exec_lo, s2
	s_cbranch_vccnz .LBB175_3839
; %bb.3824:
	s_cmp_lt_i32 s0, 2
	s_mov_b32 s2, -1
	s_cbranch_scc1 .LBB175_3834
; %bb.3825:
	s_cmp_lt_i32 s0, 3
	s_cbranch_scc1 .LBB175_3831
; %bb.3826:
	s_cmp_gt_i32 s0, 3
	s_cbranch_scc0 .LBB175_3828
; %bb.3827:
	s_wait_xcnt 0x0
	v_lshlrev_b32_e32 v5, 16, v3
	s_mov_b32 s2, 0
	s_delay_alu instid0(VALU_DEP_1) | instskip(NEXT) | instid1(VALU_DEP_1)
	v_trunc_f32_e32 v5, v5
	v_mul_f32_e64 v8, 0x2f800000, |v5|
	s_delay_alu instid0(VALU_DEP_1) | instskip(SKIP_1) | instid1(VALU_DEP_2)
	v_floor_f32_e32 v9, v8
	v_ashrrev_i32_e32 v8, 31, v5
	v_fma_f32 v11, 0xcf800000, v9, |v5|
	v_cvt_u32_f32_e32 v5, v9
	s_delay_alu instid0(VALU_DEP_3) | instskip(NEXT) | instid1(VALU_DEP_3)
	v_mov_b32_e32 v9, v8
	v_cvt_u32_f32_e32 v11, v11
	s_delay_alu instid0(VALU_DEP_3) | instskip(NEXT) | instid1(VALU_DEP_2)
	v_xor_b32_e32 v29, v5, v8
	v_xor_b32_e32 v28, v11, v8
	s_delay_alu instid0(VALU_DEP_1)
	v_sub_nc_u64_e32 v[8:9], v[28:29], v[8:9]
	global_store_b64 v[6:7], v[8:9], off
.LBB175_3828:
	s_and_not1_b32 vcc_lo, exec_lo, s2
	s_cbranch_vccnz .LBB175_3830
; %bb.3829:
	s_wait_xcnt 0x0
	v_lshlrev_b32_e32 v5, 16, v3
	s_delay_alu instid0(VALU_DEP_1)
	v_cvt_i32_f32_e32 v5, v5
	global_store_b32 v[6:7], v5, off
.LBB175_3830:
	s_mov_b32 s2, 0
.LBB175_3831:
	s_delay_alu instid0(SALU_CYCLE_1)
	s_and_not1_b32 vcc_lo, exec_lo, s2
	s_cbranch_vccnz .LBB175_3833
; %bb.3832:
	s_wait_xcnt 0x0
	v_lshlrev_b32_e32 v5, 16, v3
	s_delay_alu instid0(VALU_DEP_1)
	v_cvt_i32_f32_e32 v5, v5
	global_store_b16 v[6:7], v5, off
.LBB175_3833:
	s_mov_b32 s2, 0
.LBB175_3834:
	s_delay_alu instid0(SALU_CYCLE_1)
	s_and_not1_b32 vcc_lo, exec_lo, s2
	s_cbranch_vccnz .LBB175_3839
; %bb.3835:
	s_wait_xcnt 0x0
	v_lshlrev_b32_e32 v3, 16, v3
	s_cmp_gt_i32 s0, 0
	s_mov_b32 s0, -1
	s_cbranch_scc0 .LBB175_3837
; %bb.3836:
	s_delay_alu instid0(VALU_DEP_1)
	v_cvt_i32_f32_e32 v5, v3
	s_mov_b32 s0, 0
	global_store_b8 v[6:7], v5, off
.LBB175_3837:
	s_and_not1_b32 vcc_lo, exec_lo, s0
	s_cbranch_vccnz .LBB175_3839
; %bb.3838:
	v_trunc_f32_e32 v3, v3
	s_wait_xcnt 0x0
	s_delay_alu instid0(VALU_DEP_1) | instskip(NEXT) | instid1(VALU_DEP_1)
	v_mul_f32_e64 v5, 0x2f800000, |v3|
	v_floor_f32_e32 v5, v5
	s_delay_alu instid0(VALU_DEP_1) | instskip(SKIP_1) | instid1(VALU_DEP_2)
	v_fma_f32 v5, 0xcf800000, v5, |v3|
	v_ashrrev_i32_e32 v3, 31, v3
	v_cvt_u32_f32_e32 v5, v5
	s_delay_alu instid0(VALU_DEP_1) | instskip(NEXT) | instid1(VALU_DEP_1)
	v_xor_b32_e32 v5, v5, v3
	v_sub_nc_u32_e32 v3, v5, v3
	global_store_b8 v[6:7], v3, off
.LBB175_3839:
	s_mov_b32 s8, -1
.LBB175_3840:
	s_delay_alu instid0(SALU_CYCLE_1)
	s_and_not1_b32 vcc_lo, exec_lo, s8
	s_cbranch_vccnz .LBB175_4155
; %bb.3841:
	s_wait_xcnt 0x0
	v_dual_lshlrev_b32 v3, 16, v24 :: v_dual_lshlrev_b32 v7, 16, v22
	v_mov_b32_e32 v8, s7
	s_and_b32 s2, 0xffff, s6
	s_delay_alu instid0(VALU_DEP_2) | instskip(SKIP_1) | instid1(VALU_DEP_1)
	v_dual_mul_f32 v3, v1, v3 :: v_dual_lshlrev_b32 v6, 16, v26
	s_cmp_lt_i32 s2, 11
	v_bfe_u32 v5, v3, 16, 1
	v_cmp_o_f32_e32 vcc_lo, v3, v3
	s_delay_alu instid0(VALU_DEP_2) | instskip(NEXT) | instid1(VALU_DEP_1)
	v_add3_u32 v5, v3, v5, 0x7fff
	v_and_b32_e32 v5, 0xffff0000, v5
	s_delay_alu instid0(VALU_DEP_1) | instskip(NEXT) | instid1(VALU_DEP_1)
	v_cndmask_b32_e32 v9, 0x7fc00000, v5, vcc_lo
	v_pk_mul_f32 v[6:7], v[8:9], v[6:7]
	s_delay_alu instid0(VALU_DEP_1) | instskip(SKIP_1) | instid1(VALU_DEP_2)
	v_dual_lshrrev_b32 v3, 16, v7 :: v_dual_lshrrev_b32 v5, 16, v6
	v_cmp_o_f32_e32 vcc_lo, v7, v7
	v_and_b32_e32 v3, 1, v3
	s_delay_alu instid0(VALU_DEP_3) | instskip(NEXT) | instid1(VALU_DEP_2)
	v_and_b32_e32 v5, 1, v5
	v_add3_u32 v3, v7, v3, 0x7fff
	s_delay_alu instid0(VALU_DEP_2) | instskip(NEXT) | instid1(VALU_DEP_2)
	v_add3_u32 v5, v6, v5, 0x7fff
	v_and_b32_e32 v3, 0xffff0000, v3
	s_delay_alu instid0(VALU_DEP_2) | instskip(NEXT) | instid1(VALU_DEP_2)
	v_and_b32_e32 v5, 0xffff0000, v5
	v_cndmask_b32_e32 v3, 0x7fc00000, v3, vcc_lo
	v_cmp_o_f32_e32 vcc_lo, v6, v6
	s_delay_alu instid0(VALU_DEP_3) | instskip(NEXT) | instid1(VALU_DEP_1)
	v_cndmask_b32_e32 v5, 0x7fc00000, v5, vcc_lo
	v_add_f32_e32 v3, v5, v3
	s_delay_alu instid0(VALU_DEP_1) | instskip(NEXT) | instid1(VALU_DEP_1)
	v_bfe_u32 v5, v3, 16, 1
	v_add3_u32 v6, v3, v5, 0x7fff
	v_mov_b32_e32 v5, 0
	v_cmp_o_f32_e32 vcc_lo, v3, v3
	s_delay_alu instid0(VALU_DEP_3) | instskip(NEXT) | instid1(VALU_DEP_3)
	v_lshrrev_b32_e32 v6, 16, v6
	v_add_nc_u64_e32 v[4:5], s[4:5], v[4:5]
	s_delay_alu instid0(VALU_DEP_2)
	v_cndmask_b32_e32 v3, 0x7fc0, v6, vcc_lo
	s_cbranch_scc1 .LBB175_3919
; %bb.3842:
	s_mov_b32 s9, -1
	s_mov_b32 s3, 0
	s_cmp_gt_i32 s2, 25
	s_mov_b32 s8, 0
	s_mov_b32 s0, 0
	s_cbranch_scc0 .LBB175_3875
; %bb.3843:
	s_cmp_gt_i32 s2, 28
	s_cbranch_scc0 .LBB175_3858
; %bb.3844:
	s_cmp_gt_i32 s2, 43
	;; [unrolled: 3-line block ×3, first 2 shown]
	s_cbranch_scc0 .LBB175_3848
; %bb.3846:
	s_mov_b32 s0, -1
	s_mov_b32 s9, 0
	s_cmp_eq_u32 s2, 46
	s_cbranch_scc0 .LBB175_3848
; %bb.3847:
	v_and_b32_e32 v6, 0xffff, v3
	s_mov_b32 s0, 0
	s_mov_b32 s8, -1
	global_store_b32 v[4:5], v6, off
.LBB175_3848:
	s_and_b32 vcc_lo, exec_lo, s9
	s_cbranch_vccz .LBB175_3853
; %bb.3849:
	s_cmp_eq_u32 s2, 44
	s_mov_b32 s0, -1
	s_cbranch_scc0 .LBB175_3853
; %bb.3850:
	s_wait_xcnt 0x0
	v_and_b32_e32 v6, 0xffff, v3
	v_mov_b32_e32 v7, 0xff
	s_mov_b32 s8, exec_lo
	s_delay_alu instid0(VALU_DEP_2) | instskip(NEXT) | instid1(VALU_DEP_1)
	v_bfe_u32 v8, v6, 7, 8
	v_cmpx_ne_u32_e32 0xff, v8
	s_cbranch_execz .LBB175_3852
; %bb.3851:
	v_dual_lshlrev_b32 v7, 16, v6 :: v_dual_bitop2_b32 v9, 64, v6 bitop3:0x40
	v_lshrrev_b32_e32 v6, 7, v6
	s_delay_alu instid0(VALU_DEP_2) | instskip(NEXT) | instid1(VALU_DEP_3)
	v_and_or_b32 v7, 0x3f0000, v7, v8
	v_cmp_ne_u32_e32 vcc_lo, 0, v9
	s_delay_alu instid0(VALU_DEP_2) | instskip(SKIP_1) | instid1(SALU_CYCLE_1)
	v_cmp_ne_u32_e64 s0, 0, v7
	s_and_b32 s0, vcc_lo, s0
	v_cndmask_b32_e64 v7, 0, 1, s0
	s_delay_alu instid0(VALU_DEP_1)
	v_add_nc_u32_e32 v7, v6, v7
.LBB175_3852:
	s_or_b32 exec_lo, exec_lo, s8
	s_mov_b32 s0, 0
	s_mov_b32 s8, -1
	global_store_b8 v[4:5], v7, off
.LBB175_3853:
	s_mov_b32 s9, 0
.LBB175_3854:
	s_delay_alu instid0(SALU_CYCLE_1)
	s_and_b32 vcc_lo, exec_lo, s9
	s_cbranch_vccz .LBB175_3857
; %bb.3855:
	s_cmp_eq_u32 s2, 29
	s_mov_b32 s0, -1
	s_cbranch_scc0 .LBB175_3857
; %bb.3856:
	s_wait_xcnt 0x0
	v_lshlrev_b32_e32 v6, 16, v3
	s_mov_b32 s0, 0
	s_mov_b32 s8, -1
	s_delay_alu instid0(VALU_DEP_1) | instskip(NEXT) | instid1(VALU_DEP_1)
	v_trunc_f32_e32 v6, v6
	v_mul_f32_e32 v7, 0x2f800000, v6
	s_delay_alu instid0(VALU_DEP_1) | instskip(NEXT) | instid1(VALU_DEP_1)
	v_floor_f32_e32 v7, v7
	v_fmamk_f32 v6, v7, 0xcf800000, v6
	v_cvt_u32_f32_e32 v7, v7
	s_delay_alu instid0(VALU_DEP_2)
	v_cvt_u32_f32_e32 v6, v6
	global_store_b64 v[4:5], v[6:7], off
.LBB175_3857:
	s_mov_b32 s9, 0
.LBB175_3858:
	s_delay_alu instid0(SALU_CYCLE_1)
	s_and_b32 vcc_lo, exec_lo, s9
	s_cbranch_vccz .LBB175_3874
; %bb.3859:
	s_cmp_lt_i32 s2, 27
	s_mov_b32 s8, -1
	s_cbranch_scc1 .LBB175_3865
; %bb.3860:
	s_cmp_gt_i32 s2, 27
	s_cbranch_scc0 .LBB175_3862
; %bb.3861:
	s_wait_xcnt 0x0
	v_lshlrev_b32_e32 v6, 16, v3
	s_mov_b32 s8, 0
	s_delay_alu instid0(VALU_DEP_1)
	v_cvt_u32_f32_e32 v6, v6
	global_store_b32 v[4:5], v6, off
.LBB175_3862:
	s_and_not1_b32 vcc_lo, exec_lo, s8
	s_cbranch_vccnz .LBB175_3864
; %bb.3863:
	s_wait_xcnt 0x0
	v_lshlrev_b32_e32 v6, 16, v3
	s_delay_alu instid0(VALU_DEP_1)
	v_cvt_u32_f32_e32 v6, v6
	global_store_b16 v[4:5], v6, off
.LBB175_3864:
	s_mov_b32 s8, 0
.LBB175_3865:
	s_delay_alu instid0(SALU_CYCLE_1)
	s_and_not1_b32 vcc_lo, exec_lo, s8
	s_cbranch_vccnz .LBB175_3873
; %bb.3866:
	v_dual_mov_b32 v9, 0x80 :: v_dual_lshlrev_b32 v8, 16, v3
	s_mov_b32 s8, exec_lo
	s_wait_xcnt 0x0
	s_delay_alu instid0(VALU_DEP_1) | instskip(NEXT) | instid1(VALU_DEP_1)
	v_and_b32_e32 v7, 0x7fffffff, v8
	v_cmpx_gt_u32_e32 0x43800000, v7
	s_cbranch_execz .LBB175_3872
; %bb.3867:
	v_and_b32_e32 v6, 0xffff, v3
	v_cmp_lt_u32_e32 vcc_lo, 0x3bffffff, v7
	s_mov_b32 s9, 0
                                        ; implicit-def: $vgpr7
	s_and_saveexec_b32 s10, vcc_lo
	s_delay_alu instid0(SALU_CYCLE_1)
	s_xor_b32 s10, exec_lo, s10
	s_cbranch_execz .LBB175_4207
; %bb.3868:
	v_bfe_u32 v7, v6, 4, 1
	s_mov_b32 s9, exec_lo
	s_delay_alu instid0(VALU_DEP_1) | instskip(NEXT) | instid1(VALU_DEP_1)
	v_add3_u32 v7, v8, v7, 0x487ffff
                                        ; implicit-def: $vgpr8
	v_lshrrev_b32_e32 v7, 20, v7
	s_and_not1_saveexec_b32 s10, s10
	s_cbranch_execnz .LBB175_4208
.LBB175_3869:
	s_or_b32 exec_lo, exec_lo, s10
	v_mov_b32_e32 v9, 0
	s_and_saveexec_b32 s10, s9
.LBB175_3870:
	v_lshrrev_b32_e32 v6, 8, v6
	s_delay_alu instid0(VALU_DEP_1)
	v_and_or_b32 v9, 0x80, v6, v7
.LBB175_3871:
	s_or_b32 exec_lo, exec_lo, s10
.LBB175_3872:
	s_delay_alu instid0(SALU_CYCLE_1)
	s_or_b32 exec_lo, exec_lo, s8
	global_store_b8 v[4:5], v9, off
.LBB175_3873:
	s_mov_b32 s8, -1
.LBB175_3874:
	s_mov_b32 s9, 0
.LBB175_3875:
	s_delay_alu instid0(SALU_CYCLE_1)
	s_and_b32 vcc_lo, exec_lo, s9
	s_cbranch_vccz .LBB175_3915
; %bb.3876:
	s_cmp_gt_i32 s2, 22
	s_mov_b32 s3, -1
	s_cbranch_scc0 .LBB175_3908
; %bb.3877:
	s_cmp_lt_i32 s2, 24
	s_cbranch_scc1 .LBB175_3897
; %bb.3878:
	s_cmp_gt_i32 s2, 24
	s_cbranch_scc0 .LBB175_3886
; %bb.3879:
	s_wait_xcnt 0x0
	v_dual_mov_b32 v9, 0x80 :: v_dual_lshlrev_b32 v8, 16, v3
	s_mov_b32 s3, exec_lo
	s_delay_alu instid0(VALU_DEP_1) | instskip(NEXT) | instid1(VALU_DEP_1)
	v_and_b32_e32 v7, 0x7fffffff, v8
	v_cmpx_gt_u32_e32 0x47800000, v7
	s_cbranch_execz .LBB175_3885
; %bb.3880:
	v_and_b32_e32 v6, 0xffff, v3
	v_cmp_lt_u32_e32 vcc_lo, 0x37ffffff, v7
	s_mov_b32 s8, 0
                                        ; implicit-def: $vgpr7
	s_and_saveexec_b32 s9, vcc_lo
	s_delay_alu instid0(SALU_CYCLE_1)
	s_xor_b32 s9, exec_lo, s9
	s_cbranch_execz .LBB175_4210
; %bb.3881:
	v_bfe_u32 v7, v6, 5, 1
	s_mov_b32 s8, exec_lo
	s_delay_alu instid0(VALU_DEP_1) | instskip(NEXT) | instid1(VALU_DEP_1)
	v_add3_u32 v7, v8, v7, 0x88fffff
                                        ; implicit-def: $vgpr8
	v_lshrrev_b32_e32 v7, 21, v7
	s_and_not1_saveexec_b32 s9, s9
	s_cbranch_execnz .LBB175_4211
.LBB175_3882:
	s_or_b32 exec_lo, exec_lo, s9
	v_mov_b32_e32 v9, 0
	s_and_saveexec_b32 s9, s8
.LBB175_3883:
	v_lshrrev_b32_e32 v6, 8, v6
	s_delay_alu instid0(VALU_DEP_1)
	v_and_or_b32 v9, 0x80, v6, v7
.LBB175_3884:
	s_or_b32 exec_lo, exec_lo, s9
.LBB175_3885:
	s_delay_alu instid0(SALU_CYCLE_1)
	s_or_b32 exec_lo, exec_lo, s3
	s_mov_b32 s3, 0
	global_store_b8 v[4:5], v9, off
.LBB175_3886:
	s_and_b32 vcc_lo, exec_lo, s3
	s_cbranch_vccz .LBB175_3896
; %bb.3887:
	v_lshlrev_b32_e32 v8, 16, v3
	s_wait_xcnt 0x0
	v_and_b32_e32 v6, 0xffff, v3
	s_mov_b32 s3, exec_lo
                                        ; implicit-def: $vgpr7
	s_delay_alu instid0(VALU_DEP_2) | instskip(NEXT) | instid1(VALU_DEP_1)
	v_and_b32_e32 v9, 0x7fffffff, v8
	v_cmpx_gt_u32_e32 0x43f00000, v9
	s_xor_b32 s3, exec_lo, s3
	s_cbranch_execz .LBB175_3893
; %bb.3888:
	s_mov_b32 s8, exec_lo
                                        ; implicit-def: $vgpr7
	v_cmpx_lt_u32_e32 0x3c7fffff, v9
	s_xor_b32 s8, exec_lo, s8
; %bb.3889:
	v_bfe_u32 v7, v6, 4, 1
	s_delay_alu instid0(VALU_DEP_1) | instskip(NEXT) | instid1(VALU_DEP_1)
	v_add3_u32 v7, v8, v7, 0x407ffff
	v_and_b32_e32 v8, 0xff00000, v7
	v_lshrrev_b32_e32 v7, 20, v7
	s_delay_alu instid0(VALU_DEP_2) | instskip(NEXT) | instid1(VALU_DEP_2)
	v_cmp_ne_u32_e32 vcc_lo, 0x7f00000, v8
                                        ; implicit-def: $vgpr8
	v_cndmask_b32_e32 v7, 0x7e, v7, vcc_lo
; %bb.3890:
	s_and_not1_saveexec_b32 s8, s8
; %bb.3891:
	v_add_f32_e64 v7, 0x46800000, |v8|
; %bb.3892:
	s_or_b32 exec_lo, exec_lo, s8
                                        ; implicit-def: $vgpr9
.LBB175_3893:
	s_and_not1_saveexec_b32 s3, s3
; %bb.3894:
	v_mov_b32_e32 v7, 0x7f
	v_cmp_lt_u32_e32 vcc_lo, 0x7f800000, v9
	s_delay_alu instid0(VALU_DEP_2)
	v_cndmask_b32_e32 v7, 0x7e, v7, vcc_lo
; %bb.3895:
	s_or_b32 exec_lo, exec_lo, s3
	v_lshrrev_b32_e32 v6, 8, v6
	s_delay_alu instid0(VALU_DEP_1)
	v_and_or_b32 v6, 0x80, v6, v7
	global_store_b8 v[4:5], v6, off
.LBB175_3896:
	s_mov_b32 s3, 0
.LBB175_3897:
	s_delay_alu instid0(SALU_CYCLE_1)
	s_and_not1_b32 vcc_lo, exec_lo, s3
	s_cbranch_vccnz .LBB175_3907
; %bb.3898:
	v_lshlrev_b32_e32 v8, 16, v3
	s_wait_xcnt 0x0
	v_and_b32_e32 v6, 0xffff, v3
	s_mov_b32 s3, exec_lo
                                        ; implicit-def: $vgpr7
	s_delay_alu instid0(VALU_DEP_2) | instskip(NEXT) | instid1(VALU_DEP_1)
	v_and_b32_e32 v9, 0x7fffffff, v8
	v_cmpx_gt_u32_e32 0x47800000, v9
	s_xor_b32 s3, exec_lo, s3
	s_cbranch_execz .LBB175_3904
; %bb.3899:
	s_mov_b32 s8, exec_lo
                                        ; implicit-def: $vgpr7
	v_cmpx_lt_u32_e32 0x387fffff, v9
	s_xor_b32 s8, exec_lo, s8
; %bb.3900:
	v_bfe_u32 v7, v6, 5, 1
	s_delay_alu instid0(VALU_DEP_1) | instskip(NEXT) | instid1(VALU_DEP_1)
	v_add3_u32 v7, v8, v7, 0x80fffff
                                        ; implicit-def: $vgpr8
	v_lshrrev_b32_e32 v7, 21, v7
; %bb.3901:
	s_and_not1_saveexec_b32 s8, s8
; %bb.3902:
	v_add_f32_e64 v7, 0x43000000, |v8|
; %bb.3903:
	s_or_b32 exec_lo, exec_lo, s8
                                        ; implicit-def: $vgpr9
.LBB175_3904:
	s_and_not1_saveexec_b32 s3, s3
; %bb.3905:
	v_mov_b32_e32 v7, 0x7f
	v_cmp_lt_u32_e32 vcc_lo, 0x7f800000, v9
	s_delay_alu instid0(VALU_DEP_2)
	v_cndmask_b32_e32 v7, 0x7c, v7, vcc_lo
; %bb.3906:
	s_or_b32 exec_lo, exec_lo, s3
	v_lshrrev_b32_e32 v6, 8, v6
	s_delay_alu instid0(VALU_DEP_1)
	v_and_or_b32 v6, 0x80, v6, v7
	global_store_b8 v[4:5], v6, off
.LBB175_3907:
	s_mov_b32 s3, 0
	s_mov_b32 s8, -1
.LBB175_3908:
	s_and_not1_b32 vcc_lo, exec_lo, s3
	s_mov_b32 s3, 0
	s_cbranch_vccnz .LBB175_3915
; %bb.3909:
	s_cmp_gt_i32 s2, 14
	s_mov_b32 s3, -1
	s_cbranch_scc0 .LBB175_3913
; %bb.3910:
	s_cmp_eq_u32 s2, 15
	s_mov_b32 s0, -1
	s_cbranch_scc0 .LBB175_3912
; %bb.3911:
	s_mov_b32 s0, 0
	s_mov_b32 s8, -1
	global_store_b16 v[4:5], v3, off
.LBB175_3912:
	s_mov_b32 s3, 0
.LBB175_3913:
	s_delay_alu instid0(SALU_CYCLE_1)
	s_and_b32 vcc_lo, exec_lo, s3
	s_mov_b32 s3, 0
	s_cbranch_vccz .LBB175_3915
; %bb.3914:
	s_cmp_lg_u32 s2, 11
	s_mov_b32 s3, -1
	s_cselect_b32 s0, -1, 0
.LBB175_3915:
	s_delay_alu instid0(SALU_CYCLE_1)
	s_and_b32 vcc_lo, exec_lo, s0
	s_cbranch_vccnz .LBB175_4209
; %bb.3916:
	s_and_not1_b32 vcc_lo, exec_lo, s3
	s_cbranch_vccnz .LBB175_3918
.LBB175_3917:
	s_wait_xcnt 0x0
	v_and_b32_e32 v6, 0x7fff, v3
	s_mov_b32 s8, -1
	s_delay_alu instid0(VALU_DEP_1)
	v_cmp_ne_u16_e32 vcc_lo, 0, v6
	v_cndmask_b32_e64 v6, 0, 1, vcc_lo
	global_store_b8 v[4:5], v6, off
.LBB175_3918:
	s_mov_b32 s0, 0
	s_branch .LBB175_3920
.LBB175_3919:
	s_mov_b32 s0, -1
	s_mov_b32 s8, 0
.LBB175_3920:
	s_and_b32 vcc_lo, exec_lo, s0
	s_cbranch_vccz .LBB175_3959
; %bb.3921:
	s_cmp_lt_i32 s2, 5
	s_mov_b32 s0, -1
	s_cbranch_scc1 .LBB175_3942
; %bb.3922:
	s_cmp_lt_i32 s2, 8
	s_cbranch_scc1 .LBB175_3932
; %bb.3923:
	s_cmp_lt_i32 s2, 9
	s_cbranch_scc1 .LBB175_3929
; %bb.3924:
	s_cmp_gt_i32 s2, 9
	s_cbranch_scc0 .LBB175_3926
; %bb.3925:
	s_wait_xcnt 0x0
	v_dual_lshlrev_b32 v6, 16, v3 :: v_dual_mov_b32 v8, 0
	s_mov_b32 s0, 0
	s_delay_alu instid0(VALU_DEP_1) | instskip(NEXT) | instid1(VALU_DEP_2)
	v_cvt_f64_f32_e32 v[6:7], v6
	v_mov_b32_e32 v9, v8
	global_store_b128 v[4:5], v[6:9], off
.LBB175_3926:
	s_and_not1_b32 vcc_lo, exec_lo, s0
	s_cbranch_vccnz .LBB175_3928
; %bb.3927:
	s_wait_xcnt 0x0
	v_dual_mov_b32 v7, 0 :: v_dual_lshlrev_b32 v6, 16, v3
	global_store_b64 v[4:5], v[6:7], off
.LBB175_3928:
	s_mov_b32 s0, 0
.LBB175_3929:
	s_delay_alu instid0(SALU_CYCLE_1)
	s_and_not1_b32 vcc_lo, exec_lo, s0
	s_cbranch_vccnz .LBB175_3931
; %bb.3930:
	s_wait_xcnt 0x0
	v_lshlrev_b32_e32 v6, 16, v3
	s_delay_alu instid0(VALU_DEP_1) | instskip(NEXT) | instid1(VALU_DEP_1)
	v_cvt_f16_f32_e32 v6, v6
	v_and_b32_e32 v6, 0xffff, v6
	global_store_b32 v[4:5], v6, off
.LBB175_3931:
	s_mov_b32 s0, 0
.LBB175_3932:
	s_delay_alu instid0(SALU_CYCLE_1)
	s_and_not1_b32 vcc_lo, exec_lo, s0
	s_cbranch_vccnz .LBB175_3941
; %bb.3933:
	s_cmp_lt_i32 s2, 6
	s_mov_b32 s0, -1
	s_cbranch_scc1 .LBB175_3939
; %bb.3934:
	s_cmp_gt_i32 s2, 6
	s_cbranch_scc0 .LBB175_3936
; %bb.3935:
	s_wait_xcnt 0x0
	v_lshlrev_b32_e32 v6, 16, v3
	s_mov_b32 s0, 0
	s_delay_alu instid0(VALU_DEP_1)
	v_cvt_f64_f32_e32 v[6:7], v6
	global_store_b64 v[4:5], v[6:7], off
.LBB175_3936:
	s_and_not1_b32 vcc_lo, exec_lo, s0
	s_cbranch_vccnz .LBB175_3938
; %bb.3937:
	s_wait_xcnt 0x0
	v_lshlrev_b32_e32 v6, 16, v3
	global_store_b32 v[4:5], v6, off
.LBB175_3938:
	s_mov_b32 s0, 0
.LBB175_3939:
	s_delay_alu instid0(SALU_CYCLE_1)
	s_and_not1_b32 vcc_lo, exec_lo, s0
	s_cbranch_vccnz .LBB175_3941
; %bb.3940:
	s_wait_xcnt 0x0
	v_lshlrev_b32_e32 v6, 16, v3
	s_delay_alu instid0(VALU_DEP_1)
	v_cvt_f16_f32_e32 v6, v6
	global_store_b16 v[4:5], v6, off
.LBB175_3941:
	s_mov_b32 s0, 0
.LBB175_3942:
	s_delay_alu instid0(SALU_CYCLE_1)
	s_and_not1_b32 vcc_lo, exec_lo, s0
	s_cbranch_vccnz .LBB175_3958
; %bb.3943:
	s_cmp_lt_i32 s2, 2
	s_mov_b32 s0, -1
	s_cbranch_scc1 .LBB175_3953
; %bb.3944:
	s_cmp_lt_i32 s2, 3
	s_cbranch_scc1 .LBB175_3950
; %bb.3945:
	s_cmp_gt_i32 s2, 3
	s_cbranch_scc0 .LBB175_3947
; %bb.3946:
	s_wait_xcnt 0x0
	v_lshlrev_b32_e32 v6, 16, v3
	s_mov_b32 s0, 0
	s_delay_alu instid0(VALU_DEP_1) | instskip(NEXT) | instid1(VALU_DEP_1)
	v_trunc_f32_e32 v6, v6
	v_mul_f32_e64 v7, 0x2f800000, |v6|
	s_delay_alu instid0(VALU_DEP_1) | instskip(NEXT) | instid1(VALU_DEP_1)
	v_floor_f32_e32 v7, v7
	v_fma_f32 v8, 0xcf800000, v7, |v6|
	v_ashrrev_i32_e32 v6, 31, v6
	v_cvt_u32_f32_e32 v9, v7
	s_delay_alu instid0(VALU_DEP_3) | instskip(NEXT) | instid1(VALU_DEP_2)
	v_cvt_u32_f32_e32 v8, v8
	v_dual_mov_b32 v7, v6 :: v_dual_bitop2_b32 v9, v9, v6 bitop3:0x14
	s_delay_alu instid0(VALU_DEP_2) | instskip(NEXT) | instid1(VALU_DEP_1)
	v_xor_b32_e32 v8, v8, v6
	v_sub_nc_u64_e32 v[6:7], v[8:9], v[6:7]
	global_store_b64 v[4:5], v[6:7], off
.LBB175_3947:
	s_and_not1_b32 vcc_lo, exec_lo, s0
	s_cbranch_vccnz .LBB175_3949
; %bb.3948:
	s_wait_xcnt 0x0
	v_lshlrev_b32_e32 v6, 16, v3
	s_delay_alu instid0(VALU_DEP_1)
	v_cvt_i32_f32_e32 v6, v6
	global_store_b32 v[4:5], v6, off
.LBB175_3949:
	s_mov_b32 s0, 0
.LBB175_3950:
	s_delay_alu instid0(SALU_CYCLE_1)
	s_and_not1_b32 vcc_lo, exec_lo, s0
	s_cbranch_vccnz .LBB175_3952
; %bb.3951:
	s_wait_xcnt 0x0
	v_lshlrev_b32_e32 v6, 16, v3
	s_delay_alu instid0(VALU_DEP_1)
	v_cvt_i32_f32_e32 v6, v6
	global_store_b16 v[4:5], v6, off
.LBB175_3952:
	s_mov_b32 s0, 0
.LBB175_3953:
	s_delay_alu instid0(SALU_CYCLE_1)
	s_and_not1_b32 vcc_lo, exec_lo, s0
	s_cbranch_vccnz .LBB175_3958
; %bb.3954:
	s_wait_xcnt 0x0
	v_lshlrev_b32_e32 v3, 16, v3
	s_cmp_gt_i32 s2, 0
	s_mov_b32 s0, -1
	s_cbranch_scc0 .LBB175_3956
; %bb.3955:
	s_delay_alu instid0(VALU_DEP_1)
	v_cvt_i32_f32_e32 v6, v3
	s_mov_b32 s0, 0
	global_store_b8 v[4:5], v6, off
.LBB175_3956:
	s_and_not1_b32 vcc_lo, exec_lo, s0
	s_cbranch_vccnz .LBB175_3958
; %bb.3957:
	v_trunc_f32_e32 v3, v3
	s_wait_xcnt 0x0
	s_delay_alu instid0(VALU_DEP_1) | instskip(NEXT) | instid1(VALU_DEP_1)
	v_mul_f32_e64 v6, 0x2f800000, |v3|
	v_floor_f32_e32 v6, v6
	s_delay_alu instid0(VALU_DEP_1) | instskip(SKIP_1) | instid1(VALU_DEP_2)
	v_fma_f32 v6, 0xcf800000, v6, |v3|
	v_ashrrev_i32_e32 v3, 31, v3
	v_cvt_u32_f32_e32 v6, v6
	s_delay_alu instid0(VALU_DEP_1) | instskip(NEXT) | instid1(VALU_DEP_1)
	v_xor_b32_e32 v6, v6, v3
	v_sub_nc_u32_e32 v3, v6, v3
	global_store_b8 v[4:5], v3, off
.LBB175_3958:
	s_mov_b32 s8, -1
.LBB175_3959:
	s_delay_alu instid0(SALU_CYCLE_1)
	s_and_not1_b32 vcc_lo, exec_lo, s8
	s_cbranch_vccnz .LBB175_4155
; %bb.3960:
	s_wait_xcnt 0x0
	v_dual_lshlrev_b32 v3, 16, v18 :: v_dual_lshlrev_b32 v5, 16, v16
	v_mov_b32_e32 v6, s7
	s_cmp_lt_i32 s2, 11
	s_delay_alu instid0(VALU_DEP_2) | instskip(NEXT) | instid1(VALU_DEP_1)
	v_mul_f32_e32 v3, v1, v3
	v_bfe_u32 v4, v3, 16, 1
	s_delay_alu instid0(VALU_DEP_1) | instskip(NEXT) | instid1(VALU_DEP_1)
	v_add3_u32 v4, v3, v4, 0x7fff
	v_and_b32_e32 v7, 0xffff0000, v4
	v_lshlrev_b32_e32 v4, 16, v20
	v_cmp_o_f32_e32 vcc_lo, v3, v3
	s_delay_alu instid0(VALU_DEP_3) | instskip(NEXT) | instid1(VALU_DEP_1)
	v_cndmask_b32_e32 v7, 0x7fc00000, v7, vcc_lo
	v_pk_mul_f32 v[4:5], v[6:7], v[4:5]
	s_delay_alu instid0(VALU_DEP_1) | instskip(SKIP_1) | instid1(VALU_DEP_2)
	v_dual_lshrrev_b32 v3, 16, v5 :: v_dual_lshrrev_b32 v6, 16, v4
	v_cmp_o_f32_e32 vcc_lo, v5, v5
	v_and_b32_e32 v3, 1, v3
	s_delay_alu instid0(VALU_DEP_1) | instskip(NEXT) | instid1(VALU_DEP_1)
	v_add3_u32 v3, v5, v3, 0x7fff
	v_and_b32_e32 v3, 0xffff0000, v3
	s_delay_alu instid0(VALU_DEP_1) | instskip(SKIP_2) | instid1(VALU_DEP_2)
	v_cndmask_b32_e32 v3, 0x7fc00000, v3, vcc_lo
	v_and_b32_e32 v6, 1, v6
	v_cmp_o_f32_e32 vcc_lo, v4, v4
	v_add3_u32 v6, v4, v6, 0x7fff
	s_delay_alu instid0(VALU_DEP_1) | instskip(NEXT) | instid1(VALU_DEP_1)
	v_and_b32_e32 v6, 0xffff0000, v6
	v_cndmask_b32_e32 v4, 0x7fc00000, v6, vcc_lo
	s_delay_alu instid0(VALU_DEP_1) | instskip(NEXT) | instid1(VALU_DEP_1)
	v_add_f32_e32 v4, v4, v3
	v_bfe_u32 v3, v4, 16, 1
	v_cmp_o_f32_e32 vcc_lo, v4, v4
	s_delay_alu instid0(VALU_DEP_2) | instskip(NEXT) | instid1(VALU_DEP_1)
	v_add3_u32 v5, v4, v3, 0x7fff
	v_dual_mov_b32 v3, 0 :: v_dual_lshrrev_b32 v5, 16, v5
	s_delay_alu instid0(VALU_DEP_1) | instskip(NEXT) | instid1(VALU_DEP_2)
	v_add_nc_u64_e32 v[2:3], s[4:5], v[2:3]
	v_cndmask_b32_e32 v4, 0x7fc0, v5, vcc_lo
	s_cbranch_scc1 .LBB175_4038
; %bb.3961:
	s_mov_b32 s9, -1
	s_mov_b32 s3, 0
	s_cmp_gt_i32 s2, 25
	s_mov_b32 s8, 0
	s_mov_b32 s0, 0
	s_cbranch_scc0 .LBB175_3994
; %bb.3962:
	s_cmp_gt_i32 s2, 28
	s_cbranch_scc0 .LBB175_3977
; %bb.3963:
	s_cmp_gt_i32 s2, 43
	s_cbranch_scc0 .LBB175_3973
; %bb.3964:
	s_cmp_gt_i32 s2, 45
	s_cbranch_scc0 .LBB175_3967
; %bb.3965:
	s_mov_b32 s0, -1
	s_mov_b32 s9, 0
	s_cmp_eq_u32 s2, 46
	s_cbranch_scc0 .LBB175_3967
; %bb.3966:
	v_and_b32_e32 v5, 0xffff, v4
	s_mov_b32 s0, 0
	s_mov_b32 s8, -1
	global_store_b32 v[2:3], v5, off
.LBB175_3967:
	s_and_b32 vcc_lo, exec_lo, s9
	s_cbranch_vccz .LBB175_3972
; %bb.3968:
	s_cmp_eq_u32 s2, 44
	s_mov_b32 s0, -1
	s_cbranch_scc0 .LBB175_3972
; %bb.3969:
	s_wait_xcnt 0x0
	v_and_b32_e32 v5, 0xffff, v4
	v_mov_b32_e32 v6, 0xff
	s_mov_b32 s8, exec_lo
	s_delay_alu instid0(VALU_DEP_2) | instskip(NEXT) | instid1(VALU_DEP_1)
	v_bfe_u32 v7, v5, 7, 8
	v_cmpx_ne_u32_e32 0xff, v7
	s_cbranch_execz .LBB175_3971
; %bb.3970:
	v_dual_lshlrev_b32 v6, 16, v5 :: v_dual_bitop2_b32 v8, 64, v5 bitop3:0x40
	v_lshrrev_b32_e32 v5, 7, v5
	s_delay_alu instid0(VALU_DEP_2) | instskip(NEXT) | instid1(VALU_DEP_3)
	v_and_or_b32 v6, 0x3f0000, v6, v7
	v_cmp_ne_u32_e32 vcc_lo, 0, v8
	s_delay_alu instid0(VALU_DEP_2) | instskip(SKIP_1) | instid1(SALU_CYCLE_1)
	v_cmp_ne_u32_e64 s0, 0, v6
	s_and_b32 s0, vcc_lo, s0
	v_cndmask_b32_e64 v6, 0, 1, s0
	s_delay_alu instid0(VALU_DEP_1)
	v_add_nc_u32_e32 v6, v5, v6
.LBB175_3971:
	s_or_b32 exec_lo, exec_lo, s8
	s_mov_b32 s0, 0
	s_mov_b32 s8, -1
	global_store_b8 v[2:3], v6, off
.LBB175_3972:
	s_mov_b32 s9, 0
.LBB175_3973:
	s_delay_alu instid0(SALU_CYCLE_1)
	s_and_b32 vcc_lo, exec_lo, s9
	s_cbranch_vccz .LBB175_3976
; %bb.3974:
	s_cmp_eq_u32 s2, 29
	s_mov_b32 s0, -1
	s_cbranch_scc0 .LBB175_3976
; %bb.3975:
	s_wait_xcnt 0x0
	v_lshlrev_b32_e32 v5, 16, v4
	s_mov_b32 s0, 0
	s_mov_b32 s8, -1
	s_delay_alu instid0(VALU_DEP_1) | instskip(NEXT) | instid1(VALU_DEP_1)
	v_trunc_f32_e32 v5, v5
	v_mul_f32_e32 v6, 0x2f800000, v5
	s_delay_alu instid0(VALU_DEP_1) | instskip(NEXT) | instid1(VALU_DEP_1)
	v_floor_f32_e32 v6, v6
	v_fmamk_f32 v5, v6, 0xcf800000, v5
	v_cvt_u32_f32_e32 v7, v6
	s_delay_alu instid0(VALU_DEP_2)
	v_cvt_u32_f32_e32 v6, v5
	global_store_b64 v[2:3], v[6:7], off
.LBB175_3976:
	s_mov_b32 s9, 0
.LBB175_3977:
	s_delay_alu instid0(SALU_CYCLE_1)
	s_and_b32 vcc_lo, exec_lo, s9
	s_cbranch_vccz .LBB175_3993
; %bb.3978:
	s_cmp_lt_i32 s2, 27
	s_mov_b32 s8, -1
	s_cbranch_scc1 .LBB175_3984
; %bb.3979:
	s_cmp_gt_i32 s2, 27
	s_cbranch_scc0 .LBB175_3981
; %bb.3980:
	s_wait_xcnt 0x0
	v_lshlrev_b32_e32 v5, 16, v4
	s_mov_b32 s8, 0
	s_delay_alu instid0(VALU_DEP_1)
	v_cvt_u32_f32_e32 v5, v5
	global_store_b32 v[2:3], v5, off
.LBB175_3981:
	s_and_not1_b32 vcc_lo, exec_lo, s8
	s_cbranch_vccnz .LBB175_3983
; %bb.3982:
	s_wait_xcnt 0x0
	v_lshlrev_b32_e32 v5, 16, v4
	s_delay_alu instid0(VALU_DEP_1)
	v_cvt_u32_f32_e32 v5, v5
	global_store_b16 v[2:3], v5, off
.LBB175_3983:
	s_mov_b32 s8, 0
.LBB175_3984:
	s_delay_alu instid0(SALU_CYCLE_1)
	s_and_not1_b32 vcc_lo, exec_lo, s8
	s_cbranch_vccnz .LBB175_3992
; %bb.3985:
	s_wait_xcnt 0x0
	v_dual_mov_b32 v8, 0x80 :: v_dual_lshlrev_b32 v7, 16, v4
	s_mov_b32 s8, exec_lo
	s_delay_alu instid0(VALU_DEP_1) | instskip(NEXT) | instid1(VALU_DEP_1)
	v_and_b32_e32 v6, 0x7fffffff, v7
	v_cmpx_gt_u32_e32 0x43800000, v6
	s_cbranch_execz .LBB175_3991
; %bb.3986:
	v_and_b32_e32 v5, 0xffff, v4
	v_cmp_lt_u32_e32 vcc_lo, 0x3bffffff, v6
	s_mov_b32 s9, 0
                                        ; implicit-def: $vgpr6
	s_and_saveexec_b32 s10, vcc_lo
	s_delay_alu instid0(SALU_CYCLE_1)
	s_xor_b32 s10, exec_lo, s10
	s_cbranch_execz .LBB175_4212
; %bb.3987:
	v_bfe_u32 v6, v5, 4, 1
	s_mov_b32 s9, exec_lo
	s_delay_alu instid0(VALU_DEP_1) | instskip(NEXT) | instid1(VALU_DEP_1)
	v_add3_u32 v6, v7, v6, 0x487ffff
                                        ; implicit-def: $vgpr7
	v_lshrrev_b32_e32 v6, 20, v6
	s_and_not1_saveexec_b32 s10, s10
	s_cbranch_execnz .LBB175_4213
.LBB175_3988:
	s_or_b32 exec_lo, exec_lo, s10
	v_mov_b32_e32 v8, 0
	s_and_saveexec_b32 s10, s9
.LBB175_3989:
	v_lshrrev_b32_e32 v5, 8, v5
	s_delay_alu instid0(VALU_DEP_1)
	v_and_or_b32 v8, 0x80, v5, v6
.LBB175_3990:
	s_or_b32 exec_lo, exec_lo, s10
.LBB175_3991:
	s_delay_alu instid0(SALU_CYCLE_1)
	s_or_b32 exec_lo, exec_lo, s8
	global_store_b8 v[2:3], v8, off
.LBB175_3992:
	s_mov_b32 s8, -1
.LBB175_3993:
	s_mov_b32 s9, 0
.LBB175_3994:
	s_delay_alu instid0(SALU_CYCLE_1)
	s_and_b32 vcc_lo, exec_lo, s9
	s_cbranch_vccz .LBB175_4034
; %bb.3995:
	s_cmp_gt_i32 s2, 22
	s_mov_b32 s3, -1
	s_cbranch_scc0 .LBB175_4027
; %bb.3996:
	s_cmp_lt_i32 s2, 24
	s_cbranch_scc1 .LBB175_4016
; %bb.3997:
	s_cmp_gt_i32 s2, 24
	s_cbranch_scc0 .LBB175_4005
; %bb.3998:
	s_wait_xcnt 0x0
	v_dual_mov_b32 v8, 0x80 :: v_dual_lshlrev_b32 v7, 16, v4
	s_mov_b32 s3, exec_lo
	s_delay_alu instid0(VALU_DEP_1) | instskip(NEXT) | instid1(VALU_DEP_1)
	v_and_b32_e32 v6, 0x7fffffff, v7
	v_cmpx_gt_u32_e32 0x47800000, v6
	s_cbranch_execz .LBB175_4004
; %bb.3999:
	v_and_b32_e32 v5, 0xffff, v4
	v_cmp_lt_u32_e32 vcc_lo, 0x37ffffff, v6
	s_mov_b32 s8, 0
                                        ; implicit-def: $vgpr6
	s_and_saveexec_b32 s9, vcc_lo
	s_delay_alu instid0(SALU_CYCLE_1)
	s_xor_b32 s9, exec_lo, s9
	s_cbranch_execz .LBB175_4215
; %bb.4000:
	v_bfe_u32 v6, v5, 5, 1
	s_mov_b32 s8, exec_lo
	s_delay_alu instid0(VALU_DEP_1) | instskip(NEXT) | instid1(VALU_DEP_1)
	v_add3_u32 v6, v7, v6, 0x88fffff
                                        ; implicit-def: $vgpr7
	v_lshrrev_b32_e32 v6, 21, v6
	s_and_not1_saveexec_b32 s9, s9
	s_cbranch_execnz .LBB175_4216
.LBB175_4001:
	s_or_b32 exec_lo, exec_lo, s9
	v_mov_b32_e32 v8, 0
	s_and_saveexec_b32 s9, s8
.LBB175_4002:
	v_lshrrev_b32_e32 v5, 8, v5
	s_delay_alu instid0(VALU_DEP_1)
	v_and_or_b32 v8, 0x80, v5, v6
.LBB175_4003:
	s_or_b32 exec_lo, exec_lo, s9
.LBB175_4004:
	s_delay_alu instid0(SALU_CYCLE_1)
	s_or_b32 exec_lo, exec_lo, s3
	s_mov_b32 s3, 0
	global_store_b8 v[2:3], v8, off
.LBB175_4005:
	s_and_b32 vcc_lo, exec_lo, s3
	s_cbranch_vccz .LBB175_4015
; %bb.4006:
	s_wait_xcnt 0x0
	v_lshlrev_b32_e32 v7, 16, v4
	v_and_b32_e32 v5, 0xffff, v4
	s_mov_b32 s3, exec_lo
                                        ; implicit-def: $vgpr6
	s_delay_alu instid0(VALU_DEP_2) | instskip(NEXT) | instid1(VALU_DEP_1)
	v_and_b32_e32 v8, 0x7fffffff, v7
	v_cmpx_gt_u32_e32 0x43f00000, v8
	s_xor_b32 s3, exec_lo, s3
	s_cbranch_execz .LBB175_4012
; %bb.4007:
	s_mov_b32 s8, exec_lo
                                        ; implicit-def: $vgpr6
	v_cmpx_lt_u32_e32 0x3c7fffff, v8
	s_xor_b32 s8, exec_lo, s8
; %bb.4008:
	v_bfe_u32 v6, v5, 4, 1
	s_delay_alu instid0(VALU_DEP_1) | instskip(NEXT) | instid1(VALU_DEP_1)
	v_add3_u32 v6, v7, v6, 0x407ffff
	v_and_b32_e32 v7, 0xff00000, v6
	v_lshrrev_b32_e32 v6, 20, v6
	s_delay_alu instid0(VALU_DEP_2) | instskip(NEXT) | instid1(VALU_DEP_2)
	v_cmp_ne_u32_e32 vcc_lo, 0x7f00000, v7
                                        ; implicit-def: $vgpr7
	v_cndmask_b32_e32 v6, 0x7e, v6, vcc_lo
; %bb.4009:
	s_and_not1_saveexec_b32 s8, s8
; %bb.4010:
	v_add_f32_e64 v6, 0x46800000, |v7|
; %bb.4011:
	s_or_b32 exec_lo, exec_lo, s8
                                        ; implicit-def: $vgpr8
.LBB175_4012:
	s_and_not1_saveexec_b32 s3, s3
; %bb.4013:
	v_mov_b32_e32 v6, 0x7f
	v_cmp_lt_u32_e32 vcc_lo, 0x7f800000, v8
	s_delay_alu instid0(VALU_DEP_2)
	v_cndmask_b32_e32 v6, 0x7e, v6, vcc_lo
; %bb.4014:
	s_or_b32 exec_lo, exec_lo, s3
	v_lshrrev_b32_e32 v5, 8, v5
	s_delay_alu instid0(VALU_DEP_1)
	v_and_or_b32 v5, 0x80, v5, v6
	global_store_b8 v[2:3], v5, off
.LBB175_4015:
	s_mov_b32 s3, 0
.LBB175_4016:
	s_delay_alu instid0(SALU_CYCLE_1)
	s_and_not1_b32 vcc_lo, exec_lo, s3
	s_cbranch_vccnz .LBB175_4026
; %bb.4017:
	s_wait_xcnt 0x0
	v_lshlrev_b32_e32 v7, 16, v4
	v_and_b32_e32 v5, 0xffff, v4
	s_mov_b32 s3, exec_lo
                                        ; implicit-def: $vgpr6
	s_delay_alu instid0(VALU_DEP_2) | instskip(NEXT) | instid1(VALU_DEP_1)
	v_and_b32_e32 v8, 0x7fffffff, v7
	v_cmpx_gt_u32_e32 0x47800000, v8
	s_xor_b32 s3, exec_lo, s3
	s_cbranch_execz .LBB175_4023
; %bb.4018:
	s_mov_b32 s8, exec_lo
                                        ; implicit-def: $vgpr6
	v_cmpx_lt_u32_e32 0x387fffff, v8
	s_xor_b32 s8, exec_lo, s8
; %bb.4019:
	v_bfe_u32 v6, v5, 5, 1
	s_delay_alu instid0(VALU_DEP_1) | instskip(NEXT) | instid1(VALU_DEP_1)
	v_add3_u32 v6, v7, v6, 0x80fffff
                                        ; implicit-def: $vgpr7
	v_lshrrev_b32_e32 v6, 21, v6
; %bb.4020:
	s_and_not1_saveexec_b32 s8, s8
; %bb.4021:
	v_add_f32_e64 v6, 0x43000000, |v7|
; %bb.4022:
	s_or_b32 exec_lo, exec_lo, s8
                                        ; implicit-def: $vgpr8
.LBB175_4023:
	s_and_not1_saveexec_b32 s3, s3
; %bb.4024:
	v_mov_b32_e32 v6, 0x7f
	v_cmp_lt_u32_e32 vcc_lo, 0x7f800000, v8
	s_delay_alu instid0(VALU_DEP_2)
	v_cndmask_b32_e32 v6, 0x7c, v6, vcc_lo
; %bb.4025:
	s_or_b32 exec_lo, exec_lo, s3
	v_lshrrev_b32_e32 v5, 8, v5
	s_delay_alu instid0(VALU_DEP_1)
	v_and_or_b32 v5, 0x80, v5, v6
	global_store_b8 v[2:3], v5, off
.LBB175_4026:
	s_mov_b32 s3, 0
	s_mov_b32 s8, -1
.LBB175_4027:
	s_and_not1_b32 vcc_lo, exec_lo, s3
	s_mov_b32 s3, 0
	s_cbranch_vccnz .LBB175_4034
; %bb.4028:
	s_cmp_gt_i32 s2, 14
	s_mov_b32 s3, -1
	s_cbranch_scc0 .LBB175_4032
; %bb.4029:
	s_cmp_eq_u32 s2, 15
	s_mov_b32 s0, -1
	s_cbranch_scc0 .LBB175_4031
; %bb.4030:
	s_mov_b32 s0, 0
	s_mov_b32 s8, -1
	global_store_b16 v[2:3], v4, off
.LBB175_4031:
	s_mov_b32 s3, 0
.LBB175_4032:
	s_delay_alu instid0(SALU_CYCLE_1)
	s_and_b32 vcc_lo, exec_lo, s3
	s_mov_b32 s3, 0
	s_cbranch_vccz .LBB175_4034
; %bb.4033:
	s_cmp_lg_u32 s2, 11
	s_mov_b32 s3, -1
	s_cselect_b32 s0, -1, 0
.LBB175_4034:
	s_delay_alu instid0(SALU_CYCLE_1)
	s_and_b32 vcc_lo, exec_lo, s0
	s_cbranch_vccnz .LBB175_4214
; %bb.4035:
	s_and_not1_b32 vcc_lo, exec_lo, s3
	s_cbranch_vccnz .LBB175_4037
.LBB175_4036:
	s_wait_xcnt 0x0
	v_and_b32_e32 v5, 0x7fff, v4
	s_mov_b32 s8, -1
	s_delay_alu instid0(VALU_DEP_1)
	v_cmp_ne_u16_e32 vcc_lo, 0, v5
	v_cndmask_b32_e64 v5, 0, 1, vcc_lo
	global_store_b8 v[2:3], v5, off
.LBB175_4037:
	s_mov_b32 s0, 0
	s_branch .LBB175_4039
.LBB175_4038:
	s_mov_b32 s0, -1
	s_mov_b32 s8, 0
.LBB175_4039:
	s_and_b32 vcc_lo, exec_lo, s0
	s_cbranch_vccz .LBB175_4078
; %bb.4040:
	s_cmp_lt_i32 s2, 5
	s_mov_b32 s0, -1
	s_cbranch_scc1 .LBB175_4061
; %bb.4041:
	s_cmp_lt_i32 s2, 8
	s_cbranch_scc1 .LBB175_4051
; %bb.4042:
	s_cmp_lt_i32 s2, 9
	s_cbranch_scc1 .LBB175_4048
; %bb.4043:
	s_cmp_gt_i32 s2, 9
	s_cbranch_scc0 .LBB175_4045
; %bb.4044:
	s_wait_xcnt 0x0
	v_dual_mov_b32 v8, 0 :: v_dual_lshlrev_b32 v5, 16, v4
	s_mov_b32 s0, 0
	s_delay_alu instid0(VALU_DEP_1) | instskip(NEXT) | instid1(VALU_DEP_2)
	v_cvt_f64_f32_e32 v[6:7], v5
	v_mov_b32_e32 v9, v8
	global_store_b128 v[2:3], v[6:9], off
.LBB175_4045:
	s_and_not1_b32 vcc_lo, exec_lo, s0
	s_cbranch_vccnz .LBB175_4047
; %bb.4046:
	s_wait_xcnt 0x0
	v_dual_mov_b32 v7, 0 :: v_dual_lshlrev_b32 v6, 16, v4
	global_store_b64 v[2:3], v[6:7], off
.LBB175_4047:
	s_mov_b32 s0, 0
.LBB175_4048:
	s_delay_alu instid0(SALU_CYCLE_1)
	s_and_not1_b32 vcc_lo, exec_lo, s0
	s_cbranch_vccnz .LBB175_4050
; %bb.4049:
	s_wait_xcnt 0x0
	v_lshlrev_b32_e32 v5, 16, v4
	s_delay_alu instid0(VALU_DEP_1) | instskip(NEXT) | instid1(VALU_DEP_1)
	v_cvt_f16_f32_e32 v5, v5
	v_and_b32_e32 v5, 0xffff, v5
	global_store_b32 v[2:3], v5, off
.LBB175_4050:
	s_mov_b32 s0, 0
.LBB175_4051:
	s_delay_alu instid0(SALU_CYCLE_1)
	s_and_not1_b32 vcc_lo, exec_lo, s0
	s_cbranch_vccnz .LBB175_4060
; %bb.4052:
	s_cmp_lt_i32 s2, 6
	s_mov_b32 s0, -1
	s_cbranch_scc1 .LBB175_4058
; %bb.4053:
	s_cmp_gt_i32 s2, 6
	s_cbranch_scc0 .LBB175_4055
; %bb.4054:
	s_wait_xcnt 0x0
	v_lshlrev_b32_e32 v5, 16, v4
	s_mov_b32 s0, 0
	s_delay_alu instid0(VALU_DEP_1)
	v_cvt_f64_f32_e32 v[6:7], v5
	global_store_b64 v[2:3], v[6:7], off
.LBB175_4055:
	s_and_not1_b32 vcc_lo, exec_lo, s0
	s_cbranch_vccnz .LBB175_4057
; %bb.4056:
	s_wait_xcnt 0x0
	v_lshlrev_b32_e32 v5, 16, v4
	global_store_b32 v[2:3], v5, off
.LBB175_4057:
	s_mov_b32 s0, 0
.LBB175_4058:
	s_delay_alu instid0(SALU_CYCLE_1)
	s_and_not1_b32 vcc_lo, exec_lo, s0
	s_cbranch_vccnz .LBB175_4060
; %bb.4059:
	s_wait_xcnt 0x0
	v_lshlrev_b32_e32 v5, 16, v4
	s_delay_alu instid0(VALU_DEP_1)
	v_cvt_f16_f32_e32 v5, v5
	global_store_b16 v[2:3], v5, off
.LBB175_4060:
	s_mov_b32 s0, 0
.LBB175_4061:
	s_delay_alu instid0(SALU_CYCLE_1)
	s_and_not1_b32 vcc_lo, exec_lo, s0
	s_cbranch_vccnz .LBB175_4077
; %bb.4062:
	s_cmp_lt_i32 s2, 2
	s_mov_b32 s0, -1
	s_cbranch_scc1 .LBB175_4072
; %bb.4063:
	s_cmp_lt_i32 s2, 3
	s_cbranch_scc1 .LBB175_4069
; %bb.4064:
	s_cmp_gt_i32 s2, 3
	s_cbranch_scc0 .LBB175_4066
; %bb.4065:
	s_wait_xcnt 0x0
	v_lshlrev_b32_e32 v5, 16, v4
	s_mov_b32 s0, 0
	s_delay_alu instid0(VALU_DEP_1) | instskip(NEXT) | instid1(VALU_DEP_1)
	v_trunc_f32_e32 v5, v5
	v_mul_f32_e64 v6, 0x2f800000, |v5|
	s_delay_alu instid0(VALU_DEP_1) | instskip(SKIP_1) | instid1(VALU_DEP_2)
	v_floor_f32_e32 v7, v6
	v_ashrrev_i32_e32 v6, 31, v5
	v_fma_f32 v8, 0xcf800000, v7, |v5|
	v_cvt_u32_f32_e32 v5, v7
	s_delay_alu instid0(VALU_DEP_3) | instskip(NEXT) | instid1(VALU_DEP_3)
	v_mov_b32_e32 v7, v6
	v_cvt_u32_f32_e32 v8, v8
	s_delay_alu instid0(VALU_DEP_3) | instskip(NEXT) | instid1(VALU_DEP_2)
	v_xor_b32_e32 v9, v5, v6
	v_xor_b32_e32 v8, v8, v6
	s_delay_alu instid0(VALU_DEP_1)
	v_sub_nc_u64_e32 v[6:7], v[8:9], v[6:7]
	global_store_b64 v[2:3], v[6:7], off
.LBB175_4066:
	s_and_not1_b32 vcc_lo, exec_lo, s0
	s_cbranch_vccnz .LBB175_4068
; %bb.4067:
	s_wait_xcnt 0x0
	v_lshlrev_b32_e32 v5, 16, v4
	s_delay_alu instid0(VALU_DEP_1)
	v_cvt_i32_f32_e32 v5, v5
	global_store_b32 v[2:3], v5, off
.LBB175_4068:
	s_mov_b32 s0, 0
.LBB175_4069:
	s_delay_alu instid0(SALU_CYCLE_1)
	s_and_not1_b32 vcc_lo, exec_lo, s0
	s_cbranch_vccnz .LBB175_4071
; %bb.4070:
	s_wait_xcnt 0x0
	v_lshlrev_b32_e32 v5, 16, v4
	s_delay_alu instid0(VALU_DEP_1)
	v_cvt_i32_f32_e32 v5, v5
	global_store_b16 v[2:3], v5, off
.LBB175_4071:
	s_mov_b32 s0, 0
.LBB175_4072:
	s_delay_alu instid0(SALU_CYCLE_1)
	s_and_not1_b32 vcc_lo, exec_lo, s0
	s_cbranch_vccnz .LBB175_4077
; %bb.4073:
	s_cmp_gt_i32 s2, 0
	s_mov_b32 s0, -1
	s_cbranch_scc0 .LBB175_4075
; %bb.4074:
	s_wait_xcnt 0x0
	v_lshlrev_b32_e32 v5, 16, v4
	s_mov_b32 s0, 0
	s_delay_alu instid0(VALU_DEP_1)
	v_cvt_i32_f32_e32 v5, v5
	global_store_b8 v[2:3], v5, off
.LBB175_4075:
	s_and_not1_b32 vcc_lo, exec_lo, s0
	s_cbranch_vccnz .LBB175_4077
; %bb.4076:
	s_wait_xcnt 0x0
	v_lshlrev_b32_e32 v4, 16, v4
	s_delay_alu instid0(VALU_DEP_1) | instskip(NEXT) | instid1(VALU_DEP_1)
	v_trunc_f32_e32 v4, v4
	v_mul_f32_e64 v5, 0x2f800000, |v4|
	s_delay_alu instid0(VALU_DEP_1) | instskip(NEXT) | instid1(VALU_DEP_1)
	v_floor_f32_e32 v5, v5
	v_fma_f32 v5, 0xcf800000, v5, |v4|
	v_ashrrev_i32_e32 v4, 31, v4
	s_delay_alu instid0(VALU_DEP_2) | instskip(NEXT) | instid1(VALU_DEP_1)
	v_cvt_u32_f32_e32 v5, v5
	v_xor_b32_e32 v5, v5, v4
	s_delay_alu instid0(VALU_DEP_1)
	v_sub_nc_u32_e32 v4, v5, v4
	global_store_b8 v[2:3], v4, off
.LBB175_4077:
	s_mov_b32 s8, -1
.LBB175_4078:
	s_delay_alu instid0(SALU_CYCLE_1)
	s_and_not1_b32 vcc_lo, exec_lo, s8
	s_cbranch_vccnz .LBB175_4155
; %bb.4079:
	s_wait_xcnt 0x0
	v_dual_lshlrev_b32 v2, 16, v12 :: v_dual_lshlrev_b32 v3, 16, v10
	s_cmp_lt_i32 s2, 11
	s_delay_alu instid0(VALU_DEP_1) | instskip(NEXT) | instid1(VALU_DEP_1)
	v_dual_mov_b32 v4, s7 :: v_dual_mul_f32 v1, v1, v2
	v_bfe_u32 v2, v1, 16, 1
	v_cmp_o_f32_e32 vcc_lo, v1, v1
	s_delay_alu instid0(VALU_DEP_2) | instskip(NEXT) | instid1(VALU_DEP_1)
	v_add3_u32 v2, v1, v2, 0x7fff
	v_and_b32_e32 v5, 0xffff0000, v2
	s_delay_alu instid0(VALU_DEP_1) | instskip(NEXT) | instid1(VALU_DEP_1)
	v_dual_cndmask_b32 v5, 0x7fc00000, v5 :: v_dual_lshlrev_b32 v2, 16, v14
	v_pk_mul_f32 v[2:3], v[4:5], v[2:3]
	s_delay_alu instid0(VALU_DEP_1) | instskip(SKIP_1) | instid1(VALU_DEP_2)
	v_dual_lshrrev_b32 v1, 16, v3 :: v_dual_lshrrev_b32 v4, 16, v2
	v_cmp_o_f32_e32 vcc_lo, v3, v3
	v_and_b32_e32 v1, 1, v1
	s_delay_alu instid0(VALU_DEP_3) | instskip(NEXT) | instid1(VALU_DEP_2)
	v_and_b32_e32 v4, 1, v4
	v_add3_u32 v1, v3, v1, 0x7fff
	s_delay_alu instid0(VALU_DEP_2) | instskip(NEXT) | instid1(VALU_DEP_2)
	v_add3_u32 v4, v2, v4, 0x7fff
	v_and_b32_e32 v1, 0xffff0000, v1
	s_delay_alu instid0(VALU_DEP_2) | instskip(NEXT) | instid1(VALU_DEP_2)
	v_and_b32_e32 v4, 0xffff0000, v4
	v_cndmask_b32_e32 v1, 0x7fc00000, v1, vcc_lo
	v_cmp_o_f32_e32 vcc_lo, v2, v2
	s_delay_alu instid0(VALU_DEP_3) | instskip(NEXT) | instid1(VALU_DEP_1)
	v_cndmask_b32_e32 v2, 0x7fc00000, v4, vcc_lo
	v_add_f32_e32 v4, v2, v1
	s_delay_alu instid0(VALU_DEP_1) | instskip(SKIP_1) | instid1(VALU_DEP_2)
	v_bfe_u32 v1, v4, 16, 1
	v_cmp_o_f32_e32 vcc_lo, v4, v4
	v_add3_u32 v2, v4, v1, 0x7fff
	s_delay_alu instid0(VALU_DEP_1) | instskip(NEXT) | instid1(VALU_DEP_1)
	v_dual_mov_b32 v1, 0 :: v_dual_lshrrev_b32 v5, 16, v2
	v_add_nc_u64_e32 v[2:3], s[4:5], v[0:1]
	s_delay_alu instid0(VALU_DEP_2)
	v_cndmask_b32_e32 v1, 0x7fc0, v5, vcc_lo
	s_cbranch_scc1 .LBB175_4200
; %bb.4080:
	s_mov_b32 s4, -1
	s_mov_b32 s3, 0
	s_cmp_gt_i32 s2, 25
	s_mov_b32 s0, 0
	s_cbranch_scc0 .LBB175_4113
; %bb.4081:
	s_cmp_gt_i32 s2, 28
	s_cbranch_scc0 .LBB175_4097
; %bb.4082:
	s_cmp_gt_i32 s2, 43
	s_cbranch_scc0 .LBB175_4093
; %bb.4083:
	s_cmp_gt_i32 s2, 45
	s_cbranch_scc0 .LBB175_4087
; %bb.4084:
	s_cmp_eq_u32 s2, 46
	s_mov_b32 s0, -1
	s_cbranch_scc0 .LBB175_4086
; %bb.4085:
	v_and_b32_e32 v0, 0xffff, v1
	s_mov_b32 s0, 0
	global_store_b32 v[2:3], v0, off
.LBB175_4086:
	s_mov_b32 s4, 0
.LBB175_4087:
	s_delay_alu instid0(SALU_CYCLE_1)
	s_and_b32 vcc_lo, exec_lo, s4
	s_cbranch_vccz .LBB175_4092
; %bb.4088:
	s_cmp_eq_u32 s2, 44
	s_mov_b32 s0, -1
	s_cbranch_scc0 .LBB175_4092
; %bb.4089:
	s_wait_xcnt 0x0
	v_and_b32_e32 v0, 0xffff, v1
	v_mov_b32_e32 v4, 0xff
	s_mov_b32 s4, exec_lo
	s_delay_alu instid0(VALU_DEP_2) | instskip(NEXT) | instid1(VALU_DEP_1)
	v_bfe_u32 v5, v0, 7, 8
	v_cmpx_ne_u32_e32 0xff, v5
	s_cbranch_execz .LBB175_4091
; %bb.4090:
	v_dual_lshlrev_b32 v4, 16, v0 :: v_dual_bitop2_b32 v6, 64, v0 bitop3:0x40
	v_lshrrev_b32_e32 v0, 7, v0
	s_delay_alu instid0(VALU_DEP_2) | instskip(NEXT) | instid1(VALU_DEP_3)
	v_and_or_b32 v4, 0x3f0000, v4, v5
	v_cmp_ne_u32_e32 vcc_lo, 0, v6
	s_delay_alu instid0(VALU_DEP_2) | instskip(SKIP_1) | instid1(SALU_CYCLE_1)
	v_cmp_ne_u32_e64 s0, 0, v4
	s_and_b32 s0, vcc_lo, s0
	v_cndmask_b32_e64 v4, 0, 1, s0
	s_delay_alu instid0(VALU_DEP_1)
	v_add_nc_u32_e32 v4, v0, v4
.LBB175_4091:
	s_or_b32 exec_lo, exec_lo, s4
	s_mov_b32 s0, 0
	global_store_b8 v[2:3], v4, off
.LBB175_4092:
	s_mov_b32 s4, 0
.LBB175_4093:
	s_delay_alu instid0(SALU_CYCLE_1)
	s_and_b32 vcc_lo, exec_lo, s4
	s_cbranch_vccz .LBB175_4096
; %bb.4094:
	s_cmp_eq_u32 s2, 29
	s_mov_b32 s0, -1
	s_cbranch_scc0 .LBB175_4096
; %bb.4095:
	s_wait_xcnt 0x0
	v_lshlrev_b32_e32 v0, 16, v1
	s_mov_b32 s0, 0
	s_delay_alu instid0(VALU_DEP_1) | instskip(NEXT) | instid1(VALU_DEP_1)
	v_trunc_f32_e32 v0, v0
	v_mul_f32_e32 v4, 0x2f800000, v0
	s_delay_alu instid0(VALU_DEP_1) | instskip(NEXT) | instid1(VALU_DEP_1)
	v_floor_f32_e32 v4, v4
	v_fmamk_f32 v0, v4, 0xcf800000, v0
	v_cvt_u32_f32_e32 v5, v4
	s_delay_alu instid0(VALU_DEP_2)
	v_cvt_u32_f32_e32 v4, v0
	global_store_b64 v[2:3], v[4:5], off
.LBB175_4096:
	s_mov_b32 s4, 0
.LBB175_4097:
	s_delay_alu instid0(SALU_CYCLE_1)
	s_and_b32 vcc_lo, exec_lo, s4
	s_cbranch_vccz .LBB175_4112
; %bb.4098:
	s_cmp_lt_i32 s2, 27
	s_mov_b32 s4, -1
	s_cbranch_scc1 .LBB175_4104
; %bb.4099:
	s_cmp_gt_i32 s2, 27
	s_cbranch_scc0 .LBB175_4101
; %bb.4100:
	s_wait_xcnt 0x0
	v_lshlrev_b32_e32 v0, 16, v1
	s_mov_b32 s4, 0
	s_delay_alu instid0(VALU_DEP_1)
	v_cvt_u32_f32_e32 v0, v0
	global_store_b32 v[2:3], v0, off
.LBB175_4101:
	s_and_not1_b32 vcc_lo, exec_lo, s4
	s_cbranch_vccnz .LBB175_4103
; %bb.4102:
	s_wait_xcnt 0x0
	v_lshlrev_b32_e32 v0, 16, v1
	s_delay_alu instid0(VALU_DEP_1)
	v_cvt_u32_f32_e32 v0, v0
	global_store_b16 v[2:3], v0, off
.LBB175_4103:
	s_mov_b32 s4, 0
.LBB175_4104:
	s_delay_alu instid0(SALU_CYCLE_1)
	s_and_not1_b32 vcc_lo, exec_lo, s4
	s_cbranch_vccnz .LBB175_4112
; %bb.4105:
	s_wait_xcnt 0x0
	v_dual_mov_b32 v6, 0x80 :: v_dual_lshlrev_b32 v5, 16, v1
	s_mov_b32 s4, exec_lo
	s_delay_alu instid0(VALU_DEP_1) | instskip(NEXT) | instid1(VALU_DEP_1)
	v_and_b32_e32 v4, 0x7fffffff, v5
	v_cmpx_gt_u32_e32 0x43800000, v4
	s_cbranch_execz .LBB175_4111
; %bb.4106:
	v_and_b32_e32 v0, 0xffff, v1
	v_cmp_lt_u32_e32 vcc_lo, 0x3bffffff, v4
	s_mov_b32 s5, 0
                                        ; implicit-def: $vgpr4
	s_and_saveexec_b32 s7, vcc_lo
	s_delay_alu instid0(SALU_CYCLE_1)
	s_xor_b32 s7, exec_lo, s7
	s_cbranch_execz .LBB175_4217
; %bb.4107:
	v_bfe_u32 v4, v0, 4, 1
	s_mov_b32 s5, exec_lo
	s_delay_alu instid0(VALU_DEP_1) | instskip(NEXT) | instid1(VALU_DEP_1)
	v_add3_u32 v4, v5, v4, 0x487ffff
                                        ; implicit-def: $vgpr5
	v_lshrrev_b32_e32 v4, 20, v4
	s_and_not1_saveexec_b32 s7, s7
	s_cbranch_execnz .LBB175_4218
.LBB175_4108:
	s_or_b32 exec_lo, exec_lo, s7
	v_mov_b32_e32 v6, 0
	s_and_saveexec_b32 s7, s5
.LBB175_4109:
	v_lshrrev_b32_e32 v0, 8, v0
	s_delay_alu instid0(VALU_DEP_1)
	v_and_or_b32 v6, 0x80, v0, v4
.LBB175_4110:
	s_or_b32 exec_lo, exec_lo, s7
.LBB175_4111:
	s_delay_alu instid0(SALU_CYCLE_1)
	s_or_b32 exec_lo, exec_lo, s4
	global_store_b8 v[2:3], v6, off
.LBB175_4112:
	s_mov_b32 s4, 0
.LBB175_4113:
	s_delay_alu instid0(SALU_CYCLE_1)
	s_and_b32 vcc_lo, exec_lo, s4
	s_cbranch_vccz .LBB175_4153
; %bb.4114:
	s_cmp_gt_i32 s2, 22
	s_mov_b32 s3, -1
	s_cbranch_scc0 .LBB175_4146
; %bb.4115:
	s_cmp_lt_i32 s2, 24
	s_cbranch_scc1 .LBB175_4135
; %bb.4116:
	s_cmp_gt_i32 s2, 24
	s_cbranch_scc0 .LBB175_4124
; %bb.4117:
	s_wait_xcnt 0x0
	v_dual_mov_b32 v6, 0x80 :: v_dual_lshlrev_b32 v5, 16, v1
	s_mov_b32 s3, exec_lo
	s_delay_alu instid0(VALU_DEP_1) | instskip(NEXT) | instid1(VALU_DEP_1)
	v_and_b32_e32 v4, 0x7fffffff, v5
	v_cmpx_gt_u32_e32 0x47800000, v4
	s_cbranch_execz .LBB175_4123
; %bb.4118:
	v_and_b32_e32 v0, 0xffff, v1
	v_cmp_lt_u32_e32 vcc_lo, 0x37ffffff, v4
	s_mov_b32 s4, 0
                                        ; implicit-def: $vgpr4
	s_and_saveexec_b32 s5, vcc_lo
	s_delay_alu instid0(SALU_CYCLE_1)
	s_xor_b32 s5, exec_lo, s5
	s_cbranch_execz .LBB175_4220
; %bb.4119:
	v_bfe_u32 v4, v0, 5, 1
	s_mov_b32 s4, exec_lo
	s_delay_alu instid0(VALU_DEP_1) | instskip(NEXT) | instid1(VALU_DEP_1)
	v_add3_u32 v4, v5, v4, 0x88fffff
                                        ; implicit-def: $vgpr5
	v_lshrrev_b32_e32 v4, 21, v4
	s_and_not1_saveexec_b32 s5, s5
	s_cbranch_execnz .LBB175_4221
.LBB175_4120:
	s_or_b32 exec_lo, exec_lo, s5
	v_mov_b32_e32 v6, 0
	s_and_saveexec_b32 s5, s4
.LBB175_4121:
	v_lshrrev_b32_e32 v0, 8, v0
	s_delay_alu instid0(VALU_DEP_1)
	v_and_or_b32 v6, 0x80, v0, v4
.LBB175_4122:
	s_or_b32 exec_lo, exec_lo, s5
.LBB175_4123:
	s_delay_alu instid0(SALU_CYCLE_1)
	s_or_b32 exec_lo, exec_lo, s3
	s_mov_b32 s3, 0
	global_store_b8 v[2:3], v6, off
.LBB175_4124:
	s_and_b32 vcc_lo, exec_lo, s3
	s_cbranch_vccz .LBB175_4134
; %bb.4125:
	s_wait_xcnt 0x0
	v_lshlrev_b32_e32 v5, 16, v1
	v_and_b32_e32 v0, 0xffff, v1
	s_mov_b32 s3, exec_lo
                                        ; implicit-def: $vgpr4
	s_delay_alu instid0(VALU_DEP_2) | instskip(NEXT) | instid1(VALU_DEP_1)
	v_and_b32_e32 v6, 0x7fffffff, v5
	v_cmpx_gt_u32_e32 0x43f00000, v6
	s_xor_b32 s3, exec_lo, s3
	s_cbranch_execz .LBB175_4131
; %bb.4126:
	s_mov_b32 s4, exec_lo
                                        ; implicit-def: $vgpr4
	v_cmpx_lt_u32_e32 0x3c7fffff, v6
	s_xor_b32 s4, exec_lo, s4
; %bb.4127:
	v_bfe_u32 v4, v0, 4, 1
	s_delay_alu instid0(VALU_DEP_1) | instskip(NEXT) | instid1(VALU_DEP_1)
	v_add3_u32 v4, v5, v4, 0x407ffff
	v_and_b32_e32 v5, 0xff00000, v4
	v_lshrrev_b32_e32 v4, 20, v4
	s_delay_alu instid0(VALU_DEP_2) | instskip(NEXT) | instid1(VALU_DEP_2)
	v_cmp_ne_u32_e32 vcc_lo, 0x7f00000, v5
                                        ; implicit-def: $vgpr5
	v_cndmask_b32_e32 v4, 0x7e, v4, vcc_lo
; %bb.4128:
	s_and_not1_saveexec_b32 s4, s4
; %bb.4129:
	v_add_f32_e64 v4, 0x46800000, |v5|
; %bb.4130:
	s_or_b32 exec_lo, exec_lo, s4
                                        ; implicit-def: $vgpr6
.LBB175_4131:
	s_and_not1_saveexec_b32 s3, s3
; %bb.4132:
	v_mov_b32_e32 v4, 0x7f
	v_cmp_lt_u32_e32 vcc_lo, 0x7f800000, v6
	s_delay_alu instid0(VALU_DEP_2)
	v_cndmask_b32_e32 v4, 0x7e, v4, vcc_lo
; %bb.4133:
	s_or_b32 exec_lo, exec_lo, s3
	v_lshrrev_b32_e32 v0, 8, v0
	s_delay_alu instid0(VALU_DEP_1)
	v_and_or_b32 v0, 0x80, v0, v4
	global_store_b8 v[2:3], v0, off
.LBB175_4134:
	s_mov_b32 s3, 0
.LBB175_4135:
	s_delay_alu instid0(SALU_CYCLE_1)
	s_and_not1_b32 vcc_lo, exec_lo, s3
	s_cbranch_vccnz .LBB175_4145
; %bb.4136:
	s_wait_xcnt 0x0
	v_lshlrev_b32_e32 v5, 16, v1
	v_and_b32_e32 v0, 0xffff, v1
	s_mov_b32 s3, exec_lo
                                        ; implicit-def: $vgpr4
	s_delay_alu instid0(VALU_DEP_2) | instskip(NEXT) | instid1(VALU_DEP_1)
	v_and_b32_e32 v6, 0x7fffffff, v5
	v_cmpx_gt_u32_e32 0x47800000, v6
	s_xor_b32 s3, exec_lo, s3
	s_cbranch_execz .LBB175_4142
; %bb.4137:
	s_mov_b32 s4, exec_lo
                                        ; implicit-def: $vgpr4
	v_cmpx_lt_u32_e32 0x387fffff, v6
	s_xor_b32 s4, exec_lo, s4
; %bb.4138:
	v_bfe_u32 v4, v0, 5, 1
	s_delay_alu instid0(VALU_DEP_1) | instskip(NEXT) | instid1(VALU_DEP_1)
	v_add3_u32 v4, v5, v4, 0x80fffff
                                        ; implicit-def: $vgpr5
	v_lshrrev_b32_e32 v4, 21, v4
; %bb.4139:
	s_and_not1_saveexec_b32 s4, s4
; %bb.4140:
	v_add_f32_e64 v4, 0x43000000, |v5|
; %bb.4141:
	s_or_b32 exec_lo, exec_lo, s4
                                        ; implicit-def: $vgpr6
.LBB175_4142:
	s_and_not1_saveexec_b32 s3, s3
; %bb.4143:
	v_mov_b32_e32 v4, 0x7f
	v_cmp_lt_u32_e32 vcc_lo, 0x7f800000, v6
	s_delay_alu instid0(VALU_DEP_2)
	v_cndmask_b32_e32 v4, 0x7c, v4, vcc_lo
; %bb.4144:
	s_or_b32 exec_lo, exec_lo, s3
	v_lshrrev_b32_e32 v0, 8, v0
	s_delay_alu instid0(VALU_DEP_1)
	v_and_or_b32 v0, 0x80, v0, v4
	global_store_b8 v[2:3], v0, off
.LBB175_4145:
	s_mov_b32 s3, 0
.LBB175_4146:
	s_delay_alu instid0(SALU_CYCLE_1)
	s_and_not1_b32 vcc_lo, exec_lo, s3
	s_mov_b32 s3, 0
	s_cbranch_vccnz .LBB175_4153
; %bb.4147:
	s_cmp_gt_i32 s2, 14
	s_mov_b32 s3, -1
	s_cbranch_scc0 .LBB175_4151
; %bb.4148:
	s_cmp_eq_u32 s2, 15
	s_mov_b32 s0, -1
	s_cbranch_scc0 .LBB175_4150
; %bb.4149:
	s_mov_b32 s0, 0
	global_store_b16 v[2:3], v1, off
.LBB175_4150:
	s_mov_b32 s3, 0
.LBB175_4151:
	s_delay_alu instid0(SALU_CYCLE_1)
	s_and_b32 vcc_lo, exec_lo, s3
	s_mov_b32 s3, 0
	s_cbranch_vccz .LBB175_4153
; %bb.4152:
	s_cmp_lg_u32 s2, 11
	s_mov_b32 s3, -1
	s_cselect_b32 s0, -1, 0
.LBB175_4153:
	s_delay_alu instid0(SALU_CYCLE_1)
	s_and_b32 vcc_lo, exec_lo, s0
	s_cbranch_vccnz .LBB175_4219
.LBB175_4154:
	s_mov_b32 s0, 0
	s_branch .LBB175_4156
.LBB175_4155:
	s_mov_b32 s0, 0
	s_mov_b32 s3, 0
                                        ; implicit-def: $vgpr2_vgpr3
                                        ; implicit-def: $sgpr6
                                        ; implicit-def: $vgpr1
.LBB175_4156:
	s_and_not1_b32 s2, s12, exec_lo
	s_and_b32 s1, s1, exec_lo
	s_and_b32 s0, s0, exec_lo
	;; [unrolled: 1-line block ×3, first 2 shown]
	s_or_b32 s12, s2, s1
.LBB175_4157:
	s_wait_xcnt 0x0
	s_or_b32 exec_lo, exec_lo, s13
	s_and_saveexec_b32 s1, s12
	s_cbranch_execz .LBB175_4160
; %bb.4158:
	; divergent unreachable
	s_or_b32 exec_lo, exec_lo, s1
	s_and_saveexec_b32 s1, s37
	s_delay_alu instid0(SALU_CYCLE_1)
	s_xor_b32 s1, exec_lo, s1
	s_cbranch_execnz .LBB175_4161
.LBB175_4159:
	s_or_b32 exec_lo, exec_lo, s1
	s_and_saveexec_b32 s1, s0
	s_cbranch_execnz .LBB175_4162
	s_branch .LBB175_4199
.LBB175_4160:
	s_or_b32 exec_lo, exec_lo, s1
	s_and_saveexec_b32 s1, s37
	s_delay_alu instid0(SALU_CYCLE_1)
	s_xor_b32 s1, exec_lo, s1
	s_cbranch_execz .LBB175_4159
.LBB175_4161:
	s_wait_loadcnt 0x0
	v_and_b32_e32 v0, 0x7fff, v1
	s_delay_alu instid0(VALU_DEP_1)
	v_cmp_ne_u16_e32 vcc_lo, 0, v0
	v_cndmask_b32_e64 v0, 0, 1, vcc_lo
	global_store_b8 v[2:3], v0, off
	s_wait_xcnt 0x0
	s_or_b32 exec_lo, exec_lo, s1
	s_and_saveexec_b32 s1, s0
	s_cbranch_execz .LBB175_4199
.LBB175_4162:
	s_sext_i32_i16 s1, s6
	s_mov_b32 s0, -1
	s_cmp_lt_i32 s1, 5
	s_cbranch_scc1 .LBB175_4183
; %bb.4163:
	s_cmp_lt_i32 s1, 8
	s_cbranch_scc1 .LBB175_4173
; %bb.4164:
	;; [unrolled: 3-line block ×3, first 2 shown]
	s_cmp_gt_i32 s1, 9
	s_cbranch_scc0 .LBB175_4167
; %bb.4166:
	s_wait_loadcnt 0x0
	v_dual_lshlrev_b32 v0, 16, v1 :: v_dual_mov_b32 v6, 0
	s_mov_b32 s0, 0
	s_delay_alu instid0(VALU_DEP_1) | instskip(NEXT) | instid1(VALU_DEP_2)
	v_cvt_f64_f32_e32 v[4:5], v0
	v_mov_b32_e32 v7, v6
	global_store_b128 v[2:3], v[4:7], off
.LBB175_4167:
	s_and_not1_b32 vcc_lo, exec_lo, s0
	s_cbranch_vccnz .LBB175_4169
; %bb.4168:
	s_wait_loadcnt 0x0
	v_dual_mov_b32 v5, 0 :: v_dual_lshlrev_b32 v4, 16, v1
	global_store_b64 v[2:3], v[4:5], off
.LBB175_4169:
	s_mov_b32 s0, 0
.LBB175_4170:
	s_delay_alu instid0(SALU_CYCLE_1)
	s_and_not1_b32 vcc_lo, exec_lo, s0
	s_cbranch_vccnz .LBB175_4172
; %bb.4171:
	s_wait_loadcnt 0x0
	v_lshlrev_b32_e32 v0, 16, v1
	s_delay_alu instid0(VALU_DEP_1) | instskip(NEXT) | instid1(VALU_DEP_1)
	v_cvt_f16_f32_e32 v0, v0
	v_and_b32_e32 v0, 0xffff, v0
	global_store_b32 v[2:3], v0, off
.LBB175_4172:
	s_mov_b32 s0, 0
.LBB175_4173:
	s_delay_alu instid0(SALU_CYCLE_1)
	s_and_not1_b32 vcc_lo, exec_lo, s0
	s_cbranch_vccnz .LBB175_4182
; %bb.4174:
	s_sext_i32_i16 s1, s6
	s_mov_b32 s0, -1
	s_cmp_lt_i32 s1, 6
	s_cbranch_scc1 .LBB175_4180
; %bb.4175:
	s_cmp_gt_i32 s1, 6
	s_cbranch_scc0 .LBB175_4177
; %bb.4176:
	s_wait_loadcnt 0x0
	v_lshlrev_b32_e32 v0, 16, v1
	s_mov_b32 s0, 0
	s_delay_alu instid0(VALU_DEP_1)
	v_cvt_f64_f32_e32 v[4:5], v0
	global_store_b64 v[2:3], v[4:5], off
.LBB175_4177:
	s_and_not1_b32 vcc_lo, exec_lo, s0
	s_cbranch_vccnz .LBB175_4179
; %bb.4178:
	s_wait_loadcnt 0x0
	v_lshlrev_b32_e32 v0, 16, v1
	global_store_b32 v[2:3], v0, off
.LBB175_4179:
	s_mov_b32 s0, 0
.LBB175_4180:
	s_delay_alu instid0(SALU_CYCLE_1)
	s_and_not1_b32 vcc_lo, exec_lo, s0
	s_cbranch_vccnz .LBB175_4182
; %bb.4181:
	s_wait_loadcnt 0x0
	v_lshlrev_b32_e32 v0, 16, v1
	s_delay_alu instid0(VALU_DEP_1)
	v_cvt_f16_f32_e32 v0, v0
	global_store_b16 v[2:3], v0, off
.LBB175_4182:
	s_mov_b32 s0, 0
.LBB175_4183:
	s_delay_alu instid0(SALU_CYCLE_1)
	s_and_not1_b32 vcc_lo, exec_lo, s0
	s_cbranch_vccnz .LBB175_4199
; %bb.4184:
	s_sext_i32_i16 s1, s6
	s_mov_b32 s0, -1
	s_cmp_lt_i32 s1, 2
	s_cbranch_scc1 .LBB175_4194
; %bb.4185:
	s_cmp_lt_i32 s1, 3
	s_cbranch_scc1 .LBB175_4191
; %bb.4186:
	s_cmp_gt_i32 s1, 3
	s_cbranch_scc0 .LBB175_4188
; %bb.4187:
	s_wait_loadcnt 0x0
	v_lshlrev_b32_e32 v0, 16, v1
	s_mov_b32 s0, 0
	s_delay_alu instid0(VALU_DEP_1) | instskip(NEXT) | instid1(VALU_DEP_1)
	v_trunc_f32_e32 v0, v0
	v_mul_f32_e64 v4, 0x2f800000, |v0|
	s_delay_alu instid0(VALU_DEP_1) | instskip(SKIP_1) | instid1(VALU_DEP_2)
	v_floor_f32_e32 v5, v4
	v_ashrrev_i32_e32 v4, 31, v0
	v_fma_f32 v6, 0xcf800000, v5, |v0|
	v_cvt_u32_f32_e32 v0, v5
	s_delay_alu instid0(VALU_DEP_3) | instskip(NEXT) | instid1(VALU_DEP_3)
	v_mov_b32_e32 v5, v4
	v_cvt_u32_f32_e32 v6, v6
	s_delay_alu instid0(VALU_DEP_3) | instskip(NEXT) | instid1(VALU_DEP_2)
	v_xor_b32_e32 v7, v0, v4
	v_xor_b32_e32 v6, v6, v4
	s_delay_alu instid0(VALU_DEP_1)
	v_sub_nc_u64_e32 v[4:5], v[6:7], v[4:5]
	global_store_b64 v[2:3], v[4:5], off
.LBB175_4188:
	s_and_not1_b32 vcc_lo, exec_lo, s0
	s_cbranch_vccnz .LBB175_4190
; %bb.4189:
	s_wait_loadcnt 0x0
	v_lshlrev_b32_e32 v0, 16, v1
	s_delay_alu instid0(VALU_DEP_1)
	v_cvt_i32_f32_e32 v0, v0
	global_store_b32 v[2:3], v0, off
.LBB175_4190:
	s_mov_b32 s0, 0
.LBB175_4191:
	s_delay_alu instid0(SALU_CYCLE_1)
	s_and_not1_b32 vcc_lo, exec_lo, s0
	s_cbranch_vccnz .LBB175_4193
; %bb.4192:
	s_wait_loadcnt 0x0
	v_lshlrev_b32_e32 v0, 16, v1
	s_delay_alu instid0(VALU_DEP_1)
	v_cvt_i32_f32_e32 v0, v0
	global_store_b16 v[2:3], v0, off
.LBB175_4193:
	s_mov_b32 s0, 0
.LBB175_4194:
	s_delay_alu instid0(SALU_CYCLE_1)
	s_and_not1_b32 vcc_lo, exec_lo, s0
	s_cbranch_vccnz .LBB175_4199
; %bb.4195:
	s_sext_i32_i16 s0, s6
	s_delay_alu instid0(SALU_CYCLE_1)
	s_cmp_gt_i32 s0, 0
	s_mov_b32 s0, -1
	s_cbranch_scc0 .LBB175_4197
; %bb.4196:
	s_wait_loadcnt 0x0
	v_lshlrev_b32_e32 v0, 16, v1
	s_mov_b32 s0, 0
	s_delay_alu instid0(VALU_DEP_1)
	v_cvt_i32_f32_e32 v0, v0
	global_store_b8 v[2:3], v0, off
.LBB175_4197:
	s_and_not1_b32 vcc_lo, exec_lo, s0
	s_cbranch_vccnz .LBB175_4199
; %bb.4198:
	s_wait_loadcnt 0x0
	v_lshlrev_b32_e32 v0, 16, v1
	s_delay_alu instid0(VALU_DEP_1) | instskip(NEXT) | instid1(VALU_DEP_1)
	v_trunc_f32_e32 v0, v0
	v_mul_f32_e64 v1, 0x2f800000, |v0|
	s_delay_alu instid0(VALU_DEP_1) | instskip(NEXT) | instid1(VALU_DEP_1)
	v_floor_f32_e32 v1, v1
	v_fma_f32 v1, 0xcf800000, v1, |v0|
	v_ashrrev_i32_e32 v0, 31, v0
	s_delay_alu instid0(VALU_DEP_2) | instskip(NEXT) | instid1(VALU_DEP_1)
	v_cvt_u32_f32_e32 v1, v1
	v_xor_b32_e32 v1, v1, v0
	s_delay_alu instid0(VALU_DEP_1)
	v_sub_nc_u32_e32 v0, v1, v0
	global_store_b8 v[2:3], v0, off
	s_endpgm
.LBB175_4199:
	s_endpgm
.LBB175_4200:
	s_mov_b32 s3, 0
	s_mov_b32 s0, -1
	s_branch .LBB175_4156
.LBB175_4201:
	s_or_b32 s1, s1, exec_lo
	s_trap 2
	s_cbranch_execz .LBB175_3670
	s_branch .LBB175_3671
.LBB175_4202:
	s_and_not1_saveexec_b32 s10, s10
	s_cbranch_execz .LBB175_3750
.LBB175_4203:
	v_add_f32_e64 v8, 0x46000000, |v9|
	s_and_not1_b32 s9, s9, exec_lo
	s_delay_alu instid0(VALU_DEP_1) | instskip(NEXT) | instid1(VALU_DEP_1)
	v_and_b32_e32 v8, 0xff, v8
	v_cmp_ne_u32_e32 vcc_lo, 0, v8
	s_and_b32 s11, vcc_lo, exec_lo
	s_delay_alu instid0(SALU_CYCLE_1)
	s_or_b32 s9, s9, s11
	s_or_b32 exec_lo, exec_lo, s10
	v_mov_b32_e32 v11, 0
	s_and_saveexec_b32 s10, s9
	s_cbranch_execnz .LBB175_3751
	s_branch .LBB175_3752
.LBB175_4204:
	s_or_b32 s1, s1, exec_lo
	s_trap 2
	s_cbranch_execz .LBB175_3798
	s_branch .LBB175_3799
.LBB175_4205:
	s_and_not1_saveexec_b32 s9, s9
	s_cbranch_execz .LBB175_3763
.LBB175_4206:
	v_add_f32_e64 v8, 0x42800000, |v9|
	s_and_not1_b32 s8, s8, exec_lo
	s_delay_alu instid0(VALU_DEP_1) | instskip(NEXT) | instid1(VALU_DEP_1)
	v_and_b32_e32 v8, 0xff, v8
	v_cmp_ne_u32_e32 vcc_lo, 0, v8
	s_and_b32 s10, vcc_lo, exec_lo
	s_delay_alu instid0(SALU_CYCLE_1)
	s_or_b32 s8, s8, s10
	s_or_b32 exec_lo, exec_lo, s9
	v_mov_b32_e32 v11, 0
	s_and_saveexec_b32 s9, s8
	s_cbranch_execnz .LBB175_3764
	s_branch .LBB175_3765
.LBB175_4207:
	s_and_not1_saveexec_b32 s10, s10
	s_cbranch_execz .LBB175_3869
.LBB175_4208:
	v_add_f32_e64 v7, 0x46000000, |v8|
	s_and_not1_b32 s9, s9, exec_lo
	s_delay_alu instid0(VALU_DEP_1) | instskip(NEXT) | instid1(VALU_DEP_1)
	v_and_b32_e32 v7, 0xff, v7
	v_cmp_ne_u32_e32 vcc_lo, 0, v7
	s_and_b32 s11, vcc_lo, exec_lo
	s_delay_alu instid0(SALU_CYCLE_1)
	s_or_b32 s9, s9, s11
	s_or_b32 exec_lo, exec_lo, s10
	v_mov_b32_e32 v9, 0
	s_and_saveexec_b32 s10, s9
	s_cbranch_execnz .LBB175_3870
	s_branch .LBB175_3871
.LBB175_4209:
	s_or_b32 s1, s1, exec_lo
	s_trap 2
	s_cbranch_execz .LBB175_3917
	s_branch .LBB175_3918
.LBB175_4210:
	s_and_not1_saveexec_b32 s9, s9
	s_cbranch_execz .LBB175_3882
.LBB175_4211:
	v_add_f32_e64 v7, 0x42800000, |v8|
	s_and_not1_b32 s8, s8, exec_lo
	s_delay_alu instid0(VALU_DEP_1) | instskip(NEXT) | instid1(VALU_DEP_1)
	v_and_b32_e32 v7, 0xff, v7
	v_cmp_ne_u32_e32 vcc_lo, 0, v7
	s_and_b32 s10, vcc_lo, exec_lo
	s_delay_alu instid0(SALU_CYCLE_1)
	s_or_b32 s8, s8, s10
	s_or_b32 exec_lo, exec_lo, s9
	v_mov_b32_e32 v9, 0
	s_and_saveexec_b32 s9, s8
	s_cbranch_execnz .LBB175_3883
	s_branch .LBB175_3884
.LBB175_4212:
	s_and_not1_saveexec_b32 s10, s10
	s_cbranch_execz .LBB175_3988
.LBB175_4213:
	v_add_f32_e64 v6, 0x46000000, |v7|
	s_and_not1_b32 s9, s9, exec_lo
	s_delay_alu instid0(VALU_DEP_1) | instskip(NEXT) | instid1(VALU_DEP_1)
	v_and_b32_e32 v6, 0xff, v6
	v_cmp_ne_u32_e32 vcc_lo, 0, v6
	s_and_b32 s11, vcc_lo, exec_lo
	s_delay_alu instid0(SALU_CYCLE_1)
	s_or_b32 s9, s9, s11
	s_or_b32 exec_lo, exec_lo, s10
	v_mov_b32_e32 v8, 0
	s_and_saveexec_b32 s10, s9
	s_cbranch_execnz .LBB175_3989
	s_branch .LBB175_3990
.LBB175_4214:
	s_or_b32 s1, s1, exec_lo
	s_trap 2
	s_cbranch_execz .LBB175_4036
	s_branch .LBB175_4037
.LBB175_4215:
	s_and_not1_saveexec_b32 s9, s9
	s_cbranch_execz .LBB175_4001
.LBB175_4216:
	v_add_f32_e64 v6, 0x42800000, |v7|
	s_and_not1_b32 s8, s8, exec_lo
	s_delay_alu instid0(VALU_DEP_1) | instskip(NEXT) | instid1(VALU_DEP_1)
	v_and_b32_e32 v6, 0xff, v6
	v_cmp_ne_u32_e32 vcc_lo, 0, v6
	s_and_b32 s10, vcc_lo, exec_lo
	s_delay_alu instid0(SALU_CYCLE_1)
	s_or_b32 s8, s8, s10
	s_or_b32 exec_lo, exec_lo, s9
	v_mov_b32_e32 v8, 0
	s_and_saveexec_b32 s9, s8
	s_cbranch_execnz .LBB175_4002
	s_branch .LBB175_4003
.LBB175_4217:
	s_and_not1_saveexec_b32 s7, s7
	s_cbranch_execz .LBB175_4108
.LBB175_4218:
	v_add_f32_e64 v4, 0x46000000, |v5|
	s_and_not1_b32 s5, s5, exec_lo
	s_delay_alu instid0(VALU_DEP_1) | instskip(NEXT) | instid1(VALU_DEP_1)
	v_and_b32_e32 v4, 0xff, v4
	v_cmp_ne_u32_e32 vcc_lo, 0, v4
	s_and_b32 s8, vcc_lo, exec_lo
	s_delay_alu instid0(SALU_CYCLE_1)
	s_or_b32 s5, s5, s8
	s_or_b32 exec_lo, exec_lo, s7
	v_mov_b32_e32 v6, 0
	s_and_saveexec_b32 s7, s5
	s_cbranch_execnz .LBB175_4109
	s_branch .LBB175_4110
.LBB175_4219:
	s_mov_b32 s3, 0
	s_or_b32 s1, s1, exec_lo
	s_trap 2
	s_branch .LBB175_4154
.LBB175_4220:
	s_and_not1_saveexec_b32 s5, s5
	s_cbranch_execz .LBB175_4120
.LBB175_4221:
	v_add_f32_e64 v4, 0x42800000, |v5|
	s_and_not1_b32 s4, s4, exec_lo
	s_delay_alu instid0(VALU_DEP_1) | instskip(NEXT) | instid1(VALU_DEP_1)
	v_and_b32_e32 v4, 0xff, v4
	v_cmp_ne_u32_e32 vcc_lo, 0, v4
	s_and_b32 s7, vcc_lo, exec_lo
	s_delay_alu instid0(SALU_CYCLE_1)
	s_or_b32 s4, s4, s7
	s_or_b32 exec_lo, exec_lo, s5
	v_mov_b32_e32 v6, 0
	s_and_saveexec_b32 s5, s4
	s_cbranch_execnz .LBB175_4121
	s_branch .LBB175_4122
	.section	.rodata,"a",@progbits
	.p2align	6, 0x0
	.amdhsa_kernel _ZN2at6native32elementwise_kernel_manual_unrollILi128ELi4EZNS0_15gpu_kernel_implIZZZNS0_12_GLOBAL__N_116addr_kernel_cudaERNS_14TensorIteratorERKN3c106ScalarES9_ENKUlvE_clEvENKUlvE8_clEvEUlNS6_8BFloat16ESC_SC_E0_EEvRNS_18TensorIteratorBaseERKT_EUlibE0_EEviT1_
		.amdhsa_group_segment_fixed_size 0
		.amdhsa_private_segment_fixed_size 0
		.amdhsa_kernarg_size 504
		.amdhsa_user_sgpr_count 2
		.amdhsa_user_sgpr_dispatch_ptr 0
		.amdhsa_user_sgpr_queue_ptr 0
		.amdhsa_user_sgpr_kernarg_segment_ptr 1
		.amdhsa_user_sgpr_dispatch_id 0
		.amdhsa_user_sgpr_kernarg_preload_length 0
		.amdhsa_user_sgpr_kernarg_preload_offset 0
		.amdhsa_user_sgpr_private_segment_size 0
		.amdhsa_wavefront_size32 1
		.amdhsa_uses_dynamic_stack 0
		.amdhsa_enable_private_segment 0
		.amdhsa_system_sgpr_workgroup_id_x 1
		.amdhsa_system_sgpr_workgroup_id_y 0
		.amdhsa_system_sgpr_workgroup_id_z 0
		.amdhsa_system_sgpr_workgroup_info 0
		.amdhsa_system_vgpr_workitem_id 0
		.amdhsa_next_free_vgpr 34
		.amdhsa_next_free_sgpr 76
		.amdhsa_named_barrier_count 0
		.amdhsa_reserve_vcc 1
		.amdhsa_float_round_mode_32 0
		.amdhsa_float_round_mode_16_64 0
		.amdhsa_float_denorm_mode_32 3
		.amdhsa_float_denorm_mode_16_64 3
		.amdhsa_fp16_overflow 0
		.amdhsa_memory_ordered 1
		.amdhsa_forward_progress 1
		.amdhsa_inst_pref_size 255
		.amdhsa_round_robin_scheduling 0
		.amdhsa_exception_fp_ieee_invalid_op 0
		.amdhsa_exception_fp_denorm_src 0
		.amdhsa_exception_fp_ieee_div_zero 0
		.amdhsa_exception_fp_ieee_overflow 0
		.amdhsa_exception_fp_ieee_underflow 0
		.amdhsa_exception_fp_ieee_inexact 0
		.amdhsa_exception_int_div_zero 0
	.end_amdhsa_kernel
	.section	.text._ZN2at6native32elementwise_kernel_manual_unrollILi128ELi4EZNS0_15gpu_kernel_implIZZZNS0_12_GLOBAL__N_116addr_kernel_cudaERNS_14TensorIteratorERKN3c106ScalarES9_ENKUlvE_clEvENKUlvE8_clEvEUlNS6_8BFloat16ESC_SC_E0_EEvRNS_18TensorIteratorBaseERKT_EUlibE0_EEviT1_,"axG",@progbits,_ZN2at6native32elementwise_kernel_manual_unrollILi128ELi4EZNS0_15gpu_kernel_implIZZZNS0_12_GLOBAL__N_116addr_kernel_cudaERNS_14TensorIteratorERKN3c106ScalarES9_ENKUlvE_clEvENKUlvE8_clEvEUlNS6_8BFloat16ESC_SC_E0_EEvRNS_18TensorIteratorBaseERKT_EUlibE0_EEviT1_,comdat
.Lfunc_end175:
	.size	_ZN2at6native32elementwise_kernel_manual_unrollILi128ELi4EZNS0_15gpu_kernel_implIZZZNS0_12_GLOBAL__N_116addr_kernel_cudaERNS_14TensorIteratorERKN3c106ScalarES9_ENKUlvE_clEvENKUlvE8_clEvEUlNS6_8BFloat16ESC_SC_E0_EEvRNS_18TensorIteratorBaseERKT_EUlibE0_EEviT1_, .Lfunc_end175-_ZN2at6native32elementwise_kernel_manual_unrollILi128ELi4EZNS0_15gpu_kernel_implIZZZNS0_12_GLOBAL__N_116addr_kernel_cudaERNS_14TensorIteratorERKN3c106ScalarES9_ENKUlvE_clEvENKUlvE8_clEvEUlNS6_8BFloat16ESC_SC_E0_EEvRNS_18TensorIteratorBaseERKT_EUlibE0_EEviT1_
                                        ; -- End function
	.set _ZN2at6native32elementwise_kernel_manual_unrollILi128ELi4EZNS0_15gpu_kernel_implIZZZNS0_12_GLOBAL__N_116addr_kernel_cudaERNS_14TensorIteratorERKN3c106ScalarES9_ENKUlvE_clEvENKUlvE8_clEvEUlNS6_8BFloat16ESC_SC_E0_EEvRNS_18TensorIteratorBaseERKT_EUlibE0_EEviT1_.num_vgpr, 34
	.set _ZN2at6native32elementwise_kernel_manual_unrollILi128ELi4EZNS0_15gpu_kernel_implIZZZNS0_12_GLOBAL__N_116addr_kernel_cudaERNS_14TensorIteratorERKN3c106ScalarES9_ENKUlvE_clEvENKUlvE8_clEvEUlNS6_8BFloat16ESC_SC_E0_EEvRNS_18TensorIteratorBaseERKT_EUlibE0_EEviT1_.num_agpr, 0
	.set _ZN2at6native32elementwise_kernel_manual_unrollILi128ELi4EZNS0_15gpu_kernel_implIZZZNS0_12_GLOBAL__N_116addr_kernel_cudaERNS_14TensorIteratorERKN3c106ScalarES9_ENKUlvE_clEvENKUlvE8_clEvEUlNS6_8BFloat16ESC_SC_E0_EEvRNS_18TensorIteratorBaseERKT_EUlibE0_EEviT1_.numbered_sgpr, 76
	.set _ZN2at6native32elementwise_kernel_manual_unrollILi128ELi4EZNS0_15gpu_kernel_implIZZZNS0_12_GLOBAL__N_116addr_kernel_cudaERNS_14TensorIteratorERKN3c106ScalarES9_ENKUlvE_clEvENKUlvE8_clEvEUlNS6_8BFloat16ESC_SC_E0_EEvRNS_18TensorIteratorBaseERKT_EUlibE0_EEviT1_.num_named_barrier, 0
	.set _ZN2at6native32elementwise_kernel_manual_unrollILi128ELi4EZNS0_15gpu_kernel_implIZZZNS0_12_GLOBAL__N_116addr_kernel_cudaERNS_14TensorIteratorERKN3c106ScalarES9_ENKUlvE_clEvENKUlvE8_clEvEUlNS6_8BFloat16ESC_SC_E0_EEvRNS_18TensorIteratorBaseERKT_EUlibE0_EEviT1_.private_seg_size, 0
	.set _ZN2at6native32elementwise_kernel_manual_unrollILi128ELi4EZNS0_15gpu_kernel_implIZZZNS0_12_GLOBAL__N_116addr_kernel_cudaERNS_14TensorIteratorERKN3c106ScalarES9_ENKUlvE_clEvENKUlvE8_clEvEUlNS6_8BFloat16ESC_SC_E0_EEvRNS_18TensorIteratorBaseERKT_EUlibE0_EEviT1_.uses_vcc, 1
	.set _ZN2at6native32elementwise_kernel_manual_unrollILi128ELi4EZNS0_15gpu_kernel_implIZZZNS0_12_GLOBAL__N_116addr_kernel_cudaERNS_14TensorIteratorERKN3c106ScalarES9_ENKUlvE_clEvENKUlvE8_clEvEUlNS6_8BFloat16ESC_SC_E0_EEvRNS_18TensorIteratorBaseERKT_EUlibE0_EEviT1_.uses_flat_scratch, 0
	.set _ZN2at6native32elementwise_kernel_manual_unrollILi128ELi4EZNS0_15gpu_kernel_implIZZZNS0_12_GLOBAL__N_116addr_kernel_cudaERNS_14TensorIteratorERKN3c106ScalarES9_ENKUlvE_clEvENKUlvE8_clEvEUlNS6_8BFloat16ESC_SC_E0_EEvRNS_18TensorIteratorBaseERKT_EUlibE0_EEviT1_.has_dyn_sized_stack, 0
	.set _ZN2at6native32elementwise_kernel_manual_unrollILi128ELi4EZNS0_15gpu_kernel_implIZZZNS0_12_GLOBAL__N_116addr_kernel_cudaERNS_14TensorIteratorERKN3c106ScalarES9_ENKUlvE_clEvENKUlvE8_clEvEUlNS6_8BFloat16ESC_SC_E0_EEvRNS_18TensorIteratorBaseERKT_EUlibE0_EEviT1_.has_recursion, 0
	.set _ZN2at6native32elementwise_kernel_manual_unrollILi128ELi4EZNS0_15gpu_kernel_implIZZZNS0_12_GLOBAL__N_116addr_kernel_cudaERNS_14TensorIteratorERKN3c106ScalarES9_ENKUlvE_clEvENKUlvE8_clEvEUlNS6_8BFloat16ESC_SC_E0_EEvRNS_18TensorIteratorBaseERKT_EUlibE0_EEviT1_.has_indirect_call, 0
	.section	.AMDGPU.csdata,"",@progbits
; Kernel info:
; codeLenInByte = 99840
; TotalNumSgprs: 78
; NumVgprs: 34
; ScratchSize: 0
; MemoryBound: 0
; FloatMode: 240
; IeeeMode: 1
; LDSByteSize: 0 bytes/workgroup (compile time only)
; SGPRBlocks: 0
; VGPRBlocks: 2
; NumSGPRsForWavesPerEU: 78
; NumVGPRsForWavesPerEU: 34
; NamedBarCnt: 0
; Occupancy: 16
; WaveLimiterHint : 1
; COMPUTE_PGM_RSRC2:SCRATCH_EN: 0
; COMPUTE_PGM_RSRC2:USER_SGPR: 2
; COMPUTE_PGM_RSRC2:TRAP_HANDLER: 0
; COMPUTE_PGM_RSRC2:TGID_X_EN: 1
; COMPUTE_PGM_RSRC2:TGID_Y_EN: 0
; COMPUTE_PGM_RSRC2:TGID_Z_EN: 0
; COMPUTE_PGM_RSRC2:TIDIG_COMP_CNT: 0
	.section	.text._ZN2at6native29vectorized_elementwise_kernelILi16EZZZNS0_12_GLOBAL__N_116addr_kernel_cudaERNS_14TensorIteratorERKN3c106ScalarES8_ENKUlvE_clEvENKUlvE9_clEvEUlNS5_4HalfESB_SB_E_St5arrayIPcLm4EEEEviT0_T1_,"axG",@progbits,_ZN2at6native29vectorized_elementwise_kernelILi16EZZZNS0_12_GLOBAL__N_116addr_kernel_cudaERNS_14TensorIteratorERKN3c106ScalarES8_ENKUlvE_clEvENKUlvE9_clEvEUlNS5_4HalfESB_SB_E_St5arrayIPcLm4EEEEviT0_T1_,comdat
	.globl	_ZN2at6native29vectorized_elementwise_kernelILi16EZZZNS0_12_GLOBAL__N_116addr_kernel_cudaERNS_14TensorIteratorERKN3c106ScalarES8_ENKUlvE_clEvENKUlvE9_clEvEUlNS5_4HalfESB_SB_E_St5arrayIPcLm4EEEEviT0_T1_ ; -- Begin function _ZN2at6native29vectorized_elementwise_kernelILi16EZZZNS0_12_GLOBAL__N_116addr_kernel_cudaERNS_14TensorIteratorERKN3c106ScalarES8_ENKUlvE_clEvENKUlvE9_clEvEUlNS5_4HalfESB_SB_E_St5arrayIPcLm4EEEEviT0_T1_
	.p2align	8
	.type	_ZN2at6native29vectorized_elementwise_kernelILi16EZZZNS0_12_GLOBAL__N_116addr_kernel_cudaERNS_14TensorIteratorERKN3c106ScalarES8_ENKUlvE_clEvENKUlvE9_clEvEUlNS5_4HalfESB_SB_E_St5arrayIPcLm4EEEEviT0_T1_,@function
_ZN2at6native29vectorized_elementwise_kernelILi16EZZZNS0_12_GLOBAL__N_116addr_kernel_cudaERNS_14TensorIteratorERKN3c106ScalarES8_ENKUlvE_clEvENKUlvE9_clEvEUlNS5_4HalfESB_SB_E_St5arrayIPcLm4EEEEviT0_T1_: ; @_ZN2at6native29vectorized_elementwise_kernelILi16EZZZNS0_12_GLOBAL__N_116addr_kernel_cudaERNS_14TensorIteratorERKN3c106ScalarES8_ENKUlvE_clEvENKUlvE9_clEvEUlNS5_4HalfESB_SB_E_St5arrayIPcLm4EEEEviT0_T1_
; %bb.0:
	s_clause 0x1
	s_load_b128 s[4:7], s[0:1], 0x0
	s_load_b128 s[8:11], s[0:1], 0x18
	s_wait_xcnt 0x0
	s_bfe_u32 s0, ttmp6, 0x4000c
	s_and_b32 s1, ttmp6, 15
	s_add_co_i32 s0, s0, 1
	s_getreg_b32 s2, hwreg(HW_REG_IB_STS2, 6, 4)
	s_mul_i32 s0, ttmp9, s0
	s_delay_alu instid0(SALU_CYCLE_1) | instskip(SKIP_2) | instid1(SALU_CYCLE_1)
	s_add_co_i32 s1, s1, s0
	s_cmp_eq_u32 s2, 0
	s_cselect_b32 s0, ttmp9, s1
	s_lshl_b32 s2, s0, 11
	s_mov_b32 s0, -1
	s_wait_kmcnt 0x0
	s_sub_co_i32 s1, s4, s2
	s_delay_alu instid0(SALU_CYCLE_1)
	s_cmp_gt_i32 s1, 0x7ff
	s_cbranch_scc0 .LBB176_2
; %bb.1:
	s_ashr_i32 s3, s2, 31
	s_mov_b32 s0, 0
	s_lshl_b64 s[12:13], s[2:3], 1
	s_delay_alu instid0(SALU_CYCLE_1)
	s_add_nc_u64 s[14:15], s[8:9], s[12:13]
	global_load_b128 v[2:5], v0, s[14:15] scale_offset
	s_wait_xcnt 0x0
	s_add_nc_u64 s[14:15], s[10:11], s[12:13]
	s_add_nc_u64 s[12:13], s[6:7], s[12:13]
	global_load_b128 v[6:9], v0, s[14:15] scale_offset
	s_wait_loadcnt 0x1
	v_pk_mul_f16 v1, v3, s5 op_sel_hi:[1,0]
	v_pk_mul_f16 v2, v2, s5 op_sel_hi:[1,0]
	;; [unrolled: 1-line block ×4, first 2 shown]
	s_wait_loadcnt 0x0
	v_pk_mul_f16 v3, v1, v7
	v_pk_mul_f16 v2, v2, v6
	;; [unrolled: 1-line block ×4, first 2 shown]
	global_store_b128 v0, v[2:5], s[12:13] scale_offset
.LBB176_2:
	s_and_not1_b32 vcc_lo, exec_lo, s0
	s_cbranch_vccnz .LBB176_27
; %bb.3:
	v_cmp_gt_i32_e32 vcc_lo, s1, v0
	s_wait_xcnt 0x0
	v_dual_mov_b32 v1, 0 :: v_dual_bitop2_b32 v2, s2, v0 bitop3:0x54
	v_or_b32_e32 v3, 0x100, v0
	v_dual_mov_b32 v5, 0 :: v_dual_mov_b32 v6, 0
	v_mov_b32_e32 v11, v0
	s_and_saveexec_b32 s0, vcc_lo
	s_cbranch_execz .LBB176_5
; %bb.4:
	s_clause 0x1
	global_load_u16 v5, v2, s[8:9] scale_offset
	global_load_u16 v6, v2, s[10:11] scale_offset
	v_or_b32_e32 v11, 0x100, v0
.LBB176_5:
	s_wait_xcnt 0x0
	s_or_b32 exec_lo, exec_lo, s0
	v_mov_b32_e32 v7, 0
	s_mov_b32 s3, exec_lo
	v_cmpx_gt_i32_e64 s1, v11
	s_cbranch_execz .LBB176_7
; %bb.6:
	v_add_nc_u32_e32 v4, s2, v11
	v_add_nc_u32_e32 v11, 0x100, v11
	s_clause 0x1
	global_load_u16 v1, v4, s[8:9] scale_offset
	global_load_u16 v7, v4, s[10:11] scale_offset
.LBB176_7:
	s_wait_xcnt 0x0
	s_or_b32 exec_lo, exec_lo, s3
	v_dual_mov_b32 v4, 0 :: v_dual_mov_b32 v9, 0
	v_mov_b32_e32 v10, 0
	s_mov_b32 s3, exec_lo
	v_cmpx_gt_i32_e64 s1, v11
	s_cbranch_execz .LBB176_9
; %bb.8:
	v_add_nc_u32_e32 v8, s2, v11
	v_add_nc_u32_e32 v11, 0x100, v11
	s_clause 0x1
	global_load_u16 v9, v8, s[8:9] scale_offset
	global_load_u16 v10, v8, s[10:11] scale_offset
.LBB176_9:
	s_wait_xcnt 0x0
	s_or_b32 exec_lo, exec_lo, s3
	v_mov_b32_e32 v12, 0
	s_mov_b32 s3, exec_lo
	v_cmpx_gt_i32_e64 s1, v11
	s_cbranch_execz .LBB176_11
; %bb.10:
	v_add_nc_u32_e32 v8, s2, v11
	v_add_nc_u32_e32 v11, 0x100, v11
	s_clause 0x1
	global_load_u16 v4, v8, s[8:9] scale_offset
	global_load_u16 v12, v8, s[10:11] scale_offset
.LBB176_11:
	s_wait_xcnt 0x0
	s_or_b32 exec_lo, exec_lo, s3
	v_dual_mov_b32 v8, 0 :: v_dual_mov_b32 v14, 0
	v_mov_b32_e32 v15, 0
	s_mov_b32 s3, exec_lo
	v_cmpx_gt_i32_e64 s1, v11
	s_cbranch_execz .LBB176_13
; %bb.12:
	v_add_nc_u32_e32 v13, s2, v11
	v_add_nc_u32_e32 v11, 0x100, v11
	s_clause 0x1
	global_load_u16 v14, v13, s[8:9] scale_offset
	global_load_u16 v15, v13, s[10:11] scale_offset
.LBB176_13:
	;; [unrolled: 27-line block ×3, first 2 shown]
	s_wait_xcnt 0x0
	s_or_b32 exec_lo, exec_lo, s3
	v_mov_b32_e32 v19, 0
	s_mov_b32 s3, exec_lo
	v_cmpx_gt_i32_e64 s1, v11
	s_cbranch_execnz .LBB176_28
; %bb.18:
	s_or_b32 exec_lo, exec_lo, s3
	s_and_saveexec_b32 s0, vcc_lo
	s_cbranch_execnz .LBB176_29
.LBB176_19:
	s_or_b32 exec_lo, exec_lo, s0
	s_delay_alu instid0(SALU_CYCLE_1)
	s_mov_b32 s0, exec_lo
	v_cmpx_gt_i32_e64 s1, v0
	s_cbranch_execnz .LBB176_30
.LBB176_20:
	s_or_b32 exec_lo, exec_lo, s0
	s_delay_alu instid0(SALU_CYCLE_1)
	s_mov_b32 s0, exec_lo
	v_cmpx_gt_i32_e64 s1, v0
	s_cbranch_execnz .LBB176_31
.LBB176_21:
	s_or_b32 exec_lo, exec_lo, s0
	s_delay_alu instid0(SALU_CYCLE_1)
	s_mov_b32 s0, exec_lo
	v_cmpx_gt_i32_e64 s1, v0
	s_cbranch_execnz .LBB176_32
.LBB176_22:
	s_or_b32 exec_lo, exec_lo, s0
	s_delay_alu instid0(SALU_CYCLE_1)
	s_mov_b32 s0, exec_lo
	v_cmpx_gt_i32_e64 s1, v0
	s_cbranch_execnz .LBB176_33
.LBB176_23:
	s_or_b32 exec_lo, exec_lo, s0
	s_delay_alu instid0(SALU_CYCLE_1)
	s_mov_b32 s0, exec_lo
	v_cmpx_gt_i32_e64 s1, v0
	s_cbranch_execnz .LBB176_34
.LBB176_24:
	s_or_b32 exec_lo, exec_lo, s0
	s_delay_alu instid0(SALU_CYCLE_1)
	s_mov_b32 s0, exec_lo
	v_cmpx_gt_i32_e64 s1, v0
	s_cbranch_execnz .LBB176_35
.LBB176_25:
	s_or_b32 exec_lo, exec_lo, s0
	s_delay_alu instid0(SALU_CYCLE_1)
	s_mov_b32 s0, exec_lo
	v_cmpx_gt_i32_e64 s1, v0
	s_cbranch_execz .LBB176_27
.LBB176_26:
	s_wait_loadcnt 0x1
	v_mul_f16_e32 v1, s5, v13
	v_add_nc_u32_e32 v0, s2, v0
	s_wait_loadcnt 0x0
	s_delay_alu instid0(VALU_DEP_2)
	v_mul_f16_e32 v1, v19, v1
	global_store_b16 v0, v1, s[6:7] scale_offset
.LBB176_27:
	s_endpgm
.LBB176_28:
	v_add_nc_u32_e32 v11, s2, v11
	s_clause 0x1
	global_load_u16 v13, v11, s[8:9] scale_offset
	global_load_u16 v19, v11, s[10:11] scale_offset
	s_wait_xcnt 0x0
	s_or_b32 exec_lo, exec_lo, s3
	s_and_saveexec_b32 s0, vcc_lo
	s_cbranch_execz .LBB176_19
.LBB176_29:
	s_wait_loadcnt 0x1
	v_mul_f16_e32 v0, s5, v5
	s_wait_loadcnt 0x0
	s_delay_alu instid0(VALU_DEP_1) | instskip(SKIP_4) | instid1(SALU_CYCLE_1)
	v_mul_f16_e32 v5, v6, v0
	v_mov_b32_e32 v0, v3
	global_store_b16 v2, v5, s[6:7] scale_offset
	s_wait_xcnt 0x0
	s_or_b32 exec_lo, exec_lo, s0
	s_mov_b32 s0, exec_lo
	v_cmpx_gt_i32_e64 s1, v0
	s_cbranch_execz .LBB176_20
.LBB176_30:
	s_wait_loadcnt 0x1
	v_mul_f16_e32 v1, s5, v1
	v_add_nc_u32_e32 v2, s2, v0
	v_add_nc_u32_e32 v0, 0x100, v0
	s_wait_loadcnt 0x0
	s_delay_alu instid0(VALU_DEP_3) | instskip(SKIP_3) | instid1(SALU_CYCLE_1)
	v_mul_f16_e32 v1, v7, v1
	global_store_b16 v2, v1, s[6:7] scale_offset
	s_wait_xcnt 0x0
	s_or_b32 exec_lo, exec_lo, s0
	s_mov_b32 s0, exec_lo
	v_cmpx_gt_i32_e64 s1, v0
	s_cbranch_execz .LBB176_21
.LBB176_31:
	s_wait_loadcnt 0x1
	v_mul_f16_e32 v1, s5, v9
	v_add_nc_u32_e32 v2, s2, v0
	v_add_nc_u32_e32 v0, 0x100, v0
	s_wait_loadcnt 0x0
	s_delay_alu instid0(VALU_DEP_3) | instskip(SKIP_3) | instid1(SALU_CYCLE_1)
	v_mul_f16_e32 v1, v10, v1
	global_store_b16 v2, v1, s[6:7] scale_offset
	s_wait_xcnt 0x0
	s_or_b32 exec_lo, exec_lo, s0
	s_mov_b32 s0, exec_lo
	v_cmpx_gt_i32_e64 s1, v0
	s_cbranch_execz .LBB176_22
.LBB176_32:
	s_wait_loadcnt 0x1
	v_mul_f16_e32 v1, s5, v4
	v_add_nc_u32_e32 v2, s2, v0
	v_add_nc_u32_e32 v0, 0x100, v0
	s_wait_loadcnt 0x0
	s_delay_alu instid0(VALU_DEP_3) | instskip(SKIP_3) | instid1(SALU_CYCLE_1)
	v_mul_f16_e32 v1, v12, v1
	global_store_b16 v2, v1, s[6:7] scale_offset
	s_wait_xcnt 0x0
	s_or_b32 exec_lo, exec_lo, s0
	s_mov_b32 s0, exec_lo
	v_cmpx_gt_i32_e64 s1, v0
	s_cbranch_execz .LBB176_23
.LBB176_33:
	s_wait_loadcnt 0x1
	v_mul_f16_e32 v1, s5, v14
	v_add_nc_u32_e32 v2, s2, v0
	v_add_nc_u32_e32 v0, 0x100, v0
	s_wait_loadcnt 0x0
	s_delay_alu instid0(VALU_DEP_3) | instskip(SKIP_3) | instid1(SALU_CYCLE_1)
	v_mul_f16_e32 v1, v15, v1
	global_store_b16 v2, v1, s[6:7] scale_offset
	s_wait_xcnt 0x0
	s_or_b32 exec_lo, exec_lo, s0
	s_mov_b32 s0, exec_lo
	v_cmpx_gt_i32_e64 s1, v0
	s_cbranch_execz .LBB176_24
.LBB176_34:
	s_wait_loadcnt 0x1
	v_mul_f16_e32 v1, s5, v8
	v_add_nc_u32_e32 v2, s2, v0
	v_add_nc_u32_e32 v0, 0x100, v0
	s_wait_loadcnt 0x0
	s_delay_alu instid0(VALU_DEP_3) | instskip(SKIP_3) | instid1(SALU_CYCLE_1)
	v_mul_f16_e32 v1, v16, v1
	global_store_b16 v2, v1, s[6:7] scale_offset
	s_wait_xcnt 0x0
	s_or_b32 exec_lo, exec_lo, s0
	s_mov_b32 s0, exec_lo
	v_cmpx_gt_i32_e64 s1, v0
	s_cbranch_execz .LBB176_25
.LBB176_35:
	s_wait_loadcnt 0x1
	v_mul_f16_e32 v1, s5, v17
	v_add_nc_u32_e32 v2, s2, v0
	v_add_nc_u32_e32 v0, 0x100, v0
	s_wait_loadcnt 0x0
	s_delay_alu instid0(VALU_DEP_3) | instskip(SKIP_3) | instid1(SALU_CYCLE_1)
	v_mul_f16_e32 v1, v18, v1
	global_store_b16 v2, v1, s[6:7] scale_offset
	s_wait_xcnt 0x0
	s_or_b32 exec_lo, exec_lo, s0
	s_mov_b32 s0, exec_lo
	v_cmpx_gt_i32_e64 s1, v0
	s_cbranch_execnz .LBB176_26
	s_branch .LBB176_27
	.section	.rodata,"a",@progbits
	.p2align	6, 0x0
	.amdhsa_kernel _ZN2at6native29vectorized_elementwise_kernelILi16EZZZNS0_12_GLOBAL__N_116addr_kernel_cudaERNS_14TensorIteratorERKN3c106ScalarES8_ENKUlvE_clEvENKUlvE9_clEvEUlNS5_4HalfESB_SB_E_St5arrayIPcLm4EEEEviT0_T1_
		.amdhsa_group_segment_fixed_size 0
		.amdhsa_private_segment_fixed_size 0
		.amdhsa_kernarg_size 40
		.amdhsa_user_sgpr_count 2
		.amdhsa_user_sgpr_dispatch_ptr 0
		.amdhsa_user_sgpr_queue_ptr 0
		.amdhsa_user_sgpr_kernarg_segment_ptr 1
		.amdhsa_user_sgpr_dispatch_id 0
		.amdhsa_user_sgpr_kernarg_preload_length 0
		.amdhsa_user_sgpr_kernarg_preload_offset 0
		.amdhsa_user_sgpr_private_segment_size 0
		.amdhsa_wavefront_size32 1
		.amdhsa_uses_dynamic_stack 0
		.amdhsa_enable_private_segment 0
		.amdhsa_system_sgpr_workgroup_id_x 1
		.amdhsa_system_sgpr_workgroup_id_y 0
		.amdhsa_system_sgpr_workgroup_id_z 0
		.amdhsa_system_sgpr_workgroup_info 0
		.amdhsa_system_vgpr_workitem_id 0
		.amdhsa_next_free_vgpr 20
		.amdhsa_next_free_sgpr 16
		.amdhsa_named_barrier_count 0
		.amdhsa_reserve_vcc 1
		.amdhsa_float_round_mode_32 0
		.amdhsa_float_round_mode_16_64 0
		.amdhsa_float_denorm_mode_32 3
		.amdhsa_float_denorm_mode_16_64 3
		.amdhsa_fp16_overflow 0
		.amdhsa_memory_ordered 1
		.amdhsa_forward_progress 1
		.amdhsa_inst_pref_size 12
		.amdhsa_round_robin_scheduling 0
		.amdhsa_exception_fp_ieee_invalid_op 0
		.amdhsa_exception_fp_denorm_src 0
		.amdhsa_exception_fp_ieee_div_zero 0
		.amdhsa_exception_fp_ieee_overflow 0
		.amdhsa_exception_fp_ieee_underflow 0
		.amdhsa_exception_fp_ieee_inexact 0
		.amdhsa_exception_int_div_zero 0
	.end_amdhsa_kernel
	.section	.text._ZN2at6native29vectorized_elementwise_kernelILi16EZZZNS0_12_GLOBAL__N_116addr_kernel_cudaERNS_14TensorIteratorERKN3c106ScalarES8_ENKUlvE_clEvENKUlvE9_clEvEUlNS5_4HalfESB_SB_E_St5arrayIPcLm4EEEEviT0_T1_,"axG",@progbits,_ZN2at6native29vectorized_elementwise_kernelILi16EZZZNS0_12_GLOBAL__N_116addr_kernel_cudaERNS_14TensorIteratorERKN3c106ScalarES8_ENKUlvE_clEvENKUlvE9_clEvEUlNS5_4HalfESB_SB_E_St5arrayIPcLm4EEEEviT0_T1_,comdat
.Lfunc_end176:
	.size	_ZN2at6native29vectorized_elementwise_kernelILi16EZZZNS0_12_GLOBAL__N_116addr_kernel_cudaERNS_14TensorIteratorERKN3c106ScalarES8_ENKUlvE_clEvENKUlvE9_clEvEUlNS5_4HalfESB_SB_E_St5arrayIPcLm4EEEEviT0_T1_, .Lfunc_end176-_ZN2at6native29vectorized_elementwise_kernelILi16EZZZNS0_12_GLOBAL__N_116addr_kernel_cudaERNS_14TensorIteratorERKN3c106ScalarES8_ENKUlvE_clEvENKUlvE9_clEvEUlNS5_4HalfESB_SB_E_St5arrayIPcLm4EEEEviT0_T1_
                                        ; -- End function
	.set _ZN2at6native29vectorized_elementwise_kernelILi16EZZZNS0_12_GLOBAL__N_116addr_kernel_cudaERNS_14TensorIteratorERKN3c106ScalarES8_ENKUlvE_clEvENKUlvE9_clEvEUlNS5_4HalfESB_SB_E_St5arrayIPcLm4EEEEviT0_T1_.num_vgpr, 20
	.set _ZN2at6native29vectorized_elementwise_kernelILi16EZZZNS0_12_GLOBAL__N_116addr_kernel_cudaERNS_14TensorIteratorERKN3c106ScalarES8_ENKUlvE_clEvENKUlvE9_clEvEUlNS5_4HalfESB_SB_E_St5arrayIPcLm4EEEEviT0_T1_.num_agpr, 0
	.set _ZN2at6native29vectorized_elementwise_kernelILi16EZZZNS0_12_GLOBAL__N_116addr_kernel_cudaERNS_14TensorIteratorERKN3c106ScalarES8_ENKUlvE_clEvENKUlvE9_clEvEUlNS5_4HalfESB_SB_E_St5arrayIPcLm4EEEEviT0_T1_.numbered_sgpr, 16
	.set _ZN2at6native29vectorized_elementwise_kernelILi16EZZZNS0_12_GLOBAL__N_116addr_kernel_cudaERNS_14TensorIteratorERKN3c106ScalarES8_ENKUlvE_clEvENKUlvE9_clEvEUlNS5_4HalfESB_SB_E_St5arrayIPcLm4EEEEviT0_T1_.num_named_barrier, 0
	.set _ZN2at6native29vectorized_elementwise_kernelILi16EZZZNS0_12_GLOBAL__N_116addr_kernel_cudaERNS_14TensorIteratorERKN3c106ScalarES8_ENKUlvE_clEvENKUlvE9_clEvEUlNS5_4HalfESB_SB_E_St5arrayIPcLm4EEEEviT0_T1_.private_seg_size, 0
	.set _ZN2at6native29vectorized_elementwise_kernelILi16EZZZNS0_12_GLOBAL__N_116addr_kernel_cudaERNS_14TensorIteratorERKN3c106ScalarES8_ENKUlvE_clEvENKUlvE9_clEvEUlNS5_4HalfESB_SB_E_St5arrayIPcLm4EEEEviT0_T1_.uses_vcc, 1
	.set _ZN2at6native29vectorized_elementwise_kernelILi16EZZZNS0_12_GLOBAL__N_116addr_kernel_cudaERNS_14TensorIteratorERKN3c106ScalarES8_ENKUlvE_clEvENKUlvE9_clEvEUlNS5_4HalfESB_SB_E_St5arrayIPcLm4EEEEviT0_T1_.uses_flat_scratch, 0
	.set _ZN2at6native29vectorized_elementwise_kernelILi16EZZZNS0_12_GLOBAL__N_116addr_kernel_cudaERNS_14TensorIteratorERKN3c106ScalarES8_ENKUlvE_clEvENKUlvE9_clEvEUlNS5_4HalfESB_SB_E_St5arrayIPcLm4EEEEviT0_T1_.has_dyn_sized_stack, 0
	.set _ZN2at6native29vectorized_elementwise_kernelILi16EZZZNS0_12_GLOBAL__N_116addr_kernel_cudaERNS_14TensorIteratorERKN3c106ScalarES8_ENKUlvE_clEvENKUlvE9_clEvEUlNS5_4HalfESB_SB_E_St5arrayIPcLm4EEEEviT0_T1_.has_recursion, 0
	.set _ZN2at6native29vectorized_elementwise_kernelILi16EZZZNS0_12_GLOBAL__N_116addr_kernel_cudaERNS_14TensorIteratorERKN3c106ScalarES8_ENKUlvE_clEvENKUlvE9_clEvEUlNS5_4HalfESB_SB_E_St5arrayIPcLm4EEEEviT0_T1_.has_indirect_call, 0
	.section	.AMDGPU.csdata,"",@progbits
; Kernel info:
; codeLenInByte = 1536
; TotalNumSgprs: 18
; NumVgprs: 20
; ScratchSize: 0
; MemoryBound: 0
; FloatMode: 240
; IeeeMode: 1
; LDSByteSize: 0 bytes/workgroup (compile time only)
; SGPRBlocks: 0
; VGPRBlocks: 1
; NumSGPRsForWavesPerEU: 18
; NumVGPRsForWavesPerEU: 20
; NamedBarCnt: 0
; Occupancy: 16
; WaveLimiterHint : 0
; COMPUTE_PGM_RSRC2:SCRATCH_EN: 0
; COMPUTE_PGM_RSRC2:USER_SGPR: 2
; COMPUTE_PGM_RSRC2:TRAP_HANDLER: 0
; COMPUTE_PGM_RSRC2:TGID_X_EN: 1
; COMPUTE_PGM_RSRC2:TGID_Y_EN: 0
; COMPUTE_PGM_RSRC2:TGID_Z_EN: 0
; COMPUTE_PGM_RSRC2:TIDIG_COMP_CNT: 0
	.section	.text._ZN2at6native29vectorized_elementwise_kernelILi8EZZZNS0_12_GLOBAL__N_116addr_kernel_cudaERNS_14TensorIteratorERKN3c106ScalarES8_ENKUlvE_clEvENKUlvE9_clEvEUlNS5_4HalfESB_SB_E_St5arrayIPcLm4EEEEviT0_T1_,"axG",@progbits,_ZN2at6native29vectorized_elementwise_kernelILi8EZZZNS0_12_GLOBAL__N_116addr_kernel_cudaERNS_14TensorIteratorERKN3c106ScalarES8_ENKUlvE_clEvENKUlvE9_clEvEUlNS5_4HalfESB_SB_E_St5arrayIPcLm4EEEEviT0_T1_,comdat
	.globl	_ZN2at6native29vectorized_elementwise_kernelILi8EZZZNS0_12_GLOBAL__N_116addr_kernel_cudaERNS_14TensorIteratorERKN3c106ScalarES8_ENKUlvE_clEvENKUlvE9_clEvEUlNS5_4HalfESB_SB_E_St5arrayIPcLm4EEEEviT0_T1_ ; -- Begin function _ZN2at6native29vectorized_elementwise_kernelILi8EZZZNS0_12_GLOBAL__N_116addr_kernel_cudaERNS_14TensorIteratorERKN3c106ScalarES8_ENKUlvE_clEvENKUlvE9_clEvEUlNS5_4HalfESB_SB_E_St5arrayIPcLm4EEEEviT0_T1_
	.p2align	8
	.type	_ZN2at6native29vectorized_elementwise_kernelILi8EZZZNS0_12_GLOBAL__N_116addr_kernel_cudaERNS_14TensorIteratorERKN3c106ScalarES8_ENKUlvE_clEvENKUlvE9_clEvEUlNS5_4HalfESB_SB_E_St5arrayIPcLm4EEEEviT0_T1_,@function
_ZN2at6native29vectorized_elementwise_kernelILi8EZZZNS0_12_GLOBAL__N_116addr_kernel_cudaERNS_14TensorIteratorERKN3c106ScalarES8_ENKUlvE_clEvENKUlvE9_clEvEUlNS5_4HalfESB_SB_E_St5arrayIPcLm4EEEEviT0_T1_: ; @_ZN2at6native29vectorized_elementwise_kernelILi8EZZZNS0_12_GLOBAL__N_116addr_kernel_cudaERNS_14TensorIteratorERKN3c106ScalarES8_ENKUlvE_clEvENKUlvE9_clEvEUlNS5_4HalfESB_SB_E_St5arrayIPcLm4EEEEviT0_T1_
; %bb.0:
	s_clause 0x1
	s_load_b128 s[4:7], s[0:1], 0x0
	s_load_b128 s[8:11], s[0:1], 0x18
	s_wait_xcnt 0x0
	s_bfe_u32 s0, ttmp6, 0x4000c
	s_and_b32 s1, ttmp6, 15
	s_add_co_i32 s0, s0, 1
	s_getreg_b32 s2, hwreg(HW_REG_IB_STS2, 6, 4)
	s_mul_i32 s0, ttmp9, s0
	s_delay_alu instid0(SALU_CYCLE_1) | instskip(SKIP_2) | instid1(SALU_CYCLE_1)
	s_add_co_i32 s1, s1, s0
	s_cmp_eq_u32 s2, 0
	s_cselect_b32 s0, ttmp9, s1
	s_lshl_b32 s2, s0, 11
	s_mov_b32 s0, -1
	s_wait_kmcnt 0x0
	s_sub_co_i32 s1, s4, s2
	s_delay_alu instid0(SALU_CYCLE_1)
	s_cmp_gt_i32 s1, 0x7ff
	s_cbranch_scc0 .LBB177_2
; %bb.1:
	s_ashr_i32 s3, s2, 31
	s_mov_b32 s0, 0
	s_lshl_b64 s[12:13], s[2:3], 1
	s_delay_alu instid0(SALU_CYCLE_1)
	s_add_nc_u64 s[14:15], s[8:9], s[12:13]
	global_load_b128 v[2:5], v0, s[14:15] scale_offset
	s_wait_xcnt 0x0
	s_add_nc_u64 s[14:15], s[10:11], s[12:13]
	s_add_nc_u64 s[12:13], s[6:7], s[12:13]
	global_load_b128 v[6:9], v0, s[14:15] scale_offset
	s_wait_loadcnt 0x1
	v_pk_mul_f16 v1, v3, s5 op_sel_hi:[1,0]
	v_pk_mul_f16 v2, v2, s5 op_sel_hi:[1,0]
	;; [unrolled: 1-line block ×4, first 2 shown]
	s_wait_loadcnt 0x0
	v_pk_mul_f16 v3, v1, v7
	v_pk_mul_f16 v2, v2, v6
	;; [unrolled: 1-line block ×4, first 2 shown]
	global_store_b128 v0, v[2:5], s[12:13] scale_offset
.LBB177_2:
	s_and_not1_b32 vcc_lo, exec_lo, s0
	s_cbranch_vccnz .LBB177_27
; %bb.3:
	v_cmp_gt_i32_e32 vcc_lo, s1, v0
	s_wait_xcnt 0x0
	v_dual_mov_b32 v1, 0 :: v_dual_bitop2_b32 v2, s2, v0 bitop3:0x54
	v_or_b32_e32 v3, 0x100, v0
	v_dual_mov_b32 v5, 0 :: v_dual_mov_b32 v6, 0
	v_mov_b32_e32 v11, v0
	s_and_saveexec_b32 s0, vcc_lo
	s_cbranch_execz .LBB177_5
; %bb.4:
	s_clause 0x1
	global_load_u16 v5, v2, s[8:9] scale_offset
	global_load_u16 v6, v2, s[10:11] scale_offset
	v_or_b32_e32 v11, 0x100, v0
.LBB177_5:
	s_wait_xcnt 0x0
	s_or_b32 exec_lo, exec_lo, s0
	v_mov_b32_e32 v7, 0
	s_mov_b32 s3, exec_lo
	v_cmpx_gt_i32_e64 s1, v11
	s_cbranch_execz .LBB177_7
; %bb.6:
	v_add_nc_u32_e32 v4, s2, v11
	v_add_nc_u32_e32 v11, 0x100, v11
	s_clause 0x1
	global_load_u16 v1, v4, s[8:9] scale_offset
	global_load_u16 v7, v4, s[10:11] scale_offset
.LBB177_7:
	s_wait_xcnt 0x0
	s_or_b32 exec_lo, exec_lo, s3
	v_dual_mov_b32 v4, 0 :: v_dual_mov_b32 v9, 0
	v_mov_b32_e32 v10, 0
	s_mov_b32 s3, exec_lo
	v_cmpx_gt_i32_e64 s1, v11
	s_cbranch_execz .LBB177_9
; %bb.8:
	v_add_nc_u32_e32 v8, s2, v11
	v_add_nc_u32_e32 v11, 0x100, v11
	s_clause 0x1
	global_load_u16 v9, v8, s[8:9] scale_offset
	global_load_u16 v10, v8, s[10:11] scale_offset
.LBB177_9:
	s_wait_xcnt 0x0
	s_or_b32 exec_lo, exec_lo, s3
	v_mov_b32_e32 v12, 0
	s_mov_b32 s3, exec_lo
	v_cmpx_gt_i32_e64 s1, v11
	s_cbranch_execz .LBB177_11
; %bb.10:
	v_add_nc_u32_e32 v8, s2, v11
	v_add_nc_u32_e32 v11, 0x100, v11
	s_clause 0x1
	global_load_u16 v4, v8, s[8:9] scale_offset
	global_load_u16 v12, v8, s[10:11] scale_offset
.LBB177_11:
	s_wait_xcnt 0x0
	s_or_b32 exec_lo, exec_lo, s3
	v_dual_mov_b32 v8, 0 :: v_dual_mov_b32 v14, 0
	v_mov_b32_e32 v15, 0
	s_mov_b32 s3, exec_lo
	v_cmpx_gt_i32_e64 s1, v11
	s_cbranch_execz .LBB177_13
; %bb.12:
	v_add_nc_u32_e32 v13, s2, v11
	v_add_nc_u32_e32 v11, 0x100, v11
	s_clause 0x1
	global_load_u16 v14, v13, s[8:9] scale_offset
	global_load_u16 v15, v13, s[10:11] scale_offset
.LBB177_13:
	;; [unrolled: 27-line block ×3, first 2 shown]
	s_wait_xcnt 0x0
	s_or_b32 exec_lo, exec_lo, s3
	v_mov_b32_e32 v19, 0
	s_mov_b32 s3, exec_lo
	v_cmpx_gt_i32_e64 s1, v11
	s_cbranch_execnz .LBB177_28
; %bb.18:
	s_or_b32 exec_lo, exec_lo, s3
	s_and_saveexec_b32 s0, vcc_lo
	s_cbranch_execnz .LBB177_29
.LBB177_19:
	s_or_b32 exec_lo, exec_lo, s0
	s_delay_alu instid0(SALU_CYCLE_1)
	s_mov_b32 s0, exec_lo
	v_cmpx_gt_i32_e64 s1, v0
	s_cbranch_execnz .LBB177_30
.LBB177_20:
	s_or_b32 exec_lo, exec_lo, s0
	s_delay_alu instid0(SALU_CYCLE_1)
	s_mov_b32 s0, exec_lo
	v_cmpx_gt_i32_e64 s1, v0
	s_cbranch_execnz .LBB177_31
.LBB177_21:
	s_or_b32 exec_lo, exec_lo, s0
	s_delay_alu instid0(SALU_CYCLE_1)
	s_mov_b32 s0, exec_lo
	v_cmpx_gt_i32_e64 s1, v0
	s_cbranch_execnz .LBB177_32
.LBB177_22:
	s_or_b32 exec_lo, exec_lo, s0
	s_delay_alu instid0(SALU_CYCLE_1)
	s_mov_b32 s0, exec_lo
	v_cmpx_gt_i32_e64 s1, v0
	s_cbranch_execnz .LBB177_33
.LBB177_23:
	s_or_b32 exec_lo, exec_lo, s0
	s_delay_alu instid0(SALU_CYCLE_1)
	s_mov_b32 s0, exec_lo
	v_cmpx_gt_i32_e64 s1, v0
	s_cbranch_execnz .LBB177_34
.LBB177_24:
	s_or_b32 exec_lo, exec_lo, s0
	s_delay_alu instid0(SALU_CYCLE_1)
	s_mov_b32 s0, exec_lo
	v_cmpx_gt_i32_e64 s1, v0
	s_cbranch_execnz .LBB177_35
.LBB177_25:
	s_or_b32 exec_lo, exec_lo, s0
	s_delay_alu instid0(SALU_CYCLE_1)
	s_mov_b32 s0, exec_lo
	v_cmpx_gt_i32_e64 s1, v0
	s_cbranch_execz .LBB177_27
.LBB177_26:
	s_wait_loadcnt 0x1
	v_mul_f16_e32 v1, s5, v13
	v_add_nc_u32_e32 v0, s2, v0
	s_wait_loadcnt 0x0
	s_delay_alu instid0(VALU_DEP_2)
	v_mul_f16_e32 v1, v19, v1
	global_store_b16 v0, v1, s[6:7] scale_offset
.LBB177_27:
	s_endpgm
.LBB177_28:
	v_add_nc_u32_e32 v11, s2, v11
	s_clause 0x1
	global_load_u16 v13, v11, s[8:9] scale_offset
	global_load_u16 v19, v11, s[10:11] scale_offset
	s_wait_xcnt 0x0
	s_or_b32 exec_lo, exec_lo, s3
	s_and_saveexec_b32 s0, vcc_lo
	s_cbranch_execz .LBB177_19
.LBB177_29:
	s_wait_loadcnt 0x1
	v_mul_f16_e32 v0, s5, v5
	s_wait_loadcnt 0x0
	s_delay_alu instid0(VALU_DEP_1) | instskip(SKIP_4) | instid1(SALU_CYCLE_1)
	v_mul_f16_e32 v5, v6, v0
	v_mov_b32_e32 v0, v3
	global_store_b16 v2, v5, s[6:7] scale_offset
	s_wait_xcnt 0x0
	s_or_b32 exec_lo, exec_lo, s0
	s_mov_b32 s0, exec_lo
	v_cmpx_gt_i32_e64 s1, v0
	s_cbranch_execz .LBB177_20
.LBB177_30:
	s_wait_loadcnt 0x1
	v_mul_f16_e32 v1, s5, v1
	v_add_nc_u32_e32 v2, s2, v0
	v_add_nc_u32_e32 v0, 0x100, v0
	s_wait_loadcnt 0x0
	s_delay_alu instid0(VALU_DEP_3) | instskip(SKIP_3) | instid1(SALU_CYCLE_1)
	v_mul_f16_e32 v1, v7, v1
	global_store_b16 v2, v1, s[6:7] scale_offset
	s_wait_xcnt 0x0
	s_or_b32 exec_lo, exec_lo, s0
	s_mov_b32 s0, exec_lo
	v_cmpx_gt_i32_e64 s1, v0
	s_cbranch_execz .LBB177_21
.LBB177_31:
	s_wait_loadcnt 0x1
	v_mul_f16_e32 v1, s5, v9
	v_add_nc_u32_e32 v2, s2, v0
	v_add_nc_u32_e32 v0, 0x100, v0
	s_wait_loadcnt 0x0
	s_delay_alu instid0(VALU_DEP_3) | instskip(SKIP_3) | instid1(SALU_CYCLE_1)
	v_mul_f16_e32 v1, v10, v1
	global_store_b16 v2, v1, s[6:7] scale_offset
	s_wait_xcnt 0x0
	s_or_b32 exec_lo, exec_lo, s0
	s_mov_b32 s0, exec_lo
	v_cmpx_gt_i32_e64 s1, v0
	s_cbranch_execz .LBB177_22
.LBB177_32:
	s_wait_loadcnt 0x1
	v_mul_f16_e32 v1, s5, v4
	v_add_nc_u32_e32 v2, s2, v0
	v_add_nc_u32_e32 v0, 0x100, v0
	s_wait_loadcnt 0x0
	s_delay_alu instid0(VALU_DEP_3) | instskip(SKIP_3) | instid1(SALU_CYCLE_1)
	v_mul_f16_e32 v1, v12, v1
	global_store_b16 v2, v1, s[6:7] scale_offset
	s_wait_xcnt 0x0
	s_or_b32 exec_lo, exec_lo, s0
	s_mov_b32 s0, exec_lo
	v_cmpx_gt_i32_e64 s1, v0
	s_cbranch_execz .LBB177_23
.LBB177_33:
	s_wait_loadcnt 0x1
	v_mul_f16_e32 v1, s5, v14
	v_add_nc_u32_e32 v2, s2, v0
	v_add_nc_u32_e32 v0, 0x100, v0
	s_wait_loadcnt 0x0
	s_delay_alu instid0(VALU_DEP_3) | instskip(SKIP_3) | instid1(SALU_CYCLE_1)
	v_mul_f16_e32 v1, v15, v1
	global_store_b16 v2, v1, s[6:7] scale_offset
	s_wait_xcnt 0x0
	s_or_b32 exec_lo, exec_lo, s0
	s_mov_b32 s0, exec_lo
	v_cmpx_gt_i32_e64 s1, v0
	s_cbranch_execz .LBB177_24
.LBB177_34:
	s_wait_loadcnt 0x1
	v_mul_f16_e32 v1, s5, v8
	v_add_nc_u32_e32 v2, s2, v0
	v_add_nc_u32_e32 v0, 0x100, v0
	s_wait_loadcnt 0x0
	s_delay_alu instid0(VALU_DEP_3) | instskip(SKIP_3) | instid1(SALU_CYCLE_1)
	v_mul_f16_e32 v1, v16, v1
	global_store_b16 v2, v1, s[6:7] scale_offset
	s_wait_xcnt 0x0
	s_or_b32 exec_lo, exec_lo, s0
	s_mov_b32 s0, exec_lo
	v_cmpx_gt_i32_e64 s1, v0
	s_cbranch_execz .LBB177_25
.LBB177_35:
	s_wait_loadcnt 0x1
	v_mul_f16_e32 v1, s5, v17
	v_add_nc_u32_e32 v2, s2, v0
	v_add_nc_u32_e32 v0, 0x100, v0
	s_wait_loadcnt 0x0
	s_delay_alu instid0(VALU_DEP_3) | instskip(SKIP_3) | instid1(SALU_CYCLE_1)
	v_mul_f16_e32 v1, v18, v1
	global_store_b16 v2, v1, s[6:7] scale_offset
	s_wait_xcnt 0x0
	s_or_b32 exec_lo, exec_lo, s0
	s_mov_b32 s0, exec_lo
	v_cmpx_gt_i32_e64 s1, v0
	s_cbranch_execnz .LBB177_26
	s_branch .LBB177_27
	.section	.rodata,"a",@progbits
	.p2align	6, 0x0
	.amdhsa_kernel _ZN2at6native29vectorized_elementwise_kernelILi8EZZZNS0_12_GLOBAL__N_116addr_kernel_cudaERNS_14TensorIteratorERKN3c106ScalarES8_ENKUlvE_clEvENKUlvE9_clEvEUlNS5_4HalfESB_SB_E_St5arrayIPcLm4EEEEviT0_T1_
		.amdhsa_group_segment_fixed_size 0
		.amdhsa_private_segment_fixed_size 0
		.amdhsa_kernarg_size 40
		.amdhsa_user_sgpr_count 2
		.amdhsa_user_sgpr_dispatch_ptr 0
		.amdhsa_user_sgpr_queue_ptr 0
		.amdhsa_user_sgpr_kernarg_segment_ptr 1
		.amdhsa_user_sgpr_dispatch_id 0
		.amdhsa_user_sgpr_kernarg_preload_length 0
		.amdhsa_user_sgpr_kernarg_preload_offset 0
		.amdhsa_user_sgpr_private_segment_size 0
		.amdhsa_wavefront_size32 1
		.amdhsa_uses_dynamic_stack 0
		.amdhsa_enable_private_segment 0
		.amdhsa_system_sgpr_workgroup_id_x 1
		.amdhsa_system_sgpr_workgroup_id_y 0
		.amdhsa_system_sgpr_workgroup_id_z 0
		.amdhsa_system_sgpr_workgroup_info 0
		.amdhsa_system_vgpr_workitem_id 0
		.amdhsa_next_free_vgpr 20
		.amdhsa_next_free_sgpr 16
		.amdhsa_named_barrier_count 0
		.amdhsa_reserve_vcc 1
		.amdhsa_float_round_mode_32 0
		.amdhsa_float_round_mode_16_64 0
		.amdhsa_float_denorm_mode_32 3
		.amdhsa_float_denorm_mode_16_64 3
		.amdhsa_fp16_overflow 0
		.amdhsa_memory_ordered 1
		.amdhsa_forward_progress 1
		.amdhsa_inst_pref_size 12
		.amdhsa_round_robin_scheduling 0
		.amdhsa_exception_fp_ieee_invalid_op 0
		.amdhsa_exception_fp_denorm_src 0
		.amdhsa_exception_fp_ieee_div_zero 0
		.amdhsa_exception_fp_ieee_overflow 0
		.amdhsa_exception_fp_ieee_underflow 0
		.amdhsa_exception_fp_ieee_inexact 0
		.amdhsa_exception_int_div_zero 0
	.end_amdhsa_kernel
	.section	.text._ZN2at6native29vectorized_elementwise_kernelILi8EZZZNS0_12_GLOBAL__N_116addr_kernel_cudaERNS_14TensorIteratorERKN3c106ScalarES8_ENKUlvE_clEvENKUlvE9_clEvEUlNS5_4HalfESB_SB_E_St5arrayIPcLm4EEEEviT0_T1_,"axG",@progbits,_ZN2at6native29vectorized_elementwise_kernelILi8EZZZNS0_12_GLOBAL__N_116addr_kernel_cudaERNS_14TensorIteratorERKN3c106ScalarES8_ENKUlvE_clEvENKUlvE9_clEvEUlNS5_4HalfESB_SB_E_St5arrayIPcLm4EEEEviT0_T1_,comdat
.Lfunc_end177:
	.size	_ZN2at6native29vectorized_elementwise_kernelILi8EZZZNS0_12_GLOBAL__N_116addr_kernel_cudaERNS_14TensorIteratorERKN3c106ScalarES8_ENKUlvE_clEvENKUlvE9_clEvEUlNS5_4HalfESB_SB_E_St5arrayIPcLm4EEEEviT0_T1_, .Lfunc_end177-_ZN2at6native29vectorized_elementwise_kernelILi8EZZZNS0_12_GLOBAL__N_116addr_kernel_cudaERNS_14TensorIteratorERKN3c106ScalarES8_ENKUlvE_clEvENKUlvE9_clEvEUlNS5_4HalfESB_SB_E_St5arrayIPcLm4EEEEviT0_T1_
                                        ; -- End function
	.set _ZN2at6native29vectorized_elementwise_kernelILi8EZZZNS0_12_GLOBAL__N_116addr_kernel_cudaERNS_14TensorIteratorERKN3c106ScalarES8_ENKUlvE_clEvENKUlvE9_clEvEUlNS5_4HalfESB_SB_E_St5arrayIPcLm4EEEEviT0_T1_.num_vgpr, 20
	.set _ZN2at6native29vectorized_elementwise_kernelILi8EZZZNS0_12_GLOBAL__N_116addr_kernel_cudaERNS_14TensorIteratorERKN3c106ScalarES8_ENKUlvE_clEvENKUlvE9_clEvEUlNS5_4HalfESB_SB_E_St5arrayIPcLm4EEEEviT0_T1_.num_agpr, 0
	.set _ZN2at6native29vectorized_elementwise_kernelILi8EZZZNS0_12_GLOBAL__N_116addr_kernel_cudaERNS_14TensorIteratorERKN3c106ScalarES8_ENKUlvE_clEvENKUlvE9_clEvEUlNS5_4HalfESB_SB_E_St5arrayIPcLm4EEEEviT0_T1_.numbered_sgpr, 16
	.set _ZN2at6native29vectorized_elementwise_kernelILi8EZZZNS0_12_GLOBAL__N_116addr_kernel_cudaERNS_14TensorIteratorERKN3c106ScalarES8_ENKUlvE_clEvENKUlvE9_clEvEUlNS5_4HalfESB_SB_E_St5arrayIPcLm4EEEEviT0_T1_.num_named_barrier, 0
	.set _ZN2at6native29vectorized_elementwise_kernelILi8EZZZNS0_12_GLOBAL__N_116addr_kernel_cudaERNS_14TensorIteratorERKN3c106ScalarES8_ENKUlvE_clEvENKUlvE9_clEvEUlNS5_4HalfESB_SB_E_St5arrayIPcLm4EEEEviT0_T1_.private_seg_size, 0
	.set _ZN2at6native29vectorized_elementwise_kernelILi8EZZZNS0_12_GLOBAL__N_116addr_kernel_cudaERNS_14TensorIteratorERKN3c106ScalarES8_ENKUlvE_clEvENKUlvE9_clEvEUlNS5_4HalfESB_SB_E_St5arrayIPcLm4EEEEviT0_T1_.uses_vcc, 1
	.set _ZN2at6native29vectorized_elementwise_kernelILi8EZZZNS0_12_GLOBAL__N_116addr_kernel_cudaERNS_14TensorIteratorERKN3c106ScalarES8_ENKUlvE_clEvENKUlvE9_clEvEUlNS5_4HalfESB_SB_E_St5arrayIPcLm4EEEEviT0_T1_.uses_flat_scratch, 0
	.set _ZN2at6native29vectorized_elementwise_kernelILi8EZZZNS0_12_GLOBAL__N_116addr_kernel_cudaERNS_14TensorIteratorERKN3c106ScalarES8_ENKUlvE_clEvENKUlvE9_clEvEUlNS5_4HalfESB_SB_E_St5arrayIPcLm4EEEEviT0_T1_.has_dyn_sized_stack, 0
	.set _ZN2at6native29vectorized_elementwise_kernelILi8EZZZNS0_12_GLOBAL__N_116addr_kernel_cudaERNS_14TensorIteratorERKN3c106ScalarES8_ENKUlvE_clEvENKUlvE9_clEvEUlNS5_4HalfESB_SB_E_St5arrayIPcLm4EEEEviT0_T1_.has_recursion, 0
	.set _ZN2at6native29vectorized_elementwise_kernelILi8EZZZNS0_12_GLOBAL__N_116addr_kernel_cudaERNS_14TensorIteratorERKN3c106ScalarES8_ENKUlvE_clEvENKUlvE9_clEvEUlNS5_4HalfESB_SB_E_St5arrayIPcLm4EEEEviT0_T1_.has_indirect_call, 0
	.section	.AMDGPU.csdata,"",@progbits
; Kernel info:
; codeLenInByte = 1536
; TotalNumSgprs: 18
; NumVgprs: 20
; ScratchSize: 0
; MemoryBound: 0
; FloatMode: 240
; IeeeMode: 1
; LDSByteSize: 0 bytes/workgroup (compile time only)
; SGPRBlocks: 0
; VGPRBlocks: 1
; NumSGPRsForWavesPerEU: 18
; NumVGPRsForWavesPerEU: 20
; NamedBarCnt: 0
; Occupancy: 16
; WaveLimiterHint : 0
; COMPUTE_PGM_RSRC2:SCRATCH_EN: 0
; COMPUTE_PGM_RSRC2:USER_SGPR: 2
; COMPUTE_PGM_RSRC2:TRAP_HANDLER: 0
; COMPUTE_PGM_RSRC2:TGID_X_EN: 1
; COMPUTE_PGM_RSRC2:TGID_Y_EN: 0
; COMPUTE_PGM_RSRC2:TGID_Z_EN: 0
; COMPUTE_PGM_RSRC2:TIDIG_COMP_CNT: 0
	.section	.text._ZN2at6native29vectorized_elementwise_kernelILi4EZZZNS0_12_GLOBAL__N_116addr_kernel_cudaERNS_14TensorIteratorERKN3c106ScalarES8_ENKUlvE_clEvENKUlvE9_clEvEUlNS5_4HalfESB_SB_E_St5arrayIPcLm4EEEEviT0_T1_,"axG",@progbits,_ZN2at6native29vectorized_elementwise_kernelILi4EZZZNS0_12_GLOBAL__N_116addr_kernel_cudaERNS_14TensorIteratorERKN3c106ScalarES8_ENKUlvE_clEvENKUlvE9_clEvEUlNS5_4HalfESB_SB_E_St5arrayIPcLm4EEEEviT0_T1_,comdat
	.globl	_ZN2at6native29vectorized_elementwise_kernelILi4EZZZNS0_12_GLOBAL__N_116addr_kernel_cudaERNS_14TensorIteratorERKN3c106ScalarES8_ENKUlvE_clEvENKUlvE9_clEvEUlNS5_4HalfESB_SB_E_St5arrayIPcLm4EEEEviT0_T1_ ; -- Begin function _ZN2at6native29vectorized_elementwise_kernelILi4EZZZNS0_12_GLOBAL__N_116addr_kernel_cudaERNS_14TensorIteratorERKN3c106ScalarES8_ENKUlvE_clEvENKUlvE9_clEvEUlNS5_4HalfESB_SB_E_St5arrayIPcLm4EEEEviT0_T1_
	.p2align	8
	.type	_ZN2at6native29vectorized_elementwise_kernelILi4EZZZNS0_12_GLOBAL__N_116addr_kernel_cudaERNS_14TensorIteratorERKN3c106ScalarES8_ENKUlvE_clEvENKUlvE9_clEvEUlNS5_4HalfESB_SB_E_St5arrayIPcLm4EEEEviT0_T1_,@function
_ZN2at6native29vectorized_elementwise_kernelILi4EZZZNS0_12_GLOBAL__N_116addr_kernel_cudaERNS_14TensorIteratorERKN3c106ScalarES8_ENKUlvE_clEvENKUlvE9_clEvEUlNS5_4HalfESB_SB_E_St5arrayIPcLm4EEEEviT0_T1_: ; @_ZN2at6native29vectorized_elementwise_kernelILi4EZZZNS0_12_GLOBAL__N_116addr_kernel_cudaERNS_14TensorIteratorERKN3c106ScalarES8_ENKUlvE_clEvENKUlvE9_clEvEUlNS5_4HalfESB_SB_E_St5arrayIPcLm4EEEEviT0_T1_
; %bb.0:
	s_clause 0x1
	s_load_b128 s[4:7], s[0:1], 0x0
	s_load_b128 s[8:11], s[0:1], 0x18
	s_wait_xcnt 0x0
	s_bfe_u32 s0, ttmp6, 0x4000c
	s_and_b32 s1, ttmp6, 15
	s_add_co_i32 s0, s0, 1
	s_getreg_b32 s2, hwreg(HW_REG_IB_STS2, 6, 4)
	s_mul_i32 s0, ttmp9, s0
	s_delay_alu instid0(SALU_CYCLE_1) | instskip(SKIP_2) | instid1(SALU_CYCLE_1)
	s_add_co_i32 s1, s1, s0
	s_cmp_eq_u32 s2, 0
	s_cselect_b32 s0, ttmp9, s1
	s_lshl_b32 s2, s0, 11
	s_mov_b32 s0, -1
	s_wait_kmcnt 0x0
	s_sub_co_i32 s1, s4, s2
	s_delay_alu instid0(SALU_CYCLE_1)
	s_cmp_gt_i32 s1, 0x7ff
	s_cbranch_scc0 .LBB178_2
; %bb.1:
	s_ashr_i32 s3, s2, 31
	s_mov_b32 s0, 0
	s_lshl_b64 s[12:13], s[2:3], 1
	s_delay_alu instid0(SALU_CYCLE_1)
	s_add_nc_u64 s[14:15], s[8:9], s[12:13]
	s_add_nc_u64 s[16:17], s[10:11], s[12:13]
	s_clause 0x3
	global_load_b64 v[2:3], v0, s[14:15] scale_offset
	global_load_b64 v[4:5], v0, s[16:17] offset:2048 scale_offset
	global_load_b64 v[6:7], v0, s[14:15] offset:2048 scale_offset
	global_load_b64 v[8:9], v0, s[16:17] scale_offset
	s_add_nc_u64 s[12:13], s[6:7], s[12:13]
	s_wait_loadcnt 0x3
	v_pk_mul_f16 v1, s5, v3 op_sel_hi:[0,1]
	v_pk_mul_f16 v2, s5, v2 op_sel_hi:[0,1]
	s_wait_loadcnt 0x1
	v_pk_mul_f16 v7, s5, v7 op_sel_hi:[0,1]
	v_pk_mul_f16 v6, s5, v6 op_sel_hi:[0,1]
	s_wait_loadcnt 0x0
	v_pk_mul_f16 v3, v1, v9
	v_pk_mul_f16 v2, v2, v8
	;; [unrolled: 1-line block ×4, first 2 shown]
	s_clause 0x1
	global_store_b64 v0, v[2:3], s[12:13] scale_offset
	global_store_b64 v0, v[4:5], s[12:13] offset:2048 scale_offset
.LBB178_2:
	s_and_not1_b32 vcc_lo, exec_lo, s0
	s_cbranch_vccnz .LBB178_27
; %bb.3:
	v_cmp_gt_i32_e32 vcc_lo, s1, v0
	s_wait_xcnt 0x1
	v_dual_mov_b32 v1, 0 :: v_dual_bitop2_b32 v2, s2, v0 bitop3:0x54
	v_or_b32_e32 v3, 0x100, v0
	s_wait_xcnt 0x0
	v_dual_mov_b32 v5, 0 :: v_dual_mov_b32 v6, 0
	v_mov_b32_e32 v11, v0
	s_and_saveexec_b32 s0, vcc_lo
	s_cbranch_execz .LBB178_5
; %bb.4:
	s_clause 0x1
	global_load_u16 v5, v2, s[8:9] scale_offset
	global_load_u16 v6, v2, s[10:11] scale_offset
	v_or_b32_e32 v11, 0x100, v0
.LBB178_5:
	s_wait_xcnt 0x0
	s_or_b32 exec_lo, exec_lo, s0
	v_mov_b32_e32 v7, 0
	s_mov_b32 s3, exec_lo
	v_cmpx_gt_i32_e64 s1, v11
	s_cbranch_execz .LBB178_7
; %bb.6:
	v_add_nc_u32_e32 v4, s2, v11
	v_add_nc_u32_e32 v11, 0x100, v11
	s_clause 0x1
	global_load_u16 v1, v4, s[8:9] scale_offset
	global_load_u16 v7, v4, s[10:11] scale_offset
.LBB178_7:
	s_wait_xcnt 0x0
	s_or_b32 exec_lo, exec_lo, s3
	v_dual_mov_b32 v4, 0 :: v_dual_mov_b32 v9, 0
	v_mov_b32_e32 v10, 0
	s_mov_b32 s3, exec_lo
	v_cmpx_gt_i32_e64 s1, v11
	s_cbranch_execz .LBB178_9
; %bb.8:
	v_add_nc_u32_e32 v8, s2, v11
	v_add_nc_u32_e32 v11, 0x100, v11
	s_clause 0x1
	global_load_u16 v9, v8, s[8:9] scale_offset
	global_load_u16 v10, v8, s[10:11] scale_offset
.LBB178_9:
	s_wait_xcnt 0x0
	s_or_b32 exec_lo, exec_lo, s3
	v_mov_b32_e32 v12, 0
	s_mov_b32 s3, exec_lo
	v_cmpx_gt_i32_e64 s1, v11
	s_cbranch_execz .LBB178_11
; %bb.10:
	v_add_nc_u32_e32 v8, s2, v11
	v_add_nc_u32_e32 v11, 0x100, v11
	s_clause 0x1
	global_load_u16 v4, v8, s[8:9] scale_offset
	global_load_u16 v12, v8, s[10:11] scale_offset
.LBB178_11:
	s_wait_xcnt 0x0
	s_or_b32 exec_lo, exec_lo, s3
	v_dual_mov_b32 v8, 0 :: v_dual_mov_b32 v14, 0
	v_mov_b32_e32 v15, 0
	s_mov_b32 s3, exec_lo
	v_cmpx_gt_i32_e64 s1, v11
	s_cbranch_execz .LBB178_13
; %bb.12:
	v_add_nc_u32_e32 v13, s2, v11
	v_add_nc_u32_e32 v11, 0x100, v11
	s_clause 0x1
	global_load_u16 v14, v13, s[8:9] scale_offset
	global_load_u16 v15, v13, s[10:11] scale_offset
.LBB178_13:
	;; [unrolled: 27-line block ×3, first 2 shown]
	s_wait_xcnt 0x0
	s_or_b32 exec_lo, exec_lo, s3
	v_mov_b32_e32 v19, 0
	s_mov_b32 s3, exec_lo
	v_cmpx_gt_i32_e64 s1, v11
	s_cbranch_execnz .LBB178_28
; %bb.18:
	s_or_b32 exec_lo, exec_lo, s3
	s_and_saveexec_b32 s0, vcc_lo
	s_cbranch_execnz .LBB178_29
.LBB178_19:
	s_or_b32 exec_lo, exec_lo, s0
	s_delay_alu instid0(SALU_CYCLE_1)
	s_mov_b32 s0, exec_lo
	v_cmpx_gt_i32_e64 s1, v0
	s_cbranch_execnz .LBB178_30
.LBB178_20:
	s_or_b32 exec_lo, exec_lo, s0
	s_delay_alu instid0(SALU_CYCLE_1)
	s_mov_b32 s0, exec_lo
	v_cmpx_gt_i32_e64 s1, v0
	s_cbranch_execnz .LBB178_31
.LBB178_21:
	s_or_b32 exec_lo, exec_lo, s0
	s_delay_alu instid0(SALU_CYCLE_1)
	s_mov_b32 s0, exec_lo
	v_cmpx_gt_i32_e64 s1, v0
	s_cbranch_execnz .LBB178_32
.LBB178_22:
	s_or_b32 exec_lo, exec_lo, s0
	s_delay_alu instid0(SALU_CYCLE_1)
	s_mov_b32 s0, exec_lo
	v_cmpx_gt_i32_e64 s1, v0
	s_cbranch_execnz .LBB178_33
.LBB178_23:
	s_or_b32 exec_lo, exec_lo, s0
	s_delay_alu instid0(SALU_CYCLE_1)
	s_mov_b32 s0, exec_lo
	v_cmpx_gt_i32_e64 s1, v0
	s_cbranch_execnz .LBB178_34
.LBB178_24:
	s_or_b32 exec_lo, exec_lo, s0
	s_delay_alu instid0(SALU_CYCLE_1)
	s_mov_b32 s0, exec_lo
	v_cmpx_gt_i32_e64 s1, v0
	s_cbranch_execnz .LBB178_35
.LBB178_25:
	s_or_b32 exec_lo, exec_lo, s0
	s_delay_alu instid0(SALU_CYCLE_1)
	s_mov_b32 s0, exec_lo
	v_cmpx_gt_i32_e64 s1, v0
	s_cbranch_execz .LBB178_27
.LBB178_26:
	s_wait_loadcnt 0x1
	v_mul_f16_e32 v1, s5, v13
	v_add_nc_u32_e32 v0, s2, v0
	s_wait_loadcnt 0x0
	s_delay_alu instid0(VALU_DEP_2)
	v_mul_f16_e32 v1, v19, v1
	global_store_b16 v0, v1, s[6:7] scale_offset
.LBB178_27:
	s_endpgm
.LBB178_28:
	v_add_nc_u32_e32 v11, s2, v11
	s_clause 0x1
	global_load_u16 v13, v11, s[8:9] scale_offset
	global_load_u16 v19, v11, s[10:11] scale_offset
	s_wait_xcnt 0x0
	s_or_b32 exec_lo, exec_lo, s3
	s_and_saveexec_b32 s0, vcc_lo
	s_cbranch_execz .LBB178_19
.LBB178_29:
	s_wait_loadcnt 0x1
	v_mul_f16_e32 v0, s5, v5
	s_wait_loadcnt 0x0
	s_delay_alu instid0(VALU_DEP_1) | instskip(SKIP_4) | instid1(SALU_CYCLE_1)
	v_mul_f16_e32 v5, v6, v0
	v_mov_b32_e32 v0, v3
	global_store_b16 v2, v5, s[6:7] scale_offset
	s_wait_xcnt 0x0
	s_or_b32 exec_lo, exec_lo, s0
	s_mov_b32 s0, exec_lo
	v_cmpx_gt_i32_e64 s1, v0
	s_cbranch_execz .LBB178_20
.LBB178_30:
	s_wait_loadcnt 0x1
	v_mul_f16_e32 v1, s5, v1
	v_add_nc_u32_e32 v2, s2, v0
	v_add_nc_u32_e32 v0, 0x100, v0
	s_wait_loadcnt 0x0
	s_delay_alu instid0(VALU_DEP_3) | instskip(SKIP_3) | instid1(SALU_CYCLE_1)
	v_mul_f16_e32 v1, v7, v1
	global_store_b16 v2, v1, s[6:7] scale_offset
	s_wait_xcnt 0x0
	s_or_b32 exec_lo, exec_lo, s0
	s_mov_b32 s0, exec_lo
	v_cmpx_gt_i32_e64 s1, v0
	s_cbranch_execz .LBB178_21
.LBB178_31:
	s_wait_loadcnt 0x1
	v_mul_f16_e32 v1, s5, v9
	v_add_nc_u32_e32 v2, s2, v0
	v_add_nc_u32_e32 v0, 0x100, v0
	s_wait_loadcnt 0x0
	s_delay_alu instid0(VALU_DEP_3) | instskip(SKIP_3) | instid1(SALU_CYCLE_1)
	v_mul_f16_e32 v1, v10, v1
	global_store_b16 v2, v1, s[6:7] scale_offset
	s_wait_xcnt 0x0
	s_or_b32 exec_lo, exec_lo, s0
	s_mov_b32 s0, exec_lo
	v_cmpx_gt_i32_e64 s1, v0
	s_cbranch_execz .LBB178_22
.LBB178_32:
	s_wait_loadcnt 0x1
	v_mul_f16_e32 v1, s5, v4
	v_add_nc_u32_e32 v2, s2, v0
	v_add_nc_u32_e32 v0, 0x100, v0
	s_wait_loadcnt 0x0
	s_delay_alu instid0(VALU_DEP_3) | instskip(SKIP_3) | instid1(SALU_CYCLE_1)
	v_mul_f16_e32 v1, v12, v1
	global_store_b16 v2, v1, s[6:7] scale_offset
	s_wait_xcnt 0x0
	s_or_b32 exec_lo, exec_lo, s0
	s_mov_b32 s0, exec_lo
	v_cmpx_gt_i32_e64 s1, v0
	s_cbranch_execz .LBB178_23
.LBB178_33:
	s_wait_loadcnt 0x1
	v_mul_f16_e32 v1, s5, v14
	v_add_nc_u32_e32 v2, s2, v0
	v_add_nc_u32_e32 v0, 0x100, v0
	s_wait_loadcnt 0x0
	s_delay_alu instid0(VALU_DEP_3) | instskip(SKIP_3) | instid1(SALU_CYCLE_1)
	v_mul_f16_e32 v1, v15, v1
	global_store_b16 v2, v1, s[6:7] scale_offset
	s_wait_xcnt 0x0
	s_or_b32 exec_lo, exec_lo, s0
	s_mov_b32 s0, exec_lo
	v_cmpx_gt_i32_e64 s1, v0
	s_cbranch_execz .LBB178_24
.LBB178_34:
	s_wait_loadcnt 0x1
	v_mul_f16_e32 v1, s5, v8
	v_add_nc_u32_e32 v2, s2, v0
	v_add_nc_u32_e32 v0, 0x100, v0
	s_wait_loadcnt 0x0
	s_delay_alu instid0(VALU_DEP_3) | instskip(SKIP_3) | instid1(SALU_CYCLE_1)
	v_mul_f16_e32 v1, v16, v1
	global_store_b16 v2, v1, s[6:7] scale_offset
	s_wait_xcnt 0x0
	s_or_b32 exec_lo, exec_lo, s0
	s_mov_b32 s0, exec_lo
	v_cmpx_gt_i32_e64 s1, v0
	s_cbranch_execz .LBB178_25
.LBB178_35:
	s_wait_loadcnt 0x1
	v_mul_f16_e32 v1, s5, v17
	v_add_nc_u32_e32 v2, s2, v0
	v_add_nc_u32_e32 v0, 0x100, v0
	s_wait_loadcnt 0x0
	s_delay_alu instid0(VALU_DEP_3) | instskip(SKIP_3) | instid1(SALU_CYCLE_1)
	v_mul_f16_e32 v1, v18, v1
	global_store_b16 v2, v1, s[6:7] scale_offset
	s_wait_xcnt 0x0
	s_or_b32 exec_lo, exec_lo, s0
	s_mov_b32 s0, exec_lo
	v_cmpx_gt_i32_e64 s1, v0
	s_cbranch_execnz .LBB178_26
	s_branch .LBB178_27
	.section	.rodata,"a",@progbits
	.p2align	6, 0x0
	.amdhsa_kernel _ZN2at6native29vectorized_elementwise_kernelILi4EZZZNS0_12_GLOBAL__N_116addr_kernel_cudaERNS_14TensorIteratorERKN3c106ScalarES8_ENKUlvE_clEvENKUlvE9_clEvEUlNS5_4HalfESB_SB_E_St5arrayIPcLm4EEEEviT0_T1_
		.amdhsa_group_segment_fixed_size 0
		.amdhsa_private_segment_fixed_size 0
		.amdhsa_kernarg_size 40
		.amdhsa_user_sgpr_count 2
		.amdhsa_user_sgpr_dispatch_ptr 0
		.amdhsa_user_sgpr_queue_ptr 0
		.amdhsa_user_sgpr_kernarg_segment_ptr 1
		.amdhsa_user_sgpr_dispatch_id 0
		.amdhsa_user_sgpr_kernarg_preload_length 0
		.amdhsa_user_sgpr_kernarg_preload_offset 0
		.amdhsa_user_sgpr_private_segment_size 0
		.amdhsa_wavefront_size32 1
		.amdhsa_uses_dynamic_stack 0
		.amdhsa_enable_private_segment 0
		.amdhsa_system_sgpr_workgroup_id_x 1
		.amdhsa_system_sgpr_workgroup_id_y 0
		.amdhsa_system_sgpr_workgroup_id_z 0
		.amdhsa_system_sgpr_workgroup_info 0
		.amdhsa_system_vgpr_workitem_id 0
		.amdhsa_next_free_vgpr 20
		.amdhsa_next_free_sgpr 18
		.amdhsa_named_barrier_count 0
		.amdhsa_reserve_vcc 1
		.amdhsa_float_round_mode_32 0
		.amdhsa_float_round_mode_16_64 0
		.amdhsa_float_denorm_mode_32 3
		.amdhsa_float_denorm_mode_16_64 3
		.amdhsa_fp16_overflow 0
		.amdhsa_memory_ordered 1
		.amdhsa_forward_progress 1
		.amdhsa_inst_pref_size 13
		.amdhsa_round_robin_scheduling 0
		.amdhsa_exception_fp_ieee_invalid_op 0
		.amdhsa_exception_fp_denorm_src 0
		.amdhsa_exception_fp_ieee_div_zero 0
		.amdhsa_exception_fp_ieee_overflow 0
		.amdhsa_exception_fp_ieee_underflow 0
		.amdhsa_exception_fp_ieee_inexact 0
		.amdhsa_exception_int_div_zero 0
	.end_amdhsa_kernel
	.section	.text._ZN2at6native29vectorized_elementwise_kernelILi4EZZZNS0_12_GLOBAL__N_116addr_kernel_cudaERNS_14TensorIteratorERKN3c106ScalarES8_ENKUlvE_clEvENKUlvE9_clEvEUlNS5_4HalfESB_SB_E_St5arrayIPcLm4EEEEviT0_T1_,"axG",@progbits,_ZN2at6native29vectorized_elementwise_kernelILi4EZZZNS0_12_GLOBAL__N_116addr_kernel_cudaERNS_14TensorIteratorERKN3c106ScalarES8_ENKUlvE_clEvENKUlvE9_clEvEUlNS5_4HalfESB_SB_E_St5arrayIPcLm4EEEEviT0_T1_,comdat
.Lfunc_end178:
	.size	_ZN2at6native29vectorized_elementwise_kernelILi4EZZZNS0_12_GLOBAL__N_116addr_kernel_cudaERNS_14TensorIteratorERKN3c106ScalarES8_ENKUlvE_clEvENKUlvE9_clEvEUlNS5_4HalfESB_SB_E_St5arrayIPcLm4EEEEviT0_T1_, .Lfunc_end178-_ZN2at6native29vectorized_elementwise_kernelILi4EZZZNS0_12_GLOBAL__N_116addr_kernel_cudaERNS_14TensorIteratorERKN3c106ScalarES8_ENKUlvE_clEvENKUlvE9_clEvEUlNS5_4HalfESB_SB_E_St5arrayIPcLm4EEEEviT0_T1_
                                        ; -- End function
	.set _ZN2at6native29vectorized_elementwise_kernelILi4EZZZNS0_12_GLOBAL__N_116addr_kernel_cudaERNS_14TensorIteratorERKN3c106ScalarES8_ENKUlvE_clEvENKUlvE9_clEvEUlNS5_4HalfESB_SB_E_St5arrayIPcLm4EEEEviT0_T1_.num_vgpr, 20
	.set _ZN2at6native29vectorized_elementwise_kernelILi4EZZZNS0_12_GLOBAL__N_116addr_kernel_cudaERNS_14TensorIteratorERKN3c106ScalarES8_ENKUlvE_clEvENKUlvE9_clEvEUlNS5_4HalfESB_SB_E_St5arrayIPcLm4EEEEviT0_T1_.num_agpr, 0
	.set _ZN2at6native29vectorized_elementwise_kernelILi4EZZZNS0_12_GLOBAL__N_116addr_kernel_cudaERNS_14TensorIteratorERKN3c106ScalarES8_ENKUlvE_clEvENKUlvE9_clEvEUlNS5_4HalfESB_SB_E_St5arrayIPcLm4EEEEviT0_T1_.numbered_sgpr, 18
	.set _ZN2at6native29vectorized_elementwise_kernelILi4EZZZNS0_12_GLOBAL__N_116addr_kernel_cudaERNS_14TensorIteratorERKN3c106ScalarES8_ENKUlvE_clEvENKUlvE9_clEvEUlNS5_4HalfESB_SB_E_St5arrayIPcLm4EEEEviT0_T1_.num_named_barrier, 0
	.set _ZN2at6native29vectorized_elementwise_kernelILi4EZZZNS0_12_GLOBAL__N_116addr_kernel_cudaERNS_14TensorIteratorERKN3c106ScalarES8_ENKUlvE_clEvENKUlvE9_clEvEUlNS5_4HalfESB_SB_E_St5arrayIPcLm4EEEEviT0_T1_.private_seg_size, 0
	.set _ZN2at6native29vectorized_elementwise_kernelILi4EZZZNS0_12_GLOBAL__N_116addr_kernel_cudaERNS_14TensorIteratorERKN3c106ScalarES8_ENKUlvE_clEvENKUlvE9_clEvEUlNS5_4HalfESB_SB_E_St5arrayIPcLm4EEEEviT0_T1_.uses_vcc, 1
	.set _ZN2at6native29vectorized_elementwise_kernelILi4EZZZNS0_12_GLOBAL__N_116addr_kernel_cudaERNS_14TensorIteratorERKN3c106ScalarES8_ENKUlvE_clEvENKUlvE9_clEvEUlNS5_4HalfESB_SB_E_St5arrayIPcLm4EEEEviT0_T1_.uses_flat_scratch, 0
	.set _ZN2at6native29vectorized_elementwise_kernelILi4EZZZNS0_12_GLOBAL__N_116addr_kernel_cudaERNS_14TensorIteratorERKN3c106ScalarES8_ENKUlvE_clEvENKUlvE9_clEvEUlNS5_4HalfESB_SB_E_St5arrayIPcLm4EEEEviT0_T1_.has_dyn_sized_stack, 0
	.set _ZN2at6native29vectorized_elementwise_kernelILi4EZZZNS0_12_GLOBAL__N_116addr_kernel_cudaERNS_14TensorIteratorERKN3c106ScalarES8_ENKUlvE_clEvENKUlvE9_clEvEUlNS5_4HalfESB_SB_E_St5arrayIPcLm4EEEEviT0_T1_.has_recursion, 0
	.set _ZN2at6native29vectorized_elementwise_kernelILi4EZZZNS0_12_GLOBAL__N_116addr_kernel_cudaERNS_14TensorIteratorERKN3c106ScalarES8_ENKUlvE_clEvENKUlvE9_clEvEUlNS5_4HalfESB_SB_E_St5arrayIPcLm4EEEEviT0_T1_.has_indirect_call, 0
	.section	.AMDGPU.csdata,"",@progbits
; Kernel info:
; codeLenInByte = 1584
; TotalNumSgprs: 20
; NumVgprs: 20
; ScratchSize: 0
; MemoryBound: 0
; FloatMode: 240
; IeeeMode: 1
; LDSByteSize: 0 bytes/workgroup (compile time only)
; SGPRBlocks: 0
; VGPRBlocks: 1
; NumSGPRsForWavesPerEU: 20
; NumVGPRsForWavesPerEU: 20
; NamedBarCnt: 0
; Occupancy: 16
; WaveLimiterHint : 1
; COMPUTE_PGM_RSRC2:SCRATCH_EN: 0
; COMPUTE_PGM_RSRC2:USER_SGPR: 2
; COMPUTE_PGM_RSRC2:TRAP_HANDLER: 0
; COMPUTE_PGM_RSRC2:TGID_X_EN: 1
; COMPUTE_PGM_RSRC2:TGID_Y_EN: 0
; COMPUTE_PGM_RSRC2:TGID_Z_EN: 0
; COMPUTE_PGM_RSRC2:TIDIG_COMP_CNT: 0
	.section	.text._ZN2at6native29vectorized_elementwise_kernelILi2EZZZNS0_12_GLOBAL__N_116addr_kernel_cudaERNS_14TensorIteratorERKN3c106ScalarES8_ENKUlvE_clEvENKUlvE9_clEvEUlNS5_4HalfESB_SB_E_St5arrayIPcLm4EEEEviT0_T1_,"axG",@progbits,_ZN2at6native29vectorized_elementwise_kernelILi2EZZZNS0_12_GLOBAL__N_116addr_kernel_cudaERNS_14TensorIteratorERKN3c106ScalarES8_ENKUlvE_clEvENKUlvE9_clEvEUlNS5_4HalfESB_SB_E_St5arrayIPcLm4EEEEviT0_T1_,comdat
	.globl	_ZN2at6native29vectorized_elementwise_kernelILi2EZZZNS0_12_GLOBAL__N_116addr_kernel_cudaERNS_14TensorIteratorERKN3c106ScalarES8_ENKUlvE_clEvENKUlvE9_clEvEUlNS5_4HalfESB_SB_E_St5arrayIPcLm4EEEEviT0_T1_ ; -- Begin function _ZN2at6native29vectorized_elementwise_kernelILi2EZZZNS0_12_GLOBAL__N_116addr_kernel_cudaERNS_14TensorIteratorERKN3c106ScalarES8_ENKUlvE_clEvENKUlvE9_clEvEUlNS5_4HalfESB_SB_E_St5arrayIPcLm4EEEEviT0_T1_
	.p2align	8
	.type	_ZN2at6native29vectorized_elementwise_kernelILi2EZZZNS0_12_GLOBAL__N_116addr_kernel_cudaERNS_14TensorIteratorERKN3c106ScalarES8_ENKUlvE_clEvENKUlvE9_clEvEUlNS5_4HalfESB_SB_E_St5arrayIPcLm4EEEEviT0_T1_,@function
_ZN2at6native29vectorized_elementwise_kernelILi2EZZZNS0_12_GLOBAL__N_116addr_kernel_cudaERNS_14TensorIteratorERKN3c106ScalarES8_ENKUlvE_clEvENKUlvE9_clEvEUlNS5_4HalfESB_SB_E_St5arrayIPcLm4EEEEviT0_T1_: ; @_ZN2at6native29vectorized_elementwise_kernelILi2EZZZNS0_12_GLOBAL__N_116addr_kernel_cudaERNS_14TensorIteratorERKN3c106ScalarES8_ENKUlvE_clEvENKUlvE9_clEvEUlNS5_4HalfESB_SB_E_St5arrayIPcLm4EEEEviT0_T1_
; %bb.0:
	s_clause 0x1
	s_load_b128 s[4:7], s[0:1], 0x0
	s_load_b128 s[8:11], s[0:1], 0x18
	s_wait_xcnt 0x0
	s_bfe_u32 s0, ttmp6, 0x4000c
	s_and_b32 s1, ttmp6, 15
	s_add_co_i32 s0, s0, 1
	s_getreg_b32 s2, hwreg(HW_REG_IB_STS2, 6, 4)
	s_mul_i32 s0, ttmp9, s0
	s_delay_alu instid0(SALU_CYCLE_1) | instskip(SKIP_2) | instid1(SALU_CYCLE_1)
	s_add_co_i32 s1, s1, s0
	s_cmp_eq_u32 s2, 0
	s_cselect_b32 s0, ttmp9, s1
	s_lshl_b32 s2, s0, 11
	s_mov_b32 s0, -1
	s_wait_kmcnt 0x0
	s_sub_co_i32 s1, s4, s2
	s_delay_alu instid0(SALU_CYCLE_1)
	s_cmp_gt_i32 s1, 0x7ff
	s_cbranch_scc0 .LBB179_2
; %bb.1:
	s_ashr_i32 s3, s2, 31
	s_mov_b32 s0, 0
	s_lshl_b64 s[12:13], s[2:3], 1
	s_delay_alu instid0(SALU_CYCLE_1)
	s_add_nc_u64 s[14:15], s[8:9], s[12:13]
	s_add_nc_u64 s[16:17], s[10:11], s[12:13]
	s_clause 0x7
	global_load_b32 v1, v0, s[14:15] scale_offset
	global_load_b32 v2, v0, s[14:15] offset:1024 scale_offset
	global_load_b32 v3, v0, s[14:15] offset:2048 scale_offset
	;; [unrolled: 1-line block ×3, first 2 shown]
	global_load_b32 v5, v0, s[16:17] scale_offset
	global_load_b32 v6, v0, s[16:17] offset:1024 scale_offset
	global_load_b32 v7, v0, s[16:17] offset:2048 scale_offset
	;; [unrolled: 1-line block ×3, first 2 shown]
	s_add_nc_u64 s[12:13], s[6:7], s[12:13]
	s_wait_loadcnt 0x7
	v_pk_mul_f16 v1, s5, v1 op_sel_hi:[0,1]
	s_wait_loadcnt 0x6
	v_pk_mul_f16 v2, s5, v2 op_sel_hi:[0,1]
	;; [unrolled: 2-line block ×4, first 2 shown]
	s_wait_loadcnt 0x3
	v_pk_mul_f16 v1, v1, v5
	s_wait_loadcnt 0x2
	v_pk_mul_f16 v2, v2, v6
	;; [unrolled: 2-line block ×4, first 2 shown]
	s_clause 0x3
	global_store_b32 v0, v1, s[12:13] scale_offset
	global_store_b32 v0, v2, s[12:13] offset:1024 scale_offset
	global_store_b32 v0, v3, s[12:13] offset:2048 scale_offset
	;; [unrolled: 1-line block ×3, first 2 shown]
.LBB179_2:
	s_and_not1_b32 vcc_lo, exec_lo, s0
	s_cbranch_vccnz .LBB179_27
; %bb.3:
	v_cmp_gt_i32_e32 vcc_lo, s1, v0
	s_wait_xcnt 0x2
	v_dual_mov_b32 v1, 0 :: v_dual_bitop2_b32 v2, s2, v0 bitop3:0x54
	s_wait_xcnt 0x1
	v_or_b32_e32 v3, 0x100, v0
	v_dual_mov_b32 v5, 0 :: v_dual_mov_b32 v6, 0
	v_mov_b32_e32 v11, v0
	s_wait_xcnt 0x0
	s_and_saveexec_b32 s0, vcc_lo
	s_cbranch_execz .LBB179_5
; %bb.4:
	s_clause 0x1
	global_load_u16 v5, v2, s[8:9] scale_offset
	global_load_u16 v6, v2, s[10:11] scale_offset
	v_or_b32_e32 v11, 0x100, v0
.LBB179_5:
	s_wait_xcnt 0x0
	s_or_b32 exec_lo, exec_lo, s0
	v_mov_b32_e32 v7, 0
	s_mov_b32 s3, exec_lo
	v_cmpx_gt_i32_e64 s1, v11
	s_cbranch_execz .LBB179_7
; %bb.6:
	v_add_nc_u32_e32 v4, s2, v11
	v_add_nc_u32_e32 v11, 0x100, v11
	s_clause 0x1
	global_load_u16 v1, v4, s[8:9] scale_offset
	global_load_u16 v7, v4, s[10:11] scale_offset
.LBB179_7:
	s_wait_xcnt 0x0
	s_or_b32 exec_lo, exec_lo, s3
	v_dual_mov_b32 v4, 0 :: v_dual_mov_b32 v9, 0
	v_mov_b32_e32 v10, 0
	s_mov_b32 s3, exec_lo
	v_cmpx_gt_i32_e64 s1, v11
	s_cbranch_execz .LBB179_9
; %bb.8:
	v_add_nc_u32_e32 v8, s2, v11
	v_add_nc_u32_e32 v11, 0x100, v11
	s_clause 0x1
	global_load_u16 v9, v8, s[8:9] scale_offset
	global_load_u16 v10, v8, s[10:11] scale_offset
.LBB179_9:
	s_wait_xcnt 0x0
	s_or_b32 exec_lo, exec_lo, s3
	v_mov_b32_e32 v12, 0
	s_mov_b32 s3, exec_lo
	v_cmpx_gt_i32_e64 s1, v11
	s_cbranch_execz .LBB179_11
; %bb.10:
	v_add_nc_u32_e32 v8, s2, v11
	v_add_nc_u32_e32 v11, 0x100, v11
	s_clause 0x1
	global_load_u16 v4, v8, s[8:9] scale_offset
	global_load_u16 v12, v8, s[10:11] scale_offset
.LBB179_11:
	s_wait_xcnt 0x0
	s_or_b32 exec_lo, exec_lo, s3
	v_dual_mov_b32 v8, 0 :: v_dual_mov_b32 v14, 0
	v_mov_b32_e32 v15, 0
	s_mov_b32 s3, exec_lo
	v_cmpx_gt_i32_e64 s1, v11
	s_cbranch_execz .LBB179_13
; %bb.12:
	v_add_nc_u32_e32 v13, s2, v11
	v_add_nc_u32_e32 v11, 0x100, v11
	s_clause 0x1
	global_load_u16 v14, v13, s[8:9] scale_offset
	global_load_u16 v15, v13, s[10:11] scale_offset
.LBB179_13:
	;; [unrolled: 27-line block ×3, first 2 shown]
	s_wait_xcnt 0x0
	s_or_b32 exec_lo, exec_lo, s3
	v_mov_b32_e32 v19, 0
	s_mov_b32 s3, exec_lo
	v_cmpx_gt_i32_e64 s1, v11
	s_cbranch_execnz .LBB179_28
; %bb.18:
	s_or_b32 exec_lo, exec_lo, s3
	s_and_saveexec_b32 s0, vcc_lo
	s_cbranch_execnz .LBB179_29
.LBB179_19:
	s_or_b32 exec_lo, exec_lo, s0
	s_delay_alu instid0(SALU_CYCLE_1)
	s_mov_b32 s0, exec_lo
	v_cmpx_gt_i32_e64 s1, v0
	s_cbranch_execnz .LBB179_30
.LBB179_20:
	s_or_b32 exec_lo, exec_lo, s0
	s_delay_alu instid0(SALU_CYCLE_1)
	s_mov_b32 s0, exec_lo
	v_cmpx_gt_i32_e64 s1, v0
	s_cbranch_execnz .LBB179_31
.LBB179_21:
	s_or_b32 exec_lo, exec_lo, s0
	s_delay_alu instid0(SALU_CYCLE_1)
	s_mov_b32 s0, exec_lo
	v_cmpx_gt_i32_e64 s1, v0
	s_cbranch_execnz .LBB179_32
.LBB179_22:
	s_or_b32 exec_lo, exec_lo, s0
	s_delay_alu instid0(SALU_CYCLE_1)
	s_mov_b32 s0, exec_lo
	v_cmpx_gt_i32_e64 s1, v0
	s_cbranch_execnz .LBB179_33
.LBB179_23:
	s_or_b32 exec_lo, exec_lo, s0
	s_delay_alu instid0(SALU_CYCLE_1)
	s_mov_b32 s0, exec_lo
	v_cmpx_gt_i32_e64 s1, v0
	s_cbranch_execnz .LBB179_34
.LBB179_24:
	s_or_b32 exec_lo, exec_lo, s0
	s_delay_alu instid0(SALU_CYCLE_1)
	s_mov_b32 s0, exec_lo
	v_cmpx_gt_i32_e64 s1, v0
	s_cbranch_execnz .LBB179_35
.LBB179_25:
	s_or_b32 exec_lo, exec_lo, s0
	s_delay_alu instid0(SALU_CYCLE_1)
	s_mov_b32 s0, exec_lo
	v_cmpx_gt_i32_e64 s1, v0
	s_cbranch_execz .LBB179_27
.LBB179_26:
	s_wait_loadcnt 0x1
	v_mul_f16_e32 v1, s5, v13
	v_add_nc_u32_e32 v0, s2, v0
	s_wait_loadcnt 0x0
	s_delay_alu instid0(VALU_DEP_2)
	v_mul_f16_e32 v1, v19, v1
	global_store_b16 v0, v1, s[6:7] scale_offset
.LBB179_27:
	s_endpgm
.LBB179_28:
	v_add_nc_u32_e32 v11, s2, v11
	s_clause 0x1
	global_load_u16 v13, v11, s[8:9] scale_offset
	global_load_u16 v19, v11, s[10:11] scale_offset
	s_wait_xcnt 0x0
	s_or_b32 exec_lo, exec_lo, s3
	s_and_saveexec_b32 s0, vcc_lo
	s_cbranch_execz .LBB179_19
.LBB179_29:
	s_wait_loadcnt 0x1
	v_mul_f16_e32 v0, s5, v5
	s_wait_loadcnt 0x0
	s_delay_alu instid0(VALU_DEP_1) | instskip(SKIP_4) | instid1(SALU_CYCLE_1)
	v_mul_f16_e32 v5, v6, v0
	v_mov_b32_e32 v0, v3
	global_store_b16 v2, v5, s[6:7] scale_offset
	s_wait_xcnt 0x0
	s_or_b32 exec_lo, exec_lo, s0
	s_mov_b32 s0, exec_lo
	v_cmpx_gt_i32_e64 s1, v0
	s_cbranch_execz .LBB179_20
.LBB179_30:
	s_wait_loadcnt 0x1
	v_mul_f16_e32 v1, s5, v1
	v_add_nc_u32_e32 v2, s2, v0
	v_add_nc_u32_e32 v0, 0x100, v0
	s_wait_loadcnt 0x0
	s_delay_alu instid0(VALU_DEP_3) | instskip(SKIP_3) | instid1(SALU_CYCLE_1)
	v_mul_f16_e32 v1, v7, v1
	global_store_b16 v2, v1, s[6:7] scale_offset
	s_wait_xcnt 0x0
	s_or_b32 exec_lo, exec_lo, s0
	s_mov_b32 s0, exec_lo
	v_cmpx_gt_i32_e64 s1, v0
	s_cbranch_execz .LBB179_21
.LBB179_31:
	s_wait_loadcnt 0x1
	v_mul_f16_e32 v1, s5, v9
	v_add_nc_u32_e32 v2, s2, v0
	v_add_nc_u32_e32 v0, 0x100, v0
	s_wait_loadcnt 0x0
	s_delay_alu instid0(VALU_DEP_3) | instskip(SKIP_3) | instid1(SALU_CYCLE_1)
	v_mul_f16_e32 v1, v10, v1
	global_store_b16 v2, v1, s[6:7] scale_offset
	s_wait_xcnt 0x0
	s_or_b32 exec_lo, exec_lo, s0
	s_mov_b32 s0, exec_lo
	v_cmpx_gt_i32_e64 s1, v0
	s_cbranch_execz .LBB179_22
.LBB179_32:
	s_wait_loadcnt 0x1
	v_mul_f16_e32 v1, s5, v4
	v_add_nc_u32_e32 v2, s2, v0
	v_add_nc_u32_e32 v0, 0x100, v0
	s_wait_loadcnt 0x0
	s_delay_alu instid0(VALU_DEP_3) | instskip(SKIP_3) | instid1(SALU_CYCLE_1)
	v_mul_f16_e32 v1, v12, v1
	global_store_b16 v2, v1, s[6:7] scale_offset
	s_wait_xcnt 0x0
	s_or_b32 exec_lo, exec_lo, s0
	s_mov_b32 s0, exec_lo
	v_cmpx_gt_i32_e64 s1, v0
	s_cbranch_execz .LBB179_23
.LBB179_33:
	s_wait_loadcnt 0x1
	v_mul_f16_e32 v1, s5, v14
	v_add_nc_u32_e32 v2, s2, v0
	v_add_nc_u32_e32 v0, 0x100, v0
	s_wait_loadcnt 0x0
	s_delay_alu instid0(VALU_DEP_3) | instskip(SKIP_3) | instid1(SALU_CYCLE_1)
	v_mul_f16_e32 v1, v15, v1
	global_store_b16 v2, v1, s[6:7] scale_offset
	s_wait_xcnt 0x0
	s_or_b32 exec_lo, exec_lo, s0
	s_mov_b32 s0, exec_lo
	v_cmpx_gt_i32_e64 s1, v0
	s_cbranch_execz .LBB179_24
.LBB179_34:
	s_wait_loadcnt 0x1
	v_mul_f16_e32 v1, s5, v8
	v_add_nc_u32_e32 v2, s2, v0
	v_add_nc_u32_e32 v0, 0x100, v0
	s_wait_loadcnt 0x0
	s_delay_alu instid0(VALU_DEP_3) | instskip(SKIP_3) | instid1(SALU_CYCLE_1)
	v_mul_f16_e32 v1, v16, v1
	global_store_b16 v2, v1, s[6:7] scale_offset
	s_wait_xcnt 0x0
	s_or_b32 exec_lo, exec_lo, s0
	s_mov_b32 s0, exec_lo
	v_cmpx_gt_i32_e64 s1, v0
	s_cbranch_execz .LBB179_25
.LBB179_35:
	s_wait_loadcnt 0x1
	v_mul_f16_e32 v1, s5, v17
	v_add_nc_u32_e32 v2, s2, v0
	v_add_nc_u32_e32 v0, 0x100, v0
	s_wait_loadcnt 0x0
	s_delay_alu instid0(VALU_DEP_3) | instskip(SKIP_3) | instid1(SALU_CYCLE_1)
	v_mul_f16_e32 v1, v18, v1
	global_store_b16 v2, v1, s[6:7] scale_offset
	s_wait_xcnt 0x0
	s_or_b32 exec_lo, exec_lo, s0
	s_mov_b32 s0, exec_lo
	v_cmpx_gt_i32_e64 s1, v0
	s_cbranch_execnz .LBB179_26
	s_branch .LBB179_27
	.section	.rodata,"a",@progbits
	.p2align	6, 0x0
	.amdhsa_kernel _ZN2at6native29vectorized_elementwise_kernelILi2EZZZNS0_12_GLOBAL__N_116addr_kernel_cudaERNS_14TensorIteratorERKN3c106ScalarES8_ENKUlvE_clEvENKUlvE9_clEvEUlNS5_4HalfESB_SB_E_St5arrayIPcLm4EEEEviT0_T1_
		.amdhsa_group_segment_fixed_size 0
		.amdhsa_private_segment_fixed_size 0
		.amdhsa_kernarg_size 40
		.amdhsa_user_sgpr_count 2
		.amdhsa_user_sgpr_dispatch_ptr 0
		.amdhsa_user_sgpr_queue_ptr 0
		.amdhsa_user_sgpr_kernarg_segment_ptr 1
		.amdhsa_user_sgpr_dispatch_id 0
		.amdhsa_user_sgpr_kernarg_preload_length 0
		.amdhsa_user_sgpr_kernarg_preload_offset 0
		.amdhsa_user_sgpr_private_segment_size 0
		.amdhsa_wavefront_size32 1
		.amdhsa_uses_dynamic_stack 0
		.amdhsa_enable_private_segment 0
		.amdhsa_system_sgpr_workgroup_id_x 1
		.amdhsa_system_sgpr_workgroup_id_y 0
		.amdhsa_system_sgpr_workgroup_id_z 0
		.amdhsa_system_sgpr_workgroup_info 0
		.amdhsa_system_vgpr_workitem_id 0
		.amdhsa_next_free_vgpr 20
		.amdhsa_next_free_sgpr 18
		.amdhsa_named_barrier_count 0
		.amdhsa_reserve_vcc 1
		.amdhsa_float_round_mode_32 0
		.amdhsa_float_round_mode_16_64 0
		.amdhsa_float_denorm_mode_32 3
		.amdhsa_float_denorm_mode_16_64 3
		.amdhsa_fp16_overflow 0
		.amdhsa_memory_ordered 1
		.amdhsa_forward_progress 1
		.amdhsa_inst_pref_size 14
		.amdhsa_round_robin_scheduling 0
		.amdhsa_exception_fp_ieee_invalid_op 0
		.amdhsa_exception_fp_denorm_src 0
		.amdhsa_exception_fp_ieee_div_zero 0
		.amdhsa_exception_fp_ieee_overflow 0
		.amdhsa_exception_fp_ieee_underflow 0
		.amdhsa_exception_fp_ieee_inexact 0
		.amdhsa_exception_int_div_zero 0
	.end_amdhsa_kernel
	.section	.text._ZN2at6native29vectorized_elementwise_kernelILi2EZZZNS0_12_GLOBAL__N_116addr_kernel_cudaERNS_14TensorIteratorERKN3c106ScalarES8_ENKUlvE_clEvENKUlvE9_clEvEUlNS5_4HalfESB_SB_E_St5arrayIPcLm4EEEEviT0_T1_,"axG",@progbits,_ZN2at6native29vectorized_elementwise_kernelILi2EZZZNS0_12_GLOBAL__N_116addr_kernel_cudaERNS_14TensorIteratorERKN3c106ScalarES8_ENKUlvE_clEvENKUlvE9_clEvEUlNS5_4HalfESB_SB_E_St5arrayIPcLm4EEEEviT0_T1_,comdat
.Lfunc_end179:
	.size	_ZN2at6native29vectorized_elementwise_kernelILi2EZZZNS0_12_GLOBAL__N_116addr_kernel_cudaERNS_14TensorIteratorERKN3c106ScalarES8_ENKUlvE_clEvENKUlvE9_clEvEUlNS5_4HalfESB_SB_E_St5arrayIPcLm4EEEEviT0_T1_, .Lfunc_end179-_ZN2at6native29vectorized_elementwise_kernelILi2EZZZNS0_12_GLOBAL__N_116addr_kernel_cudaERNS_14TensorIteratorERKN3c106ScalarES8_ENKUlvE_clEvENKUlvE9_clEvEUlNS5_4HalfESB_SB_E_St5arrayIPcLm4EEEEviT0_T1_
                                        ; -- End function
	.set _ZN2at6native29vectorized_elementwise_kernelILi2EZZZNS0_12_GLOBAL__N_116addr_kernel_cudaERNS_14TensorIteratorERKN3c106ScalarES8_ENKUlvE_clEvENKUlvE9_clEvEUlNS5_4HalfESB_SB_E_St5arrayIPcLm4EEEEviT0_T1_.num_vgpr, 20
	.set _ZN2at6native29vectorized_elementwise_kernelILi2EZZZNS0_12_GLOBAL__N_116addr_kernel_cudaERNS_14TensorIteratorERKN3c106ScalarES8_ENKUlvE_clEvENKUlvE9_clEvEUlNS5_4HalfESB_SB_E_St5arrayIPcLm4EEEEviT0_T1_.num_agpr, 0
	.set _ZN2at6native29vectorized_elementwise_kernelILi2EZZZNS0_12_GLOBAL__N_116addr_kernel_cudaERNS_14TensorIteratorERKN3c106ScalarES8_ENKUlvE_clEvENKUlvE9_clEvEUlNS5_4HalfESB_SB_E_St5arrayIPcLm4EEEEviT0_T1_.numbered_sgpr, 18
	.set _ZN2at6native29vectorized_elementwise_kernelILi2EZZZNS0_12_GLOBAL__N_116addr_kernel_cudaERNS_14TensorIteratorERKN3c106ScalarES8_ENKUlvE_clEvENKUlvE9_clEvEUlNS5_4HalfESB_SB_E_St5arrayIPcLm4EEEEviT0_T1_.num_named_barrier, 0
	.set _ZN2at6native29vectorized_elementwise_kernelILi2EZZZNS0_12_GLOBAL__N_116addr_kernel_cudaERNS_14TensorIteratorERKN3c106ScalarES8_ENKUlvE_clEvENKUlvE9_clEvEUlNS5_4HalfESB_SB_E_St5arrayIPcLm4EEEEviT0_T1_.private_seg_size, 0
	.set _ZN2at6native29vectorized_elementwise_kernelILi2EZZZNS0_12_GLOBAL__N_116addr_kernel_cudaERNS_14TensorIteratorERKN3c106ScalarES8_ENKUlvE_clEvENKUlvE9_clEvEUlNS5_4HalfESB_SB_E_St5arrayIPcLm4EEEEviT0_T1_.uses_vcc, 1
	.set _ZN2at6native29vectorized_elementwise_kernelILi2EZZZNS0_12_GLOBAL__N_116addr_kernel_cudaERNS_14TensorIteratorERKN3c106ScalarES8_ENKUlvE_clEvENKUlvE9_clEvEUlNS5_4HalfESB_SB_E_St5arrayIPcLm4EEEEviT0_T1_.uses_flat_scratch, 0
	.set _ZN2at6native29vectorized_elementwise_kernelILi2EZZZNS0_12_GLOBAL__N_116addr_kernel_cudaERNS_14TensorIteratorERKN3c106ScalarES8_ENKUlvE_clEvENKUlvE9_clEvEUlNS5_4HalfESB_SB_E_St5arrayIPcLm4EEEEviT0_T1_.has_dyn_sized_stack, 0
	.set _ZN2at6native29vectorized_elementwise_kernelILi2EZZZNS0_12_GLOBAL__N_116addr_kernel_cudaERNS_14TensorIteratorERKN3c106ScalarES8_ENKUlvE_clEvENKUlvE9_clEvEUlNS5_4HalfESB_SB_E_St5arrayIPcLm4EEEEviT0_T1_.has_recursion, 0
	.set _ZN2at6native29vectorized_elementwise_kernelILi2EZZZNS0_12_GLOBAL__N_116addr_kernel_cudaERNS_14TensorIteratorERKN3c106ScalarES8_ENKUlvE_clEvENKUlvE9_clEvEUlNS5_4HalfESB_SB_E_St5arrayIPcLm4EEEEviT0_T1_.has_indirect_call, 0
	.section	.AMDGPU.csdata,"",@progbits
; Kernel info:
; codeLenInByte = 1680
; TotalNumSgprs: 20
; NumVgprs: 20
; ScratchSize: 0
; MemoryBound: 0
; FloatMode: 240
; IeeeMode: 1
; LDSByteSize: 0 bytes/workgroup (compile time only)
; SGPRBlocks: 0
; VGPRBlocks: 1
; NumSGPRsForWavesPerEU: 20
; NumVGPRsForWavesPerEU: 20
; NamedBarCnt: 0
; Occupancy: 16
; WaveLimiterHint : 1
; COMPUTE_PGM_RSRC2:SCRATCH_EN: 0
; COMPUTE_PGM_RSRC2:USER_SGPR: 2
; COMPUTE_PGM_RSRC2:TRAP_HANDLER: 0
; COMPUTE_PGM_RSRC2:TGID_X_EN: 1
; COMPUTE_PGM_RSRC2:TGID_Y_EN: 0
; COMPUTE_PGM_RSRC2:TGID_Z_EN: 0
; COMPUTE_PGM_RSRC2:TIDIG_COMP_CNT: 0
	.section	.text._ZN2at6native27unrolled_elementwise_kernelIZZZNS0_12_GLOBAL__N_116addr_kernel_cudaERNS_14TensorIteratorERKN3c106ScalarES8_ENKUlvE_clEvENKUlvE9_clEvEUlNS5_4HalfESB_SB_E_St5arrayIPcLm4EELi4E23TrivialOffsetCalculatorILi3EjESG_ILi1EjENS0_6memory15LoadWithoutCastENSJ_16StoreWithoutCastEEEviT_T0_T2_T3_T4_T5_,"axG",@progbits,_ZN2at6native27unrolled_elementwise_kernelIZZZNS0_12_GLOBAL__N_116addr_kernel_cudaERNS_14TensorIteratorERKN3c106ScalarES8_ENKUlvE_clEvENKUlvE9_clEvEUlNS5_4HalfESB_SB_E_St5arrayIPcLm4EELi4E23TrivialOffsetCalculatorILi3EjESG_ILi1EjENS0_6memory15LoadWithoutCastENSJ_16StoreWithoutCastEEEviT_T0_T2_T3_T4_T5_,comdat
	.globl	_ZN2at6native27unrolled_elementwise_kernelIZZZNS0_12_GLOBAL__N_116addr_kernel_cudaERNS_14TensorIteratorERKN3c106ScalarES8_ENKUlvE_clEvENKUlvE9_clEvEUlNS5_4HalfESB_SB_E_St5arrayIPcLm4EELi4E23TrivialOffsetCalculatorILi3EjESG_ILi1EjENS0_6memory15LoadWithoutCastENSJ_16StoreWithoutCastEEEviT_T0_T2_T3_T4_T5_ ; -- Begin function _ZN2at6native27unrolled_elementwise_kernelIZZZNS0_12_GLOBAL__N_116addr_kernel_cudaERNS_14TensorIteratorERKN3c106ScalarES8_ENKUlvE_clEvENKUlvE9_clEvEUlNS5_4HalfESB_SB_E_St5arrayIPcLm4EELi4E23TrivialOffsetCalculatorILi3EjESG_ILi1EjENS0_6memory15LoadWithoutCastENSJ_16StoreWithoutCastEEEviT_T0_T2_T3_T4_T5_
	.p2align	8
	.type	_ZN2at6native27unrolled_elementwise_kernelIZZZNS0_12_GLOBAL__N_116addr_kernel_cudaERNS_14TensorIteratorERKN3c106ScalarES8_ENKUlvE_clEvENKUlvE9_clEvEUlNS5_4HalfESB_SB_E_St5arrayIPcLm4EELi4E23TrivialOffsetCalculatorILi3EjESG_ILi1EjENS0_6memory15LoadWithoutCastENSJ_16StoreWithoutCastEEEviT_T0_T2_T3_T4_T5_,@function
_ZN2at6native27unrolled_elementwise_kernelIZZZNS0_12_GLOBAL__N_116addr_kernel_cudaERNS_14TensorIteratorERKN3c106ScalarES8_ENKUlvE_clEvENKUlvE9_clEvEUlNS5_4HalfESB_SB_E_St5arrayIPcLm4EELi4E23TrivialOffsetCalculatorILi3EjESG_ILi1EjENS0_6memory15LoadWithoutCastENSJ_16StoreWithoutCastEEEviT_T0_T2_T3_T4_T5_: ; @_ZN2at6native27unrolled_elementwise_kernelIZZZNS0_12_GLOBAL__N_116addr_kernel_cudaERNS_14TensorIteratorERKN3c106ScalarES8_ENKUlvE_clEvENKUlvE9_clEvEUlNS5_4HalfESB_SB_E_St5arrayIPcLm4EELi4E23TrivialOffsetCalculatorILi3EjESG_ILi1EjENS0_6memory15LoadWithoutCastENSJ_16StoreWithoutCastEEEviT_T0_T2_T3_T4_T5_
; %bb.0:
	s_clause 0x1
	s_load_b64 s[2:3], s[0:1], 0x0
	s_load_b128 s[4:7], s[0:1], 0x18
	s_bfe_u32 s9, ttmp6, 0x4000c
	s_and_b32 s8, ttmp6, 15
	s_add_co_i32 s9, s9, 1
	s_getreg_b32 s10, hwreg(HW_REG_IB_STS2, 6, 4)
	s_mul_i32 s9, ttmp9, s9
	v_dual_mov_b32 v1, 0 :: v_dual_mov_b32 v5, 0
	s_add_co_i32 s8, s8, s9
	s_cmp_eq_u32 s10, 0
	v_or_b32_e32 v2, 0x100, v0
	s_cselect_b32 s8, ttmp9, s8
	v_mov_b32_e32 v11, v0
	s_lshl_b32 s10, s8, 10
	s_delay_alu instid0(SALU_CYCLE_1) | instskip(SKIP_2) | instid1(SALU_CYCLE_1)
	v_dual_mov_b32 v6, 0 :: v_dual_bitop2_b32 v4, s10, v0 bitop3:0x54
	s_wait_kmcnt 0x0
	s_sub_co_i32 s11, s2, s10
	v_cmp_gt_i32_e32 vcc_lo, s11, v0
	s_and_saveexec_b32 s2, vcc_lo
	s_cbranch_execz .LBB180_2
; %bb.1:
	s_clause 0x1
	global_load_u16 v5, v4, s[4:5] scale_offset
	global_load_u16 v6, v4, s[6:7] scale_offset
	v_or_b32_e32 v11, 0x100, v0
.LBB180_2:
	s_wait_xcnt 0x0
	s_or_b32 exec_lo, exec_lo, s2
	v_mov_b32_e32 v7, 0
	s_mov_b32 s8, exec_lo
	v_cmpx_gt_i32_e64 s11, v11
	s_cbranch_execz .LBB180_4
; %bb.3:
	v_add_nc_u32_e32 v3, s10, v11
	v_add_nc_u32_e32 v11, 0x100, v11
	s_clause 0x1
	global_load_u16 v1, v3, s[4:5] scale_offset
	global_load_u16 v7, v3, s[6:7] scale_offset
.LBB180_4:
	s_wait_xcnt 0x0
	s_or_b32 exec_lo, exec_lo, s8
	v_dual_mov_b32 v3, 0 :: v_dual_mov_b32 v9, 0
	v_mov_b32_e32 v8, 0
	s_mov_b32 s8, exec_lo
	v_cmpx_gt_i32_e64 s11, v11
	s_cbranch_execz .LBB180_6
; %bb.5:
	v_add_nc_u32_e32 v10, s10, v11
	v_add_nc_u32_e32 v11, 0x100, v11
	s_clause 0x1
	global_load_u16 v9, v10, s[4:5] scale_offset
	global_load_u16 v8, v10, s[6:7] scale_offset
.LBB180_6:
	s_wait_xcnt 0x0
	s_or_b32 exec_lo, exec_lo, s8
	s_load_b64 s[8:9], s[0:1], 0x8
	v_mov_b32_e32 v10, 0
	s_wait_xcnt 0x0
	s_mov_b32 s1, exec_lo
	v_cmpx_gt_i32_e64 s11, v11
	s_cbranch_execnz .LBB180_12
; %bb.7:
	s_or_b32 exec_lo, exec_lo, s1
	s_and_saveexec_b32 s0, vcc_lo
	s_cbranch_execnz .LBB180_13
.LBB180_8:
	s_or_b32 exec_lo, exec_lo, s0
	s_delay_alu instid0(SALU_CYCLE_1)
	s_mov_b32 s0, exec_lo
	v_cmpx_gt_i32_e64 s11, v0
	s_cbranch_execnz .LBB180_14
.LBB180_9:
	s_or_b32 exec_lo, exec_lo, s0
	s_delay_alu instid0(SALU_CYCLE_1)
	s_mov_b32 s0, exec_lo
	v_cmpx_gt_i32_e64 s11, v0
	s_cbranch_execnz .LBB180_15
.LBB180_10:
	s_or_b32 exec_lo, exec_lo, s0
	s_delay_alu instid0(SALU_CYCLE_1)
	s_mov_b32 s0, exec_lo
	v_cmpx_gt_i32_e64 s11, v0
	s_cbranch_execnz .LBB180_16
.LBB180_11:
	s_endpgm
.LBB180_12:
	v_add_nc_u32_e32 v11, s10, v11
	s_clause 0x1
	global_load_u16 v3, v11, s[4:5] scale_offset
	global_load_u16 v10, v11, s[6:7] scale_offset
	s_wait_xcnt 0x0
	s_or_b32 exec_lo, exec_lo, s1
	s_and_saveexec_b32 s0, vcc_lo
	s_cbranch_execz .LBB180_8
.LBB180_13:
	s_wait_loadcnt 0x1
	v_mul_f16_e32 v0, s3, v5
	s_wait_loadcnt 0x0
	s_delay_alu instid0(VALU_DEP_1)
	v_mul_f16_e32 v5, v6, v0
	v_mov_b32_e32 v0, v2
	s_wait_kmcnt 0x0
	global_store_b16 v4, v5, s[8:9] scale_offset
	s_wait_xcnt 0x0
	s_or_b32 exec_lo, exec_lo, s0
	s_delay_alu instid0(SALU_CYCLE_1)
	s_mov_b32 s0, exec_lo
	v_cmpx_gt_i32_e64 s11, v0
	s_cbranch_execz .LBB180_9
.LBB180_14:
	s_wait_loadcnt 0x1
	v_mul_f16_e32 v1, s3, v1
	v_add_nc_u32_e32 v2, 0x100, v0
	v_add_nc_u32_e32 v4, s10, v0
	s_wait_loadcnt 0x0
	s_delay_alu instid0(VALU_DEP_3) | instskip(NEXT) | instid1(VALU_DEP_3)
	v_mul_f16_e32 v1, v7, v1
	v_mov_b32_e32 v0, v2
	s_wait_kmcnt 0x0
	global_store_b16 v4, v1, s[8:9] scale_offset
	s_wait_xcnt 0x0
	s_or_b32 exec_lo, exec_lo, s0
	s_delay_alu instid0(SALU_CYCLE_1)
	s_mov_b32 s0, exec_lo
	v_cmpx_gt_i32_e64 s11, v0
	s_cbranch_execz .LBB180_10
.LBB180_15:
	s_wait_loadcnt 0x1
	v_mul_f16_e32 v1, s3, v9
	v_add_nc_u32_e32 v2, 0x100, v0
	v_add_nc_u32_e32 v4, s10, v0
	s_wait_loadcnt 0x0
	s_delay_alu instid0(VALU_DEP_3) | instskip(NEXT) | instid1(VALU_DEP_3)
	v_mul_f16_e32 v1, v8, v1
	v_mov_b32_e32 v0, v2
	s_wait_kmcnt 0x0
	global_store_b16 v4, v1, s[8:9] scale_offset
	s_wait_xcnt 0x0
	s_or_b32 exec_lo, exec_lo, s0
	s_delay_alu instid0(SALU_CYCLE_1)
	s_mov_b32 s0, exec_lo
	v_cmpx_gt_i32_e64 s11, v0
	s_cbranch_execz .LBB180_11
.LBB180_16:
	s_wait_loadcnt 0x1
	v_mul_f16_e32 v1, s3, v3
	v_add_nc_u32_e32 v0, s10, v0
	s_wait_loadcnt 0x0
	s_delay_alu instid0(VALU_DEP_2)
	v_mul_f16_e32 v1, v10, v1
	s_wait_kmcnt 0x0
	global_store_b16 v0, v1, s[8:9] scale_offset
	s_endpgm
	.section	.rodata,"a",@progbits
	.p2align	6, 0x0
	.amdhsa_kernel _ZN2at6native27unrolled_elementwise_kernelIZZZNS0_12_GLOBAL__N_116addr_kernel_cudaERNS_14TensorIteratorERKN3c106ScalarES8_ENKUlvE_clEvENKUlvE9_clEvEUlNS5_4HalfESB_SB_E_St5arrayIPcLm4EELi4E23TrivialOffsetCalculatorILi3EjESG_ILi1EjENS0_6memory15LoadWithoutCastENSJ_16StoreWithoutCastEEEviT_T0_T2_T3_T4_T5_
		.amdhsa_group_segment_fixed_size 0
		.amdhsa_private_segment_fixed_size 0
		.amdhsa_kernarg_size 44
		.amdhsa_user_sgpr_count 2
		.amdhsa_user_sgpr_dispatch_ptr 0
		.amdhsa_user_sgpr_queue_ptr 0
		.amdhsa_user_sgpr_kernarg_segment_ptr 1
		.amdhsa_user_sgpr_dispatch_id 0
		.amdhsa_user_sgpr_kernarg_preload_length 0
		.amdhsa_user_sgpr_kernarg_preload_offset 0
		.amdhsa_user_sgpr_private_segment_size 0
		.amdhsa_wavefront_size32 1
		.amdhsa_uses_dynamic_stack 0
		.amdhsa_enable_private_segment 0
		.amdhsa_system_sgpr_workgroup_id_x 1
		.amdhsa_system_sgpr_workgroup_id_y 0
		.amdhsa_system_sgpr_workgroup_id_z 0
		.amdhsa_system_sgpr_workgroup_info 0
		.amdhsa_system_vgpr_workitem_id 0
		.amdhsa_next_free_vgpr 12
		.amdhsa_next_free_sgpr 12
		.amdhsa_named_barrier_count 0
		.amdhsa_reserve_vcc 1
		.amdhsa_float_round_mode_32 0
		.amdhsa_float_round_mode_16_64 0
		.amdhsa_float_denorm_mode_32 3
		.amdhsa_float_denorm_mode_16_64 3
		.amdhsa_fp16_overflow 0
		.amdhsa_memory_ordered 1
		.amdhsa_forward_progress 1
		.amdhsa_inst_pref_size 6
		.amdhsa_round_robin_scheduling 0
		.amdhsa_exception_fp_ieee_invalid_op 0
		.amdhsa_exception_fp_denorm_src 0
		.amdhsa_exception_fp_ieee_div_zero 0
		.amdhsa_exception_fp_ieee_overflow 0
		.amdhsa_exception_fp_ieee_underflow 0
		.amdhsa_exception_fp_ieee_inexact 0
		.amdhsa_exception_int_div_zero 0
	.end_amdhsa_kernel
	.section	.text._ZN2at6native27unrolled_elementwise_kernelIZZZNS0_12_GLOBAL__N_116addr_kernel_cudaERNS_14TensorIteratorERKN3c106ScalarES8_ENKUlvE_clEvENKUlvE9_clEvEUlNS5_4HalfESB_SB_E_St5arrayIPcLm4EELi4E23TrivialOffsetCalculatorILi3EjESG_ILi1EjENS0_6memory15LoadWithoutCastENSJ_16StoreWithoutCastEEEviT_T0_T2_T3_T4_T5_,"axG",@progbits,_ZN2at6native27unrolled_elementwise_kernelIZZZNS0_12_GLOBAL__N_116addr_kernel_cudaERNS_14TensorIteratorERKN3c106ScalarES8_ENKUlvE_clEvENKUlvE9_clEvEUlNS5_4HalfESB_SB_E_St5arrayIPcLm4EELi4E23TrivialOffsetCalculatorILi3EjESG_ILi1EjENS0_6memory15LoadWithoutCastENSJ_16StoreWithoutCastEEEviT_T0_T2_T3_T4_T5_,comdat
.Lfunc_end180:
	.size	_ZN2at6native27unrolled_elementwise_kernelIZZZNS0_12_GLOBAL__N_116addr_kernel_cudaERNS_14TensorIteratorERKN3c106ScalarES8_ENKUlvE_clEvENKUlvE9_clEvEUlNS5_4HalfESB_SB_E_St5arrayIPcLm4EELi4E23TrivialOffsetCalculatorILi3EjESG_ILi1EjENS0_6memory15LoadWithoutCastENSJ_16StoreWithoutCastEEEviT_T0_T2_T3_T4_T5_, .Lfunc_end180-_ZN2at6native27unrolled_elementwise_kernelIZZZNS0_12_GLOBAL__N_116addr_kernel_cudaERNS_14TensorIteratorERKN3c106ScalarES8_ENKUlvE_clEvENKUlvE9_clEvEUlNS5_4HalfESB_SB_E_St5arrayIPcLm4EELi4E23TrivialOffsetCalculatorILi3EjESG_ILi1EjENS0_6memory15LoadWithoutCastENSJ_16StoreWithoutCastEEEviT_T0_T2_T3_T4_T5_
                                        ; -- End function
	.set _ZN2at6native27unrolled_elementwise_kernelIZZZNS0_12_GLOBAL__N_116addr_kernel_cudaERNS_14TensorIteratorERKN3c106ScalarES8_ENKUlvE_clEvENKUlvE9_clEvEUlNS5_4HalfESB_SB_E_St5arrayIPcLm4EELi4E23TrivialOffsetCalculatorILi3EjESG_ILi1EjENS0_6memory15LoadWithoutCastENSJ_16StoreWithoutCastEEEviT_T0_T2_T3_T4_T5_.num_vgpr, 12
	.set _ZN2at6native27unrolled_elementwise_kernelIZZZNS0_12_GLOBAL__N_116addr_kernel_cudaERNS_14TensorIteratorERKN3c106ScalarES8_ENKUlvE_clEvENKUlvE9_clEvEUlNS5_4HalfESB_SB_E_St5arrayIPcLm4EELi4E23TrivialOffsetCalculatorILi3EjESG_ILi1EjENS0_6memory15LoadWithoutCastENSJ_16StoreWithoutCastEEEviT_T0_T2_T3_T4_T5_.num_agpr, 0
	.set _ZN2at6native27unrolled_elementwise_kernelIZZZNS0_12_GLOBAL__N_116addr_kernel_cudaERNS_14TensorIteratorERKN3c106ScalarES8_ENKUlvE_clEvENKUlvE9_clEvEUlNS5_4HalfESB_SB_E_St5arrayIPcLm4EELi4E23TrivialOffsetCalculatorILi3EjESG_ILi1EjENS0_6memory15LoadWithoutCastENSJ_16StoreWithoutCastEEEviT_T0_T2_T3_T4_T5_.numbered_sgpr, 12
	.set _ZN2at6native27unrolled_elementwise_kernelIZZZNS0_12_GLOBAL__N_116addr_kernel_cudaERNS_14TensorIteratorERKN3c106ScalarES8_ENKUlvE_clEvENKUlvE9_clEvEUlNS5_4HalfESB_SB_E_St5arrayIPcLm4EELi4E23TrivialOffsetCalculatorILi3EjESG_ILi1EjENS0_6memory15LoadWithoutCastENSJ_16StoreWithoutCastEEEviT_T0_T2_T3_T4_T5_.num_named_barrier, 0
	.set _ZN2at6native27unrolled_elementwise_kernelIZZZNS0_12_GLOBAL__N_116addr_kernel_cudaERNS_14TensorIteratorERKN3c106ScalarES8_ENKUlvE_clEvENKUlvE9_clEvEUlNS5_4HalfESB_SB_E_St5arrayIPcLm4EELi4E23TrivialOffsetCalculatorILi3EjESG_ILi1EjENS0_6memory15LoadWithoutCastENSJ_16StoreWithoutCastEEEviT_T0_T2_T3_T4_T5_.private_seg_size, 0
	.set _ZN2at6native27unrolled_elementwise_kernelIZZZNS0_12_GLOBAL__N_116addr_kernel_cudaERNS_14TensorIteratorERKN3c106ScalarES8_ENKUlvE_clEvENKUlvE9_clEvEUlNS5_4HalfESB_SB_E_St5arrayIPcLm4EELi4E23TrivialOffsetCalculatorILi3EjESG_ILi1EjENS0_6memory15LoadWithoutCastENSJ_16StoreWithoutCastEEEviT_T0_T2_T3_T4_T5_.uses_vcc, 1
	.set _ZN2at6native27unrolled_elementwise_kernelIZZZNS0_12_GLOBAL__N_116addr_kernel_cudaERNS_14TensorIteratorERKN3c106ScalarES8_ENKUlvE_clEvENKUlvE9_clEvEUlNS5_4HalfESB_SB_E_St5arrayIPcLm4EELi4E23TrivialOffsetCalculatorILi3EjESG_ILi1EjENS0_6memory15LoadWithoutCastENSJ_16StoreWithoutCastEEEviT_T0_T2_T3_T4_T5_.uses_flat_scratch, 0
	.set _ZN2at6native27unrolled_elementwise_kernelIZZZNS0_12_GLOBAL__N_116addr_kernel_cudaERNS_14TensorIteratorERKN3c106ScalarES8_ENKUlvE_clEvENKUlvE9_clEvEUlNS5_4HalfESB_SB_E_St5arrayIPcLm4EELi4E23TrivialOffsetCalculatorILi3EjESG_ILi1EjENS0_6memory15LoadWithoutCastENSJ_16StoreWithoutCastEEEviT_T0_T2_T3_T4_T5_.has_dyn_sized_stack, 0
	.set _ZN2at6native27unrolled_elementwise_kernelIZZZNS0_12_GLOBAL__N_116addr_kernel_cudaERNS_14TensorIteratorERKN3c106ScalarES8_ENKUlvE_clEvENKUlvE9_clEvEUlNS5_4HalfESB_SB_E_St5arrayIPcLm4EELi4E23TrivialOffsetCalculatorILi3EjESG_ILi1EjENS0_6memory15LoadWithoutCastENSJ_16StoreWithoutCastEEEviT_T0_T2_T3_T4_T5_.has_recursion, 0
	.set _ZN2at6native27unrolled_elementwise_kernelIZZZNS0_12_GLOBAL__N_116addr_kernel_cudaERNS_14TensorIteratorERKN3c106ScalarES8_ENKUlvE_clEvENKUlvE9_clEvEUlNS5_4HalfESB_SB_E_St5arrayIPcLm4EELi4E23TrivialOffsetCalculatorILi3EjESG_ILi1EjENS0_6memory15LoadWithoutCastENSJ_16StoreWithoutCastEEEviT_T0_T2_T3_T4_T5_.has_indirect_call, 0
	.section	.AMDGPU.csdata,"",@progbits
; Kernel info:
; codeLenInByte = 752
; TotalNumSgprs: 14
; NumVgprs: 12
; ScratchSize: 0
; MemoryBound: 0
; FloatMode: 240
; IeeeMode: 1
; LDSByteSize: 0 bytes/workgroup (compile time only)
; SGPRBlocks: 0
; VGPRBlocks: 0
; NumSGPRsForWavesPerEU: 14
; NumVGPRsForWavesPerEU: 12
; NamedBarCnt: 0
; Occupancy: 16
; WaveLimiterHint : 0
; COMPUTE_PGM_RSRC2:SCRATCH_EN: 0
; COMPUTE_PGM_RSRC2:USER_SGPR: 2
; COMPUTE_PGM_RSRC2:TRAP_HANDLER: 0
; COMPUTE_PGM_RSRC2:TGID_X_EN: 1
; COMPUTE_PGM_RSRC2:TGID_Y_EN: 0
; COMPUTE_PGM_RSRC2:TGID_Z_EN: 0
; COMPUTE_PGM_RSRC2:TIDIG_COMP_CNT: 0
	.section	.text._ZN2at6native32elementwise_kernel_manual_unrollILi128ELi8EZNS0_22gpu_kernel_impl_nocastIZZZNS0_12_GLOBAL__N_116addr_kernel_cudaERNS_14TensorIteratorERKN3c106ScalarES9_ENKUlvE_clEvENKUlvE9_clEvEUlNS6_4HalfESC_SC_E_EEvRNS_18TensorIteratorBaseERKT_EUlibE_EEviT1_,"axG",@progbits,_ZN2at6native32elementwise_kernel_manual_unrollILi128ELi8EZNS0_22gpu_kernel_impl_nocastIZZZNS0_12_GLOBAL__N_116addr_kernel_cudaERNS_14TensorIteratorERKN3c106ScalarES9_ENKUlvE_clEvENKUlvE9_clEvEUlNS6_4HalfESC_SC_E_EEvRNS_18TensorIteratorBaseERKT_EUlibE_EEviT1_,comdat
	.globl	_ZN2at6native32elementwise_kernel_manual_unrollILi128ELi8EZNS0_22gpu_kernel_impl_nocastIZZZNS0_12_GLOBAL__N_116addr_kernel_cudaERNS_14TensorIteratorERKN3c106ScalarES9_ENKUlvE_clEvENKUlvE9_clEvEUlNS6_4HalfESC_SC_E_EEvRNS_18TensorIteratorBaseERKT_EUlibE_EEviT1_ ; -- Begin function _ZN2at6native32elementwise_kernel_manual_unrollILi128ELi8EZNS0_22gpu_kernel_impl_nocastIZZZNS0_12_GLOBAL__N_116addr_kernel_cudaERNS_14TensorIteratorERKN3c106ScalarES9_ENKUlvE_clEvENKUlvE9_clEvEUlNS6_4HalfESC_SC_E_EEvRNS_18TensorIteratorBaseERKT_EUlibE_EEviT1_
	.p2align	8
	.type	_ZN2at6native32elementwise_kernel_manual_unrollILi128ELi8EZNS0_22gpu_kernel_impl_nocastIZZZNS0_12_GLOBAL__N_116addr_kernel_cudaERNS_14TensorIteratorERKN3c106ScalarES9_ENKUlvE_clEvENKUlvE9_clEvEUlNS6_4HalfESC_SC_E_EEvRNS_18TensorIteratorBaseERKT_EUlibE_EEviT1_,@function
_ZN2at6native32elementwise_kernel_manual_unrollILi128ELi8EZNS0_22gpu_kernel_impl_nocastIZZZNS0_12_GLOBAL__N_116addr_kernel_cudaERNS_14TensorIteratorERKN3c106ScalarES9_ENKUlvE_clEvENKUlvE9_clEvEUlNS6_4HalfESC_SC_E_EEvRNS_18TensorIteratorBaseERKT_EUlibE_EEviT1_: ; @_ZN2at6native32elementwise_kernel_manual_unrollILi128ELi8EZNS0_22gpu_kernel_impl_nocastIZZZNS0_12_GLOBAL__N_116addr_kernel_cudaERNS_14TensorIteratorERKN3c106ScalarES9_ENKUlvE_clEvENKUlvE9_clEvEUlNS6_4HalfESC_SC_E_EEvRNS_18TensorIteratorBaseERKT_EUlibE_EEviT1_
; %bb.0:
	s_clause 0x1
	s_load_b32 s11, s[0:1], 0x8
	s_load_b32 s36, s[0:1], 0x0
	s_bfe_u32 s2, ttmp6, 0x4000c
	s_and_b32 s3, ttmp6, 15
	s_add_co_i32 s2, s2, 1
	s_getreg_b32 s4, hwreg(HW_REG_IB_STS2, 6, 4)
	s_mul_i32 s2, ttmp9, s2
	s_add_nc_u64 s[12:13], s[0:1], 8
	s_add_co_i32 s3, s3, s2
	s_cmp_eq_u32 s4, 0
	s_mov_b32 s21, 0
	s_cselect_b32 s2, ttmp9, s3
	s_wait_xcnt 0x0
	s_mov_b32 s0, exec_lo
	v_lshl_or_b32 v0, s2, 10, v0
	s_delay_alu instid0(VALU_DEP_1) | instskip(SKIP_2) | instid1(SALU_CYCLE_1)
	v_or_b32_e32 v4, 0x380, v0
	s_wait_kmcnt 0x0
	s_add_co_i32 s28, s11, -1
	s_cmp_gt_u32 s28, 1
	s_cselect_b32 s29, -1, 0
	v_cmpx_le_i32_e64 s36, v4
	s_xor_b32 s30, exec_lo, s0
	s_cbranch_execz .LBB181_106
; %bb.1:
	s_clause 0x7
	s_load_b128 s[4:7], s[12:13], 0x4
	s_load_b64 s[16:17], s[12:13], 0x14
	s_load_b32 s33, s[12:13], 0xc4
	s_load_b96 s[8:10], s[12:13], 0xcc
	s_load_b64 s[18:19], s[12:13], 0xdc
	s_load_b64 s[14:15], s[12:13], 0x1c8
	s_load_b32 s31, s[12:13], 0x1e8
	s_load_b128 s[0:3], s[12:13], 0x1d8
	s_cmp_lg_u32 s11, 0
	s_mov_b32 s23, s21
	s_cselect_b32 s37, -1, 0
	s_min_u32 s35, s28, 15
	s_cmp_gt_u32 s11, 1
	s_cselect_b32 s34, -1, 0
	s_wait_kmcnt 0x0
	s_mov_b32 s20, s5
	s_mov_b32 s22, s16
	s_mov_b32 s5, exec_lo
	v_cmpx_gt_i32_e64 s36, v0
	s_cbranch_execnz .LBB181_9
; %bb.2:
	s_or_b32 exec_lo, exec_lo, s5
	s_delay_alu instid0(SALU_CYCLE_1)
	s_mov_b32 s5, exec_lo
	v_cmpx_gt_i32_e64 s36, v0
	s_cbranch_execnz .LBB181_21
.LBB181_3:
	s_or_b32 exec_lo, exec_lo, s5
	s_delay_alu instid0(SALU_CYCLE_1)
	s_mov_b32 s5, exec_lo
	v_cmpx_gt_i32_e64 s36, v0
	s_cbranch_execnz .LBB181_33
.LBB181_4:
	s_or_b32 exec_lo, exec_lo, s5
	s_delay_alu instid0(SALU_CYCLE_1)
	s_mov_b32 s5, exec_lo
	v_cmpx_gt_i32_e64 s36, v0
	s_cbranch_execnz .LBB181_45
.LBB181_5:
	s_or_b32 exec_lo, exec_lo, s5
	s_delay_alu instid0(SALU_CYCLE_1)
	s_mov_b32 s5, exec_lo
	v_cmpx_gt_i32_e64 s36, v0
	s_cbranch_execnz .LBB181_57
.LBB181_6:
	s_or_b32 exec_lo, exec_lo, s5
	s_delay_alu instid0(SALU_CYCLE_1)
	s_mov_b32 s5, exec_lo
	v_cmpx_gt_i32_e64 s36, v0
	s_cbranch_execnz .LBB181_69
.LBB181_7:
	s_or_b32 exec_lo, exec_lo, s5
	s_delay_alu instid0(SALU_CYCLE_1)
	s_mov_b32 s5, exec_lo
	v_cmpx_gt_i32_e64 s36, v0
	s_cbranch_execnz .LBB181_81
.LBB181_8:
	s_or_b32 exec_lo, exec_lo, s5
	s_delay_alu instid0(SALU_CYCLE_1)
	s_mov_b32 s5, exec_lo
	v_cmpx_gt_i32_e64 s36, v0
	s_cbranch_execnz .LBB181_93
	s_branch .LBB181_105
.LBB181_9:
	s_and_not1_b32 vcc_lo, exec_lo, s29
	s_cbranch_vccnz .LBB181_15
; %bb.10:
	s_and_not1_b32 vcc_lo, exec_lo, s37
	s_cbranch_vccnz .LBB181_16
; %bb.11:
	v_dual_mov_b32 v4, 0 :: v_dual_mov_b32 v1, v0
	v_dual_mov_b32 v6, 0 :: v_dual_mov_b32 v5, 0
	s_add_co_i32 s16, s35, 1
	s_mov_b64 s[24:25], 0xffffffffffffffe0
	s_and_b32 s16, s16, 30
	s_add_nc_u64 s[24:25], s[12:13], s[24:25]
	s_mov_b64 s[26:27], s[12:13]
.LBB181_12:                             ; =>This Inner Loop Header: Depth=1
	s_clause 0x1
	s_load_b128 s[40:43], s[26:27], 0x4
	s_load_b64 s[38:39], s[26:27], 0x14
	s_load_b32 s44, s[24:25], 0xe4
	s_add_co_i32 s16, s16, -2
	s_wait_xcnt 0x0
	s_add_nc_u64 s[26:27], s[26:27], 24
	s_cmp_lg_u32 s16, 0
	s_wait_kmcnt 0x0
	v_mul_hi_u32 v2, s41, v1
	s_delay_alu instid0(VALU_DEP_1) | instskip(NEXT) | instid1(VALU_DEP_1)
	v_add_nc_u32_e32 v2, v1, v2
	v_lshrrev_b32_e32 v2, s42, v2
	s_delay_alu instid0(VALU_DEP_1) | instskip(SKIP_2) | instid1(VALU_DEP_2)
	v_mul_hi_u32 v3, s38, v2
	v_mul_lo_u32 v7, v2, s40
	s_load_b96 s[40:42], s[24:25], 0xec
	v_add_nc_u32_e32 v3, v2, v3
	s_delay_alu instid0(VALU_DEP_2) | instskip(NEXT) | instid1(VALU_DEP_2)
	v_sub_nc_u32_e32 v7, v1, v7
	v_lshrrev_b32_e32 v1, s39, v3
	s_load_b64 s[38:39], s[24:25], 0xfc
	s_delay_alu instid0(VALU_DEP_2)
	v_mad_u32 v4, v7, s44, v4
	s_wait_xcnt 0x0
	s_add_nc_u64 s[24:25], s[24:25], 32
	v_mul_lo_u32 v3, v1, s43
	s_wait_kmcnt 0x0
	v_mad_u32 v5, v7, s41, v5
	v_mad_u32 v6, v7, s40, v6
	s_delay_alu instid0(VALU_DEP_3) | instskip(NEXT) | instid1(VALU_DEP_1)
	v_sub_nc_u32_e32 v2, v2, v3
	v_mad_u32 v4, v2, s42, v4
	s_delay_alu instid0(VALU_DEP_4) | instskip(NEXT) | instid1(VALU_DEP_4)
	v_mad_u32 v5, v2, s39, v5
	v_mad_u32 v6, v2, s38, v6
	s_cbranch_scc1 .LBB181_12
; %bb.13:
	s_bitcmp1_b32 s35, 0
	s_cselect_b32 s16, -1, 0
	s_delay_alu instid0(SALU_CYCLE_1)
	s_and_b32 vcc_lo, exec_lo, s16
	s_cbranch_vccnz .LBB181_17
; %bb.14:
	s_load_b96 s[40:42], s[26:27], 0x4
	s_load_b32 s16, s[24:25], 0xe4
	s_wait_xcnt 0x0
	s_load_b64 s[26:27], s[24:25], 0xec
	s_wait_kmcnt 0x0
	v_mul_hi_u32 v2, s41, v1
	s_delay_alu instid0(VALU_DEP_1) | instskip(NEXT) | instid1(VALU_DEP_1)
	v_add_nc_u32_e32 v2, v1, v2
	v_lshrrev_b32_e32 v2, s42, v2
	s_delay_alu instid0(VALU_DEP_1) | instskip(NEXT) | instid1(VALU_DEP_1)
	v_mul_lo_u32 v2, v2, s40
	v_sub_nc_u32_e32 v1, v1, v2
	s_delay_alu instid0(VALU_DEP_1)
	v_mad_u32 v4, v1, s16, v4
	v_mad_u32 v6, v1, s26, v6
	;; [unrolled: 1-line block ×3, first 2 shown]
	s_cbranch_execz .LBB181_18
	s_branch .LBB181_20
.LBB181_15:
                                        ; implicit-def: $vgpr5
                                        ; implicit-def: $vgpr6
                                        ; implicit-def: $vgpr4
	s_branch .LBB181_18
.LBB181_16:
	v_dual_mov_b32 v5, 0 :: v_dual_mov_b32 v6, 0
	v_mov_b32_e32 v4, 0
.LBB181_17:
	s_cbranch_execnz .LBB181_20
.LBB181_18:
	v_mov_b32_e32 v1, 0
	s_and_not1_b32 vcc_lo, exec_lo, s34
	s_delay_alu instid0(VALU_DEP_1) | instskip(NEXT) | instid1(VALU_DEP_1)
	v_mul_u64_e32 v[2:3], s[20:21], v[0:1]
	v_add_nc_u32_e32 v2, v0, v3
	s_delay_alu instid0(VALU_DEP_1) | instskip(NEXT) | instid1(VALU_DEP_1)
	v_lshrrev_b32_e32 v2, s6, v2
	v_mul_lo_u32 v3, v2, s4
	s_delay_alu instid0(VALU_DEP_1) | instskip(NEXT) | instid1(VALU_DEP_1)
	v_sub_nc_u32_e32 v3, v0, v3
	v_mul_lo_u32 v4, v3, s33
	v_mul_lo_u32 v5, v3, s9
	;; [unrolled: 1-line block ×3, first 2 shown]
	s_cbranch_vccnz .LBB181_20
; %bb.19:
	v_mov_b32_e32 v3, v1
	s_delay_alu instid0(VALU_DEP_1) | instskip(NEXT) | instid1(VALU_DEP_1)
	v_mul_u64_e32 v[8:9], s[22:23], v[2:3]
	v_add_nc_u32_e32 v1, v2, v9
	s_delay_alu instid0(VALU_DEP_1) | instskip(NEXT) | instid1(VALU_DEP_1)
	v_lshrrev_b32_e32 v1, s17, v1
	v_mul_lo_u32 v1, v1, s7
	s_delay_alu instid0(VALU_DEP_1) | instskip(NEXT) | instid1(VALU_DEP_1)
	v_sub_nc_u32_e32 v1, v2, v1
	v_mad_u32 v4, v1, s10, v4
	v_mad_u32 v6, v1, s18, v6
	;; [unrolled: 1-line block ×3, first 2 shown]
.LBB181_20:
	global_load_u16 v1, v6, s[0:1]
	global_load_u16 v2, v5, s[2:3]
	v_add_nc_u32_e32 v0, 0x80, v0
	s_wait_loadcnt 0x1
	v_mul_f16_e32 v1, s31, v1
	s_wait_loadcnt 0x0
	s_delay_alu instid0(VALU_DEP_1) | instskip(SKIP_3) | instid1(SALU_CYCLE_1)
	v_mul_f16_e32 v1, v1, v2
	global_store_b16 v4, v1, s[14:15]
	s_wait_xcnt 0x0
	s_or_b32 exec_lo, exec_lo, s5
	s_mov_b32 s5, exec_lo
	v_cmpx_gt_i32_e64 s36, v0
	s_cbranch_execz .LBB181_3
.LBB181_21:
	s_and_not1_b32 vcc_lo, exec_lo, s29
	s_cbranch_vccnz .LBB181_27
; %bb.22:
	s_and_not1_b32 vcc_lo, exec_lo, s37
	s_cbranch_vccnz .LBB181_28
; %bb.23:
	v_dual_mov_b32 v4, 0 :: v_dual_mov_b32 v1, v0
	v_dual_mov_b32 v6, 0 :: v_dual_mov_b32 v5, 0
	s_add_co_i32 s16, s35, 1
	s_mov_b64 s[24:25], 0xffffffffffffffe0
	s_and_b32 s16, s16, 30
	s_add_nc_u64 s[24:25], s[12:13], s[24:25]
	s_mov_b64 s[26:27], s[12:13]
.LBB181_24:                             ; =>This Inner Loop Header: Depth=1
	s_clause 0x1
	s_load_b128 s[40:43], s[26:27], 0x4
	s_load_b64 s[38:39], s[26:27], 0x14
	s_load_b32 s44, s[24:25], 0xe4
	s_add_co_i32 s16, s16, -2
	s_wait_xcnt 0x0
	s_add_nc_u64 s[26:27], s[26:27], 24
	s_cmp_eq_u32 s16, 0
	s_wait_kmcnt 0x0
	v_mul_hi_u32 v2, s41, v1
	s_delay_alu instid0(VALU_DEP_1) | instskip(NEXT) | instid1(VALU_DEP_1)
	v_add_nc_u32_e32 v2, v1, v2
	v_lshrrev_b32_e32 v2, s42, v2
	s_delay_alu instid0(VALU_DEP_1) | instskip(SKIP_2) | instid1(VALU_DEP_2)
	v_mul_hi_u32 v3, s38, v2
	v_mul_lo_u32 v7, v2, s40
	s_load_b96 s[40:42], s[24:25], 0xec
	v_add_nc_u32_e32 v3, v2, v3
	s_delay_alu instid0(VALU_DEP_2) | instskip(NEXT) | instid1(VALU_DEP_2)
	v_sub_nc_u32_e32 v7, v1, v7
	v_lshrrev_b32_e32 v1, s39, v3
	s_load_b64 s[38:39], s[24:25], 0xfc
	s_delay_alu instid0(VALU_DEP_2)
	v_mad_u32 v4, v7, s44, v4
	s_wait_xcnt 0x0
	s_add_nc_u64 s[24:25], s[24:25], 32
	v_mul_lo_u32 v3, v1, s43
	s_wait_kmcnt 0x0
	v_mad_u32 v5, v7, s41, v5
	v_mad_u32 v6, v7, s40, v6
	s_delay_alu instid0(VALU_DEP_3) | instskip(NEXT) | instid1(VALU_DEP_1)
	v_sub_nc_u32_e32 v2, v2, v3
	v_mad_u32 v4, v2, s42, v4
	s_delay_alu instid0(VALU_DEP_4) | instskip(NEXT) | instid1(VALU_DEP_4)
	v_mad_u32 v5, v2, s39, v5
	v_mad_u32 v6, v2, s38, v6
	s_cbranch_scc0 .LBB181_24
; %bb.25:
	s_bitcmp1_b32 s35, 0
	s_cselect_b32 s16, -1, 0
	s_delay_alu instid0(SALU_CYCLE_1)
	s_and_b32 vcc_lo, exec_lo, s16
	s_cbranch_vccnz .LBB181_29
; %bb.26:
	s_load_b96 s[40:42], s[26:27], 0x4
	s_load_b32 s16, s[24:25], 0xe4
	s_wait_xcnt 0x0
	s_load_b64 s[26:27], s[24:25], 0xec
	s_wait_kmcnt 0x0
	v_mul_hi_u32 v2, s41, v1
	s_delay_alu instid0(VALU_DEP_1) | instskip(NEXT) | instid1(VALU_DEP_1)
	v_add_nc_u32_e32 v2, v1, v2
	v_lshrrev_b32_e32 v2, s42, v2
	s_delay_alu instid0(VALU_DEP_1) | instskip(NEXT) | instid1(VALU_DEP_1)
	v_mul_lo_u32 v2, v2, s40
	v_sub_nc_u32_e32 v1, v1, v2
	s_delay_alu instid0(VALU_DEP_1)
	v_mad_u32 v4, v1, s16, v4
	v_mad_u32 v6, v1, s26, v6
	;; [unrolled: 1-line block ×3, first 2 shown]
	s_branch .LBB181_29
.LBB181_27:
                                        ; implicit-def: $vgpr5
                                        ; implicit-def: $vgpr6
                                        ; implicit-def: $vgpr4
	s_branch .LBB181_30
.LBB181_28:
	v_dual_mov_b32 v5, 0 :: v_dual_mov_b32 v6, 0
	v_mov_b32_e32 v4, 0
.LBB181_29:
	s_cbranch_execnz .LBB181_32
.LBB181_30:
	v_mov_b32_e32 v1, 0
	s_and_not1_b32 vcc_lo, exec_lo, s34
	s_delay_alu instid0(VALU_DEP_1) | instskip(NEXT) | instid1(VALU_DEP_1)
	v_mul_u64_e32 v[2:3], s[20:21], v[0:1]
	v_add_nc_u32_e32 v2, v0, v3
	s_delay_alu instid0(VALU_DEP_1) | instskip(NEXT) | instid1(VALU_DEP_1)
	v_lshrrev_b32_e32 v2, s6, v2
	v_mul_lo_u32 v3, v2, s4
	s_delay_alu instid0(VALU_DEP_1) | instskip(NEXT) | instid1(VALU_DEP_1)
	v_sub_nc_u32_e32 v3, v0, v3
	v_mul_lo_u32 v4, v3, s33
	v_mul_lo_u32 v5, v3, s9
	;; [unrolled: 1-line block ×3, first 2 shown]
	s_cbranch_vccnz .LBB181_32
; %bb.31:
	v_mov_b32_e32 v3, v1
	s_delay_alu instid0(VALU_DEP_1) | instskip(NEXT) | instid1(VALU_DEP_1)
	v_mul_u64_e32 v[8:9], s[22:23], v[2:3]
	v_add_nc_u32_e32 v1, v2, v9
	s_delay_alu instid0(VALU_DEP_1) | instskip(NEXT) | instid1(VALU_DEP_1)
	v_lshrrev_b32_e32 v1, s17, v1
	v_mul_lo_u32 v1, v1, s7
	s_delay_alu instid0(VALU_DEP_1) | instskip(NEXT) | instid1(VALU_DEP_1)
	v_sub_nc_u32_e32 v1, v2, v1
	v_mad_u32 v4, v1, s10, v4
	v_mad_u32 v6, v1, s18, v6
	;; [unrolled: 1-line block ×3, first 2 shown]
.LBB181_32:
	global_load_u16 v1, v6, s[0:1]
	global_load_u16 v2, v5, s[2:3]
	v_add_nc_u32_e32 v0, 0x80, v0
	s_wait_loadcnt 0x1
	v_mul_f16_e32 v1, s31, v1
	s_wait_loadcnt 0x0
	s_delay_alu instid0(VALU_DEP_1) | instskip(SKIP_3) | instid1(SALU_CYCLE_1)
	v_mul_f16_e32 v1, v1, v2
	global_store_b16 v4, v1, s[14:15]
	s_wait_xcnt 0x0
	s_or_b32 exec_lo, exec_lo, s5
	s_mov_b32 s5, exec_lo
	v_cmpx_gt_i32_e64 s36, v0
	s_cbranch_execz .LBB181_4
.LBB181_33:
	s_and_not1_b32 vcc_lo, exec_lo, s29
	s_cbranch_vccnz .LBB181_39
; %bb.34:
	s_and_not1_b32 vcc_lo, exec_lo, s37
	s_cbranch_vccnz .LBB181_40
; %bb.35:
	v_dual_mov_b32 v4, 0 :: v_dual_mov_b32 v1, v0
	v_dual_mov_b32 v6, 0 :: v_dual_mov_b32 v5, 0
	s_add_co_i32 s16, s35, 1
	s_mov_b64 s[24:25], 0xffffffffffffffe0
	s_and_b32 s16, s16, 30
	s_add_nc_u64 s[24:25], s[12:13], s[24:25]
	s_mov_b64 s[26:27], s[12:13]
.LBB181_36:                             ; =>This Inner Loop Header: Depth=1
	s_clause 0x1
	s_load_b128 s[40:43], s[26:27], 0x4
	s_load_b64 s[38:39], s[26:27], 0x14
	s_load_b32 s44, s[24:25], 0xe4
	s_add_co_i32 s16, s16, -2
	s_wait_xcnt 0x0
	s_add_nc_u64 s[26:27], s[26:27], 24
	s_cmp_eq_u32 s16, 0
	s_wait_kmcnt 0x0
	v_mul_hi_u32 v2, s41, v1
	s_delay_alu instid0(VALU_DEP_1) | instskip(NEXT) | instid1(VALU_DEP_1)
	v_add_nc_u32_e32 v2, v1, v2
	v_lshrrev_b32_e32 v2, s42, v2
	s_delay_alu instid0(VALU_DEP_1) | instskip(SKIP_2) | instid1(VALU_DEP_2)
	v_mul_hi_u32 v3, s38, v2
	v_mul_lo_u32 v7, v2, s40
	s_load_b96 s[40:42], s[24:25], 0xec
	v_add_nc_u32_e32 v3, v2, v3
	s_delay_alu instid0(VALU_DEP_2) | instskip(NEXT) | instid1(VALU_DEP_2)
	v_sub_nc_u32_e32 v7, v1, v7
	v_lshrrev_b32_e32 v1, s39, v3
	s_load_b64 s[38:39], s[24:25], 0xfc
	s_delay_alu instid0(VALU_DEP_2)
	v_mad_u32 v4, v7, s44, v4
	s_wait_xcnt 0x0
	s_add_nc_u64 s[24:25], s[24:25], 32
	v_mul_lo_u32 v3, v1, s43
	s_wait_kmcnt 0x0
	v_mad_u32 v5, v7, s41, v5
	v_mad_u32 v6, v7, s40, v6
	s_delay_alu instid0(VALU_DEP_3) | instskip(NEXT) | instid1(VALU_DEP_1)
	v_sub_nc_u32_e32 v2, v2, v3
	v_mad_u32 v4, v2, s42, v4
	s_delay_alu instid0(VALU_DEP_4) | instskip(NEXT) | instid1(VALU_DEP_4)
	v_mad_u32 v5, v2, s39, v5
	v_mad_u32 v6, v2, s38, v6
	s_cbranch_scc0 .LBB181_36
; %bb.37:
	s_bitcmp1_b32 s35, 0
	s_cselect_b32 s16, -1, 0
	s_delay_alu instid0(SALU_CYCLE_1)
	s_and_b32 vcc_lo, exec_lo, s16
	s_cbranch_vccnz .LBB181_41
; %bb.38:
	s_load_b96 s[40:42], s[26:27], 0x4
	s_load_b32 s16, s[24:25], 0xe4
	s_wait_xcnt 0x0
	s_load_b64 s[26:27], s[24:25], 0xec
	s_wait_kmcnt 0x0
	v_mul_hi_u32 v2, s41, v1
	s_delay_alu instid0(VALU_DEP_1) | instskip(NEXT) | instid1(VALU_DEP_1)
	v_add_nc_u32_e32 v2, v1, v2
	v_lshrrev_b32_e32 v2, s42, v2
	s_delay_alu instid0(VALU_DEP_1) | instskip(NEXT) | instid1(VALU_DEP_1)
	v_mul_lo_u32 v2, v2, s40
	v_sub_nc_u32_e32 v1, v1, v2
	s_delay_alu instid0(VALU_DEP_1)
	v_mad_u32 v4, v1, s16, v4
	v_mad_u32 v6, v1, s26, v6
	;; [unrolled: 1-line block ×3, first 2 shown]
	s_branch .LBB181_41
.LBB181_39:
                                        ; implicit-def: $vgpr5
                                        ; implicit-def: $vgpr6
                                        ; implicit-def: $vgpr4
	s_branch .LBB181_42
.LBB181_40:
	v_dual_mov_b32 v5, 0 :: v_dual_mov_b32 v6, 0
	v_mov_b32_e32 v4, 0
.LBB181_41:
	s_cbranch_execnz .LBB181_44
.LBB181_42:
	v_mov_b32_e32 v1, 0
	s_and_not1_b32 vcc_lo, exec_lo, s34
	s_delay_alu instid0(VALU_DEP_1) | instskip(NEXT) | instid1(VALU_DEP_1)
	v_mul_u64_e32 v[2:3], s[20:21], v[0:1]
	v_add_nc_u32_e32 v2, v0, v3
	s_delay_alu instid0(VALU_DEP_1) | instskip(NEXT) | instid1(VALU_DEP_1)
	v_lshrrev_b32_e32 v2, s6, v2
	v_mul_lo_u32 v3, v2, s4
	s_delay_alu instid0(VALU_DEP_1) | instskip(NEXT) | instid1(VALU_DEP_1)
	v_sub_nc_u32_e32 v3, v0, v3
	v_mul_lo_u32 v4, v3, s33
	v_mul_lo_u32 v5, v3, s9
	;; [unrolled: 1-line block ×3, first 2 shown]
	s_cbranch_vccnz .LBB181_44
; %bb.43:
	v_mov_b32_e32 v3, v1
	s_delay_alu instid0(VALU_DEP_1) | instskip(NEXT) | instid1(VALU_DEP_1)
	v_mul_u64_e32 v[8:9], s[22:23], v[2:3]
	v_add_nc_u32_e32 v1, v2, v9
	s_delay_alu instid0(VALU_DEP_1) | instskip(NEXT) | instid1(VALU_DEP_1)
	v_lshrrev_b32_e32 v1, s17, v1
	v_mul_lo_u32 v1, v1, s7
	s_delay_alu instid0(VALU_DEP_1) | instskip(NEXT) | instid1(VALU_DEP_1)
	v_sub_nc_u32_e32 v1, v2, v1
	v_mad_u32 v4, v1, s10, v4
	v_mad_u32 v6, v1, s18, v6
	;; [unrolled: 1-line block ×3, first 2 shown]
.LBB181_44:
	global_load_u16 v1, v6, s[0:1]
	global_load_u16 v2, v5, s[2:3]
	v_add_nc_u32_e32 v0, 0x80, v0
	s_wait_loadcnt 0x1
	v_mul_f16_e32 v1, s31, v1
	s_wait_loadcnt 0x0
	s_delay_alu instid0(VALU_DEP_1) | instskip(SKIP_3) | instid1(SALU_CYCLE_1)
	v_mul_f16_e32 v1, v1, v2
	global_store_b16 v4, v1, s[14:15]
	s_wait_xcnt 0x0
	s_or_b32 exec_lo, exec_lo, s5
	s_mov_b32 s5, exec_lo
	v_cmpx_gt_i32_e64 s36, v0
	s_cbranch_execz .LBB181_5
.LBB181_45:
	s_and_not1_b32 vcc_lo, exec_lo, s29
	s_cbranch_vccnz .LBB181_51
; %bb.46:
	s_and_not1_b32 vcc_lo, exec_lo, s37
	s_cbranch_vccnz .LBB181_52
; %bb.47:
	v_dual_mov_b32 v4, 0 :: v_dual_mov_b32 v1, v0
	v_dual_mov_b32 v6, 0 :: v_dual_mov_b32 v5, 0
	s_add_co_i32 s16, s35, 1
	s_mov_b64 s[24:25], 0xffffffffffffffe0
	s_and_b32 s16, s16, 30
	s_add_nc_u64 s[24:25], s[12:13], s[24:25]
	s_mov_b64 s[26:27], s[12:13]
.LBB181_48:                             ; =>This Inner Loop Header: Depth=1
	s_clause 0x1
	s_load_b128 s[40:43], s[26:27], 0x4
	s_load_b64 s[38:39], s[26:27], 0x14
	s_load_b32 s44, s[24:25], 0xe4
	s_add_co_i32 s16, s16, -2
	s_wait_xcnt 0x0
	s_add_nc_u64 s[26:27], s[26:27], 24
	s_cmp_eq_u32 s16, 0
	s_wait_kmcnt 0x0
	v_mul_hi_u32 v2, s41, v1
	s_delay_alu instid0(VALU_DEP_1) | instskip(NEXT) | instid1(VALU_DEP_1)
	v_add_nc_u32_e32 v2, v1, v2
	v_lshrrev_b32_e32 v2, s42, v2
	s_delay_alu instid0(VALU_DEP_1) | instskip(SKIP_2) | instid1(VALU_DEP_2)
	v_mul_hi_u32 v3, s38, v2
	v_mul_lo_u32 v7, v2, s40
	s_load_b96 s[40:42], s[24:25], 0xec
	v_add_nc_u32_e32 v3, v2, v3
	s_delay_alu instid0(VALU_DEP_2) | instskip(NEXT) | instid1(VALU_DEP_2)
	v_sub_nc_u32_e32 v7, v1, v7
	v_lshrrev_b32_e32 v1, s39, v3
	s_load_b64 s[38:39], s[24:25], 0xfc
	s_delay_alu instid0(VALU_DEP_2)
	v_mad_u32 v4, v7, s44, v4
	s_wait_xcnt 0x0
	s_add_nc_u64 s[24:25], s[24:25], 32
	v_mul_lo_u32 v3, v1, s43
	s_wait_kmcnt 0x0
	v_mad_u32 v5, v7, s41, v5
	v_mad_u32 v6, v7, s40, v6
	s_delay_alu instid0(VALU_DEP_3) | instskip(NEXT) | instid1(VALU_DEP_1)
	v_sub_nc_u32_e32 v2, v2, v3
	v_mad_u32 v4, v2, s42, v4
	s_delay_alu instid0(VALU_DEP_4) | instskip(NEXT) | instid1(VALU_DEP_4)
	v_mad_u32 v5, v2, s39, v5
	v_mad_u32 v6, v2, s38, v6
	s_cbranch_scc0 .LBB181_48
; %bb.49:
	s_bitcmp1_b32 s35, 0
	s_cselect_b32 s16, -1, 0
	s_delay_alu instid0(SALU_CYCLE_1)
	s_and_b32 vcc_lo, exec_lo, s16
	s_cbranch_vccnz .LBB181_53
; %bb.50:
	s_load_b96 s[40:42], s[26:27], 0x4
	s_load_b32 s16, s[24:25], 0xe4
	s_wait_xcnt 0x0
	s_load_b64 s[26:27], s[24:25], 0xec
	s_wait_kmcnt 0x0
	v_mul_hi_u32 v2, s41, v1
	s_delay_alu instid0(VALU_DEP_1) | instskip(NEXT) | instid1(VALU_DEP_1)
	v_add_nc_u32_e32 v2, v1, v2
	v_lshrrev_b32_e32 v2, s42, v2
	s_delay_alu instid0(VALU_DEP_1) | instskip(NEXT) | instid1(VALU_DEP_1)
	v_mul_lo_u32 v2, v2, s40
	v_sub_nc_u32_e32 v1, v1, v2
	s_delay_alu instid0(VALU_DEP_1)
	v_mad_u32 v4, v1, s16, v4
	v_mad_u32 v6, v1, s26, v6
	;; [unrolled: 1-line block ×3, first 2 shown]
	s_branch .LBB181_53
.LBB181_51:
                                        ; implicit-def: $vgpr5
                                        ; implicit-def: $vgpr6
                                        ; implicit-def: $vgpr4
	s_branch .LBB181_54
.LBB181_52:
	v_dual_mov_b32 v5, 0 :: v_dual_mov_b32 v6, 0
	v_mov_b32_e32 v4, 0
.LBB181_53:
	s_cbranch_execnz .LBB181_56
.LBB181_54:
	v_mov_b32_e32 v1, 0
	s_and_not1_b32 vcc_lo, exec_lo, s34
	s_delay_alu instid0(VALU_DEP_1) | instskip(NEXT) | instid1(VALU_DEP_1)
	v_mul_u64_e32 v[2:3], s[20:21], v[0:1]
	v_add_nc_u32_e32 v2, v0, v3
	s_delay_alu instid0(VALU_DEP_1) | instskip(NEXT) | instid1(VALU_DEP_1)
	v_lshrrev_b32_e32 v2, s6, v2
	v_mul_lo_u32 v3, v2, s4
	s_delay_alu instid0(VALU_DEP_1) | instskip(NEXT) | instid1(VALU_DEP_1)
	v_sub_nc_u32_e32 v3, v0, v3
	v_mul_lo_u32 v4, v3, s33
	v_mul_lo_u32 v5, v3, s9
	;; [unrolled: 1-line block ×3, first 2 shown]
	s_cbranch_vccnz .LBB181_56
; %bb.55:
	v_mov_b32_e32 v3, v1
	s_delay_alu instid0(VALU_DEP_1) | instskip(NEXT) | instid1(VALU_DEP_1)
	v_mul_u64_e32 v[8:9], s[22:23], v[2:3]
	v_add_nc_u32_e32 v1, v2, v9
	s_delay_alu instid0(VALU_DEP_1) | instskip(NEXT) | instid1(VALU_DEP_1)
	v_lshrrev_b32_e32 v1, s17, v1
	v_mul_lo_u32 v1, v1, s7
	s_delay_alu instid0(VALU_DEP_1) | instskip(NEXT) | instid1(VALU_DEP_1)
	v_sub_nc_u32_e32 v1, v2, v1
	v_mad_u32 v4, v1, s10, v4
	v_mad_u32 v6, v1, s18, v6
	v_mad_u32 v5, v1, s19, v5
.LBB181_56:
	global_load_u16 v1, v6, s[0:1]
	global_load_u16 v2, v5, s[2:3]
	v_add_nc_u32_e32 v0, 0x80, v0
	s_wait_loadcnt 0x1
	v_mul_f16_e32 v1, s31, v1
	s_wait_loadcnt 0x0
	s_delay_alu instid0(VALU_DEP_1) | instskip(SKIP_3) | instid1(SALU_CYCLE_1)
	v_mul_f16_e32 v1, v1, v2
	global_store_b16 v4, v1, s[14:15]
	s_wait_xcnt 0x0
	s_or_b32 exec_lo, exec_lo, s5
	s_mov_b32 s5, exec_lo
	v_cmpx_gt_i32_e64 s36, v0
	s_cbranch_execz .LBB181_6
.LBB181_57:
	s_and_not1_b32 vcc_lo, exec_lo, s29
	s_cbranch_vccnz .LBB181_63
; %bb.58:
	s_and_not1_b32 vcc_lo, exec_lo, s37
	s_cbranch_vccnz .LBB181_64
; %bb.59:
	v_dual_mov_b32 v4, 0 :: v_dual_mov_b32 v1, v0
	v_dual_mov_b32 v6, 0 :: v_dual_mov_b32 v5, 0
	s_add_co_i32 s16, s35, 1
	s_mov_b64 s[24:25], 0xffffffffffffffe0
	s_and_b32 s16, s16, 30
	s_add_nc_u64 s[24:25], s[12:13], s[24:25]
	s_mov_b64 s[26:27], s[12:13]
.LBB181_60:                             ; =>This Inner Loop Header: Depth=1
	s_clause 0x1
	s_load_b128 s[40:43], s[26:27], 0x4
	s_load_b64 s[38:39], s[26:27], 0x14
	s_load_b32 s44, s[24:25], 0xe4
	s_add_co_i32 s16, s16, -2
	s_wait_xcnt 0x0
	s_add_nc_u64 s[26:27], s[26:27], 24
	s_cmp_eq_u32 s16, 0
	s_wait_kmcnt 0x0
	v_mul_hi_u32 v2, s41, v1
	s_delay_alu instid0(VALU_DEP_1) | instskip(NEXT) | instid1(VALU_DEP_1)
	v_add_nc_u32_e32 v2, v1, v2
	v_lshrrev_b32_e32 v2, s42, v2
	s_delay_alu instid0(VALU_DEP_1) | instskip(SKIP_2) | instid1(VALU_DEP_2)
	v_mul_hi_u32 v3, s38, v2
	v_mul_lo_u32 v7, v2, s40
	s_load_b96 s[40:42], s[24:25], 0xec
	v_add_nc_u32_e32 v3, v2, v3
	s_delay_alu instid0(VALU_DEP_2) | instskip(NEXT) | instid1(VALU_DEP_2)
	v_sub_nc_u32_e32 v7, v1, v7
	v_lshrrev_b32_e32 v1, s39, v3
	s_load_b64 s[38:39], s[24:25], 0xfc
	s_delay_alu instid0(VALU_DEP_2)
	v_mad_u32 v4, v7, s44, v4
	s_wait_xcnt 0x0
	s_add_nc_u64 s[24:25], s[24:25], 32
	v_mul_lo_u32 v3, v1, s43
	s_wait_kmcnt 0x0
	v_mad_u32 v5, v7, s41, v5
	v_mad_u32 v6, v7, s40, v6
	s_delay_alu instid0(VALU_DEP_3) | instskip(NEXT) | instid1(VALU_DEP_1)
	v_sub_nc_u32_e32 v2, v2, v3
	v_mad_u32 v4, v2, s42, v4
	s_delay_alu instid0(VALU_DEP_4) | instskip(NEXT) | instid1(VALU_DEP_4)
	v_mad_u32 v5, v2, s39, v5
	v_mad_u32 v6, v2, s38, v6
	s_cbranch_scc0 .LBB181_60
; %bb.61:
	s_bitcmp1_b32 s35, 0
	s_cselect_b32 s16, -1, 0
	s_delay_alu instid0(SALU_CYCLE_1)
	s_and_b32 vcc_lo, exec_lo, s16
	s_cbranch_vccnz .LBB181_65
; %bb.62:
	s_load_b96 s[40:42], s[26:27], 0x4
	s_load_b32 s16, s[24:25], 0xe4
	s_wait_xcnt 0x0
	s_load_b64 s[26:27], s[24:25], 0xec
	s_wait_kmcnt 0x0
	v_mul_hi_u32 v2, s41, v1
	s_delay_alu instid0(VALU_DEP_1) | instskip(NEXT) | instid1(VALU_DEP_1)
	v_add_nc_u32_e32 v2, v1, v2
	v_lshrrev_b32_e32 v2, s42, v2
	s_delay_alu instid0(VALU_DEP_1) | instskip(NEXT) | instid1(VALU_DEP_1)
	v_mul_lo_u32 v2, v2, s40
	v_sub_nc_u32_e32 v1, v1, v2
	s_delay_alu instid0(VALU_DEP_1)
	v_mad_u32 v4, v1, s16, v4
	v_mad_u32 v6, v1, s26, v6
	;; [unrolled: 1-line block ×3, first 2 shown]
	s_branch .LBB181_65
.LBB181_63:
                                        ; implicit-def: $vgpr5
                                        ; implicit-def: $vgpr6
                                        ; implicit-def: $vgpr4
	s_branch .LBB181_66
.LBB181_64:
	v_dual_mov_b32 v5, 0 :: v_dual_mov_b32 v6, 0
	v_mov_b32_e32 v4, 0
.LBB181_65:
	s_cbranch_execnz .LBB181_68
.LBB181_66:
	v_mov_b32_e32 v1, 0
	s_and_not1_b32 vcc_lo, exec_lo, s34
	s_delay_alu instid0(VALU_DEP_1) | instskip(NEXT) | instid1(VALU_DEP_1)
	v_mul_u64_e32 v[2:3], s[20:21], v[0:1]
	v_add_nc_u32_e32 v2, v0, v3
	s_delay_alu instid0(VALU_DEP_1) | instskip(NEXT) | instid1(VALU_DEP_1)
	v_lshrrev_b32_e32 v2, s6, v2
	v_mul_lo_u32 v3, v2, s4
	s_delay_alu instid0(VALU_DEP_1) | instskip(NEXT) | instid1(VALU_DEP_1)
	v_sub_nc_u32_e32 v3, v0, v3
	v_mul_lo_u32 v4, v3, s33
	v_mul_lo_u32 v5, v3, s9
	;; [unrolled: 1-line block ×3, first 2 shown]
	s_cbranch_vccnz .LBB181_68
; %bb.67:
	v_mov_b32_e32 v3, v1
	s_delay_alu instid0(VALU_DEP_1) | instskip(NEXT) | instid1(VALU_DEP_1)
	v_mul_u64_e32 v[8:9], s[22:23], v[2:3]
	v_add_nc_u32_e32 v1, v2, v9
	s_delay_alu instid0(VALU_DEP_1) | instskip(NEXT) | instid1(VALU_DEP_1)
	v_lshrrev_b32_e32 v1, s17, v1
	v_mul_lo_u32 v1, v1, s7
	s_delay_alu instid0(VALU_DEP_1) | instskip(NEXT) | instid1(VALU_DEP_1)
	v_sub_nc_u32_e32 v1, v2, v1
	v_mad_u32 v4, v1, s10, v4
	v_mad_u32 v6, v1, s18, v6
	;; [unrolled: 1-line block ×3, first 2 shown]
.LBB181_68:
	global_load_u16 v1, v6, s[0:1]
	global_load_u16 v2, v5, s[2:3]
	v_add_nc_u32_e32 v0, 0x80, v0
	s_wait_loadcnt 0x1
	v_mul_f16_e32 v1, s31, v1
	s_wait_loadcnt 0x0
	s_delay_alu instid0(VALU_DEP_1) | instskip(SKIP_3) | instid1(SALU_CYCLE_1)
	v_mul_f16_e32 v1, v1, v2
	global_store_b16 v4, v1, s[14:15]
	s_wait_xcnt 0x0
	s_or_b32 exec_lo, exec_lo, s5
	s_mov_b32 s5, exec_lo
	v_cmpx_gt_i32_e64 s36, v0
	s_cbranch_execz .LBB181_7
.LBB181_69:
	s_and_not1_b32 vcc_lo, exec_lo, s29
	s_cbranch_vccnz .LBB181_75
; %bb.70:
	s_and_not1_b32 vcc_lo, exec_lo, s37
	s_cbranch_vccnz .LBB181_76
; %bb.71:
	v_dual_mov_b32 v4, 0 :: v_dual_mov_b32 v1, v0
	v_dual_mov_b32 v6, 0 :: v_dual_mov_b32 v5, 0
	s_add_co_i32 s16, s35, 1
	s_mov_b64 s[24:25], 0xffffffffffffffe0
	s_and_b32 s16, s16, 30
	s_add_nc_u64 s[24:25], s[12:13], s[24:25]
	s_mov_b64 s[26:27], s[12:13]
.LBB181_72:                             ; =>This Inner Loop Header: Depth=1
	s_clause 0x1
	s_load_b128 s[40:43], s[26:27], 0x4
	s_load_b64 s[38:39], s[26:27], 0x14
	s_load_b32 s44, s[24:25], 0xe4
	s_add_co_i32 s16, s16, -2
	s_wait_xcnt 0x0
	s_add_nc_u64 s[26:27], s[26:27], 24
	s_cmp_eq_u32 s16, 0
	s_wait_kmcnt 0x0
	v_mul_hi_u32 v2, s41, v1
	s_delay_alu instid0(VALU_DEP_1) | instskip(NEXT) | instid1(VALU_DEP_1)
	v_add_nc_u32_e32 v2, v1, v2
	v_lshrrev_b32_e32 v2, s42, v2
	s_delay_alu instid0(VALU_DEP_1) | instskip(SKIP_2) | instid1(VALU_DEP_2)
	v_mul_hi_u32 v3, s38, v2
	v_mul_lo_u32 v7, v2, s40
	s_load_b96 s[40:42], s[24:25], 0xec
	v_add_nc_u32_e32 v3, v2, v3
	s_delay_alu instid0(VALU_DEP_2) | instskip(NEXT) | instid1(VALU_DEP_2)
	v_sub_nc_u32_e32 v7, v1, v7
	v_lshrrev_b32_e32 v1, s39, v3
	s_load_b64 s[38:39], s[24:25], 0xfc
	s_delay_alu instid0(VALU_DEP_2)
	v_mad_u32 v4, v7, s44, v4
	s_wait_xcnt 0x0
	s_add_nc_u64 s[24:25], s[24:25], 32
	v_mul_lo_u32 v3, v1, s43
	s_wait_kmcnt 0x0
	v_mad_u32 v5, v7, s41, v5
	v_mad_u32 v6, v7, s40, v6
	s_delay_alu instid0(VALU_DEP_3) | instskip(NEXT) | instid1(VALU_DEP_1)
	v_sub_nc_u32_e32 v2, v2, v3
	v_mad_u32 v4, v2, s42, v4
	s_delay_alu instid0(VALU_DEP_4) | instskip(NEXT) | instid1(VALU_DEP_4)
	v_mad_u32 v5, v2, s39, v5
	v_mad_u32 v6, v2, s38, v6
	s_cbranch_scc0 .LBB181_72
; %bb.73:
	s_bitcmp1_b32 s35, 0
	s_cselect_b32 s16, -1, 0
	s_delay_alu instid0(SALU_CYCLE_1)
	s_and_b32 vcc_lo, exec_lo, s16
	s_cbranch_vccnz .LBB181_77
; %bb.74:
	s_load_b96 s[40:42], s[26:27], 0x4
	s_load_b32 s16, s[24:25], 0xe4
	s_wait_xcnt 0x0
	s_load_b64 s[26:27], s[24:25], 0xec
	s_wait_kmcnt 0x0
	v_mul_hi_u32 v2, s41, v1
	s_delay_alu instid0(VALU_DEP_1) | instskip(NEXT) | instid1(VALU_DEP_1)
	v_add_nc_u32_e32 v2, v1, v2
	v_lshrrev_b32_e32 v2, s42, v2
	s_delay_alu instid0(VALU_DEP_1) | instskip(NEXT) | instid1(VALU_DEP_1)
	v_mul_lo_u32 v2, v2, s40
	v_sub_nc_u32_e32 v1, v1, v2
	s_delay_alu instid0(VALU_DEP_1)
	v_mad_u32 v4, v1, s16, v4
	v_mad_u32 v6, v1, s26, v6
	;; [unrolled: 1-line block ×3, first 2 shown]
	s_branch .LBB181_77
.LBB181_75:
                                        ; implicit-def: $vgpr5
                                        ; implicit-def: $vgpr6
                                        ; implicit-def: $vgpr4
	s_branch .LBB181_78
.LBB181_76:
	v_dual_mov_b32 v5, 0 :: v_dual_mov_b32 v6, 0
	v_mov_b32_e32 v4, 0
.LBB181_77:
	s_cbranch_execnz .LBB181_80
.LBB181_78:
	v_mov_b32_e32 v1, 0
	s_and_not1_b32 vcc_lo, exec_lo, s34
	s_delay_alu instid0(VALU_DEP_1) | instskip(NEXT) | instid1(VALU_DEP_1)
	v_mul_u64_e32 v[2:3], s[20:21], v[0:1]
	v_add_nc_u32_e32 v2, v0, v3
	s_delay_alu instid0(VALU_DEP_1) | instskip(NEXT) | instid1(VALU_DEP_1)
	v_lshrrev_b32_e32 v2, s6, v2
	v_mul_lo_u32 v3, v2, s4
	s_delay_alu instid0(VALU_DEP_1) | instskip(NEXT) | instid1(VALU_DEP_1)
	v_sub_nc_u32_e32 v3, v0, v3
	v_mul_lo_u32 v4, v3, s33
	v_mul_lo_u32 v5, v3, s9
	;; [unrolled: 1-line block ×3, first 2 shown]
	s_cbranch_vccnz .LBB181_80
; %bb.79:
	v_mov_b32_e32 v3, v1
	s_delay_alu instid0(VALU_DEP_1) | instskip(NEXT) | instid1(VALU_DEP_1)
	v_mul_u64_e32 v[8:9], s[22:23], v[2:3]
	v_add_nc_u32_e32 v1, v2, v9
	s_delay_alu instid0(VALU_DEP_1) | instskip(NEXT) | instid1(VALU_DEP_1)
	v_lshrrev_b32_e32 v1, s17, v1
	v_mul_lo_u32 v1, v1, s7
	s_delay_alu instid0(VALU_DEP_1) | instskip(NEXT) | instid1(VALU_DEP_1)
	v_sub_nc_u32_e32 v1, v2, v1
	v_mad_u32 v4, v1, s10, v4
	v_mad_u32 v6, v1, s18, v6
	;; [unrolled: 1-line block ×3, first 2 shown]
.LBB181_80:
	global_load_u16 v1, v6, s[0:1]
	global_load_u16 v2, v5, s[2:3]
	v_add_nc_u32_e32 v0, 0x80, v0
	s_wait_loadcnt 0x1
	v_mul_f16_e32 v1, s31, v1
	s_wait_loadcnt 0x0
	s_delay_alu instid0(VALU_DEP_1) | instskip(SKIP_3) | instid1(SALU_CYCLE_1)
	v_mul_f16_e32 v1, v1, v2
	global_store_b16 v4, v1, s[14:15]
	s_wait_xcnt 0x0
	s_or_b32 exec_lo, exec_lo, s5
	s_mov_b32 s5, exec_lo
	v_cmpx_gt_i32_e64 s36, v0
	s_cbranch_execz .LBB181_8
.LBB181_81:
	s_and_not1_b32 vcc_lo, exec_lo, s29
	s_cbranch_vccnz .LBB181_87
; %bb.82:
	s_and_not1_b32 vcc_lo, exec_lo, s37
	s_cbranch_vccnz .LBB181_88
; %bb.83:
	v_dual_mov_b32 v4, 0 :: v_dual_mov_b32 v1, v0
	v_dual_mov_b32 v6, 0 :: v_dual_mov_b32 v5, 0
	s_add_co_i32 s16, s35, 1
	s_mov_b64 s[24:25], 0xffffffffffffffe0
	s_and_b32 s16, s16, 30
	s_add_nc_u64 s[24:25], s[12:13], s[24:25]
	s_mov_b64 s[26:27], s[12:13]
.LBB181_84:                             ; =>This Inner Loop Header: Depth=1
	s_clause 0x1
	s_load_b128 s[40:43], s[26:27], 0x4
	s_load_b64 s[38:39], s[26:27], 0x14
	s_load_b32 s44, s[24:25], 0xe4
	s_add_co_i32 s16, s16, -2
	s_wait_xcnt 0x0
	s_add_nc_u64 s[26:27], s[26:27], 24
	s_cmp_eq_u32 s16, 0
	s_wait_kmcnt 0x0
	v_mul_hi_u32 v2, s41, v1
	s_delay_alu instid0(VALU_DEP_1) | instskip(NEXT) | instid1(VALU_DEP_1)
	v_add_nc_u32_e32 v2, v1, v2
	v_lshrrev_b32_e32 v2, s42, v2
	s_delay_alu instid0(VALU_DEP_1) | instskip(SKIP_2) | instid1(VALU_DEP_2)
	v_mul_hi_u32 v3, s38, v2
	v_mul_lo_u32 v7, v2, s40
	s_load_b96 s[40:42], s[24:25], 0xec
	v_add_nc_u32_e32 v3, v2, v3
	s_delay_alu instid0(VALU_DEP_2) | instskip(NEXT) | instid1(VALU_DEP_2)
	v_sub_nc_u32_e32 v7, v1, v7
	v_lshrrev_b32_e32 v1, s39, v3
	s_load_b64 s[38:39], s[24:25], 0xfc
	s_delay_alu instid0(VALU_DEP_2)
	v_mad_u32 v4, v7, s44, v4
	s_wait_xcnt 0x0
	s_add_nc_u64 s[24:25], s[24:25], 32
	v_mul_lo_u32 v3, v1, s43
	s_wait_kmcnt 0x0
	v_mad_u32 v5, v7, s41, v5
	v_mad_u32 v6, v7, s40, v6
	s_delay_alu instid0(VALU_DEP_3) | instskip(NEXT) | instid1(VALU_DEP_1)
	v_sub_nc_u32_e32 v2, v2, v3
	v_mad_u32 v4, v2, s42, v4
	s_delay_alu instid0(VALU_DEP_4) | instskip(NEXT) | instid1(VALU_DEP_4)
	v_mad_u32 v5, v2, s39, v5
	v_mad_u32 v6, v2, s38, v6
	s_cbranch_scc0 .LBB181_84
; %bb.85:
	s_bitcmp1_b32 s35, 0
	s_cselect_b32 s16, -1, 0
	s_delay_alu instid0(SALU_CYCLE_1)
	s_and_b32 vcc_lo, exec_lo, s16
	s_cbranch_vccnz .LBB181_89
; %bb.86:
	s_load_b96 s[40:42], s[26:27], 0x4
	s_load_b32 s16, s[24:25], 0xe4
	s_wait_xcnt 0x0
	s_load_b64 s[26:27], s[24:25], 0xec
	s_wait_kmcnt 0x0
	v_mul_hi_u32 v2, s41, v1
	s_delay_alu instid0(VALU_DEP_1) | instskip(NEXT) | instid1(VALU_DEP_1)
	v_add_nc_u32_e32 v2, v1, v2
	v_lshrrev_b32_e32 v2, s42, v2
	s_delay_alu instid0(VALU_DEP_1) | instskip(NEXT) | instid1(VALU_DEP_1)
	v_mul_lo_u32 v2, v2, s40
	v_sub_nc_u32_e32 v1, v1, v2
	s_delay_alu instid0(VALU_DEP_1)
	v_mad_u32 v4, v1, s16, v4
	v_mad_u32 v6, v1, s26, v6
	;; [unrolled: 1-line block ×3, first 2 shown]
	s_branch .LBB181_89
.LBB181_87:
                                        ; implicit-def: $vgpr5
                                        ; implicit-def: $vgpr6
                                        ; implicit-def: $vgpr4
	s_branch .LBB181_90
.LBB181_88:
	v_dual_mov_b32 v5, 0 :: v_dual_mov_b32 v6, 0
	v_mov_b32_e32 v4, 0
.LBB181_89:
	s_cbranch_execnz .LBB181_92
.LBB181_90:
	v_mov_b32_e32 v1, 0
	s_and_not1_b32 vcc_lo, exec_lo, s34
	s_delay_alu instid0(VALU_DEP_1) | instskip(NEXT) | instid1(VALU_DEP_1)
	v_mul_u64_e32 v[2:3], s[20:21], v[0:1]
	v_add_nc_u32_e32 v2, v0, v3
	s_delay_alu instid0(VALU_DEP_1) | instskip(NEXT) | instid1(VALU_DEP_1)
	v_lshrrev_b32_e32 v2, s6, v2
	v_mul_lo_u32 v3, v2, s4
	s_delay_alu instid0(VALU_DEP_1) | instskip(NEXT) | instid1(VALU_DEP_1)
	v_sub_nc_u32_e32 v3, v0, v3
	v_mul_lo_u32 v4, v3, s33
	v_mul_lo_u32 v5, v3, s9
	;; [unrolled: 1-line block ×3, first 2 shown]
	s_cbranch_vccnz .LBB181_92
; %bb.91:
	v_mov_b32_e32 v3, v1
	s_delay_alu instid0(VALU_DEP_1) | instskip(NEXT) | instid1(VALU_DEP_1)
	v_mul_u64_e32 v[8:9], s[22:23], v[2:3]
	v_add_nc_u32_e32 v1, v2, v9
	s_delay_alu instid0(VALU_DEP_1) | instskip(NEXT) | instid1(VALU_DEP_1)
	v_lshrrev_b32_e32 v1, s17, v1
	v_mul_lo_u32 v1, v1, s7
	s_delay_alu instid0(VALU_DEP_1) | instskip(NEXT) | instid1(VALU_DEP_1)
	v_sub_nc_u32_e32 v1, v2, v1
	v_mad_u32 v4, v1, s10, v4
	v_mad_u32 v6, v1, s18, v6
	;; [unrolled: 1-line block ×3, first 2 shown]
.LBB181_92:
	global_load_u16 v1, v6, s[0:1]
	global_load_u16 v2, v5, s[2:3]
	v_add_nc_u32_e32 v0, 0x80, v0
	s_wait_loadcnt 0x1
	v_mul_f16_e32 v1, s31, v1
	s_wait_loadcnt 0x0
	s_delay_alu instid0(VALU_DEP_1) | instskip(SKIP_3) | instid1(SALU_CYCLE_1)
	v_mul_f16_e32 v1, v1, v2
	global_store_b16 v4, v1, s[14:15]
	s_wait_xcnt 0x0
	s_or_b32 exec_lo, exec_lo, s5
	s_mov_b32 s5, exec_lo
	v_cmpx_gt_i32_e64 s36, v0
	s_cbranch_execz .LBB181_105
.LBB181_93:
	s_and_not1_b32 vcc_lo, exec_lo, s29
	s_cbranch_vccnz .LBB181_99
; %bb.94:
	s_and_not1_b32 vcc_lo, exec_lo, s37
	s_cbranch_vccnz .LBB181_100
; %bb.95:
	v_dual_mov_b32 v4, 0 :: v_dual_mov_b32 v1, v0
	v_dual_mov_b32 v6, 0 :: v_dual_mov_b32 v5, 0
	s_add_co_i32 s16, s35, 1
	s_mov_b64 s[24:25], 0xffffffffffffffe0
	s_and_b32 s16, s16, 30
	s_add_nc_u64 s[24:25], s[12:13], s[24:25]
	s_mov_b64 s[26:27], s[12:13]
.LBB181_96:                             ; =>This Inner Loop Header: Depth=1
	s_clause 0x1
	s_load_b128 s[36:39], s[26:27], 0x4
	s_load_b64 s[40:41], s[26:27], 0x14
	s_load_b32 s42, s[24:25], 0xe4
	s_add_co_i32 s16, s16, -2
	s_wait_xcnt 0x0
	s_add_nc_u64 s[26:27], s[26:27], 24
	s_cmp_eq_u32 s16, 0
	s_wait_kmcnt 0x0
	v_mul_hi_u32 v2, s37, v1
	s_delay_alu instid0(VALU_DEP_1) | instskip(NEXT) | instid1(VALU_DEP_1)
	v_add_nc_u32_e32 v2, v1, v2
	v_lshrrev_b32_e32 v2, s38, v2
	s_delay_alu instid0(VALU_DEP_1) | instskip(SKIP_2) | instid1(VALU_DEP_2)
	v_mul_hi_u32 v3, s40, v2
	v_mul_lo_u32 v7, v2, s36
	s_load_b96 s[36:38], s[24:25], 0xec
	v_add_nc_u32_e32 v3, v2, v3
	s_delay_alu instid0(VALU_DEP_2) | instskip(NEXT) | instid1(VALU_DEP_2)
	v_sub_nc_u32_e32 v7, v1, v7
	v_lshrrev_b32_e32 v1, s41, v3
	s_load_b64 s[40:41], s[24:25], 0xfc
	s_delay_alu instid0(VALU_DEP_2)
	v_mad_u32 v4, v7, s42, v4
	s_wait_xcnt 0x0
	s_add_nc_u64 s[24:25], s[24:25], 32
	v_mul_lo_u32 v3, v1, s39
	s_wait_kmcnt 0x0
	v_mad_u32 v5, v7, s37, v5
	v_mad_u32 v6, v7, s36, v6
	s_delay_alu instid0(VALU_DEP_3) | instskip(NEXT) | instid1(VALU_DEP_1)
	v_sub_nc_u32_e32 v2, v2, v3
	v_mad_u32 v4, v2, s38, v4
	s_delay_alu instid0(VALU_DEP_4) | instskip(NEXT) | instid1(VALU_DEP_4)
	v_mad_u32 v5, v2, s41, v5
	v_mad_u32 v6, v2, s40, v6
	s_cbranch_scc0 .LBB181_96
; %bb.97:
	s_bitcmp1_b32 s35, 0
	s_cselect_b32 s16, -1, 0
	s_delay_alu instid0(SALU_CYCLE_1)
	s_and_b32 vcc_lo, exec_lo, s16
	s_cbranch_vccnz .LBB181_101
; %bb.98:
	s_load_b96 s[36:38], s[26:27], 0x4
	s_load_b32 s16, s[24:25], 0xe4
	s_wait_xcnt 0x0
	s_load_b64 s[26:27], s[24:25], 0xec
	s_wait_kmcnt 0x0
	v_mul_hi_u32 v2, s37, v1
	s_delay_alu instid0(VALU_DEP_1) | instskip(NEXT) | instid1(VALU_DEP_1)
	v_add_nc_u32_e32 v2, v1, v2
	v_lshrrev_b32_e32 v2, s38, v2
	s_delay_alu instid0(VALU_DEP_1) | instskip(NEXT) | instid1(VALU_DEP_1)
	v_mul_lo_u32 v2, v2, s36
	v_sub_nc_u32_e32 v1, v1, v2
	s_delay_alu instid0(VALU_DEP_1)
	v_mad_u32 v4, v1, s16, v4
	v_mad_u32 v6, v1, s26, v6
	;; [unrolled: 1-line block ×3, first 2 shown]
	s_branch .LBB181_101
.LBB181_99:
                                        ; implicit-def: $vgpr5
                                        ; implicit-def: $vgpr6
                                        ; implicit-def: $vgpr4
	s_branch .LBB181_102
.LBB181_100:
	v_dual_mov_b32 v5, 0 :: v_dual_mov_b32 v6, 0
	v_mov_b32_e32 v4, 0
.LBB181_101:
	s_cbranch_execnz .LBB181_104
.LBB181_102:
	v_mov_b32_e32 v1, 0
	s_and_not1_b32 vcc_lo, exec_lo, s34
	s_delay_alu instid0(VALU_DEP_1) | instskip(NEXT) | instid1(VALU_DEP_1)
	v_mul_u64_e32 v[2:3], s[20:21], v[0:1]
	v_add_nc_u32_e32 v2, v0, v3
	s_delay_alu instid0(VALU_DEP_1) | instskip(NEXT) | instid1(VALU_DEP_1)
	v_lshrrev_b32_e32 v2, s6, v2
	v_mul_lo_u32 v3, v2, s4
	s_delay_alu instid0(VALU_DEP_1) | instskip(NEXT) | instid1(VALU_DEP_1)
	v_sub_nc_u32_e32 v0, v0, v3
	v_mul_lo_u32 v4, v0, s33
	v_mul_lo_u32 v5, v0, s9
	;; [unrolled: 1-line block ×3, first 2 shown]
	s_cbranch_vccnz .LBB181_104
; %bb.103:
	v_mov_b32_e32 v3, v1
	s_delay_alu instid0(VALU_DEP_1) | instskip(NEXT) | instid1(VALU_DEP_1)
	v_mul_u64_e32 v[0:1], s[22:23], v[2:3]
	v_add_nc_u32_e32 v0, v2, v1
	s_delay_alu instid0(VALU_DEP_1) | instskip(NEXT) | instid1(VALU_DEP_1)
	v_lshrrev_b32_e32 v0, s17, v0
	v_mul_lo_u32 v0, v0, s7
	s_delay_alu instid0(VALU_DEP_1) | instskip(NEXT) | instid1(VALU_DEP_1)
	v_sub_nc_u32_e32 v0, v2, v0
	v_mad_u32 v4, v0, s10, v4
	v_mad_u32 v6, v0, s18, v6
	;; [unrolled: 1-line block ×3, first 2 shown]
.LBB181_104:
	global_load_u16 v0, v6, s[0:1]
	global_load_u16 v1, v5, s[2:3]
	s_wait_loadcnt 0x1
	v_mul_f16_e32 v0, s31, v0
	s_wait_loadcnt 0x0
	s_delay_alu instid0(VALU_DEP_1)
	v_mul_f16_e32 v0, v0, v1
	global_store_b16 v4, v0, s[14:15]
.LBB181_105:
	s_wait_xcnt 0x0
	s_or_b32 exec_lo, exec_lo, s5
                                        ; implicit-def: $vgpr4
                                        ; implicit-def: $vgpr0
.LBB181_106:
	s_and_not1_saveexec_b32 s0, s30
	s_cbranch_execz .LBB181_113
; %bb.107:
	v_cndmask_b32_e64 v7, 0, 1, s29
	s_and_not1_b32 vcc_lo, exec_lo, s29
	s_cbranch_vccnz .LBB181_114
; %bb.108:
	s_cmp_lg_u32 s11, 0
	s_mov_b32 s4, 0
	s_cbranch_scc0 .LBB181_118
; %bb.109:
	s_min_u32 s5, s28, 15
	v_dual_mov_b32 v1, 0 :: v_dual_mov_b32 v5, v0
	v_dual_mov_b32 v3, 0 :: v_dual_mov_b32 v2, 0
	s_add_co_i32 s2, s5, 1
	s_mov_b64 s[0:1], 0xffffffffffffffe0
	s_and_b32 s6, s2, 30
	s_add_nc_u64 s[0:1], s[12:13], s[0:1]
	s_mov_b64 s[2:3], s[12:13]
.LBB181_110:                            ; =>This Inner Loop Header: Depth=1
	s_clause 0x1
	s_load_b128 s[16:19], s[2:3], 0x4
	s_load_b64 s[14:15], s[2:3], 0x14
	s_clause 0x1
	s_load_b32 s7, s[0:1], 0xe4
	s_load_b96 s[8:10], s[0:1], 0xec
	s_add_co_i32 s6, s6, -2
	s_wait_xcnt 0x0
	s_add_nc_u64 s[2:3], s[2:3], 24
	s_cmp_lg_u32 s6, 0
	s_wait_kmcnt 0x0
	v_mul_hi_u32 v6, s17, v5
	s_delay_alu instid0(VALU_DEP_1) | instskip(NEXT) | instid1(VALU_DEP_1)
	v_add_nc_u32_e32 v6, v5, v6
	v_lshrrev_b32_e32 v6, s18, v6
	s_delay_alu instid0(VALU_DEP_1) | instskip(SKIP_1) | instid1(VALU_DEP_1)
	v_mul_hi_u32 v8, s14, v6
	v_mul_lo_u32 v9, v6, s16
	v_dual_add_nc_u32 v8, v6, v8 :: v_dual_sub_nc_u32 v9, v5, v9
	s_delay_alu instid0(VALU_DEP_1) | instskip(SKIP_1) | instid1(VALU_DEP_2)
	v_lshrrev_b32_e32 v5, s15, v8
	s_load_b64 s[14:15], s[0:1], 0xfc
	v_mad_u32 v1, v9, s7, v1
	v_mad_u32 v2, v9, s9, v2
	;; [unrolled: 1-line block ×3, first 2 shown]
	v_mul_lo_u32 v8, v5, s19
	s_wait_xcnt 0x0
	s_add_nc_u64 s[0:1], s[0:1], 32
	s_delay_alu instid0(VALU_DEP_1) | instskip(NEXT) | instid1(VALU_DEP_1)
	v_sub_nc_u32_e32 v6, v6, v8
	v_mad_u32 v1, v6, s10, v1
	s_wait_kmcnt 0x0
	v_mad_u32 v2, v6, s15, v2
	v_mad_u32 v3, v6, s14, v3
	s_cbranch_scc1 .LBB181_110
; %bb.111:
	s_bitcmp1_b32 s5, 0
	s_cselect_b32 s5, -1, 0
	s_delay_alu instid0(SALU_CYCLE_1)
	s_and_b32 vcc_lo, exec_lo, s5
	s_cbranch_vccnz .LBB181_115
; %bb.112:
	s_load_b96 s[8:10], s[2:3], 0x4
	s_load_b32 s5, s[0:1], 0xe4
	s_wait_xcnt 0x0
	s_load_b64 s[2:3], s[0:1], 0xec
	s_wait_kmcnt 0x0
	v_mul_hi_u32 v6, s9, v5
	s_delay_alu instid0(VALU_DEP_1) | instskip(NEXT) | instid1(VALU_DEP_1)
	v_add_nc_u32_e32 v6, v5, v6
	v_lshrrev_b32_e32 v6, s10, v6
	s_delay_alu instid0(VALU_DEP_1) | instskip(NEXT) | instid1(VALU_DEP_1)
	v_mul_lo_u32 v6, v6, s8
	v_sub_nc_u32_e32 v5, v5, v6
	s_delay_alu instid0(VALU_DEP_1)
	v_mad_u32 v1, v5, s5, v1
	v_mad_u32 v3, v5, s2, v3
	;; [unrolled: 1-line block ×3, first 2 shown]
	s_and_not1_b32 vcc_lo, exec_lo, s4
	s_cbranch_vccz .LBB181_116
	s_branch .LBB181_119
.LBB181_113:
	s_endpgm
.LBB181_114:
	s_mov_b32 s4, -1
                                        ; implicit-def: $vgpr2
                                        ; implicit-def: $vgpr3
                                        ; implicit-def: $vgpr1
.LBB181_115:
	s_delay_alu instid0(SALU_CYCLE_1)
	s_and_not1_b32 vcc_lo, exec_lo, s4
	s_cbranch_vccnz .LBB181_119
.LBB181_116:
	s_clause 0x2
	s_load_b96 s[0:2], s[12:13], 0x4
	s_load_b32 s3, s[12:13], 0xc4
	s_load_b64 s[4:5], s[12:13], 0xcc
	s_cmp_lt_u32 s11, 2
	s_wait_kmcnt 0x0
	v_mul_hi_u32 v1, s1, v0
	s_delay_alu instid0(VALU_DEP_1) | instskip(NEXT) | instid1(VALU_DEP_1)
	v_add_nc_u32_e32 v1, v0, v1
	v_lshrrev_b32_e32 v5, s2, v1
	s_delay_alu instid0(VALU_DEP_1) | instskip(NEXT) | instid1(VALU_DEP_1)
	v_mul_lo_u32 v1, v5, s0
	v_sub_nc_u32_e32 v3, v0, v1
	s_delay_alu instid0(VALU_DEP_1)
	v_mul_lo_u32 v1, v3, s3
	v_mul_lo_u32 v2, v3, s5
	;; [unrolled: 1-line block ×3, first 2 shown]
	s_cbranch_scc1 .LBB181_119
; %bb.117:
	s_clause 0x2
	s_load_b96 s[0:2], s[12:13], 0x10
	s_load_b32 s3, s[12:13], 0xd4
	s_load_b64 s[4:5], s[12:13], 0xdc
	s_wait_kmcnt 0x0
	v_mul_hi_u32 v6, s1, v5
	s_delay_alu instid0(VALU_DEP_1) | instskip(NEXT) | instid1(VALU_DEP_1)
	v_add_nc_u32_e32 v6, v5, v6
	v_lshrrev_b32_e32 v6, s2, v6
	s_delay_alu instid0(VALU_DEP_1) | instskip(NEXT) | instid1(VALU_DEP_1)
	v_mul_lo_u32 v6, v6, s0
	v_sub_nc_u32_e32 v5, v5, v6
	s_delay_alu instid0(VALU_DEP_1)
	v_mad_u32 v1, v5, s3, v1
	v_mad_u32 v3, v5, s4, v3
	;; [unrolled: 1-line block ×3, first 2 shown]
	s_branch .LBB181_119
.LBB181_118:
	v_dual_mov_b32 v2, 0 :: v_dual_mov_b32 v3, 0
	v_mov_b32_e32 v1, 0
	s_and_not1_b32 vcc_lo, exec_lo, s4
	s_cbranch_vccz .LBB181_116
.LBB181_119:
	v_cmp_ne_u32_e32 vcc_lo, 1, v7
	v_add_nc_u32_e32 v9, 0x80, v0
	s_cbranch_vccnz .LBB181_125
; %bb.120:
	s_cmp_lg_u32 s11, 0
	s_mov_b32 s4, 0
	s_cbranch_scc0 .LBB181_129
; %bb.121:
	s_min_u32 s5, s28, 15
	v_dual_mov_b32 v5, 0 :: v_dual_mov_b32 v10, v9
	v_dual_mov_b32 v8, 0 :: v_dual_mov_b32 v6, 0
	s_add_co_i32 s2, s5, 1
	s_mov_b64 s[0:1], 0xffffffffffffffe0
	s_and_b32 s6, s2, 30
	s_add_nc_u64 s[0:1], s[12:13], s[0:1]
	s_mov_b64 s[2:3], s[12:13]
.LBB181_122:                            ; =>This Inner Loop Header: Depth=1
	s_clause 0x1
	s_load_b128 s[16:19], s[2:3], 0x4
	s_load_b64 s[14:15], s[2:3], 0x14
	s_clause 0x1
	s_load_b32 s7, s[0:1], 0xe4
	s_load_b96 s[8:10], s[0:1], 0xec
	s_add_co_i32 s6, s6, -2
	s_wait_xcnt 0x0
	s_add_nc_u64 s[2:3], s[2:3], 24
	s_cmp_lg_u32 s6, 0
	s_wait_kmcnt 0x0
	v_mul_hi_u32 v11, s17, v10
	s_delay_alu instid0(VALU_DEP_1) | instskip(NEXT) | instid1(VALU_DEP_1)
	v_add_nc_u32_e32 v11, v10, v11
	v_lshrrev_b32_e32 v11, s18, v11
	s_delay_alu instid0(VALU_DEP_1) | instskip(SKIP_1) | instid1(VALU_DEP_1)
	v_mul_hi_u32 v12, s14, v11
	v_mul_lo_u32 v13, v11, s16
	v_dual_add_nc_u32 v12, v11, v12 :: v_dual_sub_nc_u32 v13, v10, v13
	s_delay_alu instid0(VALU_DEP_1) | instskip(SKIP_1) | instid1(VALU_DEP_2)
	v_lshrrev_b32_e32 v10, s15, v12
	s_load_b64 s[14:15], s[0:1], 0xfc
	v_mad_u32 v5, v13, s7, v5
	v_mad_u32 v6, v13, s9, v6
	;; [unrolled: 1-line block ×3, first 2 shown]
	v_mul_lo_u32 v12, v10, s19
	s_wait_xcnt 0x0
	s_add_nc_u64 s[0:1], s[0:1], 32
	s_delay_alu instid0(VALU_DEP_1) | instskip(NEXT) | instid1(VALU_DEP_1)
	v_sub_nc_u32_e32 v11, v11, v12
	v_mad_u32 v5, v11, s10, v5
	s_wait_kmcnt 0x0
	v_mad_u32 v6, v11, s15, v6
	v_mad_u32 v8, v11, s14, v8
	s_cbranch_scc1 .LBB181_122
; %bb.123:
	s_bitcmp1_b32 s5, 0
	s_cselect_b32 s5, -1, 0
	s_delay_alu instid0(SALU_CYCLE_1)
	s_and_b32 vcc_lo, exec_lo, s5
	s_cbranch_vccnz .LBB181_126
; %bb.124:
	s_load_b96 s[8:10], s[2:3], 0x4
	s_load_b32 s5, s[0:1], 0xe4
	s_wait_xcnt 0x0
	s_load_b64 s[2:3], s[0:1], 0xec
	s_wait_kmcnt 0x0
	v_mul_hi_u32 v11, s9, v10
	s_delay_alu instid0(VALU_DEP_1) | instskip(NEXT) | instid1(VALU_DEP_1)
	v_add_nc_u32_e32 v11, v10, v11
	v_lshrrev_b32_e32 v11, s10, v11
	s_delay_alu instid0(VALU_DEP_1) | instskip(NEXT) | instid1(VALU_DEP_1)
	v_mul_lo_u32 v11, v11, s8
	v_sub_nc_u32_e32 v10, v10, v11
	s_delay_alu instid0(VALU_DEP_1)
	v_mad_u32 v5, v10, s5, v5
	v_mad_u32 v8, v10, s2, v8
	;; [unrolled: 1-line block ×3, first 2 shown]
	s_and_not1_b32 vcc_lo, exec_lo, s4
	s_cbranch_vccz .LBB181_127
	s_branch .LBB181_130
.LBB181_125:
	s_mov_b32 s4, -1
                                        ; implicit-def: $vgpr6
                                        ; implicit-def: $vgpr8
                                        ; implicit-def: $vgpr5
.LBB181_126:
	s_delay_alu instid0(SALU_CYCLE_1)
	s_and_not1_b32 vcc_lo, exec_lo, s4
	s_cbranch_vccnz .LBB181_130
.LBB181_127:
	s_clause 0x2
	s_load_b96 s[0:2], s[12:13], 0x4
	s_load_b32 s3, s[12:13], 0xc4
	s_load_b64 s[4:5], s[12:13], 0xcc
	s_cmp_lt_u32 s11, 2
	s_wait_kmcnt 0x0
	v_mul_hi_u32 v5, s1, v9
	s_delay_alu instid0(VALU_DEP_1) | instskip(NEXT) | instid1(VALU_DEP_1)
	v_add_nc_u32_e32 v5, v9, v5
	v_lshrrev_b32_e32 v10, s2, v5
	s_delay_alu instid0(VALU_DEP_1) | instskip(NEXT) | instid1(VALU_DEP_1)
	v_mul_lo_u32 v5, v10, s0
	v_sub_nc_u32_e32 v8, v9, v5
	s_delay_alu instid0(VALU_DEP_1)
	v_mul_lo_u32 v5, v8, s3
	v_mul_lo_u32 v6, v8, s5
	;; [unrolled: 1-line block ×3, first 2 shown]
	s_cbranch_scc1 .LBB181_130
; %bb.128:
	s_clause 0x2
	s_load_b96 s[0:2], s[12:13], 0x10
	s_load_b32 s3, s[12:13], 0xd4
	s_load_b64 s[4:5], s[12:13], 0xdc
	s_wait_kmcnt 0x0
	v_mul_hi_u32 v9, s1, v10
	s_delay_alu instid0(VALU_DEP_1) | instskip(NEXT) | instid1(VALU_DEP_1)
	v_add_nc_u32_e32 v9, v10, v9
	v_lshrrev_b32_e32 v9, s2, v9
	s_delay_alu instid0(VALU_DEP_1) | instskip(NEXT) | instid1(VALU_DEP_1)
	v_mul_lo_u32 v9, v9, s0
	v_sub_nc_u32_e32 v9, v10, v9
	s_delay_alu instid0(VALU_DEP_1)
	v_mad_u32 v5, v9, s3, v5
	v_mad_u32 v8, v9, s4, v8
	;; [unrolled: 1-line block ×3, first 2 shown]
	s_branch .LBB181_130
.LBB181_129:
	v_dual_mov_b32 v6, 0 :: v_dual_mov_b32 v8, 0
	v_mov_b32_e32 v5, 0
	s_and_not1_b32 vcc_lo, exec_lo, s4
	s_cbranch_vccz .LBB181_127
.LBB181_130:
	v_cmp_ne_u32_e32 vcc_lo, 1, v7
	v_add_nc_u32_e32 v12, 0x100, v0
	s_cbranch_vccnz .LBB181_136
; %bb.131:
	s_cmp_lg_u32 s11, 0
	s_mov_b32 s4, 0
	s_cbranch_scc0 .LBB181_140
; %bb.132:
	s_min_u32 s5, s28, 15
	v_dual_mov_b32 v9, 0 :: v_dual_mov_b32 v13, v12
	v_dual_mov_b32 v10, 0 :: v_dual_mov_b32 v11, 0
	s_add_co_i32 s2, s5, 1
	s_mov_b64 s[0:1], 0xffffffffffffffe0
	s_and_b32 s6, s2, 30
	s_add_nc_u64 s[0:1], s[12:13], s[0:1]
	s_mov_b64 s[2:3], s[12:13]
.LBB181_133:                            ; =>This Inner Loop Header: Depth=1
	s_clause 0x1
	s_load_b128 s[16:19], s[2:3], 0x4
	s_load_b64 s[14:15], s[2:3], 0x14
	s_clause 0x1
	s_load_b32 s7, s[0:1], 0xe4
	s_load_b96 s[8:10], s[0:1], 0xec
	s_add_co_i32 s6, s6, -2
	s_wait_xcnt 0x0
	s_add_nc_u64 s[2:3], s[2:3], 24
	s_cmp_lg_u32 s6, 0
	s_wait_kmcnt 0x0
	v_mul_hi_u32 v14, s17, v13
	s_delay_alu instid0(VALU_DEP_1) | instskip(NEXT) | instid1(VALU_DEP_1)
	v_add_nc_u32_e32 v14, v13, v14
	v_lshrrev_b32_e32 v14, s18, v14
	s_delay_alu instid0(VALU_DEP_1) | instskip(SKIP_1) | instid1(VALU_DEP_1)
	v_mul_hi_u32 v15, s14, v14
	v_mul_lo_u32 v16, v14, s16
	v_dual_add_nc_u32 v15, v14, v15 :: v_dual_sub_nc_u32 v16, v13, v16
	s_delay_alu instid0(VALU_DEP_1) | instskip(SKIP_1) | instid1(VALU_DEP_2)
	v_lshrrev_b32_e32 v13, s15, v15
	s_load_b64 s[14:15], s[0:1], 0xfc
	v_mad_u32 v9, v16, s7, v9
	v_mad_u32 v11, v16, s9, v11
	;; [unrolled: 1-line block ×3, first 2 shown]
	v_mul_lo_u32 v15, v13, s19
	s_wait_xcnt 0x0
	s_add_nc_u64 s[0:1], s[0:1], 32
	s_delay_alu instid0(VALU_DEP_1) | instskip(NEXT) | instid1(VALU_DEP_1)
	v_sub_nc_u32_e32 v14, v14, v15
	v_mad_u32 v9, v14, s10, v9
	s_wait_kmcnt 0x0
	v_mad_u32 v11, v14, s15, v11
	v_mad_u32 v10, v14, s14, v10
	s_cbranch_scc1 .LBB181_133
; %bb.134:
	s_bitcmp1_b32 s5, 0
	s_cselect_b32 s5, -1, 0
	s_delay_alu instid0(SALU_CYCLE_1)
	s_and_b32 vcc_lo, exec_lo, s5
	s_cbranch_vccnz .LBB181_137
; %bb.135:
	s_load_b96 s[8:10], s[2:3], 0x4
	s_load_b32 s5, s[0:1], 0xe4
	s_wait_xcnt 0x0
	s_load_b64 s[2:3], s[0:1], 0xec
	s_wait_kmcnt 0x0
	v_mul_hi_u32 v14, s9, v13
	s_delay_alu instid0(VALU_DEP_1) | instskip(NEXT) | instid1(VALU_DEP_1)
	v_add_nc_u32_e32 v14, v13, v14
	v_lshrrev_b32_e32 v14, s10, v14
	s_delay_alu instid0(VALU_DEP_1) | instskip(NEXT) | instid1(VALU_DEP_1)
	v_mul_lo_u32 v14, v14, s8
	v_sub_nc_u32_e32 v13, v13, v14
	s_delay_alu instid0(VALU_DEP_1)
	v_mad_u32 v9, v13, s5, v9
	v_mad_u32 v10, v13, s2, v10
	v_mad_u32 v11, v13, s3, v11
	s_and_not1_b32 vcc_lo, exec_lo, s4
	s_cbranch_vccz .LBB181_138
	s_branch .LBB181_141
.LBB181_136:
	s_mov_b32 s4, -1
                                        ; implicit-def: $vgpr11
                                        ; implicit-def: $vgpr10
                                        ; implicit-def: $vgpr9
.LBB181_137:
	s_delay_alu instid0(SALU_CYCLE_1)
	s_and_not1_b32 vcc_lo, exec_lo, s4
	s_cbranch_vccnz .LBB181_141
.LBB181_138:
	s_clause 0x2
	s_load_b96 s[0:2], s[12:13], 0x4
	s_load_b32 s3, s[12:13], 0xc4
	s_load_b64 s[4:5], s[12:13], 0xcc
	s_cmp_lt_u32 s11, 2
	s_wait_kmcnt 0x0
	v_mul_hi_u32 v9, s1, v12
	s_delay_alu instid0(VALU_DEP_1) | instskip(NEXT) | instid1(VALU_DEP_1)
	v_add_nc_u32_e32 v9, v12, v9
	v_lshrrev_b32_e32 v13, s2, v9
	s_delay_alu instid0(VALU_DEP_1) | instskip(NEXT) | instid1(VALU_DEP_1)
	v_mul_lo_u32 v9, v13, s0
	v_sub_nc_u32_e32 v10, v12, v9
	s_delay_alu instid0(VALU_DEP_1)
	v_mul_lo_u32 v9, v10, s3
	v_mul_lo_u32 v11, v10, s5
	;; [unrolled: 1-line block ×3, first 2 shown]
	s_cbranch_scc1 .LBB181_141
; %bb.139:
	s_clause 0x2
	s_load_b96 s[0:2], s[12:13], 0x10
	s_load_b32 s3, s[12:13], 0xd4
	s_load_b64 s[4:5], s[12:13], 0xdc
	s_wait_kmcnt 0x0
	v_mul_hi_u32 v12, s1, v13
	s_delay_alu instid0(VALU_DEP_1) | instskip(NEXT) | instid1(VALU_DEP_1)
	v_add_nc_u32_e32 v12, v13, v12
	v_lshrrev_b32_e32 v12, s2, v12
	s_delay_alu instid0(VALU_DEP_1) | instskip(NEXT) | instid1(VALU_DEP_1)
	v_mul_lo_u32 v12, v12, s0
	v_sub_nc_u32_e32 v12, v13, v12
	s_delay_alu instid0(VALU_DEP_1)
	v_mad_u32 v9, v12, s3, v9
	v_mad_u32 v10, v12, s4, v10
	;; [unrolled: 1-line block ×3, first 2 shown]
	s_branch .LBB181_141
.LBB181_140:
	v_dual_mov_b32 v11, 0 :: v_dual_mov_b32 v10, 0
	v_mov_b32_e32 v9, 0
	s_and_not1_b32 vcc_lo, exec_lo, s4
	s_cbranch_vccz .LBB181_138
.LBB181_141:
	v_cmp_ne_u32_e32 vcc_lo, 1, v7
	v_add_nc_u32_e32 v15, 0x180, v0
	s_cbranch_vccnz .LBB181_147
; %bb.142:
	s_cmp_lg_u32 s11, 0
	s_mov_b32 s4, 0
	s_cbranch_scc0 .LBB181_151
; %bb.143:
	s_min_u32 s5, s28, 15
	v_dual_mov_b32 v12, 0 :: v_dual_mov_b32 v16, v15
	v_dual_mov_b32 v14, 0 :: v_dual_mov_b32 v13, 0
	s_add_co_i32 s2, s5, 1
	s_mov_b64 s[0:1], 0xffffffffffffffe0
	s_and_b32 s6, s2, 30
	s_add_nc_u64 s[0:1], s[12:13], s[0:1]
	s_mov_b64 s[2:3], s[12:13]
.LBB181_144:                            ; =>This Inner Loop Header: Depth=1
	s_clause 0x1
	s_load_b128 s[16:19], s[2:3], 0x4
	s_load_b64 s[14:15], s[2:3], 0x14
	s_clause 0x1
	s_load_b32 s7, s[0:1], 0xe4
	s_load_b96 s[8:10], s[0:1], 0xec
	s_add_co_i32 s6, s6, -2
	s_wait_xcnt 0x0
	s_add_nc_u64 s[2:3], s[2:3], 24
	s_cmp_lg_u32 s6, 0
	s_wait_kmcnt 0x0
	v_mul_hi_u32 v17, s17, v16
	s_delay_alu instid0(VALU_DEP_1) | instskip(NEXT) | instid1(VALU_DEP_1)
	v_add_nc_u32_e32 v17, v16, v17
	v_lshrrev_b32_e32 v17, s18, v17
	s_delay_alu instid0(VALU_DEP_1) | instskip(SKIP_1) | instid1(VALU_DEP_1)
	v_mul_hi_u32 v18, s14, v17
	v_mul_lo_u32 v19, v17, s16
	v_dual_add_nc_u32 v18, v17, v18 :: v_dual_sub_nc_u32 v19, v16, v19
	s_delay_alu instid0(VALU_DEP_1) | instskip(SKIP_1) | instid1(VALU_DEP_2)
	v_lshrrev_b32_e32 v16, s15, v18
	s_load_b64 s[14:15], s[0:1], 0xfc
	v_mad_u32 v12, v19, s7, v12
	v_mad_u32 v13, v19, s9, v13
	;; [unrolled: 1-line block ×3, first 2 shown]
	v_mul_lo_u32 v18, v16, s19
	s_wait_xcnt 0x0
	s_add_nc_u64 s[0:1], s[0:1], 32
	s_delay_alu instid0(VALU_DEP_1) | instskip(NEXT) | instid1(VALU_DEP_1)
	v_sub_nc_u32_e32 v17, v17, v18
	v_mad_u32 v12, v17, s10, v12
	s_wait_kmcnt 0x0
	v_mad_u32 v13, v17, s15, v13
	v_mad_u32 v14, v17, s14, v14
	s_cbranch_scc1 .LBB181_144
; %bb.145:
	s_bitcmp1_b32 s5, 0
	s_cselect_b32 s5, -1, 0
	s_delay_alu instid0(SALU_CYCLE_1)
	s_and_b32 vcc_lo, exec_lo, s5
	s_cbranch_vccnz .LBB181_148
; %bb.146:
	s_load_b96 s[8:10], s[2:3], 0x4
	s_load_b32 s5, s[0:1], 0xe4
	s_wait_xcnt 0x0
	s_load_b64 s[2:3], s[0:1], 0xec
	s_wait_kmcnt 0x0
	v_mul_hi_u32 v17, s9, v16
	s_delay_alu instid0(VALU_DEP_1) | instskip(NEXT) | instid1(VALU_DEP_1)
	v_add_nc_u32_e32 v17, v16, v17
	v_lshrrev_b32_e32 v17, s10, v17
	s_delay_alu instid0(VALU_DEP_1) | instskip(NEXT) | instid1(VALU_DEP_1)
	v_mul_lo_u32 v17, v17, s8
	v_sub_nc_u32_e32 v16, v16, v17
	s_delay_alu instid0(VALU_DEP_1)
	v_mad_u32 v12, v16, s5, v12
	v_mad_u32 v14, v16, s2, v14
	;; [unrolled: 1-line block ×3, first 2 shown]
	s_and_not1_b32 vcc_lo, exec_lo, s4
	s_cbranch_vccz .LBB181_149
	s_branch .LBB181_152
.LBB181_147:
	s_mov_b32 s4, -1
                                        ; implicit-def: $vgpr13
                                        ; implicit-def: $vgpr14
                                        ; implicit-def: $vgpr12
.LBB181_148:
	s_delay_alu instid0(SALU_CYCLE_1)
	s_and_not1_b32 vcc_lo, exec_lo, s4
	s_cbranch_vccnz .LBB181_152
.LBB181_149:
	s_clause 0x2
	s_load_b96 s[0:2], s[12:13], 0x4
	s_load_b32 s3, s[12:13], 0xc4
	s_load_b64 s[4:5], s[12:13], 0xcc
	s_cmp_lt_u32 s11, 2
	s_wait_kmcnt 0x0
	v_mul_hi_u32 v12, s1, v15
	s_delay_alu instid0(VALU_DEP_1) | instskip(NEXT) | instid1(VALU_DEP_1)
	v_add_nc_u32_e32 v12, v15, v12
	v_lshrrev_b32_e32 v16, s2, v12
	s_delay_alu instid0(VALU_DEP_1) | instskip(NEXT) | instid1(VALU_DEP_1)
	v_mul_lo_u32 v12, v16, s0
	v_sub_nc_u32_e32 v14, v15, v12
	s_delay_alu instid0(VALU_DEP_1)
	v_mul_lo_u32 v12, v14, s3
	v_mul_lo_u32 v13, v14, s5
	;; [unrolled: 1-line block ×3, first 2 shown]
	s_cbranch_scc1 .LBB181_152
; %bb.150:
	s_clause 0x2
	s_load_b96 s[0:2], s[12:13], 0x10
	s_load_b32 s3, s[12:13], 0xd4
	s_load_b64 s[4:5], s[12:13], 0xdc
	s_wait_kmcnt 0x0
	v_mul_hi_u32 v15, s1, v16
	s_delay_alu instid0(VALU_DEP_1) | instskip(NEXT) | instid1(VALU_DEP_1)
	v_add_nc_u32_e32 v15, v16, v15
	v_lshrrev_b32_e32 v15, s2, v15
	s_delay_alu instid0(VALU_DEP_1) | instskip(NEXT) | instid1(VALU_DEP_1)
	v_mul_lo_u32 v15, v15, s0
	v_sub_nc_u32_e32 v15, v16, v15
	s_delay_alu instid0(VALU_DEP_1)
	v_mad_u32 v12, v15, s3, v12
	v_mad_u32 v14, v15, s4, v14
	;; [unrolled: 1-line block ×3, first 2 shown]
	s_branch .LBB181_152
.LBB181_151:
	v_dual_mov_b32 v13, 0 :: v_dual_mov_b32 v14, 0
	v_mov_b32_e32 v12, 0
	s_and_not1_b32 vcc_lo, exec_lo, s4
	s_cbranch_vccz .LBB181_149
.LBB181_152:
	v_cmp_ne_u32_e32 vcc_lo, 1, v7
	v_add_nc_u32_e32 v18, 0x200, v0
	s_cbranch_vccnz .LBB181_158
; %bb.153:
	s_cmp_lg_u32 s11, 0
	s_mov_b32 s4, 0
	s_cbranch_scc0 .LBB181_162
; %bb.154:
	s_min_u32 s5, s28, 15
	v_dual_mov_b32 v15, 0 :: v_dual_mov_b32 v19, v18
	v_dual_mov_b32 v17, 0 :: v_dual_mov_b32 v16, 0
	s_add_co_i32 s2, s5, 1
	s_mov_b64 s[0:1], 0xffffffffffffffe0
	s_and_b32 s6, s2, 30
	s_add_nc_u64 s[0:1], s[12:13], s[0:1]
	s_mov_b64 s[2:3], s[12:13]
.LBB181_155:                            ; =>This Inner Loop Header: Depth=1
	s_clause 0x1
	s_load_b128 s[16:19], s[2:3], 0x4
	s_load_b64 s[14:15], s[2:3], 0x14
	s_clause 0x1
	s_load_b32 s7, s[0:1], 0xe4
	s_load_b96 s[8:10], s[0:1], 0xec
	s_add_co_i32 s6, s6, -2
	s_wait_xcnt 0x0
	s_add_nc_u64 s[2:3], s[2:3], 24
	s_cmp_lg_u32 s6, 0
	s_wait_kmcnt 0x0
	v_mul_hi_u32 v20, s17, v19
	s_delay_alu instid0(VALU_DEP_1) | instskip(NEXT) | instid1(VALU_DEP_1)
	v_add_nc_u32_e32 v20, v19, v20
	v_lshrrev_b32_e32 v20, s18, v20
	s_delay_alu instid0(VALU_DEP_1) | instskip(SKIP_1) | instid1(VALU_DEP_1)
	v_mul_hi_u32 v21, s14, v20
	v_mul_lo_u32 v22, v20, s16
	v_dual_add_nc_u32 v21, v20, v21 :: v_dual_sub_nc_u32 v22, v19, v22
	s_delay_alu instid0(VALU_DEP_1) | instskip(SKIP_1) | instid1(VALU_DEP_2)
	v_lshrrev_b32_e32 v19, s15, v21
	s_load_b64 s[14:15], s[0:1], 0xfc
	v_mad_u32 v15, v22, s7, v15
	v_mad_u32 v16, v22, s9, v16
	;; [unrolled: 1-line block ×3, first 2 shown]
	v_mul_lo_u32 v21, v19, s19
	s_wait_xcnt 0x0
	s_add_nc_u64 s[0:1], s[0:1], 32
	s_delay_alu instid0(VALU_DEP_1) | instskip(NEXT) | instid1(VALU_DEP_1)
	v_sub_nc_u32_e32 v20, v20, v21
	v_mad_u32 v15, v20, s10, v15
	s_wait_kmcnt 0x0
	v_mad_u32 v16, v20, s15, v16
	v_mad_u32 v17, v20, s14, v17
	s_cbranch_scc1 .LBB181_155
; %bb.156:
	s_bitcmp1_b32 s5, 0
	s_cselect_b32 s5, -1, 0
	s_delay_alu instid0(SALU_CYCLE_1)
	s_and_b32 vcc_lo, exec_lo, s5
	s_cbranch_vccnz .LBB181_159
; %bb.157:
	s_load_b96 s[8:10], s[2:3], 0x4
	s_load_b32 s5, s[0:1], 0xe4
	s_wait_xcnt 0x0
	s_load_b64 s[2:3], s[0:1], 0xec
	s_wait_kmcnt 0x0
	v_mul_hi_u32 v20, s9, v19
	s_delay_alu instid0(VALU_DEP_1) | instskip(NEXT) | instid1(VALU_DEP_1)
	v_add_nc_u32_e32 v20, v19, v20
	v_lshrrev_b32_e32 v20, s10, v20
	s_delay_alu instid0(VALU_DEP_1) | instskip(NEXT) | instid1(VALU_DEP_1)
	v_mul_lo_u32 v20, v20, s8
	v_sub_nc_u32_e32 v19, v19, v20
	s_delay_alu instid0(VALU_DEP_1)
	v_mad_u32 v15, v19, s5, v15
	v_mad_u32 v17, v19, s2, v17
	v_mad_u32 v16, v19, s3, v16
	s_and_not1_b32 vcc_lo, exec_lo, s4
	s_cbranch_vccz .LBB181_160
	s_branch .LBB181_163
.LBB181_158:
	s_mov_b32 s4, -1
                                        ; implicit-def: $vgpr16
                                        ; implicit-def: $vgpr17
                                        ; implicit-def: $vgpr15
.LBB181_159:
	s_delay_alu instid0(SALU_CYCLE_1)
	s_and_not1_b32 vcc_lo, exec_lo, s4
	s_cbranch_vccnz .LBB181_163
.LBB181_160:
	s_clause 0x2
	s_load_b96 s[0:2], s[12:13], 0x4
	s_load_b32 s3, s[12:13], 0xc4
	s_load_b64 s[4:5], s[12:13], 0xcc
	s_cmp_lt_u32 s11, 2
	s_wait_kmcnt 0x0
	v_mul_hi_u32 v15, s1, v18
	s_delay_alu instid0(VALU_DEP_1) | instskip(NEXT) | instid1(VALU_DEP_1)
	v_add_nc_u32_e32 v15, v18, v15
	v_lshrrev_b32_e32 v19, s2, v15
	s_delay_alu instid0(VALU_DEP_1) | instskip(NEXT) | instid1(VALU_DEP_1)
	v_mul_lo_u32 v15, v19, s0
	v_sub_nc_u32_e32 v17, v18, v15
	s_delay_alu instid0(VALU_DEP_1)
	v_mul_lo_u32 v15, v17, s3
	v_mul_lo_u32 v16, v17, s5
	;; [unrolled: 1-line block ×3, first 2 shown]
	s_cbranch_scc1 .LBB181_163
; %bb.161:
	s_clause 0x2
	s_load_b96 s[0:2], s[12:13], 0x10
	s_load_b32 s3, s[12:13], 0xd4
	s_load_b64 s[4:5], s[12:13], 0xdc
	s_wait_kmcnt 0x0
	v_mul_hi_u32 v18, s1, v19
	s_delay_alu instid0(VALU_DEP_1) | instskip(NEXT) | instid1(VALU_DEP_1)
	v_add_nc_u32_e32 v18, v19, v18
	v_lshrrev_b32_e32 v18, s2, v18
	s_delay_alu instid0(VALU_DEP_1) | instskip(NEXT) | instid1(VALU_DEP_1)
	v_mul_lo_u32 v18, v18, s0
	v_sub_nc_u32_e32 v18, v19, v18
	s_delay_alu instid0(VALU_DEP_1)
	v_mad_u32 v15, v18, s3, v15
	v_mad_u32 v17, v18, s4, v17
	;; [unrolled: 1-line block ×3, first 2 shown]
	s_branch .LBB181_163
.LBB181_162:
	v_dual_mov_b32 v16, 0 :: v_dual_mov_b32 v17, 0
	v_mov_b32_e32 v15, 0
	s_and_not1_b32 vcc_lo, exec_lo, s4
	s_cbranch_vccz .LBB181_160
.LBB181_163:
	v_cmp_ne_u32_e32 vcc_lo, 1, v7
	v_add_nc_u32_e32 v21, 0x280, v0
	s_cbranch_vccnz .LBB181_169
; %bb.164:
	s_cmp_lg_u32 s11, 0
	s_mov_b32 s4, 0
	s_cbranch_scc0 .LBB181_173
; %bb.165:
	s_min_u32 s5, s28, 15
	v_dual_mov_b32 v18, 0 :: v_dual_mov_b32 v22, v21
	v_dual_mov_b32 v19, 0 :: v_dual_mov_b32 v20, 0
	s_add_co_i32 s2, s5, 1
	s_mov_b64 s[0:1], 0xffffffffffffffe0
	s_and_b32 s6, s2, 30
	s_add_nc_u64 s[0:1], s[12:13], s[0:1]
	s_mov_b64 s[2:3], s[12:13]
.LBB181_166:                            ; =>This Inner Loop Header: Depth=1
	s_clause 0x1
	s_load_b128 s[16:19], s[2:3], 0x4
	s_load_b64 s[14:15], s[2:3], 0x14
	s_clause 0x1
	s_load_b32 s7, s[0:1], 0xe4
	s_load_b96 s[8:10], s[0:1], 0xec
	s_add_co_i32 s6, s6, -2
	s_wait_xcnt 0x0
	s_add_nc_u64 s[2:3], s[2:3], 24
	s_cmp_lg_u32 s6, 0
	s_wait_kmcnt 0x0
	v_mul_hi_u32 v23, s17, v22
	s_delay_alu instid0(VALU_DEP_1) | instskip(NEXT) | instid1(VALU_DEP_1)
	v_add_nc_u32_e32 v23, v22, v23
	v_lshrrev_b32_e32 v23, s18, v23
	s_delay_alu instid0(VALU_DEP_1) | instskip(SKIP_1) | instid1(VALU_DEP_1)
	v_mul_hi_u32 v24, s14, v23
	v_mul_lo_u32 v25, v23, s16
	v_dual_add_nc_u32 v24, v23, v24 :: v_dual_sub_nc_u32 v25, v22, v25
	s_delay_alu instid0(VALU_DEP_1) | instskip(SKIP_1) | instid1(VALU_DEP_2)
	v_lshrrev_b32_e32 v22, s15, v24
	s_load_b64 s[14:15], s[0:1], 0xfc
	v_mad_u32 v18, v25, s7, v18
	v_mad_u32 v20, v25, s9, v20
	;; [unrolled: 1-line block ×3, first 2 shown]
	v_mul_lo_u32 v24, v22, s19
	s_wait_xcnt 0x0
	s_add_nc_u64 s[0:1], s[0:1], 32
	s_delay_alu instid0(VALU_DEP_1) | instskip(NEXT) | instid1(VALU_DEP_1)
	v_sub_nc_u32_e32 v23, v23, v24
	v_mad_u32 v18, v23, s10, v18
	s_wait_kmcnt 0x0
	v_mad_u32 v20, v23, s15, v20
	v_mad_u32 v19, v23, s14, v19
	s_cbranch_scc1 .LBB181_166
; %bb.167:
	s_bitcmp1_b32 s5, 0
	s_cselect_b32 s5, -1, 0
	s_delay_alu instid0(SALU_CYCLE_1)
	s_and_b32 vcc_lo, exec_lo, s5
	s_cbranch_vccnz .LBB181_170
; %bb.168:
	s_load_b96 s[8:10], s[2:3], 0x4
	s_load_b32 s5, s[0:1], 0xe4
	s_wait_xcnt 0x0
	s_load_b64 s[2:3], s[0:1], 0xec
	s_wait_kmcnt 0x0
	v_mul_hi_u32 v23, s9, v22
	s_delay_alu instid0(VALU_DEP_1) | instskip(NEXT) | instid1(VALU_DEP_1)
	v_add_nc_u32_e32 v23, v22, v23
	v_lshrrev_b32_e32 v23, s10, v23
	s_delay_alu instid0(VALU_DEP_1) | instskip(NEXT) | instid1(VALU_DEP_1)
	v_mul_lo_u32 v23, v23, s8
	v_sub_nc_u32_e32 v22, v22, v23
	s_delay_alu instid0(VALU_DEP_1)
	v_mad_u32 v18, v22, s5, v18
	v_mad_u32 v19, v22, s2, v19
	v_mad_u32 v20, v22, s3, v20
	s_and_not1_b32 vcc_lo, exec_lo, s4
	s_cbranch_vccz .LBB181_171
	s_branch .LBB181_174
.LBB181_169:
	s_mov_b32 s4, -1
                                        ; implicit-def: $vgpr20
                                        ; implicit-def: $vgpr19
                                        ; implicit-def: $vgpr18
.LBB181_170:
	s_delay_alu instid0(SALU_CYCLE_1)
	s_and_not1_b32 vcc_lo, exec_lo, s4
	s_cbranch_vccnz .LBB181_174
.LBB181_171:
	s_clause 0x2
	s_load_b96 s[0:2], s[12:13], 0x4
	s_load_b32 s3, s[12:13], 0xc4
	s_load_b64 s[4:5], s[12:13], 0xcc
	s_cmp_lt_u32 s11, 2
	s_wait_kmcnt 0x0
	v_mul_hi_u32 v18, s1, v21
	s_delay_alu instid0(VALU_DEP_1) | instskip(NEXT) | instid1(VALU_DEP_1)
	v_add_nc_u32_e32 v18, v21, v18
	v_lshrrev_b32_e32 v22, s2, v18
	s_delay_alu instid0(VALU_DEP_1) | instskip(NEXT) | instid1(VALU_DEP_1)
	v_mul_lo_u32 v18, v22, s0
	v_sub_nc_u32_e32 v19, v21, v18
	s_delay_alu instid0(VALU_DEP_1)
	v_mul_lo_u32 v18, v19, s3
	v_mul_lo_u32 v20, v19, s5
	;; [unrolled: 1-line block ×3, first 2 shown]
	s_cbranch_scc1 .LBB181_174
; %bb.172:
	s_clause 0x2
	s_load_b96 s[0:2], s[12:13], 0x10
	s_load_b32 s3, s[12:13], 0xd4
	s_load_b64 s[4:5], s[12:13], 0xdc
	s_wait_kmcnt 0x0
	v_mul_hi_u32 v21, s1, v22
	s_delay_alu instid0(VALU_DEP_1) | instskip(NEXT) | instid1(VALU_DEP_1)
	v_add_nc_u32_e32 v21, v22, v21
	v_lshrrev_b32_e32 v21, s2, v21
	s_delay_alu instid0(VALU_DEP_1) | instskip(NEXT) | instid1(VALU_DEP_1)
	v_mul_lo_u32 v21, v21, s0
	v_sub_nc_u32_e32 v21, v22, v21
	s_delay_alu instid0(VALU_DEP_1)
	v_mad_u32 v18, v21, s3, v18
	v_mad_u32 v19, v21, s4, v19
	;; [unrolled: 1-line block ×3, first 2 shown]
	s_branch .LBB181_174
.LBB181_173:
	v_dual_mov_b32 v20, 0 :: v_dual_mov_b32 v19, 0
	v_mov_b32_e32 v18, 0
	s_and_not1_b32 vcc_lo, exec_lo, s4
	s_cbranch_vccz .LBB181_171
.LBB181_174:
	v_cmp_ne_u32_e32 vcc_lo, 1, v7
	v_add_nc_u32_e32 v23, 0x300, v0
	s_cbranch_vccnz .LBB181_180
; %bb.175:
	s_cmp_lg_u32 s11, 0
	s_mov_b32 s4, 0
	s_cbranch_scc0 .LBB181_184
; %bb.176:
	s_min_u32 s5, s28, 15
	v_dual_mov_b32 v0, 0 :: v_dual_mov_b32 v24, v23
	v_dual_mov_b32 v22, 0 :: v_dual_mov_b32 v21, 0
	s_add_co_i32 s2, s5, 1
	s_mov_b64 s[0:1], 0xffffffffffffffe0
	s_and_b32 s6, s2, 30
	s_add_nc_u64 s[0:1], s[12:13], s[0:1]
	s_mov_b64 s[2:3], s[12:13]
.LBB181_177:                            ; =>This Inner Loop Header: Depth=1
	s_clause 0x1
	s_load_b128 s[16:19], s[2:3], 0x4
	s_load_b64 s[14:15], s[2:3], 0x14
	s_clause 0x1
	s_load_b32 s7, s[0:1], 0xe4
	s_load_b96 s[8:10], s[0:1], 0xec
	s_add_co_i32 s6, s6, -2
	s_wait_xcnt 0x0
	s_add_nc_u64 s[2:3], s[2:3], 24
	s_cmp_lg_u32 s6, 0
	s_wait_kmcnt 0x0
	v_mul_hi_u32 v25, s17, v24
	s_delay_alu instid0(VALU_DEP_1) | instskip(NEXT) | instid1(VALU_DEP_1)
	v_add_nc_u32_e32 v25, v24, v25
	v_lshrrev_b32_e32 v25, s18, v25
	s_delay_alu instid0(VALU_DEP_1) | instskip(SKIP_1) | instid1(VALU_DEP_1)
	v_mul_hi_u32 v26, s14, v25
	v_mul_lo_u32 v27, v25, s16
	v_dual_add_nc_u32 v26, v25, v26 :: v_dual_sub_nc_u32 v27, v24, v27
	s_delay_alu instid0(VALU_DEP_1) | instskip(SKIP_1) | instid1(VALU_DEP_2)
	v_lshrrev_b32_e32 v24, s15, v26
	s_load_b64 s[14:15], s[0:1], 0xfc
	v_mad_u32 v0, v27, s7, v0
	v_mad_u32 v21, v27, s9, v21
	;; [unrolled: 1-line block ×3, first 2 shown]
	v_mul_lo_u32 v26, v24, s19
	s_wait_xcnt 0x0
	s_add_nc_u64 s[0:1], s[0:1], 32
	s_delay_alu instid0(VALU_DEP_1) | instskip(NEXT) | instid1(VALU_DEP_1)
	v_sub_nc_u32_e32 v25, v25, v26
	v_mad_u32 v0, v25, s10, v0
	s_wait_kmcnt 0x0
	v_mad_u32 v21, v25, s15, v21
	v_mad_u32 v22, v25, s14, v22
	s_cbranch_scc1 .LBB181_177
; %bb.178:
	s_bitcmp1_b32 s5, 0
	s_cselect_b32 s5, -1, 0
	s_delay_alu instid0(SALU_CYCLE_1)
	s_and_b32 vcc_lo, exec_lo, s5
	s_cbranch_vccnz .LBB181_181
; %bb.179:
	s_load_b96 s[8:10], s[2:3], 0x4
	s_load_b32 s5, s[0:1], 0xe4
	s_wait_xcnt 0x0
	s_load_b64 s[2:3], s[0:1], 0xec
	s_wait_kmcnt 0x0
	v_mul_hi_u32 v25, s9, v24
	s_delay_alu instid0(VALU_DEP_1) | instskip(NEXT) | instid1(VALU_DEP_1)
	v_add_nc_u32_e32 v25, v24, v25
	v_lshrrev_b32_e32 v25, s10, v25
	s_delay_alu instid0(VALU_DEP_1) | instskip(NEXT) | instid1(VALU_DEP_1)
	v_mul_lo_u32 v25, v25, s8
	v_sub_nc_u32_e32 v24, v24, v25
	s_delay_alu instid0(VALU_DEP_1)
	v_mad_u32 v0, v24, s5, v0
	v_mad_u32 v22, v24, s2, v22
	;; [unrolled: 1-line block ×3, first 2 shown]
	s_and_not1_b32 vcc_lo, exec_lo, s4
	s_cbranch_vccz .LBB181_182
	s_branch .LBB181_185
.LBB181_180:
	s_mov_b32 s4, -1
                                        ; implicit-def: $vgpr21
                                        ; implicit-def: $vgpr22
                                        ; implicit-def: $vgpr0
.LBB181_181:
	s_delay_alu instid0(SALU_CYCLE_1)
	s_and_not1_b32 vcc_lo, exec_lo, s4
	s_cbranch_vccnz .LBB181_185
.LBB181_182:
	s_clause 0x2
	s_load_b96 s[0:2], s[12:13], 0x4
	s_load_b32 s3, s[12:13], 0xc4
	s_load_b64 s[4:5], s[12:13], 0xcc
	s_cmp_lt_u32 s11, 2
	s_wait_kmcnt 0x0
	v_mul_hi_u32 v0, s1, v23
	s_delay_alu instid0(VALU_DEP_1) | instskip(NEXT) | instid1(VALU_DEP_1)
	v_add_nc_u32_e32 v0, v23, v0
	v_lshrrev_b32_e32 v24, s2, v0
	s_delay_alu instid0(VALU_DEP_1) | instskip(NEXT) | instid1(VALU_DEP_1)
	v_mul_lo_u32 v0, v24, s0
	v_sub_nc_u32_e32 v22, v23, v0
	s_delay_alu instid0(VALU_DEP_1)
	v_mul_lo_u32 v0, v22, s3
	v_mul_lo_u32 v21, v22, s5
	;; [unrolled: 1-line block ×3, first 2 shown]
	s_cbranch_scc1 .LBB181_185
; %bb.183:
	s_clause 0x2
	s_load_b96 s[0:2], s[12:13], 0x10
	s_load_b32 s3, s[12:13], 0xd4
	s_load_b64 s[4:5], s[12:13], 0xdc
	s_wait_kmcnt 0x0
	v_mul_hi_u32 v23, s1, v24
	s_delay_alu instid0(VALU_DEP_1) | instskip(NEXT) | instid1(VALU_DEP_1)
	v_add_nc_u32_e32 v23, v24, v23
	v_lshrrev_b32_e32 v23, s2, v23
	s_delay_alu instid0(VALU_DEP_1) | instskip(NEXT) | instid1(VALU_DEP_1)
	v_mul_lo_u32 v23, v23, s0
	v_sub_nc_u32_e32 v23, v24, v23
	s_delay_alu instid0(VALU_DEP_1)
	v_mad_u32 v0, v23, s3, v0
	v_mad_u32 v22, v23, s4, v22
	;; [unrolled: 1-line block ×3, first 2 shown]
	s_branch .LBB181_185
.LBB181_184:
	v_dual_mov_b32 v21, 0 :: v_dual_mov_b32 v22, 0
	v_mov_b32_e32 v0, 0
	s_and_not1_b32 vcc_lo, exec_lo, s4
	s_cbranch_vccz .LBB181_182
.LBB181_185:
	v_cmp_ne_u32_e32 vcc_lo, 1, v7
	s_cbranch_vccnz .LBB181_191
; %bb.186:
	s_cmp_lg_u32 s11, 0
	s_mov_b32 s4, 0
	s_cbranch_scc0 .LBB181_195
; %bb.187:
	s_min_u32 s5, s28, 15
	v_dual_mov_b32 v7, 0 :: v_dual_mov_b32 v25, v4
	v_dual_mov_b32 v24, 0 :: v_dual_mov_b32 v23, 0
	s_add_co_i32 s2, s5, 1
	s_mov_b64 s[0:1], 0xffffffffffffffe0
	s_and_b32 s6, s2, 30
	s_add_nc_u64 s[0:1], s[12:13], s[0:1]
	s_mov_b64 s[2:3], s[12:13]
.LBB181_188:                            ; =>This Inner Loop Header: Depth=1
	s_clause 0x1
	s_load_b128 s[16:19], s[2:3], 0x4
	s_load_b64 s[14:15], s[2:3], 0x14
	s_clause 0x1
	s_load_b32 s7, s[0:1], 0xe4
	s_load_b96 s[8:10], s[0:1], 0xec
	s_add_co_i32 s6, s6, -2
	s_wait_xcnt 0x0
	s_add_nc_u64 s[2:3], s[2:3], 24
	s_cmp_lg_u32 s6, 0
	s_wait_kmcnt 0x0
	v_mul_hi_u32 v26, s17, v25
	s_delay_alu instid0(VALU_DEP_1) | instskip(NEXT) | instid1(VALU_DEP_1)
	v_add_nc_u32_e32 v26, v25, v26
	v_lshrrev_b32_e32 v26, s18, v26
	s_delay_alu instid0(VALU_DEP_1) | instskip(SKIP_1) | instid1(VALU_DEP_1)
	v_mul_hi_u32 v27, s14, v26
	v_mul_lo_u32 v28, v26, s16
	v_dual_add_nc_u32 v27, v26, v27 :: v_dual_sub_nc_u32 v28, v25, v28
	s_delay_alu instid0(VALU_DEP_1) | instskip(SKIP_1) | instid1(VALU_DEP_2)
	v_lshrrev_b32_e32 v25, s15, v27
	s_load_b64 s[14:15], s[0:1], 0xfc
	v_mad_u32 v7, v28, s7, v7
	v_mad_u32 v23, v28, s9, v23
	;; [unrolled: 1-line block ×3, first 2 shown]
	v_mul_lo_u32 v27, v25, s19
	s_wait_xcnt 0x0
	s_add_nc_u64 s[0:1], s[0:1], 32
	s_delay_alu instid0(VALU_DEP_1) | instskip(NEXT) | instid1(VALU_DEP_1)
	v_sub_nc_u32_e32 v26, v26, v27
	v_mad_u32 v7, v26, s10, v7
	s_wait_kmcnt 0x0
	v_mad_u32 v23, v26, s15, v23
	v_mad_u32 v24, v26, s14, v24
	s_cbranch_scc1 .LBB181_188
; %bb.189:
	s_bitcmp1_b32 s5, 0
	s_cselect_b32 s5, -1, 0
	s_delay_alu instid0(SALU_CYCLE_1)
	s_and_b32 vcc_lo, exec_lo, s5
	s_cbranch_vccnz .LBB181_192
; %bb.190:
	s_load_b96 s[8:10], s[2:3], 0x4
	s_load_b32 s5, s[0:1], 0xe4
	s_wait_xcnt 0x0
	s_load_b64 s[2:3], s[0:1], 0xec
	s_wait_kmcnt 0x0
	v_mul_hi_u32 v26, s9, v25
	s_delay_alu instid0(VALU_DEP_1) | instskip(NEXT) | instid1(VALU_DEP_1)
	v_add_nc_u32_e32 v26, v25, v26
	v_lshrrev_b32_e32 v26, s10, v26
	s_delay_alu instid0(VALU_DEP_1) | instskip(NEXT) | instid1(VALU_DEP_1)
	v_mul_lo_u32 v26, v26, s8
	v_sub_nc_u32_e32 v25, v25, v26
	s_delay_alu instid0(VALU_DEP_1)
	v_mad_u32 v7, v25, s5, v7
	v_mad_u32 v24, v25, s2, v24
	v_mad_u32 v23, v25, s3, v23
	s_and_not1_b32 vcc_lo, exec_lo, s4
	s_cbranch_vccz .LBB181_193
	s_branch .LBB181_196
.LBB181_191:
	s_mov_b32 s4, -1
                                        ; implicit-def: $vgpr23
                                        ; implicit-def: $vgpr24
                                        ; implicit-def: $vgpr7
.LBB181_192:
	s_delay_alu instid0(SALU_CYCLE_1)
	s_and_not1_b32 vcc_lo, exec_lo, s4
	s_cbranch_vccnz .LBB181_196
.LBB181_193:
	s_clause 0x2
	s_load_b96 s[0:2], s[12:13], 0x4
	s_load_b32 s3, s[12:13], 0xc4
	s_load_b64 s[4:5], s[12:13], 0xcc
	s_cmp_lt_u32 s11, 2
	s_wait_kmcnt 0x0
	v_mul_hi_u32 v7, s1, v4
	s_delay_alu instid0(VALU_DEP_1) | instskip(NEXT) | instid1(VALU_DEP_1)
	v_add_nc_u32_e32 v7, v4, v7
	v_lshrrev_b32_e32 v25, s2, v7
	s_delay_alu instid0(VALU_DEP_1) | instskip(NEXT) | instid1(VALU_DEP_1)
	v_mul_lo_u32 v7, v25, s0
	v_sub_nc_u32_e32 v4, v4, v7
	s_delay_alu instid0(VALU_DEP_1)
	v_mul_lo_u32 v7, v4, s3
	v_mul_lo_u32 v23, v4, s5
	;; [unrolled: 1-line block ×3, first 2 shown]
	s_cbranch_scc1 .LBB181_196
; %bb.194:
	s_clause 0x2
	s_load_b96 s[0:2], s[12:13], 0x10
	s_load_b32 s3, s[12:13], 0xd4
	s_load_b64 s[4:5], s[12:13], 0xdc
	s_wait_kmcnt 0x0
	v_mul_hi_u32 v4, s1, v25
	s_delay_alu instid0(VALU_DEP_1) | instskip(NEXT) | instid1(VALU_DEP_1)
	v_add_nc_u32_e32 v4, v25, v4
	v_lshrrev_b32_e32 v4, s2, v4
	s_delay_alu instid0(VALU_DEP_1) | instskip(NEXT) | instid1(VALU_DEP_1)
	v_mul_lo_u32 v4, v4, s0
	v_sub_nc_u32_e32 v4, v25, v4
	s_delay_alu instid0(VALU_DEP_1)
	v_mad_u32 v7, v4, s3, v7
	v_mad_u32 v24, v4, s4, v24
	;; [unrolled: 1-line block ×3, first 2 shown]
	s_branch .LBB181_196
.LBB181_195:
	v_dual_mov_b32 v23, 0 :: v_dual_mov_b32 v24, 0
	v_mov_b32_e32 v7, 0
	s_and_not1_b32 vcc_lo, exec_lo, s4
	s_cbranch_vccz .LBB181_193
.LBB181_196:
	s_load_b128 s[0:3], s[12:13], 0x1d8
	s_wait_kmcnt 0x0
	s_clause 0x7
	global_load_u16 v4, v3, s[0:1]
	global_load_u16 v25, v8, s[0:1]
	;; [unrolled: 1-line block ×8, first 2 shown]
	s_clause 0x7
	global_load_u16 v32, v2, s[2:3]
	global_load_u16 v33, v6, s[2:3]
	;; [unrolled: 1-line block ×7, first 2 shown]
	; meta instruction
	; meta instruction
	;; [unrolled: 1-line block ×16, first 2 shown]
	global_load_u16 v2, v23, s[2:3]
	s_wait_xcnt 0x0
	s_clause 0x1
	s_load_b32 s2, s[12:13], 0x1e8
	s_load_b64 s[0:1], s[12:13], 0x1c8
	s_wait_loadcnt 0xf
	s_wait_kmcnt 0x0
	v_mul_f16_e32 v3, s2, v4
	s_wait_loadcnt 0xe
	v_mul_f16_e32 v4, s2, v25
	s_wait_loadcnt 0xd
	;; [unrolled: 2-line block ×15, first 2 shown]
	v_mul_f16_e32 v2, v14, v2
	s_clause 0x7
	global_store_b16 v1, v3, s[0:1]
	global_store_b16 v5, v4, s[0:1]
	;; [unrolled: 1-line block ×8, first 2 shown]
	s_endpgm
	.section	.rodata,"a",@progbits
	.p2align	6, 0x0
	.amdhsa_kernel _ZN2at6native32elementwise_kernel_manual_unrollILi128ELi8EZNS0_22gpu_kernel_impl_nocastIZZZNS0_12_GLOBAL__N_116addr_kernel_cudaERNS_14TensorIteratorERKN3c106ScalarES9_ENKUlvE_clEvENKUlvE9_clEvEUlNS6_4HalfESC_SC_E_EEvRNS_18TensorIteratorBaseERKT_EUlibE_EEviT1_
		.amdhsa_group_segment_fixed_size 0
		.amdhsa_private_segment_fixed_size 0
		.amdhsa_kernarg_size 504
		.amdhsa_user_sgpr_count 2
		.amdhsa_user_sgpr_dispatch_ptr 0
		.amdhsa_user_sgpr_queue_ptr 0
		.amdhsa_user_sgpr_kernarg_segment_ptr 1
		.amdhsa_user_sgpr_dispatch_id 0
		.amdhsa_user_sgpr_kernarg_preload_length 0
		.amdhsa_user_sgpr_kernarg_preload_offset 0
		.amdhsa_user_sgpr_private_segment_size 0
		.amdhsa_wavefront_size32 1
		.amdhsa_uses_dynamic_stack 0
		.amdhsa_enable_private_segment 0
		.amdhsa_system_sgpr_workgroup_id_x 1
		.amdhsa_system_sgpr_workgroup_id_y 0
		.amdhsa_system_sgpr_workgroup_id_z 0
		.amdhsa_system_sgpr_workgroup_info 0
		.amdhsa_system_vgpr_workitem_id 0
		.amdhsa_next_free_vgpr 39
		.amdhsa_next_free_sgpr 45
		.amdhsa_named_barrier_count 0
		.amdhsa_reserve_vcc 1
		.amdhsa_float_round_mode_32 0
		.amdhsa_float_round_mode_16_64 0
		.amdhsa_float_denorm_mode_32 3
		.amdhsa_float_denorm_mode_16_64 3
		.amdhsa_fp16_overflow 0
		.amdhsa_memory_ordered 1
		.amdhsa_forward_progress 1
		.amdhsa_inst_pref_size 87
		.amdhsa_round_robin_scheduling 0
		.amdhsa_exception_fp_ieee_invalid_op 0
		.amdhsa_exception_fp_denorm_src 0
		.amdhsa_exception_fp_ieee_div_zero 0
		.amdhsa_exception_fp_ieee_overflow 0
		.amdhsa_exception_fp_ieee_underflow 0
		.amdhsa_exception_fp_ieee_inexact 0
		.amdhsa_exception_int_div_zero 0
	.end_amdhsa_kernel
	.section	.text._ZN2at6native32elementwise_kernel_manual_unrollILi128ELi8EZNS0_22gpu_kernel_impl_nocastIZZZNS0_12_GLOBAL__N_116addr_kernel_cudaERNS_14TensorIteratorERKN3c106ScalarES9_ENKUlvE_clEvENKUlvE9_clEvEUlNS6_4HalfESC_SC_E_EEvRNS_18TensorIteratorBaseERKT_EUlibE_EEviT1_,"axG",@progbits,_ZN2at6native32elementwise_kernel_manual_unrollILi128ELi8EZNS0_22gpu_kernel_impl_nocastIZZZNS0_12_GLOBAL__N_116addr_kernel_cudaERNS_14TensorIteratorERKN3c106ScalarES9_ENKUlvE_clEvENKUlvE9_clEvEUlNS6_4HalfESC_SC_E_EEvRNS_18TensorIteratorBaseERKT_EUlibE_EEviT1_,comdat
.Lfunc_end181:
	.size	_ZN2at6native32elementwise_kernel_manual_unrollILi128ELi8EZNS0_22gpu_kernel_impl_nocastIZZZNS0_12_GLOBAL__N_116addr_kernel_cudaERNS_14TensorIteratorERKN3c106ScalarES9_ENKUlvE_clEvENKUlvE9_clEvEUlNS6_4HalfESC_SC_E_EEvRNS_18TensorIteratorBaseERKT_EUlibE_EEviT1_, .Lfunc_end181-_ZN2at6native32elementwise_kernel_manual_unrollILi128ELi8EZNS0_22gpu_kernel_impl_nocastIZZZNS0_12_GLOBAL__N_116addr_kernel_cudaERNS_14TensorIteratorERKN3c106ScalarES9_ENKUlvE_clEvENKUlvE9_clEvEUlNS6_4HalfESC_SC_E_EEvRNS_18TensorIteratorBaseERKT_EUlibE_EEviT1_
                                        ; -- End function
	.set _ZN2at6native32elementwise_kernel_manual_unrollILi128ELi8EZNS0_22gpu_kernel_impl_nocastIZZZNS0_12_GLOBAL__N_116addr_kernel_cudaERNS_14TensorIteratorERKN3c106ScalarES9_ENKUlvE_clEvENKUlvE9_clEvEUlNS6_4HalfESC_SC_E_EEvRNS_18TensorIteratorBaseERKT_EUlibE_EEviT1_.num_vgpr, 39
	.set _ZN2at6native32elementwise_kernel_manual_unrollILi128ELi8EZNS0_22gpu_kernel_impl_nocastIZZZNS0_12_GLOBAL__N_116addr_kernel_cudaERNS_14TensorIteratorERKN3c106ScalarES9_ENKUlvE_clEvENKUlvE9_clEvEUlNS6_4HalfESC_SC_E_EEvRNS_18TensorIteratorBaseERKT_EUlibE_EEviT1_.num_agpr, 0
	.set _ZN2at6native32elementwise_kernel_manual_unrollILi128ELi8EZNS0_22gpu_kernel_impl_nocastIZZZNS0_12_GLOBAL__N_116addr_kernel_cudaERNS_14TensorIteratorERKN3c106ScalarES9_ENKUlvE_clEvENKUlvE9_clEvEUlNS6_4HalfESC_SC_E_EEvRNS_18TensorIteratorBaseERKT_EUlibE_EEviT1_.numbered_sgpr, 45
	.set _ZN2at6native32elementwise_kernel_manual_unrollILi128ELi8EZNS0_22gpu_kernel_impl_nocastIZZZNS0_12_GLOBAL__N_116addr_kernel_cudaERNS_14TensorIteratorERKN3c106ScalarES9_ENKUlvE_clEvENKUlvE9_clEvEUlNS6_4HalfESC_SC_E_EEvRNS_18TensorIteratorBaseERKT_EUlibE_EEviT1_.num_named_barrier, 0
	.set _ZN2at6native32elementwise_kernel_manual_unrollILi128ELi8EZNS0_22gpu_kernel_impl_nocastIZZZNS0_12_GLOBAL__N_116addr_kernel_cudaERNS_14TensorIteratorERKN3c106ScalarES9_ENKUlvE_clEvENKUlvE9_clEvEUlNS6_4HalfESC_SC_E_EEvRNS_18TensorIteratorBaseERKT_EUlibE_EEviT1_.private_seg_size, 0
	.set _ZN2at6native32elementwise_kernel_manual_unrollILi128ELi8EZNS0_22gpu_kernel_impl_nocastIZZZNS0_12_GLOBAL__N_116addr_kernel_cudaERNS_14TensorIteratorERKN3c106ScalarES9_ENKUlvE_clEvENKUlvE9_clEvEUlNS6_4HalfESC_SC_E_EEvRNS_18TensorIteratorBaseERKT_EUlibE_EEviT1_.uses_vcc, 1
	.set _ZN2at6native32elementwise_kernel_manual_unrollILi128ELi8EZNS0_22gpu_kernel_impl_nocastIZZZNS0_12_GLOBAL__N_116addr_kernel_cudaERNS_14TensorIteratorERKN3c106ScalarES9_ENKUlvE_clEvENKUlvE9_clEvEUlNS6_4HalfESC_SC_E_EEvRNS_18TensorIteratorBaseERKT_EUlibE_EEviT1_.uses_flat_scratch, 0
	.set _ZN2at6native32elementwise_kernel_manual_unrollILi128ELi8EZNS0_22gpu_kernel_impl_nocastIZZZNS0_12_GLOBAL__N_116addr_kernel_cudaERNS_14TensorIteratorERKN3c106ScalarES9_ENKUlvE_clEvENKUlvE9_clEvEUlNS6_4HalfESC_SC_E_EEvRNS_18TensorIteratorBaseERKT_EUlibE_EEviT1_.has_dyn_sized_stack, 0
	.set _ZN2at6native32elementwise_kernel_manual_unrollILi128ELi8EZNS0_22gpu_kernel_impl_nocastIZZZNS0_12_GLOBAL__N_116addr_kernel_cudaERNS_14TensorIteratorERKN3c106ScalarES9_ENKUlvE_clEvENKUlvE9_clEvEUlNS6_4HalfESC_SC_E_EEvRNS_18TensorIteratorBaseERKT_EUlibE_EEviT1_.has_recursion, 0
	.set _ZN2at6native32elementwise_kernel_manual_unrollILi128ELi8EZNS0_22gpu_kernel_impl_nocastIZZZNS0_12_GLOBAL__N_116addr_kernel_cudaERNS_14TensorIteratorERKN3c106ScalarES9_ENKUlvE_clEvENKUlvE9_clEvEUlNS6_4HalfESC_SC_E_EEvRNS_18TensorIteratorBaseERKT_EUlibE_EEviT1_.has_indirect_call, 0
	.section	.AMDGPU.csdata,"",@progbits
; Kernel info:
; codeLenInByte = 11116
; TotalNumSgprs: 47
; NumVgprs: 39
; ScratchSize: 0
; MemoryBound: 0
; FloatMode: 240
; IeeeMode: 1
; LDSByteSize: 0 bytes/workgroup (compile time only)
; SGPRBlocks: 0
; VGPRBlocks: 2
; NumSGPRsForWavesPerEU: 47
; NumVGPRsForWavesPerEU: 39
; NamedBarCnt: 0
; Occupancy: 16
; WaveLimiterHint : 1
; COMPUTE_PGM_RSRC2:SCRATCH_EN: 0
; COMPUTE_PGM_RSRC2:USER_SGPR: 2
; COMPUTE_PGM_RSRC2:TRAP_HANDLER: 0
; COMPUTE_PGM_RSRC2:TGID_X_EN: 1
; COMPUTE_PGM_RSRC2:TGID_Y_EN: 0
; COMPUTE_PGM_RSRC2:TGID_Z_EN: 0
; COMPUTE_PGM_RSRC2:TIDIG_COMP_CNT: 0
	.section	.text._ZN2at6native32elementwise_kernel_manual_unrollILi128ELi4EZNS0_15gpu_kernel_implIZZZNS0_12_GLOBAL__N_116addr_kernel_cudaERNS_14TensorIteratorERKN3c106ScalarES9_ENKUlvE_clEvENKUlvE9_clEvEUlNS6_4HalfESC_SC_E_EEvRNS_18TensorIteratorBaseERKT_EUlibE_EEviT1_,"axG",@progbits,_ZN2at6native32elementwise_kernel_manual_unrollILi128ELi4EZNS0_15gpu_kernel_implIZZZNS0_12_GLOBAL__N_116addr_kernel_cudaERNS_14TensorIteratorERKN3c106ScalarES9_ENKUlvE_clEvENKUlvE9_clEvEUlNS6_4HalfESC_SC_E_EEvRNS_18TensorIteratorBaseERKT_EUlibE_EEviT1_,comdat
	.globl	_ZN2at6native32elementwise_kernel_manual_unrollILi128ELi4EZNS0_15gpu_kernel_implIZZZNS0_12_GLOBAL__N_116addr_kernel_cudaERNS_14TensorIteratorERKN3c106ScalarES9_ENKUlvE_clEvENKUlvE9_clEvEUlNS6_4HalfESC_SC_E_EEvRNS_18TensorIteratorBaseERKT_EUlibE_EEviT1_ ; -- Begin function _ZN2at6native32elementwise_kernel_manual_unrollILi128ELi4EZNS0_15gpu_kernel_implIZZZNS0_12_GLOBAL__N_116addr_kernel_cudaERNS_14TensorIteratorERKN3c106ScalarES9_ENKUlvE_clEvENKUlvE9_clEvEUlNS6_4HalfESC_SC_E_EEvRNS_18TensorIteratorBaseERKT_EUlibE_EEviT1_
	.p2align	8
	.type	_ZN2at6native32elementwise_kernel_manual_unrollILi128ELi4EZNS0_15gpu_kernel_implIZZZNS0_12_GLOBAL__N_116addr_kernel_cudaERNS_14TensorIteratorERKN3c106ScalarES9_ENKUlvE_clEvENKUlvE9_clEvEUlNS6_4HalfESC_SC_E_EEvRNS_18TensorIteratorBaseERKT_EUlibE_EEviT1_,@function
_ZN2at6native32elementwise_kernel_manual_unrollILi128ELi4EZNS0_15gpu_kernel_implIZZZNS0_12_GLOBAL__N_116addr_kernel_cudaERNS_14TensorIteratorERKN3c106ScalarES9_ENKUlvE_clEvENKUlvE9_clEvEUlNS6_4HalfESC_SC_E_EEvRNS_18TensorIteratorBaseERKT_EUlibE_EEviT1_: ; @_ZN2at6native32elementwise_kernel_manual_unrollILi128ELi4EZNS0_15gpu_kernel_implIZZZNS0_12_GLOBAL__N_116addr_kernel_cudaERNS_14TensorIteratorERKN3c106ScalarES9_ENKUlvE_clEvENKUlvE9_clEvEUlNS6_4HalfESC_SC_E_EEvRNS_18TensorIteratorBaseERKT_EUlibE_EEviT1_
; %bb.0:
	v_mov_b32_e32 v1, 0
	s_bfe_u32 s4, ttmp6, 0x4000c
	s_clause 0x1
	s_load_b32 s18, s[0:1], 0x0
	s_load_b64 s[2:3], s[0:1], 0x8
	s_add_co_i32 s13, s4, 1
	s_clause 0x1
	s_load_b128 s[4:7], s[0:1], 0x18
	s_load_b32 s11, s[0:1], 0x28
	global_load_b32 v1, v1, s[0:1] offset:58
	s_load_b96 s[8:10], s[0:1], 0x30
	s_and_b32 s14, ttmp6, 15
	s_wait_xcnt 0x0
	s_mul_i32 s0, ttmp9, s13
	s_getreg_b32 s16, hwreg(HW_REG_IB_STS2, 6, 4)
	s_add_co_i32 s14, s14, s0
	s_mov_b32 s17, 0
	s_wait_loadcnt 0x0
	v_readfirstlane_b32 s12, v1
	s_lshr_b32 s13, s12, 16
	s_lshr_b32 s15, s12, 8
	;; [unrolled: 1-line block ×3, first 2 shown]
	s_cmp_eq_u32 s16, 0
	s_cselect_b32 s0, ttmp9, s14
	s_mov_b32 s14, 0
	v_lshl_or_b32 v6, s0, 9, v0
	s_mov_b32 s0, exec_lo
	s_delay_alu instid0(VALU_DEP_1) | instskip(SKIP_1) | instid1(VALU_DEP_1)
	v_or_b32_e32 v0, 0x180, v6
	s_wait_kmcnt 0x0
	v_cmpx_le_i32_e64 s18, v0
	s_xor_b32 s16, exec_lo, s0
	s_cbranch_execz .LBB182_1624
; %bb.1:
	s_mov_b32 s0, -1
	s_mov_b32 s23, 0
	s_mov_b32 s21, 0
	;; [unrolled: 1-line block ×4, first 2 shown]
	s_mov_b32 s22, exec_lo
	v_cmpx_gt_i32_e64 s18, v6
	s_cbranch_execz .LBB182_402
; %bb.2:
	s_and_b32 s17, s15, 0xff
	s_delay_alu instid0(SALU_CYCLE_1)
	s_cmp_lt_i32 s17, 23
	s_cbranch_scc1 .LBB182_6
; %bb.3:
	s_and_b32 s19, 0xffff, s17
	s_delay_alu instid0(SALU_CYCLE_1)
	s_cmp_gt_i32 s19, 43
	s_cbranch_scc0 .LBB182_7
; %bb.4:
	s_cmp_gt_i32 s19, 45
	s_cbranch_scc0 .LBB182_8
; %bb.5:
	s_cmp_eq_u32 s19, 46
	s_mov_b32 s21, -1
	s_cselect_b32 s0, -1, 0
	s_branch .LBB182_9
.LBB182_6:
	s_mov_b32 s0, 0
	s_cbranch_execnz .LBB182_14
	s_branch .LBB182_18
.LBB182_7:
	s_mov_b32 s0, 0
	s_cbranch_execnz .LBB182_12
	s_branch .LBB182_13
.LBB182_8:
	s_mov_b32 s20, -1
	s_mov_b32 s0, 0
.LBB182_9:
	s_and_not1_b32 vcc_lo, exec_lo, s20
	s_cbranch_vccnz .LBB182_11
; %bb.10:
	s_cmp_eq_u32 s19, 44
	s_cselect_b32 s0, -1, 0
	s_cmp_lg_u32 s19, 44
	s_cselect_b32 s21, -1, 0
.LBB182_11:
	s_branch .LBB182_13
.LBB182_12:
	s_cmp_lt_i32 s19, 30
	s_cselect_b32 s0, -1, 0
	s_cmp_gt_i32 s19, 29
	s_cselect_b32 s21, -1, 0
.LBB182_13:
	s_branch .LBB182_18
.LBB182_14:
	s_and_b32 s17, 0xffff, s17
	s_mov_b32 s19, -1
	s_cmp_gt_i32 s17, 14
	s_cbranch_scc0 .LBB182_16
; %bb.15:
	s_cmp_eq_u32 s17, 15
	s_mov_b32 s19, 0
	s_cselect_b32 s0, -1, 0
	s_cmp_lg_u32 s17, 15
	s_cselect_b32 s21, -1, 0
.LBB182_16:
	s_and_not1_b32 vcc_lo, exec_lo, s19
	s_cbranch_vccnz .LBB182_18
; %bb.17:
	s_cmp_lt_i32 s17, 12
	s_cselect_b32 s0, -1, 0
	s_cmp_gt_i32 s17, 11
	s_cselect_b32 s21, -1, 0
.LBB182_18:
	s_and_b32 vcc_lo, exec_lo, s0
	s_cbranch_vccz .LBB182_26
; %bb.19:
	v_mul_lo_u32 v0, v6, s8
	s_and_b32 s0, s13, 0xff
	s_delay_alu instid0(SALU_CYCLE_1) | instskip(NEXT) | instid1(VALU_DEP_1)
	s_cmp_lt_i32 s0, 11
	v_ashrrev_i32_e32 v1, 31, v0
	s_delay_alu instid0(VALU_DEP_1)
	v_add_nc_u64_e32 v[0:1], s[4:5], v[0:1]
	s_cbranch_scc1 .LBB182_28
; %bb.20:
	s_and_b32 s17, 0xffff, s0
	s_delay_alu instid0(SALU_CYCLE_1)
	s_cmp_gt_i32 s17, 25
	s_cbranch_scc0 .LBB182_29
; %bb.21:
	s_cmp_gt_i32 s17, 28
	s_cbranch_scc0 .LBB182_30
; %bb.22:
	;; [unrolled: 3-line block ×4, first 2 shown]
	s_cmp_eq_u32 s17, 46
	s_mov_b32 s21, 0
	s_cbranch_scc0 .LBB182_33
; %bb.25:
	global_load_b32 v2, v[0:1], off
	s_mov_b32 s19, -1
	s_mov_b32 s20, 0
	s_wait_loadcnt 0x0
	v_lshlrev_b32_e32 v2, 16, v2
	s_delay_alu instid0(VALU_DEP_1)
	v_cvt_f16_f32_e32 v2, v2
	s_branch .LBB182_35
.LBB182_26:
	s_mov_b32 s0, 0
	s_mov_b32 s19, 0
	;; [unrolled: 1-line block ×3, first 2 shown]
.LBB182_27:
	s_mov_b32 s24, 0
                                        ; implicit-def: $vgpr6
	s_branch .LBB182_401
.LBB182_28:
	s_mov_b32 s20, 0
	s_mov_b32 s19, 0
                                        ; implicit-def: $vgpr2
	s_cbranch_execnz .LBB182_100
	s_branch .LBB182_148
.LBB182_29:
	s_mov_b32 s21, -1
	s_mov_b32 s20, 0
	s_mov_b32 s19, 0
                                        ; implicit-def: $vgpr2
	s_branch .LBB182_64
.LBB182_30:
	s_mov_b32 s21, -1
	s_mov_b32 s20, 0
	s_mov_b32 s19, 0
                                        ; implicit-def: $vgpr2
	s_branch .LBB182_45
.LBB182_31:
	s_mov_b32 s21, -1
	s_mov_b32 s20, 0
	s_mov_b32 s19, 0
                                        ; implicit-def: $vgpr2
	s_branch .LBB182_40
.LBB182_32:
	s_mov_b32 s21, -1
	s_mov_b32 s20, 0
	s_branch .LBB182_34
.LBB182_33:
	s_mov_b32 s20, -1
.LBB182_34:
	s_mov_b32 s19, 0
                                        ; implicit-def: $vgpr2
.LBB182_35:
	s_and_b32 vcc_lo, exec_lo, s21
	s_cbranch_vccz .LBB182_39
; %bb.36:
	s_cmp_eq_u32 s17, 44
	s_cbranch_scc0 .LBB182_38
; %bb.37:
	global_load_u8 v2, v[0:1], off
	s_mov_b32 s20, 0
	s_mov_b32 s19, -1
	s_wait_loadcnt 0x0
	v_lshlrev_b32_e32 v3, 23, v2
	v_cmp_ne_u32_e32 vcc_lo, 0xff, v2
	s_delay_alu instid0(VALU_DEP_2) | instskip(NEXT) | instid1(VALU_DEP_1)
	v_cvt_f16_f32_e32 v3, v3
	v_cndmask_b32_e32 v3, 0x7e00, v3, vcc_lo
	v_cmp_ne_u32_e32 vcc_lo, 0, v2
	s_delay_alu instid0(VALU_DEP_2)
	v_cndmask_b32_e32 v2, 0, v3, vcc_lo
	s_branch .LBB182_39
.LBB182_38:
	s_mov_b32 s20, -1
                                        ; implicit-def: $vgpr2
.LBB182_39:
	s_mov_b32 s21, 0
.LBB182_40:
	s_delay_alu instid0(SALU_CYCLE_1)
	s_and_b32 vcc_lo, exec_lo, s21
	s_cbranch_vccz .LBB182_44
; %bb.41:
	s_cmp_eq_u32 s17, 29
	s_cbranch_scc0 .LBB182_43
; %bb.42:
	global_load_b64 v[2:3], v[0:1], off
	s_mov_b32 s19, -1
	s_mov_b32 s20, 0
	s_mov_b32 s21, 0
	s_wait_loadcnt 0x0
	v_clz_i32_u32_e32 v4, v3
	s_delay_alu instid0(VALU_DEP_1) | instskip(NEXT) | instid1(VALU_DEP_1)
	v_min_u32_e32 v4, 32, v4
	v_lshlrev_b64_e32 v[2:3], v4, v[2:3]
	s_delay_alu instid0(VALU_DEP_1) | instskip(NEXT) | instid1(VALU_DEP_1)
	v_min_u32_e32 v2, 1, v2
	v_dual_sub_nc_u32 v3, 32, v4 :: v_dual_bitop2_b32 v2, v3, v2 bitop3:0x54
	s_delay_alu instid0(VALU_DEP_1) | instskip(NEXT) | instid1(VALU_DEP_1)
	v_cvt_f32_u32_e32 v2, v2
	v_ldexp_f32 v2, v2, v3
	s_delay_alu instid0(VALU_DEP_1)
	v_cvt_f16_f32_e32 v2, v2
	s_branch .LBB182_45
.LBB182_43:
	s_mov_b32 s20, -1
                                        ; implicit-def: $vgpr2
.LBB182_44:
	s_mov_b32 s21, 0
.LBB182_45:
	s_delay_alu instid0(SALU_CYCLE_1)
	s_and_b32 vcc_lo, exec_lo, s21
	s_cbranch_vccz .LBB182_63
; %bb.46:
	s_cmp_lt_i32 s17, 27
	s_cbranch_scc1 .LBB182_49
; %bb.47:
	s_cmp_gt_i32 s17, 27
	s_cbranch_scc0 .LBB182_50
; %bb.48:
	global_load_b32 v2, v[0:1], off
	s_mov_b32 s19, 0
	s_wait_loadcnt 0x0
	v_cvt_f32_u32_e32 v2, v2
	s_delay_alu instid0(VALU_DEP_1)
	v_cvt_f16_f32_e32 v2, v2
	s_branch .LBB182_51
.LBB182_49:
	s_mov_b32 s19, -1
                                        ; implicit-def: $vgpr2
	s_branch .LBB182_54
.LBB182_50:
	s_mov_b32 s19, -1
                                        ; implicit-def: $vgpr2
.LBB182_51:
	s_delay_alu instid0(SALU_CYCLE_1)
	s_and_not1_b32 vcc_lo, exec_lo, s19
	s_cbranch_vccnz .LBB182_53
; %bb.52:
	global_load_u16 v2, v[0:1], off
	s_wait_loadcnt 0x0
	v_cvt_f16_u16_e32 v2, v2
.LBB182_53:
	s_mov_b32 s19, 0
.LBB182_54:
	s_delay_alu instid0(SALU_CYCLE_1)
	s_and_not1_b32 vcc_lo, exec_lo, s19
	s_cbranch_vccnz .LBB182_62
; %bb.55:
	global_load_u8 v3, v[0:1], off
	s_mov_b32 s19, 0
	s_mov_b32 s21, exec_lo
	s_wait_loadcnt 0x0
	v_cmpx_lt_i16_e32 0x7f, v3
	s_xor_b32 s21, exec_lo, s21
	s_cbranch_execz .LBB182_76
; %bb.56:
	s_mov_b32 s19, -1
	s_mov_b32 s24, exec_lo
	v_cmpx_eq_u16_e32 0x80, v3
; %bb.57:
	s_xor_b32 s19, exec_lo, -1
; %bb.58:
	s_or_b32 exec_lo, exec_lo, s24
	s_delay_alu instid0(SALU_CYCLE_1)
	s_and_b32 s19, s19, exec_lo
	s_or_saveexec_b32 s21, s21
	v_mov_b32_e32 v2, 0x7e00
	s_xor_b32 exec_lo, exec_lo, s21
	s_cbranch_execnz .LBB182_77
.LBB182_59:
	s_or_b32 exec_lo, exec_lo, s21
	s_and_saveexec_b32 s21, s19
	s_cbranch_execz .LBB182_61
.LBB182_60:
	v_and_b32_e32 v2, 0xffff, v3
	s_delay_alu instid0(VALU_DEP_1) | instskip(SKIP_1) | instid1(VALU_DEP_2)
	v_and_b32_e32 v4, 7, v2
	v_bfe_u32 v8, v2, 3, 4
	v_clz_i32_u32_e32 v5, v4
	s_delay_alu instid0(VALU_DEP_2) | instskip(NEXT) | instid1(VALU_DEP_2)
	v_cmp_eq_u32_e32 vcc_lo, 0, v8
	v_min_u32_e32 v5, 32, v5
	s_delay_alu instid0(VALU_DEP_1) | instskip(NEXT) | instid1(VALU_DEP_1)
	v_subrev_nc_u32_e32 v7, 28, v5
	v_dual_lshlrev_b32 v2, v7, v2 :: v_dual_sub_nc_u32 v5, 29, v5
	s_delay_alu instid0(VALU_DEP_1) | instskip(NEXT) | instid1(VALU_DEP_2)
	v_dual_lshlrev_b32 v3, 24, v3 :: v_dual_bitop2_b32 v2, 7, v2 bitop3:0x40
	v_cndmask_b32_e32 v5, v8, v5, vcc_lo
	s_delay_alu instid0(VALU_DEP_2) | instskip(NEXT) | instid1(VALU_DEP_3)
	v_cndmask_b32_e32 v2, v4, v2, vcc_lo
	v_and_b32_e32 v3, 0x80000000, v3
	s_delay_alu instid0(VALU_DEP_3) | instskip(NEXT) | instid1(VALU_DEP_3)
	v_lshl_add_u32 v4, v5, 23, 0x3b800000
	v_lshlrev_b32_e32 v2, 20, v2
	s_delay_alu instid0(VALU_DEP_1) | instskip(NEXT) | instid1(VALU_DEP_1)
	v_or3_b32 v2, v3, v4, v2
	v_cvt_f16_f32_e32 v2, v2
.LBB182_61:
	s_or_b32 exec_lo, exec_lo, s21
.LBB182_62:
	s_mov_b32 s19, -1
.LBB182_63:
	s_mov_b32 s21, 0
.LBB182_64:
	s_delay_alu instid0(SALU_CYCLE_1)
	s_and_b32 vcc_lo, exec_lo, s21
	s_cbranch_vccz .LBB182_99
; %bb.65:
	s_cmp_gt_i32 s17, 22
	s_cbranch_scc0 .LBB182_75
; %bb.66:
	s_cmp_lt_i32 s17, 24
	s_cbranch_scc1 .LBB182_78
; %bb.67:
	s_cmp_gt_i32 s17, 24
	s_cbranch_scc0 .LBB182_79
; %bb.68:
	global_load_u8 v3, v[0:1], off
	s_mov_b32 s19, 0
	s_mov_b32 s21, exec_lo
	s_wait_loadcnt 0x0
	v_cmpx_lt_i16_e32 0x7f, v3
	s_xor_b32 s21, exec_lo, s21
	s_cbranch_execz .LBB182_91
; %bb.69:
	s_mov_b32 s19, -1
	s_mov_b32 s24, exec_lo
	v_cmpx_eq_u16_e32 0x80, v3
; %bb.70:
	s_xor_b32 s19, exec_lo, -1
; %bb.71:
	s_or_b32 exec_lo, exec_lo, s24
	s_delay_alu instid0(SALU_CYCLE_1)
	s_and_b32 s19, s19, exec_lo
	s_or_saveexec_b32 s21, s21
	v_mov_b32_e32 v2, 0x7e00
	s_xor_b32 exec_lo, exec_lo, s21
	s_cbranch_execnz .LBB182_92
.LBB182_72:
	s_or_b32 exec_lo, exec_lo, s21
	s_and_saveexec_b32 s21, s19
	s_cbranch_execz .LBB182_74
.LBB182_73:
	v_and_b32_e32 v2, 0xffff, v3
	s_delay_alu instid0(VALU_DEP_1) | instskip(SKIP_1) | instid1(VALU_DEP_2)
	v_and_b32_e32 v4, 3, v2
	v_bfe_u32 v8, v2, 2, 5
	v_clz_i32_u32_e32 v5, v4
	s_delay_alu instid0(VALU_DEP_2) | instskip(NEXT) | instid1(VALU_DEP_2)
	v_cmp_eq_u32_e32 vcc_lo, 0, v8
	v_min_u32_e32 v5, 32, v5
	s_delay_alu instid0(VALU_DEP_1) | instskip(NEXT) | instid1(VALU_DEP_1)
	v_subrev_nc_u32_e32 v7, 29, v5
	v_dual_lshlrev_b32 v2, v7, v2 :: v_dual_sub_nc_u32 v5, 30, v5
	s_delay_alu instid0(VALU_DEP_1) | instskip(NEXT) | instid1(VALU_DEP_2)
	v_dual_lshlrev_b32 v3, 24, v3 :: v_dual_bitop2_b32 v2, 3, v2 bitop3:0x40
	v_cndmask_b32_e32 v5, v8, v5, vcc_lo
	s_delay_alu instid0(VALU_DEP_2) | instskip(NEXT) | instid1(VALU_DEP_3)
	v_cndmask_b32_e32 v2, v4, v2, vcc_lo
	v_and_b32_e32 v3, 0x80000000, v3
	s_delay_alu instid0(VALU_DEP_3) | instskip(NEXT) | instid1(VALU_DEP_3)
	v_lshl_add_u32 v4, v5, 23, 0x37800000
	v_lshlrev_b32_e32 v2, 21, v2
	s_delay_alu instid0(VALU_DEP_1) | instskip(NEXT) | instid1(VALU_DEP_1)
	v_or3_b32 v2, v3, v4, v2
	v_cvt_f16_f32_e32 v2, v2
.LBB182_74:
	s_or_b32 exec_lo, exec_lo, s21
	s_mov_b32 s19, 0
	s_branch .LBB182_80
.LBB182_75:
	s_mov_b32 s21, -1
                                        ; implicit-def: $vgpr2
	s_branch .LBB182_86
.LBB182_76:
	s_or_saveexec_b32 s21, s21
	v_mov_b32_e32 v2, 0x7e00
	s_xor_b32 exec_lo, exec_lo, s21
	s_cbranch_execz .LBB182_59
.LBB182_77:
	v_cmp_ne_u16_e32 vcc_lo, 0, v3
	v_mov_b32_e32 v2, v3
	s_and_not1_b32 s19, s19, exec_lo
	s_and_b32 s24, vcc_lo, exec_lo
	s_delay_alu instid0(SALU_CYCLE_1)
	s_or_b32 s19, s19, s24
	s_or_b32 exec_lo, exec_lo, s21
	s_and_saveexec_b32 s21, s19
	s_cbranch_execnz .LBB182_60
	s_branch .LBB182_61
.LBB182_78:
	s_mov_b32 s19, -1
                                        ; implicit-def: $vgpr2
	s_branch .LBB182_83
.LBB182_79:
	s_mov_b32 s19, -1
                                        ; implicit-def: $vgpr2
.LBB182_80:
	s_delay_alu instid0(SALU_CYCLE_1)
	s_and_b32 vcc_lo, exec_lo, s19
	s_cbranch_vccz .LBB182_82
; %bb.81:
	global_load_u8 v2, v[0:1], off
	s_wait_loadcnt 0x0
	v_lshlrev_b32_e32 v2, 24, v2
	s_delay_alu instid0(VALU_DEP_1) | instskip(NEXT) | instid1(VALU_DEP_1)
	v_and_b32_e32 v3, 0x7f000000, v2
	v_clz_i32_u32_e32 v4, v3
	v_add_nc_u32_e32 v7, 0x1000000, v3
	v_cmp_ne_u32_e32 vcc_lo, 0, v3
	s_delay_alu instid0(VALU_DEP_3) | instskip(NEXT) | instid1(VALU_DEP_1)
	v_min_u32_e32 v4, 32, v4
	v_sub_nc_u32_e64 v4, v4, 4 clamp
	s_delay_alu instid0(VALU_DEP_1) | instskip(NEXT) | instid1(VALU_DEP_1)
	v_dual_lshlrev_b32 v5, v4, v3 :: v_dual_lshlrev_b32 v4, 23, v4
	v_lshrrev_b32_e32 v5, 4, v5
	s_delay_alu instid0(VALU_DEP_1) | instskip(NEXT) | instid1(VALU_DEP_1)
	v_dual_sub_nc_u32 v4, v5, v4 :: v_dual_ashrrev_i32 v5, 8, v7
	v_add_nc_u32_e32 v4, 0x3c000000, v4
	s_delay_alu instid0(VALU_DEP_1) | instskip(NEXT) | instid1(VALU_DEP_1)
	v_and_or_b32 v4, 0x7f800000, v5, v4
	v_cndmask_b32_e32 v3, 0, v4, vcc_lo
	s_delay_alu instid0(VALU_DEP_1) | instskip(NEXT) | instid1(VALU_DEP_1)
	v_and_or_b32 v2, 0x80000000, v2, v3
	v_cvt_f16_f32_e32 v2, v2
.LBB182_82:
	s_mov_b32 s19, 0
.LBB182_83:
	s_delay_alu instid0(SALU_CYCLE_1)
	s_and_not1_b32 vcc_lo, exec_lo, s19
	s_cbranch_vccnz .LBB182_85
; %bb.84:
	global_load_u8 v2, v[0:1], off
	s_wait_loadcnt 0x0
	v_lshlrev_b32_e32 v3, 25, v2
	v_lshlrev_b16 v2, 8, v2
	s_delay_alu instid0(VALU_DEP_1) | instskip(SKIP_1) | instid1(VALU_DEP_2)
	v_and_or_b32 v5, 0x7f00, v2, 0.5
	v_bfe_i32 v2, v2, 0, 16
	v_dual_add_f32 v5, -0.5, v5 :: v_dual_lshrrev_b32 v4, 4, v3
	v_cmp_gt_u32_e32 vcc_lo, 0x8000000, v3
	s_delay_alu instid0(VALU_DEP_2) | instskip(NEXT) | instid1(VALU_DEP_1)
	v_or_b32_e32 v4, 0x70000000, v4
	v_mul_f32_e32 v4, 0x7800000, v4
	s_delay_alu instid0(VALU_DEP_1) | instskip(NEXT) | instid1(VALU_DEP_1)
	v_cndmask_b32_e32 v3, v4, v5, vcc_lo
	v_and_or_b32 v2, 0x80000000, v2, v3
	s_delay_alu instid0(VALU_DEP_1)
	v_cvt_f16_f32_e32 v2, v2
.LBB182_85:
	s_mov_b32 s21, 0
	s_mov_b32 s19, -1
.LBB182_86:
	s_and_not1_b32 vcc_lo, exec_lo, s21
	s_cbranch_vccnz .LBB182_99
; %bb.87:
	s_cmp_gt_i32 s17, 14
	s_cbranch_scc0 .LBB182_90
; %bb.88:
	s_cmp_eq_u32 s17, 15
	s_cbranch_scc0 .LBB182_93
; %bb.89:
	global_load_u16 v2, v[0:1], off
	s_mov_b32 s19, -1
	s_mov_b32 s20, 0
	s_wait_loadcnt 0x0
	v_lshlrev_b32_e32 v2, 16, v2
	s_delay_alu instid0(VALU_DEP_1)
	v_cvt_f16_f32_e32 v2, v2
	s_branch .LBB182_94
.LBB182_90:
	s_mov_b32 s21, -1
                                        ; implicit-def: $vgpr2
	s_branch .LBB182_95
.LBB182_91:
	s_or_saveexec_b32 s21, s21
	v_mov_b32_e32 v2, 0x7e00
	s_xor_b32 exec_lo, exec_lo, s21
	s_cbranch_execz .LBB182_72
.LBB182_92:
	v_cmp_ne_u16_e32 vcc_lo, 0, v3
	v_mov_b32_e32 v2, v3
	s_and_not1_b32 s19, s19, exec_lo
	s_and_b32 s24, vcc_lo, exec_lo
	s_delay_alu instid0(SALU_CYCLE_1)
	s_or_b32 s19, s19, s24
	s_or_b32 exec_lo, exec_lo, s21
	s_and_saveexec_b32 s21, s19
	s_cbranch_execnz .LBB182_73
	s_branch .LBB182_74
.LBB182_93:
	s_mov_b32 s20, -1
                                        ; implicit-def: $vgpr2
.LBB182_94:
	s_mov_b32 s21, 0
.LBB182_95:
	s_delay_alu instid0(SALU_CYCLE_1)
	s_and_b32 vcc_lo, exec_lo, s21
	s_cbranch_vccz .LBB182_99
; %bb.96:
	s_cmp_eq_u32 s17, 11
	s_cbranch_scc0 .LBB182_98
; %bb.97:
	global_load_u8 v2, v[0:1], off
	s_mov_b32 s20, 0
	s_mov_b32 s19, -1
	s_wait_loadcnt 0x0
	v_cmp_ne_u16_e32 vcc_lo, 0, v2
	v_cndmask_b32_e64 v2, 0, 0x3c00, vcc_lo
	s_branch .LBB182_99
.LBB182_98:
	s_mov_b32 s20, -1
                                        ; implicit-def: $vgpr2
.LBB182_99:
	s_branch .LBB182_148
.LBB182_100:
	s_and_b32 s0, 0xffff, s0
	s_delay_alu instid0(SALU_CYCLE_1)
	s_cmp_lt_i32 s0, 5
	s_cbranch_scc1 .LBB182_105
; %bb.101:
	s_cmp_lt_i32 s0, 8
	s_cbranch_scc1 .LBB182_106
; %bb.102:
	;; [unrolled: 3-line block ×3, first 2 shown]
	s_cmp_gt_i32 s0, 9
	s_cbranch_scc0 .LBB182_108
; %bb.104:
	global_load_b64 v[2:3], v[0:1], off
	s_mov_b32 s17, 0
	s_wait_loadcnt 0x0
	v_and_or_b32 v2, 0x1ff, v3, v2
	v_lshrrev_b32_e32 v4, 8, v3
	v_bfe_u32 v5, v3, 20, 11
	v_lshrrev_b32_e32 v3, 16, v3
	s_delay_alu instid0(VALU_DEP_4) | instskip(NEXT) | instid1(VALU_DEP_3)
	v_cmp_ne_u32_e32 vcc_lo, 0, v2
	v_sub_nc_u32_e32 v7, 0x3f1, v5
	v_add_nc_u32_e32 v5, 0xfffffc10, v5
	v_cndmask_b32_e64 v2, 0, 1, vcc_lo
	s_delay_alu instid0(VALU_DEP_1) | instskip(NEXT) | instid1(VALU_DEP_4)
	v_and_or_b32 v2, 0xffe, v4, v2
	v_med3_i32 v4, v7, 0, 13
	s_delay_alu instid0(VALU_DEP_2) | instskip(NEXT) | instid1(VALU_DEP_1)
	v_or_b32_e32 v7, 0x1000, v2
	v_lshrrev_b32_e32 v8, v4, v7
	s_delay_alu instid0(VALU_DEP_1) | instskip(NEXT) | instid1(VALU_DEP_1)
	v_lshlrev_b32_e32 v4, v4, v8
	v_cmp_ne_u32_e32 vcc_lo, v4, v7
	v_lshl_or_b32 v7, v5, 12, v2
	v_cndmask_b32_e64 v4, 0, 1, vcc_lo
	v_cmp_gt_i32_e32 vcc_lo, 1, v5
	s_delay_alu instid0(VALU_DEP_2) | instskip(NEXT) | instid1(VALU_DEP_1)
	v_or_b32_e32 v4, v8, v4
	v_cndmask_b32_e32 v4, v7, v4, vcc_lo
	s_delay_alu instid0(VALU_DEP_1) | instskip(NEXT) | instid1(VALU_DEP_1)
	v_dual_lshrrev_b32 v4, 2, v4 :: v_dual_bitop2_b32 v7, 7, v4 bitop3:0x40
	v_cmp_lt_i32_e32 vcc_lo, 5, v7
	v_cndmask_b32_e64 v8, 0, 1, vcc_lo
	v_cmp_eq_u32_e32 vcc_lo, 3, v7
	v_cndmask_b32_e64 v7, 0, 1, vcc_lo
	v_cmp_ne_u32_e32 vcc_lo, 0, v2
	s_delay_alu instid0(VALU_DEP_2) | instskip(SKIP_1) | instid1(VALU_DEP_2)
	v_or_b32_e32 v7, v7, v8
	v_mov_b32_e32 v8, 0x7e00
	v_add_nc_u32_e32 v4, v4, v7
	s_delay_alu instid0(VALU_DEP_2) | instskip(SKIP_1) | instid1(VALU_DEP_3)
	v_cndmask_b32_e32 v2, 0x7c00, v8, vcc_lo
	v_cmp_gt_i32_e32 vcc_lo, 31, v5
	v_cndmask_b32_e32 v4, 0x7c00, v4, vcc_lo
	v_cmp_eq_u32_e32 vcc_lo, 0x40f, v5
	s_delay_alu instid0(VALU_DEP_2) | instskip(NEXT) | instid1(VALU_DEP_1)
	v_cndmask_b32_e32 v2, v4, v2, vcc_lo
	v_and_or_b32 v2, 0x8000, v3, v2
	s_branch .LBB182_109
.LBB182_105:
	s_mov_b32 s17, -1
                                        ; implicit-def: $vgpr2
	s_branch .LBB182_127
.LBB182_106:
	s_mov_b32 s17, -1
                                        ; implicit-def: $vgpr2
	s_branch .LBB182_115
.LBB182_107:
	s_mov_b32 s17, -1
                                        ; implicit-def: $vgpr2
	s_branch .LBB182_112
.LBB182_108:
	s_mov_b32 s17, -1
                                        ; implicit-def: $vgpr2
.LBB182_109:
	s_delay_alu instid0(SALU_CYCLE_1)
	s_and_not1_b32 vcc_lo, exec_lo, s17
	s_cbranch_vccnz .LBB182_111
; %bb.110:
	global_load_b32 v2, v[0:1], off
	s_wait_loadcnt 0x0
	v_cvt_f16_f32_e32 v2, v2
.LBB182_111:
	s_mov_b32 s17, 0
.LBB182_112:
	s_delay_alu instid0(SALU_CYCLE_1)
	s_and_not1_b32 vcc_lo, exec_lo, s17
	s_cbranch_vccnz .LBB182_114
; %bb.113:
	global_load_b32 v2, v[0:1], off
.LBB182_114:
	s_mov_b32 s17, 0
.LBB182_115:
	s_delay_alu instid0(SALU_CYCLE_1)
	s_and_not1_b32 vcc_lo, exec_lo, s17
	s_cbranch_vccnz .LBB182_126
; %bb.116:
	s_cmp_lt_i32 s0, 6
	s_cbranch_scc1 .LBB182_119
; %bb.117:
	s_cmp_gt_i32 s0, 6
	s_cbranch_scc0 .LBB182_120
; %bb.118:
	s_wait_loadcnt 0x0
	global_load_b64 v[2:3], v[0:1], off
	s_mov_b32 s17, 0
	s_wait_loadcnt 0x0
	v_and_or_b32 v2, 0x1ff, v3, v2
	v_lshrrev_b32_e32 v4, 8, v3
	v_bfe_u32 v5, v3, 20, 11
	v_lshrrev_b32_e32 v3, 16, v3
	s_delay_alu instid0(VALU_DEP_4) | instskip(NEXT) | instid1(VALU_DEP_3)
	v_cmp_ne_u32_e32 vcc_lo, 0, v2
	v_sub_nc_u32_e32 v7, 0x3f1, v5
	v_add_nc_u32_e32 v5, 0xfffffc10, v5
	v_cndmask_b32_e64 v2, 0, 1, vcc_lo
	s_delay_alu instid0(VALU_DEP_1) | instskip(NEXT) | instid1(VALU_DEP_4)
	v_and_or_b32 v2, 0xffe, v4, v2
	v_med3_i32 v4, v7, 0, 13
	s_delay_alu instid0(VALU_DEP_2) | instskip(NEXT) | instid1(VALU_DEP_1)
	v_or_b32_e32 v7, 0x1000, v2
	v_lshrrev_b32_e32 v8, v4, v7
	s_delay_alu instid0(VALU_DEP_1) | instskip(NEXT) | instid1(VALU_DEP_1)
	v_lshlrev_b32_e32 v4, v4, v8
	v_cmp_ne_u32_e32 vcc_lo, v4, v7
	v_lshl_or_b32 v7, v5, 12, v2
	v_cndmask_b32_e64 v4, 0, 1, vcc_lo
	v_cmp_gt_i32_e32 vcc_lo, 1, v5
	s_delay_alu instid0(VALU_DEP_2) | instskip(NEXT) | instid1(VALU_DEP_1)
	v_or_b32_e32 v4, v8, v4
	v_cndmask_b32_e32 v4, v7, v4, vcc_lo
	s_delay_alu instid0(VALU_DEP_1) | instskip(NEXT) | instid1(VALU_DEP_1)
	v_dual_lshrrev_b32 v4, 2, v4 :: v_dual_bitop2_b32 v7, 7, v4 bitop3:0x40
	v_cmp_lt_i32_e32 vcc_lo, 5, v7
	v_cndmask_b32_e64 v8, 0, 1, vcc_lo
	v_cmp_eq_u32_e32 vcc_lo, 3, v7
	v_cndmask_b32_e64 v7, 0, 1, vcc_lo
	v_cmp_ne_u32_e32 vcc_lo, 0, v2
	s_delay_alu instid0(VALU_DEP_2) | instskip(SKIP_1) | instid1(VALU_DEP_2)
	v_or_b32_e32 v7, v7, v8
	v_mov_b32_e32 v8, 0x7e00
	v_add_nc_u32_e32 v4, v4, v7
	s_delay_alu instid0(VALU_DEP_2) | instskip(SKIP_1) | instid1(VALU_DEP_3)
	v_cndmask_b32_e32 v2, 0x7c00, v8, vcc_lo
	v_cmp_gt_i32_e32 vcc_lo, 31, v5
	v_cndmask_b32_e32 v4, 0x7c00, v4, vcc_lo
	v_cmp_eq_u32_e32 vcc_lo, 0x40f, v5
	s_delay_alu instid0(VALU_DEP_2) | instskip(NEXT) | instid1(VALU_DEP_1)
	v_cndmask_b32_e32 v2, v4, v2, vcc_lo
	v_and_or_b32 v2, 0x8000, v3, v2
	s_branch .LBB182_121
.LBB182_119:
	s_mov_b32 s17, -1
                                        ; implicit-def: $vgpr2
	s_branch .LBB182_124
.LBB182_120:
	s_mov_b32 s17, -1
                                        ; implicit-def: $vgpr2
.LBB182_121:
	s_delay_alu instid0(SALU_CYCLE_1)
	s_and_not1_b32 vcc_lo, exec_lo, s17
	s_cbranch_vccnz .LBB182_123
; %bb.122:
	s_wait_loadcnt 0x0
	global_load_b32 v2, v[0:1], off
	s_wait_loadcnt 0x0
	v_cvt_f16_f32_e32 v2, v2
.LBB182_123:
	s_mov_b32 s17, 0
.LBB182_124:
	s_delay_alu instid0(SALU_CYCLE_1)
	s_and_not1_b32 vcc_lo, exec_lo, s17
	s_cbranch_vccnz .LBB182_126
; %bb.125:
	s_wait_loadcnt 0x0
	global_load_u16 v2, v[0:1], off
.LBB182_126:
	s_mov_b32 s17, 0
.LBB182_127:
	s_delay_alu instid0(SALU_CYCLE_1)
	s_and_not1_b32 vcc_lo, exec_lo, s17
	s_cbranch_vccnz .LBB182_147
; %bb.128:
	s_cmp_lt_i32 s0, 2
	s_cbranch_scc1 .LBB182_132
; %bb.129:
	s_cmp_lt_i32 s0, 3
	s_cbranch_scc1 .LBB182_133
; %bb.130:
	s_cmp_gt_i32 s0, 3
	s_cbranch_scc0 .LBB182_134
; %bb.131:
	s_wait_loadcnt 0x0
	global_load_b64 v[2:3], v[0:1], off
	s_mov_b32 s17, 0
	s_wait_loadcnt 0x0
	v_xor_b32_e32 v4, v2, v3
	v_cls_i32_e32 v5, v3
	s_delay_alu instid0(VALU_DEP_2) | instskip(NEXT) | instid1(VALU_DEP_1)
	v_ashrrev_i32_e32 v4, 31, v4
	v_add_nc_u32_e32 v4, 32, v4
	s_delay_alu instid0(VALU_DEP_1) | instskip(NEXT) | instid1(VALU_DEP_1)
	v_add_min_u32_e64 v4, v5, -1, v4
	v_lshlrev_b64_e32 v[2:3], v4, v[2:3]
	s_delay_alu instid0(VALU_DEP_1) | instskip(NEXT) | instid1(VALU_DEP_1)
	v_min_u32_e32 v2, 1, v2
	v_dual_sub_nc_u32 v3, 32, v4 :: v_dual_bitop2_b32 v2, v3, v2 bitop3:0x54
	s_delay_alu instid0(VALU_DEP_1) | instskip(NEXT) | instid1(VALU_DEP_1)
	v_cvt_f32_i32_e32 v2, v2
	v_ldexp_f32 v2, v2, v3
	s_delay_alu instid0(VALU_DEP_1)
	v_cvt_f16_f32_e32 v2, v2
	s_branch .LBB182_135
.LBB182_132:
	s_mov_b32 s17, -1
                                        ; implicit-def: $vgpr2
	s_branch .LBB182_141
.LBB182_133:
	s_mov_b32 s17, -1
                                        ; implicit-def: $vgpr2
	s_branch .LBB182_138
.LBB182_134:
	s_mov_b32 s17, -1
                                        ; implicit-def: $vgpr2
.LBB182_135:
	s_delay_alu instid0(SALU_CYCLE_1)
	s_and_not1_b32 vcc_lo, exec_lo, s17
	s_cbranch_vccnz .LBB182_137
; %bb.136:
	s_wait_loadcnt 0x0
	global_load_b32 v2, v[0:1], off
	s_wait_loadcnt 0x0
	v_cvt_f32_i32_e32 v2, v2
	s_delay_alu instid0(VALU_DEP_1)
	v_cvt_f16_f32_e32 v2, v2
.LBB182_137:
	s_mov_b32 s17, 0
.LBB182_138:
	s_delay_alu instid0(SALU_CYCLE_1)
	s_and_not1_b32 vcc_lo, exec_lo, s17
	s_cbranch_vccnz .LBB182_140
; %bb.139:
	s_wait_loadcnt 0x0
	global_load_u16 v2, v[0:1], off
	s_wait_loadcnt 0x0
	v_cvt_f16_i16_e32 v2, v2
.LBB182_140:
	s_mov_b32 s17, 0
.LBB182_141:
	s_delay_alu instid0(SALU_CYCLE_1)
	s_and_not1_b32 vcc_lo, exec_lo, s17
	s_cbranch_vccnz .LBB182_147
; %bb.142:
	s_cmp_gt_i32 s0, 0
	s_mov_b32 s0, 0
	s_cbranch_scc0 .LBB182_144
; %bb.143:
	s_wait_loadcnt 0x0
	global_load_i8 v2, v[0:1], off
	s_wait_loadcnt 0x0
	v_cvt_f16_i16_e32 v2, v2
	s_branch .LBB182_145
.LBB182_144:
	s_mov_b32 s0, -1
                                        ; implicit-def: $vgpr2
.LBB182_145:
	s_delay_alu instid0(SALU_CYCLE_1)
	s_and_not1_b32 vcc_lo, exec_lo, s0
	s_cbranch_vccnz .LBB182_147
; %bb.146:
	global_load_u8 v0, v[0:1], off
	s_wait_loadcnt 0x0
	v_cvt_f16_u16_e32 v2, v0
.LBB182_147:
	s_mov_b32 s19, -1
.LBB182_148:
	s_mov_b32 s21, 0
	s_mov_b32 s0, 0
	s_and_not1_b32 vcc_lo, exec_lo, s19
	s_mov_b32 s19, 0
	s_mov_b32 s24, 0
	s_cbranch_vccnz .LBB182_401
; %bb.149:
	s_wait_xcnt 0x0
	v_mul_lo_u32 v0, v6, s9
	s_and_b32 s0, 0xffff, s1
	s_delay_alu instid0(SALU_CYCLE_1) | instskip(NEXT) | instid1(VALU_DEP_1)
	s_cmp_lt_i32 s0, 11
	v_ashrrev_i32_e32 v1, 31, v0
	s_delay_alu instid0(VALU_DEP_1)
	v_add_nc_u64_e32 v[0:1], s[6:7], v[0:1]
	s_cbranch_scc1 .LBB182_156
; %bb.150:
	s_cmp_gt_i32 s0, 25
	s_cbranch_scc0 .LBB182_157
; %bb.151:
	s_cmp_gt_i32 s0, 28
	s_cbranch_scc0 .LBB182_158
	;; [unrolled: 3-line block ×4, first 2 shown]
; %bb.154:
	s_cmp_eq_u32 s0, 46
	s_cbranch_scc0 .LBB182_161
; %bb.155:
	global_load_b32 v3, v[0:1], off
	s_mov_b32 s17, -1
	s_wait_loadcnt 0x0
	v_lshlrev_b32_e32 v3, 16, v3
	s_delay_alu instid0(VALU_DEP_1)
	v_cvt_f16_f32_e32 v3, v3
	s_branch .LBB182_163
.LBB182_156:
	s_mov_b32 s24, -1
	s_mov_b32 s17, 0
                                        ; implicit-def: $vgpr3
	s_branch .LBB182_228
.LBB182_157:
	s_mov_b32 s24, -1
	s_mov_b32 s17, 0
                                        ; implicit-def: $vgpr3
	s_branch .LBB182_192
.LBB182_158:
	s_mov_b32 s24, -1
	s_mov_b32 s17, 0
                                        ; implicit-def: $vgpr3
	s_branch .LBB182_173
.LBB182_159:
	s_mov_b32 s24, -1
	s_mov_b32 s17, 0
                                        ; implicit-def: $vgpr3
	s_branch .LBB182_168
.LBB182_160:
	s_mov_b32 s24, -1
	s_branch .LBB182_162
.LBB182_161:
	s_mov_b32 s19, -1
.LBB182_162:
	s_mov_b32 s17, 0
                                        ; implicit-def: $vgpr3
.LBB182_163:
	s_and_b32 vcc_lo, exec_lo, s24
	s_cbranch_vccz .LBB182_167
; %bb.164:
	s_cmp_eq_u32 s0, 44
	s_cbranch_scc0 .LBB182_166
; %bb.165:
	global_load_u8 v3, v[0:1], off
	s_mov_b32 s19, 0
	s_mov_b32 s17, -1
	s_wait_loadcnt 0x0
	v_lshlrev_b32_e32 v4, 23, v3
	v_cmp_ne_u32_e32 vcc_lo, 0xff, v3
	s_delay_alu instid0(VALU_DEP_2) | instskip(NEXT) | instid1(VALU_DEP_1)
	v_cvt_f16_f32_e32 v4, v4
	v_cndmask_b32_e32 v4, 0x7e00, v4, vcc_lo
	v_cmp_ne_u32_e32 vcc_lo, 0, v3
	s_delay_alu instid0(VALU_DEP_2)
	v_cndmask_b32_e32 v3, 0, v4, vcc_lo
	s_branch .LBB182_167
.LBB182_166:
	s_mov_b32 s19, -1
                                        ; implicit-def: $vgpr3
.LBB182_167:
	s_mov_b32 s24, 0
.LBB182_168:
	s_delay_alu instid0(SALU_CYCLE_1)
	s_and_b32 vcc_lo, exec_lo, s24
	s_cbranch_vccz .LBB182_172
; %bb.169:
	s_cmp_eq_u32 s0, 29
	s_cbranch_scc0 .LBB182_171
; %bb.170:
	global_load_b64 v[4:5], v[0:1], off
	s_mov_b32 s17, -1
	s_mov_b32 s19, 0
	s_mov_b32 s24, 0
	s_wait_loadcnt 0x0
	v_clz_i32_u32_e32 v3, v5
	s_delay_alu instid0(VALU_DEP_1) | instskip(NEXT) | instid1(VALU_DEP_1)
	v_min_u32_e32 v3, 32, v3
	v_lshlrev_b64_e32 v[4:5], v3, v[4:5]
	v_sub_nc_u32_e32 v3, 32, v3
	s_delay_alu instid0(VALU_DEP_2) | instskip(NEXT) | instid1(VALU_DEP_1)
	v_min_u32_e32 v4, 1, v4
	v_or_b32_e32 v4, v5, v4
	s_delay_alu instid0(VALU_DEP_1) | instskip(NEXT) | instid1(VALU_DEP_1)
	v_cvt_f32_u32_e32 v4, v4
	v_ldexp_f32 v3, v4, v3
	s_delay_alu instid0(VALU_DEP_1)
	v_cvt_f16_f32_e32 v3, v3
	s_branch .LBB182_173
.LBB182_171:
	s_mov_b32 s19, -1
                                        ; implicit-def: $vgpr3
.LBB182_172:
	s_mov_b32 s24, 0
.LBB182_173:
	s_delay_alu instid0(SALU_CYCLE_1)
	s_and_b32 vcc_lo, exec_lo, s24
	s_cbranch_vccz .LBB182_191
; %bb.174:
	s_cmp_lt_i32 s0, 27
	s_cbranch_scc1 .LBB182_177
; %bb.175:
	s_cmp_gt_i32 s0, 27
	s_cbranch_scc0 .LBB182_178
; %bb.176:
	global_load_b32 v3, v[0:1], off
	s_mov_b32 s17, 0
	s_wait_loadcnt 0x0
	v_cvt_f32_u32_e32 v3, v3
	s_delay_alu instid0(VALU_DEP_1)
	v_cvt_f16_f32_e32 v3, v3
	s_branch .LBB182_179
.LBB182_177:
	s_mov_b32 s17, -1
                                        ; implicit-def: $vgpr3
	s_branch .LBB182_182
.LBB182_178:
	s_mov_b32 s17, -1
                                        ; implicit-def: $vgpr3
.LBB182_179:
	s_delay_alu instid0(SALU_CYCLE_1)
	s_and_not1_b32 vcc_lo, exec_lo, s17
	s_cbranch_vccnz .LBB182_181
; %bb.180:
	global_load_u16 v3, v[0:1], off
	s_wait_loadcnt 0x0
	v_cvt_f16_u16_e32 v3, v3
.LBB182_181:
	s_mov_b32 s17, 0
.LBB182_182:
	s_delay_alu instid0(SALU_CYCLE_1)
	s_and_not1_b32 vcc_lo, exec_lo, s17
	s_cbranch_vccnz .LBB182_190
; %bb.183:
	global_load_u8 v4, v[0:1], off
	s_mov_b32 s17, 0
	s_mov_b32 s24, exec_lo
	s_wait_loadcnt 0x0
	v_cmpx_lt_i16_e32 0x7f, v4
	s_xor_b32 s24, exec_lo, s24
	s_cbranch_execz .LBB182_204
; %bb.184:
	s_mov_b32 s17, -1
	s_mov_b32 s25, exec_lo
	v_cmpx_eq_u16_e32 0x80, v4
; %bb.185:
	s_xor_b32 s17, exec_lo, -1
; %bb.186:
	s_or_b32 exec_lo, exec_lo, s25
	s_delay_alu instid0(SALU_CYCLE_1)
	s_and_b32 s17, s17, exec_lo
	s_or_saveexec_b32 s24, s24
	v_mov_b32_e32 v3, 0x7e00
	s_xor_b32 exec_lo, exec_lo, s24
	s_cbranch_execnz .LBB182_205
.LBB182_187:
	s_or_b32 exec_lo, exec_lo, s24
	s_and_saveexec_b32 s24, s17
	s_cbranch_execz .LBB182_189
.LBB182_188:
	v_and_b32_e32 v3, 0xffff, v4
	s_delay_alu instid0(VALU_DEP_1) | instskip(SKIP_1) | instid1(VALU_DEP_2)
	v_dual_lshlrev_b32 v4, 24, v4 :: v_dual_bitop2_b32 v5, 7, v3 bitop3:0x40
	v_bfe_u32 v9, v3, 3, 4
	v_and_b32_e32 v4, 0x80000000, v4
	s_delay_alu instid0(VALU_DEP_3) | instskip(NEXT) | instid1(VALU_DEP_3)
	v_clz_i32_u32_e32 v7, v5
	v_cmp_eq_u32_e32 vcc_lo, 0, v9
	s_delay_alu instid0(VALU_DEP_2) | instskip(NEXT) | instid1(VALU_DEP_1)
	v_min_u32_e32 v7, 32, v7
	v_subrev_nc_u32_e32 v8, 28, v7
	v_sub_nc_u32_e32 v7, 29, v7
	s_delay_alu instid0(VALU_DEP_2) | instskip(NEXT) | instid1(VALU_DEP_2)
	v_lshlrev_b32_e32 v3, v8, v3
	v_cndmask_b32_e32 v7, v9, v7, vcc_lo
	s_delay_alu instid0(VALU_DEP_2) | instskip(NEXT) | instid1(VALU_DEP_1)
	v_and_b32_e32 v3, 7, v3
	v_cndmask_b32_e32 v3, v5, v3, vcc_lo
	s_delay_alu instid0(VALU_DEP_3) | instskip(NEXT) | instid1(VALU_DEP_2)
	v_lshl_add_u32 v5, v7, 23, 0x3b800000
	v_lshlrev_b32_e32 v3, 20, v3
	s_delay_alu instid0(VALU_DEP_1) | instskip(NEXT) | instid1(VALU_DEP_1)
	v_or3_b32 v3, v4, v5, v3
	v_cvt_f16_f32_e32 v3, v3
.LBB182_189:
	s_or_b32 exec_lo, exec_lo, s24
.LBB182_190:
	s_mov_b32 s17, -1
.LBB182_191:
	s_mov_b32 s24, 0
.LBB182_192:
	s_delay_alu instid0(SALU_CYCLE_1)
	s_and_b32 vcc_lo, exec_lo, s24
	s_cbranch_vccz .LBB182_227
; %bb.193:
	s_cmp_gt_i32 s0, 22
	s_cbranch_scc0 .LBB182_203
; %bb.194:
	s_cmp_lt_i32 s0, 24
	s_cbranch_scc1 .LBB182_206
; %bb.195:
	s_cmp_gt_i32 s0, 24
	s_cbranch_scc0 .LBB182_207
; %bb.196:
	global_load_u8 v4, v[0:1], off
	s_mov_b32 s17, 0
	s_mov_b32 s24, exec_lo
	s_wait_loadcnt 0x0
	v_cmpx_lt_i16_e32 0x7f, v4
	s_xor_b32 s24, exec_lo, s24
	s_cbranch_execz .LBB182_219
; %bb.197:
	s_mov_b32 s17, -1
	s_mov_b32 s25, exec_lo
	v_cmpx_eq_u16_e32 0x80, v4
; %bb.198:
	s_xor_b32 s17, exec_lo, -1
; %bb.199:
	s_or_b32 exec_lo, exec_lo, s25
	s_delay_alu instid0(SALU_CYCLE_1)
	s_and_b32 s17, s17, exec_lo
	s_or_saveexec_b32 s24, s24
	v_mov_b32_e32 v3, 0x7e00
	s_xor_b32 exec_lo, exec_lo, s24
	s_cbranch_execnz .LBB182_220
.LBB182_200:
	s_or_b32 exec_lo, exec_lo, s24
	s_and_saveexec_b32 s24, s17
	s_cbranch_execz .LBB182_202
.LBB182_201:
	v_and_b32_e32 v3, 0xffff, v4
	s_delay_alu instid0(VALU_DEP_1) | instskip(SKIP_1) | instid1(VALU_DEP_2)
	v_dual_lshlrev_b32 v4, 24, v4 :: v_dual_bitop2_b32 v5, 3, v3 bitop3:0x40
	v_bfe_u32 v9, v3, 2, 5
	v_and_b32_e32 v4, 0x80000000, v4
	s_delay_alu instid0(VALU_DEP_3) | instskip(NEXT) | instid1(VALU_DEP_3)
	v_clz_i32_u32_e32 v7, v5
	v_cmp_eq_u32_e32 vcc_lo, 0, v9
	s_delay_alu instid0(VALU_DEP_2) | instskip(NEXT) | instid1(VALU_DEP_1)
	v_min_u32_e32 v7, 32, v7
	v_subrev_nc_u32_e32 v8, 29, v7
	v_sub_nc_u32_e32 v7, 30, v7
	s_delay_alu instid0(VALU_DEP_2) | instskip(NEXT) | instid1(VALU_DEP_2)
	v_lshlrev_b32_e32 v3, v8, v3
	v_cndmask_b32_e32 v7, v9, v7, vcc_lo
	s_delay_alu instid0(VALU_DEP_2) | instskip(NEXT) | instid1(VALU_DEP_1)
	v_and_b32_e32 v3, 3, v3
	v_cndmask_b32_e32 v3, v5, v3, vcc_lo
	s_delay_alu instid0(VALU_DEP_3) | instskip(NEXT) | instid1(VALU_DEP_2)
	v_lshl_add_u32 v5, v7, 23, 0x37800000
	v_lshlrev_b32_e32 v3, 21, v3
	s_delay_alu instid0(VALU_DEP_1) | instskip(NEXT) | instid1(VALU_DEP_1)
	v_or3_b32 v3, v4, v5, v3
	v_cvt_f16_f32_e32 v3, v3
.LBB182_202:
	s_or_b32 exec_lo, exec_lo, s24
	s_mov_b32 s17, 0
	s_branch .LBB182_208
.LBB182_203:
	s_mov_b32 s24, -1
                                        ; implicit-def: $vgpr3
	s_branch .LBB182_214
.LBB182_204:
	s_or_saveexec_b32 s24, s24
	v_mov_b32_e32 v3, 0x7e00
	s_xor_b32 exec_lo, exec_lo, s24
	s_cbranch_execz .LBB182_187
.LBB182_205:
	v_cmp_ne_u16_e32 vcc_lo, 0, v4
	v_mov_b32_e32 v3, v4
	s_and_not1_b32 s17, s17, exec_lo
	s_and_b32 s25, vcc_lo, exec_lo
	s_delay_alu instid0(SALU_CYCLE_1)
	s_or_b32 s17, s17, s25
	s_or_b32 exec_lo, exec_lo, s24
	s_and_saveexec_b32 s24, s17
	s_cbranch_execnz .LBB182_188
	s_branch .LBB182_189
.LBB182_206:
	s_mov_b32 s17, -1
                                        ; implicit-def: $vgpr3
	s_branch .LBB182_211
.LBB182_207:
	s_mov_b32 s17, -1
                                        ; implicit-def: $vgpr3
.LBB182_208:
	s_delay_alu instid0(SALU_CYCLE_1)
	s_and_b32 vcc_lo, exec_lo, s17
	s_cbranch_vccz .LBB182_210
; %bb.209:
	global_load_u8 v3, v[0:1], off
	s_wait_loadcnt 0x0
	v_lshlrev_b32_e32 v3, 24, v3
	s_delay_alu instid0(VALU_DEP_1) | instskip(NEXT) | instid1(VALU_DEP_1)
	v_and_b32_e32 v4, 0x7f000000, v3
	v_clz_i32_u32_e32 v5, v4
	v_add_nc_u32_e32 v8, 0x1000000, v4
	v_cmp_ne_u32_e32 vcc_lo, 0, v4
	s_delay_alu instid0(VALU_DEP_3) | instskip(NEXT) | instid1(VALU_DEP_1)
	v_min_u32_e32 v5, 32, v5
	v_sub_nc_u32_e64 v5, v5, 4 clamp
	s_delay_alu instid0(VALU_DEP_1) | instskip(NEXT) | instid1(VALU_DEP_1)
	v_dual_lshlrev_b32 v7, v5, v4 :: v_dual_lshlrev_b32 v5, 23, v5
	v_lshrrev_b32_e32 v7, 4, v7
	s_delay_alu instid0(VALU_DEP_1) | instskip(NEXT) | instid1(VALU_DEP_1)
	v_dual_sub_nc_u32 v5, v7, v5 :: v_dual_ashrrev_i32 v7, 8, v8
	v_add_nc_u32_e32 v5, 0x3c000000, v5
	s_delay_alu instid0(VALU_DEP_1) | instskip(NEXT) | instid1(VALU_DEP_1)
	v_and_or_b32 v5, 0x7f800000, v7, v5
	v_cndmask_b32_e32 v4, 0, v5, vcc_lo
	s_delay_alu instid0(VALU_DEP_1) | instskip(NEXT) | instid1(VALU_DEP_1)
	v_and_or_b32 v3, 0x80000000, v3, v4
	v_cvt_f16_f32_e32 v3, v3
.LBB182_210:
	s_mov_b32 s17, 0
.LBB182_211:
	s_delay_alu instid0(SALU_CYCLE_1)
	s_and_not1_b32 vcc_lo, exec_lo, s17
	s_cbranch_vccnz .LBB182_213
; %bb.212:
	global_load_u8 v3, v[0:1], off
	s_wait_loadcnt 0x0
	v_lshlrev_b32_e32 v4, 25, v3
	v_lshlrev_b16 v3, 8, v3
	s_delay_alu instid0(VALU_DEP_1) | instskip(NEXT) | instid1(VALU_DEP_3)
	v_and_or_b32 v7, 0x7f00, v3, 0.5
	v_lshrrev_b32_e32 v5, 4, v4
	v_bfe_i32 v3, v3, 0, 16
	s_delay_alu instid0(VALU_DEP_3) | instskip(NEXT) | instid1(VALU_DEP_3)
	v_add_f32_e32 v7, -0.5, v7
	v_or_b32_e32 v5, 0x70000000, v5
	s_delay_alu instid0(VALU_DEP_1) | instskip(SKIP_1) | instid1(VALU_DEP_2)
	v_mul_f32_e32 v5, 0x7800000, v5
	v_cmp_gt_u32_e32 vcc_lo, 0x8000000, v4
	v_cndmask_b32_e32 v4, v5, v7, vcc_lo
	s_delay_alu instid0(VALU_DEP_1) | instskip(NEXT) | instid1(VALU_DEP_1)
	v_and_or_b32 v3, 0x80000000, v3, v4
	v_cvt_f16_f32_e32 v3, v3
.LBB182_213:
	s_mov_b32 s24, 0
	s_mov_b32 s17, -1
.LBB182_214:
	s_and_not1_b32 vcc_lo, exec_lo, s24
	s_cbranch_vccnz .LBB182_227
; %bb.215:
	s_cmp_gt_i32 s0, 14
	s_cbranch_scc0 .LBB182_218
; %bb.216:
	s_cmp_eq_u32 s0, 15
	s_cbranch_scc0 .LBB182_221
; %bb.217:
	global_load_u16 v3, v[0:1], off
	s_mov_b32 s17, -1
	s_mov_b32 s19, 0
	s_wait_loadcnt 0x0
	v_lshlrev_b32_e32 v3, 16, v3
	s_delay_alu instid0(VALU_DEP_1)
	v_cvt_f16_f32_e32 v3, v3
	s_branch .LBB182_222
.LBB182_218:
	s_mov_b32 s24, -1
                                        ; implicit-def: $vgpr3
	s_branch .LBB182_223
.LBB182_219:
	s_or_saveexec_b32 s24, s24
	v_mov_b32_e32 v3, 0x7e00
	s_xor_b32 exec_lo, exec_lo, s24
	s_cbranch_execz .LBB182_200
.LBB182_220:
	v_cmp_ne_u16_e32 vcc_lo, 0, v4
	v_mov_b32_e32 v3, v4
	s_and_not1_b32 s17, s17, exec_lo
	s_and_b32 s25, vcc_lo, exec_lo
	s_delay_alu instid0(SALU_CYCLE_1)
	s_or_b32 s17, s17, s25
	s_or_b32 exec_lo, exec_lo, s24
	s_and_saveexec_b32 s24, s17
	s_cbranch_execnz .LBB182_201
	s_branch .LBB182_202
.LBB182_221:
	s_mov_b32 s19, -1
                                        ; implicit-def: $vgpr3
.LBB182_222:
	s_mov_b32 s24, 0
.LBB182_223:
	s_delay_alu instid0(SALU_CYCLE_1)
	s_and_b32 vcc_lo, exec_lo, s24
	s_cbranch_vccz .LBB182_227
; %bb.224:
	s_cmp_eq_u32 s0, 11
	s_cbranch_scc0 .LBB182_226
; %bb.225:
	global_load_u8 v3, v[0:1], off
	s_mov_b32 s19, 0
	s_mov_b32 s17, -1
	s_wait_loadcnt 0x0
	v_cmp_ne_u16_e32 vcc_lo, 0, v3
	v_cndmask_b32_e64 v3, 0, 0x3c00, vcc_lo
	s_branch .LBB182_227
.LBB182_226:
	s_mov_b32 s19, -1
                                        ; implicit-def: $vgpr3
.LBB182_227:
	s_mov_b32 s24, 0
.LBB182_228:
	s_delay_alu instid0(SALU_CYCLE_1)
	s_and_b32 vcc_lo, exec_lo, s24
	s_cbranch_vccz .LBB182_277
; %bb.229:
	s_cmp_lt_i32 s0, 5
	s_cbranch_scc1 .LBB182_234
; %bb.230:
	s_cmp_lt_i32 s0, 8
	s_cbranch_scc1 .LBB182_235
	;; [unrolled: 3-line block ×3, first 2 shown]
; %bb.232:
	s_cmp_gt_i32 s0, 9
	s_cbranch_scc0 .LBB182_237
; %bb.233:
	global_load_b64 v[4:5], v[0:1], off
	s_mov_b32 s17, 0
	s_wait_loadcnt 0x0
	v_and_or_b32 v3, 0x1ff, v5, v4
	v_lshrrev_b32_e32 v4, 8, v5
	v_bfe_u32 v7, v5, 20, 11
	s_delay_alu instid0(VALU_DEP_3) | instskip(NEXT) | instid1(VALU_DEP_2)
	v_cmp_ne_u32_e32 vcc_lo, 0, v3
	v_sub_nc_u32_e32 v8, 0x3f1, v7
	v_cndmask_b32_e64 v3, 0, 1, vcc_lo
	s_delay_alu instid0(VALU_DEP_1) | instskip(NEXT) | instid1(VALU_DEP_3)
	v_and_or_b32 v3, 0xffe, v4, v3
	v_med3_i32 v4, v8, 0, 13
	s_delay_alu instid0(VALU_DEP_2) | instskip(NEXT) | instid1(VALU_DEP_1)
	v_or_b32_e32 v8, 0x1000, v3
	v_lshrrev_b32_e32 v9, v4, v8
	s_delay_alu instid0(VALU_DEP_1) | instskip(NEXT) | instid1(VALU_DEP_1)
	v_lshlrev_b32_e32 v4, v4, v9
	v_cmp_ne_u32_e32 vcc_lo, v4, v8
	v_cndmask_b32_e64 v4, 0, 1, vcc_lo
	s_delay_alu instid0(VALU_DEP_1) | instskip(SKIP_1) | instid1(VALU_DEP_1)
	v_or_b32_e32 v4, v9, v4
	v_add_nc_u32_e32 v7, 0xfffffc10, v7
	v_lshl_or_b32 v8, v7, 12, v3
	v_cmp_gt_i32_e32 vcc_lo, 1, v7
	s_delay_alu instid0(VALU_DEP_2) | instskip(NEXT) | instid1(VALU_DEP_1)
	v_cndmask_b32_e32 v4, v8, v4, vcc_lo
	v_dual_lshrrev_b32 v4, 2, v4 :: v_dual_bitop2_b32 v8, 7, v4 bitop3:0x40
	s_delay_alu instid0(VALU_DEP_1) | instskip(SKIP_4) | instid1(VALU_DEP_2)
	v_cmp_lt_i32_e32 vcc_lo, 5, v8
	v_cndmask_b32_e64 v9, 0, 1, vcc_lo
	v_cmp_eq_u32_e32 vcc_lo, 3, v8
	v_cndmask_b32_e64 v8, 0, 1, vcc_lo
	v_cmp_ne_u32_e32 vcc_lo, 0, v3
	v_or_b32_e32 v8, v8, v9
	s_delay_alu instid0(VALU_DEP_1) | instskip(NEXT) | instid1(VALU_DEP_1)
	v_dual_mov_b32 v9, 0x7e00 :: v_dual_add_nc_u32 v4, v4, v8
	v_cndmask_b32_e32 v3, 0x7c00, v9, vcc_lo
	v_cmp_gt_i32_e32 vcc_lo, 31, v7
	s_delay_alu instid0(VALU_DEP_3) | instskip(SKIP_1) | instid1(VALU_DEP_2)
	v_cndmask_b32_e32 v4, 0x7c00, v4, vcc_lo
	v_cmp_eq_u32_e32 vcc_lo, 0x40f, v7
	v_dual_cndmask_b32 v3, v4, v3 :: v_dual_lshrrev_b32 v4, 16, v5
	s_delay_alu instid0(VALU_DEP_1)
	v_and_or_b32 v3, 0x8000, v4, v3
	s_branch .LBB182_238
.LBB182_234:
	s_mov_b32 s17, -1
                                        ; implicit-def: $vgpr3
	s_branch .LBB182_256
.LBB182_235:
	s_mov_b32 s17, -1
                                        ; implicit-def: $vgpr3
	s_branch .LBB182_244
.LBB182_236:
	s_mov_b32 s17, -1
                                        ; implicit-def: $vgpr3
	s_branch .LBB182_241
.LBB182_237:
	s_mov_b32 s17, -1
                                        ; implicit-def: $vgpr3
.LBB182_238:
	s_delay_alu instid0(SALU_CYCLE_1)
	s_and_not1_b32 vcc_lo, exec_lo, s17
	s_cbranch_vccnz .LBB182_240
; %bb.239:
	global_load_b32 v3, v[0:1], off
	s_wait_loadcnt 0x0
	v_cvt_f16_f32_e32 v3, v3
.LBB182_240:
	s_mov_b32 s17, 0
.LBB182_241:
	s_delay_alu instid0(SALU_CYCLE_1)
	s_and_not1_b32 vcc_lo, exec_lo, s17
	s_cbranch_vccnz .LBB182_243
; %bb.242:
	global_load_b32 v3, v[0:1], off
.LBB182_243:
	s_mov_b32 s17, 0
.LBB182_244:
	s_delay_alu instid0(SALU_CYCLE_1)
	s_and_not1_b32 vcc_lo, exec_lo, s17
	s_cbranch_vccnz .LBB182_255
; %bb.245:
	s_cmp_lt_i32 s0, 6
	s_cbranch_scc1 .LBB182_248
; %bb.246:
	s_cmp_gt_i32 s0, 6
	s_cbranch_scc0 .LBB182_249
; %bb.247:
	global_load_b64 v[4:5], v[0:1], off
	s_mov_b32 s17, 0
	s_wait_loadcnt 0x0
	v_and_or_b32 v3, 0x1ff, v5, v4
	v_lshrrev_b32_e32 v4, 8, v5
	v_bfe_u32 v7, v5, 20, 11
	s_delay_alu instid0(VALU_DEP_3) | instskip(NEXT) | instid1(VALU_DEP_2)
	v_cmp_ne_u32_e32 vcc_lo, 0, v3
	v_sub_nc_u32_e32 v8, 0x3f1, v7
	v_cndmask_b32_e64 v3, 0, 1, vcc_lo
	s_delay_alu instid0(VALU_DEP_1) | instskip(NEXT) | instid1(VALU_DEP_3)
	v_and_or_b32 v3, 0xffe, v4, v3
	v_med3_i32 v4, v8, 0, 13
	s_delay_alu instid0(VALU_DEP_2) | instskip(NEXT) | instid1(VALU_DEP_1)
	v_or_b32_e32 v8, 0x1000, v3
	v_lshrrev_b32_e32 v9, v4, v8
	s_delay_alu instid0(VALU_DEP_1) | instskip(NEXT) | instid1(VALU_DEP_1)
	v_lshlrev_b32_e32 v4, v4, v9
	v_cmp_ne_u32_e32 vcc_lo, v4, v8
	v_cndmask_b32_e64 v4, 0, 1, vcc_lo
	s_delay_alu instid0(VALU_DEP_1) | instskip(SKIP_1) | instid1(VALU_DEP_1)
	v_or_b32_e32 v4, v9, v4
	v_add_nc_u32_e32 v7, 0xfffffc10, v7
	v_lshl_or_b32 v8, v7, 12, v3
	v_cmp_gt_i32_e32 vcc_lo, 1, v7
	s_delay_alu instid0(VALU_DEP_2) | instskip(NEXT) | instid1(VALU_DEP_1)
	v_cndmask_b32_e32 v4, v8, v4, vcc_lo
	v_dual_lshrrev_b32 v4, 2, v4 :: v_dual_bitop2_b32 v8, 7, v4 bitop3:0x40
	s_delay_alu instid0(VALU_DEP_1) | instskip(SKIP_4) | instid1(VALU_DEP_2)
	v_cmp_lt_i32_e32 vcc_lo, 5, v8
	v_cndmask_b32_e64 v9, 0, 1, vcc_lo
	v_cmp_eq_u32_e32 vcc_lo, 3, v8
	v_cndmask_b32_e64 v8, 0, 1, vcc_lo
	v_cmp_ne_u32_e32 vcc_lo, 0, v3
	v_or_b32_e32 v8, v8, v9
	s_delay_alu instid0(VALU_DEP_1) | instskip(NEXT) | instid1(VALU_DEP_1)
	v_dual_mov_b32 v9, 0x7e00 :: v_dual_add_nc_u32 v4, v4, v8
	v_cndmask_b32_e32 v3, 0x7c00, v9, vcc_lo
	v_cmp_gt_i32_e32 vcc_lo, 31, v7
	s_delay_alu instid0(VALU_DEP_3) | instskip(SKIP_1) | instid1(VALU_DEP_2)
	v_cndmask_b32_e32 v4, 0x7c00, v4, vcc_lo
	v_cmp_eq_u32_e32 vcc_lo, 0x40f, v7
	v_dual_cndmask_b32 v3, v4, v3 :: v_dual_lshrrev_b32 v4, 16, v5
	s_delay_alu instid0(VALU_DEP_1)
	v_and_or_b32 v3, 0x8000, v4, v3
	s_branch .LBB182_250
.LBB182_248:
	s_mov_b32 s17, -1
                                        ; implicit-def: $vgpr3
	s_branch .LBB182_253
.LBB182_249:
	s_mov_b32 s17, -1
                                        ; implicit-def: $vgpr3
.LBB182_250:
	s_delay_alu instid0(SALU_CYCLE_1)
	s_and_not1_b32 vcc_lo, exec_lo, s17
	s_cbranch_vccnz .LBB182_252
; %bb.251:
	s_wait_loadcnt 0x0
	global_load_b32 v3, v[0:1], off
	s_wait_loadcnt 0x0
	v_cvt_f16_f32_e32 v3, v3
.LBB182_252:
	s_mov_b32 s17, 0
.LBB182_253:
	s_delay_alu instid0(SALU_CYCLE_1)
	s_and_not1_b32 vcc_lo, exec_lo, s17
	s_cbranch_vccnz .LBB182_255
; %bb.254:
	s_wait_loadcnt 0x0
	global_load_u16 v3, v[0:1], off
.LBB182_255:
	s_mov_b32 s17, 0
.LBB182_256:
	s_delay_alu instid0(SALU_CYCLE_1)
	s_and_not1_b32 vcc_lo, exec_lo, s17
	s_cbranch_vccnz .LBB182_276
; %bb.257:
	s_cmp_lt_i32 s0, 2
	s_cbranch_scc1 .LBB182_261
; %bb.258:
	s_cmp_lt_i32 s0, 3
	s_cbranch_scc1 .LBB182_262
; %bb.259:
	s_cmp_gt_i32 s0, 3
	s_cbranch_scc0 .LBB182_263
; %bb.260:
	global_load_b64 v[4:5], v[0:1], off
	s_mov_b32 s17, 0
	s_wait_loadcnt 0x0
	v_xor_b32_e32 v3, v4, v5
	v_cls_i32_e32 v7, v5
	s_delay_alu instid0(VALU_DEP_2) | instskip(NEXT) | instid1(VALU_DEP_1)
	v_ashrrev_i32_e32 v3, 31, v3
	v_add_nc_u32_e32 v3, 32, v3
	s_delay_alu instid0(VALU_DEP_1) | instskip(NEXT) | instid1(VALU_DEP_1)
	v_add_min_u32_e64 v3, v7, -1, v3
	v_lshlrev_b64_e32 v[4:5], v3, v[4:5]
	v_sub_nc_u32_e32 v3, 32, v3
	s_delay_alu instid0(VALU_DEP_2) | instskip(NEXT) | instid1(VALU_DEP_1)
	v_min_u32_e32 v4, 1, v4
	v_or_b32_e32 v4, v5, v4
	s_delay_alu instid0(VALU_DEP_1) | instskip(NEXT) | instid1(VALU_DEP_1)
	v_cvt_f32_i32_e32 v4, v4
	v_ldexp_f32 v3, v4, v3
	s_delay_alu instid0(VALU_DEP_1)
	v_cvt_f16_f32_e32 v3, v3
	s_branch .LBB182_264
.LBB182_261:
	s_mov_b32 s17, -1
                                        ; implicit-def: $vgpr3
	s_branch .LBB182_270
.LBB182_262:
	s_mov_b32 s17, -1
                                        ; implicit-def: $vgpr3
	s_branch .LBB182_267
.LBB182_263:
	s_mov_b32 s17, -1
                                        ; implicit-def: $vgpr3
.LBB182_264:
	s_delay_alu instid0(SALU_CYCLE_1)
	s_and_not1_b32 vcc_lo, exec_lo, s17
	s_cbranch_vccnz .LBB182_266
; %bb.265:
	s_wait_loadcnt 0x0
	global_load_b32 v3, v[0:1], off
	s_wait_loadcnt 0x0
	v_cvt_f32_i32_e32 v3, v3
	s_delay_alu instid0(VALU_DEP_1)
	v_cvt_f16_f32_e32 v3, v3
.LBB182_266:
	s_mov_b32 s17, 0
.LBB182_267:
	s_delay_alu instid0(SALU_CYCLE_1)
	s_and_not1_b32 vcc_lo, exec_lo, s17
	s_cbranch_vccnz .LBB182_269
; %bb.268:
	s_wait_loadcnt 0x0
	global_load_u16 v3, v[0:1], off
	s_wait_loadcnt 0x0
	v_cvt_f16_i16_e32 v3, v3
.LBB182_269:
	s_mov_b32 s17, 0
.LBB182_270:
	s_delay_alu instid0(SALU_CYCLE_1)
	s_and_not1_b32 vcc_lo, exec_lo, s17
	s_cbranch_vccnz .LBB182_276
; %bb.271:
	s_cmp_gt_i32 s0, 0
	s_mov_b32 s0, 0
	s_cbranch_scc0 .LBB182_273
; %bb.272:
	s_wait_loadcnt 0x0
	global_load_i8 v3, v[0:1], off
	s_wait_loadcnt 0x0
	v_cvt_f16_i16_e32 v3, v3
	s_branch .LBB182_274
.LBB182_273:
	s_mov_b32 s0, -1
                                        ; implicit-def: $vgpr3
.LBB182_274:
	s_delay_alu instid0(SALU_CYCLE_1)
	s_and_not1_b32 vcc_lo, exec_lo, s0
	s_cbranch_vccnz .LBB182_276
; %bb.275:
	global_load_u8 v0, v[0:1], off
	s_wait_loadcnt 0x0
	v_cvt_f16_u16_e32 v3, v0
.LBB182_276:
	s_mov_b32 s17, -1
.LBB182_277:
	s_delay_alu instid0(SALU_CYCLE_1)
	s_and_not1_b32 vcc_lo, exec_lo, s17
	s_cbranch_vccnz .LBB182_285
; %bb.278:
	s_wait_xcnt 0x0
	v_mul_lo_u32 v0, v6, s11
	s_wait_loadcnt 0x0
	v_mul_f16_e32 v2, s10, v2
	s_and_b32 s17, s12, 0xff
	s_delay_alu instid0(SALU_CYCLE_1) | instskip(NEXT) | instid1(VALU_DEP_1)
	s_cmp_lt_i32 s17, 11
	v_mul_f16_e32 v2, v2, v3
	s_delay_alu instid0(VALU_DEP_3) | instskip(NEXT) | instid1(VALU_DEP_1)
	v_ashrrev_i32_e32 v1, 31, v0
	v_add_nc_u64_e32 v[0:1], s[2:3], v[0:1]
	s_cbranch_scc1 .LBB182_286
; %bb.279:
	s_and_b32 s24, 0xffff, s17
	s_delay_alu instid0(SALU_CYCLE_1)
	s_cmp_gt_i32 s24, 25
	s_cbranch_scc0 .LBB182_287
; %bb.280:
	s_cmp_gt_i32 s24, 28
	s_cbranch_scc0 .LBB182_288
; %bb.281:
	;; [unrolled: 3-line block ×4, first 2 shown]
	s_mov_b32 s26, 0
	s_mov_b32 s0, -1
	s_cmp_eq_u32 s24, 46
	s_mov_b32 s25, 0
	s_cbranch_scc0 .LBB182_291
; %bb.284:
	v_cvt_f32_f16_e32 v3, v2
	v_cmp_o_f16_e32 vcc_lo, v2, v2
	s_mov_b32 s25, -1
	s_mov_b32 s0, 0
	s_delay_alu instid0(VALU_DEP_2) | instskip(NEXT) | instid1(VALU_DEP_1)
	v_bfe_u32 v4, v3, 16, 1
	v_add3_u32 v3, v3, v4, 0x7fff
	s_delay_alu instid0(VALU_DEP_1) | instskip(NEXT) | instid1(VALU_DEP_1)
	v_lshrrev_b32_e32 v3, 16, v3
	v_cndmask_b32_e32 v3, 0x7fc0, v3, vcc_lo
	global_store_b32 v[0:1], v3, off
	s_branch .LBB182_291
.LBB182_285:
	s_mov_b32 s0, 0
	s_mov_b32 s24, 0
                                        ; implicit-def: $vgpr6
	s_branch .LBB182_401
.LBB182_286:
	s_mov_b32 s24, -1
	s_mov_b32 s0, 0
	s_mov_b32 s25, 0
	s_branch .LBB182_360
.LBB182_287:
	s_mov_b32 s26, -1
	s_mov_b32 s0, 0
	s_mov_b32 s25, 0
	s_branch .LBB182_318
.LBB182_288:
	s_mov_b32 s26, -1
	s_mov_b32 s0, 0
	s_mov_b32 s25, 0
	s_branch .LBB182_301
.LBB182_289:
	s_mov_b32 s26, -1
	s_mov_b32 s0, 0
	s_mov_b32 s25, 0
	s_branch .LBB182_297
.LBB182_290:
	s_mov_b32 s26, -1
	s_mov_b32 s0, 0
	s_mov_b32 s25, 0
.LBB182_291:
	s_and_b32 vcc_lo, exec_lo, s26
	s_cbranch_vccz .LBB182_296
; %bb.292:
	s_cmp_eq_u32 s24, 44
	s_mov_b32 s0, -1
	s_cbranch_scc0 .LBB182_296
; %bb.293:
	s_wait_xcnt 0x0
	v_cvt_f32_f16_e32 v3, v2
	v_mov_b32_e32 v4, 0xff
	s_mov_b32 s25, exec_lo
	s_delay_alu instid0(VALU_DEP_2) | instskip(NEXT) | instid1(VALU_DEP_1)
	v_bfe_u32 v5, v3, 23, 8
	v_cmpx_ne_u32_e32 0xff, v5
	s_cbranch_execz .LBB182_295
; %bb.294:
	v_and_b32_e32 v4, 0x400000, v3
	v_and_or_b32 v5, 0x3fffff, v3, v5
	v_lshrrev_b32_e32 v3, 23, v3
	s_delay_alu instid0(VALU_DEP_3) | instskip(NEXT) | instid1(VALU_DEP_3)
	v_cmp_ne_u32_e32 vcc_lo, 0, v4
	v_cmp_ne_u32_e64 s0, 0, v5
	s_and_b32 s0, vcc_lo, s0
	s_delay_alu instid0(SALU_CYCLE_1) | instskip(NEXT) | instid1(VALU_DEP_1)
	v_cndmask_b32_e64 v4, 0, 1, s0
	v_add_nc_u32_e32 v4, v3, v4
.LBB182_295:
	s_or_b32 exec_lo, exec_lo, s25
	s_mov_b32 s25, -1
	s_mov_b32 s0, 0
	global_store_b8 v[0:1], v4, off
.LBB182_296:
	s_mov_b32 s26, 0
.LBB182_297:
	s_delay_alu instid0(SALU_CYCLE_1)
	s_and_b32 vcc_lo, exec_lo, s26
	s_cbranch_vccz .LBB182_300
; %bb.298:
	s_cmp_eq_u32 s24, 29
	s_mov_b32 s0, -1
	s_cbranch_scc0 .LBB182_300
; %bb.299:
	s_wait_xcnt 0x0
	v_cvt_f32_f16_e32 v3, v2
	v_mov_b32_e32 v5, 0
	s_mov_b32 s25, -1
	s_mov_b32 s0, 0
	s_mov_b32 s26, 0
	v_cvt_u32_f32_e32 v4, v3
	global_store_b64 v[0:1], v[4:5], off
	s_branch .LBB182_301
.LBB182_300:
	s_mov_b32 s26, 0
.LBB182_301:
	s_delay_alu instid0(SALU_CYCLE_1)
	s_and_b32 vcc_lo, exec_lo, s26
	s_cbranch_vccz .LBB182_317
; %bb.302:
	s_cmp_lt_i32 s24, 27
	s_mov_b32 s25, -1
	s_cbranch_scc1 .LBB182_308
; %bb.303:
	s_cmp_gt_i32 s24, 27
	s_cbranch_scc0 .LBB182_305
; %bb.304:
	s_wait_xcnt 0x0
	v_cvt_f32_f16_e32 v3, v2
	s_mov_b32 s25, 0
	s_delay_alu instid0(VALU_DEP_1)
	v_cvt_u32_f32_e32 v3, v3
	global_store_b32 v[0:1], v3, off
.LBB182_305:
	s_and_not1_b32 vcc_lo, exec_lo, s25
	s_cbranch_vccnz .LBB182_307
; %bb.306:
	s_wait_xcnt 0x0
	v_cvt_u16_f16_e32 v3, v2
	global_store_b16 v[0:1], v3, off
.LBB182_307:
	s_mov_b32 s25, 0
.LBB182_308:
	s_delay_alu instid0(SALU_CYCLE_1)
	s_and_not1_b32 vcc_lo, exec_lo, s25
	s_cbranch_vccnz .LBB182_316
; %bb.309:
	s_wait_xcnt 0x0
	v_cvt_f32_f16_e32 v3, v2
	v_mov_b32_e32 v5, 0x80
	s_mov_b32 s25, exec_lo
	s_delay_alu instid0(VALU_DEP_2) | instskip(NEXT) | instid1(VALU_DEP_1)
	v_and_b32_e32 v4, 0x7fffffff, v3
	v_cmpx_gt_u32_e32 0x43800000, v4
	s_cbranch_execz .LBB182_315
; %bb.310:
	v_cmp_lt_u32_e32 vcc_lo, 0x3bffffff, v4
	s_mov_b32 s26, 0
                                        ; implicit-def: $vgpr4
	s_and_saveexec_b32 s27, vcc_lo
	s_delay_alu instid0(SALU_CYCLE_1)
	s_xor_b32 s27, exec_lo, s27
	s_cbranch_execz .LBB182_436
; %bb.311:
	v_bfe_u32 v4, v3, 20, 1
	s_mov_b32 s26, exec_lo
	s_delay_alu instid0(VALU_DEP_1) | instskip(NEXT) | instid1(VALU_DEP_1)
	v_add3_u32 v4, v3, v4, 0x487ffff
	v_lshrrev_b32_e32 v4, 20, v4
	s_and_not1_saveexec_b32 s27, s27
	s_cbranch_execnz .LBB182_437
.LBB182_312:
	s_or_b32 exec_lo, exec_lo, s27
	v_mov_b32_e32 v5, 0
	s_and_saveexec_b32 s27, s26
.LBB182_313:
	v_lshrrev_b32_e32 v3, 24, v3
	s_delay_alu instid0(VALU_DEP_1)
	v_and_or_b32 v5, 0x80, v3, v4
.LBB182_314:
	s_or_b32 exec_lo, exec_lo, s27
.LBB182_315:
	s_delay_alu instid0(SALU_CYCLE_1)
	s_or_b32 exec_lo, exec_lo, s25
	global_store_b8 v[0:1], v5, off
.LBB182_316:
	s_mov_b32 s25, -1
.LBB182_317:
	s_mov_b32 s26, 0
.LBB182_318:
	s_delay_alu instid0(SALU_CYCLE_1)
	s_and_b32 vcc_lo, exec_lo, s26
	s_cbranch_vccz .LBB182_359
; %bb.319:
	s_cmp_gt_i32 s24, 22
	s_mov_b32 s26, -1
	s_cbranch_scc0 .LBB182_351
; %bb.320:
	s_cmp_lt_i32 s24, 24
	s_mov_b32 s25, -1
	s_cbranch_scc1 .LBB182_340
; %bb.321:
	s_cmp_gt_i32 s24, 24
	s_cbranch_scc0 .LBB182_329
; %bb.322:
	s_wait_xcnt 0x0
	v_cvt_f32_f16_e32 v3, v2
	v_mov_b32_e32 v5, 0x80
	s_mov_b32 s25, exec_lo
	s_delay_alu instid0(VALU_DEP_2) | instskip(NEXT) | instid1(VALU_DEP_1)
	v_and_b32_e32 v4, 0x7fffffff, v3
	v_cmpx_gt_u32_e32 0x47800000, v4
	s_cbranch_execz .LBB182_328
; %bb.323:
	v_cmp_lt_u32_e32 vcc_lo, 0x37ffffff, v4
	s_mov_b32 s26, 0
                                        ; implicit-def: $vgpr4
	s_and_saveexec_b32 s27, vcc_lo
	s_delay_alu instid0(SALU_CYCLE_1)
	s_xor_b32 s27, exec_lo, s27
	s_cbranch_execz .LBB182_567
; %bb.324:
	v_bfe_u32 v4, v3, 21, 1
	s_mov_b32 s26, exec_lo
	s_delay_alu instid0(VALU_DEP_1) | instskip(NEXT) | instid1(VALU_DEP_1)
	v_add3_u32 v4, v3, v4, 0x88fffff
	v_lshrrev_b32_e32 v4, 21, v4
	s_and_not1_saveexec_b32 s27, s27
	s_cbranch_execnz .LBB182_568
.LBB182_325:
	s_or_b32 exec_lo, exec_lo, s27
	v_mov_b32_e32 v5, 0
	s_and_saveexec_b32 s27, s26
.LBB182_326:
	v_lshrrev_b32_e32 v3, 24, v3
	s_delay_alu instid0(VALU_DEP_1)
	v_and_or_b32 v5, 0x80, v3, v4
.LBB182_327:
	s_or_b32 exec_lo, exec_lo, s27
.LBB182_328:
	s_delay_alu instid0(SALU_CYCLE_1)
	s_or_b32 exec_lo, exec_lo, s25
	s_mov_b32 s25, 0
	global_store_b8 v[0:1], v5, off
.LBB182_329:
	s_and_b32 vcc_lo, exec_lo, s25
	s_cbranch_vccz .LBB182_339
; %bb.330:
	s_wait_xcnt 0x0
	v_cvt_f32_f16_e32 v3, v2
	s_mov_b32 s25, exec_lo
                                        ; implicit-def: $vgpr4
	s_delay_alu instid0(VALU_DEP_1) | instskip(NEXT) | instid1(VALU_DEP_1)
	v_and_b32_e32 v5, 0x7fffffff, v3
	v_cmpx_gt_u32_e32 0x43f00000, v5
	s_xor_b32 s25, exec_lo, s25
	s_cbranch_execz .LBB182_336
; %bb.331:
	s_mov_b32 s26, exec_lo
                                        ; implicit-def: $vgpr4
	v_cmpx_lt_u32_e32 0x3c7fffff, v5
	s_xor_b32 s26, exec_lo, s26
; %bb.332:
	v_bfe_u32 v4, v3, 20, 1
	s_delay_alu instid0(VALU_DEP_1) | instskip(NEXT) | instid1(VALU_DEP_1)
	v_add3_u32 v4, v3, v4, 0x407ffff
	v_and_b32_e32 v5, 0xff00000, v4
	v_lshrrev_b32_e32 v4, 20, v4
	s_delay_alu instid0(VALU_DEP_2) | instskip(NEXT) | instid1(VALU_DEP_2)
	v_cmp_ne_u32_e32 vcc_lo, 0x7f00000, v5
	v_cndmask_b32_e32 v4, 0x7e, v4, vcc_lo
; %bb.333:
	s_and_not1_saveexec_b32 s26, s26
; %bb.334:
	v_add_f32_e64 v4, 0x46800000, |v3|
; %bb.335:
	s_or_b32 exec_lo, exec_lo, s26
                                        ; implicit-def: $vgpr5
.LBB182_336:
	s_and_not1_saveexec_b32 s25, s25
; %bb.337:
	v_mov_b32_e32 v4, 0x7f
	v_cmp_lt_u32_e32 vcc_lo, 0x7f800000, v5
	s_delay_alu instid0(VALU_DEP_2)
	v_cndmask_b32_e32 v4, 0x7e, v4, vcc_lo
; %bb.338:
	s_or_b32 exec_lo, exec_lo, s25
	v_lshrrev_b32_e32 v3, 24, v3
	s_delay_alu instid0(VALU_DEP_1)
	v_and_or_b32 v3, 0x80, v3, v4
	global_store_b8 v[0:1], v3, off
.LBB182_339:
	s_mov_b32 s25, 0
.LBB182_340:
	s_delay_alu instid0(SALU_CYCLE_1)
	s_and_not1_b32 vcc_lo, exec_lo, s25
	s_cbranch_vccnz .LBB182_350
; %bb.341:
	s_wait_xcnt 0x0
	v_cvt_f32_f16_e32 v3, v2
	s_mov_b32 s25, exec_lo
                                        ; implicit-def: $vgpr4
	s_delay_alu instid0(VALU_DEP_1) | instskip(NEXT) | instid1(VALU_DEP_1)
	v_and_b32_e32 v5, 0x7fffffff, v3
	v_cmpx_gt_u32_e32 0x47800000, v5
	s_xor_b32 s25, exec_lo, s25
	s_cbranch_execz .LBB182_347
; %bb.342:
	s_mov_b32 s26, exec_lo
                                        ; implicit-def: $vgpr4
	v_cmpx_lt_u32_e32 0x387fffff, v5
	s_xor_b32 s26, exec_lo, s26
; %bb.343:
	v_bfe_u32 v4, v3, 21, 1
	s_delay_alu instid0(VALU_DEP_1) | instskip(NEXT) | instid1(VALU_DEP_1)
	v_add3_u32 v4, v3, v4, 0x80fffff
	v_lshrrev_b32_e32 v4, 21, v4
; %bb.344:
	s_and_not1_saveexec_b32 s26, s26
; %bb.345:
	v_add_f32_e64 v4, 0x43000000, |v3|
; %bb.346:
	s_or_b32 exec_lo, exec_lo, s26
                                        ; implicit-def: $vgpr5
.LBB182_347:
	s_and_not1_saveexec_b32 s25, s25
; %bb.348:
	v_mov_b32_e32 v4, 0x7f
	v_cmp_lt_u32_e32 vcc_lo, 0x7f800000, v5
	s_delay_alu instid0(VALU_DEP_2)
	v_cndmask_b32_e32 v4, 0x7c, v4, vcc_lo
; %bb.349:
	s_or_b32 exec_lo, exec_lo, s25
	v_lshrrev_b32_e32 v3, 24, v3
	s_delay_alu instid0(VALU_DEP_1)
	v_and_or_b32 v3, 0x80, v3, v4
	global_store_b8 v[0:1], v3, off
.LBB182_350:
	s_mov_b32 s26, 0
	s_mov_b32 s25, -1
.LBB182_351:
	s_and_not1_b32 vcc_lo, exec_lo, s26
	s_cbranch_vccnz .LBB182_359
; %bb.352:
	s_cmp_gt_i32 s24, 14
	s_mov_b32 s26, -1
	s_cbranch_scc0 .LBB182_356
; %bb.353:
	s_cmp_eq_u32 s24, 15
	s_mov_b32 s0, -1
	s_cbranch_scc0 .LBB182_355
; %bb.354:
	s_wait_xcnt 0x0
	v_cvt_f32_f16_e32 v3, v2
	v_cmp_o_f16_e32 vcc_lo, v2, v2
	s_mov_b32 s25, -1
	s_mov_b32 s0, 0
	s_delay_alu instid0(VALU_DEP_2) | instskip(NEXT) | instid1(VALU_DEP_1)
	v_bfe_u32 v4, v3, 16, 1
	v_add3_u32 v3, v3, v4, 0x7fff
	s_delay_alu instid0(VALU_DEP_1) | instskip(NEXT) | instid1(VALU_DEP_1)
	v_lshrrev_b32_e32 v3, 16, v3
	v_cndmask_b32_e32 v3, 0x7fc0, v3, vcc_lo
	global_store_b16 v[0:1], v3, off
.LBB182_355:
	s_mov_b32 s26, 0
.LBB182_356:
	s_delay_alu instid0(SALU_CYCLE_1)
	s_and_b32 vcc_lo, exec_lo, s26
	s_cbranch_vccz .LBB182_359
; %bb.357:
	s_cmp_eq_u32 s24, 11
	s_mov_b32 s0, -1
	s_cbranch_scc0 .LBB182_359
; %bb.358:
	v_cmp_neq_f16_e32 vcc_lo, 0, v2
	s_mov_b32 s0, 0
	s_mov_b32 s25, -1
	s_wait_xcnt 0x0
	v_cndmask_b32_e64 v3, 0, 1, vcc_lo
	global_store_b8 v[0:1], v3, off
.LBB182_359:
	s_mov_b32 s24, 0
.LBB182_360:
	s_delay_alu instid0(SALU_CYCLE_1)
	s_and_b32 vcc_lo, exec_lo, s24
	s_cbranch_vccz .LBB182_399
; %bb.361:
	s_and_b32 s17, 0xffff, s17
	s_mov_b32 s24, -1
	s_cmp_lt_i32 s17, 5
	s_cbranch_scc1 .LBB182_382
; %bb.362:
	s_cmp_lt_i32 s17, 8
	s_cbranch_scc1 .LBB182_372
; %bb.363:
	;; [unrolled: 3-line block ×3, first 2 shown]
	s_cmp_gt_i32 s17, 9
	s_cbranch_scc0 .LBB182_366
; %bb.365:
	s_wait_xcnt 0x0
	v_cvt_f32_f16_e32 v3, v2
	v_mov_b32_e32 v10, 0
	s_mov_b32 s24, 0
	s_delay_alu instid0(VALU_DEP_2) | instskip(NEXT) | instid1(VALU_DEP_2)
	v_cvt_f64_f32_e32 v[8:9], v3
	v_mov_b32_e32 v11, v10
	global_store_b128 v[0:1], v[8:11], off
.LBB182_366:
	s_and_not1_b32 vcc_lo, exec_lo, s24
	s_cbranch_vccnz .LBB182_368
; %bb.367:
	s_wait_xcnt 0x0
	v_cvt_f32_f16_e32 v4, v2
	v_mov_b32_e32 v5, 0
	global_store_b64 v[0:1], v[4:5], off
.LBB182_368:
	s_mov_b32 s24, 0
.LBB182_369:
	s_delay_alu instid0(SALU_CYCLE_1)
	s_and_not1_b32 vcc_lo, exec_lo, s24
	s_cbranch_vccnz .LBB182_371
; %bb.370:
	s_wait_xcnt 0x0
	v_and_b32_e32 v3, 0xffff, v2
	global_store_b32 v[0:1], v3, off
.LBB182_371:
	s_mov_b32 s24, 0
.LBB182_372:
	s_delay_alu instid0(SALU_CYCLE_1)
	s_and_not1_b32 vcc_lo, exec_lo, s24
	s_cbranch_vccnz .LBB182_381
; %bb.373:
	s_cmp_lt_i32 s17, 6
	s_mov_b32 s24, -1
	s_cbranch_scc1 .LBB182_379
; %bb.374:
	s_cmp_gt_i32 s17, 6
	s_cbranch_scc0 .LBB182_376
; %bb.375:
	s_wait_xcnt 0x0
	v_cvt_f32_f16_e32 v3, v2
	s_mov_b32 s24, 0
	s_delay_alu instid0(VALU_DEP_1)
	v_cvt_f64_f32_e32 v[4:5], v3
	global_store_b64 v[0:1], v[4:5], off
.LBB182_376:
	s_and_not1_b32 vcc_lo, exec_lo, s24
	s_cbranch_vccnz .LBB182_378
; %bb.377:
	s_wait_xcnt 0x0
	v_cvt_f32_f16_e32 v3, v2
	global_store_b32 v[0:1], v3, off
.LBB182_378:
	s_mov_b32 s24, 0
.LBB182_379:
	s_delay_alu instid0(SALU_CYCLE_1)
	s_and_not1_b32 vcc_lo, exec_lo, s24
	s_cbranch_vccnz .LBB182_381
; %bb.380:
	global_store_b16 v[0:1], v2, off
.LBB182_381:
	s_mov_b32 s24, 0
.LBB182_382:
	s_delay_alu instid0(SALU_CYCLE_1)
	s_and_not1_b32 vcc_lo, exec_lo, s24
	s_cbranch_vccnz .LBB182_398
; %bb.383:
	s_cmp_lt_i32 s17, 2
	s_mov_b32 s24, -1
	s_cbranch_scc1 .LBB182_393
; %bb.384:
	s_cmp_lt_i32 s17, 3
	s_cbranch_scc1 .LBB182_390
; %bb.385:
	s_cmp_gt_i32 s17, 3
	s_cbranch_scc0 .LBB182_387
; %bb.386:
	s_wait_xcnt 0x0
	v_cvt_f32_f16_e32 v3, v2
	s_mov_b32 s24, 0
	s_delay_alu instid0(VALU_DEP_1) | instskip(NEXT) | instid1(VALU_DEP_1)
	v_cvt_i32_f32_e32 v4, v3
	v_ashrrev_i32_e32 v5, 31, v4
	global_store_b64 v[0:1], v[4:5], off
.LBB182_387:
	s_and_not1_b32 vcc_lo, exec_lo, s24
	s_cbranch_vccnz .LBB182_389
; %bb.388:
	s_wait_xcnt 0x0
	v_cvt_f32_f16_e32 v3, v2
	s_delay_alu instid0(VALU_DEP_1)
	v_cvt_i32_f32_e32 v3, v3
	global_store_b32 v[0:1], v3, off
.LBB182_389:
	s_mov_b32 s24, 0
.LBB182_390:
	s_delay_alu instid0(SALU_CYCLE_1)
	s_and_not1_b32 vcc_lo, exec_lo, s24
	s_cbranch_vccnz .LBB182_392
; %bb.391:
	s_wait_xcnt 0x0
	v_cvt_i16_f16_e32 v3, v2
	global_store_b16 v[0:1], v3, off
.LBB182_392:
	s_mov_b32 s24, 0
.LBB182_393:
	s_delay_alu instid0(SALU_CYCLE_1)
	s_and_not1_b32 vcc_lo, exec_lo, s24
	s_cbranch_vccnz .LBB182_398
; %bb.394:
	s_cmp_gt_i32 s17, 0
	s_mov_b32 s17, -1
	s_cbranch_scc0 .LBB182_396
; %bb.395:
	s_wait_xcnt 0x0
	v_cvt_i16_f16_e32 v3, v2
	s_mov_b32 s17, 0
	global_store_b8 v[0:1], v3, off
.LBB182_396:
	s_and_not1_b32 vcc_lo, exec_lo, s17
	s_cbranch_vccnz .LBB182_398
; %bb.397:
	s_wait_xcnt 0x0
	v_cvt_f32_f16_e32 v2, v2
	s_delay_alu instid0(VALU_DEP_1)
	v_cvt_i32_f32_e32 v2, v2
	global_store_b8 v[0:1], v2, off
.LBB182_398:
	s_mov_b32 s25, -1
.LBB182_399:
	s_delay_alu instid0(SALU_CYCLE_1)
	s_and_not1_b32 vcc_lo, exec_lo, s25
	s_cbranch_vccnz .LBB182_27
; %bb.400:
	v_add_nc_u32_e32 v6, 0x80, v6
	s_mov_b32 s24, -1
.LBB182_401:
	s_and_b32 s17, s0, exec_lo
	s_and_b32 s19, s19, exec_lo
	;; [unrolled: 1-line block ×4, first 2 shown]
	s_or_not1_b32 s0, s24, exec_lo
.LBB182_402:
	s_wait_xcnt 0x0
	s_or_b32 exec_lo, exec_lo, s22
	s_and_saveexec_b32 s22, s0
	s_cbranch_execz .LBB182_1245
; %bb.403:
	s_mov_b32 s28, -1
	s_mov_b32 s23, s21
	s_mov_b32 s26, s20
	s_mov_b32 s25, s19
	s_mov_b32 s24, s17
	s_mov_b32 s27, exec_lo
	v_cmpx_gt_i32_e64 s18, v6
	s_cbranch_execz .LBB182_810
; %bb.404:
	s_and_b32 s23, s15, 0xff
	s_delay_alu instid0(SALU_CYCLE_1)
	s_cmp_lt_i32 s23, 23
	s_cbranch_scc1 .LBB182_408
; %bb.405:
	s_and_b32 s24, 0xffff, s23
	s_delay_alu instid0(SALU_CYCLE_1)
	s_cmp_gt_i32 s24, 43
	s_cbranch_scc0 .LBB182_409
; %bb.406:
	s_cmp_gt_i32 s24, 45
	s_cbranch_scc0 .LBB182_410
; %bb.407:
	s_cmp_eq_u32 s24, 46
	s_mov_b32 s25, 0
	s_cselect_b32 s0, -1, 0
	s_or_b32 s26, s21, exec_lo
	s_branch .LBB182_411
.LBB182_408:
	s_mov_b32 s0, 0
	s_mov_b32 s26, s21
	s_cbranch_execnz .LBB182_417
	s_branch .LBB182_421
.LBB182_409:
	s_mov_b32 s25, -1
	s_mov_b32 s0, 0
	s_mov_b32 s26, s21
	s_branch .LBB182_414
.LBB182_410:
	s_mov_b32 s25, -1
	s_mov_b32 s0, 0
	s_mov_b32 s26, s21
.LBB182_411:
	s_and_not1_b32 vcc_lo, exec_lo, s25
	s_cbranch_vccnz .LBB182_413
; %bb.412:
	s_cmp_eq_u32 s24, 44
	s_cselect_b32 s0, -1, 0
	s_cmp_lg_u32 s24, 44
	s_cselect_b32 s25, -1, 0
	s_and_not1_b32 s26, s26, exec_lo
	s_and_b32 s25, s25, exec_lo
	s_delay_alu instid0(SALU_CYCLE_1)
	s_or_b32 s26, s26, s25
.LBB182_413:
	s_mov_b32 s25, 0
.LBB182_414:
	s_delay_alu instid0(SALU_CYCLE_1)
	s_and_b32 vcc_lo, exec_lo, s25
	s_cbranch_vccz .LBB182_416
; %bb.415:
	s_cmp_lt_i32 s24, 30
	s_cselect_b32 s0, -1, 0
	s_cmp_gt_i32 s24, 29
	s_cselect_b32 s24, -1, 0
	s_and_not1_b32 s25, s26, exec_lo
	s_and_b32 s24, s24, exec_lo
	s_delay_alu instid0(SALU_CYCLE_1)
	s_or_b32 s26, s25, s24
.LBB182_416:
	s_branch .LBB182_421
.LBB182_417:
	s_and_b32 s23, 0xffff, s23
	s_mov_b32 s24, -1
	s_cmp_gt_i32 s23, 14
	s_cbranch_scc0 .LBB182_419
; %bb.418:
	s_cmp_eq_u32 s23, 15
	s_cselect_b32 s0, -1, 0
	s_cmp_lg_u32 s23, 15
	s_cselect_b32 s24, -1, 0
	s_and_not1_b32 s25, s26, exec_lo
	s_and_b32 s26, s24, exec_lo
	s_mov_b32 s24, 0
	s_or_b32 s26, s25, s26
.LBB182_419:
	s_and_not1_b32 vcc_lo, exec_lo, s24
	s_cbranch_vccnz .LBB182_421
; %bb.420:
	s_cmp_lt_i32 s23, 12
	s_cselect_b32 s0, -1, 0
	s_cmp_gt_i32 s23, 11
	s_cselect_b32 s23, -1, 0
	s_and_not1_b32 s24, s26, exec_lo
	s_and_b32 s23, s23, exec_lo
	s_delay_alu instid0(SALU_CYCLE_1)
	s_or_b32 s26, s24, s23
.LBB182_421:
	s_and_b32 vcc_lo, exec_lo, s0
	s_cbranch_vccz .LBB182_429
; %bb.422:
	v_mul_lo_u32 v0, v6, s8
	s_and_b32 s0, s13, 0xff
	s_delay_alu instid0(SALU_CYCLE_1) | instskip(NEXT) | instid1(VALU_DEP_1)
	s_cmp_lt_i32 s0, 11
	v_ashrrev_i32_e32 v1, 31, v0
	s_delay_alu instid0(VALU_DEP_1)
	v_add_nc_u64_e32 v[0:1], s[4:5], v[0:1]
	s_cbranch_scc1 .LBB182_431
; %bb.423:
	s_and_b32 s24, 0xffff, s0
	s_delay_alu instid0(SALU_CYCLE_1)
	s_cmp_gt_i32 s24, 25
	s_cbranch_scc0 .LBB182_432
; %bb.424:
	s_cmp_gt_i32 s24, 28
	s_cbranch_scc0 .LBB182_433
; %bb.425:
	;; [unrolled: 3-line block ×4, first 2 shown]
	s_cmp_eq_u32 s24, 46
	s_mov_b32 s26, 0
	s_cbranch_scc0 .LBB182_438
; %bb.428:
	s_wait_loadcnt 0x0
	global_load_b32 v2, v[0:1], off
	s_mov_b32 s25, -1
	s_mov_b32 s23, 0
	s_wait_loadcnt 0x0
	v_lshlrev_b32_e32 v2, 16, v2
	s_delay_alu instid0(VALU_DEP_1)
	v_cvt_f16_f32_e32 v2, v2
	s_branch .LBB182_440
.LBB182_429:
	s_mov_b32 s28, 0
	s_mov_b32 s0, s17
	;; [unrolled: 1-line block ×4, first 2 shown]
.LBB182_430:
                                        ; implicit-def: $vgpr6
	s_branch .LBB182_809
.LBB182_431:
	s_mov_b32 s24, -1
	s_mov_b32 s25, 0
	s_mov_b32 s23, s20
                                        ; implicit-def: $vgpr2
	s_branch .LBB182_505
.LBB182_432:
	s_mov_b32 s26, -1
	s_mov_b32 s25, 0
	s_mov_b32 s23, s20
                                        ; implicit-def: $vgpr2
	s_branch .LBB182_469
.LBB182_433:
	s_mov_b32 s26, -1
	s_mov_b32 s25, 0
	s_mov_b32 s23, s20
                                        ; implicit-def: $vgpr2
	s_branch .LBB182_450
.LBB182_434:
	s_mov_b32 s26, -1
	s_mov_b32 s25, 0
	s_mov_b32 s23, s20
                                        ; implicit-def: $vgpr2
	s_branch .LBB182_445
.LBB182_435:
	s_mov_b32 s26, -1
	s_mov_b32 s25, 0
	s_mov_b32 s23, s20
	s_branch .LBB182_439
.LBB182_436:
	s_and_not1_saveexec_b32 s27, s27
	s_cbranch_execz .LBB182_312
.LBB182_437:
	v_add_f32_e64 v4, 0x46000000, |v3|
	s_and_not1_b32 s26, s26, exec_lo
	s_delay_alu instid0(VALU_DEP_1) | instskip(NEXT) | instid1(VALU_DEP_1)
	v_and_b32_e32 v4, 0xff, v4
	v_cmp_ne_u32_e32 vcc_lo, 0, v4
	s_and_b32 s28, vcc_lo, exec_lo
	s_delay_alu instid0(SALU_CYCLE_1)
	s_or_b32 s26, s26, s28
	s_or_b32 exec_lo, exec_lo, s27
	v_mov_b32_e32 v5, 0
	s_and_saveexec_b32 s27, s26
	s_cbranch_execnz .LBB182_313
	s_branch .LBB182_314
.LBB182_438:
	s_mov_b32 s23, -1
	s_mov_b32 s25, 0
.LBB182_439:
                                        ; implicit-def: $vgpr2
.LBB182_440:
	s_and_b32 vcc_lo, exec_lo, s26
	s_cbranch_vccz .LBB182_444
; %bb.441:
	s_cmp_eq_u32 s24, 44
	s_cbranch_scc0 .LBB182_443
; %bb.442:
	s_wait_loadcnt 0x0
	global_load_u8 v2, v[0:1], off
	s_mov_b32 s23, 0
	s_mov_b32 s25, -1
	s_wait_loadcnt 0x0
	v_lshlrev_b32_e32 v3, 23, v2
	v_cmp_ne_u32_e32 vcc_lo, 0xff, v2
	s_delay_alu instid0(VALU_DEP_2) | instskip(NEXT) | instid1(VALU_DEP_1)
	v_cvt_f16_f32_e32 v3, v3
	v_cndmask_b32_e32 v3, 0x7e00, v3, vcc_lo
	v_cmp_ne_u32_e32 vcc_lo, 0, v2
	s_delay_alu instid0(VALU_DEP_2)
	v_cndmask_b32_e32 v2, 0, v3, vcc_lo
	s_branch .LBB182_444
.LBB182_443:
	s_mov_b32 s23, -1
                                        ; implicit-def: $vgpr2
.LBB182_444:
	s_mov_b32 s26, 0
.LBB182_445:
	s_delay_alu instid0(SALU_CYCLE_1)
	s_and_b32 vcc_lo, exec_lo, s26
	s_cbranch_vccz .LBB182_449
; %bb.446:
	s_cmp_eq_u32 s24, 29
	s_cbranch_scc0 .LBB182_448
; %bb.447:
	s_wait_loadcnt 0x0
	global_load_b64 v[2:3], v[0:1], off
	s_mov_b32 s25, -1
	s_mov_b32 s23, 0
	s_mov_b32 s26, 0
	s_wait_loadcnt 0x0
	v_clz_i32_u32_e32 v4, v3
	s_delay_alu instid0(VALU_DEP_1) | instskip(NEXT) | instid1(VALU_DEP_1)
	v_min_u32_e32 v4, 32, v4
	v_lshlrev_b64_e32 v[2:3], v4, v[2:3]
	s_delay_alu instid0(VALU_DEP_1) | instskip(NEXT) | instid1(VALU_DEP_1)
	v_min_u32_e32 v2, 1, v2
	v_dual_sub_nc_u32 v3, 32, v4 :: v_dual_bitop2_b32 v2, v3, v2 bitop3:0x54
	s_delay_alu instid0(VALU_DEP_1) | instskip(NEXT) | instid1(VALU_DEP_1)
	v_cvt_f32_u32_e32 v2, v2
	v_ldexp_f32 v2, v2, v3
	s_delay_alu instid0(VALU_DEP_1)
	v_cvt_f16_f32_e32 v2, v2
	s_branch .LBB182_450
.LBB182_448:
	s_mov_b32 s23, -1
                                        ; implicit-def: $vgpr2
.LBB182_449:
	s_mov_b32 s26, 0
.LBB182_450:
	s_delay_alu instid0(SALU_CYCLE_1)
	s_and_b32 vcc_lo, exec_lo, s26
	s_cbranch_vccz .LBB182_468
; %bb.451:
	s_cmp_lt_i32 s24, 27
	s_cbranch_scc1 .LBB182_454
; %bb.452:
	s_cmp_gt_i32 s24, 27
	s_cbranch_scc0 .LBB182_455
; %bb.453:
	s_wait_loadcnt 0x0
	global_load_b32 v2, v[0:1], off
	s_mov_b32 s25, 0
	s_wait_loadcnt 0x0
	v_cvt_f32_u32_e32 v2, v2
	s_delay_alu instid0(VALU_DEP_1)
	v_cvt_f16_f32_e32 v2, v2
	s_branch .LBB182_456
.LBB182_454:
	s_mov_b32 s25, -1
                                        ; implicit-def: $vgpr2
	s_branch .LBB182_459
.LBB182_455:
	s_mov_b32 s25, -1
                                        ; implicit-def: $vgpr2
.LBB182_456:
	s_delay_alu instid0(SALU_CYCLE_1)
	s_and_not1_b32 vcc_lo, exec_lo, s25
	s_cbranch_vccnz .LBB182_458
; %bb.457:
	s_wait_loadcnt 0x0
	global_load_u16 v2, v[0:1], off
	s_wait_loadcnt 0x0
	v_cvt_f16_u16_e32 v2, v2
.LBB182_458:
	s_mov_b32 s25, 0
.LBB182_459:
	s_delay_alu instid0(SALU_CYCLE_1)
	s_and_not1_b32 vcc_lo, exec_lo, s25
	s_cbranch_vccnz .LBB182_467
; %bb.460:
	s_wait_loadcnt 0x0
	global_load_u8 v3, v[0:1], off
	s_mov_b32 s25, 0
	s_mov_b32 s26, exec_lo
	s_wait_loadcnt 0x0
	v_cmpx_lt_i16_e32 0x7f, v3
	s_xor_b32 s26, exec_lo, s26
	s_cbranch_execz .LBB182_481
; %bb.461:
	s_mov_b32 s25, -1
	s_mov_b32 s28, exec_lo
	v_cmpx_eq_u16_e32 0x80, v3
; %bb.462:
	s_xor_b32 s25, exec_lo, -1
; %bb.463:
	s_or_b32 exec_lo, exec_lo, s28
	s_delay_alu instid0(SALU_CYCLE_1)
	s_and_b32 s25, s25, exec_lo
	s_or_saveexec_b32 s26, s26
	v_mov_b32_e32 v2, 0x7e00
	s_xor_b32 exec_lo, exec_lo, s26
	s_cbranch_execnz .LBB182_482
.LBB182_464:
	s_or_b32 exec_lo, exec_lo, s26
	s_and_saveexec_b32 s26, s25
	s_cbranch_execz .LBB182_466
.LBB182_465:
	v_and_b32_e32 v2, 0xffff, v3
	s_delay_alu instid0(VALU_DEP_1) | instskip(SKIP_1) | instid1(VALU_DEP_2)
	v_and_b32_e32 v4, 7, v2
	v_bfe_u32 v8, v2, 3, 4
	v_clz_i32_u32_e32 v5, v4
	s_delay_alu instid0(VALU_DEP_2) | instskip(NEXT) | instid1(VALU_DEP_2)
	v_cmp_eq_u32_e32 vcc_lo, 0, v8
	v_min_u32_e32 v5, 32, v5
	s_delay_alu instid0(VALU_DEP_1) | instskip(NEXT) | instid1(VALU_DEP_1)
	v_subrev_nc_u32_e32 v7, 28, v5
	v_dual_lshlrev_b32 v2, v7, v2 :: v_dual_sub_nc_u32 v5, 29, v5
	s_delay_alu instid0(VALU_DEP_1) | instskip(NEXT) | instid1(VALU_DEP_2)
	v_dual_lshlrev_b32 v3, 24, v3 :: v_dual_bitop2_b32 v2, 7, v2 bitop3:0x40
	v_cndmask_b32_e32 v5, v8, v5, vcc_lo
	s_delay_alu instid0(VALU_DEP_2) | instskip(NEXT) | instid1(VALU_DEP_3)
	v_cndmask_b32_e32 v2, v4, v2, vcc_lo
	v_and_b32_e32 v3, 0x80000000, v3
	s_delay_alu instid0(VALU_DEP_3) | instskip(NEXT) | instid1(VALU_DEP_3)
	v_lshl_add_u32 v4, v5, 23, 0x3b800000
	v_lshlrev_b32_e32 v2, 20, v2
	s_delay_alu instid0(VALU_DEP_1) | instskip(NEXT) | instid1(VALU_DEP_1)
	v_or3_b32 v2, v3, v4, v2
	v_cvt_f16_f32_e32 v2, v2
.LBB182_466:
	s_or_b32 exec_lo, exec_lo, s26
.LBB182_467:
	s_mov_b32 s25, -1
.LBB182_468:
	s_mov_b32 s26, 0
.LBB182_469:
	s_delay_alu instid0(SALU_CYCLE_1)
	s_and_b32 vcc_lo, exec_lo, s26
	s_cbranch_vccz .LBB182_504
; %bb.470:
	s_cmp_gt_i32 s24, 22
	s_cbranch_scc0 .LBB182_480
; %bb.471:
	s_cmp_lt_i32 s24, 24
	s_cbranch_scc1 .LBB182_483
; %bb.472:
	s_cmp_gt_i32 s24, 24
	s_cbranch_scc0 .LBB182_484
; %bb.473:
	s_wait_loadcnt 0x0
	global_load_u8 v3, v[0:1], off
	s_mov_b32 s25, 0
	s_mov_b32 s26, exec_lo
	s_wait_loadcnt 0x0
	v_cmpx_lt_i16_e32 0x7f, v3
	s_xor_b32 s26, exec_lo, s26
	s_cbranch_execz .LBB182_496
; %bb.474:
	s_mov_b32 s25, -1
	s_mov_b32 s28, exec_lo
	v_cmpx_eq_u16_e32 0x80, v3
; %bb.475:
	s_xor_b32 s25, exec_lo, -1
; %bb.476:
	s_or_b32 exec_lo, exec_lo, s28
	s_delay_alu instid0(SALU_CYCLE_1)
	s_and_b32 s25, s25, exec_lo
	s_or_saveexec_b32 s26, s26
	v_mov_b32_e32 v2, 0x7e00
	s_xor_b32 exec_lo, exec_lo, s26
	s_cbranch_execnz .LBB182_497
.LBB182_477:
	s_or_b32 exec_lo, exec_lo, s26
	s_and_saveexec_b32 s26, s25
	s_cbranch_execz .LBB182_479
.LBB182_478:
	v_and_b32_e32 v2, 0xffff, v3
	s_delay_alu instid0(VALU_DEP_1) | instskip(SKIP_1) | instid1(VALU_DEP_2)
	v_and_b32_e32 v4, 3, v2
	v_bfe_u32 v8, v2, 2, 5
	v_clz_i32_u32_e32 v5, v4
	s_delay_alu instid0(VALU_DEP_2) | instskip(NEXT) | instid1(VALU_DEP_2)
	v_cmp_eq_u32_e32 vcc_lo, 0, v8
	v_min_u32_e32 v5, 32, v5
	s_delay_alu instid0(VALU_DEP_1) | instskip(NEXT) | instid1(VALU_DEP_1)
	v_subrev_nc_u32_e32 v7, 29, v5
	v_dual_lshlrev_b32 v2, v7, v2 :: v_dual_sub_nc_u32 v5, 30, v5
	s_delay_alu instid0(VALU_DEP_1) | instskip(NEXT) | instid1(VALU_DEP_2)
	v_dual_lshlrev_b32 v3, 24, v3 :: v_dual_bitop2_b32 v2, 3, v2 bitop3:0x40
	v_cndmask_b32_e32 v5, v8, v5, vcc_lo
	s_delay_alu instid0(VALU_DEP_2) | instskip(NEXT) | instid1(VALU_DEP_3)
	v_cndmask_b32_e32 v2, v4, v2, vcc_lo
	v_and_b32_e32 v3, 0x80000000, v3
	s_delay_alu instid0(VALU_DEP_3) | instskip(NEXT) | instid1(VALU_DEP_3)
	v_lshl_add_u32 v4, v5, 23, 0x37800000
	v_lshlrev_b32_e32 v2, 21, v2
	s_delay_alu instid0(VALU_DEP_1) | instskip(NEXT) | instid1(VALU_DEP_1)
	v_or3_b32 v2, v3, v4, v2
	v_cvt_f16_f32_e32 v2, v2
.LBB182_479:
	s_or_b32 exec_lo, exec_lo, s26
	s_mov_b32 s25, 0
	s_branch .LBB182_485
.LBB182_480:
	s_mov_b32 s26, -1
                                        ; implicit-def: $vgpr2
	s_branch .LBB182_491
.LBB182_481:
	s_or_saveexec_b32 s26, s26
	v_mov_b32_e32 v2, 0x7e00
	s_xor_b32 exec_lo, exec_lo, s26
	s_cbranch_execz .LBB182_464
.LBB182_482:
	v_cmp_ne_u16_e32 vcc_lo, 0, v3
	v_mov_b32_e32 v2, v3
	s_and_not1_b32 s25, s25, exec_lo
	s_and_b32 s28, vcc_lo, exec_lo
	s_delay_alu instid0(SALU_CYCLE_1)
	s_or_b32 s25, s25, s28
	s_or_b32 exec_lo, exec_lo, s26
	s_and_saveexec_b32 s26, s25
	s_cbranch_execnz .LBB182_465
	s_branch .LBB182_466
.LBB182_483:
	s_mov_b32 s25, -1
                                        ; implicit-def: $vgpr2
	s_branch .LBB182_488
.LBB182_484:
	s_mov_b32 s25, -1
                                        ; implicit-def: $vgpr2
.LBB182_485:
	s_delay_alu instid0(SALU_CYCLE_1)
	s_and_b32 vcc_lo, exec_lo, s25
	s_cbranch_vccz .LBB182_487
; %bb.486:
	s_wait_loadcnt 0x0
	global_load_u8 v2, v[0:1], off
	s_wait_loadcnt 0x0
	v_lshlrev_b32_e32 v2, 24, v2
	s_delay_alu instid0(VALU_DEP_1) | instskip(NEXT) | instid1(VALU_DEP_1)
	v_and_b32_e32 v3, 0x7f000000, v2
	v_clz_i32_u32_e32 v4, v3
	v_add_nc_u32_e32 v7, 0x1000000, v3
	v_cmp_ne_u32_e32 vcc_lo, 0, v3
	s_delay_alu instid0(VALU_DEP_3) | instskip(NEXT) | instid1(VALU_DEP_1)
	v_min_u32_e32 v4, 32, v4
	v_sub_nc_u32_e64 v4, v4, 4 clamp
	s_delay_alu instid0(VALU_DEP_1) | instskip(NEXT) | instid1(VALU_DEP_1)
	v_dual_lshlrev_b32 v5, v4, v3 :: v_dual_lshlrev_b32 v4, 23, v4
	v_lshrrev_b32_e32 v5, 4, v5
	s_delay_alu instid0(VALU_DEP_1) | instskip(NEXT) | instid1(VALU_DEP_1)
	v_dual_sub_nc_u32 v4, v5, v4 :: v_dual_ashrrev_i32 v5, 8, v7
	v_add_nc_u32_e32 v4, 0x3c000000, v4
	s_delay_alu instid0(VALU_DEP_1) | instskip(NEXT) | instid1(VALU_DEP_1)
	v_and_or_b32 v4, 0x7f800000, v5, v4
	v_cndmask_b32_e32 v3, 0, v4, vcc_lo
	s_delay_alu instid0(VALU_DEP_1) | instskip(NEXT) | instid1(VALU_DEP_1)
	v_and_or_b32 v2, 0x80000000, v2, v3
	v_cvt_f16_f32_e32 v2, v2
.LBB182_487:
	s_mov_b32 s25, 0
.LBB182_488:
	s_delay_alu instid0(SALU_CYCLE_1)
	s_and_not1_b32 vcc_lo, exec_lo, s25
	s_cbranch_vccnz .LBB182_490
; %bb.489:
	s_wait_loadcnt 0x0
	global_load_u8 v2, v[0:1], off
	s_wait_loadcnt 0x0
	v_lshlrev_b32_e32 v3, 25, v2
	v_lshlrev_b16 v2, 8, v2
	s_delay_alu instid0(VALU_DEP_1) | instskip(SKIP_1) | instid1(VALU_DEP_2)
	v_and_or_b32 v5, 0x7f00, v2, 0.5
	v_bfe_i32 v2, v2, 0, 16
	v_dual_add_f32 v5, -0.5, v5 :: v_dual_lshrrev_b32 v4, 4, v3
	v_cmp_gt_u32_e32 vcc_lo, 0x8000000, v3
	s_delay_alu instid0(VALU_DEP_2) | instskip(NEXT) | instid1(VALU_DEP_1)
	v_or_b32_e32 v4, 0x70000000, v4
	v_mul_f32_e32 v4, 0x7800000, v4
	s_delay_alu instid0(VALU_DEP_1) | instskip(NEXT) | instid1(VALU_DEP_1)
	v_cndmask_b32_e32 v3, v4, v5, vcc_lo
	v_and_or_b32 v2, 0x80000000, v2, v3
	s_delay_alu instid0(VALU_DEP_1)
	v_cvt_f16_f32_e32 v2, v2
.LBB182_490:
	s_mov_b32 s26, 0
	s_mov_b32 s25, -1
.LBB182_491:
	s_and_not1_b32 vcc_lo, exec_lo, s26
	s_cbranch_vccnz .LBB182_504
; %bb.492:
	s_cmp_gt_i32 s24, 14
	s_cbranch_scc0 .LBB182_495
; %bb.493:
	s_cmp_eq_u32 s24, 15
	s_cbranch_scc0 .LBB182_498
; %bb.494:
	s_wait_loadcnt 0x0
	global_load_u16 v2, v[0:1], off
	s_mov_b32 s25, -1
	s_mov_b32 s23, 0
	s_wait_loadcnt 0x0
	v_lshlrev_b32_e32 v2, 16, v2
	s_delay_alu instid0(VALU_DEP_1)
	v_cvt_f16_f32_e32 v2, v2
	s_branch .LBB182_499
.LBB182_495:
	s_mov_b32 s26, -1
                                        ; implicit-def: $vgpr2
	s_branch .LBB182_500
.LBB182_496:
	s_or_saveexec_b32 s26, s26
	v_mov_b32_e32 v2, 0x7e00
	s_xor_b32 exec_lo, exec_lo, s26
	s_cbranch_execz .LBB182_477
.LBB182_497:
	v_cmp_ne_u16_e32 vcc_lo, 0, v3
	v_mov_b32_e32 v2, v3
	s_and_not1_b32 s25, s25, exec_lo
	s_and_b32 s28, vcc_lo, exec_lo
	s_delay_alu instid0(SALU_CYCLE_1)
	s_or_b32 s25, s25, s28
	s_or_b32 exec_lo, exec_lo, s26
	s_and_saveexec_b32 s26, s25
	s_cbranch_execnz .LBB182_478
	s_branch .LBB182_479
.LBB182_498:
	s_mov_b32 s23, -1
                                        ; implicit-def: $vgpr2
.LBB182_499:
	s_mov_b32 s26, 0
.LBB182_500:
	s_delay_alu instid0(SALU_CYCLE_1)
	s_and_b32 vcc_lo, exec_lo, s26
	s_cbranch_vccz .LBB182_504
; %bb.501:
	s_cmp_eq_u32 s24, 11
	s_cbranch_scc0 .LBB182_503
; %bb.502:
	s_wait_loadcnt 0x0
	global_load_u8 v2, v[0:1], off
	s_mov_b32 s23, 0
	s_mov_b32 s25, -1
	s_wait_loadcnt 0x0
	v_cmp_ne_u16_e32 vcc_lo, 0, v2
	v_cndmask_b32_e64 v2, 0, 0x3c00, vcc_lo
	s_branch .LBB182_504
.LBB182_503:
	s_mov_b32 s23, -1
                                        ; implicit-def: $vgpr2
.LBB182_504:
	s_mov_b32 s24, 0
.LBB182_505:
	s_delay_alu instid0(SALU_CYCLE_1)
	s_and_b32 vcc_lo, exec_lo, s24
	s_cbranch_vccz .LBB182_554
; %bb.506:
	s_and_b32 s0, 0xffff, s0
	s_delay_alu instid0(SALU_CYCLE_1)
	s_cmp_lt_i32 s0, 5
	s_cbranch_scc1 .LBB182_511
; %bb.507:
	s_cmp_lt_i32 s0, 8
	s_cbranch_scc1 .LBB182_512
; %bb.508:
	;; [unrolled: 3-line block ×3, first 2 shown]
	s_cmp_gt_i32 s0, 9
	s_cbranch_scc0 .LBB182_514
; %bb.510:
	s_wait_loadcnt 0x0
	global_load_b64 v[2:3], v[0:1], off
	s_mov_b32 s24, 0
	s_wait_loadcnt 0x0
	v_and_or_b32 v2, 0x1ff, v3, v2
	v_lshrrev_b32_e32 v4, 8, v3
	v_bfe_u32 v5, v3, 20, 11
	v_lshrrev_b32_e32 v3, 16, v3
	s_delay_alu instid0(VALU_DEP_4) | instskip(NEXT) | instid1(VALU_DEP_3)
	v_cmp_ne_u32_e32 vcc_lo, 0, v2
	v_sub_nc_u32_e32 v7, 0x3f1, v5
	v_add_nc_u32_e32 v5, 0xfffffc10, v5
	v_cndmask_b32_e64 v2, 0, 1, vcc_lo
	s_delay_alu instid0(VALU_DEP_1) | instskip(NEXT) | instid1(VALU_DEP_4)
	v_and_or_b32 v2, 0xffe, v4, v2
	v_med3_i32 v4, v7, 0, 13
	s_delay_alu instid0(VALU_DEP_2) | instskip(NEXT) | instid1(VALU_DEP_1)
	v_or_b32_e32 v7, 0x1000, v2
	v_lshrrev_b32_e32 v8, v4, v7
	s_delay_alu instid0(VALU_DEP_1) | instskip(NEXT) | instid1(VALU_DEP_1)
	v_lshlrev_b32_e32 v4, v4, v8
	v_cmp_ne_u32_e32 vcc_lo, v4, v7
	v_lshl_or_b32 v7, v5, 12, v2
	v_cndmask_b32_e64 v4, 0, 1, vcc_lo
	v_cmp_gt_i32_e32 vcc_lo, 1, v5
	s_delay_alu instid0(VALU_DEP_2) | instskip(NEXT) | instid1(VALU_DEP_1)
	v_or_b32_e32 v4, v8, v4
	v_cndmask_b32_e32 v4, v7, v4, vcc_lo
	s_delay_alu instid0(VALU_DEP_1) | instskip(NEXT) | instid1(VALU_DEP_1)
	v_dual_lshrrev_b32 v4, 2, v4 :: v_dual_bitop2_b32 v7, 7, v4 bitop3:0x40
	v_cmp_lt_i32_e32 vcc_lo, 5, v7
	v_cndmask_b32_e64 v8, 0, 1, vcc_lo
	v_cmp_eq_u32_e32 vcc_lo, 3, v7
	v_cndmask_b32_e64 v7, 0, 1, vcc_lo
	v_cmp_ne_u32_e32 vcc_lo, 0, v2
	s_delay_alu instid0(VALU_DEP_2) | instskip(SKIP_1) | instid1(VALU_DEP_2)
	v_or_b32_e32 v7, v7, v8
	v_mov_b32_e32 v8, 0x7e00
	v_add_nc_u32_e32 v4, v4, v7
	s_delay_alu instid0(VALU_DEP_2) | instskip(SKIP_1) | instid1(VALU_DEP_3)
	v_cndmask_b32_e32 v2, 0x7c00, v8, vcc_lo
	v_cmp_gt_i32_e32 vcc_lo, 31, v5
	v_cndmask_b32_e32 v4, 0x7c00, v4, vcc_lo
	v_cmp_eq_u32_e32 vcc_lo, 0x40f, v5
	s_delay_alu instid0(VALU_DEP_2) | instskip(NEXT) | instid1(VALU_DEP_1)
	v_cndmask_b32_e32 v2, v4, v2, vcc_lo
	v_and_or_b32 v2, 0x8000, v3, v2
	s_branch .LBB182_515
.LBB182_511:
	s_mov_b32 s24, -1
                                        ; implicit-def: $vgpr2
	s_branch .LBB182_533
.LBB182_512:
	s_mov_b32 s24, -1
                                        ; implicit-def: $vgpr2
	s_branch .LBB182_521
.LBB182_513:
	s_mov_b32 s24, -1
                                        ; implicit-def: $vgpr2
	s_branch .LBB182_518
.LBB182_514:
	s_mov_b32 s24, -1
                                        ; implicit-def: $vgpr2
.LBB182_515:
	s_delay_alu instid0(SALU_CYCLE_1)
	s_and_not1_b32 vcc_lo, exec_lo, s24
	s_cbranch_vccnz .LBB182_517
; %bb.516:
	s_wait_loadcnt 0x0
	global_load_b32 v2, v[0:1], off
	s_wait_loadcnt 0x0
	v_cvt_f16_f32_e32 v2, v2
.LBB182_517:
	s_mov_b32 s24, 0
.LBB182_518:
	s_delay_alu instid0(SALU_CYCLE_1)
	s_and_not1_b32 vcc_lo, exec_lo, s24
	s_cbranch_vccnz .LBB182_520
; %bb.519:
	s_wait_loadcnt 0x0
	global_load_b32 v2, v[0:1], off
.LBB182_520:
	s_mov_b32 s24, 0
.LBB182_521:
	s_delay_alu instid0(SALU_CYCLE_1)
	s_and_not1_b32 vcc_lo, exec_lo, s24
	s_cbranch_vccnz .LBB182_532
; %bb.522:
	s_cmp_lt_i32 s0, 6
	s_cbranch_scc1 .LBB182_525
; %bb.523:
	s_cmp_gt_i32 s0, 6
	s_cbranch_scc0 .LBB182_526
; %bb.524:
	s_wait_loadcnt 0x0
	global_load_b64 v[2:3], v[0:1], off
	s_mov_b32 s24, 0
	s_wait_loadcnt 0x0
	v_and_or_b32 v2, 0x1ff, v3, v2
	v_lshrrev_b32_e32 v4, 8, v3
	v_bfe_u32 v5, v3, 20, 11
	v_lshrrev_b32_e32 v3, 16, v3
	s_delay_alu instid0(VALU_DEP_4) | instskip(NEXT) | instid1(VALU_DEP_3)
	v_cmp_ne_u32_e32 vcc_lo, 0, v2
	v_sub_nc_u32_e32 v7, 0x3f1, v5
	v_add_nc_u32_e32 v5, 0xfffffc10, v5
	v_cndmask_b32_e64 v2, 0, 1, vcc_lo
	s_delay_alu instid0(VALU_DEP_1) | instskip(NEXT) | instid1(VALU_DEP_4)
	v_and_or_b32 v2, 0xffe, v4, v2
	v_med3_i32 v4, v7, 0, 13
	s_delay_alu instid0(VALU_DEP_2) | instskip(NEXT) | instid1(VALU_DEP_1)
	v_or_b32_e32 v7, 0x1000, v2
	v_lshrrev_b32_e32 v8, v4, v7
	s_delay_alu instid0(VALU_DEP_1) | instskip(NEXT) | instid1(VALU_DEP_1)
	v_lshlrev_b32_e32 v4, v4, v8
	v_cmp_ne_u32_e32 vcc_lo, v4, v7
	v_lshl_or_b32 v7, v5, 12, v2
	v_cndmask_b32_e64 v4, 0, 1, vcc_lo
	v_cmp_gt_i32_e32 vcc_lo, 1, v5
	s_delay_alu instid0(VALU_DEP_2) | instskip(NEXT) | instid1(VALU_DEP_1)
	v_or_b32_e32 v4, v8, v4
	v_cndmask_b32_e32 v4, v7, v4, vcc_lo
	s_delay_alu instid0(VALU_DEP_1) | instskip(NEXT) | instid1(VALU_DEP_1)
	v_dual_lshrrev_b32 v4, 2, v4 :: v_dual_bitop2_b32 v7, 7, v4 bitop3:0x40
	v_cmp_lt_i32_e32 vcc_lo, 5, v7
	v_cndmask_b32_e64 v8, 0, 1, vcc_lo
	v_cmp_eq_u32_e32 vcc_lo, 3, v7
	v_cndmask_b32_e64 v7, 0, 1, vcc_lo
	v_cmp_ne_u32_e32 vcc_lo, 0, v2
	s_delay_alu instid0(VALU_DEP_2) | instskip(SKIP_1) | instid1(VALU_DEP_2)
	v_or_b32_e32 v7, v7, v8
	v_mov_b32_e32 v8, 0x7e00
	v_add_nc_u32_e32 v4, v4, v7
	s_delay_alu instid0(VALU_DEP_2) | instskip(SKIP_1) | instid1(VALU_DEP_3)
	v_cndmask_b32_e32 v2, 0x7c00, v8, vcc_lo
	v_cmp_gt_i32_e32 vcc_lo, 31, v5
	v_cndmask_b32_e32 v4, 0x7c00, v4, vcc_lo
	v_cmp_eq_u32_e32 vcc_lo, 0x40f, v5
	s_delay_alu instid0(VALU_DEP_2) | instskip(NEXT) | instid1(VALU_DEP_1)
	v_cndmask_b32_e32 v2, v4, v2, vcc_lo
	v_and_or_b32 v2, 0x8000, v3, v2
	s_branch .LBB182_527
.LBB182_525:
	s_mov_b32 s24, -1
                                        ; implicit-def: $vgpr2
	s_branch .LBB182_530
.LBB182_526:
	s_mov_b32 s24, -1
                                        ; implicit-def: $vgpr2
.LBB182_527:
	s_delay_alu instid0(SALU_CYCLE_1)
	s_and_not1_b32 vcc_lo, exec_lo, s24
	s_cbranch_vccnz .LBB182_529
; %bb.528:
	s_wait_loadcnt 0x0
	global_load_b32 v2, v[0:1], off
	s_wait_loadcnt 0x0
	v_cvt_f16_f32_e32 v2, v2
.LBB182_529:
	s_mov_b32 s24, 0
.LBB182_530:
	s_delay_alu instid0(SALU_CYCLE_1)
	s_and_not1_b32 vcc_lo, exec_lo, s24
	s_cbranch_vccnz .LBB182_532
; %bb.531:
	s_wait_loadcnt 0x0
	global_load_u16 v2, v[0:1], off
.LBB182_532:
	s_mov_b32 s24, 0
.LBB182_533:
	s_delay_alu instid0(SALU_CYCLE_1)
	s_and_not1_b32 vcc_lo, exec_lo, s24
	s_cbranch_vccnz .LBB182_553
; %bb.534:
	s_cmp_lt_i32 s0, 2
	s_cbranch_scc1 .LBB182_538
; %bb.535:
	s_cmp_lt_i32 s0, 3
	s_cbranch_scc1 .LBB182_539
; %bb.536:
	s_cmp_gt_i32 s0, 3
	s_cbranch_scc0 .LBB182_540
; %bb.537:
	s_wait_loadcnt 0x0
	global_load_b64 v[2:3], v[0:1], off
	s_mov_b32 s24, 0
	s_wait_loadcnt 0x0
	v_xor_b32_e32 v4, v2, v3
	v_cls_i32_e32 v5, v3
	s_delay_alu instid0(VALU_DEP_2) | instskip(NEXT) | instid1(VALU_DEP_1)
	v_ashrrev_i32_e32 v4, 31, v4
	v_add_nc_u32_e32 v4, 32, v4
	s_delay_alu instid0(VALU_DEP_1) | instskip(NEXT) | instid1(VALU_DEP_1)
	v_add_min_u32_e64 v4, v5, -1, v4
	v_lshlrev_b64_e32 v[2:3], v4, v[2:3]
	s_delay_alu instid0(VALU_DEP_1) | instskip(NEXT) | instid1(VALU_DEP_1)
	v_min_u32_e32 v2, 1, v2
	v_dual_sub_nc_u32 v3, 32, v4 :: v_dual_bitop2_b32 v2, v3, v2 bitop3:0x54
	s_delay_alu instid0(VALU_DEP_1) | instskip(NEXT) | instid1(VALU_DEP_1)
	v_cvt_f32_i32_e32 v2, v2
	v_ldexp_f32 v2, v2, v3
	s_delay_alu instid0(VALU_DEP_1)
	v_cvt_f16_f32_e32 v2, v2
	s_branch .LBB182_541
.LBB182_538:
	s_mov_b32 s24, -1
                                        ; implicit-def: $vgpr2
	s_branch .LBB182_547
.LBB182_539:
	s_mov_b32 s24, -1
                                        ; implicit-def: $vgpr2
	s_branch .LBB182_544
.LBB182_540:
	s_mov_b32 s24, -1
                                        ; implicit-def: $vgpr2
.LBB182_541:
	s_delay_alu instid0(SALU_CYCLE_1)
	s_and_not1_b32 vcc_lo, exec_lo, s24
	s_cbranch_vccnz .LBB182_543
; %bb.542:
	s_wait_loadcnt 0x0
	global_load_b32 v2, v[0:1], off
	s_wait_loadcnt 0x0
	v_cvt_f32_i32_e32 v2, v2
	s_delay_alu instid0(VALU_DEP_1)
	v_cvt_f16_f32_e32 v2, v2
.LBB182_543:
	s_mov_b32 s24, 0
.LBB182_544:
	s_delay_alu instid0(SALU_CYCLE_1)
	s_and_not1_b32 vcc_lo, exec_lo, s24
	s_cbranch_vccnz .LBB182_546
; %bb.545:
	s_wait_loadcnt 0x0
	global_load_u16 v2, v[0:1], off
	s_wait_loadcnt 0x0
	v_cvt_f16_i16_e32 v2, v2
.LBB182_546:
	s_mov_b32 s24, 0
.LBB182_547:
	s_delay_alu instid0(SALU_CYCLE_1)
	s_and_not1_b32 vcc_lo, exec_lo, s24
	s_cbranch_vccnz .LBB182_553
; %bb.548:
	s_cmp_gt_i32 s0, 0
	s_mov_b32 s0, 0
	s_cbranch_scc0 .LBB182_550
; %bb.549:
	s_wait_loadcnt 0x0
	global_load_i8 v2, v[0:1], off
	s_wait_loadcnt 0x0
	v_cvt_f16_i16_e32 v2, v2
	s_branch .LBB182_551
.LBB182_550:
	s_mov_b32 s0, -1
                                        ; implicit-def: $vgpr2
.LBB182_551:
	s_delay_alu instid0(SALU_CYCLE_1)
	s_and_not1_b32 vcc_lo, exec_lo, s0
	s_cbranch_vccnz .LBB182_553
; %bb.552:
	global_load_u8 v0, v[0:1], off
	s_wait_loadcnt 0x0
	v_cvt_f16_u16_e32 v2, v0
.LBB182_553:
	s_mov_b32 s25, -1
.LBB182_554:
	s_mov_b32 s26, 0
	s_mov_b32 s0, s17
	s_and_not1_b32 vcc_lo, exec_lo, s25
	s_mov_b32 s24, s19
	s_mov_b32 s28, 0
	s_cbranch_vccnz .LBB182_809
; %bb.555:
	s_wait_xcnt 0x0
	v_mul_lo_u32 v0, v6, s9
	s_and_b32 s0, 0xffff, s1
	s_delay_alu instid0(SALU_CYCLE_1) | instskip(NEXT) | instid1(VALU_DEP_1)
	s_cmp_lt_i32 s0, 11
	v_ashrrev_i32_e32 v1, 31, v0
	s_delay_alu instid0(VALU_DEP_1)
	v_add_nc_u64_e32 v[0:1], s[6:7], v[0:1]
	s_cbranch_scc1 .LBB182_562
; %bb.556:
	s_cmp_gt_i32 s0, 25
	s_cbranch_scc0 .LBB182_563
; %bb.557:
	s_cmp_gt_i32 s0, 28
	s_cbranch_scc0 .LBB182_564
	;; [unrolled: 3-line block ×4, first 2 shown]
; %bb.560:
	s_cmp_eq_u32 s0, 46
	s_cbranch_scc0 .LBB182_569
; %bb.561:
	s_wait_loadcnt 0x0
	global_load_b32 v3, v[0:1], off
	s_mov_b32 s25, -1
	s_mov_b32 s24, 0
	s_wait_loadcnt 0x0
	v_lshlrev_b32_e32 v3, 16, v3
	s_delay_alu instid0(VALU_DEP_1)
	v_cvt_f16_f32_e32 v3, v3
	s_branch .LBB182_571
.LBB182_562:
	s_mov_b32 s28, -1
	s_mov_b32 s25, 0
	s_mov_b32 s24, s19
                                        ; implicit-def: $vgpr3
	s_branch .LBB182_636
.LBB182_563:
	s_mov_b32 s28, -1
	s_mov_b32 s25, 0
	s_mov_b32 s24, s19
                                        ; implicit-def: $vgpr3
	s_branch .LBB182_600
.LBB182_564:
	s_mov_b32 s28, -1
	s_mov_b32 s25, 0
	s_mov_b32 s24, s19
                                        ; implicit-def: $vgpr3
	s_branch .LBB182_581
.LBB182_565:
	s_mov_b32 s28, -1
	s_mov_b32 s25, 0
	s_mov_b32 s24, s19
                                        ; implicit-def: $vgpr3
	s_branch .LBB182_576
.LBB182_566:
	s_mov_b32 s28, -1
	s_mov_b32 s25, 0
	s_mov_b32 s24, s19
	s_branch .LBB182_570
.LBB182_567:
	s_and_not1_saveexec_b32 s27, s27
	s_cbranch_execz .LBB182_325
.LBB182_568:
	v_add_f32_e64 v4, 0x42800000, |v3|
	s_and_not1_b32 s26, s26, exec_lo
	s_delay_alu instid0(VALU_DEP_1) | instskip(NEXT) | instid1(VALU_DEP_1)
	v_and_b32_e32 v4, 0xff, v4
	v_cmp_ne_u32_e32 vcc_lo, 0, v4
	s_and_b32 s28, vcc_lo, exec_lo
	s_delay_alu instid0(SALU_CYCLE_1)
	s_or_b32 s26, s26, s28
	s_or_b32 exec_lo, exec_lo, s27
	v_mov_b32_e32 v5, 0
	s_and_saveexec_b32 s27, s26
	s_cbranch_execnz .LBB182_326
	s_branch .LBB182_327
.LBB182_569:
	s_mov_b32 s24, -1
	s_mov_b32 s25, 0
.LBB182_570:
                                        ; implicit-def: $vgpr3
.LBB182_571:
	s_and_b32 vcc_lo, exec_lo, s28
	s_cbranch_vccz .LBB182_575
; %bb.572:
	s_cmp_eq_u32 s0, 44
	s_cbranch_scc0 .LBB182_574
; %bb.573:
	s_wait_loadcnt 0x0
	global_load_u8 v3, v[0:1], off
	s_mov_b32 s24, 0
	s_mov_b32 s25, -1
	s_wait_loadcnt 0x0
	v_lshlrev_b32_e32 v4, 23, v3
	v_cmp_ne_u32_e32 vcc_lo, 0xff, v3
	s_delay_alu instid0(VALU_DEP_2) | instskip(NEXT) | instid1(VALU_DEP_1)
	v_cvt_f16_f32_e32 v4, v4
	v_cndmask_b32_e32 v4, 0x7e00, v4, vcc_lo
	v_cmp_ne_u32_e32 vcc_lo, 0, v3
	s_delay_alu instid0(VALU_DEP_2)
	v_cndmask_b32_e32 v3, 0, v4, vcc_lo
	s_branch .LBB182_575
.LBB182_574:
	s_mov_b32 s24, -1
                                        ; implicit-def: $vgpr3
.LBB182_575:
	s_mov_b32 s28, 0
.LBB182_576:
	s_delay_alu instid0(SALU_CYCLE_1)
	s_and_b32 vcc_lo, exec_lo, s28
	s_cbranch_vccz .LBB182_580
; %bb.577:
	s_cmp_eq_u32 s0, 29
	s_cbranch_scc0 .LBB182_579
; %bb.578:
	global_load_b64 v[4:5], v[0:1], off
	s_mov_b32 s25, -1
	s_mov_b32 s24, 0
	s_mov_b32 s28, 0
	s_wait_loadcnt 0x0
	v_clz_i32_u32_e32 v3, v5
	s_delay_alu instid0(VALU_DEP_1) | instskip(NEXT) | instid1(VALU_DEP_1)
	v_min_u32_e32 v3, 32, v3
	v_lshlrev_b64_e32 v[4:5], v3, v[4:5]
	v_sub_nc_u32_e32 v3, 32, v3
	s_delay_alu instid0(VALU_DEP_2) | instskip(NEXT) | instid1(VALU_DEP_1)
	v_min_u32_e32 v4, 1, v4
	v_or_b32_e32 v4, v5, v4
	s_delay_alu instid0(VALU_DEP_1) | instskip(NEXT) | instid1(VALU_DEP_1)
	v_cvt_f32_u32_e32 v4, v4
	v_ldexp_f32 v3, v4, v3
	s_delay_alu instid0(VALU_DEP_1)
	v_cvt_f16_f32_e32 v3, v3
	s_branch .LBB182_581
.LBB182_579:
	s_mov_b32 s24, -1
                                        ; implicit-def: $vgpr3
.LBB182_580:
	s_mov_b32 s28, 0
.LBB182_581:
	s_delay_alu instid0(SALU_CYCLE_1)
	s_and_b32 vcc_lo, exec_lo, s28
	s_cbranch_vccz .LBB182_599
; %bb.582:
	s_cmp_lt_i32 s0, 27
	s_cbranch_scc1 .LBB182_585
; %bb.583:
	s_cmp_gt_i32 s0, 27
	s_cbranch_scc0 .LBB182_586
; %bb.584:
	s_wait_loadcnt 0x0
	global_load_b32 v3, v[0:1], off
	s_mov_b32 s25, 0
	s_wait_loadcnt 0x0
	v_cvt_f32_u32_e32 v3, v3
	s_delay_alu instid0(VALU_DEP_1)
	v_cvt_f16_f32_e32 v3, v3
	s_branch .LBB182_587
.LBB182_585:
	s_mov_b32 s25, -1
                                        ; implicit-def: $vgpr3
	s_branch .LBB182_590
.LBB182_586:
	s_mov_b32 s25, -1
                                        ; implicit-def: $vgpr3
.LBB182_587:
	s_delay_alu instid0(SALU_CYCLE_1)
	s_and_not1_b32 vcc_lo, exec_lo, s25
	s_cbranch_vccnz .LBB182_589
; %bb.588:
	s_wait_loadcnt 0x0
	global_load_u16 v3, v[0:1], off
	s_wait_loadcnt 0x0
	v_cvt_f16_u16_e32 v3, v3
.LBB182_589:
	s_mov_b32 s25, 0
.LBB182_590:
	s_delay_alu instid0(SALU_CYCLE_1)
	s_and_not1_b32 vcc_lo, exec_lo, s25
	s_cbranch_vccnz .LBB182_598
; %bb.591:
	global_load_u8 v4, v[0:1], off
	s_mov_b32 s25, 0
	s_mov_b32 s28, exec_lo
	s_wait_loadcnt 0x0
	v_cmpx_lt_i16_e32 0x7f, v4
	s_xor_b32 s28, exec_lo, s28
	s_cbranch_execz .LBB182_612
; %bb.592:
	s_mov_b32 s25, -1
	s_mov_b32 s29, exec_lo
	v_cmpx_eq_u16_e32 0x80, v4
; %bb.593:
	s_xor_b32 s25, exec_lo, -1
; %bb.594:
	s_or_b32 exec_lo, exec_lo, s29
	s_delay_alu instid0(SALU_CYCLE_1)
	s_and_b32 s25, s25, exec_lo
	s_or_saveexec_b32 s28, s28
	v_mov_b32_e32 v3, 0x7e00
	s_xor_b32 exec_lo, exec_lo, s28
	s_cbranch_execnz .LBB182_613
.LBB182_595:
	s_or_b32 exec_lo, exec_lo, s28
	s_and_saveexec_b32 s28, s25
	s_cbranch_execz .LBB182_597
.LBB182_596:
	v_and_b32_e32 v3, 0xffff, v4
	s_delay_alu instid0(VALU_DEP_1) | instskip(SKIP_1) | instid1(VALU_DEP_2)
	v_dual_lshlrev_b32 v4, 24, v4 :: v_dual_bitop2_b32 v5, 7, v3 bitop3:0x40
	v_bfe_u32 v9, v3, 3, 4
	v_and_b32_e32 v4, 0x80000000, v4
	s_delay_alu instid0(VALU_DEP_3) | instskip(NEXT) | instid1(VALU_DEP_3)
	v_clz_i32_u32_e32 v7, v5
	v_cmp_eq_u32_e32 vcc_lo, 0, v9
	s_delay_alu instid0(VALU_DEP_2) | instskip(NEXT) | instid1(VALU_DEP_1)
	v_min_u32_e32 v7, 32, v7
	v_subrev_nc_u32_e32 v8, 28, v7
	v_sub_nc_u32_e32 v7, 29, v7
	s_delay_alu instid0(VALU_DEP_2) | instskip(NEXT) | instid1(VALU_DEP_2)
	v_lshlrev_b32_e32 v3, v8, v3
	v_cndmask_b32_e32 v7, v9, v7, vcc_lo
	s_delay_alu instid0(VALU_DEP_2) | instskip(NEXT) | instid1(VALU_DEP_1)
	v_and_b32_e32 v3, 7, v3
	v_cndmask_b32_e32 v3, v5, v3, vcc_lo
	s_delay_alu instid0(VALU_DEP_3) | instskip(NEXT) | instid1(VALU_DEP_2)
	v_lshl_add_u32 v5, v7, 23, 0x3b800000
	v_lshlrev_b32_e32 v3, 20, v3
	s_delay_alu instid0(VALU_DEP_1) | instskip(NEXT) | instid1(VALU_DEP_1)
	v_or3_b32 v3, v4, v5, v3
	v_cvt_f16_f32_e32 v3, v3
.LBB182_597:
	s_or_b32 exec_lo, exec_lo, s28
.LBB182_598:
	s_mov_b32 s25, -1
.LBB182_599:
	s_mov_b32 s28, 0
.LBB182_600:
	s_delay_alu instid0(SALU_CYCLE_1)
	s_and_b32 vcc_lo, exec_lo, s28
	s_cbranch_vccz .LBB182_635
; %bb.601:
	s_cmp_gt_i32 s0, 22
	s_cbranch_scc0 .LBB182_611
; %bb.602:
	s_cmp_lt_i32 s0, 24
	s_cbranch_scc1 .LBB182_614
; %bb.603:
	s_cmp_gt_i32 s0, 24
	s_cbranch_scc0 .LBB182_615
; %bb.604:
	global_load_u8 v4, v[0:1], off
	s_mov_b32 s25, 0
	s_mov_b32 s28, exec_lo
	s_wait_loadcnt 0x0
	v_cmpx_lt_i16_e32 0x7f, v4
	s_xor_b32 s28, exec_lo, s28
	s_cbranch_execz .LBB182_627
; %bb.605:
	s_mov_b32 s25, -1
	s_mov_b32 s29, exec_lo
	v_cmpx_eq_u16_e32 0x80, v4
; %bb.606:
	s_xor_b32 s25, exec_lo, -1
; %bb.607:
	s_or_b32 exec_lo, exec_lo, s29
	s_delay_alu instid0(SALU_CYCLE_1)
	s_and_b32 s25, s25, exec_lo
	s_or_saveexec_b32 s28, s28
	v_mov_b32_e32 v3, 0x7e00
	s_xor_b32 exec_lo, exec_lo, s28
	s_cbranch_execnz .LBB182_628
.LBB182_608:
	s_or_b32 exec_lo, exec_lo, s28
	s_and_saveexec_b32 s28, s25
	s_cbranch_execz .LBB182_610
.LBB182_609:
	v_and_b32_e32 v3, 0xffff, v4
	s_delay_alu instid0(VALU_DEP_1) | instskip(SKIP_1) | instid1(VALU_DEP_2)
	v_dual_lshlrev_b32 v4, 24, v4 :: v_dual_bitop2_b32 v5, 3, v3 bitop3:0x40
	v_bfe_u32 v9, v3, 2, 5
	v_and_b32_e32 v4, 0x80000000, v4
	s_delay_alu instid0(VALU_DEP_3) | instskip(NEXT) | instid1(VALU_DEP_3)
	v_clz_i32_u32_e32 v7, v5
	v_cmp_eq_u32_e32 vcc_lo, 0, v9
	s_delay_alu instid0(VALU_DEP_2) | instskip(NEXT) | instid1(VALU_DEP_1)
	v_min_u32_e32 v7, 32, v7
	v_subrev_nc_u32_e32 v8, 29, v7
	v_sub_nc_u32_e32 v7, 30, v7
	s_delay_alu instid0(VALU_DEP_2) | instskip(NEXT) | instid1(VALU_DEP_2)
	v_lshlrev_b32_e32 v3, v8, v3
	v_cndmask_b32_e32 v7, v9, v7, vcc_lo
	s_delay_alu instid0(VALU_DEP_2) | instskip(NEXT) | instid1(VALU_DEP_1)
	v_and_b32_e32 v3, 3, v3
	v_cndmask_b32_e32 v3, v5, v3, vcc_lo
	s_delay_alu instid0(VALU_DEP_3) | instskip(NEXT) | instid1(VALU_DEP_2)
	v_lshl_add_u32 v5, v7, 23, 0x37800000
	v_lshlrev_b32_e32 v3, 21, v3
	s_delay_alu instid0(VALU_DEP_1) | instskip(NEXT) | instid1(VALU_DEP_1)
	v_or3_b32 v3, v4, v5, v3
	v_cvt_f16_f32_e32 v3, v3
.LBB182_610:
	s_or_b32 exec_lo, exec_lo, s28
	s_mov_b32 s25, 0
	s_branch .LBB182_616
.LBB182_611:
	s_mov_b32 s28, -1
                                        ; implicit-def: $vgpr3
	s_branch .LBB182_622
.LBB182_612:
	s_or_saveexec_b32 s28, s28
	v_mov_b32_e32 v3, 0x7e00
	s_xor_b32 exec_lo, exec_lo, s28
	s_cbranch_execz .LBB182_595
.LBB182_613:
	v_cmp_ne_u16_e32 vcc_lo, 0, v4
	v_mov_b32_e32 v3, v4
	s_and_not1_b32 s25, s25, exec_lo
	s_and_b32 s29, vcc_lo, exec_lo
	s_delay_alu instid0(SALU_CYCLE_1)
	s_or_b32 s25, s25, s29
	s_or_b32 exec_lo, exec_lo, s28
	s_and_saveexec_b32 s28, s25
	s_cbranch_execnz .LBB182_596
	s_branch .LBB182_597
.LBB182_614:
	s_mov_b32 s25, -1
                                        ; implicit-def: $vgpr3
	s_branch .LBB182_619
.LBB182_615:
	s_mov_b32 s25, -1
                                        ; implicit-def: $vgpr3
.LBB182_616:
	s_delay_alu instid0(SALU_CYCLE_1)
	s_and_b32 vcc_lo, exec_lo, s25
	s_cbranch_vccz .LBB182_618
; %bb.617:
	s_wait_loadcnt 0x0
	global_load_u8 v3, v[0:1], off
	s_wait_loadcnt 0x0
	v_lshlrev_b32_e32 v3, 24, v3
	s_delay_alu instid0(VALU_DEP_1) | instskip(NEXT) | instid1(VALU_DEP_1)
	v_and_b32_e32 v4, 0x7f000000, v3
	v_clz_i32_u32_e32 v5, v4
	v_add_nc_u32_e32 v8, 0x1000000, v4
	v_cmp_ne_u32_e32 vcc_lo, 0, v4
	s_delay_alu instid0(VALU_DEP_3) | instskip(NEXT) | instid1(VALU_DEP_1)
	v_min_u32_e32 v5, 32, v5
	v_sub_nc_u32_e64 v5, v5, 4 clamp
	s_delay_alu instid0(VALU_DEP_1) | instskip(NEXT) | instid1(VALU_DEP_1)
	v_dual_lshlrev_b32 v7, v5, v4 :: v_dual_lshlrev_b32 v5, 23, v5
	v_lshrrev_b32_e32 v7, 4, v7
	s_delay_alu instid0(VALU_DEP_1) | instskip(NEXT) | instid1(VALU_DEP_1)
	v_dual_sub_nc_u32 v5, v7, v5 :: v_dual_ashrrev_i32 v7, 8, v8
	v_add_nc_u32_e32 v5, 0x3c000000, v5
	s_delay_alu instid0(VALU_DEP_1) | instskip(NEXT) | instid1(VALU_DEP_1)
	v_and_or_b32 v5, 0x7f800000, v7, v5
	v_cndmask_b32_e32 v4, 0, v5, vcc_lo
	s_delay_alu instid0(VALU_DEP_1) | instskip(NEXT) | instid1(VALU_DEP_1)
	v_and_or_b32 v3, 0x80000000, v3, v4
	v_cvt_f16_f32_e32 v3, v3
.LBB182_618:
	s_mov_b32 s25, 0
.LBB182_619:
	s_delay_alu instid0(SALU_CYCLE_1)
	s_and_not1_b32 vcc_lo, exec_lo, s25
	s_cbranch_vccnz .LBB182_621
; %bb.620:
	s_wait_loadcnt 0x0
	global_load_u8 v3, v[0:1], off
	s_wait_loadcnt 0x0
	v_lshlrev_b32_e32 v4, 25, v3
	v_lshlrev_b16 v3, 8, v3
	s_delay_alu instid0(VALU_DEP_1) | instskip(NEXT) | instid1(VALU_DEP_3)
	v_and_or_b32 v7, 0x7f00, v3, 0.5
	v_lshrrev_b32_e32 v5, 4, v4
	v_bfe_i32 v3, v3, 0, 16
	s_delay_alu instid0(VALU_DEP_3) | instskip(NEXT) | instid1(VALU_DEP_3)
	v_add_f32_e32 v7, -0.5, v7
	v_or_b32_e32 v5, 0x70000000, v5
	s_delay_alu instid0(VALU_DEP_1) | instskip(SKIP_1) | instid1(VALU_DEP_2)
	v_mul_f32_e32 v5, 0x7800000, v5
	v_cmp_gt_u32_e32 vcc_lo, 0x8000000, v4
	v_cndmask_b32_e32 v4, v5, v7, vcc_lo
	s_delay_alu instid0(VALU_DEP_1) | instskip(NEXT) | instid1(VALU_DEP_1)
	v_and_or_b32 v3, 0x80000000, v3, v4
	v_cvt_f16_f32_e32 v3, v3
.LBB182_621:
	s_mov_b32 s28, 0
	s_mov_b32 s25, -1
.LBB182_622:
	s_and_not1_b32 vcc_lo, exec_lo, s28
	s_cbranch_vccnz .LBB182_635
; %bb.623:
	s_cmp_gt_i32 s0, 14
	s_cbranch_scc0 .LBB182_626
; %bb.624:
	s_cmp_eq_u32 s0, 15
	s_cbranch_scc0 .LBB182_629
; %bb.625:
	s_wait_loadcnt 0x0
	global_load_u16 v3, v[0:1], off
	s_mov_b32 s25, -1
	s_mov_b32 s24, 0
	s_wait_loadcnt 0x0
	v_lshlrev_b32_e32 v3, 16, v3
	s_delay_alu instid0(VALU_DEP_1)
	v_cvt_f16_f32_e32 v3, v3
	s_branch .LBB182_630
.LBB182_626:
	s_mov_b32 s28, -1
                                        ; implicit-def: $vgpr3
	s_branch .LBB182_631
.LBB182_627:
	s_or_saveexec_b32 s28, s28
	v_mov_b32_e32 v3, 0x7e00
	s_xor_b32 exec_lo, exec_lo, s28
	s_cbranch_execz .LBB182_608
.LBB182_628:
	v_cmp_ne_u16_e32 vcc_lo, 0, v4
	v_mov_b32_e32 v3, v4
	s_and_not1_b32 s25, s25, exec_lo
	s_and_b32 s29, vcc_lo, exec_lo
	s_delay_alu instid0(SALU_CYCLE_1)
	s_or_b32 s25, s25, s29
	s_or_b32 exec_lo, exec_lo, s28
	s_and_saveexec_b32 s28, s25
	s_cbranch_execnz .LBB182_609
	s_branch .LBB182_610
.LBB182_629:
	s_mov_b32 s24, -1
                                        ; implicit-def: $vgpr3
.LBB182_630:
	s_mov_b32 s28, 0
.LBB182_631:
	s_delay_alu instid0(SALU_CYCLE_1)
	s_and_b32 vcc_lo, exec_lo, s28
	s_cbranch_vccz .LBB182_635
; %bb.632:
	s_cmp_eq_u32 s0, 11
	s_cbranch_scc0 .LBB182_634
; %bb.633:
	s_wait_loadcnt 0x0
	global_load_u8 v3, v[0:1], off
	s_mov_b32 s24, 0
	s_mov_b32 s25, -1
	s_wait_loadcnt 0x0
	v_cmp_ne_u16_e32 vcc_lo, 0, v3
	v_cndmask_b32_e64 v3, 0, 0x3c00, vcc_lo
	s_branch .LBB182_635
.LBB182_634:
	s_mov_b32 s24, -1
                                        ; implicit-def: $vgpr3
.LBB182_635:
	s_mov_b32 s28, 0
.LBB182_636:
	s_delay_alu instid0(SALU_CYCLE_1)
	s_and_b32 vcc_lo, exec_lo, s28
	s_cbranch_vccz .LBB182_685
; %bb.637:
	s_cmp_lt_i32 s0, 5
	s_cbranch_scc1 .LBB182_642
; %bb.638:
	s_cmp_lt_i32 s0, 8
	s_cbranch_scc1 .LBB182_643
	;; [unrolled: 3-line block ×3, first 2 shown]
; %bb.640:
	s_cmp_gt_i32 s0, 9
	s_cbranch_scc0 .LBB182_645
; %bb.641:
	global_load_b64 v[4:5], v[0:1], off
	s_mov_b32 s25, 0
	s_wait_loadcnt 0x0
	v_and_or_b32 v3, 0x1ff, v5, v4
	v_lshrrev_b32_e32 v4, 8, v5
	v_bfe_u32 v7, v5, 20, 11
	s_delay_alu instid0(VALU_DEP_3) | instskip(NEXT) | instid1(VALU_DEP_2)
	v_cmp_ne_u32_e32 vcc_lo, 0, v3
	v_sub_nc_u32_e32 v8, 0x3f1, v7
	v_cndmask_b32_e64 v3, 0, 1, vcc_lo
	s_delay_alu instid0(VALU_DEP_1) | instskip(NEXT) | instid1(VALU_DEP_3)
	v_and_or_b32 v3, 0xffe, v4, v3
	v_med3_i32 v4, v8, 0, 13
	s_delay_alu instid0(VALU_DEP_2) | instskip(NEXT) | instid1(VALU_DEP_1)
	v_or_b32_e32 v8, 0x1000, v3
	v_lshrrev_b32_e32 v9, v4, v8
	s_delay_alu instid0(VALU_DEP_1) | instskip(NEXT) | instid1(VALU_DEP_1)
	v_lshlrev_b32_e32 v4, v4, v9
	v_cmp_ne_u32_e32 vcc_lo, v4, v8
	v_cndmask_b32_e64 v4, 0, 1, vcc_lo
	s_delay_alu instid0(VALU_DEP_1) | instskip(SKIP_1) | instid1(VALU_DEP_1)
	v_or_b32_e32 v4, v9, v4
	v_add_nc_u32_e32 v7, 0xfffffc10, v7
	v_lshl_or_b32 v8, v7, 12, v3
	v_cmp_gt_i32_e32 vcc_lo, 1, v7
	s_delay_alu instid0(VALU_DEP_2) | instskip(NEXT) | instid1(VALU_DEP_1)
	v_cndmask_b32_e32 v4, v8, v4, vcc_lo
	v_dual_lshrrev_b32 v4, 2, v4 :: v_dual_bitop2_b32 v8, 7, v4 bitop3:0x40
	s_delay_alu instid0(VALU_DEP_1) | instskip(SKIP_4) | instid1(VALU_DEP_2)
	v_cmp_lt_i32_e32 vcc_lo, 5, v8
	v_cndmask_b32_e64 v9, 0, 1, vcc_lo
	v_cmp_eq_u32_e32 vcc_lo, 3, v8
	v_cndmask_b32_e64 v8, 0, 1, vcc_lo
	v_cmp_ne_u32_e32 vcc_lo, 0, v3
	v_or_b32_e32 v8, v8, v9
	s_delay_alu instid0(VALU_DEP_1) | instskip(NEXT) | instid1(VALU_DEP_1)
	v_dual_mov_b32 v9, 0x7e00 :: v_dual_add_nc_u32 v4, v4, v8
	v_cndmask_b32_e32 v3, 0x7c00, v9, vcc_lo
	v_cmp_gt_i32_e32 vcc_lo, 31, v7
	s_delay_alu instid0(VALU_DEP_3) | instskip(SKIP_1) | instid1(VALU_DEP_2)
	v_cndmask_b32_e32 v4, 0x7c00, v4, vcc_lo
	v_cmp_eq_u32_e32 vcc_lo, 0x40f, v7
	v_dual_cndmask_b32 v3, v4, v3 :: v_dual_lshrrev_b32 v4, 16, v5
	s_delay_alu instid0(VALU_DEP_1)
	v_and_or_b32 v3, 0x8000, v4, v3
	s_branch .LBB182_646
.LBB182_642:
	s_mov_b32 s25, -1
                                        ; implicit-def: $vgpr3
	s_branch .LBB182_664
.LBB182_643:
	s_mov_b32 s25, -1
                                        ; implicit-def: $vgpr3
	s_branch .LBB182_652
.LBB182_644:
	s_mov_b32 s25, -1
                                        ; implicit-def: $vgpr3
	s_branch .LBB182_649
.LBB182_645:
	s_mov_b32 s25, -1
                                        ; implicit-def: $vgpr3
.LBB182_646:
	s_delay_alu instid0(SALU_CYCLE_1)
	s_and_not1_b32 vcc_lo, exec_lo, s25
	s_cbranch_vccnz .LBB182_648
; %bb.647:
	s_wait_loadcnt 0x0
	global_load_b32 v3, v[0:1], off
	s_wait_loadcnt 0x0
	v_cvt_f16_f32_e32 v3, v3
.LBB182_648:
	s_mov_b32 s25, 0
.LBB182_649:
	s_delay_alu instid0(SALU_CYCLE_1)
	s_and_not1_b32 vcc_lo, exec_lo, s25
	s_cbranch_vccnz .LBB182_651
; %bb.650:
	s_wait_loadcnt 0x0
	global_load_b32 v3, v[0:1], off
.LBB182_651:
	s_mov_b32 s25, 0
.LBB182_652:
	s_delay_alu instid0(SALU_CYCLE_1)
	s_and_not1_b32 vcc_lo, exec_lo, s25
	s_cbranch_vccnz .LBB182_663
; %bb.653:
	s_cmp_lt_i32 s0, 6
	s_cbranch_scc1 .LBB182_656
; %bb.654:
	s_cmp_gt_i32 s0, 6
	s_cbranch_scc0 .LBB182_657
; %bb.655:
	global_load_b64 v[4:5], v[0:1], off
	s_mov_b32 s25, 0
	s_wait_loadcnt 0x0
	v_and_or_b32 v3, 0x1ff, v5, v4
	v_lshrrev_b32_e32 v4, 8, v5
	v_bfe_u32 v7, v5, 20, 11
	s_delay_alu instid0(VALU_DEP_3) | instskip(NEXT) | instid1(VALU_DEP_2)
	v_cmp_ne_u32_e32 vcc_lo, 0, v3
	v_sub_nc_u32_e32 v8, 0x3f1, v7
	v_cndmask_b32_e64 v3, 0, 1, vcc_lo
	s_delay_alu instid0(VALU_DEP_1) | instskip(NEXT) | instid1(VALU_DEP_3)
	v_and_or_b32 v3, 0xffe, v4, v3
	v_med3_i32 v4, v8, 0, 13
	s_delay_alu instid0(VALU_DEP_2) | instskip(NEXT) | instid1(VALU_DEP_1)
	v_or_b32_e32 v8, 0x1000, v3
	v_lshrrev_b32_e32 v9, v4, v8
	s_delay_alu instid0(VALU_DEP_1) | instskip(NEXT) | instid1(VALU_DEP_1)
	v_lshlrev_b32_e32 v4, v4, v9
	v_cmp_ne_u32_e32 vcc_lo, v4, v8
	v_cndmask_b32_e64 v4, 0, 1, vcc_lo
	s_delay_alu instid0(VALU_DEP_1) | instskip(SKIP_1) | instid1(VALU_DEP_1)
	v_or_b32_e32 v4, v9, v4
	v_add_nc_u32_e32 v7, 0xfffffc10, v7
	v_lshl_or_b32 v8, v7, 12, v3
	v_cmp_gt_i32_e32 vcc_lo, 1, v7
	s_delay_alu instid0(VALU_DEP_2) | instskip(NEXT) | instid1(VALU_DEP_1)
	v_cndmask_b32_e32 v4, v8, v4, vcc_lo
	v_dual_lshrrev_b32 v4, 2, v4 :: v_dual_bitop2_b32 v8, 7, v4 bitop3:0x40
	s_delay_alu instid0(VALU_DEP_1) | instskip(SKIP_4) | instid1(VALU_DEP_2)
	v_cmp_lt_i32_e32 vcc_lo, 5, v8
	v_cndmask_b32_e64 v9, 0, 1, vcc_lo
	v_cmp_eq_u32_e32 vcc_lo, 3, v8
	v_cndmask_b32_e64 v8, 0, 1, vcc_lo
	v_cmp_ne_u32_e32 vcc_lo, 0, v3
	v_or_b32_e32 v8, v8, v9
	s_delay_alu instid0(VALU_DEP_1) | instskip(NEXT) | instid1(VALU_DEP_1)
	v_dual_mov_b32 v9, 0x7e00 :: v_dual_add_nc_u32 v4, v4, v8
	v_cndmask_b32_e32 v3, 0x7c00, v9, vcc_lo
	v_cmp_gt_i32_e32 vcc_lo, 31, v7
	s_delay_alu instid0(VALU_DEP_3) | instskip(SKIP_1) | instid1(VALU_DEP_2)
	v_cndmask_b32_e32 v4, 0x7c00, v4, vcc_lo
	v_cmp_eq_u32_e32 vcc_lo, 0x40f, v7
	v_dual_cndmask_b32 v3, v4, v3 :: v_dual_lshrrev_b32 v4, 16, v5
	s_delay_alu instid0(VALU_DEP_1)
	v_and_or_b32 v3, 0x8000, v4, v3
	s_branch .LBB182_658
.LBB182_656:
	s_mov_b32 s25, -1
                                        ; implicit-def: $vgpr3
	s_branch .LBB182_661
.LBB182_657:
	s_mov_b32 s25, -1
                                        ; implicit-def: $vgpr3
.LBB182_658:
	s_delay_alu instid0(SALU_CYCLE_1)
	s_and_not1_b32 vcc_lo, exec_lo, s25
	s_cbranch_vccnz .LBB182_660
; %bb.659:
	s_wait_loadcnt 0x0
	global_load_b32 v3, v[0:1], off
	s_wait_loadcnt 0x0
	v_cvt_f16_f32_e32 v3, v3
.LBB182_660:
	s_mov_b32 s25, 0
.LBB182_661:
	s_delay_alu instid0(SALU_CYCLE_1)
	s_and_not1_b32 vcc_lo, exec_lo, s25
	s_cbranch_vccnz .LBB182_663
; %bb.662:
	s_wait_loadcnt 0x0
	global_load_u16 v3, v[0:1], off
.LBB182_663:
	s_mov_b32 s25, 0
.LBB182_664:
	s_delay_alu instid0(SALU_CYCLE_1)
	s_and_not1_b32 vcc_lo, exec_lo, s25
	s_cbranch_vccnz .LBB182_684
; %bb.665:
	s_cmp_lt_i32 s0, 2
	s_cbranch_scc1 .LBB182_669
; %bb.666:
	s_cmp_lt_i32 s0, 3
	s_cbranch_scc1 .LBB182_670
; %bb.667:
	s_cmp_gt_i32 s0, 3
	s_cbranch_scc0 .LBB182_671
; %bb.668:
	global_load_b64 v[4:5], v[0:1], off
	s_mov_b32 s25, 0
	s_wait_loadcnt 0x0
	v_xor_b32_e32 v3, v4, v5
	v_cls_i32_e32 v7, v5
	s_delay_alu instid0(VALU_DEP_2) | instskip(NEXT) | instid1(VALU_DEP_1)
	v_ashrrev_i32_e32 v3, 31, v3
	v_add_nc_u32_e32 v3, 32, v3
	s_delay_alu instid0(VALU_DEP_1) | instskip(NEXT) | instid1(VALU_DEP_1)
	v_add_min_u32_e64 v3, v7, -1, v3
	v_lshlrev_b64_e32 v[4:5], v3, v[4:5]
	v_sub_nc_u32_e32 v3, 32, v3
	s_delay_alu instid0(VALU_DEP_2) | instskip(NEXT) | instid1(VALU_DEP_1)
	v_min_u32_e32 v4, 1, v4
	v_or_b32_e32 v4, v5, v4
	s_delay_alu instid0(VALU_DEP_1) | instskip(NEXT) | instid1(VALU_DEP_1)
	v_cvt_f32_i32_e32 v4, v4
	v_ldexp_f32 v3, v4, v3
	s_delay_alu instid0(VALU_DEP_1)
	v_cvt_f16_f32_e32 v3, v3
	s_branch .LBB182_672
.LBB182_669:
	s_mov_b32 s25, -1
                                        ; implicit-def: $vgpr3
	s_branch .LBB182_678
.LBB182_670:
	s_mov_b32 s25, -1
                                        ; implicit-def: $vgpr3
	s_branch .LBB182_675
.LBB182_671:
	s_mov_b32 s25, -1
                                        ; implicit-def: $vgpr3
.LBB182_672:
	s_delay_alu instid0(SALU_CYCLE_1)
	s_and_not1_b32 vcc_lo, exec_lo, s25
	s_cbranch_vccnz .LBB182_674
; %bb.673:
	s_wait_loadcnt 0x0
	global_load_b32 v3, v[0:1], off
	s_wait_loadcnt 0x0
	v_cvt_f32_i32_e32 v3, v3
	s_delay_alu instid0(VALU_DEP_1)
	v_cvt_f16_f32_e32 v3, v3
.LBB182_674:
	s_mov_b32 s25, 0
.LBB182_675:
	s_delay_alu instid0(SALU_CYCLE_1)
	s_and_not1_b32 vcc_lo, exec_lo, s25
	s_cbranch_vccnz .LBB182_677
; %bb.676:
	s_wait_loadcnt 0x0
	global_load_u16 v3, v[0:1], off
	s_wait_loadcnt 0x0
	v_cvt_f16_i16_e32 v3, v3
.LBB182_677:
	s_mov_b32 s25, 0
.LBB182_678:
	s_delay_alu instid0(SALU_CYCLE_1)
	s_and_not1_b32 vcc_lo, exec_lo, s25
	s_cbranch_vccnz .LBB182_684
; %bb.679:
	s_cmp_gt_i32 s0, 0
	s_mov_b32 s0, 0
	s_cbranch_scc0 .LBB182_681
; %bb.680:
	s_wait_loadcnt 0x0
	global_load_i8 v3, v[0:1], off
	s_wait_loadcnt 0x0
	v_cvt_f16_i16_e32 v3, v3
	s_branch .LBB182_682
.LBB182_681:
	s_mov_b32 s0, -1
                                        ; implicit-def: $vgpr3
.LBB182_682:
	s_delay_alu instid0(SALU_CYCLE_1)
	s_and_not1_b32 vcc_lo, exec_lo, s0
	s_cbranch_vccnz .LBB182_684
; %bb.683:
	global_load_u8 v0, v[0:1], off
	s_wait_loadcnt 0x0
	v_cvt_f16_u16_e32 v3, v0
.LBB182_684:
	s_mov_b32 s25, -1
.LBB182_685:
	s_delay_alu instid0(SALU_CYCLE_1)
	s_and_not1_b32 vcc_lo, exec_lo, s25
	s_cbranch_vccnz .LBB182_693
; %bb.686:
	s_wait_xcnt 0x0
	v_mul_lo_u32 v0, v6, s11
	s_wait_loadcnt 0x0
	v_mul_f16_e32 v2, s10, v2
	s_and_b32 s25, s12, 0xff
	s_delay_alu instid0(SALU_CYCLE_1) | instskip(NEXT) | instid1(VALU_DEP_1)
	s_cmp_lt_i32 s25, 11
	v_mul_f16_e32 v2, v2, v3
	s_delay_alu instid0(VALU_DEP_3) | instskip(NEXT) | instid1(VALU_DEP_1)
	v_ashrrev_i32_e32 v1, 31, v0
	v_add_nc_u64_e32 v[0:1], s[2:3], v[0:1]
	s_cbranch_scc1 .LBB182_694
; %bb.687:
	s_and_b32 s28, 0xffff, s25
	s_delay_alu instid0(SALU_CYCLE_1)
	s_cmp_gt_i32 s28, 25
	s_cbranch_scc0 .LBB182_695
; %bb.688:
	s_cmp_gt_i32 s28, 28
	s_cbranch_scc0 .LBB182_696
; %bb.689:
	;; [unrolled: 3-line block ×4, first 2 shown]
	s_mov_b32 s30, 0
	s_mov_b32 s0, -1
	s_cmp_eq_u32 s28, 46
	s_mov_b32 s29, 0
	s_cbranch_scc0 .LBB182_699
; %bb.692:
	v_cvt_f32_f16_e32 v3, v2
	v_cmp_o_f16_e32 vcc_lo, v2, v2
	s_mov_b32 s29, -1
	s_mov_b32 s0, 0
	s_delay_alu instid0(VALU_DEP_2) | instskip(NEXT) | instid1(VALU_DEP_1)
	v_bfe_u32 v4, v3, 16, 1
	v_add3_u32 v3, v3, v4, 0x7fff
	s_delay_alu instid0(VALU_DEP_1) | instskip(NEXT) | instid1(VALU_DEP_1)
	v_lshrrev_b32_e32 v3, 16, v3
	v_cndmask_b32_e32 v3, 0x7fc0, v3, vcc_lo
	global_store_b32 v[0:1], v3, off
	s_branch .LBB182_699
.LBB182_693:
	s_mov_b32 s28, 0
	s_mov_b32 s0, s17
	s_branch .LBB182_430
.LBB182_694:
	s_mov_b32 s28, -1
	s_mov_b32 s29, 0
	s_mov_b32 s0, s17
	s_branch .LBB182_768
.LBB182_695:
	s_mov_b32 s30, -1
	s_mov_b32 s29, 0
	s_mov_b32 s0, s17
	s_branch .LBB182_726
.LBB182_696:
	s_mov_b32 s30, -1
	s_mov_b32 s29, 0
	s_mov_b32 s0, s17
	s_branch .LBB182_709
.LBB182_697:
	s_mov_b32 s30, -1
	s_mov_b32 s29, 0
	s_mov_b32 s0, s17
	s_branch .LBB182_705
.LBB182_698:
	s_mov_b32 s30, -1
	s_mov_b32 s29, 0
	s_mov_b32 s0, s17
.LBB182_699:
	s_and_b32 vcc_lo, exec_lo, s30
	s_cbranch_vccz .LBB182_704
; %bb.700:
	s_cmp_eq_u32 s28, 44
	s_mov_b32 s0, -1
	s_cbranch_scc0 .LBB182_704
; %bb.701:
	s_wait_xcnt 0x0
	v_cvt_f32_f16_e32 v3, v2
	v_mov_b32_e32 v4, 0xff
	s_mov_b32 s29, exec_lo
	s_delay_alu instid0(VALU_DEP_2) | instskip(NEXT) | instid1(VALU_DEP_1)
	v_bfe_u32 v5, v3, 23, 8
	v_cmpx_ne_u32_e32 0xff, v5
	s_cbranch_execz .LBB182_703
; %bb.702:
	v_and_b32_e32 v4, 0x400000, v3
	v_and_or_b32 v5, 0x3fffff, v3, v5
	v_lshrrev_b32_e32 v3, 23, v3
	s_delay_alu instid0(VALU_DEP_3) | instskip(NEXT) | instid1(VALU_DEP_3)
	v_cmp_ne_u32_e32 vcc_lo, 0, v4
	v_cmp_ne_u32_e64 s0, 0, v5
	s_and_b32 s0, vcc_lo, s0
	s_delay_alu instid0(SALU_CYCLE_1) | instskip(NEXT) | instid1(VALU_DEP_1)
	v_cndmask_b32_e64 v4, 0, 1, s0
	v_add_nc_u32_e32 v4, v3, v4
.LBB182_703:
	s_or_b32 exec_lo, exec_lo, s29
	s_mov_b32 s29, -1
	s_mov_b32 s0, 0
	global_store_b8 v[0:1], v4, off
.LBB182_704:
	s_mov_b32 s30, 0
.LBB182_705:
	s_delay_alu instid0(SALU_CYCLE_1)
	s_and_b32 vcc_lo, exec_lo, s30
	s_cbranch_vccz .LBB182_708
; %bb.706:
	s_cmp_eq_u32 s28, 29
	s_mov_b32 s0, -1
	s_cbranch_scc0 .LBB182_708
; %bb.707:
	s_wait_xcnt 0x0
	v_cvt_f32_f16_e32 v3, v2
	v_mov_b32_e32 v5, 0
	s_mov_b32 s29, -1
	s_mov_b32 s0, 0
	s_mov_b32 s30, 0
	v_cvt_u32_f32_e32 v4, v3
	global_store_b64 v[0:1], v[4:5], off
	s_branch .LBB182_709
.LBB182_708:
	s_mov_b32 s30, 0
.LBB182_709:
	s_delay_alu instid0(SALU_CYCLE_1)
	s_and_b32 vcc_lo, exec_lo, s30
	s_cbranch_vccz .LBB182_725
; %bb.710:
	s_cmp_lt_i32 s28, 27
	s_mov_b32 s29, -1
	s_cbranch_scc1 .LBB182_716
; %bb.711:
	s_cmp_gt_i32 s28, 27
	s_cbranch_scc0 .LBB182_713
; %bb.712:
	s_wait_xcnt 0x0
	v_cvt_f32_f16_e32 v3, v2
	s_mov_b32 s29, 0
	s_delay_alu instid0(VALU_DEP_1)
	v_cvt_u32_f32_e32 v3, v3
	global_store_b32 v[0:1], v3, off
.LBB182_713:
	s_and_not1_b32 vcc_lo, exec_lo, s29
	s_cbranch_vccnz .LBB182_715
; %bb.714:
	s_wait_xcnt 0x0
	v_cvt_u16_f16_e32 v3, v2
	global_store_b16 v[0:1], v3, off
.LBB182_715:
	s_mov_b32 s29, 0
.LBB182_716:
	s_delay_alu instid0(SALU_CYCLE_1)
	s_and_not1_b32 vcc_lo, exec_lo, s29
	s_cbranch_vccnz .LBB182_724
; %bb.717:
	s_wait_xcnt 0x0
	v_cvt_f32_f16_e32 v3, v2
	v_mov_b32_e32 v5, 0x80
	s_mov_b32 s29, exec_lo
	s_delay_alu instid0(VALU_DEP_2) | instskip(NEXT) | instid1(VALU_DEP_1)
	v_and_b32_e32 v4, 0x7fffffff, v3
	v_cmpx_gt_u32_e32 0x43800000, v4
	s_cbranch_execz .LBB182_723
; %bb.718:
	v_cmp_lt_u32_e32 vcc_lo, 0x3bffffff, v4
	s_mov_b32 s30, 0
                                        ; implicit-def: $vgpr4
	s_and_saveexec_b32 s31, vcc_lo
	s_delay_alu instid0(SALU_CYCLE_1)
	s_xor_b32 s31, exec_lo, s31
	s_cbranch_execz .LBB182_846
; %bb.719:
	v_bfe_u32 v4, v3, 20, 1
	s_mov_b32 s30, exec_lo
	s_delay_alu instid0(VALU_DEP_1) | instskip(NEXT) | instid1(VALU_DEP_1)
	v_add3_u32 v4, v3, v4, 0x487ffff
	v_lshrrev_b32_e32 v4, 20, v4
	s_and_not1_saveexec_b32 s31, s31
	s_cbranch_execnz .LBB182_847
.LBB182_720:
	s_or_b32 exec_lo, exec_lo, s31
	v_mov_b32_e32 v5, 0
	s_and_saveexec_b32 s31, s30
.LBB182_721:
	v_lshrrev_b32_e32 v3, 24, v3
	s_delay_alu instid0(VALU_DEP_1)
	v_and_or_b32 v5, 0x80, v3, v4
.LBB182_722:
	s_or_b32 exec_lo, exec_lo, s31
.LBB182_723:
	s_delay_alu instid0(SALU_CYCLE_1)
	s_or_b32 exec_lo, exec_lo, s29
	global_store_b8 v[0:1], v5, off
.LBB182_724:
	s_mov_b32 s29, -1
.LBB182_725:
	s_mov_b32 s30, 0
.LBB182_726:
	s_delay_alu instid0(SALU_CYCLE_1)
	s_and_b32 vcc_lo, exec_lo, s30
	s_cbranch_vccz .LBB182_767
; %bb.727:
	s_cmp_gt_i32 s28, 22
	s_mov_b32 s30, -1
	s_cbranch_scc0 .LBB182_759
; %bb.728:
	s_cmp_lt_i32 s28, 24
	s_mov_b32 s29, -1
	s_cbranch_scc1 .LBB182_748
; %bb.729:
	s_cmp_gt_i32 s28, 24
	s_cbranch_scc0 .LBB182_737
; %bb.730:
	s_wait_xcnt 0x0
	v_cvt_f32_f16_e32 v3, v2
	v_mov_b32_e32 v5, 0x80
	s_mov_b32 s29, exec_lo
	s_delay_alu instid0(VALU_DEP_2) | instskip(NEXT) | instid1(VALU_DEP_1)
	v_and_b32_e32 v4, 0x7fffffff, v3
	v_cmpx_gt_u32_e32 0x47800000, v4
	s_cbranch_execz .LBB182_736
; %bb.731:
	v_cmp_lt_u32_e32 vcc_lo, 0x37ffffff, v4
	s_mov_b32 s30, 0
                                        ; implicit-def: $vgpr4
	s_and_saveexec_b32 s31, vcc_lo
	s_delay_alu instid0(SALU_CYCLE_1)
	s_xor_b32 s31, exec_lo, s31
	s_cbranch_execz .LBB182_977
; %bb.732:
	v_bfe_u32 v4, v3, 21, 1
	s_mov_b32 s30, exec_lo
	s_delay_alu instid0(VALU_DEP_1) | instskip(NEXT) | instid1(VALU_DEP_1)
	v_add3_u32 v4, v3, v4, 0x88fffff
	v_lshrrev_b32_e32 v4, 21, v4
	s_and_not1_saveexec_b32 s31, s31
	s_cbranch_execnz .LBB182_978
.LBB182_733:
	s_or_b32 exec_lo, exec_lo, s31
	v_mov_b32_e32 v5, 0
	s_and_saveexec_b32 s31, s30
.LBB182_734:
	v_lshrrev_b32_e32 v3, 24, v3
	s_delay_alu instid0(VALU_DEP_1)
	v_and_or_b32 v5, 0x80, v3, v4
.LBB182_735:
	s_or_b32 exec_lo, exec_lo, s31
.LBB182_736:
	s_delay_alu instid0(SALU_CYCLE_1)
	s_or_b32 exec_lo, exec_lo, s29
	s_mov_b32 s29, 0
	global_store_b8 v[0:1], v5, off
.LBB182_737:
	s_and_b32 vcc_lo, exec_lo, s29
	s_cbranch_vccz .LBB182_747
; %bb.738:
	s_wait_xcnt 0x0
	v_cvt_f32_f16_e32 v3, v2
	s_mov_b32 s29, exec_lo
                                        ; implicit-def: $vgpr4
	s_delay_alu instid0(VALU_DEP_1) | instskip(NEXT) | instid1(VALU_DEP_1)
	v_and_b32_e32 v5, 0x7fffffff, v3
	v_cmpx_gt_u32_e32 0x43f00000, v5
	s_xor_b32 s29, exec_lo, s29
	s_cbranch_execz .LBB182_744
; %bb.739:
	s_mov_b32 s30, exec_lo
                                        ; implicit-def: $vgpr4
	v_cmpx_lt_u32_e32 0x3c7fffff, v5
	s_xor_b32 s30, exec_lo, s30
; %bb.740:
	v_bfe_u32 v4, v3, 20, 1
	s_delay_alu instid0(VALU_DEP_1) | instskip(NEXT) | instid1(VALU_DEP_1)
	v_add3_u32 v4, v3, v4, 0x407ffff
	v_and_b32_e32 v5, 0xff00000, v4
	v_lshrrev_b32_e32 v4, 20, v4
	s_delay_alu instid0(VALU_DEP_2) | instskip(NEXT) | instid1(VALU_DEP_2)
	v_cmp_ne_u32_e32 vcc_lo, 0x7f00000, v5
	v_cndmask_b32_e32 v4, 0x7e, v4, vcc_lo
; %bb.741:
	s_and_not1_saveexec_b32 s30, s30
; %bb.742:
	v_add_f32_e64 v4, 0x46800000, |v3|
; %bb.743:
	s_or_b32 exec_lo, exec_lo, s30
                                        ; implicit-def: $vgpr5
.LBB182_744:
	s_and_not1_saveexec_b32 s29, s29
; %bb.745:
	v_mov_b32_e32 v4, 0x7f
	v_cmp_lt_u32_e32 vcc_lo, 0x7f800000, v5
	s_delay_alu instid0(VALU_DEP_2)
	v_cndmask_b32_e32 v4, 0x7e, v4, vcc_lo
; %bb.746:
	s_or_b32 exec_lo, exec_lo, s29
	v_lshrrev_b32_e32 v3, 24, v3
	s_delay_alu instid0(VALU_DEP_1)
	v_and_or_b32 v3, 0x80, v3, v4
	global_store_b8 v[0:1], v3, off
.LBB182_747:
	s_mov_b32 s29, 0
.LBB182_748:
	s_delay_alu instid0(SALU_CYCLE_1)
	s_and_not1_b32 vcc_lo, exec_lo, s29
	s_cbranch_vccnz .LBB182_758
; %bb.749:
	s_wait_xcnt 0x0
	v_cvt_f32_f16_e32 v3, v2
	s_mov_b32 s29, exec_lo
                                        ; implicit-def: $vgpr4
	s_delay_alu instid0(VALU_DEP_1) | instskip(NEXT) | instid1(VALU_DEP_1)
	v_and_b32_e32 v5, 0x7fffffff, v3
	v_cmpx_gt_u32_e32 0x47800000, v5
	s_xor_b32 s29, exec_lo, s29
	s_cbranch_execz .LBB182_755
; %bb.750:
	s_mov_b32 s30, exec_lo
                                        ; implicit-def: $vgpr4
	v_cmpx_lt_u32_e32 0x387fffff, v5
	s_xor_b32 s30, exec_lo, s30
; %bb.751:
	v_bfe_u32 v4, v3, 21, 1
	s_delay_alu instid0(VALU_DEP_1) | instskip(NEXT) | instid1(VALU_DEP_1)
	v_add3_u32 v4, v3, v4, 0x80fffff
	v_lshrrev_b32_e32 v4, 21, v4
; %bb.752:
	s_and_not1_saveexec_b32 s30, s30
; %bb.753:
	v_add_f32_e64 v4, 0x43000000, |v3|
; %bb.754:
	s_or_b32 exec_lo, exec_lo, s30
                                        ; implicit-def: $vgpr5
.LBB182_755:
	s_and_not1_saveexec_b32 s29, s29
; %bb.756:
	v_mov_b32_e32 v4, 0x7f
	v_cmp_lt_u32_e32 vcc_lo, 0x7f800000, v5
	s_delay_alu instid0(VALU_DEP_2)
	v_cndmask_b32_e32 v4, 0x7c, v4, vcc_lo
; %bb.757:
	s_or_b32 exec_lo, exec_lo, s29
	v_lshrrev_b32_e32 v3, 24, v3
	s_delay_alu instid0(VALU_DEP_1)
	v_and_or_b32 v3, 0x80, v3, v4
	global_store_b8 v[0:1], v3, off
.LBB182_758:
	s_mov_b32 s30, 0
	s_mov_b32 s29, -1
.LBB182_759:
	s_and_not1_b32 vcc_lo, exec_lo, s30
	s_cbranch_vccnz .LBB182_767
; %bb.760:
	s_cmp_gt_i32 s28, 14
	s_mov_b32 s30, -1
	s_cbranch_scc0 .LBB182_764
; %bb.761:
	s_cmp_eq_u32 s28, 15
	s_mov_b32 s0, -1
	s_cbranch_scc0 .LBB182_763
; %bb.762:
	s_wait_xcnt 0x0
	v_cvt_f32_f16_e32 v3, v2
	v_cmp_o_f16_e32 vcc_lo, v2, v2
	s_mov_b32 s29, -1
	s_mov_b32 s0, 0
	s_delay_alu instid0(VALU_DEP_2) | instskip(NEXT) | instid1(VALU_DEP_1)
	v_bfe_u32 v4, v3, 16, 1
	v_add3_u32 v3, v3, v4, 0x7fff
	s_delay_alu instid0(VALU_DEP_1) | instskip(NEXT) | instid1(VALU_DEP_1)
	v_lshrrev_b32_e32 v3, 16, v3
	v_cndmask_b32_e32 v3, 0x7fc0, v3, vcc_lo
	global_store_b16 v[0:1], v3, off
.LBB182_763:
	s_mov_b32 s30, 0
.LBB182_764:
	s_delay_alu instid0(SALU_CYCLE_1)
	s_and_b32 vcc_lo, exec_lo, s30
	s_cbranch_vccz .LBB182_767
; %bb.765:
	s_cmp_eq_u32 s28, 11
	s_mov_b32 s0, -1
	s_cbranch_scc0 .LBB182_767
; %bb.766:
	v_cmp_neq_f16_e32 vcc_lo, 0, v2
	s_mov_b32 s0, 0
	s_mov_b32 s29, -1
	s_wait_xcnt 0x0
	v_cndmask_b32_e64 v3, 0, 1, vcc_lo
	global_store_b8 v[0:1], v3, off
.LBB182_767:
	s_mov_b32 s28, 0
.LBB182_768:
	s_delay_alu instid0(SALU_CYCLE_1)
	s_and_b32 vcc_lo, exec_lo, s28
	s_cbranch_vccz .LBB182_807
; %bb.769:
	s_and_b32 s25, 0xffff, s25
	s_mov_b32 s28, -1
	s_cmp_lt_i32 s25, 5
	s_cbranch_scc1 .LBB182_790
; %bb.770:
	s_cmp_lt_i32 s25, 8
	s_cbranch_scc1 .LBB182_780
; %bb.771:
	;; [unrolled: 3-line block ×3, first 2 shown]
	s_cmp_gt_i32 s25, 9
	s_cbranch_scc0 .LBB182_774
; %bb.773:
	s_wait_xcnt 0x0
	v_cvt_f32_f16_e32 v3, v2
	v_mov_b32_e32 v10, 0
	s_mov_b32 s28, 0
	s_delay_alu instid0(VALU_DEP_2) | instskip(NEXT) | instid1(VALU_DEP_2)
	v_cvt_f64_f32_e32 v[8:9], v3
	v_mov_b32_e32 v11, v10
	global_store_b128 v[0:1], v[8:11], off
.LBB182_774:
	s_and_not1_b32 vcc_lo, exec_lo, s28
	s_cbranch_vccnz .LBB182_776
; %bb.775:
	s_wait_xcnt 0x0
	v_cvt_f32_f16_e32 v4, v2
	v_mov_b32_e32 v5, 0
	global_store_b64 v[0:1], v[4:5], off
.LBB182_776:
	s_mov_b32 s28, 0
.LBB182_777:
	s_delay_alu instid0(SALU_CYCLE_1)
	s_and_not1_b32 vcc_lo, exec_lo, s28
	s_cbranch_vccnz .LBB182_779
; %bb.778:
	s_wait_xcnt 0x0
	v_and_b32_e32 v3, 0xffff, v2
	global_store_b32 v[0:1], v3, off
.LBB182_779:
	s_mov_b32 s28, 0
.LBB182_780:
	s_delay_alu instid0(SALU_CYCLE_1)
	s_and_not1_b32 vcc_lo, exec_lo, s28
	s_cbranch_vccnz .LBB182_789
; %bb.781:
	s_cmp_lt_i32 s25, 6
	s_mov_b32 s28, -1
	s_cbranch_scc1 .LBB182_787
; %bb.782:
	s_cmp_gt_i32 s25, 6
	s_cbranch_scc0 .LBB182_784
; %bb.783:
	s_wait_xcnt 0x0
	v_cvt_f32_f16_e32 v3, v2
	s_mov_b32 s28, 0
	s_delay_alu instid0(VALU_DEP_1)
	v_cvt_f64_f32_e32 v[4:5], v3
	global_store_b64 v[0:1], v[4:5], off
.LBB182_784:
	s_and_not1_b32 vcc_lo, exec_lo, s28
	s_cbranch_vccnz .LBB182_786
; %bb.785:
	s_wait_xcnt 0x0
	v_cvt_f32_f16_e32 v3, v2
	global_store_b32 v[0:1], v3, off
.LBB182_786:
	s_mov_b32 s28, 0
.LBB182_787:
	s_delay_alu instid0(SALU_CYCLE_1)
	s_and_not1_b32 vcc_lo, exec_lo, s28
	s_cbranch_vccnz .LBB182_789
; %bb.788:
	global_store_b16 v[0:1], v2, off
.LBB182_789:
	s_mov_b32 s28, 0
.LBB182_790:
	s_delay_alu instid0(SALU_CYCLE_1)
	s_and_not1_b32 vcc_lo, exec_lo, s28
	s_cbranch_vccnz .LBB182_806
; %bb.791:
	s_cmp_lt_i32 s25, 2
	s_mov_b32 s28, -1
	s_cbranch_scc1 .LBB182_801
; %bb.792:
	s_cmp_lt_i32 s25, 3
	s_cbranch_scc1 .LBB182_798
; %bb.793:
	s_cmp_gt_i32 s25, 3
	s_cbranch_scc0 .LBB182_795
; %bb.794:
	s_wait_xcnt 0x0
	v_cvt_f32_f16_e32 v3, v2
	s_mov_b32 s28, 0
	s_delay_alu instid0(VALU_DEP_1) | instskip(NEXT) | instid1(VALU_DEP_1)
	v_cvt_i32_f32_e32 v4, v3
	v_ashrrev_i32_e32 v5, 31, v4
	global_store_b64 v[0:1], v[4:5], off
.LBB182_795:
	s_and_not1_b32 vcc_lo, exec_lo, s28
	s_cbranch_vccnz .LBB182_797
; %bb.796:
	s_wait_xcnt 0x0
	v_cvt_f32_f16_e32 v3, v2
	s_delay_alu instid0(VALU_DEP_1)
	v_cvt_i32_f32_e32 v3, v3
	global_store_b32 v[0:1], v3, off
.LBB182_797:
	s_mov_b32 s28, 0
.LBB182_798:
	s_delay_alu instid0(SALU_CYCLE_1)
	s_and_not1_b32 vcc_lo, exec_lo, s28
	s_cbranch_vccnz .LBB182_800
; %bb.799:
	s_wait_xcnt 0x0
	v_cvt_i16_f16_e32 v3, v2
	global_store_b16 v[0:1], v3, off
.LBB182_800:
	s_mov_b32 s28, 0
.LBB182_801:
	s_delay_alu instid0(SALU_CYCLE_1)
	s_and_not1_b32 vcc_lo, exec_lo, s28
	s_cbranch_vccnz .LBB182_806
; %bb.802:
	s_cmp_gt_i32 s25, 0
	s_mov_b32 s25, -1
	s_cbranch_scc0 .LBB182_804
; %bb.803:
	s_wait_xcnt 0x0
	v_cvt_i16_f16_e32 v3, v2
	s_mov_b32 s25, 0
	global_store_b8 v[0:1], v3, off
.LBB182_804:
	s_and_not1_b32 vcc_lo, exec_lo, s25
	s_cbranch_vccnz .LBB182_806
; %bb.805:
	s_wait_xcnt 0x0
	v_cvt_f32_f16_e32 v2, v2
	s_delay_alu instid0(VALU_DEP_1)
	v_cvt_i32_f32_e32 v2, v2
	global_store_b8 v[0:1], v2, off
.LBB182_806:
	s_mov_b32 s29, -1
.LBB182_807:
	s_delay_alu instid0(SALU_CYCLE_1)
	s_and_not1_b32 vcc_lo, exec_lo, s29
	s_cbranch_vccnz .LBB182_818
; %bb.808:
	v_add_nc_u32_e32 v6, 0x80, v6
	s_mov_b32 s28, -1
.LBB182_809:
	s_and_not1_b32 s25, s17, exec_lo
	s_and_b32 s0, s0, exec_lo
	s_and_not1_b32 s29, s19, exec_lo
	s_and_b32 s30, s24, exec_lo
	s_or_b32 s24, s25, s0
	s_or_b32 s25, s29, s30
	s_and_not1_b32 s0, s20, exec_lo
	s_and_b32 s23, s23, exec_lo
	s_and_not1_b32 s29, s21, exec_lo
	s_and_b32 s30, s26, exec_lo
	s_or_b32 s26, s0, s23
	s_or_b32 s23, s29, s30
	s_or_not1_b32 s28, s28, exec_lo
.LBB182_810:
	s_wait_xcnt 0x0
	s_or_b32 exec_lo, exec_lo, s27
	s_mov_b32 s0, 0
	s_and_saveexec_b32 s27, s28
	s_cbranch_execz .LBB182_1244
; %bb.811:
	s_mov_b32 s30, -1
	s_mov_b32 s0, s23
	s_mov_b32 s29, s26
	;; [unrolled: 1-line block ×4, first 2 shown]
	s_mov_b32 s28, exec_lo
	v_cmpx_gt_i32_e64 s18, v6
	s_cbranch_execz .LBB182_1220
; %bb.812:
	s_and_b32 s29, s15, 0xff
	s_delay_alu instid0(SALU_CYCLE_1)
	s_cmp_lt_i32 s29, 23
	s_cbranch_scc1 .LBB182_816
; %bb.813:
	s_and_b32 s31, 0xffff, s29
	s_delay_alu instid0(SALU_CYCLE_1)
	s_cmp_gt_i32 s31, 43
	s_cbranch_scc0 .LBB182_817
; %bb.814:
	s_cmp_gt_i32 s31, 45
	s_cbranch_scc0 .LBB182_819
; %bb.815:
	s_cmp_eq_u32 s31, 46
	s_mov_b32 s33, 0
	s_cselect_b32 s0, -1, 0
	s_or_b32 s30, s23, exec_lo
	s_branch .LBB182_820
.LBB182_816:
	s_mov_b32 s31, -1
	s_mov_b32 s0, 0
	s_mov_b32 s30, s23
	s_branch .LBB182_826
.LBB182_817:
	s_mov_b32 s33, -1
	s_mov_b32 s0, 0
	s_mov_b32 s30, s23
	s_branch .LBB182_823
.LBB182_818:
	s_mov_b32 s28, 0
	s_branch .LBB182_430
.LBB182_819:
	s_mov_b32 s33, -1
	s_mov_b32 s0, 0
	s_mov_b32 s30, s23
.LBB182_820:
	s_and_not1_b32 vcc_lo, exec_lo, s33
	s_cbranch_vccnz .LBB182_822
; %bb.821:
	s_cmp_eq_u32 s31, 44
	s_cselect_b32 s0, -1, 0
	s_cmp_lg_u32 s31, 44
	s_cselect_b32 s33, -1, 0
	s_and_not1_b32 s30, s30, exec_lo
	s_and_b32 s33, s33, exec_lo
	s_delay_alu instid0(SALU_CYCLE_1)
	s_or_b32 s30, s30, s33
.LBB182_822:
	s_mov_b32 s33, 0
.LBB182_823:
	s_delay_alu instid0(SALU_CYCLE_1)
	s_and_b32 vcc_lo, exec_lo, s33
	s_cbranch_vccz .LBB182_825
; %bb.824:
	s_cmp_lt_i32 s31, 30
	s_cselect_b32 s0, -1, 0
	s_cmp_gt_i32 s31, 29
	s_cselect_b32 s31, -1, 0
	s_and_not1_b32 s30, s30, exec_lo
	s_and_b32 s31, s31, exec_lo
	s_delay_alu instid0(SALU_CYCLE_1)
	s_or_b32 s30, s30, s31
.LBB182_825:
	s_mov_b32 s31, 0
.LBB182_826:
	s_delay_alu instid0(SALU_CYCLE_1)
	s_and_b32 vcc_lo, exec_lo, s31
	s_cbranch_vccz .LBB182_831
; %bb.827:
	s_and_b32 s29, 0xffff, s29
	s_mov_b32 s31, -1
	s_cmp_gt_i32 s29, 14
	s_cbranch_scc0 .LBB182_829
; %bb.828:
	s_cmp_eq_u32 s29, 15
	s_cselect_b32 s0, -1, 0
	s_cmp_lg_u32 s29, 15
	s_cselect_b32 s31, -1, 0
	s_and_not1_b32 s30, s30, exec_lo
	s_and_b32 s33, s31, exec_lo
	s_mov_b32 s31, 0
	s_or_b32 s30, s30, s33
.LBB182_829:
	s_and_not1_b32 vcc_lo, exec_lo, s31
	s_cbranch_vccnz .LBB182_831
; %bb.830:
	s_cmp_lt_i32 s29, 12
	s_cselect_b32 s0, -1, 0
	s_cmp_gt_i32 s29, 11
	s_cselect_b32 s29, -1, 0
	s_and_not1_b32 s30, s30, exec_lo
	s_and_b32 s29, s29, exec_lo
	s_delay_alu instid0(SALU_CYCLE_1)
	s_or_b32 s30, s30, s29
.LBB182_831:
	s_and_b32 vcc_lo, exec_lo, s0
	s_cbranch_vccz .LBB182_839
; %bb.832:
	v_mul_lo_u32 v0, v6, s8
	s_and_b32 s0, s13, 0xff
	s_delay_alu instid0(SALU_CYCLE_1) | instskip(NEXT) | instid1(VALU_DEP_1)
	s_cmp_lt_i32 s0, 11
	v_ashrrev_i32_e32 v1, 31, v0
	s_delay_alu instid0(VALU_DEP_1)
	v_add_nc_u64_e32 v[0:1], s[4:5], v[0:1]
	s_cbranch_scc1 .LBB182_841
; %bb.833:
	s_and_b32 s30, 0xffff, s0
	s_delay_alu instid0(SALU_CYCLE_1)
	s_cmp_gt_i32 s30, 25
	s_cbranch_scc0 .LBB182_842
; %bb.834:
	s_cmp_gt_i32 s30, 28
	s_cbranch_scc0 .LBB182_843
; %bb.835:
	;; [unrolled: 3-line block ×4, first 2 shown]
	s_cmp_eq_u32 s30, 46
	s_mov_b32 s33, 0
	s_cbranch_scc0 .LBB182_848
; %bb.838:
	s_wait_loadcnt 0x0
	global_load_b32 v2, v[0:1], off
	s_mov_b32 s31, -1
	s_mov_b32 s29, 0
	s_wait_loadcnt 0x0
	v_lshlrev_b32_e32 v2, 16, v2
	s_delay_alu instid0(VALU_DEP_1)
	v_cvt_f16_f32_e32 v2, v2
	s_branch .LBB182_850
.LBB182_839:
	s_mov_b32 s34, 0
	s_mov_b32 s0, s24
	;; [unrolled: 1-line block ×4, first 2 shown]
.LBB182_840:
                                        ; implicit-def: $vgpr6
	s_branch .LBB182_1219
.LBB182_841:
	s_mov_b32 s30, -1
	s_mov_b32 s31, 0
	s_mov_b32 s29, s26
                                        ; implicit-def: $vgpr2
	s_branch .LBB182_915
.LBB182_842:
	s_mov_b32 s33, -1
	s_mov_b32 s31, 0
	s_mov_b32 s29, s26
                                        ; implicit-def: $vgpr2
	s_branch .LBB182_879
.LBB182_843:
	s_mov_b32 s33, -1
	s_mov_b32 s31, 0
	s_mov_b32 s29, s26
                                        ; implicit-def: $vgpr2
	s_branch .LBB182_860
.LBB182_844:
	s_mov_b32 s33, -1
	s_mov_b32 s31, 0
	s_mov_b32 s29, s26
                                        ; implicit-def: $vgpr2
	s_branch .LBB182_855
.LBB182_845:
	s_mov_b32 s33, -1
	s_mov_b32 s31, 0
	s_mov_b32 s29, s26
	s_branch .LBB182_849
.LBB182_846:
	s_and_not1_saveexec_b32 s31, s31
	s_cbranch_execz .LBB182_720
.LBB182_847:
	v_add_f32_e64 v4, 0x46000000, |v3|
	s_and_not1_b32 s30, s30, exec_lo
	s_delay_alu instid0(VALU_DEP_1) | instskip(NEXT) | instid1(VALU_DEP_1)
	v_and_b32_e32 v4, 0xff, v4
	v_cmp_ne_u32_e32 vcc_lo, 0, v4
	s_and_b32 s33, vcc_lo, exec_lo
	s_delay_alu instid0(SALU_CYCLE_1)
	s_or_b32 s30, s30, s33
	s_or_b32 exec_lo, exec_lo, s31
	v_mov_b32_e32 v5, 0
	s_and_saveexec_b32 s31, s30
	s_cbranch_execnz .LBB182_721
	s_branch .LBB182_722
.LBB182_848:
	s_mov_b32 s29, -1
	s_mov_b32 s31, 0
.LBB182_849:
                                        ; implicit-def: $vgpr2
.LBB182_850:
	s_and_b32 vcc_lo, exec_lo, s33
	s_cbranch_vccz .LBB182_854
; %bb.851:
	s_cmp_eq_u32 s30, 44
	s_cbranch_scc0 .LBB182_853
; %bb.852:
	s_wait_loadcnt 0x0
	global_load_u8 v2, v[0:1], off
	s_mov_b32 s29, 0
	s_mov_b32 s31, -1
	s_wait_loadcnt 0x0
	v_lshlrev_b32_e32 v3, 23, v2
	v_cmp_ne_u32_e32 vcc_lo, 0xff, v2
	s_delay_alu instid0(VALU_DEP_2) | instskip(NEXT) | instid1(VALU_DEP_1)
	v_cvt_f16_f32_e32 v3, v3
	v_cndmask_b32_e32 v3, 0x7e00, v3, vcc_lo
	v_cmp_ne_u32_e32 vcc_lo, 0, v2
	s_delay_alu instid0(VALU_DEP_2)
	v_cndmask_b32_e32 v2, 0, v3, vcc_lo
	s_branch .LBB182_854
.LBB182_853:
	s_mov_b32 s29, -1
                                        ; implicit-def: $vgpr2
.LBB182_854:
	s_mov_b32 s33, 0
.LBB182_855:
	s_delay_alu instid0(SALU_CYCLE_1)
	s_and_b32 vcc_lo, exec_lo, s33
	s_cbranch_vccz .LBB182_859
; %bb.856:
	s_cmp_eq_u32 s30, 29
	s_cbranch_scc0 .LBB182_858
; %bb.857:
	s_wait_loadcnt 0x0
	global_load_b64 v[2:3], v[0:1], off
	s_mov_b32 s31, -1
	s_mov_b32 s29, 0
	s_mov_b32 s33, 0
	s_wait_loadcnt 0x0
	v_clz_i32_u32_e32 v4, v3
	s_delay_alu instid0(VALU_DEP_1) | instskip(NEXT) | instid1(VALU_DEP_1)
	v_min_u32_e32 v4, 32, v4
	v_lshlrev_b64_e32 v[2:3], v4, v[2:3]
	s_delay_alu instid0(VALU_DEP_1) | instskip(NEXT) | instid1(VALU_DEP_1)
	v_min_u32_e32 v2, 1, v2
	v_dual_sub_nc_u32 v3, 32, v4 :: v_dual_bitop2_b32 v2, v3, v2 bitop3:0x54
	s_delay_alu instid0(VALU_DEP_1) | instskip(NEXT) | instid1(VALU_DEP_1)
	v_cvt_f32_u32_e32 v2, v2
	v_ldexp_f32 v2, v2, v3
	s_delay_alu instid0(VALU_DEP_1)
	v_cvt_f16_f32_e32 v2, v2
	s_branch .LBB182_860
.LBB182_858:
	s_mov_b32 s29, -1
                                        ; implicit-def: $vgpr2
.LBB182_859:
	s_mov_b32 s33, 0
.LBB182_860:
	s_delay_alu instid0(SALU_CYCLE_1)
	s_and_b32 vcc_lo, exec_lo, s33
	s_cbranch_vccz .LBB182_878
; %bb.861:
	s_cmp_lt_i32 s30, 27
	s_cbranch_scc1 .LBB182_864
; %bb.862:
	s_cmp_gt_i32 s30, 27
	s_cbranch_scc0 .LBB182_865
; %bb.863:
	s_wait_loadcnt 0x0
	global_load_b32 v2, v[0:1], off
	s_mov_b32 s31, 0
	s_wait_loadcnt 0x0
	v_cvt_f32_u32_e32 v2, v2
	s_delay_alu instid0(VALU_DEP_1)
	v_cvt_f16_f32_e32 v2, v2
	s_branch .LBB182_866
.LBB182_864:
	s_mov_b32 s31, -1
                                        ; implicit-def: $vgpr2
	s_branch .LBB182_869
.LBB182_865:
	s_mov_b32 s31, -1
                                        ; implicit-def: $vgpr2
.LBB182_866:
	s_delay_alu instid0(SALU_CYCLE_1)
	s_and_not1_b32 vcc_lo, exec_lo, s31
	s_cbranch_vccnz .LBB182_868
; %bb.867:
	s_wait_loadcnt 0x0
	global_load_u16 v2, v[0:1], off
	s_wait_loadcnt 0x0
	v_cvt_f16_u16_e32 v2, v2
.LBB182_868:
	s_mov_b32 s31, 0
.LBB182_869:
	s_delay_alu instid0(SALU_CYCLE_1)
	s_and_not1_b32 vcc_lo, exec_lo, s31
	s_cbranch_vccnz .LBB182_877
; %bb.870:
	s_wait_loadcnt 0x0
	global_load_u8 v3, v[0:1], off
	s_mov_b32 s31, 0
	s_mov_b32 s33, exec_lo
	s_wait_loadcnt 0x0
	v_cmpx_lt_i16_e32 0x7f, v3
	s_xor_b32 s33, exec_lo, s33
	s_cbranch_execz .LBB182_891
; %bb.871:
	s_mov_b32 s31, -1
	s_mov_b32 s34, exec_lo
	v_cmpx_eq_u16_e32 0x80, v3
; %bb.872:
	s_xor_b32 s31, exec_lo, -1
; %bb.873:
	s_or_b32 exec_lo, exec_lo, s34
	s_delay_alu instid0(SALU_CYCLE_1)
	s_and_b32 s31, s31, exec_lo
	s_or_saveexec_b32 s33, s33
	v_mov_b32_e32 v2, 0x7e00
	s_xor_b32 exec_lo, exec_lo, s33
	s_cbranch_execnz .LBB182_892
.LBB182_874:
	s_or_b32 exec_lo, exec_lo, s33
	s_and_saveexec_b32 s33, s31
	s_cbranch_execz .LBB182_876
.LBB182_875:
	v_and_b32_e32 v2, 0xffff, v3
	s_delay_alu instid0(VALU_DEP_1) | instskip(SKIP_1) | instid1(VALU_DEP_2)
	v_and_b32_e32 v4, 7, v2
	v_bfe_u32 v8, v2, 3, 4
	v_clz_i32_u32_e32 v5, v4
	s_delay_alu instid0(VALU_DEP_2) | instskip(NEXT) | instid1(VALU_DEP_2)
	v_cmp_eq_u32_e32 vcc_lo, 0, v8
	v_min_u32_e32 v5, 32, v5
	s_delay_alu instid0(VALU_DEP_1) | instskip(NEXT) | instid1(VALU_DEP_1)
	v_subrev_nc_u32_e32 v7, 28, v5
	v_dual_lshlrev_b32 v2, v7, v2 :: v_dual_sub_nc_u32 v5, 29, v5
	s_delay_alu instid0(VALU_DEP_1) | instskip(NEXT) | instid1(VALU_DEP_2)
	v_dual_lshlrev_b32 v3, 24, v3 :: v_dual_bitop2_b32 v2, 7, v2 bitop3:0x40
	v_cndmask_b32_e32 v5, v8, v5, vcc_lo
	s_delay_alu instid0(VALU_DEP_2) | instskip(NEXT) | instid1(VALU_DEP_3)
	v_cndmask_b32_e32 v2, v4, v2, vcc_lo
	v_and_b32_e32 v3, 0x80000000, v3
	s_delay_alu instid0(VALU_DEP_3) | instskip(NEXT) | instid1(VALU_DEP_3)
	v_lshl_add_u32 v4, v5, 23, 0x3b800000
	v_lshlrev_b32_e32 v2, 20, v2
	s_delay_alu instid0(VALU_DEP_1) | instskip(NEXT) | instid1(VALU_DEP_1)
	v_or3_b32 v2, v3, v4, v2
	v_cvt_f16_f32_e32 v2, v2
.LBB182_876:
	s_or_b32 exec_lo, exec_lo, s33
.LBB182_877:
	s_mov_b32 s31, -1
.LBB182_878:
	s_mov_b32 s33, 0
.LBB182_879:
	s_delay_alu instid0(SALU_CYCLE_1)
	s_and_b32 vcc_lo, exec_lo, s33
	s_cbranch_vccz .LBB182_914
; %bb.880:
	s_cmp_gt_i32 s30, 22
	s_cbranch_scc0 .LBB182_890
; %bb.881:
	s_cmp_lt_i32 s30, 24
	s_cbranch_scc1 .LBB182_893
; %bb.882:
	s_cmp_gt_i32 s30, 24
	s_cbranch_scc0 .LBB182_894
; %bb.883:
	s_wait_loadcnt 0x0
	global_load_u8 v3, v[0:1], off
	s_mov_b32 s31, 0
	s_mov_b32 s33, exec_lo
	s_wait_loadcnt 0x0
	v_cmpx_lt_i16_e32 0x7f, v3
	s_xor_b32 s33, exec_lo, s33
	s_cbranch_execz .LBB182_906
; %bb.884:
	s_mov_b32 s31, -1
	s_mov_b32 s34, exec_lo
	v_cmpx_eq_u16_e32 0x80, v3
; %bb.885:
	s_xor_b32 s31, exec_lo, -1
; %bb.886:
	s_or_b32 exec_lo, exec_lo, s34
	s_delay_alu instid0(SALU_CYCLE_1)
	s_and_b32 s31, s31, exec_lo
	s_or_saveexec_b32 s33, s33
	v_mov_b32_e32 v2, 0x7e00
	s_xor_b32 exec_lo, exec_lo, s33
	s_cbranch_execnz .LBB182_907
.LBB182_887:
	s_or_b32 exec_lo, exec_lo, s33
	s_and_saveexec_b32 s33, s31
	s_cbranch_execz .LBB182_889
.LBB182_888:
	v_and_b32_e32 v2, 0xffff, v3
	s_delay_alu instid0(VALU_DEP_1) | instskip(SKIP_1) | instid1(VALU_DEP_2)
	v_and_b32_e32 v4, 3, v2
	v_bfe_u32 v8, v2, 2, 5
	v_clz_i32_u32_e32 v5, v4
	s_delay_alu instid0(VALU_DEP_2) | instskip(NEXT) | instid1(VALU_DEP_2)
	v_cmp_eq_u32_e32 vcc_lo, 0, v8
	v_min_u32_e32 v5, 32, v5
	s_delay_alu instid0(VALU_DEP_1) | instskip(NEXT) | instid1(VALU_DEP_1)
	v_subrev_nc_u32_e32 v7, 29, v5
	v_dual_lshlrev_b32 v2, v7, v2 :: v_dual_sub_nc_u32 v5, 30, v5
	s_delay_alu instid0(VALU_DEP_1) | instskip(NEXT) | instid1(VALU_DEP_2)
	v_dual_lshlrev_b32 v3, 24, v3 :: v_dual_bitop2_b32 v2, 3, v2 bitop3:0x40
	v_cndmask_b32_e32 v5, v8, v5, vcc_lo
	s_delay_alu instid0(VALU_DEP_2) | instskip(NEXT) | instid1(VALU_DEP_3)
	v_cndmask_b32_e32 v2, v4, v2, vcc_lo
	v_and_b32_e32 v3, 0x80000000, v3
	s_delay_alu instid0(VALU_DEP_3) | instskip(NEXT) | instid1(VALU_DEP_3)
	v_lshl_add_u32 v4, v5, 23, 0x37800000
	v_lshlrev_b32_e32 v2, 21, v2
	s_delay_alu instid0(VALU_DEP_1) | instskip(NEXT) | instid1(VALU_DEP_1)
	v_or3_b32 v2, v3, v4, v2
	v_cvt_f16_f32_e32 v2, v2
.LBB182_889:
	s_or_b32 exec_lo, exec_lo, s33
	s_mov_b32 s31, 0
	s_branch .LBB182_895
.LBB182_890:
	s_mov_b32 s33, -1
                                        ; implicit-def: $vgpr2
	s_branch .LBB182_901
.LBB182_891:
	s_or_saveexec_b32 s33, s33
	v_mov_b32_e32 v2, 0x7e00
	s_xor_b32 exec_lo, exec_lo, s33
	s_cbranch_execz .LBB182_874
.LBB182_892:
	v_cmp_ne_u16_e32 vcc_lo, 0, v3
	v_mov_b32_e32 v2, v3
	s_and_not1_b32 s31, s31, exec_lo
	s_and_b32 s34, vcc_lo, exec_lo
	s_delay_alu instid0(SALU_CYCLE_1)
	s_or_b32 s31, s31, s34
	s_or_b32 exec_lo, exec_lo, s33
	s_and_saveexec_b32 s33, s31
	s_cbranch_execnz .LBB182_875
	s_branch .LBB182_876
.LBB182_893:
	s_mov_b32 s31, -1
                                        ; implicit-def: $vgpr2
	s_branch .LBB182_898
.LBB182_894:
	s_mov_b32 s31, -1
                                        ; implicit-def: $vgpr2
.LBB182_895:
	s_delay_alu instid0(SALU_CYCLE_1)
	s_and_b32 vcc_lo, exec_lo, s31
	s_cbranch_vccz .LBB182_897
; %bb.896:
	s_wait_loadcnt 0x0
	global_load_u8 v2, v[0:1], off
	s_wait_loadcnt 0x0
	v_lshlrev_b32_e32 v2, 24, v2
	s_delay_alu instid0(VALU_DEP_1) | instskip(NEXT) | instid1(VALU_DEP_1)
	v_and_b32_e32 v3, 0x7f000000, v2
	v_clz_i32_u32_e32 v4, v3
	v_add_nc_u32_e32 v7, 0x1000000, v3
	v_cmp_ne_u32_e32 vcc_lo, 0, v3
	s_delay_alu instid0(VALU_DEP_3) | instskip(NEXT) | instid1(VALU_DEP_1)
	v_min_u32_e32 v4, 32, v4
	v_sub_nc_u32_e64 v4, v4, 4 clamp
	s_delay_alu instid0(VALU_DEP_1) | instskip(NEXT) | instid1(VALU_DEP_1)
	v_dual_lshlrev_b32 v5, v4, v3 :: v_dual_lshlrev_b32 v4, 23, v4
	v_lshrrev_b32_e32 v5, 4, v5
	s_delay_alu instid0(VALU_DEP_1) | instskip(NEXT) | instid1(VALU_DEP_1)
	v_dual_sub_nc_u32 v4, v5, v4 :: v_dual_ashrrev_i32 v5, 8, v7
	v_add_nc_u32_e32 v4, 0x3c000000, v4
	s_delay_alu instid0(VALU_DEP_1) | instskip(NEXT) | instid1(VALU_DEP_1)
	v_and_or_b32 v4, 0x7f800000, v5, v4
	v_cndmask_b32_e32 v3, 0, v4, vcc_lo
	s_delay_alu instid0(VALU_DEP_1) | instskip(NEXT) | instid1(VALU_DEP_1)
	v_and_or_b32 v2, 0x80000000, v2, v3
	v_cvt_f16_f32_e32 v2, v2
.LBB182_897:
	s_mov_b32 s31, 0
.LBB182_898:
	s_delay_alu instid0(SALU_CYCLE_1)
	s_and_not1_b32 vcc_lo, exec_lo, s31
	s_cbranch_vccnz .LBB182_900
; %bb.899:
	s_wait_loadcnt 0x0
	global_load_u8 v2, v[0:1], off
	s_wait_loadcnt 0x0
	v_lshlrev_b32_e32 v3, 25, v2
	v_lshlrev_b16 v2, 8, v2
	s_delay_alu instid0(VALU_DEP_1) | instskip(SKIP_1) | instid1(VALU_DEP_2)
	v_and_or_b32 v5, 0x7f00, v2, 0.5
	v_bfe_i32 v2, v2, 0, 16
	v_dual_add_f32 v5, -0.5, v5 :: v_dual_lshrrev_b32 v4, 4, v3
	v_cmp_gt_u32_e32 vcc_lo, 0x8000000, v3
	s_delay_alu instid0(VALU_DEP_2) | instskip(NEXT) | instid1(VALU_DEP_1)
	v_or_b32_e32 v4, 0x70000000, v4
	v_mul_f32_e32 v4, 0x7800000, v4
	s_delay_alu instid0(VALU_DEP_1) | instskip(NEXT) | instid1(VALU_DEP_1)
	v_cndmask_b32_e32 v3, v4, v5, vcc_lo
	v_and_or_b32 v2, 0x80000000, v2, v3
	s_delay_alu instid0(VALU_DEP_1)
	v_cvt_f16_f32_e32 v2, v2
.LBB182_900:
	s_mov_b32 s33, 0
	s_mov_b32 s31, -1
.LBB182_901:
	s_and_not1_b32 vcc_lo, exec_lo, s33
	s_cbranch_vccnz .LBB182_914
; %bb.902:
	s_cmp_gt_i32 s30, 14
	s_cbranch_scc0 .LBB182_905
; %bb.903:
	s_cmp_eq_u32 s30, 15
	s_cbranch_scc0 .LBB182_908
; %bb.904:
	s_wait_loadcnt 0x0
	global_load_u16 v2, v[0:1], off
	s_mov_b32 s31, -1
	s_mov_b32 s29, 0
	s_wait_loadcnt 0x0
	v_lshlrev_b32_e32 v2, 16, v2
	s_delay_alu instid0(VALU_DEP_1)
	v_cvt_f16_f32_e32 v2, v2
	s_branch .LBB182_909
.LBB182_905:
	s_mov_b32 s33, -1
                                        ; implicit-def: $vgpr2
	s_branch .LBB182_910
.LBB182_906:
	s_or_saveexec_b32 s33, s33
	v_mov_b32_e32 v2, 0x7e00
	s_xor_b32 exec_lo, exec_lo, s33
	s_cbranch_execz .LBB182_887
.LBB182_907:
	v_cmp_ne_u16_e32 vcc_lo, 0, v3
	v_mov_b32_e32 v2, v3
	s_and_not1_b32 s31, s31, exec_lo
	s_and_b32 s34, vcc_lo, exec_lo
	s_delay_alu instid0(SALU_CYCLE_1)
	s_or_b32 s31, s31, s34
	s_or_b32 exec_lo, exec_lo, s33
	s_and_saveexec_b32 s33, s31
	s_cbranch_execnz .LBB182_888
	s_branch .LBB182_889
.LBB182_908:
	s_mov_b32 s29, -1
                                        ; implicit-def: $vgpr2
.LBB182_909:
	s_mov_b32 s33, 0
.LBB182_910:
	s_delay_alu instid0(SALU_CYCLE_1)
	s_and_b32 vcc_lo, exec_lo, s33
	s_cbranch_vccz .LBB182_914
; %bb.911:
	s_cmp_eq_u32 s30, 11
	s_cbranch_scc0 .LBB182_913
; %bb.912:
	s_wait_loadcnt 0x0
	global_load_u8 v2, v[0:1], off
	s_mov_b32 s29, 0
	s_mov_b32 s31, -1
	s_wait_loadcnt 0x0
	v_cmp_ne_u16_e32 vcc_lo, 0, v2
	v_cndmask_b32_e64 v2, 0, 0x3c00, vcc_lo
	s_branch .LBB182_914
.LBB182_913:
	s_mov_b32 s29, -1
                                        ; implicit-def: $vgpr2
.LBB182_914:
	s_mov_b32 s30, 0
.LBB182_915:
	s_delay_alu instid0(SALU_CYCLE_1)
	s_and_b32 vcc_lo, exec_lo, s30
	s_cbranch_vccz .LBB182_964
; %bb.916:
	s_and_b32 s0, 0xffff, s0
	s_delay_alu instid0(SALU_CYCLE_1)
	s_cmp_lt_i32 s0, 5
	s_cbranch_scc1 .LBB182_921
; %bb.917:
	s_cmp_lt_i32 s0, 8
	s_cbranch_scc1 .LBB182_922
; %bb.918:
	;; [unrolled: 3-line block ×3, first 2 shown]
	s_cmp_gt_i32 s0, 9
	s_cbranch_scc0 .LBB182_924
; %bb.920:
	s_wait_loadcnt 0x0
	global_load_b64 v[2:3], v[0:1], off
	s_mov_b32 s30, 0
	s_wait_loadcnt 0x0
	v_and_or_b32 v2, 0x1ff, v3, v2
	v_lshrrev_b32_e32 v4, 8, v3
	v_bfe_u32 v5, v3, 20, 11
	v_lshrrev_b32_e32 v3, 16, v3
	s_delay_alu instid0(VALU_DEP_4) | instskip(NEXT) | instid1(VALU_DEP_3)
	v_cmp_ne_u32_e32 vcc_lo, 0, v2
	v_sub_nc_u32_e32 v7, 0x3f1, v5
	v_add_nc_u32_e32 v5, 0xfffffc10, v5
	v_cndmask_b32_e64 v2, 0, 1, vcc_lo
	s_delay_alu instid0(VALU_DEP_1) | instskip(NEXT) | instid1(VALU_DEP_4)
	v_and_or_b32 v2, 0xffe, v4, v2
	v_med3_i32 v4, v7, 0, 13
	s_delay_alu instid0(VALU_DEP_2) | instskip(NEXT) | instid1(VALU_DEP_1)
	v_or_b32_e32 v7, 0x1000, v2
	v_lshrrev_b32_e32 v8, v4, v7
	s_delay_alu instid0(VALU_DEP_1) | instskip(NEXT) | instid1(VALU_DEP_1)
	v_lshlrev_b32_e32 v4, v4, v8
	v_cmp_ne_u32_e32 vcc_lo, v4, v7
	v_lshl_or_b32 v7, v5, 12, v2
	v_cndmask_b32_e64 v4, 0, 1, vcc_lo
	v_cmp_gt_i32_e32 vcc_lo, 1, v5
	s_delay_alu instid0(VALU_DEP_2) | instskip(NEXT) | instid1(VALU_DEP_1)
	v_or_b32_e32 v4, v8, v4
	v_cndmask_b32_e32 v4, v7, v4, vcc_lo
	s_delay_alu instid0(VALU_DEP_1) | instskip(NEXT) | instid1(VALU_DEP_1)
	v_dual_lshrrev_b32 v4, 2, v4 :: v_dual_bitop2_b32 v7, 7, v4 bitop3:0x40
	v_cmp_lt_i32_e32 vcc_lo, 5, v7
	v_cndmask_b32_e64 v8, 0, 1, vcc_lo
	v_cmp_eq_u32_e32 vcc_lo, 3, v7
	v_cndmask_b32_e64 v7, 0, 1, vcc_lo
	v_cmp_ne_u32_e32 vcc_lo, 0, v2
	s_delay_alu instid0(VALU_DEP_2) | instskip(SKIP_1) | instid1(VALU_DEP_2)
	v_or_b32_e32 v7, v7, v8
	v_mov_b32_e32 v8, 0x7e00
	v_add_nc_u32_e32 v4, v4, v7
	s_delay_alu instid0(VALU_DEP_2) | instskip(SKIP_1) | instid1(VALU_DEP_3)
	v_cndmask_b32_e32 v2, 0x7c00, v8, vcc_lo
	v_cmp_gt_i32_e32 vcc_lo, 31, v5
	v_cndmask_b32_e32 v4, 0x7c00, v4, vcc_lo
	v_cmp_eq_u32_e32 vcc_lo, 0x40f, v5
	s_delay_alu instid0(VALU_DEP_2) | instskip(NEXT) | instid1(VALU_DEP_1)
	v_cndmask_b32_e32 v2, v4, v2, vcc_lo
	v_and_or_b32 v2, 0x8000, v3, v2
	s_branch .LBB182_925
.LBB182_921:
	s_mov_b32 s30, -1
                                        ; implicit-def: $vgpr2
	s_branch .LBB182_943
.LBB182_922:
	s_mov_b32 s30, -1
                                        ; implicit-def: $vgpr2
	s_branch .LBB182_931
.LBB182_923:
	s_mov_b32 s30, -1
                                        ; implicit-def: $vgpr2
	s_branch .LBB182_928
.LBB182_924:
	s_mov_b32 s30, -1
                                        ; implicit-def: $vgpr2
.LBB182_925:
	s_delay_alu instid0(SALU_CYCLE_1)
	s_and_not1_b32 vcc_lo, exec_lo, s30
	s_cbranch_vccnz .LBB182_927
; %bb.926:
	s_wait_loadcnt 0x0
	global_load_b32 v2, v[0:1], off
	s_wait_loadcnt 0x0
	v_cvt_f16_f32_e32 v2, v2
.LBB182_927:
	s_mov_b32 s30, 0
.LBB182_928:
	s_delay_alu instid0(SALU_CYCLE_1)
	s_and_not1_b32 vcc_lo, exec_lo, s30
	s_cbranch_vccnz .LBB182_930
; %bb.929:
	s_wait_loadcnt 0x0
	global_load_b32 v2, v[0:1], off
.LBB182_930:
	s_mov_b32 s30, 0
.LBB182_931:
	s_delay_alu instid0(SALU_CYCLE_1)
	s_and_not1_b32 vcc_lo, exec_lo, s30
	s_cbranch_vccnz .LBB182_942
; %bb.932:
	s_cmp_lt_i32 s0, 6
	s_cbranch_scc1 .LBB182_935
; %bb.933:
	s_cmp_gt_i32 s0, 6
	s_cbranch_scc0 .LBB182_936
; %bb.934:
	s_wait_loadcnt 0x0
	global_load_b64 v[2:3], v[0:1], off
	s_mov_b32 s30, 0
	s_wait_loadcnt 0x0
	v_and_or_b32 v2, 0x1ff, v3, v2
	v_lshrrev_b32_e32 v4, 8, v3
	v_bfe_u32 v5, v3, 20, 11
	v_lshrrev_b32_e32 v3, 16, v3
	s_delay_alu instid0(VALU_DEP_4) | instskip(NEXT) | instid1(VALU_DEP_3)
	v_cmp_ne_u32_e32 vcc_lo, 0, v2
	v_sub_nc_u32_e32 v7, 0x3f1, v5
	v_add_nc_u32_e32 v5, 0xfffffc10, v5
	v_cndmask_b32_e64 v2, 0, 1, vcc_lo
	s_delay_alu instid0(VALU_DEP_1) | instskip(NEXT) | instid1(VALU_DEP_4)
	v_and_or_b32 v2, 0xffe, v4, v2
	v_med3_i32 v4, v7, 0, 13
	s_delay_alu instid0(VALU_DEP_2) | instskip(NEXT) | instid1(VALU_DEP_1)
	v_or_b32_e32 v7, 0x1000, v2
	v_lshrrev_b32_e32 v8, v4, v7
	s_delay_alu instid0(VALU_DEP_1) | instskip(NEXT) | instid1(VALU_DEP_1)
	v_lshlrev_b32_e32 v4, v4, v8
	v_cmp_ne_u32_e32 vcc_lo, v4, v7
	v_lshl_or_b32 v7, v5, 12, v2
	v_cndmask_b32_e64 v4, 0, 1, vcc_lo
	v_cmp_gt_i32_e32 vcc_lo, 1, v5
	s_delay_alu instid0(VALU_DEP_2) | instskip(NEXT) | instid1(VALU_DEP_1)
	v_or_b32_e32 v4, v8, v4
	v_cndmask_b32_e32 v4, v7, v4, vcc_lo
	s_delay_alu instid0(VALU_DEP_1) | instskip(NEXT) | instid1(VALU_DEP_1)
	v_dual_lshrrev_b32 v4, 2, v4 :: v_dual_bitop2_b32 v7, 7, v4 bitop3:0x40
	v_cmp_lt_i32_e32 vcc_lo, 5, v7
	v_cndmask_b32_e64 v8, 0, 1, vcc_lo
	v_cmp_eq_u32_e32 vcc_lo, 3, v7
	v_cndmask_b32_e64 v7, 0, 1, vcc_lo
	v_cmp_ne_u32_e32 vcc_lo, 0, v2
	s_delay_alu instid0(VALU_DEP_2) | instskip(SKIP_1) | instid1(VALU_DEP_2)
	v_or_b32_e32 v7, v7, v8
	v_mov_b32_e32 v8, 0x7e00
	v_add_nc_u32_e32 v4, v4, v7
	s_delay_alu instid0(VALU_DEP_2) | instskip(SKIP_1) | instid1(VALU_DEP_3)
	v_cndmask_b32_e32 v2, 0x7c00, v8, vcc_lo
	v_cmp_gt_i32_e32 vcc_lo, 31, v5
	v_cndmask_b32_e32 v4, 0x7c00, v4, vcc_lo
	v_cmp_eq_u32_e32 vcc_lo, 0x40f, v5
	s_delay_alu instid0(VALU_DEP_2) | instskip(NEXT) | instid1(VALU_DEP_1)
	v_cndmask_b32_e32 v2, v4, v2, vcc_lo
	v_and_or_b32 v2, 0x8000, v3, v2
	s_branch .LBB182_937
.LBB182_935:
	s_mov_b32 s30, -1
                                        ; implicit-def: $vgpr2
	s_branch .LBB182_940
.LBB182_936:
	s_mov_b32 s30, -1
                                        ; implicit-def: $vgpr2
.LBB182_937:
	s_delay_alu instid0(SALU_CYCLE_1)
	s_and_not1_b32 vcc_lo, exec_lo, s30
	s_cbranch_vccnz .LBB182_939
; %bb.938:
	s_wait_loadcnt 0x0
	global_load_b32 v2, v[0:1], off
	s_wait_loadcnt 0x0
	v_cvt_f16_f32_e32 v2, v2
.LBB182_939:
	s_mov_b32 s30, 0
.LBB182_940:
	s_delay_alu instid0(SALU_CYCLE_1)
	s_and_not1_b32 vcc_lo, exec_lo, s30
	s_cbranch_vccnz .LBB182_942
; %bb.941:
	s_wait_loadcnt 0x0
	global_load_u16 v2, v[0:1], off
.LBB182_942:
	s_mov_b32 s30, 0
.LBB182_943:
	s_delay_alu instid0(SALU_CYCLE_1)
	s_and_not1_b32 vcc_lo, exec_lo, s30
	s_cbranch_vccnz .LBB182_963
; %bb.944:
	s_cmp_lt_i32 s0, 2
	s_cbranch_scc1 .LBB182_948
; %bb.945:
	s_cmp_lt_i32 s0, 3
	s_cbranch_scc1 .LBB182_949
; %bb.946:
	s_cmp_gt_i32 s0, 3
	s_cbranch_scc0 .LBB182_950
; %bb.947:
	s_wait_loadcnt 0x0
	global_load_b64 v[2:3], v[0:1], off
	s_mov_b32 s30, 0
	s_wait_loadcnt 0x0
	v_xor_b32_e32 v4, v2, v3
	v_cls_i32_e32 v5, v3
	s_delay_alu instid0(VALU_DEP_2) | instskip(NEXT) | instid1(VALU_DEP_1)
	v_ashrrev_i32_e32 v4, 31, v4
	v_add_nc_u32_e32 v4, 32, v4
	s_delay_alu instid0(VALU_DEP_1) | instskip(NEXT) | instid1(VALU_DEP_1)
	v_add_min_u32_e64 v4, v5, -1, v4
	v_lshlrev_b64_e32 v[2:3], v4, v[2:3]
	s_delay_alu instid0(VALU_DEP_1) | instskip(NEXT) | instid1(VALU_DEP_1)
	v_min_u32_e32 v2, 1, v2
	v_dual_sub_nc_u32 v3, 32, v4 :: v_dual_bitop2_b32 v2, v3, v2 bitop3:0x54
	s_delay_alu instid0(VALU_DEP_1) | instskip(NEXT) | instid1(VALU_DEP_1)
	v_cvt_f32_i32_e32 v2, v2
	v_ldexp_f32 v2, v2, v3
	s_delay_alu instid0(VALU_DEP_1)
	v_cvt_f16_f32_e32 v2, v2
	s_branch .LBB182_951
.LBB182_948:
	s_mov_b32 s30, -1
                                        ; implicit-def: $vgpr2
	s_branch .LBB182_957
.LBB182_949:
	s_mov_b32 s30, -1
                                        ; implicit-def: $vgpr2
	s_branch .LBB182_954
.LBB182_950:
	s_mov_b32 s30, -1
                                        ; implicit-def: $vgpr2
.LBB182_951:
	s_delay_alu instid0(SALU_CYCLE_1)
	s_and_not1_b32 vcc_lo, exec_lo, s30
	s_cbranch_vccnz .LBB182_953
; %bb.952:
	s_wait_loadcnt 0x0
	global_load_b32 v2, v[0:1], off
	s_wait_loadcnt 0x0
	v_cvt_f32_i32_e32 v2, v2
	s_delay_alu instid0(VALU_DEP_1)
	v_cvt_f16_f32_e32 v2, v2
.LBB182_953:
	s_mov_b32 s30, 0
.LBB182_954:
	s_delay_alu instid0(SALU_CYCLE_1)
	s_and_not1_b32 vcc_lo, exec_lo, s30
	s_cbranch_vccnz .LBB182_956
; %bb.955:
	s_wait_loadcnt 0x0
	global_load_u16 v2, v[0:1], off
	s_wait_loadcnt 0x0
	v_cvt_f16_i16_e32 v2, v2
.LBB182_956:
	s_mov_b32 s30, 0
.LBB182_957:
	s_delay_alu instid0(SALU_CYCLE_1)
	s_and_not1_b32 vcc_lo, exec_lo, s30
	s_cbranch_vccnz .LBB182_963
; %bb.958:
	s_cmp_gt_i32 s0, 0
	s_mov_b32 s0, 0
	s_cbranch_scc0 .LBB182_960
; %bb.959:
	s_wait_loadcnt 0x0
	global_load_i8 v2, v[0:1], off
	s_wait_loadcnt 0x0
	v_cvt_f16_i16_e32 v2, v2
	s_branch .LBB182_961
.LBB182_960:
	s_mov_b32 s0, -1
                                        ; implicit-def: $vgpr2
.LBB182_961:
	s_delay_alu instid0(SALU_CYCLE_1)
	s_and_not1_b32 vcc_lo, exec_lo, s0
	s_cbranch_vccnz .LBB182_963
; %bb.962:
	global_load_u8 v0, v[0:1], off
	s_wait_loadcnt 0x0
	v_cvt_f16_u16_e32 v2, v0
.LBB182_963:
	s_mov_b32 s31, -1
.LBB182_964:
	s_mov_b32 s30, 0
	s_mov_b32 s0, s24
	s_and_not1_b32 vcc_lo, exec_lo, s31
	s_mov_b32 s31, s25
	s_mov_b32 s34, 0
	s_cbranch_vccnz .LBB182_1219
; %bb.965:
	s_wait_xcnt 0x0
	v_mul_lo_u32 v0, v6, s9
	s_and_b32 s0, 0xffff, s1
	s_delay_alu instid0(SALU_CYCLE_1) | instskip(NEXT) | instid1(VALU_DEP_1)
	s_cmp_lt_i32 s0, 11
	v_ashrrev_i32_e32 v1, 31, v0
	s_delay_alu instid0(VALU_DEP_1)
	v_add_nc_u64_e32 v[0:1], s[6:7], v[0:1]
	s_cbranch_scc1 .LBB182_972
; %bb.966:
	s_cmp_gt_i32 s0, 25
	s_cbranch_scc0 .LBB182_973
; %bb.967:
	s_cmp_gt_i32 s0, 28
	s_cbranch_scc0 .LBB182_974
	;; [unrolled: 3-line block ×4, first 2 shown]
; %bb.970:
	s_cmp_eq_u32 s0, 46
	s_cbranch_scc0 .LBB182_979
; %bb.971:
	s_wait_loadcnt 0x0
	global_load_b32 v3, v[0:1], off
	s_mov_b32 s33, -1
	s_mov_b32 s31, 0
	s_wait_loadcnt 0x0
	v_lshlrev_b32_e32 v3, 16, v3
	s_delay_alu instid0(VALU_DEP_1)
	v_cvt_f16_f32_e32 v3, v3
	s_branch .LBB182_981
.LBB182_972:
	s_mov_b32 s34, -1
	s_mov_b32 s33, 0
	s_mov_b32 s31, s25
                                        ; implicit-def: $vgpr3
	s_branch .LBB182_1046
.LBB182_973:
	s_mov_b32 s34, -1
	s_mov_b32 s33, 0
	s_mov_b32 s31, s25
                                        ; implicit-def: $vgpr3
	s_branch .LBB182_1010
.LBB182_974:
	s_mov_b32 s34, -1
	s_mov_b32 s33, 0
	s_mov_b32 s31, s25
                                        ; implicit-def: $vgpr3
	s_branch .LBB182_991
.LBB182_975:
	s_mov_b32 s34, -1
	s_mov_b32 s33, 0
	s_mov_b32 s31, s25
                                        ; implicit-def: $vgpr3
	s_branch .LBB182_986
.LBB182_976:
	s_mov_b32 s34, -1
	s_mov_b32 s33, 0
	s_mov_b32 s31, s25
	s_branch .LBB182_980
.LBB182_977:
	s_and_not1_saveexec_b32 s31, s31
	s_cbranch_execz .LBB182_733
.LBB182_978:
	v_add_f32_e64 v4, 0x42800000, |v3|
	s_and_not1_b32 s30, s30, exec_lo
	s_delay_alu instid0(VALU_DEP_1) | instskip(NEXT) | instid1(VALU_DEP_1)
	v_and_b32_e32 v4, 0xff, v4
	v_cmp_ne_u32_e32 vcc_lo, 0, v4
	s_and_b32 s33, vcc_lo, exec_lo
	s_delay_alu instid0(SALU_CYCLE_1)
	s_or_b32 s30, s30, s33
	s_or_b32 exec_lo, exec_lo, s31
	v_mov_b32_e32 v5, 0
	s_and_saveexec_b32 s31, s30
	s_cbranch_execnz .LBB182_734
	s_branch .LBB182_735
.LBB182_979:
	s_mov_b32 s31, -1
	s_mov_b32 s33, 0
.LBB182_980:
                                        ; implicit-def: $vgpr3
.LBB182_981:
	s_and_b32 vcc_lo, exec_lo, s34
	s_cbranch_vccz .LBB182_985
; %bb.982:
	s_cmp_eq_u32 s0, 44
	s_cbranch_scc0 .LBB182_984
; %bb.983:
	s_wait_loadcnt 0x0
	global_load_u8 v3, v[0:1], off
	s_mov_b32 s31, 0
	s_mov_b32 s33, -1
	s_wait_loadcnt 0x0
	v_lshlrev_b32_e32 v4, 23, v3
	v_cmp_ne_u32_e32 vcc_lo, 0xff, v3
	s_delay_alu instid0(VALU_DEP_2) | instskip(NEXT) | instid1(VALU_DEP_1)
	v_cvt_f16_f32_e32 v4, v4
	v_cndmask_b32_e32 v4, 0x7e00, v4, vcc_lo
	v_cmp_ne_u32_e32 vcc_lo, 0, v3
	s_delay_alu instid0(VALU_DEP_2)
	v_cndmask_b32_e32 v3, 0, v4, vcc_lo
	s_branch .LBB182_985
.LBB182_984:
	s_mov_b32 s31, -1
                                        ; implicit-def: $vgpr3
.LBB182_985:
	s_mov_b32 s34, 0
.LBB182_986:
	s_delay_alu instid0(SALU_CYCLE_1)
	s_and_b32 vcc_lo, exec_lo, s34
	s_cbranch_vccz .LBB182_990
; %bb.987:
	s_cmp_eq_u32 s0, 29
	s_cbranch_scc0 .LBB182_989
; %bb.988:
	global_load_b64 v[4:5], v[0:1], off
	s_mov_b32 s33, -1
	s_mov_b32 s31, 0
	s_mov_b32 s34, 0
	s_wait_loadcnt 0x0
	v_clz_i32_u32_e32 v3, v5
	s_delay_alu instid0(VALU_DEP_1) | instskip(NEXT) | instid1(VALU_DEP_1)
	v_min_u32_e32 v3, 32, v3
	v_lshlrev_b64_e32 v[4:5], v3, v[4:5]
	v_sub_nc_u32_e32 v3, 32, v3
	s_delay_alu instid0(VALU_DEP_2) | instskip(NEXT) | instid1(VALU_DEP_1)
	v_min_u32_e32 v4, 1, v4
	v_or_b32_e32 v4, v5, v4
	s_delay_alu instid0(VALU_DEP_1) | instskip(NEXT) | instid1(VALU_DEP_1)
	v_cvt_f32_u32_e32 v4, v4
	v_ldexp_f32 v3, v4, v3
	s_delay_alu instid0(VALU_DEP_1)
	v_cvt_f16_f32_e32 v3, v3
	s_branch .LBB182_991
.LBB182_989:
	s_mov_b32 s31, -1
                                        ; implicit-def: $vgpr3
.LBB182_990:
	s_mov_b32 s34, 0
.LBB182_991:
	s_delay_alu instid0(SALU_CYCLE_1)
	s_and_b32 vcc_lo, exec_lo, s34
	s_cbranch_vccz .LBB182_1009
; %bb.992:
	s_cmp_lt_i32 s0, 27
	s_cbranch_scc1 .LBB182_995
; %bb.993:
	s_cmp_gt_i32 s0, 27
	s_cbranch_scc0 .LBB182_996
; %bb.994:
	s_wait_loadcnt 0x0
	global_load_b32 v3, v[0:1], off
	s_mov_b32 s33, 0
	s_wait_loadcnt 0x0
	v_cvt_f32_u32_e32 v3, v3
	s_delay_alu instid0(VALU_DEP_1)
	v_cvt_f16_f32_e32 v3, v3
	s_branch .LBB182_997
.LBB182_995:
	s_mov_b32 s33, -1
                                        ; implicit-def: $vgpr3
	s_branch .LBB182_1000
.LBB182_996:
	s_mov_b32 s33, -1
                                        ; implicit-def: $vgpr3
.LBB182_997:
	s_delay_alu instid0(SALU_CYCLE_1)
	s_and_not1_b32 vcc_lo, exec_lo, s33
	s_cbranch_vccnz .LBB182_999
; %bb.998:
	s_wait_loadcnt 0x0
	global_load_u16 v3, v[0:1], off
	s_wait_loadcnt 0x0
	v_cvt_f16_u16_e32 v3, v3
.LBB182_999:
	s_mov_b32 s33, 0
.LBB182_1000:
	s_delay_alu instid0(SALU_CYCLE_1)
	s_and_not1_b32 vcc_lo, exec_lo, s33
	s_cbranch_vccnz .LBB182_1008
; %bb.1001:
	global_load_u8 v4, v[0:1], off
	s_mov_b32 s33, 0
	s_mov_b32 s34, exec_lo
	s_wait_loadcnt 0x0
	v_cmpx_lt_i16_e32 0x7f, v4
	s_xor_b32 s34, exec_lo, s34
	s_cbranch_execz .LBB182_1022
; %bb.1002:
	s_mov_b32 s33, -1
	s_mov_b32 s35, exec_lo
	v_cmpx_eq_u16_e32 0x80, v4
; %bb.1003:
	s_xor_b32 s33, exec_lo, -1
; %bb.1004:
	s_or_b32 exec_lo, exec_lo, s35
	s_delay_alu instid0(SALU_CYCLE_1)
	s_and_b32 s33, s33, exec_lo
	s_or_saveexec_b32 s34, s34
	v_mov_b32_e32 v3, 0x7e00
	s_xor_b32 exec_lo, exec_lo, s34
	s_cbranch_execnz .LBB182_1023
.LBB182_1005:
	s_or_b32 exec_lo, exec_lo, s34
	s_and_saveexec_b32 s34, s33
	s_cbranch_execz .LBB182_1007
.LBB182_1006:
	v_and_b32_e32 v3, 0xffff, v4
	s_delay_alu instid0(VALU_DEP_1) | instskip(SKIP_1) | instid1(VALU_DEP_2)
	v_dual_lshlrev_b32 v4, 24, v4 :: v_dual_bitop2_b32 v5, 7, v3 bitop3:0x40
	v_bfe_u32 v9, v3, 3, 4
	v_and_b32_e32 v4, 0x80000000, v4
	s_delay_alu instid0(VALU_DEP_3) | instskip(NEXT) | instid1(VALU_DEP_3)
	v_clz_i32_u32_e32 v7, v5
	v_cmp_eq_u32_e32 vcc_lo, 0, v9
	s_delay_alu instid0(VALU_DEP_2) | instskip(NEXT) | instid1(VALU_DEP_1)
	v_min_u32_e32 v7, 32, v7
	v_subrev_nc_u32_e32 v8, 28, v7
	v_sub_nc_u32_e32 v7, 29, v7
	s_delay_alu instid0(VALU_DEP_2) | instskip(NEXT) | instid1(VALU_DEP_2)
	v_lshlrev_b32_e32 v3, v8, v3
	v_cndmask_b32_e32 v7, v9, v7, vcc_lo
	s_delay_alu instid0(VALU_DEP_2) | instskip(NEXT) | instid1(VALU_DEP_1)
	v_and_b32_e32 v3, 7, v3
	v_cndmask_b32_e32 v3, v5, v3, vcc_lo
	s_delay_alu instid0(VALU_DEP_3) | instskip(NEXT) | instid1(VALU_DEP_2)
	v_lshl_add_u32 v5, v7, 23, 0x3b800000
	v_lshlrev_b32_e32 v3, 20, v3
	s_delay_alu instid0(VALU_DEP_1) | instskip(NEXT) | instid1(VALU_DEP_1)
	v_or3_b32 v3, v4, v5, v3
	v_cvt_f16_f32_e32 v3, v3
.LBB182_1007:
	s_or_b32 exec_lo, exec_lo, s34
.LBB182_1008:
	s_mov_b32 s33, -1
.LBB182_1009:
	s_mov_b32 s34, 0
.LBB182_1010:
	s_delay_alu instid0(SALU_CYCLE_1)
	s_and_b32 vcc_lo, exec_lo, s34
	s_cbranch_vccz .LBB182_1045
; %bb.1011:
	s_cmp_gt_i32 s0, 22
	s_cbranch_scc0 .LBB182_1021
; %bb.1012:
	s_cmp_lt_i32 s0, 24
	s_cbranch_scc1 .LBB182_1024
; %bb.1013:
	s_cmp_gt_i32 s0, 24
	s_cbranch_scc0 .LBB182_1025
; %bb.1014:
	global_load_u8 v4, v[0:1], off
	s_mov_b32 s33, 0
	s_mov_b32 s34, exec_lo
	s_wait_loadcnt 0x0
	v_cmpx_lt_i16_e32 0x7f, v4
	s_xor_b32 s34, exec_lo, s34
	s_cbranch_execz .LBB182_1037
; %bb.1015:
	s_mov_b32 s33, -1
	s_mov_b32 s35, exec_lo
	v_cmpx_eq_u16_e32 0x80, v4
; %bb.1016:
	s_xor_b32 s33, exec_lo, -1
; %bb.1017:
	s_or_b32 exec_lo, exec_lo, s35
	s_delay_alu instid0(SALU_CYCLE_1)
	s_and_b32 s33, s33, exec_lo
	s_or_saveexec_b32 s34, s34
	v_mov_b32_e32 v3, 0x7e00
	s_xor_b32 exec_lo, exec_lo, s34
	s_cbranch_execnz .LBB182_1038
.LBB182_1018:
	s_or_b32 exec_lo, exec_lo, s34
	s_and_saveexec_b32 s34, s33
	s_cbranch_execz .LBB182_1020
.LBB182_1019:
	v_and_b32_e32 v3, 0xffff, v4
	s_delay_alu instid0(VALU_DEP_1) | instskip(SKIP_1) | instid1(VALU_DEP_2)
	v_dual_lshlrev_b32 v4, 24, v4 :: v_dual_bitop2_b32 v5, 3, v3 bitop3:0x40
	v_bfe_u32 v9, v3, 2, 5
	v_and_b32_e32 v4, 0x80000000, v4
	s_delay_alu instid0(VALU_DEP_3) | instskip(NEXT) | instid1(VALU_DEP_3)
	v_clz_i32_u32_e32 v7, v5
	v_cmp_eq_u32_e32 vcc_lo, 0, v9
	s_delay_alu instid0(VALU_DEP_2) | instskip(NEXT) | instid1(VALU_DEP_1)
	v_min_u32_e32 v7, 32, v7
	v_subrev_nc_u32_e32 v8, 29, v7
	v_sub_nc_u32_e32 v7, 30, v7
	s_delay_alu instid0(VALU_DEP_2) | instskip(NEXT) | instid1(VALU_DEP_2)
	v_lshlrev_b32_e32 v3, v8, v3
	v_cndmask_b32_e32 v7, v9, v7, vcc_lo
	s_delay_alu instid0(VALU_DEP_2) | instskip(NEXT) | instid1(VALU_DEP_1)
	v_and_b32_e32 v3, 3, v3
	v_cndmask_b32_e32 v3, v5, v3, vcc_lo
	s_delay_alu instid0(VALU_DEP_3) | instskip(NEXT) | instid1(VALU_DEP_2)
	v_lshl_add_u32 v5, v7, 23, 0x37800000
	v_lshlrev_b32_e32 v3, 21, v3
	s_delay_alu instid0(VALU_DEP_1) | instskip(NEXT) | instid1(VALU_DEP_1)
	v_or3_b32 v3, v4, v5, v3
	v_cvt_f16_f32_e32 v3, v3
.LBB182_1020:
	s_or_b32 exec_lo, exec_lo, s34
	s_mov_b32 s33, 0
	s_branch .LBB182_1026
.LBB182_1021:
	s_mov_b32 s34, -1
                                        ; implicit-def: $vgpr3
	s_branch .LBB182_1032
.LBB182_1022:
	s_or_saveexec_b32 s34, s34
	v_mov_b32_e32 v3, 0x7e00
	s_xor_b32 exec_lo, exec_lo, s34
	s_cbranch_execz .LBB182_1005
.LBB182_1023:
	v_cmp_ne_u16_e32 vcc_lo, 0, v4
	v_mov_b32_e32 v3, v4
	s_and_not1_b32 s33, s33, exec_lo
	s_and_b32 s35, vcc_lo, exec_lo
	s_delay_alu instid0(SALU_CYCLE_1)
	s_or_b32 s33, s33, s35
	s_or_b32 exec_lo, exec_lo, s34
	s_and_saveexec_b32 s34, s33
	s_cbranch_execnz .LBB182_1006
	s_branch .LBB182_1007
.LBB182_1024:
	s_mov_b32 s33, -1
                                        ; implicit-def: $vgpr3
	s_branch .LBB182_1029
.LBB182_1025:
	s_mov_b32 s33, -1
                                        ; implicit-def: $vgpr3
.LBB182_1026:
	s_delay_alu instid0(SALU_CYCLE_1)
	s_and_b32 vcc_lo, exec_lo, s33
	s_cbranch_vccz .LBB182_1028
; %bb.1027:
	s_wait_loadcnt 0x0
	global_load_u8 v3, v[0:1], off
	s_wait_loadcnt 0x0
	v_lshlrev_b32_e32 v3, 24, v3
	s_delay_alu instid0(VALU_DEP_1) | instskip(NEXT) | instid1(VALU_DEP_1)
	v_and_b32_e32 v4, 0x7f000000, v3
	v_clz_i32_u32_e32 v5, v4
	v_add_nc_u32_e32 v8, 0x1000000, v4
	v_cmp_ne_u32_e32 vcc_lo, 0, v4
	s_delay_alu instid0(VALU_DEP_3) | instskip(NEXT) | instid1(VALU_DEP_1)
	v_min_u32_e32 v5, 32, v5
	v_sub_nc_u32_e64 v5, v5, 4 clamp
	s_delay_alu instid0(VALU_DEP_1) | instskip(NEXT) | instid1(VALU_DEP_1)
	v_dual_lshlrev_b32 v7, v5, v4 :: v_dual_lshlrev_b32 v5, 23, v5
	v_lshrrev_b32_e32 v7, 4, v7
	s_delay_alu instid0(VALU_DEP_1) | instskip(NEXT) | instid1(VALU_DEP_1)
	v_dual_sub_nc_u32 v5, v7, v5 :: v_dual_ashrrev_i32 v7, 8, v8
	v_add_nc_u32_e32 v5, 0x3c000000, v5
	s_delay_alu instid0(VALU_DEP_1) | instskip(NEXT) | instid1(VALU_DEP_1)
	v_and_or_b32 v5, 0x7f800000, v7, v5
	v_cndmask_b32_e32 v4, 0, v5, vcc_lo
	s_delay_alu instid0(VALU_DEP_1) | instskip(NEXT) | instid1(VALU_DEP_1)
	v_and_or_b32 v3, 0x80000000, v3, v4
	v_cvt_f16_f32_e32 v3, v3
.LBB182_1028:
	s_mov_b32 s33, 0
.LBB182_1029:
	s_delay_alu instid0(SALU_CYCLE_1)
	s_and_not1_b32 vcc_lo, exec_lo, s33
	s_cbranch_vccnz .LBB182_1031
; %bb.1030:
	s_wait_loadcnt 0x0
	global_load_u8 v3, v[0:1], off
	s_wait_loadcnt 0x0
	v_lshlrev_b32_e32 v4, 25, v3
	v_lshlrev_b16 v3, 8, v3
	s_delay_alu instid0(VALU_DEP_1) | instskip(NEXT) | instid1(VALU_DEP_3)
	v_and_or_b32 v7, 0x7f00, v3, 0.5
	v_lshrrev_b32_e32 v5, 4, v4
	v_bfe_i32 v3, v3, 0, 16
	s_delay_alu instid0(VALU_DEP_3) | instskip(NEXT) | instid1(VALU_DEP_3)
	v_add_f32_e32 v7, -0.5, v7
	v_or_b32_e32 v5, 0x70000000, v5
	s_delay_alu instid0(VALU_DEP_1) | instskip(SKIP_1) | instid1(VALU_DEP_2)
	v_mul_f32_e32 v5, 0x7800000, v5
	v_cmp_gt_u32_e32 vcc_lo, 0x8000000, v4
	v_cndmask_b32_e32 v4, v5, v7, vcc_lo
	s_delay_alu instid0(VALU_DEP_1) | instskip(NEXT) | instid1(VALU_DEP_1)
	v_and_or_b32 v3, 0x80000000, v3, v4
	v_cvt_f16_f32_e32 v3, v3
.LBB182_1031:
	s_mov_b32 s34, 0
	s_mov_b32 s33, -1
.LBB182_1032:
	s_and_not1_b32 vcc_lo, exec_lo, s34
	s_cbranch_vccnz .LBB182_1045
; %bb.1033:
	s_cmp_gt_i32 s0, 14
	s_cbranch_scc0 .LBB182_1036
; %bb.1034:
	s_cmp_eq_u32 s0, 15
	s_cbranch_scc0 .LBB182_1039
; %bb.1035:
	s_wait_loadcnt 0x0
	global_load_u16 v3, v[0:1], off
	s_mov_b32 s33, -1
	s_mov_b32 s31, 0
	s_wait_loadcnt 0x0
	v_lshlrev_b32_e32 v3, 16, v3
	s_delay_alu instid0(VALU_DEP_1)
	v_cvt_f16_f32_e32 v3, v3
	s_branch .LBB182_1040
.LBB182_1036:
	s_mov_b32 s34, -1
                                        ; implicit-def: $vgpr3
	s_branch .LBB182_1041
.LBB182_1037:
	s_or_saveexec_b32 s34, s34
	v_mov_b32_e32 v3, 0x7e00
	s_xor_b32 exec_lo, exec_lo, s34
	s_cbranch_execz .LBB182_1018
.LBB182_1038:
	v_cmp_ne_u16_e32 vcc_lo, 0, v4
	v_mov_b32_e32 v3, v4
	s_and_not1_b32 s33, s33, exec_lo
	s_and_b32 s35, vcc_lo, exec_lo
	s_delay_alu instid0(SALU_CYCLE_1)
	s_or_b32 s33, s33, s35
	s_or_b32 exec_lo, exec_lo, s34
	s_and_saveexec_b32 s34, s33
	s_cbranch_execnz .LBB182_1019
	s_branch .LBB182_1020
.LBB182_1039:
	s_mov_b32 s31, -1
                                        ; implicit-def: $vgpr3
.LBB182_1040:
	s_mov_b32 s34, 0
.LBB182_1041:
	s_delay_alu instid0(SALU_CYCLE_1)
	s_and_b32 vcc_lo, exec_lo, s34
	s_cbranch_vccz .LBB182_1045
; %bb.1042:
	s_cmp_eq_u32 s0, 11
	s_cbranch_scc0 .LBB182_1044
; %bb.1043:
	s_wait_loadcnt 0x0
	global_load_u8 v3, v[0:1], off
	s_mov_b32 s31, 0
	s_mov_b32 s33, -1
	s_wait_loadcnt 0x0
	v_cmp_ne_u16_e32 vcc_lo, 0, v3
	v_cndmask_b32_e64 v3, 0, 0x3c00, vcc_lo
	s_branch .LBB182_1045
.LBB182_1044:
	s_mov_b32 s31, -1
                                        ; implicit-def: $vgpr3
.LBB182_1045:
	s_mov_b32 s34, 0
.LBB182_1046:
	s_delay_alu instid0(SALU_CYCLE_1)
	s_and_b32 vcc_lo, exec_lo, s34
	s_cbranch_vccz .LBB182_1095
; %bb.1047:
	s_cmp_lt_i32 s0, 5
	s_cbranch_scc1 .LBB182_1052
; %bb.1048:
	s_cmp_lt_i32 s0, 8
	s_cbranch_scc1 .LBB182_1053
	;; [unrolled: 3-line block ×3, first 2 shown]
; %bb.1050:
	s_cmp_gt_i32 s0, 9
	s_cbranch_scc0 .LBB182_1055
; %bb.1051:
	global_load_b64 v[4:5], v[0:1], off
	s_mov_b32 s33, 0
	s_wait_loadcnt 0x0
	v_and_or_b32 v3, 0x1ff, v5, v4
	v_lshrrev_b32_e32 v4, 8, v5
	v_bfe_u32 v7, v5, 20, 11
	s_delay_alu instid0(VALU_DEP_3) | instskip(NEXT) | instid1(VALU_DEP_2)
	v_cmp_ne_u32_e32 vcc_lo, 0, v3
	v_sub_nc_u32_e32 v8, 0x3f1, v7
	v_cndmask_b32_e64 v3, 0, 1, vcc_lo
	s_delay_alu instid0(VALU_DEP_1) | instskip(NEXT) | instid1(VALU_DEP_3)
	v_and_or_b32 v3, 0xffe, v4, v3
	v_med3_i32 v4, v8, 0, 13
	s_delay_alu instid0(VALU_DEP_2) | instskip(NEXT) | instid1(VALU_DEP_1)
	v_or_b32_e32 v8, 0x1000, v3
	v_lshrrev_b32_e32 v9, v4, v8
	s_delay_alu instid0(VALU_DEP_1) | instskip(NEXT) | instid1(VALU_DEP_1)
	v_lshlrev_b32_e32 v4, v4, v9
	v_cmp_ne_u32_e32 vcc_lo, v4, v8
	v_cndmask_b32_e64 v4, 0, 1, vcc_lo
	s_delay_alu instid0(VALU_DEP_1) | instskip(SKIP_1) | instid1(VALU_DEP_1)
	v_or_b32_e32 v4, v9, v4
	v_add_nc_u32_e32 v7, 0xfffffc10, v7
	v_lshl_or_b32 v8, v7, 12, v3
	v_cmp_gt_i32_e32 vcc_lo, 1, v7
	s_delay_alu instid0(VALU_DEP_2) | instskip(NEXT) | instid1(VALU_DEP_1)
	v_cndmask_b32_e32 v4, v8, v4, vcc_lo
	v_dual_lshrrev_b32 v4, 2, v4 :: v_dual_bitop2_b32 v8, 7, v4 bitop3:0x40
	s_delay_alu instid0(VALU_DEP_1) | instskip(SKIP_4) | instid1(VALU_DEP_2)
	v_cmp_lt_i32_e32 vcc_lo, 5, v8
	v_cndmask_b32_e64 v9, 0, 1, vcc_lo
	v_cmp_eq_u32_e32 vcc_lo, 3, v8
	v_cndmask_b32_e64 v8, 0, 1, vcc_lo
	v_cmp_ne_u32_e32 vcc_lo, 0, v3
	v_or_b32_e32 v8, v8, v9
	s_delay_alu instid0(VALU_DEP_1) | instskip(NEXT) | instid1(VALU_DEP_1)
	v_dual_mov_b32 v9, 0x7e00 :: v_dual_add_nc_u32 v4, v4, v8
	v_cndmask_b32_e32 v3, 0x7c00, v9, vcc_lo
	v_cmp_gt_i32_e32 vcc_lo, 31, v7
	s_delay_alu instid0(VALU_DEP_3) | instskip(SKIP_1) | instid1(VALU_DEP_2)
	v_cndmask_b32_e32 v4, 0x7c00, v4, vcc_lo
	v_cmp_eq_u32_e32 vcc_lo, 0x40f, v7
	v_dual_cndmask_b32 v3, v4, v3 :: v_dual_lshrrev_b32 v4, 16, v5
	s_delay_alu instid0(VALU_DEP_1)
	v_and_or_b32 v3, 0x8000, v4, v3
	s_branch .LBB182_1056
.LBB182_1052:
	s_mov_b32 s33, -1
                                        ; implicit-def: $vgpr3
	s_branch .LBB182_1074
.LBB182_1053:
	s_mov_b32 s33, -1
                                        ; implicit-def: $vgpr3
	s_branch .LBB182_1062
.LBB182_1054:
	s_mov_b32 s33, -1
                                        ; implicit-def: $vgpr3
	s_branch .LBB182_1059
.LBB182_1055:
	s_mov_b32 s33, -1
                                        ; implicit-def: $vgpr3
.LBB182_1056:
	s_delay_alu instid0(SALU_CYCLE_1)
	s_and_not1_b32 vcc_lo, exec_lo, s33
	s_cbranch_vccnz .LBB182_1058
; %bb.1057:
	s_wait_loadcnt 0x0
	global_load_b32 v3, v[0:1], off
	s_wait_loadcnt 0x0
	v_cvt_f16_f32_e32 v3, v3
.LBB182_1058:
	s_mov_b32 s33, 0
.LBB182_1059:
	s_delay_alu instid0(SALU_CYCLE_1)
	s_and_not1_b32 vcc_lo, exec_lo, s33
	s_cbranch_vccnz .LBB182_1061
; %bb.1060:
	s_wait_loadcnt 0x0
	global_load_b32 v3, v[0:1], off
.LBB182_1061:
	s_mov_b32 s33, 0
.LBB182_1062:
	s_delay_alu instid0(SALU_CYCLE_1)
	s_and_not1_b32 vcc_lo, exec_lo, s33
	s_cbranch_vccnz .LBB182_1073
; %bb.1063:
	s_cmp_lt_i32 s0, 6
	s_cbranch_scc1 .LBB182_1066
; %bb.1064:
	s_cmp_gt_i32 s0, 6
	s_cbranch_scc0 .LBB182_1067
; %bb.1065:
	global_load_b64 v[4:5], v[0:1], off
	s_mov_b32 s33, 0
	s_wait_loadcnt 0x0
	v_and_or_b32 v3, 0x1ff, v5, v4
	v_lshrrev_b32_e32 v4, 8, v5
	v_bfe_u32 v7, v5, 20, 11
	s_delay_alu instid0(VALU_DEP_3) | instskip(NEXT) | instid1(VALU_DEP_2)
	v_cmp_ne_u32_e32 vcc_lo, 0, v3
	v_sub_nc_u32_e32 v8, 0x3f1, v7
	v_cndmask_b32_e64 v3, 0, 1, vcc_lo
	s_delay_alu instid0(VALU_DEP_1) | instskip(NEXT) | instid1(VALU_DEP_3)
	v_and_or_b32 v3, 0xffe, v4, v3
	v_med3_i32 v4, v8, 0, 13
	s_delay_alu instid0(VALU_DEP_2) | instskip(NEXT) | instid1(VALU_DEP_1)
	v_or_b32_e32 v8, 0x1000, v3
	v_lshrrev_b32_e32 v9, v4, v8
	s_delay_alu instid0(VALU_DEP_1) | instskip(NEXT) | instid1(VALU_DEP_1)
	v_lshlrev_b32_e32 v4, v4, v9
	v_cmp_ne_u32_e32 vcc_lo, v4, v8
	v_cndmask_b32_e64 v4, 0, 1, vcc_lo
	s_delay_alu instid0(VALU_DEP_1) | instskip(SKIP_1) | instid1(VALU_DEP_1)
	v_or_b32_e32 v4, v9, v4
	v_add_nc_u32_e32 v7, 0xfffffc10, v7
	v_lshl_or_b32 v8, v7, 12, v3
	v_cmp_gt_i32_e32 vcc_lo, 1, v7
	s_delay_alu instid0(VALU_DEP_2) | instskip(NEXT) | instid1(VALU_DEP_1)
	v_cndmask_b32_e32 v4, v8, v4, vcc_lo
	v_dual_lshrrev_b32 v4, 2, v4 :: v_dual_bitop2_b32 v8, 7, v4 bitop3:0x40
	s_delay_alu instid0(VALU_DEP_1) | instskip(SKIP_4) | instid1(VALU_DEP_2)
	v_cmp_lt_i32_e32 vcc_lo, 5, v8
	v_cndmask_b32_e64 v9, 0, 1, vcc_lo
	v_cmp_eq_u32_e32 vcc_lo, 3, v8
	v_cndmask_b32_e64 v8, 0, 1, vcc_lo
	v_cmp_ne_u32_e32 vcc_lo, 0, v3
	v_or_b32_e32 v8, v8, v9
	s_delay_alu instid0(VALU_DEP_1) | instskip(NEXT) | instid1(VALU_DEP_1)
	v_dual_mov_b32 v9, 0x7e00 :: v_dual_add_nc_u32 v4, v4, v8
	v_cndmask_b32_e32 v3, 0x7c00, v9, vcc_lo
	v_cmp_gt_i32_e32 vcc_lo, 31, v7
	s_delay_alu instid0(VALU_DEP_3) | instskip(SKIP_1) | instid1(VALU_DEP_2)
	v_cndmask_b32_e32 v4, 0x7c00, v4, vcc_lo
	v_cmp_eq_u32_e32 vcc_lo, 0x40f, v7
	v_dual_cndmask_b32 v3, v4, v3 :: v_dual_lshrrev_b32 v4, 16, v5
	s_delay_alu instid0(VALU_DEP_1)
	v_and_or_b32 v3, 0x8000, v4, v3
	s_branch .LBB182_1068
.LBB182_1066:
	s_mov_b32 s33, -1
                                        ; implicit-def: $vgpr3
	s_branch .LBB182_1071
.LBB182_1067:
	s_mov_b32 s33, -1
                                        ; implicit-def: $vgpr3
.LBB182_1068:
	s_delay_alu instid0(SALU_CYCLE_1)
	s_and_not1_b32 vcc_lo, exec_lo, s33
	s_cbranch_vccnz .LBB182_1070
; %bb.1069:
	s_wait_loadcnt 0x0
	global_load_b32 v3, v[0:1], off
	s_wait_loadcnt 0x0
	v_cvt_f16_f32_e32 v3, v3
.LBB182_1070:
	s_mov_b32 s33, 0
.LBB182_1071:
	s_delay_alu instid0(SALU_CYCLE_1)
	s_and_not1_b32 vcc_lo, exec_lo, s33
	s_cbranch_vccnz .LBB182_1073
; %bb.1072:
	s_wait_loadcnt 0x0
	global_load_u16 v3, v[0:1], off
.LBB182_1073:
	s_mov_b32 s33, 0
.LBB182_1074:
	s_delay_alu instid0(SALU_CYCLE_1)
	s_and_not1_b32 vcc_lo, exec_lo, s33
	s_cbranch_vccnz .LBB182_1094
; %bb.1075:
	s_cmp_lt_i32 s0, 2
	s_cbranch_scc1 .LBB182_1079
; %bb.1076:
	s_cmp_lt_i32 s0, 3
	s_cbranch_scc1 .LBB182_1080
; %bb.1077:
	s_cmp_gt_i32 s0, 3
	s_cbranch_scc0 .LBB182_1081
; %bb.1078:
	global_load_b64 v[4:5], v[0:1], off
	s_mov_b32 s33, 0
	s_wait_loadcnt 0x0
	v_xor_b32_e32 v3, v4, v5
	v_cls_i32_e32 v7, v5
	s_delay_alu instid0(VALU_DEP_2) | instskip(NEXT) | instid1(VALU_DEP_1)
	v_ashrrev_i32_e32 v3, 31, v3
	v_add_nc_u32_e32 v3, 32, v3
	s_delay_alu instid0(VALU_DEP_1) | instskip(NEXT) | instid1(VALU_DEP_1)
	v_add_min_u32_e64 v3, v7, -1, v3
	v_lshlrev_b64_e32 v[4:5], v3, v[4:5]
	v_sub_nc_u32_e32 v3, 32, v3
	s_delay_alu instid0(VALU_DEP_2) | instskip(NEXT) | instid1(VALU_DEP_1)
	v_min_u32_e32 v4, 1, v4
	v_or_b32_e32 v4, v5, v4
	s_delay_alu instid0(VALU_DEP_1) | instskip(NEXT) | instid1(VALU_DEP_1)
	v_cvt_f32_i32_e32 v4, v4
	v_ldexp_f32 v3, v4, v3
	s_delay_alu instid0(VALU_DEP_1)
	v_cvt_f16_f32_e32 v3, v3
	s_branch .LBB182_1082
.LBB182_1079:
	s_mov_b32 s33, -1
                                        ; implicit-def: $vgpr3
	s_branch .LBB182_1088
.LBB182_1080:
	s_mov_b32 s33, -1
                                        ; implicit-def: $vgpr3
	s_branch .LBB182_1085
.LBB182_1081:
	s_mov_b32 s33, -1
                                        ; implicit-def: $vgpr3
.LBB182_1082:
	s_delay_alu instid0(SALU_CYCLE_1)
	s_and_not1_b32 vcc_lo, exec_lo, s33
	s_cbranch_vccnz .LBB182_1084
; %bb.1083:
	s_wait_loadcnt 0x0
	global_load_b32 v3, v[0:1], off
	s_wait_loadcnt 0x0
	v_cvt_f32_i32_e32 v3, v3
	s_delay_alu instid0(VALU_DEP_1)
	v_cvt_f16_f32_e32 v3, v3
.LBB182_1084:
	s_mov_b32 s33, 0
.LBB182_1085:
	s_delay_alu instid0(SALU_CYCLE_1)
	s_and_not1_b32 vcc_lo, exec_lo, s33
	s_cbranch_vccnz .LBB182_1087
; %bb.1086:
	s_wait_loadcnt 0x0
	global_load_u16 v3, v[0:1], off
	s_wait_loadcnt 0x0
	v_cvt_f16_i16_e32 v3, v3
.LBB182_1087:
	s_mov_b32 s33, 0
.LBB182_1088:
	s_delay_alu instid0(SALU_CYCLE_1)
	s_and_not1_b32 vcc_lo, exec_lo, s33
	s_cbranch_vccnz .LBB182_1094
; %bb.1089:
	s_cmp_gt_i32 s0, 0
	s_mov_b32 s0, 0
	s_cbranch_scc0 .LBB182_1091
; %bb.1090:
	s_wait_loadcnt 0x0
	global_load_i8 v3, v[0:1], off
	s_wait_loadcnt 0x0
	v_cvt_f16_i16_e32 v3, v3
	s_branch .LBB182_1092
.LBB182_1091:
	s_mov_b32 s0, -1
                                        ; implicit-def: $vgpr3
.LBB182_1092:
	s_delay_alu instid0(SALU_CYCLE_1)
	s_and_not1_b32 vcc_lo, exec_lo, s0
	s_cbranch_vccnz .LBB182_1094
; %bb.1093:
	global_load_u8 v0, v[0:1], off
	s_wait_loadcnt 0x0
	v_cvt_f16_u16_e32 v3, v0
.LBB182_1094:
	s_mov_b32 s33, -1
.LBB182_1095:
	s_delay_alu instid0(SALU_CYCLE_1)
	s_and_not1_b32 vcc_lo, exec_lo, s33
	s_cbranch_vccnz .LBB182_1103
; %bb.1096:
	s_wait_xcnt 0x0
	v_mul_lo_u32 v0, v6, s11
	s_wait_loadcnt 0x0
	v_mul_f16_e32 v2, s10, v2
	s_and_b32 s33, s12, 0xff
	s_delay_alu instid0(SALU_CYCLE_1) | instskip(NEXT) | instid1(VALU_DEP_1)
	s_cmp_lt_i32 s33, 11
	v_mul_f16_e32 v2, v2, v3
	s_delay_alu instid0(VALU_DEP_3) | instskip(NEXT) | instid1(VALU_DEP_1)
	v_ashrrev_i32_e32 v1, 31, v0
	v_add_nc_u64_e32 v[0:1], s[2:3], v[0:1]
	s_cbranch_scc1 .LBB182_1104
; %bb.1097:
	s_and_b32 s34, 0xffff, s33
	s_delay_alu instid0(SALU_CYCLE_1)
	s_cmp_gt_i32 s34, 25
	s_cbranch_scc0 .LBB182_1105
; %bb.1098:
	s_cmp_gt_i32 s34, 28
	s_cbranch_scc0 .LBB182_1106
; %bb.1099:
	;; [unrolled: 3-line block ×4, first 2 shown]
	s_mov_b32 s36, 0
	s_mov_b32 s0, -1
	s_cmp_eq_u32 s34, 46
	s_mov_b32 s35, 0
	s_cbranch_scc0 .LBB182_1109
; %bb.1102:
	v_cvt_f32_f16_e32 v3, v2
	v_cmp_o_f16_e32 vcc_lo, v2, v2
	s_mov_b32 s35, -1
	s_mov_b32 s0, 0
	s_delay_alu instid0(VALU_DEP_2) | instskip(NEXT) | instid1(VALU_DEP_1)
	v_bfe_u32 v4, v3, 16, 1
	v_add3_u32 v3, v3, v4, 0x7fff
	s_delay_alu instid0(VALU_DEP_1) | instskip(NEXT) | instid1(VALU_DEP_1)
	v_lshrrev_b32_e32 v3, 16, v3
	v_cndmask_b32_e32 v3, 0x7fc0, v3, vcc_lo
	global_store_b32 v[0:1], v3, off
	s_branch .LBB182_1109
.LBB182_1103:
	s_mov_b32 s34, 0
	s_mov_b32 s0, s24
	s_branch .LBB182_840
.LBB182_1104:
	s_mov_b32 s34, -1
	s_mov_b32 s35, 0
	s_mov_b32 s0, s24
	s_branch .LBB182_1178
.LBB182_1105:
	s_mov_b32 s36, -1
	s_mov_b32 s35, 0
	s_mov_b32 s0, s24
	s_branch .LBB182_1136
.LBB182_1106:
	s_mov_b32 s36, -1
	s_mov_b32 s35, 0
	s_mov_b32 s0, s24
	s_branch .LBB182_1119
.LBB182_1107:
	s_mov_b32 s36, -1
	s_mov_b32 s35, 0
	s_mov_b32 s0, s24
	s_branch .LBB182_1115
.LBB182_1108:
	s_mov_b32 s36, -1
	s_mov_b32 s35, 0
	s_mov_b32 s0, s24
.LBB182_1109:
	s_and_b32 vcc_lo, exec_lo, s36
	s_cbranch_vccz .LBB182_1114
; %bb.1110:
	s_cmp_eq_u32 s34, 44
	s_mov_b32 s0, -1
	s_cbranch_scc0 .LBB182_1114
; %bb.1111:
	s_wait_xcnt 0x0
	v_cvt_f32_f16_e32 v3, v2
	v_mov_b32_e32 v4, 0xff
	s_mov_b32 s35, exec_lo
	s_delay_alu instid0(VALU_DEP_2) | instskip(NEXT) | instid1(VALU_DEP_1)
	v_bfe_u32 v5, v3, 23, 8
	v_cmpx_ne_u32_e32 0xff, v5
	s_cbranch_execz .LBB182_1113
; %bb.1112:
	v_and_b32_e32 v4, 0x400000, v3
	v_and_or_b32 v5, 0x3fffff, v3, v5
	v_lshrrev_b32_e32 v3, 23, v3
	s_delay_alu instid0(VALU_DEP_3) | instskip(NEXT) | instid1(VALU_DEP_3)
	v_cmp_ne_u32_e32 vcc_lo, 0, v4
	v_cmp_ne_u32_e64 s0, 0, v5
	s_and_b32 s0, vcc_lo, s0
	s_delay_alu instid0(SALU_CYCLE_1) | instskip(NEXT) | instid1(VALU_DEP_1)
	v_cndmask_b32_e64 v4, 0, 1, s0
	v_add_nc_u32_e32 v4, v3, v4
.LBB182_1113:
	s_or_b32 exec_lo, exec_lo, s35
	s_mov_b32 s35, -1
	s_mov_b32 s0, 0
	global_store_b8 v[0:1], v4, off
.LBB182_1114:
	s_mov_b32 s36, 0
.LBB182_1115:
	s_delay_alu instid0(SALU_CYCLE_1)
	s_and_b32 vcc_lo, exec_lo, s36
	s_cbranch_vccz .LBB182_1118
; %bb.1116:
	s_cmp_eq_u32 s34, 29
	s_mov_b32 s0, -1
	s_cbranch_scc0 .LBB182_1118
; %bb.1117:
	s_wait_xcnt 0x0
	v_cvt_f32_f16_e32 v3, v2
	v_mov_b32_e32 v5, 0
	s_mov_b32 s35, -1
	s_mov_b32 s0, 0
	s_mov_b32 s36, 0
	v_cvt_u32_f32_e32 v4, v3
	global_store_b64 v[0:1], v[4:5], off
	s_branch .LBB182_1119
.LBB182_1118:
	s_mov_b32 s36, 0
.LBB182_1119:
	s_delay_alu instid0(SALU_CYCLE_1)
	s_and_b32 vcc_lo, exec_lo, s36
	s_cbranch_vccz .LBB182_1135
; %bb.1120:
	s_cmp_lt_i32 s34, 27
	s_mov_b32 s35, -1
	s_cbranch_scc1 .LBB182_1126
; %bb.1121:
	s_cmp_gt_i32 s34, 27
	s_cbranch_scc0 .LBB182_1123
; %bb.1122:
	s_wait_xcnt 0x0
	v_cvt_f32_f16_e32 v3, v2
	s_mov_b32 s35, 0
	s_delay_alu instid0(VALU_DEP_1)
	v_cvt_u32_f32_e32 v3, v3
	global_store_b32 v[0:1], v3, off
.LBB182_1123:
	s_and_not1_b32 vcc_lo, exec_lo, s35
	s_cbranch_vccnz .LBB182_1125
; %bb.1124:
	s_wait_xcnt 0x0
	v_cvt_u16_f16_e32 v3, v2
	global_store_b16 v[0:1], v3, off
.LBB182_1125:
	s_mov_b32 s35, 0
.LBB182_1126:
	s_delay_alu instid0(SALU_CYCLE_1)
	s_and_not1_b32 vcc_lo, exec_lo, s35
	s_cbranch_vccnz .LBB182_1134
; %bb.1127:
	s_wait_xcnt 0x0
	v_cvt_f32_f16_e32 v3, v2
	v_mov_b32_e32 v5, 0x80
	s_mov_b32 s35, exec_lo
	s_delay_alu instid0(VALU_DEP_2) | instskip(NEXT) | instid1(VALU_DEP_1)
	v_and_b32_e32 v4, 0x7fffffff, v3
	v_cmpx_gt_u32_e32 0x43800000, v4
	s_cbranch_execz .LBB182_1133
; %bb.1128:
	v_cmp_lt_u32_e32 vcc_lo, 0x3bffffff, v4
	s_mov_b32 s36, 0
                                        ; implicit-def: $vgpr4
	s_and_saveexec_b32 s37, vcc_lo
	s_delay_alu instid0(SALU_CYCLE_1)
	s_xor_b32 s37, exec_lo, s37
	s_cbranch_execz .LBB182_2069
; %bb.1129:
	v_bfe_u32 v4, v3, 20, 1
	s_mov_b32 s36, exec_lo
	s_delay_alu instid0(VALU_DEP_1) | instskip(NEXT) | instid1(VALU_DEP_1)
	v_add3_u32 v4, v3, v4, 0x487ffff
	v_lshrrev_b32_e32 v4, 20, v4
	s_and_not1_saveexec_b32 s37, s37
	s_cbranch_execnz .LBB182_2070
.LBB182_1130:
	s_or_b32 exec_lo, exec_lo, s37
	v_mov_b32_e32 v5, 0
	s_and_saveexec_b32 s37, s36
.LBB182_1131:
	v_lshrrev_b32_e32 v3, 24, v3
	s_delay_alu instid0(VALU_DEP_1)
	v_and_or_b32 v5, 0x80, v3, v4
.LBB182_1132:
	s_or_b32 exec_lo, exec_lo, s37
.LBB182_1133:
	s_delay_alu instid0(SALU_CYCLE_1)
	s_or_b32 exec_lo, exec_lo, s35
	global_store_b8 v[0:1], v5, off
.LBB182_1134:
	s_mov_b32 s35, -1
.LBB182_1135:
	s_mov_b32 s36, 0
.LBB182_1136:
	s_delay_alu instid0(SALU_CYCLE_1)
	s_and_b32 vcc_lo, exec_lo, s36
	s_cbranch_vccz .LBB182_1177
; %bb.1137:
	s_cmp_gt_i32 s34, 22
	s_mov_b32 s36, -1
	s_cbranch_scc0 .LBB182_1169
; %bb.1138:
	s_cmp_lt_i32 s34, 24
	s_mov_b32 s35, -1
	s_cbranch_scc1 .LBB182_1158
; %bb.1139:
	s_cmp_gt_i32 s34, 24
	s_cbranch_scc0 .LBB182_1147
; %bb.1140:
	s_wait_xcnt 0x0
	v_cvt_f32_f16_e32 v3, v2
	v_mov_b32_e32 v5, 0x80
	s_mov_b32 s35, exec_lo
	s_delay_alu instid0(VALU_DEP_2) | instskip(NEXT) | instid1(VALU_DEP_1)
	v_and_b32_e32 v4, 0x7fffffff, v3
	v_cmpx_gt_u32_e32 0x47800000, v4
	s_cbranch_execz .LBB182_1146
; %bb.1141:
	v_cmp_lt_u32_e32 vcc_lo, 0x37ffffff, v4
	s_mov_b32 s36, 0
                                        ; implicit-def: $vgpr4
	s_and_saveexec_b32 s37, vcc_lo
	s_delay_alu instid0(SALU_CYCLE_1)
	s_xor_b32 s37, exec_lo, s37
	s_cbranch_execz .LBB182_2222
; %bb.1142:
	v_bfe_u32 v4, v3, 21, 1
	s_mov_b32 s36, exec_lo
	s_delay_alu instid0(VALU_DEP_1) | instskip(NEXT) | instid1(VALU_DEP_1)
	v_add3_u32 v4, v3, v4, 0x88fffff
	v_lshrrev_b32_e32 v4, 21, v4
	s_and_not1_saveexec_b32 s37, s37
	s_cbranch_execnz .LBB182_2223
.LBB182_1143:
	s_or_b32 exec_lo, exec_lo, s37
	v_mov_b32_e32 v5, 0
	s_and_saveexec_b32 s37, s36
.LBB182_1144:
	v_lshrrev_b32_e32 v3, 24, v3
	s_delay_alu instid0(VALU_DEP_1)
	v_and_or_b32 v5, 0x80, v3, v4
.LBB182_1145:
	s_or_b32 exec_lo, exec_lo, s37
.LBB182_1146:
	s_delay_alu instid0(SALU_CYCLE_1)
	s_or_b32 exec_lo, exec_lo, s35
	s_mov_b32 s35, 0
	global_store_b8 v[0:1], v5, off
.LBB182_1147:
	s_and_b32 vcc_lo, exec_lo, s35
	s_cbranch_vccz .LBB182_1157
; %bb.1148:
	s_wait_xcnt 0x0
	v_cvt_f32_f16_e32 v3, v2
	s_mov_b32 s35, exec_lo
                                        ; implicit-def: $vgpr4
	s_delay_alu instid0(VALU_DEP_1) | instskip(NEXT) | instid1(VALU_DEP_1)
	v_and_b32_e32 v5, 0x7fffffff, v3
	v_cmpx_gt_u32_e32 0x43f00000, v5
	s_xor_b32 s35, exec_lo, s35
	s_cbranch_execz .LBB182_1154
; %bb.1149:
	s_mov_b32 s36, exec_lo
                                        ; implicit-def: $vgpr4
	v_cmpx_lt_u32_e32 0x3c7fffff, v5
	s_xor_b32 s36, exec_lo, s36
; %bb.1150:
	v_bfe_u32 v4, v3, 20, 1
	s_delay_alu instid0(VALU_DEP_1) | instskip(NEXT) | instid1(VALU_DEP_1)
	v_add3_u32 v4, v3, v4, 0x407ffff
	v_and_b32_e32 v5, 0xff00000, v4
	v_lshrrev_b32_e32 v4, 20, v4
	s_delay_alu instid0(VALU_DEP_2) | instskip(NEXT) | instid1(VALU_DEP_2)
	v_cmp_ne_u32_e32 vcc_lo, 0x7f00000, v5
	v_cndmask_b32_e32 v4, 0x7e, v4, vcc_lo
; %bb.1151:
	s_and_not1_saveexec_b32 s36, s36
; %bb.1152:
	v_add_f32_e64 v4, 0x46800000, |v3|
; %bb.1153:
	s_or_b32 exec_lo, exec_lo, s36
                                        ; implicit-def: $vgpr5
.LBB182_1154:
	s_and_not1_saveexec_b32 s35, s35
; %bb.1155:
	v_mov_b32_e32 v4, 0x7f
	v_cmp_lt_u32_e32 vcc_lo, 0x7f800000, v5
	s_delay_alu instid0(VALU_DEP_2)
	v_cndmask_b32_e32 v4, 0x7e, v4, vcc_lo
; %bb.1156:
	s_or_b32 exec_lo, exec_lo, s35
	v_lshrrev_b32_e32 v3, 24, v3
	s_delay_alu instid0(VALU_DEP_1)
	v_and_or_b32 v3, 0x80, v3, v4
	global_store_b8 v[0:1], v3, off
.LBB182_1157:
	s_mov_b32 s35, 0
.LBB182_1158:
	s_delay_alu instid0(SALU_CYCLE_1)
	s_and_not1_b32 vcc_lo, exec_lo, s35
	s_cbranch_vccnz .LBB182_1168
; %bb.1159:
	s_wait_xcnt 0x0
	v_cvt_f32_f16_e32 v3, v2
	s_mov_b32 s35, exec_lo
                                        ; implicit-def: $vgpr4
	s_delay_alu instid0(VALU_DEP_1) | instskip(NEXT) | instid1(VALU_DEP_1)
	v_and_b32_e32 v5, 0x7fffffff, v3
	v_cmpx_gt_u32_e32 0x47800000, v5
	s_xor_b32 s35, exec_lo, s35
	s_cbranch_execz .LBB182_1165
; %bb.1160:
	s_mov_b32 s36, exec_lo
                                        ; implicit-def: $vgpr4
	v_cmpx_lt_u32_e32 0x387fffff, v5
	s_xor_b32 s36, exec_lo, s36
; %bb.1161:
	v_bfe_u32 v4, v3, 21, 1
	s_delay_alu instid0(VALU_DEP_1) | instskip(NEXT) | instid1(VALU_DEP_1)
	v_add3_u32 v4, v3, v4, 0x80fffff
	v_lshrrev_b32_e32 v4, 21, v4
; %bb.1162:
	s_and_not1_saveexec_b32 s36, s36
; %bb.1163:
	v_add_f32_e64 v4, 0x43000000, |v3|
; %bb.1164:
	s_or_b32 exec_lo, exec_lo, s36
                                        ; implicit-def: $vgpr5
.LBB182_1165:
	s_and_not1_saveexec_b32 s35, s35
; %bb.1166:
	v_mov_b32_e32 v4, 0x7f
	v_cmp_lt_u32_e32 vcc_lo, 0x7f800000, v5
	s_delay_alu instid0(VALU_DEP_2)
	v_cndmask_b32_e32 v4, 0x7c, v4, vcc_lo
; %bb.1167:
	s_or_b32 exec_lo, exec_lo, s35
	v_lshrrev_b32_e32 v3, 24, v3
	s_delay_alu instid0(VALU_DEP_1)
	v_and_or_b32 v3, 0x80, v3, v4
	global_store_b8 v[0:1], v3, off
.LBB182_1168:
	s_mov_b32 s36, 0
	s_mov_b32 s35, -1
.LBB182_1169:
	s_and_not1_b32 vcc_lo, exec_lo, s36
	s_cbranch_vccnz .LBB182_1177
; %bb.1170:
	s_cmp_gt_i32 s34, 14
	s_mov_b32 s36, -1
	s_cbranch_scc0 .LBB182_1174
; %bb.1171:
	s_cmp_eq_u32 s34, 15
	s_mov_b32 s0, -1
	s_cbranch_scc0 .LBB182_1173
; %bb.1172:
	s_wait_xcnt 0x0
	v_cvt_f32_f16_e32 v3, v2
	v_cmp_o_f16_e32 vcc_lo, v2, v2
	s_mov_b32 s35, -1
	s_mov_b32 s0, 0
	s_delay_alu instid0(VALU_DEP_2) | instskip(NEXT) | instid1(VALU_DEP_1)
	v_bfe_u32 v4, v3, 16, 1
	v_add3_u32 v3, v3, v4, 0x7fff
	s_delay_alu instid0(VALU_DEP_1) | instskip(NEXT) | instid1(VALU_DEP_1)
	v_lshrrev_b32_e32 v3, 16, v3
	v_cndmask_b32_e32 v3, 0x7fc0, v3, vcc_lo
	global_store_b16 v[0:1], v3, off
.LBB182_1173:
	s_mov_b32 s36, 0
.LBB182_1174:
	s_delay_alu instid0(SALU_CYCLE_1)
	s_and_b32 vcc_lo, exec_lo, s36
	s_cbranch_vccz .LBB182_1177
; %bb.1175:
	s_cmp_eq_u32 s34, 11
	s_mov_b32 s0, -1
	s_cbranch_scc0 .LBB182_1177
; %bb.1176:
	v_cmp_neq_f16_e32 vcc_lo, 0, v2
	s_mov_b32 s0, 0
	s_mov_b32 s35, -1
	s_wait_xcnt 0x0
	v_cndmask_b32_e64 v3, 0, 1, vcc_lo
	global_store_b8 v[0:1], v3, off
.LBB182_1177:
	s_mov_b32 s34, 0
.LBB182_1178:
	s_delay_alu instid0(SALU_CYCLE_1)
	s_and_b32 vcc_lo, exec_lo, s34
	s_cbranch_vccz .LBB182_1217
; %bb.1179:
	s_and_b32 s33, 0xffff, s33
	s_mov_b32 s34, -1
	s_cmp_lt_i32 s33, 5
	s_cbranch_scc1 .LBB182_1200
; %bb.1180:
	s_cmp_lt_i32 s33, 8
	s_cbranch_scc1 .LBB182_1190
; %bb.1181:
	;; [unrolled: 3-line block ×3, first 2 shown]
	s_cmp_gt_i32 s33, 9
	s_cbranch_scc0 .LBB182_1184
; %bb.1183:
	s_wait_xcnt 0x0
	v_cvt_f32_f16_e32 v3, v2
	v_mov_b32_e32 v10, 0
	s_mov_b32 s34, 0
	s_delay_alu instid0(VALU_DEP_2) | instskip(NEXT) | instid1(VALU_DEP_2)
	v_cvt_f64_f32_e32 v[8:9], v3
	v_mov_b32_e32 v11, v10
	global_store_b128 v[0:1], v[8:11], off
.LBB182_1184:
	s_and_not1_b32 vcc_lo, exec_lo, s34
	s_cbranch_vccnz .LBB182_1186
; %bb.1185:
	s_wait_xcnt 0x0
	v_cvt_f32_f16_e32 v4, v2
	v_mov_b32_e32 v5, 0
	global_store_b64 v[0:1], v[4:5], off
.LBB182_1186:
	s_mov_b32 s34, 0
.LBB182_1187:
	s_delay_alu instid0(SALU_CYCLE_1)
	s_and_not1_b32 vcc_lo, exec_lo, s34
	s_cbranch_vccnz .LBB182_1189
; %bb.1188:
	s_wait_xcnt 0x0
	v_and_b32_e32 v3, 0xffff, v2
	global_store_b32 v[0:1], v3, off
.LBB182_1189:
	s_mov_b32 s34, 0
.LBB182_1190:
	s_delay_alu instid0(SALU_CYCLE_1)
	s_and_not1_b32 vcc_lo, exec_lo, s34
	s_cbranch_vccnz .LBB182_1199
; %bb.1191:
	s_cmp_lt_i32 s33, 6
	s_mov_b32 s34, -1
	s_cbranch_scc1 .LBB182_1197
; %bb.1192:
	s_cmp_gt_i32 s33, 6
	s_cbranch_scc0 .LBB182_1194
; %bb.1193:
	s_wait_xcnt 0x0
	v_cvt_f32_f16_e32 v3, v2
	s_mov_b32 s34, 0
	s_delay_alu instid0(VALU_DEP_1)
	v_cvt_f64_f32_e32 v[4:5], v3
	global_store_b64 v[0:1], v[4:5], off
.LBB182_1194:
	s_and_not1_b32 vcc_lo, exec_lo, s34
	s_cbranch_vccnz .LBB182_1196
; %bb.1195:
	s_wait_xcnt 0x0
	v_cvt_f32_f16_e32 v3, v2
	global_store_b32 v[0:1], v3, off
.LBB182_1196:
	s_mov_b32 s34, 0
.LBB182_1197:
	s_delay_alu instid0(SALU_CYCLE_1)
	s_and_not1_b32 vcc_lo, exec_lo, s34
	s_cbranch_vccnz .LBB182_1199
; %bb.1198:
	global_store_b16 v[0:1], v2, off
.LBB182_1199:
	s_mov_b32 s34, 0
.LBB182_1200:
	s_delay_alu instid0(SALU_CYCLE_1)
	s_and_not1_b32 vcc_lo, exec_lo, s34
	s_cbranch_vccnz .LBB182_1216
; %bb.1201:
	s_cmp_lt_i32 s33, 2
	s_mov_b32 s34, -1
	s_cbranch_scc1 .LBB182_1211
; %bb.1202:
	s_cmp_lt_i32 s33, 3
	s_cbranch_scc1 .LBB182_1208
; %bb.1203:
	s_cmp_gt_i32 s33, 3
	s_cbranch_scc0 .LBB182_1205
; %bb.1204:
	s_wait_xcnt 0x0
	v_cvt_f32_f16_e32 v3, v2
	s_mov_b32 s34, 0
	s_delay_alu instid0(VALU_DEP_1) | instskip(NEXT) | instid1(VALU_DEP_1)
	v_cvt_i32_f32_e32 v4, v3
	v_ashrrev_i32_e32 v5, 31, v4
	global_store_b64 v[0:1], v[4:5], off
.LBB182_1205:
	s_and_not1_b32 vcc_lo, exec_lo, s34
	s_cbranch_vccnz .LBB182_1207
; %bb.1206:
	s_wait_xcnt 0x0
	v_cvt_f32_f16_e32 v3, v2
	s_delay_alu instid0(VALU_DEP_1)
	v_cvt_i32_f32_e32 v3, v3
	global_store_b32 v[0:1], v3, off
.LBB182_1207:
	s_mov_b32 s34, 0
.LBB182_1208:
	s_delay_alu instid0(SALU_CYCLE_1)
	s_and_not1_b32 vcc_lo, exec_lo, s34
	s_cbranch_vccnz .LBB182_1210
; %bb.1209:
	s_wait_xcnt 0x0
	v_cvt_i16_f16_e32 v3, v2
	global_store_b16 v[0:1], v3, off
.LBB182_1210:
	s_mov_b32 s34, 0
.LBB182_1211:
	s_delay_alu instid0(SALU_CYCLE_1)
	s_and_not1_b32 vcc_lo, exec_lo, s34
	s_cbranch_vccnz .LBB182_1216
; %bb.1212:
	s_cmp_gt_i32 s33, 0
	s_mov_b32 s33, -1
	s_cbranch_scc0 .LBB182_1214
; %bb.1213:
	s_wait_xcnt 0x0
	v_cvt_i16_f16_e32 v3, v2
	s_mov_b32 s33, 0
	global_store_b8 v[0:1], v3, off
.LBB182_1214:
	s_and_not1_b32 vcc_lo, exec_lo, s33
	s_cbranch_vccnz .LBB182_1216
; %bb.1215:
	s_wait_xcnt 0x0
	v_cvt_f32_f16_e32 v2, v2
	s_delay_alu instid0(VALU_DEP_1)
	v_cvt_i32_f32_e32 v2, v2
	global_store_b8 v[0:1], v2, off
.LBB182_1216:
	s_mov_b32 s35, -1
.LBB182_1217:
	s_delay_alu instid0(SALU_CYCLE_1)
	s_and_not1_b32 vcc_lo, exec_lo, s35
	s_cbranch_vccnz .LBB182_1228
; %bb.1218:
	v_add_nc_u32_e32 v6, 0x80, v6
	s_mov_b32 s34, -1
.LBB182_1219:
	s_and_not1_b32 s33, s24, exec_lo
	s_and_b32 s0, s0, exec_lo
	s_and_not1_b32 s35, s25, exec_lo
	s_and_b32 s31, s31, exec_lo
	s_or_b32 s33, s33, s0
	s_or_b32 s31, s35, s31
	s_and_not1_b32 s0, s26, exec_lo
	s_and_b32 s29, s29, exec_lo
	s_and_not1_b32 s35, s23, exec_lo
	s_and_b32 s30, s30, exec_lo
	s_or_b32 s29, s0, s29
	s_or_b32 s0, s35, s30
	s_or_not1_b32 s30, s34, exec_lo
.LBB182_1220:
	s_wait_xcnt 0x0
	s_or_b32 exec_lo, exec_lo, s28
	s_mov_b32 s34, 0
	s_and_saveexec_b32 s28, s30
	s_cbranch_execz .LBB182_1243
; %bb.1221:
	v_cmp_gt_i32_e32 vcc_lo, s18, v6
	s_mov_b32 s30, 0
	s_mov_b32 s34, s0
	s_and_saveexec_b32 s18, vcc_lo
	s_cbranch_execz .LBB182_1242
; %bb.1222:
	s_and_b32 s35, s15, 0xff
	s_delay_alu instid0(SALU_CYCLE_1)
	s_cmp_lt_i32 s35, 23
	s_cbranch_scc1 .LBB182_1226
; %bb.1223:
	s_and_b32 s36, 0xffff, s35
	s_delay_alu instid0(SALU_CYCLE_1)
	s_cmp_gt_i32 s36, 43
	s_cbranch_scc0 .LBB182_1227
; %bb.1224:
	s_cmp_gt_i32 s36, 45
	s_cbranch_scc0 .LBB182_1229
; %bb.1225:
	s_cmp_lg_u32 s36, 46
	s_mov_b32 s37, 0
	s_cselect_b32 s30, -1, 0
	s_and_not1_b32 s34, s0, exec_lo
	s_and_b32 s38, s30, exec_lo
	s_mov_b32 s30, -1
	s_or_b32 s34, s34, s38
	s_branch .LBB182_1230
.LBB182_1226:
	s_mov_b32 s36, -1
	s_mov_b32 s34, s0
	s_branch .LBB182_1236
.LBB182_1227:
	s_mov_b32 s37, -1
	s_mov_b32 s34, s0
	s_branch .LBB182_1233
.LBB182_1228:
	s_mov_b32 s34, 0
	s_branch .LBB182_840
.LBB182_1229:
	s_mov_b32 s37, -1
	s_mov_b32 s34, s0
.LBB182_1230:
	s_and_not1_b32 vcc_lo, exec_lo, s37
	s_cbranch_vccnz .LBB182_1232
; %bb.1231:
	s_cmp_eq_u32 s36, 44
	s_cselect_b32 s30, -1, 0
	s_cmp_lg_u32 s36, 44
	s_cselect_b32 s37, -1, 0
	s_and_not1_b32 s34, s34, exec_lo
	s_and_b32 s37, s37, exec_lo
	s_delay_alu instid0(SALU_CYCLE_1)
	s_or_b32 s34, s34, s37
.LBB182_1232:
	s_mov_b32 s37, 0
.LBB182_1233:
	s_delay_alu instid0(SALU_CYCLE_1)
	s_and_b32 vcc_lo, exec_lo, s37
	s_cbranch_vccz .LBB182_1235
; %bb.1234:
	s_cmp_lt_i32 s36, 30
	s_cselect_b32 s30, -1, 0
	s_cmp_gt_i32 s36, 29
	s_cselect_b32 s36, -1, 0
	s_and_not1_b32 s34, s34, exec_lo
	s_and_b32 s36, s36, exec_lo
	s_delay_alu instid0(SALU_CYCLE_1)
	s_or_b32 s34, s34, s36
.LBB182_1235:
	s_mov_b32 s36, 0
.LBB182_1236:
	s_delay_alu instid0(SALU_CYCLE_1)
	s_and_b32 vcc_lo, exec_lo, s36
	s_cbranch_vccz .LBB182_1241
; %bb.1237:
	s_and_b32 s35, 0xffff, s35
	s_mov_b32 s36, -1
	s_cmp_gt_i32 s35, 14
	s_cbranch_scc0 .LBB182_1239
; %bb.1238:
	s_cmp_eq_u32 s35, 15
	s_cselect_b32 s30, -1, 0
	s_cmp_lg_u32 s35, 15
	s_cselect_b32 s36, -1, 0
	s_and_not1_b32 s34, s34, exec_lo
	s_and_b32 s37, s36, exec_lo
	s_mov_b32 s36, 0
	s_or_b32 s34, s34, s37
.LBB182_1239:
	s_and_not1_b32 vcc_lo, exec_lo, s36
	s_cbranch_vccnz .LBB182_1241
; %bb.1240:
	s_cmp_lt_i32 s35, 12
	s_cselect_b32 s30, -1, 0
	s_cmp_gt_i32 s35, 11
	s_cselect_b32 s35, -1, 0
	s_and_not1_b32 s34, s34, exec_lo
	s_and_b32 s35, s35, exec_lo
	s_delay_alu instid0(SALU_CYCLE_1)
	s_or_b32 s34, s34, s35
.LBB182_1241:
	s_and_not1_b32 s35, s0, exec_lo
	s_and_b32 s34, s34, exec_lo
	s_and_b32 s30, s30, exec_lo
	s_or_b32 s34, s35, s34
.LBB182_1242:
	s_or_b32 exec_lo, exec_lo, s18
	s_delay_alu instid0(SALU_CYCLE_1)
	s_and_not1_b32 s0, s0, exec_lo
	s_and_b32 s18, s34, exec_lo
	s_and_b32 s34, s30, exec_lo
	s_or_b32 s0, s0, s18
.LBB182_1243:
	s_or_b32 exec_lo, exec_lo, s28
	s_delay_alu instid0(SALU_CYCLE_1)
	s_and_not1_b32 s18, s24, exec_lo
	s_and_b32 s24, s33, exec_lo
	s_and_not1_b32 s26, s26, exec_lo
	s_or_b32 s24, s18, s24
	s_and_not1_b32 s18, s25, exec_lo
	s_and_b32 s25, s31, exec_lo
	s_and_b32 s28, s29, exec_lo
	s_or_b32 s25, s18, s25
	s_and_not1_b32 s18, s23, exec_lo
	s_and_b32 s23, s0, exec_lo
	s_or_b32 s26, s26, s28
	s_and_b32 s0, s34, exec_lo
	s_or_b32 s23, s18, s23
.LBB182_1244:
	s_or_b32 exec_lo, exec_lo, s27
	s_delay_alu instid0(SALU_CYCLE_1)
	s_and_not1_b32 s17, s17, exec_lo
	s_and_b32 s18, s24, exec_lo
	s_and_not1_b32 s20, s20, exec_lo
	s_or_b32 s17, s17, s18
	s_and_not1_b32 s18, s19, exec_lo
	s_and_b32 s19, s25, exec_lo
	s_and_b32 s24, s26, exec_lo
	s_or_b32 s19, s18, s19
	s_and_not1_b32 s18, s21, exec_lo
	s_and_b32 s21, s23, exec_lo
	s_or_b32 s20, s20, s24
	s_and_b32 s23, s0, exec_lo
	s_or_b32 s21, s18, s21
.LBB182_1245:
	s_or_b32 exec_lo, exec_lo, s22
	s_mov_b32 s24, 0
	s_mov_b32 s18, 0
	s_and_saveexec_b32 s0, s21
	s_cbranch_execnz .LBB182_1260
.LBB182_1246:
	s_or_b32 exec_lo, exec_lo, s0
	s_mov_b32 s25, 0
	s_mov_b32 s22, 0
                                        ; implicit-def: $sgpr0
                                        ; implicit-def: $vgpr0_vgpr1
                                        ; implicit-def: $vgpr2
	s_and_saveexec_b32 s21, s23
	s_cbranch_execz .LBB182_1254
; %bb.1247:
	v_mul_lo_u32 v0, v6, s8
	s_and_b32 s0, s13, 0xff
	s_delay_alu instid0(SALU_CYCLE_1) | instskip(NEXT) | instid1(VALU_DEP_1)
	s_cmp_lt_i32 s0, 11
	v_ashrrev_i32_e32 v1, 31, v0
	s_delay_alu instid0(VALU_DEP_1)
	v_add_nc_u64_e32 v[0:1], s[4:5], v[0:1]
	s_cbranch_scc1 .LBB182_1257
; %bb.1248:
	s_and_b32 s22, 0xffff, s0
	s_delay_alu instid0(SALU_CYCLE_1)
	s_cmp_gt_i32 s22, 25
	s_cbranch_scc0 .LBB182_1258
; %bb.1249:
	s_cmp_gt_i32 s22, 28
	s_cbranch_scc0 .LBB182_1259
; %bb.1250:
	;; [unrolled: 3-line block ×4, first 2 shown]
	s_cmp_eq_u32 s22, 46
	s_mov_b32 s26, 0
	s_cbranch_scc0 .LBB182_1263
; %bb.1253:
	s_wait_loadcnt 0x0
	global_load_b32 v2, v[0:1], off
	s_mov_b32 s23, 0
	s_mov_b32 s25, -1
	s_wait_loadcnt 0x0
	v_lshlrev_b32_e32 v2, 16, v2
	s_delay_alu instid0(VALU_DEP_1)
	v_cvt_f16_f32_e32 v2, v2
	s_branch .LBB182_1265
.LBB182_1254:
	s_or_b32 exec_lo, exec_lo, s21
	s_and_saveexec_b32 s21, s20
	s_cbranch_execnz .LBB182_1328
.LBB182_1255:
	s_or_b32 exec_lo, exec_lo, s21
	s_and_saveexec_b32 s20, s24
	s_delay_alu instid0(SALU_CYCLE_1)
	s_xor_b32 s20, exec_lo, s20
	s_cbranch_execz .LBB182_1329
.LBB182_1256:
	s_wait_loadcnt 0x0
	global_load_u8 v2, v[0:1], off
	s_or_b32 s22, s22, exec_lo
	s_wait_loadcnt 0x0
	v_cmp_ne_u16_e32 vcc_lo, 0, v2
	v_cndmask_b32_e64 v2, 0, 0x3c00, vcc_lo
	s_wait_xcnt 0x0
	s_or_b32 exec_lo, exec_lo, s20
	s_and_saveexec_b32 s20, s25
	s_cbranch_execz .LBB182_1375
	s_branch .LBB182_1330
.LBB182_1257:
	s_mov_b32 s26, -1
	s_mov_b32 s23, s20
                                        ; implicit-def: $vgpr2
	s_branch .LBB182_1327
.LBB182_1258:
	s_mov_b32 s23, s20
                                        ; implicit-def: $vgpr2
	s_cbranch_execnz .LBB182_1294
	s_branch .LBB182_1326
.LBB182_1259:
	s_mov_b32 s26, -1
	s_mov_b32 s23, s20
                                        ; implicit-def: $vgpr2
	s_branch .LBB182_1275
.LBB182_1260:
	s_mov_b32 s18, exec_lo
	s_and_not1_b32 s23, s23, exec_lo
	s_trap 2
	s_branch .LBB182_1246
.LBB182_1261:
	s_mov_b32 s26, -1
	s_mov_b32 s23, s20
                                        ; implicit-def: $vgpr2
	s_branch .LBB182_1270
.LBB182_1262:
	s_mov_b32 s26, -1
	s_mov_b32 s23, s20
	s_branch .LBB182_1264
.LBB182_1263:
	s_mov_b32 s23, -1
.LBB182_1264:
                                        ; implicit-def: $vgpr2
.LBB182_1265:
	s_and_b32 vcc_lo, exec_lo, s26
	s_cbranch_vccz .LBB182_1269
; %bb.1266:
	s_cmp_eq_u32 s22, 44
	s_cbranch_scc0 .LBB182_1268
; %bb.1267:
	s_wait_loadcnt 0x0
	global_load_u8 v2, v[0:1], off
	s_mov_b32 s23, 0
	s_mov_b32 s25, -1
	s_wait_loadcnt 0x0
	v_lshlrev_b32_e32 v3, 23, v2
	v_cmp_ne_u32_e32 vcc_lo, 0xff, v2
	s_delay_alu instid0(VALU_DEP_2) | instskip(NEXT) | instid1(VALU_DEP_1)
	v_cvt_f16_f32_e32 v3, v3
	v_cndmask_b32_e32 v3, 0x7e00, v3, vcc_lo
	v_cmp_ne_u32_e32 vcc_lo, 0, v2
	s_delay_alu instid0(VALU_DEP_2)
	v_cndmask_b32_e32 v2, 0, v3, vcc_lo
	s_branch .LBB182_1269
.LBB182_1268:
	s_mov_b32 s23, -1
                                        ; implicit-def: $vgpr2
.LBB182_1269:
	s_mov_b32 s26, 0
.LBB182_1270:
	s_delay_alu instid0(SALU_CYCLE_1)
	s_and_b32 vcc_lo, exec_lo, s26
	s_cbranch_vccz .LBB182_1274
; %bb.1271:
	s_cmp_eq_u32 s22, 29
	s_cbranch_scc0 .LBB182_1273
; %bb.1272:
	s_wait_loadcnt 0x0
	global_load_b64 v[2:3], v[0:1], off
	s_mov_b32 s23, 0
	s_mov_b32 s25, -1
	s_mov_b32 s26, 0
	s_wait_loadcnt 0x0
	v_clz_i32_u32_e32 v4, v3
	s_delay_alu instid0(VALU_DEP_1) | instskip(NEXT) | instid1(VALU_DEP_1)
	v_min_u32_e32 v4, 32, v4
	v_lshlrev_b64_e32 v[2:3], v4, v[2:3]
	s_delay_alu instid0(VALU_DEP_1) | instskip(NEXT) | instid1(VALU_DEP_1)
	v_min_u32_e32 v2, 1, v2
	v_dual_sub_nc_u32 v3, 32, v4 :: v_dual_bitop2_b32 v2, v3, v2 bitop3:0x54
	s_delay_alu instid0(VALU_DEP_1) | instskip(NEXT) | instid1(VALU_DEP_1)
	v_cvt_f32_u32_e32 v2, v2
	v_ldexp_f32 v2, v2, v3
	s_delay_alu instid0(VALU_DEP_1)
	v_cvt_f16_f32_e32 v2, v2
	s_branch .LBB182_1275
.LBB182_1273:
	s_mov_b32 s23, -1
                                        ; implicit-def: $vgpr2
.LBB182_1274:
	s_mov_b32 s26, 0
.LBB182_1275:
	s_delay_alu instid0(SALU_CYCLE_1)
	s_and_b32 vcc_lo, exec_lo, s26
	s_cbranch_vccz .LBB182_1293
; %bb.1276:
	s_cmp_lt_i32 s22, 27
	s_cbranch_scc1 .LBB182_1279
; %bb.1277:
	s_cmp_gt_i32 s22, 27
	s_cbranch_scc0 .LBB182_1280
; %bb.1278:
	s_wait_loadcnt 0x0
	global_load_b32 v2, v[0:1], off
	s_mov_b32 s25, 0
	s_wait_loadcnt 0x0
	v_cvt_f32_u32_e32 v2, v2
	s_delay_alu instid0(VALU_DEP_1)
	v_cvt_f16_f32_e32 v2, v2
	s_branch .LBB182_1281
.LBB182_1279:
	s_mov_b32 s25, -1
                                        ; implicit-def: $vgpr2
	s_branch .LBB182_1284
.LBB182_1280:
	s_mov_b32 s25, -1
                                        ; implicit-def: $vgpr2
.LBB182_1281:
	s_delay_alu instid0(SALU_CYCLE_1)
	s_and_not1_b32 vcc_lo, exec_lo, s25
	s_cbranch_vccnz .LBB182_1283
; %bb.1282:
	s_wait_loadcnt 0x0
	global_load_u16 v2, v[0:1], off
	s_wait_loadcnt 0x0
	v_cvt_f16_u16_e32 v2, v2
.LBB182_1283:
	s_mov_b32 s25, 0
.LBB182_1284:
	s_delay_alu instid0(SALU_CYCLE_1)
	s_and_not1_b32 vcc_lo, exec_lo, s25
	s_cbranch_vccnz .LBB182_1292
; %bb.1285:
	s_wait_loadcnt 0x0
	global_load_u8 v3, v[0:1], off
	s_mov_b32 s25, 0
	s_mov_b32 s26, exec_lo
	s_wait_loadcnt 0x0
	v_cmpx_lt_i16_e32 0x7f, v3
	s_xor_b32 s26, exec_lo, s26
	s_cbranch_execz .LBB182_1305
; %bb.1286:
	s_mov_b32 s25, -1
	s_mov_b32 s27, exec_lo
	v_cmpx_eq_u16_e32 0x80, v3
; %bb.1287:
	s_xor_b32 s25, exec_lo, -1
; %bb.1288:
	s_or_b32 exec_lo, exec_lo, s27
	s_delay_alu instid0(SALU_CYCLE_1)
	s_and_b32 s25, s25, exec_lo
	s_or_saveexec_b32 s26, s26
	v_mov_b32_e32 v2, 0x7e00
	s_xor_b32 exec_lo, exec_lo, s26
	s_cbranch_execnz .LBB182_1306
.LBB182_1289:
	s_or_b32 exec_lo, exec_lo, s26
	s_and_saveexec_b32 s26, s25
	s_cbranch_execz .LBB182_1291
.LBB182_1290:
	v_and_b32_e32 v2, 0xffff, v3
	s_delay_alu instid0(VALU_DEP_1) | instskip(SKIP_1) | instid1(VALU_DEP_2)
	v_and_b32_e32 v4, 7, v2
	v_bfe_u32 v8, v2, 3, 4
	v_clz_i32_u32_e32 v5, v4
	s_delay_alu instid0(VALU_DEP_2) | instskip(NEXT) | instid1(VALU_DEP_2)
	v_cmp_eq_u32_e32 vcc_lo, 0, v8
	v_min_u32_e32 v5, 32, v5
	s_delay_alu instid0(VALU_DEP_1) | instskip(NEXT) | instid1(VALU_DEP_1)
	v_subrev_nc_u32_e32 v7, 28, v5
	v_dual_lshlrev_b32 v2, v7, v2 :: v_dual_sub_nc_u32 v5, 29, v5
	s_delay_alu instid0(VALU_DEP_1) | instskip(NEXT) | instid1(VALU_DEP_2)
	v_dual_lshlrev_b32 v3, 24, v3 :: v_dual_bitop2_b32 v2, 7, v2 bitop3:0x40
	v_cndmask_b32_e32 v5, v8, v5, vcc_lo
	s_delay_alu instid0(VALU_DEP_2) | instskip(NEXT) | instid1(VALU_DEP_3)
	v_cndmask_b32_e32 v2, v4, v2, vcc_lo
	v_and_b32_e32 v3, 0x80000000, v3
	s_delay_alu instid0(VALU_DEP_3) | instskip(NEXT) | instid1(VALU_DEP_3)
	v_lshl_add_u32 v4, v5, 23, 0x3b800000
	v_lshlrev_b32_e32 v2, 20, v2
	s_delay_alu instid0(VALU_DEP_1) | instskip(NEXT) | instid1(VALU_DEP_1)
	v_or3_b32 v2, v3, v4, v2
	v_cvt_f16_f32_e32 v2, v2
.LBB182_1291:
	s_or_b32 exec_lo, exec_lo, s26
.LBB182_1292:
	s_mov_b32 s25, -1
.LBB182_1293:
	s_branch .LBB182_1326
.LBB182_1294:
	s_cmp_gt_i32 s22, 22
	s_cbranch_scc0 .LBB182_1304
; %bb.1295:
	s_cmp_lt_i32 s22, 24
	s_cbranch_scc1 .LBB182_1307
; %bb.1296:
	s_cmp_gt_i32 s22, 24
	s_cbranch_scc0 .LBB182_1308
; %bb.1297:
	s_wait_loadcnt 0x0
	global_load_u8 v3, v[0:1], off
	s_mov_b32 s25, exec_lo
	s_wait_loadcnt 0x0
	v_cmpx_lt_i16_e32 0x7f, v3
	s_xor_b32 s25, exec_lo, s25
	s_cbranch_execz .LBB182_1320
; %bb.1298:
	s_mov_b32 s24, -1
	s_mov_b32 s26, exec_lo
	v_cmpx_eq_u16_e32 0x80, v3
; %bb.1299:
	s_xor_b32 s24, exec_lo, -1
; %bb.1300:
	s_or_b32 exec_lo, exec_lo, s26
	s_delay_alu instid0(SALU_CYCLE_1)
	s_and_b32 s24, s24, exec_lo
	s_or_saveexec_b32 s25, s25
	v_mov_b32_e32 v2, 0x7e00
	s_xor_b32 exec_lo, exec_lo, s25
	s_cbranch_execnz .LBB182_1321
.LBB182_1301:
	s_or_b32 exec_lo, exec_lo, s25
	s_and_saveexec_b32 s25, s24
	s_cbranch_execz .LBB182_1303
.LBB182_1302:
	v_and_b32_e32 v2, 0xffff, v3
	s_delay_alu instid0(VALU_DEP_1) | instskip(SKIP_1) | instid1(VALU_DEP_2)
	v_and_b32_e32 v4, 3, v2
	v_bfe_u32 v8, v2, 2, 5
	v_clz_i32_u32_e32 v5, v4
	s_delay_alu instid0(VALU_DEP_2) | instskip(NEXT) | instid1(VALU_DEP_2)
	v_cmp_eq_u32_e32 vcc_lo, 0, v8
	v_min_u32_e32 v5, 32, v5
	s_delay_alu instid0(VALU_DEP_1) | instskip(NEXT) | instid1(VALU_DEP_1)
	v_subrev_nc_u32_e32 v7, 29, v5
	v_dual_lshlrev_b32 v2, v7, v2 :: v_dual_sub_nc_u32 v5, 30, v5
	s_delay_alu instid0(VALU_DEP_1) | instskip(NEXT) | instid1(VALU_DEP_2)
	v_dual_lshlrev_b32 v3, 24, v3 :: v_dual_bitop2_b32 v2, 3, v2 bitop3:0x40
	v_cndmask_b32_e32 v5, v8, v5, vcc_lo
	s_delay_alu instid0(VALU_DEP_2) | instskip(NEXT) | instid1(VALU_DEP_3)
	v_cndmask_b32_e32 v2, v4, v2, vcc_lo
	v_and_b32_e32 v3, 0x80000000, v3
	s_delay_alu instid0(VALU_DEP_3) | instskip(NEXT) | instid1(VALU_DEP_3)
	v_lshl_add_u32 v4, v5, 23, 0x37800000
	v_lshlrev_b32_e32 v2, 21, v2
	s_delay_alu instid0(VALU_DEP_1) | instskip(NEXT) | instid1(VALU_DEP_1)
	v_or3_b32 v2, v3, v4, v2
	v_cvt_f16_f32_e32 v2, v2
.LBB182_1303:
	s_or_b32 exec_lo, exec_lo, s25
	s_mov_b32 s24, 0
	s_branch .LBB182_1309
.LBB182_1304:
	s_mov_b32 s24, -1
                                        ; implicit-def: $vgpr2
	s_branch .LBB182_1315
.LBB182_1305:
	s_or_saveexec_b32 s26, s26
	v_mov_b32_e32 v2, 0x7e00
	s_xor_b32 exec_lo, exec_lo, s26
	s_cbranch_execz .LBB182_1289
.LBB182_1306:
	v_cmp_ne_u16_e32 vcc_lo, 0, v3
	v_mov_b32_e32 v2, v3
	s_and_not1_b32 s25, s25, exec_lo
	s_and_b32 s27, vcc_lo, exec_lo
	s_delay_alu instid0(SALU_CYCLE_1)
	s_or_b32 s25, s25, s27
	s_or_b32 exec_lo, exec_lo, s26
	s_and_saveexec_b32 s26, s25
	s_cbranch_execnz .LBB182_1290
	s_branch .LBB182_1291
.LBB182_1307:
	s_mov_b32 s24, -1
                                        ; implicit-def: $vgpr2
	s_branch .LBB182_1312
.LBB182_1308:
	s_mov_b32 s24, -1
                                        ; implicit-def: $vgpr2
.LBB182_1309:
	s_delay_alu instid0(SALU_CYCLE_1)
	s_and_b32 vcc_lo, exec_lo, s24
	s_cbranch_vccz .LBB182_1311
; %bb.1310:
	s_wait_loadcnt 0x0
	global_load_u8 v2, v[0:1], off
	s_wait_loadcnt 0x0
	v_lshlrev_b32_e32 v2, 24, v2
	s_delay_alu instid0(VALU_DEP_1) | instskip(NEXT) | instid1(VALU_DEP_1)
	v_and_b32_e32 v3, 0x7f000000, v2
	v_clz_i32_u32_e32 v4, v3
	v_add_nc_u32_e32 v7, 0x1000000, v3
	v_cmp_ne_u32_e32 vcc_lo, 0, v3
	s_delay_alu instid0(VALU_DEP_3) | instskip(NEXT) | instid1(VALU_DEP_1)
	v_min_u32_e32 v4, 32, v4
	v_sub_nc_u32_e64 v4, v4, 4 clamp
	s_delay_alu instid0(VALU_DEP_1) | instskip(NEXT) | instid1(VALU_DEP_1)
	v_dual_lshlrev_b32 v5, v4, v3 :: v_dual_lshlrev_b32 v4, 23, v4
	v_lshrrev_b32_e32 v5, 4, v5
	s_delay_alu instid0(VALU_DEP_1) | instskip(NEXT) | instid1(VALU_DEP_1)
	v_dual_sub_nc_u32 v4, v5, v4 :: v_dual_ashrrev_i32 v5, 8, v7
	v_add_nc_u32_e32 v4, 0x3c000000, v4
	s_delay_alu instid0(VALU_DEP_1) | instskip(NEXT) | instid1(VALU_DEP_1)
	v_and_or_b32 v4, 0x7f800000, v5, v4
	v_cndmask_b32_e32 v3, 0, v4, vcc_lo
	s_delay_alu instid0(VALU_DEP_1) | instskip(NEXT) | instid1(VALU_DEP_1)
	v_and_or_b32 v2, 0x80000000, v2, v3
	v_cvt_f16_f32_e32 v2, v2
.LBB182_1311:
	s_mov_b32 s24, 0
.LBB182_1312:
	s_delay_alu instid0(SALU_CYCLE_1)
	s_and_not1_b32 vcc_lo, exec_lo, s24
	s_cbranch_vccnz .LBB182_1314
; %bb.1313:
	s_wait_loadcnt 0x0
	global_load_u8 v2, v[0:1], off
	s_wait_loadcnt 0x0
	v_lshlrev_b32_e32 v3, 25, v2
	v_lshlrev_b16 v2, 8, v2
	s_delay_alu instid0(VALU_DEP_1) | instskip(SKIP_1) | instid1(VALU_DEP_2)
	v_and_or_b32 v5, 0x7f00, v2, 0.5
	v_bfe_i32 v2, v2, 0, 16
	v_dual_add_f32 v5, -0.5, v5 :: v_dual_lshrrev_b32 v4, 4, v3
	v_cmp_gt_u32_e32 vcc_lo, 0x8000000, v3
	s_delay_alu instid0(VALU_DEP_2) | instskip(NEXT) | instid1(VALU_DEP_1)
	v_or_b32_e32 v4, 0x70000000, v4
	v_mul_f32_e32 v4, 0x7800000, v4
	s_delay_alu instid0(VALU_DEP_1) | instskip(NEXT) | instid1(VALU_DEP_1)
	v_cndmask_b32_e32 v3, v4, v5, vcc_lo
	v_and_or_b32 v2, 0x80000000, v2, v3
	s_delay_alu instid0(VALU_DEP_1)
	v_cvt_f16_f32_e32 v2, v2
.LBB182_1314:
	s_mov_b32 s24, 0
	s_mov_b32 s25, -1
.LBB182_1315:
	s_and_not1_b32 vcc_lo, exec_lo, s24
	s_mov_b32 s24, 0
	s_cbranch_vccnz .LBB182_1326
; %bb.1316:
	s_cmp_gt_i32 s22, 14
	s_cbranch_scc0 .LBB182_1319
; %bb.1317:
	s_cmp_eq_u32 s22, 15
	s_cbranch_scc0 .LBB182_1322
; %bb.1318:
	s_wait_loadcnt 0x0
	global_load_u16 v2, v[0:1], off
	s_mov_b32 s23, 0
	s_mov_b32 s25, -1
	s_wait_loadcnt 0x0
	v_lshlrev_b32_e32 v2, 16, v2
	s_delay_alu instid0(VALU_DEP_1)
	v_cvt_f16_f32_e32 v2, v2
	s_branch .LBB182_1324
.LBB182_1319:
	s_mov_b32 s24, -1
	s_branch .LBB182_1323
.LBB182_1320:
	s_or_saveexec_b32 s25, s25
	v_mov_b32_e32 v2, 0x7e00
	s_xor_b32 exec_lo, exec_lo, s25
	s_cbranch_execz .LBB182_1301
.LBB182_1321:
	v_cmp_ne_u16_e32 vcc_lo, 0, v3
	v_mov_b32_e32 v2, v3
	s_and_not1_b32 s24, s24, exec_lo
	s_and_b32 s26, vcc_lo, exec_lo
	s_delay_alu instid0(SALU_CYCLE_1)
	s_or_b32 s24, s24, s26
	s_or_b32 exec_lo, exec_lo, s25
	s_and_saveexec_b32 s25, s24
	s_cbranch_execnz .LBB182_1302
	s_branch .LBB182_1303
.LBB182_1322:
	s_mov_b32 s23, -1
.LBB182_1323:
                                        ; implicit-def: $vgpr2
.LBB182_1324:
	s_and_b32 vcc_lo, exec_lo, s24
	s_mov_b32 s24, 0
	s_cbranch_vccz .LBB182_1326
; %bb.1325:
	s_cmp_lg_u32 s22, 11
	s_mov_b32 s24, -1
	s_cselect_b32 s22, -1, 0
	s_and_not1_b32 s23, s23, exec_lo
	s_and_b32 s22, s22, exec_lo
	s_delay_alu instid0(SALU_CYCLE_1)
	s_or_b32 s23, s23, s22
.LBB182_1326:
	s_mov_b32 s26, 0
.LBB182_1327:
	s_and_not1_b32 s20, s20, exec_lo
	s_and_b32 s23, s23, exec_lo
	s_and_b32 s22, s25, exec_lo
	;; [unrolled: 1-line block ×4, first 2 shown]
	s_or_b32 s20, s20, s23
	s_wait_xcnt 0x0
	s_or_b32 exec_lo, exec_lo, s21
	s_and_saveexec_b32 s21, s20
	s_cbranch_execz .LBB182_1255
.LBB182_1328:
	s_or_b32 s18, s18, exec_lo
	s_and_not1_b32 s24, s24, exec_lo
	s_trap 2
	s_or_b32 exec_lo, exec_lo, s21
	s_and_saveexec_b32 s20, s24
	s_delay_alu instid0(SALU_CYCLE_1)
	s_xor_b32 s20, exec_lo, s20
	s_cbranch_execnz .LBB182_1256
.LBB182_1329:
	s_or_b32 exec_lo, exec_lo, s20
	s_and_saveexec_b32 s20, s25
	s_cbranch_execz .LBB182_1375
.LBB182_1330:
	s_sext_i32_i16 s21, s0
	s_delay_alu instid0(SALU_CYCLE_1)
	s_cmp_lt_i32 s21, 5
	s_cbranch_scc1 .LBB182_1335
; %bb.1331:
	s_cmp_lt_i32 s21, 8
	s_cbranch_scc1 .LBB182_1336
; %bb.1332:
	;; [unrolled: 3-line block ×3, first 2 shown]
	s_cmp_gt_i32 s21, 9
	s_cbranch_scc0 .LBB182_1338
; %bb.1334:
	s_wait_loadcnt 0x0
	global_load_b64 v[2:3], v[0:1], off
	s_mov_b32 s21, 0
	s_wait_loadcnt 0x0
	v_and_or_b32 v2, 0x1ff, v3, v2
	v_lshrrev_b32_e32 v4, 8, v3
	v_bfe_u32 v5, v3, 20, 11
	v_lshrrev_b32_e32 v3, 16, v3
	s_delay_alu instid0(VALU_DEP_4) | instskip(NEXT) | instid1(VALU_DEP_3)
	v_cmp_ne_u32_e32 vcc_lo, 0, v2
	v_sub_nc_u32_e32 v7, 0x3f1, v5
	v_add_nc_u32_e32 v5, 0xfffffc10, v5
	v_cndmask_b32_e64 v2, 0, 1, vcc_lo
	s_delay_alu instid0(VALU_DEP_1) | instskip(NEXT) | instid1(VALU_DEP_4)
	v_and_or_b32 v2, 0xffe, v4, v2
	v_med3_i32 v4, v7, 0, 13
	s_delay_alu instid0(VALU_DEP_2) | instskip(NEXT) | instid1(VALU_DEP_1)
	v_or_b32_e32 v7, 0x1000, v2
	v_lshrrev_b32_e32 v8, v4, v7
	s_delay_alu instid0(VALU_DEP_1) | instskip(NEXT) | instid1(VALU_DEP_1)
	v_lshlrev_b32_e32 v4, v4, v8
	v_cmp_ne_u32_e32 vcc_lo, v4, v7
	v_lshl_or_b32 v7, v5, 12, v2
	v_cndmask_b32_e64 v4, 0, 1, vcc_lo
	v_cmp_gt_i32_e32 vcc_lo, 1, v5
	s_delay_alu instid0(VALU_DEP_2) | instskip(NEXT) | instid1(VALU_DEP_1)
	v_or_b32_e32 v4, v8, v4
	v_cndmask_b32_e32 v4, v7, v4, vcc_lo
	s_delay_alu instid0(VALU_DEP_1) | instskip(NEXT) | instid1(VALU_DEP_1)
	v_dual_lshrrev_b32 v4, 2, v4 :: v_dual_bitop2_b32 v7, 7, v4 bitop3:0x40
	v_cmp_lt_i32_e32 vcc_lo, 5, v7
	v_cndmask_b32_e64 v8, 0, 1, vcc_lo
	v_cmp_eq_u32_e32 vcc_lo, 3, v7
	v_cndmask_b32_e64 v7, 0, 1, vcc_lo
	v_cmp_ne_u32_e32 vcc_lo, 0, v2
	s_delay_alu instid0(VALU_DEP_2) | instskip(SKIP_1) | instid1(VALU_DEP_2)
	v_or_b32_e32 v7, v7, v8
	v_mov_b32_e32 v8, 0x7e00
	v_add_nc_u32_e32 v4, v4, v7
	s_delay_alu instid0(VALU_DEP_2) | instskip(SKIP_1) | instid1(VALU_DEP_3)
	v_cndmask_b32_e32 v2, 0x7c00, v8, vcc_lo
	v_cmp_gt_i32_e32 vcc_lo, 31, v5
	v_cndmask_b32_e32 v4, 0x7c00, v4, vcc_lo
	v_cmp_eq_u32_e32 vcc_lo, 0x40f, v5
	s_delay_alu instid0(VALU_DEP_2) | instskip(NEXT) | instid1(VALU_DEP_1)
	v_cndmask_b32_e32 v2, v4, v2, vcc_lo
	v_and_or_b32 v2, 0x8000, v3, v2
	s_branch .LBB182_1339
.LBB182_1335:
                                        ; implicit-def: $vgpr2
	s_branch .LBB182_1356
.LBB182_1336:
                                        ; implicit-def: $vgpr2
	s_branch .LBB182_1345
.LBB182_1337:
	s_mov_b32 s21, -1
                                        ; implicit-def: $vgpr2
	s_branch .LBB182_1342
.LBB182_1338:
	s_mov_b32 s21, -1
                                        ; implicit-def: $vgpr2
.LBB182_1339:
	s_delay_alu instid0(SALU_CYCLE_1)
	s_and_not1_b32 vcc_lo, exec_lo, s21
	s_cbranch_vccnz .LBB182_1341
; %bb.1340:
	s_wait_loadcnt 0x0
	global_load_b32 v2, v[0:1], off
	s_wait_loadcnt 0x0
	v_cvt_f16_f32_e32 v2, v2
.LBB182_1341:
	s_mov_b32 s21, 0
.LBB182_1342:
	s_delay_alu instid0(SALU_CYCLE_1)
	s_and_not1_b32 vcc_lo, exec_lo, s21
	s_cbranch_vccnz .LBB182_1344
; %bb.1343:
	s_wait_loadcnt 0x0
	global_load_b32 v2, v[0:1], off
.LBB182_1344:
	s_cbranch_execnz .LBB182_1355
.LBB182_1345:
	s_sext_i32_i16 s21, s0
	s_delay_alu instid0(SALU_CYCLE_1)
	s_cmp_lt_i32 s21, 6
	s_cbranch_scc1 .LBB182_1348
; %bb.1346:
	s_cmp_gt_i32 s21, 6
	s_cbranch_scc0 .LBB182_1349
; %bb.1347:
	s_wait_loadcnt 0x0
	global_load_b64 v[2:3], v[0:1], off
	s_mov_b32 s21, 0
	s_wait_loadcnt 0x0
	v_and_or_b32 v2, 0x1ff, v3, v2
	v_lshrrev_b32_e32 v4, 8, v3
	v_bfe_u32 v5, v3, 20, 11
	v_lshrrev_b32_e32 v3, 16, v3
	s_delay_alu instid0(VALU_DEP_4) | instskip(NEXT) | instid1(VALU_DEP_3)
	v_cmp_ne_u32_e32 vcc_lo, 0, v2
	v_sub_nc_u32_e32 v7, 0x3f1, v5
	v_add_nc_u32_e32 v5, 0xfffffc10, v5
	v_cndmask_b32_e64 v2, 0, 1, vcc_lo
	s_delay_alu instid0(VALU_DEP_1) | instskip(NEXT) | instid1(VALU_DEP_4)
	v_and_or_b32 v2, 0xffe, v4, v2
	v_med3_i32 v4, v7, 0, 13
	s_delay_alu instid0(VALU_DEP_2) | instskip(NEXT) | instid1(VALU_DEP_1)
	v_or_b32_e32 v7, 0x1000, v2
	v_lshrrev_b32_e32 v8, v4, v7
	s_delay_alu instid0(VALU_DEP_1) | instskip(NEXT) | instid1(VALU_DEP_1)
	v_lshlrev_b32_e32 v4, v4, v8
	v_cmp_ne_u32_e32 vcc_lo, v4, v7
	v_lshl_or_b32 v7, v5, 12, v2
	v_cndmask_b32_e64 v4, 0, 1, vcc_lo
	v_cmp_gt_i32_e32 vcc_lo, 1, v5
	s_delay_alu instid0(VALU_DEP_2) | instskip(NEXT) | instid1(VALU_DEP_1)
	v_or_b32_e32 v4, v8, v4
	v_cndmask_b32_e32 v4, v7, v4, vcc_lo
	s_delay_alu instid0(VALU_DEP_1) | instskip(NEXT) | instid1(VALU_DEP_1)
	v_dual_lshrrev_b32 v4, 2, v4 :: v_dual_bitop2_b32 v7, 7, v4 bitop3:0x40
	v_cmp_lt_i32_e32 vcc_lo, 5, v7
	v_cndmask_b32_e64 v8, 0, 1, vcc_lo
	v_cmp_eq_u32_e32 vcc_lo, 3, v7
	v_cndmask_b32_e64 v7, 0, 1, vcc_lo
	v_cmp_ne_u32_e32 vcc_lo, 0, v2
	s_delay_alu instid0(VALU_DEP_2) | instskip(SKIP_1) | instid1(VALU_DEP_2)
	v_or_b32_e32 v7, v7, v8
	v_mov_b32_e32 v8, 0x7e00
	v_add_nc_u32_e32 v4, v4, v7
	s_delay_alu instid0(VALU_DEP_2) | instskip(SKIP_1) | instid1(VALU_DEP_3)
	v_cndmask_b32_e32 v2, 0x7c00, v8, vcc_lo
	v_cmp_gt_i32_e32 vcc_lo, 31, v5
	v_cndmask_b32_e32 v4, 0x7c00, v4, vcc_lo
	v_cmp_eq_u32_e32 vcc_lo, 0x40f, v5
	s_delay_alu instid0(VALU_DEP_2) | instskip(NEXT) | instid1(VALU_DEP_1)
	v_cndmask_b32_e32 v2, v4, v2, vcc_lo
	v_and_or_b32 v2, 0x8000, v3, v2
	s_branch .LBB182_1350
.LBB182_1348:
	s_mov_b32 s21, -1
                                        ; implicit-def: $vgpr2
	s_branch .LBB182_1353
.LBB182_1349:
	s_mov_b32 s21, -1
                                        ; implicit-def: $vgpr2
.LBB182_1350:
	s_delay_alu instid0(SALU_CYCLE_1)
	s_and_not1_b32 vcc_lo, exec_lo, s21
	s_cbranch_vccnz .LBB182_1352
; %bb.1351:
	s_wait_loadcnt 0x0
	global_load_b32 v2, v[0:1], off
	s_wait_loadcnt 0x0
	v_cvt_f16_f32_e32 v2, v2
.LBB182_1352:
	s_mov_b32 s21, 0
.LBB182_1353:
	s_delay_alu instid0(SALU_CYCLE_1)
	s_and_not1_b32 vcc_lo, exec_lo, s21
	s_cbranch_vccnz .LBB182_1355
; %bb.1354:
	s_wait_loadcnt 0x0
	global_load_u16 v2, v[0:1], off
.LBB182_1355:
	s_cbranch_execnz .LBB182_1374
.LBB182_1356:
	s_sext_i32_i16 s21, s0
	s_delay_alu instid0(SALU_CYCLE_1)
	s_cmp_lt_i32 s21, 2
	s_cbranch_scc1 .LBB182_1360
; %bb.1357:
	s_cmp_lt_i32 s21, 3
	s_cbranch_scc1 .LBB182_1361
; %bb.1358:
	s_cmp_gt_i32 s21, 3
	s_cbranch_scc0 .LBB182_1362
; %bb.1359:
	s_wait_loadcnt 0x0
	global_load_b64 v[2:3], v[0:1], off
	s_mov_b32 s21, 0
	s_wait_loadcnt 0x0
	v_xor_b32_e32 v4, v2, v3
	v_cls_i32_e32 v5, v3
	s_delay_alu instid0(VALU_DEP_2) | instskip(NEXT) | instid1(VALU_DEP_1)
	v_ashrrev_i32_e32 v4, 31, v4
	v_add_nc_u32_e32 v4, 32, v4
	s_delay_alu instid0(VALU_DEP_1) | instskip(NEXT) | instid1(VALU_DEP_1)
	v_add_min_u32_e64 v4, v5, -1, v4
	v_lshlrev_b64_e32 v[2:3], v4, v[2:3]
	s_delay_alu instid0(VALU_DEP_1) | instskip(NEXT) | instid1(VALU_DEP_1)
	v_min_u32_e32 v2, 1, v2
	v_dual_sub_nc_u32 v3, 32, v4 :: v_dual_bitop2_b32 v2, v3, v2 bitop3:0x54
	s_delay_alu instid0(VALU_DEP_1) | instskip(NEXT) | instid1(VALU_DEP_1)
	v_cvt_f32_i32_e32 v2, v2
	v_ldexp_f32 v2, v2, v3
	s_delay_alu instid0(VALU_DEP_1)
	v_cvt_f16_f32_e32 v2, v2
	s_branch .LBB182_1363
.LBB182_1360:
                                        ; implicit-def: $vgpr2
	s_branch .LBB182_1369
.LBB182_1361:
	s_mov_b32 s21, -1
                                        ; implicit-def: $vgpr2
	s_branch .LBB182_1366
.LBB182_1362:
	s_mov_b32 s21, -1
                                        ; implicit-def: $vgpr2
.LBB182_1363:
	s_delay_alu instid0(SALU_CYCLE_1)
	s_and_not1_b32 vcc_lo, exec_lo, s21
	s_cbranch_vccnz .LBB182_1365
; %bb.1364:
	s_wait_loadcnt 0x0
	global_load_b32 v2, v[0:1], off
	s_wait_loadcnt 0x0
	v_cvt_f32_i32_e32 v2, v2
	s_delay_alu instid0(VALU_DEP_1)
	v_cvt_f16_f32_e32 v2, v2
.LBB182_1365:
	s_mov_b32 s21, 0
.LBB182_1366:
	s_delay_alu instid0(SALU_CYCLE_1)
	s_and_not1_b32 vcc_lo, exec_lo, s21
	s_cbranch_vccnz .LBB182_1368
; %bb.1367:
	s_wait_loadcnt 0x0
	global_load_u16 v2, v[0:1], off
	s_wait_loadcnt 0x0
	v_cvt_f16_i16_e32 v2, v2
.LBB182_1368:
	s_cbranch_execnz .LBB182_1374
.LBB182_1369:
	s_sext_i32_i16 s0, s0
	s_delay_alu instid0(SALU_CYCLE_1)
	s_cmp_gt_i32 s0, 0
	s_mov_b32 s0, 0
	s_cbranch_scc0 .LBB182_1371
; %bb.1370:
	s_wait_loadcnt 0x0
	global_load_i8 v2, v[0:1], off
	s_wait_loadcnt 0x0
	v_cvt_f16_i16_e32 v2, v2
	s_branch .LBB182_1372
.LBB182_1371:
	s_mov_b32 s0, -1
                                        ; implicit-def: $vgpr2
.LBB182_1372:
	s_delay_alu instid0(SALU_CYCLE_1)
	s_and_not1_b32 vcc_lo, exec_lo, s0
	s_cbranch_vccnz .LBB182_1374
; %bb.1373:
	global_load_u8 v0, v[0:1], off
	s_wait_loadcnt 0x0
	v_cvt_f16_u16_e32 v2, v0
.LBB182_1374:
	s_or_b32 s22, s22, exec_lo
.LBB182_1375:
	s_wait_xcnt 0x0
	s_or_b32 exec_lo, exec_lo, s20
	s_mov_b32 s21, 0
	s_mov_b32 s20, 0
	;; [unrolled: 1-line block ×3, first 2 shown]
                                        ; implicit-def: $vgpr0_vgpr1
                                        ; implicit-def: $vgpr4
	s_and_saveexec_b32 s0, s22
	s_cbranch_execz .LBB182_1383
; %bb.1376:
	v_mul_lo_u32 v0, v6, s9
	s_and_b32 s20, 0xffff, s1
	s_delay_alu instid0(SALU_CYCLE_1) | instskip(NEXT) | instid1(VALU_DEP_1)
	s_cmp_lt_i32 s20, 11
	v_ashrrev_i32_e32 v1, 31, v0
	s_delay_alu instid0(VALU_DEP_1)
	v_add_nc_u64_e32 v[0:1], s[6:7], v[0:1]
	s_cbranch_scc1 .LBB182_1386
; %bb.1377:
	s_cmp_gt_i32 s20, 25
	s_mov_b32 s22, 0
	s_cbranch_scc0 .LBB182_1387
; %bb.1378:
	s_cmp_gt_i32 s20, 28
	s_cbranch_scc0 .LBB182_1388
; %bb.1379:
	s_cmp_gt_i32 s20, 43
	;; [unrolled: 3-line block ×3, first 2 shown]
	s_cbranch_scc0 .LBB182_1390
; %bb.1381:
	s_cmp_eq_u32 s20, 46
	s_mov_b32 s24, 0
	s_cbranch_scc0 .LBB182_1391
; %bb.1382:
	s_wait_loadcnt 0x0
	global_load_b32 v3, v[0:1], off
	s_mov_b32 s23, -1
	s_wait_loadcnt 0x0
	v_lshlrev_b32_e32 v3, 16, v3
	s_delay_alu instid0(VALU_DEP_1)
	v_cvt_f16_f32_e32 v4, v3
	s_branch .LBB182_1393
.LBB182_1383:
	s_or_b32 exec_lo, exec_lo, s0
	s_and_saveexec_b32 s0, s19
	s_cbranch_execnz .LBB182_1456
.LBB182_1384:
	s_or_b32 exec_lo, exec_lo, s0
	s_and_saveexec_b32 s0, s21
	s_delay_alu instid0(SALU_CYCLE_1)
	s_xor_b32 s0, exec_lo, s0
	s_cbranch_execz .LBB182_1457
.LBB182_1385:
	s_wait_loadcnt 0x0
	global_load_u8 v3, v[0:1], off
	s_or_b32 s23, s23, exec_lo
	s_wait_loadcnt 0x0
	v_cmp_ne_u16_e32 vcc_lo, 0, v3
	v_cndmask_b32_e64 v4, 0, 0x3c00, vcc_lo
	s_wait_xcnt 0x0
	s_or_b32 exec_lo, exec_lo, s0
	s_and_saveexec_b32 s0, s20
	s_cbranch_execz .LBB182_1503
	s_branch .LBB182_1458
.LBB182_1386:
	s_mov_b32 s20, -1
	s_mov_b32 s22, 0
	s_mov_b32 s21, s19
                                        ; implicit-def: $vgpr4
	s_branch .LBB182_1455
.LBB182_1387:
	s_mov_b32 s21, s19
                                        ; implicit-def: $vgpr4
	s_cbranch_execnz .LBB182_1422
	s_branch .LBB182_1454
.LBB182_1388:
	s_mov_b32 s24, -1
	s_mov_b32 s21, s19
                                        ; implicit-def: $vgpr4
	s_branch .LBB182_1403
.LBB182_1389:
	s_mov_b32 s24, -1
	s_mov_b32 s21, s19
                                        ; implicit-def: $vgpr4
	s_branch .LBB182_1398
.LBB182_1390:
	s_mov_b32 s24, -1
	s_mov_b32 s21, s19
	s_branch .LBB182_1392
.LBB182_1391:
	s_mov_b32 s21, -1
.LBB182_1392:
                                        ; implicit-def: $vgpr4
.LBB182_1393:
	s_and_b32 vcc_lo, exec_lo, s24
	s_cbranch_vccz .LBB182_1397
; %bb.1394:
	s_cmp_eq_u32 s20, 44
	s_cbranch_scc0 .LBB182_1396
; %bb.1395:
	s_wait_loadcnt 0x0
	global_load_u8 v3, v[0:1], off
	s_mov_b32 s21, 0
	s_mov_b32 s23, -1
	s_wait_loadcnt 0x0
	v_lshlrev_b32_e32 v4, 23, v3
	v_cmp_ne_u32_e32 vcc_lo, 0xff, v3
	s_delay_alu instid0(VALU_DEP_2) | instskip(NEXT) | instid1(VALU_DEP_1)
	v_cvt_f16_f32_e32 v4, v4
	v_cndmask_b32_e32 v4, 0x7e00, v4, vcc_lo
	v_cmp_ne_u32_e32 vcc_lo, 0, v3
	s_delay_alu instid0(VALU_DEP_2)
	v_cndmask_b32_e32 v4, 0, v4, vcc_lo
	s_branch .LBB182_1397
.LBB182_1396:
	s_mov_b32 s21, -1
                                        ; implicit-def: $vgpr4
.LBB182_1397:
	s_mov_b32 s24, 0
.LBB182_1398:
	s_delay_alu instid0(SALU_CYCLE_1)
	s_and_b32 vcc_lo, exec_lo, s24
	s_cbranch_vccz .LBB182_1402
; %bb.1399:
	s_cmp_eq_u32 s20, 29
	s_cbranch_scc0 .LBB182_1401
; %bb.1400:
	global_load_b64 v[4:5], v[0:1], off
	s_mov_b32 s21, 0
	s_mov_b32 s23, -1
	s_mov_b32 s24, 0
	s_wait_loadcnt 0x0
	v_clz_i32_u32_e32 v3, v5
	s_delay_alu instid0(VALU_DEP_1) | instskip(NEXT) | instid1(VALU_DEP_1)
	v_min_u32_e32 v3, 32, v3
	v_lshlrev_b64_e32 v[4:5], v3, v[4:5]
	v_sub_nc_u32_e32 v3, 32, v3
	s_delay_alu instid0(VALU_DEP_2) | instskip(NEXT) | instid1(VALU_DEP_1)
	v_min_u32_e32 v4, 1, v4
	v_or_b32_e32 v4, v5, v4
	s_delay_alu instid0(VALU_DEP_1) | instskip(NEXT) | instid1(VALU_DEP_1)
	v_cvt_f32_u32_e32 v4, v4
	v_ldexp_f32 v3, v4, v3
	s_delay_alu instid0(VALU_DEP_1)
	v_cvt_f16_f32_e32 v4, v3
	s_branch .LBB182_1403
.LBB182_1401:
	s_mov_b32 s21, -1
                                        ; implicit-def: $vgpr4
.LBB182_1402:
	s_mov_b32 s24, 0
.LBB182_1403:
	s_delay_alu instid0(SALU_CYCLE_1)
	s_and_b32 vcc_lo, exec_lo, s24
	s_cbranch_vccz .LBB182_1421
; %bb.1404:
	s_cmp_lt_i32 s20, 27
	s_cbranch_scc1 .LBB182_1407
; %bb.1405:
	s_cmp_gt_i32 s20, 27
	s_cbranch_scc0 .LBB182_1408
; %bb.1406:
	s_wait_loadcnt 0x0
	global_load_b32 v3, v[0:1], off
	s_mov_b32 s23, 0
	s_wait_loadcnt 0x0
	v_cvt_f32_u32_e32 v3, v3
	s_delay_alu instid0(VALU_DEP_1)
	v_cvt_f16_f32_e32 v4, v3
	s_branch .LBB182_1409
.LBB182_1407:
	s_mov_b32 s23, -1
                                        ; implicit-def: $vgpr4
	s_branch .LBB182_1412
.LBB182_1408:
	s_mov_b32 s23, -1
                                        ; implicit-def: $vgpr4
.LBB182_1409:
	s_delay_alu instid0(SALU_CYCLE_1)
	s_and_not1_b32 vcc_lo, exec_lo, s23
	s_cbranch_vccnz .LBB182_1411
; %bb.1410:
	s_wait_loadcnt 0x0
	global_load_u16 v3, v[0:1], off
	s_wait_loadcnt 0x0
	v_cvt_f16_u16_e32 v4, v3
.LBB182_1411:
	s_mov_b32 s23, 0
.LBB182_1412:
	s_delay_alu instid0(SALU_CYCLE_1)
	s_and_not1_b32 vcc_lo, exec_lo, s23
	s_cbranch_vccnz .LBB182_1420
; %bb.1413:
	s_wait_loadcnt 0x0
	global_load_u8 v3, v[0:1], off
	s_mov_b32 s23, 0
	s_mov_b32 s24, exec_lo
	s_wait_loadcnt 0x0
	v_cmpx_lt_i16_e32 0x7f, v3
	s_xor_b32 s24, exec_lo, s24
	s_cbranch_execz .LBB182_1433
; %bb.1414:
	s_mov_b32 s23, -1
	s_mov_b32 s25, exec_lo
	v_cmpx_eq_u16_e32 0x80, v3
; %bb.1415:
	s_xor_b32 s23, exec_lo, -1
; %bb.1416:
	s_or_b32 exec_lo, exec_lo, s25
	s_delay_alu instid0(SALU_CYCLE_1)
	s_and_b32 s23, s23, exec_lo
	s_or_saveexec_b32 s24, s24
	v_mov_b32_e32 v4, 0x7e00
	s_xor_b32 exec_lo, exec_lo, s24
	s_cbranch_execnz .LBB182_1434
.LBB182_1417:
	s_or_b32 exec_lo, exec_lo, s24
	s_and_saveexec_b32 s24, s23
	s_cbranch_execz .LBB182_1419
.LBB182_1418:
	v_and_b32_e32 v4, 0xffff, v3
	s_delay_alu instid0(VALU_DEP_1) | instskip(SKIP_1) | instid1(VALU_DEP_2)
	v_and_b32_e32 v5, 7, v4
	v_bfe_u32 v9, v4, 3, 4
	v_clz_i32_u32_e32 v7, v5
	s_delay_alu instid0(VALU_DEP_2) | instskip(NEXT) | instid1(VALU_DEP_2)
	v_cmp_eq_u32_e32 vcc_lo, 0, v9
	v_min_u32_e32 v7, 32, v7
	s_delay_alu instid0(VALU_DEP_1) | instskip(NEXT) | instid1(VALU_DEP_1)
	v_subrev_nc_u32_e32 v8, 28, v7
	v_dual_lshlrev_b32 v4, v8, v4 :: v_dual_sub_nc_u32 v7, 29, v7
	s_delay_alu instid0(VALU_DEP_1) | instskip(NEXT) | instid1(VALU_DEP_1)
	v_dual_lshlrev_b32 v3, 24, v3 :: v_dual_bitop2_b32 v4, 7, v4 bitop3:0x40
	v_cndmask_b32_e32 v4, v5, v4, vcc_lo
	s_delay_alu instid0(VALU_DEP_3) | instskip(NEXT) | instid1(VALU_DEP_3)
	v_cndmask_b32_e32 v7, v9, v7, vcc_lo
	v_and_b32_e32 v3, 0x80000000, v3
	s_delay_alu instid0(VALU_DEP_3) | instskip(NEXT) | instid1(VALU_DEP_3)
	v_lshlrev_b32_e32 v4, 20, v4
	v_lshl_add_u32 v5, v7, 23, 0x3b800000
	s_delay_alu instid0(VALU_DEP_1) | instskip(NEXT) | instid1(VALU_DEP_1)
	v_or3_b32 v3, v3, v5, v4
	v_cvt_f16_f32_e32 v4, v3
.LBB182_1419:
	s_or_b32 exec_lo, exec_lo, s24
.LBB182_1420:
	s_mov_b32 s23, -1
.LBB182_1421:
	s_branch .LBB182_1454
.LBB182_1422:
	s_cmp_gt_i32 s20, 22
	s_cbranch_scc0 .LBB182_1432
; %bb.1423:
	s_cmp_lt_i32 s20, 24
	s_cbranch_scc1 .LBB182_1435
; %bb.1424:
	s_cmp_gt_i32 s20, 24
	s_cbranch_scc0 .LBB182_1436
; %bb.1425:
	s_wait_loadcnt 0x0
	global_load_u8 v3, v[0:1], off
	s_mov_b32 s23, exec_lo
	s_wait_loadcnt 0x0
	v_cmpx_lt_i16_e32 0x7f, v3
	s_xor_b32 s23, exec_lo, s23
	s_cbranch_execz .LBB182_1448
; %bb.1426:
	s_mov_b32 s22, -1
	s_mov_b32 s24, exec_lo
	v_cmpx_eq_u16_e32 0x80, v3
; %bb.1427:
	s_xor_b32 s22, exec_lo, -1
; %bb.1428:
	s_or_b32 exec_lo, exec_lo, s24
	s_delay_alu instid0(SALU_CYCLE_1)
	s_and_b32 s22, s22, exec_lo
	s_or_saveexec_b32 s23, s23
	v_mov_b32_e32 v4, 0x7e00
	s_xor_b32 exec_lo, exec_lo, s23
	s_cbranch_execnz .LBB182_1449
.LBB182_1429:
	s_or_b32 exec_lo, exec_lo, s23
	s_and_saveexec_b32 s23, s22
	s_cbranch_execz .LBB182_1431
.LBB182_1430:
	v_and_b32_e32 v4, 0xffff, v3
	s_delay_alu instid0(VALU_DEP_1) | instskip(SKIP_1) | instid1(VALU_DEP_2)
	v_and_b32_e32 v5, 3, v4
	v_bfe_u32 v9, v4, 2, 5
	v_clz_i32_u32_e32 v7, v5
	s_delay_alu instid0(VALU_DEP_2) | instskip(NEXT) | instid1(VALU_DEP_2)
	v_cmp_eq_u32_e32 vcc_lo, 0, v9
	v_min_u32_e32 v7, 32, v7
	s_delay_alu instid0(VALU_DEP_1) | instskip(NEXT) | instid1(VALU_DEP_1)
	v_subrev_nc_u32_e32 v8, 29, v7
	v_dual_lshlrev_b32 v4, v8, v4 :: v_dual_sub_nc_u32 v7, 30, v7
	s_delay_alu instid0(VALU_DEP_1) | instskip(NEXT) | instid1(VALU_DEP_1)
	v_dual_lshlrev_b32 v3, 24, v3 :: v_dual_bitop2_b32 v4, 3, v4 bitop3:0x40
	v_cndmask_b32_e32 v4, v5, v4, vcc_lo
	s_delay_alu instid0(VALU_DEP_3) | instskip(NEXT) | instid1(VALU_DEP_3)
	v_cndmask_b32_e32 v7, v9, v7, vcc_lo
	v_and_b32_e32 v3, 0x80000000, v3
	s_delay_alu instid0(VALU_DEP_3) | instskip(NEXT) | instid1(VALU_DEP_3)
	v_lshlrev_b32_e32 v4, 21, v4
	v_lshl_add_u32 v5, v7, 23, 0x37800000
	s_delay_alu instid0(VALU_DEP_1) | instskip(NEXT) | instid1(VALU_DEP_1)
	v_or3_b32 v3, v3, v5, v4
	v_cvt_f16_f32_e32 v4, v3
.LBB182_1431:
	s_or_b32 exec_lo, exec_lo, s23
	s_mov_b32 s22, 0
	s_branch .LBB182_1437
.LBB182_1432:
	s_mov_b32 s22, -1
                                        ; implicit-def: $vgpr4
	s_branch .LBB182_1443
.LBB182_1433:
	s_or_saveexec_b32 s24, s24
	v_mov_b32_e32 v4, 0x7e00
	s_xor_b32 exec_lo, exec_lo, s24
	s_cbranch_execz .LBB182_1417
.LBB182_1434:
	v_cmp_ne_u16_e32 vcc_lo, 0, v3
	v_mov_b32_e32 v4, v3
	s_and_not1_b32 s23, s23, exec_lo
	s_and_b32 s25, vcc_lo, exec_lo
	s_delay_alu instid0(SALU_CYCLE_1)
	s_or_b32 s23, s23, s25
	s_or_b32 exec_lo, exec_lo, s24
	s_and_saveexec_b32 s24, s23
	s_cbranch_execnz .LBB182_1418
	s_branch .LBB182_1419
.LBB182_1435:
	s_mov_b32 s22, -1
                                        ; implicit-def: $vgpr4
	s_branch .LBB182_1440
.LBB182_1436:
	s_mov_b32 s22, -1
                                        ; implicit-def: $vgpr4
.LBB182_1437:
	s_delay_alu instid0(SALU_CYCLE_1)
	s_and_b32 vcc_lo, exec_lo, s22
	s_cbranch_vccz .LBB182_1439
; %bb.1438:
	s_wait_loadcnt 0x0
	global_load_u8 v3, v[0:1], off
	s_wait_loadcnt 0x0
	v_lshlrev_b32_e32 v3, 24, v3
	s_delay_alu instid0(VALU_DEP_1) | instskip(NEXT) | instid1(VALU_DEP_1)
	v_and_b32_e32 v4, 0x7f000000, v3
	v_clz_i32_u32_e32 v5, v4
	v_add_nc_u32_e32 v8, 0x1000000, v4
	v_cmp_ne_u32_e32 vcc_lo, 0, v4
	s_delay_alu instid0(VALU_DEP_3) | instskip(NEXT) | instid1(VALU_DEP_1)
	v_min_u32_e32 v5, 32, v5
	v_sub_nc_u32_e64 v5, v5, 4 clamp
	s_delay_alu instid0(VALU_DEP_1) | instskip(NEXT) | instid1(VALU_DEP_1)
	v_dual_lshlrev_b32 v7, v5, v4 :: v_dual_lshlrev_b32 v5, 23, v5
	v_lshrrev_b32_e32 v7, 4, v7
	s_delay_alu instid0(VALU_DEP_1) | instskip(NEXT) | instid1(VALU_DEP_1)
	v_dual_sub_nc_u32 v5, v7, v5 :: v_dual_ashrrev_i32 v7, 8, v8
	v_add_nc_u32_e32 v5, 0x3c000000, v5
	s_delay_alu instid0(VALU_DEP_1) | instskip(NEXT) | instid1(VALU_DEP_1)
	v_and_or_b32 v5, 0x7f800000, v7, v5
	v_cndmask_b32_e32 v4, 0, v5, vcc_lo
	s_delay_alu instid0(VALU_DEP_1) | instskip(NEXT) | instid1(VALU_DEP_1)
	v_and_or_b32 v3, 0x80000000, v3, v4
	v_cvt_f16_f32_e32 v4, v3
.LBB182_1439:
	s_mov_b32 s22, 0
.LBB182_1440:
	s_delay_alu instid0(SALU_CYCLE_1)
	s_and_not1_b32 vcc_lo, exec_lo, s22
	s_cbranch_vccnz .LBB182_1442
; %bb.1441:
	s_wait_loadcnt 0x0
	global_load_u8 v3, v[0:1], off
	s_wait_loadcnt 0x0
	v_lshlrev_b32_e32 v4, 25, v3
	v_lshlrev_b16 v3, 8, v3
	s_delay_alu instid0(VALU_DEP_1) | instskip(NEXT) | instid1(VALU_DEP_3)
	v_and_or_b32 v7, 0x7f00, v3, 0.5
	v_lshrrev_b32_e32 v5, 4, v4
	v_bfe_i32 v3, v3, 0, 16
	s_delay_alu instid0(VALU_DEP_3) | instskip(NEXT) | instid1(VALU_DEP_3)
	v_add_f32_e32 v7, -0.5, v7
	v_or_b32_e32 v5, 0x70000000, v5
	s_delay_alu instid0(VALU_DEP_1) | instskip(SKIP_1) | instid1(VALU_DEP_2)
	v_mul_f32_e32 v5, 0x7800000, v5
	v_cmp_gt_u32_e32 vcc_lo, 0x8000000, v4
	v_cndmask_b32_e32 v4, v5, v7, vcc_lo
	s_delay_alu instid0(VALU_DEP_1) | instskip(NEXT) | instid1(VALU_DEP_1)
	v_and_or_b32 v3, 0x80000000, v3, v4
	v_cvt_f16_f32_e32 v4, v3
.LBB182_1442:
	s_mov_b32 s22, 0
	s_mov_b32 s23, -1
.LBB182_1443:
	s_and_not1_b32 vcc_lo, exec_lo, s22
	s_mov_b32 s22, 0
	s_cbranch_vccnz .LBB182_1454
; %bb.1444:
	s_cmp_gt_i32 s20, 14
	s_cbranch_scc0 .LBB182_1447
; %bb.1445:
	s_cmp_eq_u32 s20, 15
	s_cbranch_scc0 .LBB182_1450
; %bb.1446:
	s_wait_loadcnt 0x0
	global_load_u16 v3, v[0:1], off
	s_mov_b32 s21, 0
	s_mov_b32 s23, -1
	s_wait_loadcnt 0x0
	v_lshlrev_b32_e32 v3, 16, v3
	s_delay_alu instid0(VALU_DEP_1)
	v_cvt_f16_f32_e32 v4, v3
	s_branch .LBB182_1452
.LBB182_1447:
	s_mov_b32 s22, -1
	s_branch .LBB182_1451
.LBB182_1448:
	s_or_saveexec_b32 s23, s23
	v_mov_b32_e32 v4, 0x7e00
	s_xor_b32 exec_lo, exec_lo, s23
	s_cbranch_execz .LBB182_1429
.LBB182_1449:
	v_cmp_ne_u16_e32 vcc_lo, 0, v3
	v_mov_b32_e32 v4, v3
	s_and_not1_b32 s22, s22, exec_lo
	s_and_b32 s24, vcc_lo, exec_lo
	s_delay_alu instid0(SALU_CYCLE_1)
	s_or_b32 s22, s22, s24
	s_or_b32 exec_lo, exec_lo, s23
	s_and_saveexec_b32 s23, s22
	s_cbranch_execnz .LBB182_1430
	s_branch .LBB182_1431
.LBB182_1450:
	s_mov_b32 s21, -1
.LBB182_1451:
                                        ; implicit-def: $vgpr4
.LBB182_1452:
	s_and_b32 vcc_lo, exec_lo, s22
	s_mov_b32 s22, 0
	s_cbranch_vccz .LBB182_1454
; %bb.1453:
	s_cmp_lg_u32 s20, 11
	s_mov_b32 s22, -1
	s_cselect_b32 s20, -1, 0
	s_and_not1_b32 s21, s21, exec_lo
	s_and_b32 s20, s20, exec_lo
	s_delay_alu instid0(SALU_CYCLE_1)
	s_or_b32 s21, s21, s20
.LBB182_1454:
	s_mov_b32 s20, 0
.LBB182_1455:
	s_and_not1_b32 s19, s19, exec_lo
	s_and_b32 s24, s21, exec_lo
	s_and_b32 s23, s23, exec_lo
	;; [unrolled: 1-line block ×4, first 2 shown]
	s_or_b32 s19, s19, s24
	s_wait_xcnt 0x0
	s_or_b32 exec_lo, exec_lo, s0
	s_and_saveexec_b32 s0, s19
	s_cbranch_execz .LBB182_1384
.LBB182_1456:
	s_or_b32 s18, s18, exec_lo
	s_and_not1_b32 s21, s21, exec_lo
	s_trap 2
	s_or_b32 exec_lo, exec_lo, s0
	s_and_saveexec_b32 s0, s21
	s_delay_alu instid0(SALU_CYCLE_1)
	s_xor_b32 s0, exec_lo, s0
	s_cbranch_execnz .LBB182_1385
.LBB182_1457:
	s_or_b32 exec_lo, exec_lo, s0
	s_and_saveexec_b32 s0, s20
	s_cbranch_execz .LBB182_1503
.LBB182_1458:
	s_sext_i32_i16 s19, s1
	s_delay_alu instid0(SALU_CYCLE_1)
	s_cmp_lt_i32 s19, 5
	s_cbranch_scc1 .LBB182_1463
; %bb.1459:
	s_cmp_lt_i32 s19, 8
	s_cbranch_scc1 .LBB182_1464
; %bb.1460:
	;; [unrolled: 3-line block ×3, first 2 shown]
	s_cmp_gt_i32 s19, 9
	s_cbranch_scc0 .LBB182_1466
; %bb.1462:
	global_load_b64 v[4:5], v[0:1], off
	s_mov_b32 s19, 0
	s_wait_loadcnt 0x0
	v_and_or_b32 v3, 0x1ff, v5, v4
	v_lshrrev_b32_e32 v4, 8, v5
	v_bfe_u32 v7, v5, 20, 11
	s_delay_alu instid0(VALU_DEP_3) | instskip(NEXT) | instid1(VALU_DEP_2)
	v_cmp_ne_u32_e32 vcc_lo, 0, v3
	v_sub_nc_u32_e32 v8, 0x3f1, v7
	v_cndmask_b32_e64 v3, 0, 1, vcc_lo
	s_delay_alu instid0(VALU_DEP_1) | instskip(NEXT) | instid1(VALU_DEP_3)
	v_and_or_b32 v3, 0xffe, v4, v3
	v_med3_i32 v4, v8, 0, 13
	s_delay_alu instid0(VALU_DEP_2) | instskip(NEXT) | instid1(VALU_DEP_1)
	v_or_b32_e32 v8, 0x1000, v3
	v_lshrrev_b32_e32 v9, v4, v8
	s_delay_alu instid0(VALU_DEP_1) | instskip(NEXT) | instid1(VALU_DEP_1)
	v_lshlrev_b32_e32 v4, v4, v9
	v_cmp_ne_u32_e32 vcc_lo, v4, v8
	v_cndmask_b32_e64 v4, 0, 1, vcc_lo
	s_delay_alu instid0(VALU_DEP_1) | instskip(SKIP_1) | instid1(VALU_DEP_1)
	v_or_b32_e32 v4, v9, v4
	v_add_nc_u32_e32 v7, 0xfffffc10, v7
	v_lshl_or_b32 v8, v7, 12, v3
	v_cmp_gt_i32_e32 vcc_lo, 1, v7
	s_delay_alu instid0(VALU_DEP_2) | instskip(NEXT) | instid1(VALU_DEP_1)
	v_cndmask_b32_e32 v4, v8, v4, vcc_lo
	v_dual_lshrrev_b32 v4, 2, v4 :: v_dual_bitop2_b32 v8, 7, v4 bitop3:0x40
	s_delay_alu instid0(VALU_DEP_1) | instskip(SKIP_4) | instid1(VALU_DEP_2)
	v_cmp_lt_i32_e32 vcc_lo, 5, v8
	v_cndmask_b32_e64 v9, 0, 1, vcc_lo
	v_cmp_eq_u32_e32 vcc_lo, 3, v8
	v_cndmask_b32_e64 v8, 0, 1, vcc_lo
	v_cmp_ne_u32_e32 vcc_lo, 0, v3
	v_or_b32_e32 v8, v8, v9
	s_delay_alu instid0(VALU_DEP_1) | instskip(NEXT) | instid1(VALU_DEP_1)
	v_dual_mov_b32 v9, 0x7e00 :: v_dual_add_nc_u32 v4, v4, v8
	v_cndmask_b32_e32 v3, 0x7c00, v9, vcc_lo
	v_cmp_gt_i32_e32 vcc_lo, 31, v7
	s_delay_alu instid0(VALU_DEP_3) | instskip(SKIP_1) | instid1(VALU_DEP_2)
	v_cndmask_b32_e32 v4, 0x7c00, v4, vcc_lo
	v_cmp_eq_u32_e32 vcc_lo, 0x40f, v7
	v_dual_cndmask_b32 v3, v4, v3 :: v_dual_lshrrev_b32 v4, 16, v5
	s_delay_alu instid0(VALU_DEP_1)
	v_and_or_b32 v4, 0x8000, v4, v3
	s_branch .LBB182_1467
.LBB182_1463:
                                        ; implicit-def: $vgpr4
	s_branch .LBB182_1484
.LBB182_1464:
                                        ; implicit-def: $vgpr4
	s_branch .LBB182_1473
.LBB182_1465:
	s_mov_b32 s19, -1
                                        ; implicit-def: $vgpr4
	s_branch .LBB182_1470
.LBB182_1466:
	s_mov_b32 s19, -1
                                        ; implicit-def: $vgpr4
.LBB182_1467:
	s_delay_alu instid0(SALU_CYCLE_1)
	s_and_not1_b32 vcc_lo, exec_lo, s19
	s_cbranch_vccnz .LBB182_1469
; %bb.1468:
	s_wait_loadcnt 0x0
	global_load_b32 v3, v[0:1], off
	s_wait_loadcnt 0x0
	v_cvt_f16_f32_e32 v4, v3
.LBB182_1469:
	s_mov_b32 s19, 0
.LBB182_1470:
	s_delay_alu instid0(SALU_CYCLE_1)
	s_and_not1_b32 vcc_lo, exec_lo, s19
	s_cbranch_vccnz .LBB182_1472
; %bb.1471:
	global_load_b32 v4, v[0:1], off
.LBB182_1472:
	s_cbranch_execnz .LBB182_1483
.LBB182_1473:
	s_sext_i32_i16 s19, s1
	s_delay_alu instid0(SALU_CYCLE_1)
	s_cmp_lt_i32 s19, 6
	s_cbranch_scc1 .LBB182_1476
; %bb.1474:
	s_cmp_gt_i32 s19, 6
	s_cbranch_scc0 .LBB182_1477
; %bb.1475:
	s_wait_loadcnt 0x0
	global_load_b64 v[4:5], v[0:1], off
	s_mov_b32 s19, 0
	s_wait_loadcnt 0x0
	v_and_or_b32 v3, 0x1ff, v5, v4
	v_lshrrev_b32_e32 v4, 8, v5
	v_bfe_u32 v7, v5, 20, 11
	s_delay_alu instid0(VALU_DEP_3) | instskip(NEXT) | instid1(VALU_DEP_2)
	v_cmp_ne_u32_e32 vcc_lo, 0, v3
	v_sub_nc_u32_e32 v8, 0x3f1, v7
	v_cndmask_b32_e64 v3, 0, 1, vcc_lo
	s_delay_alu instid0(VALU_DEP_1) | instskip(NEXT) | instid1(VALU_DEP_3)
	v_and_or_b32 v3, 0xffe, v4, v3
	v_med3_i32 v4, v8, 0, 13
	s_delay_alu instid0(VALU_DEP_2) | instskip(NEXT) | instid1(VALU_DEP_1)
	v_or_b32_e32 v8, 0x1000, v3
	v_lshrrev_b32_e32 v9, v4, v8
	s_delay_alu instid0(VALU_DEP_1) | instskip(NEXT) | instid1(VALU_DEP_1)
	v_lshlrev_b32_e32 v4, v4, v9
	v_cmp_ne_u32_e32 vcc_lo, v4, v8
	v_cndmask_b32_e64 v4, 0, 1, vcc_lo
	s_delay_alu instid0(VALU_DEP_1) | instskip(SKIP_1) | instid1(VALU_DEP_1)
	v_or_b32_e32 v4, v9, v4
	v_add_nc_u32_e32 v7, 0xfffffc10, v7
	v_lshl_or_b32 v8, v7, 12, v3
	v_cmp_gt_i32_e32 vcc_lo, 1, v7
	s_delay_alu instid0(VALU_DEP_2) | instskip(NEXT) | instid1(VALU_DEP_1)
	v_cndmask_b32_e32 v4, v8, v4, vcc_lo
	v_dual_lshrrev_b32 v4, 2, v4 :: v_dual_bitop2_b32 v8, 7, v4 bitop3:0x40
	s_delay_alu instid0(VALU_DEP_1) | instskip(SKIP_4) | instid1(VALU_DEP_2)
	v_cmp_lt_i32_e32 vcc_lo, 5, v8
	v_cndmask_b32_e64 v9, 0, 1, vcc_lo
	v_cmp_eq_u32_e32 vcc_lo, 3, v8
	v_cndmask_b32_e64 v8, 0, 1, vcc_lo
	v_cmp_ne_u32_e32 vcc_lo, 0, v3
	v_or_b32_e32 v8, v8, v9
	s_delay_alu instid0(VALU_DEP_1) | instskip(NEXT) | instid1(VALU_DEP_1)
	v_dual_mov_b32 v9, 0x7e00 :: v_dual_add_nc_u32 v4, v4, v8
	v_cndmask_b32_e32 v3, 0x7c00, v9, vcc_lo
	v_cmp_gt_i32_e32 vcc_lo, 31, v7
	s_delay_alu instid0(VALU_DEP_3) | instskip(SKIP_1) | instid1(VALU_DEP_2)
	v_cndmask_b32_e32 v4, 0x7c00, v4, vcc_lo
	v_cmp_eq_u32_e32 vcc_lo, 0x40f, v7
	v_dual_cndmask_b32 v3, v4, v3 :: v_dual_lshrrev_b32 v4, 16, v5
	s_delay_alu instid0(VALU_DEP_1)
	v_and_or_b32 v4, 0x8000, v4, v3
	s_branch .LBB182_1478
.LBB182_1476:
	s_mov_b32 s19, -1
                                        ; implicit-def: $vgpr4
	s_branch .LBB182_1481
.LBB182_1477:
	s_mov_b32 s19, -1
                                        ; implicit-def: $vgpr4
.LBB182_1478:
	s_delay_alu instid0(SALU_CYCLE_1)
	s_and_not1_b32 vcc_lo, exec_lo, s19
	s_cbranch_vccnz .LBB182_1480
; %bb.1479:
	s_wait_loadcnt 0x0
	global_load_b32 v3, v[0:1], off
	s_wait_loadcnt 0x0
	v_cvt_f16_f32_e32 v4, v3
.LBB182_1480:
	s_mov_b32 s19, 0
.LBB182_1481:
	s_delay_alu instid0(SALU_CYCLE_1)
	s_and_not1_b32 vcc_lo, exec_lo, s19
	s_cbranch_vccnz .LBB182_1483
; %bb.1482:
	s_wait_loadcnt 0x0
	global_load_u16 v4, v[0:1], off
.LBB182_1483:
	s_cbranch_execnz .LBB182_1502
.LBB182_1484:
	s_sext_i32_i16 s19, s1
	s_delay_alu instid0(SALU_CYCLE_1)
	s_cmp_lt_i32 s19, 2
	s_cbranch_scc1 .LBB182_1488
; %bb.1485:
	s_cmp_lt_i32 s19, 3
	s_cbranch_scc1 .LBB182_1489
; %bb.1486:
	s_cmp_gt_i32 s19, 3
	s_cbranch_scc0 .LBB182_1490
; %bb.1487:
	s_wait_loadcnt 0x0
	global_load_b64 v[4:5], v[0:1], off
	s_mov_b32 s19, 0
	s_wait_loadcnt 0x0
	v_xor_b32_e32 v3, v4, v5
	v_cls_i32_e32 v7, v5
	s_delay_alu instid0(VALU_DEP_2) | instskip(NEXT) | instid1(VALU_DEP_1)
	v_ashrrev_i32_e32 v3, 31, v3
	v_add_nc_u32_e32 v3, 32, v3
	s_delay_alu instid0(VALU_DEP_1) | instskip(NEXT) | instid1(VALU_DEP_1)
	v_add_min_u32_e64 v3, v7, -1, v3
	v_lshlrev_b64_e32 v[4:5], v3, v[4:5]
	v_sub_nc_u32_e32 v3, 32, v3
	s_delay_alu instid0(VALU_DEP_2) | instskip(NEXT) | instid1(VALU_DEP_1)
	v_min_u32_e32 v4, 1, v4
	v_or_b32_e32 v4, v5, v4
	s_delay_alu instid0(VALU_DEP_1) | instskip(NEXT) | instid1(VALU_DEP_1)
	v_cvt_f32_i32_e32 v4, v4
	v_ldexp_f32 v3, v4, v3
	s_delay_alu instid0(VALU_DEP_1)
	v_cvt_f16_f32_e32 v4, v3
	s_branch .LBB182_1491
.LBB182_1488:
                                        ; implicit-def: $vgpr4
	s_branch .LBB182_1497
.LBB182_1489:
	s_mov_b32 s19, -1
                                        ; implicit-def: $vgpr4
	s_branch .LBB182_1494
.LBB182_1490:
	s_mov_b32 s19, -1
                                        ; implicit-def: $vgpr4
.LBB182_1491:
	s_delay_alu instid0(SALU_CYCLE_1)
	s_and_not1_b32 vcc_lo, exec_lo, s19
	s_cbranch_vccnz .LBB182_1493
; %bb.1492:
	s_wait_loadcnt 0x0
	global_load_b32 v3, v[0:1], off
	s_wait_loadcnt 0x0
	v_cvt_f32_i32_e32 v3, v3
	s_delay_alu instid0(VALU_DEP_1)
	v_cvt_f16_f32_e32 v4, v3
.LBB182_1493:
	s_mov_b32 s19, 0
.LBB182_1494:
	s_delay_alu instid0(SALU_CYCLE_1)
	s_and_not1_b32 vcc_lo, exec_lo, s19
	s_cbranch_vccnz .LBB182_1496
; %bb.1495:
	s_wait_loadcnt 0x0
	global_load_u16 v3, v[0:1], off
	s_wait_loadcnt 0x0
	v_cvt_f16_i16_e32 v4, v3
.LBB182_1496:
	s_cbranch_execnz .LBB182_1502
.LBB182_1497:
	s_sext_i32_i16 s19, s1
	s_delay_alu instid0(SALU_CYCLE_1)
	s_cmp_gt_i32 s19, 0
	s_mov_b32 s19, 0
	s_cbranch_scc0 .LBB182_1499
; %bb.1498:
	s_wait_loadcnt 0x0
	global_load_i8 v3, v[0:1], off
	s_wait_loadcnt 0x0
	v_cvt_f16_i16_e32 v4, v3
	s_branch .LBB182_1500
.LBB182_1499:
	s_mov_b32 s19, -1
                                        ; implicit-def: $vgpr4
.LBB182_1500:
	s_delay_alu instid0(SALU_CYCLE_1)
	s_and_not1_b32 vcc_lo, exec_lo, s19
	s_cbranch_vccnz .LBB182_1502
; %bb.1501:
	global_load_u8 v0, v[0:1], off
	s_wait_loadcnt 0x0
	v_cvt_f16_u16_e32 v4, v0
.LBB182_1502:
	s_or_b32 s23, s23, exec_lo
.LBB182_1503:
	s_wait_xcnt 0x0
	s_or_b32 exec_lo, exec_lo, s0
	s_mov_b32 s0, 0
	s_mov_b32 s21, 0
                                        ; implicit-def: $sgpr19
                                        ; implicit-def: $vgpr0_vgpr1
                                        ; implicit-def: $vgpr3
	s_and_saveexec_b32 s20, s23
	s_cbranch_execz .LBB182_1511
; %bb.1504:
	v_mul_lo_u32 v0, v6, s11
	s_wait_loadcnt 0x0
	v_mul_f16_e32 v2, s10, v2
	s_and_b32 s19, s12, 0xff
	s_delay_alu instid0(SALU_CYCLE_1) | instskip(NEXT) | instid1(VALU_DEP_1)
	s_cmp_lt_i32 s19, 11
	v_mul_f16_e32 v3, v2, v4
	s_delay_alu instid0(VALU_DEP_3) | instskip(NEXT) | instid1(VALU_DEP_1)
	v_ashrrev_i32_e32 v1, 31, v0
	v_add_nc_u64_e32 v[0:1], s[2:3], v[0:1]
	s_cbranch_scc1 .LBB182_1514
; %bb.1505:
	s_and_b32 s21, 0xffff, s19
	s_mov_b32 s22, -1
	s_cmp_gt_i32 s21, 25
	s_mov_b32 s0, s17
	s_cbranch_scc0 .LBB182_1542
; %bb.1506:
	s_cmp_gt_i32 s21, 28
	s_mov_b32 s0, s17
	s_cbranch_scc0 .LBB182_1526
; %bb.1507:
	;; [unrolled: 4-line block ×4, first 2 shown]
	s_cmp_eq_u32 s21, 46
	s_mov_b32 s0, -1
	s_cbranch_scc0 .LBB182_1515
; %bb.1510:
	v_cvt_f32_f16_e32 v2, v3
	v_cmp_o_f16_e32 vcc_lo, v3, v3
	s_mov_b32 s0, 0
	s_mov_b32 s22, 0
	s_delay_alu instid0(VALU_DEP_2) | instskip(NEXT) | instid1(VALU_DEP_1)
	v_bfe_u32 v4, v2, 16, 1
	v_add3_u32 v2, v2, v4, 0x7fff
	s_delay_alu instid0(VALU_DEP_1) | instskip(NEXT) | instid1(VALU_DEP_1)
	v_lshrrev_b32_e32 v2, 16, v2
	v_cndmask_b32_e32 v2, 0x7fc0, v2, vcc_lo
	global_store_b32 v[0:1], v2, off
	s_branch .LBB182_1516
.LBB182_1511:
	s_or_b32 exec_lo, exec_lo, s20
	s_and_saveexec_b32 s20, s17
	s_cbranch_execnz .LBB182_1584
.LBB182_1512:
	s_or_b32 exec_lo, exec_lo, s20
	s_and_saveexec_b32 s17, s0
	s_delay_alu instid0(SALU_CYCLE_1)
	s_xor_b32 s0, exec_lo, s17
	s_cbranch_execz .LBB182_1585
.LBB182_1513:
	s_wait_loadcnt 0x0
	v_cmp_neq_f16_e32 vcc_lo, 0, v3
	v_cndmask_b32_e64 v2, 0, 1, vcc_lo
	global_store_b8 v[0:1], v2, off
	s_wait_xcnt 0x0
	s_or_b32 exec_lo, exec_lo, s0
	s_and_saveexec_b32 s0, s21
	s_delay_alu instid0(SALU_CYCLE_1)
	s_xor_b32 s0, exec_lo, s0
	s_cbranch_execz .LBB182_1623
	s_branch .LBB182_1586
.LBB182_1514:
	s_mov_b32 s23, 0
	s_mov_b32 s22, -1
	s_mov_b32 s0, s17
	s_branch .LBB182_1583
.LBB182_1515:
	s_mov_b32 s22, 0
.LBB182_1516:
	s_delay_alu instid0(SALU_CYCLE_1)
	s_and_b32 vcc_lo, exec_lo, s22
	s_cbranch_vccz .LBB182_1521
; %bb.1517:
	s_cmp_eq_u32 s21, 44
	s_mov_b32 s0, -1
	s_cbranch_scc0 .LBB182_1521
; %bb.1518:
	s_wait_xcnt 0x0
	v_cvt_f32_f16_e32 v2, v3
	v_mov_b32_e32 v4, 0xff
	s_mov_b32 s22, exec_lo
	s_delay_alu instid0(VALU_DEP_2) | instskip(NEXT) | instid1(VALU_DEP_1)
	v_bfe_u32 v5, v2, 23, 8
	v_cmpx_ne_u32_e32 0xff, v5
	s_cbranch_execz .LBB182_1520
; %bb.1519:
	v_and_b32_e32 v4, 0x400000, v2
	v_and_or_b32 v5, 0x3fffff, v2, v5
	v_lshrrev_b32_e32 v2, 23, v2
	s_delay_alu instid0(VALU_DEP_3) | instskip(NEXT) | instid1(VALU_DEP_3)
	v_cmp_ne_u32_e32 vcc_lo, 0, v4
	v_cmp_ne_u32_e64 s0, 0, v5
	s_and_b32 s0, vcc_lo, s0
	s_delay_alu instid0(SALU_CYCLE_1) | instskip(NEXT) | instid1(VALU_DEP_1)
	v_cndmask_b32_e64 v4, 0, 1, s0
	v_add_nc_u32_e32 v4, v2, v4
.LBB182_1520:
	s_or_b32 exec_lo, exec_lo, s22
	s_mov_b32 s0, 0
	global_store_b8 v[0:1], v4, off
.LBB182_1521:
	s_mov_b32 s22, 0
.LBB182_1522:
	s_delay_alu instid0(SALU_CYCLE_1)
	s_and_b32 vcc_lo, exec_lo, s22
	s_cbranch_vccz .LBB182_1525
; %bb.1523:
	s_cmp_eq_u32 s21, 29
	s_mov_b32 s0, -1
	s_cbranch_scc0 .LBB182_1525
; %bb.1524:
	s_wait_xcnt 0x0
	v_cvt_f32_f16_e32 v2, v3
	v_mov_b32_e32 v5, 0
	s_mov_b32 s0, 0
	s_mov_b32 s22, 0
	s_delay_alu instid0(VALU_DEP_2)
	v_cvt_u32_f32_e32 v4, v2
	global_store_b64 v[0:1], v[4:5], off
	s_branch .LBB182_1526
.LBB182_1525:
	s_mov_b32 s22, 0
.LBB182_1526:
	s_delay_alu instid0(SALU_CYCLE_1)
	s_and_b32 vcc_lo, exec_lo, s22
	s_cbranch_vccz .LBB182_1541
; %bb.1527:
	s_cmp_lt_i32 s21, 27
	s_mov_b32 s22, -1
	s_cbranch_scc1 .LBB182_1533
; %bb.1528:
	s_cmp_gt_i32 s21, 27
	s_cbranch_scc0 .LBB182_1530
; %bb.1529:
	s_wait_xcnt 0x0
	v_cvt_f32_f16_e32 v2, v3
	s_mov_b32 s22, 0
	s_delay_alu instid0(VALU_DEP_1)
	v_cvt_u32_f32_e32 v2, v2
	global_store_b32 v[0:1], v2, off
.LBB182_1530:
	s_and_not1_b32 vcc_lo, exec_lo, s22
	s_cbranch_vccnz .LBB182_1532
; %bb.1531:
	s_wait_xcnt 0x0
	v_cvt_u16_f16_e32 v2, v3
	global_store_b16 v[0:1], v2, off
.LBB182_1532:
	s_mov_b32 s22, 0
.LBB182_1533:
	s_delay_alu instid0(SALU_CYCLE_1)
	s_and_not1_b32 vcc_lo, exec_lo, s22
	s_cbranch_vccnz .LBB182_1541
; %bb.1534:
	s_wait_xcnt 0x0
	v_cvt_f32_f16_e32 v2, v3
	v_mov_b32_e32 v5, 0x80
	s_mov_b32 s22, exec_lo
	s_delay_alu instid0(VALU_DEP_2) | instskip(NEXT) | instid1(VALU_DEP_1)
	v_and_b32_e32 v4, 0x7fffffff, v2
	v_cmpx_gt_u32_e32 0x43800000, v4
	s_cbranch_execz .LBB182_1540
; %bb.1535:
	v_cmp_lt_u32_e32 vcc_lo, 0x3bffffff, v4
	s_mov_b32 s23, 0
                                        ; implicit-def: $vgpr4
	s_and_saveexec_b32 s24, vcc_lo
	s_delay_alu instid0(SALU_CYCLE_1)
	s_xor_b32 s24, exec_lo, s24
	s_cbranch_execz .LBB182_1655
; %bb.1536:
	v_bfe_u32 v4, v2, 20, 1
	s_mov_b32 s23, exec_lo
	s_delay_alu instid0(VALU_DEP_1) | instskip(NEXT) | instid1(VALU_DEP_1)
	v_add3_u32 v4, v2, v4, 0x487ffff
	v_lshrrev_b32_e32 v4, 20, v4
	s_and_not1_saveexec_b32 s24, s24
	s_cbranch_execnz .LBB182_1656
.LBB182_1537:
	s_or_b32 exec_lo, exec_lo, s24
	v_mov_b32_e32 v5, 0
	s_and_saveexec_b32 s24, s23
.LBB182_1538:
	v_lshrrev_b32_e32 v2, 24, v2
	s_delay_alu instid0(VALU_DEP_1)
	v_and_or_b32 v5, 0x80, v2, v4
.LBB182_1539:
	s_or_b32 exec_lo, exec_lo, s24
.LBB182_1540:
	s_delay_alu instid0(SALU_CYCLE_1)
	s_or_b32 exec_lo, exec_lo, s22
	global_store_b8 v[0:1], v5, off
.LBB182_1541:
	s_mov_b32 s22, 0
.LBB182_1542:
	s_delay_alu instid0(SALU_CYCLE_1)
	s_and_b32 vcc_lo, exec_lo, s22
	s_mov_b32 s22, 0
	s_cbranch_vccz .LBB182_1582
; %bb.1543:
	s_cmp_gt_i32 s21, 22
	s_mov_b32 s23, -1
	s_cbranch_scc0 .LBB182_1575
; %bb.1544:
	s_cmp_lt_i32 s21, 24
	s_cbranch_scc1 .LBB182_1564
; %bb.1545:
	s_cmp_gt_i32 s21, 24
	s_cbranch_scc0 .LBB182_1553
; %bb.1546:
	s_wait_xcnt 0x0
	v_cvt_f32_f16_e32 v2, v3
	v_mov_b32_e32 v5, 0x80
	s_mov_b32 s23, exec_lo
	s_delay_alu instid0(VALU_DEP_2) | instskip(NEXT) | instid1(VALU_DEP_1)
	v_and_b32_e32 v4, 0x7fffffff, v2
	v_cmpx_gt_u32_e32 0x47800000, v4
	s_cbranch_execz .LBB182_1552
; %bb.1547:
	v_cmp_lt_u32_e32 vcc_lo, 0x37ffffff, v4
	s_mov_b32 s24, 0
                                        ; implicit-def: $vgpr4
	s_and_saveexec_b32 s25, vcc_lo
	s_delay_alu instid0(SALU_CYCLE_1)
	s_xor_b32 s25, exec_lo, s25
	s_cbranch_execz .LBB182_1658
; %bb.1548:
	v_bfe_u32 v4, v2, 21, 1
	s_mov_b32 s24, exec_lo
	s_delay_alu instid0(VALU_DEP_1) | instskip(NEXT) | instid1(VALU_DEP_1)
	v_add3_u32 v4, v2, v4, 0x88fffff
	v_lshrrev_b32_e32 v4, 21, v4
	s_and_not1_saveexec_b32 s25, s25
	s_cbranch_execnz .LBB182_1659
.LBB182_1549:
	s_or_b32 exec_lo, exec_lo, s25
	v_mov_b32_e32 v5, 0
	s_and_saveexec_b32 s25, s24
.LBB182_1550:
	v_lshrrev_b32_e32 v2, 24, v2
	s_delay_alu instid0(VALU_DEP_1)
	v_and_or_b32 v5, 0x80, v2, v4
.LBB182_1551:
	s_or_b32 exec_lo, exec_lo, s25
.LBB182_1552:
	s_delay_alu instid0(SALU_CYCLE_1)
	s_or_b32 exec_lo, exec_lo, s23
	s_mov_b32 s23, 0
	global_store_b8 v[0:1], v5, off
.LBB182_1553:
	s_and_b32 vcc_lo, exec_lo, s23
	s_cbranch_vccz .LBB182_1563
; %bb.1554:
	s_wait_xcnt 0x0
	v_cvt_f32_f16_e32 v2, v3
	s_mov_b32 s23, exec_lo
                                        ; implicit-def: $vgpr4
	s_delay_alu instid0(VALU_DEP_1) | instskip(NEXT) | instid1(VALU_DEP_1)
	v_and_b32_e32 v5, 0x7fffffff, v2
	v_cmpx_gt_u32_e32 0x43f00000, v5
	s_xor_b32 s23, exec_lo, s23
	s_cbranch_execz .LBB182_1560
; %bb.1555:
	s_mov_b32 s24, exec_lo
                                        ; implicit-def: $vgpr4
	v_cmpx_lt_u32_e32 0x3c7fffff, v5
	s_xor_b32 s24, exec_lo, s24
; %bb.1556:
	v_bfe_u32 v4, v2, 20, 1
	s_delay_alu instid0(VALU_DEP_1) | instskip(NEXT) | instid1(VALU_DEP_1)
	v_add3_u32 v4, v2, v4, 0x407ffff
	v_and_b32_e32 v5, 0xff00000, v4
	v_lshrrev_b32_e32 v4, 20, v4
	s_delay_alu instid0(VALU_DEP_2) | instskip(NEXT) | instid1(VALU_DEP_2)
	v_cmp_ne_u32_e32 vcc_lo, 0x7f00000, v5
	v_cndmask_b32_e32 v4, 0x7e, v4, vcc_lo
; %bb.1557:
	s_and_not1_saveexec_b32 s24, s24
; %bb.1558:
	v_add_f32_e64 v4, 0x46800000, |v2|
; %bb.1559:
	s_or_b32 exec_lo, exec_lo, s24
                                        ; implicit-def: $vgpr5
.LBB182_1560:
	s_and_not1_saveexec_b32 s23, s23
; %bb.1561:
	v_mov_b32_e32 v4, 0x7f
	v_cmp_lt_u32_e32 vcc_lo, 0x7f800000, v5
	s_delay_alu instid0(VALU_DEP_2)
	v_cndmask_b32_e32 v4, 0x7e, v4, vcc_lo
; %bb.1562:
	s_or_b32 exec_lo, exec_lo, s23
	v_lshrrev_b32_e32 v2, 24, v2
	s_delay_alu instid0(VALU_DEP_1)
	v_and_or_b32 v2, 0x80, v2, v4
	global_store_b8 v[0:1], v2, off
.LBB182_1563:
	s_mov_b32 s23, 0
.LBB182_1564:
	s_delay_alu instid0(SALU_CYCLE_1)
	s_and_not1_b32 vcc_lo, exec_lo, s23
	s_cbranch_vccnz .LBB182_1574
; %bb.1565:
	s_wait_xcnt 0x0
	v_cvt_f32_f16_e32 v2, v3
	s_mov_b32 s23, exec_lo
                                        ; implicit-def: $vgpr4
	s_delay_alu instid0(VALU_DEP_1) | instskip(NEXT) | instid1(VALU_DEP_1)
	v_and_b32_e32 v5, 0x7fffffff, v2
	v_cmpx_gt_u32_e32 0x47800000, v5
	s_xor_b32 s23, exec_lo, s23
	s_cbranch_execz .LBB182_1571
; %bb.1566:
	s_mov_b32 s24, exec_lo
                                        ; implicit-def: $vgpr4
	v_cmpx_lt_u32_e32 0x387fffff, v5
	s_xor_b32 s24, exec_lo, s24
; %bb.1567:
	v_bfe_u32 v4, v2, 21, 1
	s_delay_alu instid0(VALU_DEP_1) | instskip(NEXT) | instid1(VALU_DEP_1)
	v_add3_u32 v4, v2, v4, 0x80fffff
	v_lshrrev_b32_e32 v4, 21, v4
; %bb.1568:
	s_and_not1_saveexec_b32 s24, s24
; %bb.1569:
	v_add_f32_e64 v4, 0x43000000, |v2|
; %bb.1570:
	s_or_b32 exec_lo, exec_lo, s24
                                        ; implicit-def: $vgpr5
.LBB182_1571:
	s_and_not1_saveexec_b32 s23, s23
; %bb.1572:
	v_mov_b32_e32 v4, 0x7f
	v_cmp_lt_u32_e32 vcc_lo, 0x7f800000, v5
	s_delay_alu instid0(VALU_DEP_2)
	v_cndmask_b32_e32 v4, 0x7c, v4, vcc_lo
; %bb.1573:
	s_or_b32 exec_lo, exec_lo, s23
	v_lshrrev_b32_e32 v2, 24, v2
	s_delay_alu instid0(VALU_DEP_1)
	v_and_or_b32 v2, 0x80, v2, v4
	global_store_b8 v[0:1], v2, off
.LBB182_1574:
	s_mov_b32 s23, 0
.LBB182_1575:
	s_delay_alu instid0(SALU_CYCLE_1)
	s_and_not1_b32 vcc_lo, exec_lo, s23
	s_mov_b32 s23, 0
	s_cbranch_vccnz .LBB182_1583
; %bb.1576:
	s_cmp_gt_i32 s21, 14
	s_mov_b32 s23, -1
	s_cbranch_scc0 .LBB182_1580
; %bb.1577:
	s_cmp_eq_u32 s21, 15
	s_mov_b32 s0, -1
	s_cbranch_scc0 .LBB182_1579
; %bb.1578:
	s_wait_xcnt 0x0
	v_cvt_f32_f16_e32 v2, v3
	v_cmp_o_f16_e32 vcc_lo, v3, v3
	s_mov_b32 s0, 0
	s_delay_alu instid0(VALU_DEP_2) | instskip(NEXT) | instid1(VALU_DEP_1)
	v_bfe_u32 v4, v2, 16, 1
	v_add3_u32 v2, v2, v4, 0x7fff
	s_delay_alu instid0(VALU_DEP_1) | instskip(NEXT) | instid1(VALU_DEP_1)
	v_lshrrev_b32_e32 v2, 16, v2
	v_cndmask_b32_e32 v2, 0x7fc0, v2, vcc_lo
	global_store_b16 v[0:1], v2, off
.LBB182_1579:
	s_mov_b32 s23, 0
.LBB182_1580:
	s_delay_alu instid0(SALU_CYCLE_1)
	s_and_b32 vcc_lo, exec_lo, s23
	s_mov_b32 s23, 0
	s_cbranch_vccz .LBB182_1583
; %bb.1581:
	s_cmp_lg_u32 s21, 11
	s_mov_b32 s23, -1
	s_cselect_b32 s21, -1, 0
	s_and_not1_b32 s0, s0, exec_lo
	s_and_b32 s21, s21, exec_lo
	s_delay_alu instid0(SALU_CYCLE_1)
	s_or_b32 s0, s0, s21
	s_branch .LBB182_1583
.LBB182_1582:
	s_mov_b32 s23, 0
.LBB182_1583:
	s_and_b32 s21, s22, exec_lo
	s_and_not1_b32 s17, s17, exec_lo
	s_and_b32 s22, s0, exec_lo
	s_and_b32 s0, s23, exec_lo
	s_or_b32 s17, s17, s22
	s_wait_xcnt 0x0
	s_or_b32 exec_lo, exec_lo, s20
	s_and_saveexec_b32 s20, s17
	s_cbranch_execz .LBB182_1512
.LBB182_1584:
	s_or_b32 s18, s18, exec_lo
	s_and_not1_b32 s0, s0, exec_lo
	s_trap 2
	s_or_b32 exec_lo, exec_lo, s20
	s_and_saveexec_b32 s17, s0
	s_delay_alu instid0(SALU_CYCLE_1)
	s_xor_b32 s0, exec_lo, s17
	s_cbranch_execnz .LBB182_1513
.LBB182_1585:
	s_or_b32 exec_lo, exec_lo, s0
	s_and_saveexec_b32 s0, s21
	s_delay_alu instid0(SALU_CYCLE_1)
	s_xor_b32 s0, exec_lo, s0
	s_cbranch_execz .LBB182_1623
.LBB182_1586:
	s_sext_i32_i16 s20, s19
	s_mov_b32 s17, -1
	s_cmp_lt_i32 s20, 5
	s_cbranch_scc1 .LBB182_1607
; %bb.1587:
	s_cmp_lt_i32 s20, 8
	s_cbranch_scc1 .LBB182_1597
; %bb.1588:
	;; [unrolled: 3-line block ×3, first 2 shown]
	s_cmp_gt_i32 s20, 9
	s_cbranch_scc0 .LBB182_1591
; %bb.1590:
	s_wait_loadcnt 0x0
	v_cvt_f32_f16_e32 v2, v3
	v_mov_b32_e32 v6, 0
	s_mov_b32 s17, 0
	s_delay_alu instid0(VALU_DEP_2) | instskip(NEXT) | instid1(VALU_DEP_2)
	v_cvt_f64_f32_e32 v[4:5], v2
	v_mov_b32_e32 v7, v6
	global_store_b128 v[0:1], v[4:7], off
.LBB182_1591:
	s_and_not1_b32 vcc_lo, exec_lo, s17
	s_cbranch_vccnz .LBB182_1593
; %bb.1592:
	s_wait_loadcnt 0x0
	v_cvt_f32_f16_e32 v4, v3
	v_mov_b32_e32 v5, 0
	global_store_b64 v[0:1], v[4:5], off
.LBB182_1593:
	s_mov_b32 s17, 0
.LBB182_1594:
	s_delay_alu instid0(SALU_CYCLE_1)
	s_and_not1_b32 vcc_lo, exec_lo, s17
	s_cbranch_vccnz .LBB182_1596
; %bb.1595:
	s_wait_loadcnt 0x0
	v_and_b32_e32 v2, 0xffff, v3
	global_store_b32 v[0:1], v2, off
.LBB182_1596:
	s_mov_b32 s17, 0
.LBB182_1597:
	s_delay_alu instid0(SALU_CYCLE_1)
	s_and_not1_b32 vcc_lo, exec_lo, s17
	s_cbranch_vccnz .LBB182_1606
; %bb.1598:
	s_sext_i32_i16 s20, s19
	s_mov_b32 s17, -1
	s_cmp_lt_i32 s20, 6
	s_cbranch_scc1 .LBB182_1604
; %bb.1599:
	s_cmp_gt_i32 s20, 6
	s_cbranch_scc0 .LBB182_1601
; %bb.1600:
	s_wait_loadcnt 0x0
	v_cvt_f32_f16_e32 v2, v3
	s_mov_b32 s17, 0
	s_delay_alu instid0(VALU_DEP_1)
	v_cvt_f64_f32_e32 v[4:5], v2
	global_store_b64 v[0:1], v[4:5], off
.LBB182_1601:
	s_and_not1_b32 vcc_lo, exec_lo, s17
	s_cbranch_vccnz .LBB182_1603
; %bb.1602:
	s_wait_loadcnt 0x0
	v_cvt_f32_f16_e32 v2, v3
	global_store_b32 v[0:1], v2, off
.LBB182_1603:
	s_mov_b32 s17, 0
.LBB182_1604:
	s_delay_alu instid0(SALU_CYCLE_1)
	s_and_not1_b32 vcc_lo, exec_lo, s17
	s_cbranch_vccnz .LBB182_1606
; %bb.1605:
	s_wait_loadcnt 0x0
	global_store_b16 v[0:1], v3, off
.LBB182_1606:
	s_mov_b32 s17, 0
.LBB182_1607:
	s_delay_alu instid0(SALU_CYCLE_1)
	s_and_not1_b32 vcc_lo, exec_lo, s17
	s_cbranch_vccnz .LBB182_1623
; %bb.1608:
	s_sext_i32_i16 s20, s19
	s_mov_b32 s17, -1
	s_cmp_lt_i32 s20, 2
	s_cbranch_scc1 .LBB182_1618
; %bb.1609:
	s_cmp_lt_i32 s20, 3
	s_cbranch_scc1 .LBB182_1615
; %bb.1610:
	s_cmp_gt_i32 s20, 3
	s_cbranch_scc0 .LBB182_1612
; %bb.1611:
	s_wait_loadcnt 0x0
	v_cvt_f32_f16_e32 v2, v3
	s_mov_b32 s17, 0
	s_delay_alu instid0(VALU_DEP_1) | instskip(NEXT) | instid1(VALU_DEP_1)
	v_cvt_i32_f32_e32 v4, v2
	v_ashrrev_i32_e32 v5, 31, v4
	global_store_b64 v[0:1], v[4:5], off
.LBB182_1612:
	s_and_not1_b32 vcc_lo, exec_lo, s17
	s_cbranch_vccnz .LBB182_1614
; %bb.1613:
	s_wait_loadcnt 0x0
	v_cvt_f32_f16_e32 v2, v3
	s_delay_alu instid0(VALU_DEP_1)
	v_cvt_i32_f32_e32 v2, v2
	global_store_b32 v[0:1], v2, off
.LBB182_1614:
	s_mov_b32 s17, 0
.LBB182_1615:
	s_delay_alu instid0(SALU_CYCLE_1)
	s_and_not1_b32 vcc_lo, exec_lo, s17
	s_cbranch_vccnz .LBB182_1617
; %bb.1616:
	s_wait_loadcnt 0x0
	v_cvt_i16_f16_e32 v2, v3
	global_store_b16 v[0:1], v2, off
.LBB182_1617:
	s_mov_b32 s17, 0
.LBB182_1618:
	s_delay_alu instid0(SALU_CYCLE_1)
	s_and_not1_b32 vcc_lo, exec_lo, s17
	s_cbranch_vccnz .LBB182_1623
; %bb.1619:
	s_sext_i32_i16 s17, s19
	s_delay_alu instid0(SALU_CYCLE_1)
	s_cmp_gt_i32 s17, 0
	s_mov_b32 s17, -1
	s_cbranch_scc0 .LBB182_1621
; %bb.1620:
	s_wait_loadcnt 0x0
	v_cvt_i16_f16_e32 v2, v3
	s_mov_b32 s17, 0
	global_store_b8 v[0:1], v2, off
.LBB182_1621:
	s_and_not1_b32 vcc_lo, exec_lo, s17
	s_cbranch_vccnz .LBB182_1623
; %bb.1622:
	s_wait_loadcnt 0x0
	v_cvt_f32_f16_e32 v2, v3
	s_delay_alu instid0(VALU_DEP_1)
	v_cvt_i32_f32_e32 v2, v2
	global_store_b8 v[0:1], v2, off
.LBB182_1623:
	s_wait_xcnt 0x0
	s_or_b32 exec_lo, exec_lo, s0
	s_delay_alu instid0(SALU_CYCLE_1)
	s_and_b32 s17, s18, exec_lo
                                        ; implicit-def: $vgpr6
.LBB182_1624:
	s_or_saveexec_b32 s16, s16
	s_mov_b32 s0, 0
                                        ; implicit-def: $sgpr18
                                        ; implicit-def: $vgpr0_vgpr1
                                        ; implicit-def: $vgpr2
	s_xor_b32 exec_lo, exec_lo, s16
	s_cbranch_execz .LBB182_3192
; %bb.1625:
	s_and_b32 s15, s15, 0xff
	s_delay_alu instid0(SALU_CYCLE_1)
	s_cmp_lt_i32 s15, 23
	s_cbranch_scc1 .LBB182_1629
; %bb.1626:
	s_and_b32 s18, 0xffff, s15
	s_delay_alu instid0(SALU_CYCLE_1)
	s_cmp_gt_i32 s18, 43
	s_cbranch_scc0 .LBB182_1630
; %bb.1627:
	s_cmp_gt_i32 s18, 45
	s_cbranch_scc0 .LBB182_1631
; %bb.1628:
	s_cmp_lg_u32 s18, 46
	s_mov_b32 s0, -1
	s_cselect_b32 s14, -1, 0
	s_cbranch_execz .LBB182_1632
	s_branch .LBB182_1633
.LBB182_1629:
	s_cbranch_execnz .LBB182_1636
	s_branch .LBB182_1640
.LBB182_1630:
	s_cbranch_execnz .LBB182_1634
	s_branch .LBB182_1635
.LBB182_1631:
.LBB182_1632:
	s_cmp_eq_u32 s18, 44
	s_cselect_b32 s0, -1, 0
	s_cmp_lg_u32 s18, 44
	s_cselect_b32 s14, -1, 0
.LBB182_1633:
	s_branch .LBB182_1635
.LBB182_1634:
	s_cmp_lt_i32 s18, 30
	s_cselect_b32 s0, -1, 0
	s_cmp_gt_i32 s18, 29
	s_cselect_b32 s14, -1, 0
.LBB182_1635:
	s_branch .LBB182_1640
.LBB182_1636:
	s_and_b32 s18, 0xffff, s15
	s_mov_b32 s19, -1
	s_cmp_gt_i32 s18, 14
	s_cbranch_scc0 .LBB182_1638
; %bb.1637:
	s_cmp_eq_u32 s18, 15
	s_mov_b32 s19, 0
	s_cselect_b32 s0, -1, 0
	s_cmp_lg_u32 s18, 15
	s_cselect_b32 s14, -1, 0
.LBB182_1638:
	s_and_not1_b32 vcc_lo, exec_lo, s19
	s_cbranch_vccnz .LBB182_1640
; %bb.1639:
	s_cmp_lt_i32 s18, 12
	s_cselect_b32 s0, -1, 0
	s_cmp_gt_i32 s18, 11
	s_cselect_b32 s14, -1, 0
.LBB182_1640:
	s_delay_alu instid0(SALU_CYCLE_1)
	s_and_b32 vcc_lo, exec_lo, s14
	s_mov_b32 s14, s17
	s_cbranch_vccnz .LBB182_1653
; %bb.1641:
	s_and_not1_b32 vcc_lo, exec_lo, s0
	s_cbranch_vccnz .LBB182_3190
.LBB182_1642:
	v_mul_lo_u32 v0, s8, v6
	s_and_b32 s13, s13, 0xff
	s_delay_alu instid0(SALU_CYCLE_1) | instskip(NEXT) | instid1(VALU_DEP_1)
	s_cmp_lt_i32 s13, 11
	v_ashrrev_i32_e32 v1, 31, v0
	s_wait_loadcnt 0x0
	s_delay_alu instid0(VALU_DEP_1)
	v_add_nc_u64_e32 v[2:3], s[4:5], v[0:1]
	s_cbranch_scc1 .LBB182_1649
; %bb.1643:
	s_and_b32 s0, 0xffff, s13
	s_mov_b32 s19, 0
	s_cmp_gt_i32 s0, 25
	s_cbranch_scc0 .LBB182_1651
; %bb.1644:
	s_cmp_gt_i32 s0, 28
	s_cbranch_scc0 .LBB182_1652
; %bb.1645:
	;; [unrolled: 3-line block ×4, first 2 shown]
	s_cmp_eq_u32 s0, 46
	s_mov_b32 s21, 0
	s_cbranch_scc0 .LBB182_1660
; %bb.1648:
	global_load_b32 v1, v[2:3], off
	s_mov_b32 s18, 0
	s_mov_b32 s20, -1
	s_wait_loadcnt 0x0
	v_lshlrev_b32_e32 v1, 16, v1
	s_delay_alu instid0(VALU_DEP_1)
	v_cvt_f16_f32_e32 v7, v1
	s_branch .LBB182_1662
.LBB182_1649:
	s_mov_b32 s20, 0
                                        ; implicit-def: $vgpr7
	s_cbranch_execnz .LBB182_1727
.LBB182_1650:
	s_and_not1_b32 vcc_lo, exec_lo, s20
	s_cbranch_vccz .LBB182_1774
	s_branch .LBB182_3190
.LBB182_1651:
	s_mov_b32 s20, 0
	s_mov_b32 s18, 0
                                        ; implicit-def: $vgpr7
	s_cbranch_execnz .LBB182_1691
	s_branch .LBB182_1723
.LBB182_1652:
	s_mov_b32 s21, -1
	s_mov_b32 s20, 0
	s_mov_b32 s18, 0
                                        ; implicit-def: $vgpr7
	s_branch .LBB182_1672
.LBB182_1653:
	s_or_b32 s14, s17, exec_lo
	s_trap 2
	s_cbranch_execz .LBB182_1642
	s_branch .LBB182_3190
.LBB182_1654:
	s_mov_b32 s21, -1
	s_mov_b32 s20, 0
	s_mov_b32 s18, 0
                                        ; implicit-def: $vgpr7
	s_branch .LBB182_1667
.LBB182_1655:
	s_and_not1_saveexec_b32 s24, s24
	s_cbranch_execz .LBB182_1537
.LBB182_1656:
	v_add_f32_e64 v4, 0x46000000, |v2|
	s_and_not1_b32 s23, s23, exec_lo
	s_delay_alu instid0(VALU_DEP_1) | instskip(NEXT) | instid1(VALU_DEP_1)
	v_and_b32_e32 v4, 0xff, v4
	v_cmp_ne_u32_e32 vcc_lo, 0, v4
	s_and_b32 s25, vcc_lo, exec_lo
	s_delay_alu instid0(SALU_CYCLE_1)
	s_or_b32 s23, s23, s25
	s_or_b32 exec_lo, exec_lo, s24
	v_mov_b32_e32 v5, 0
	s_and_saveexec_b32 s24, s23
	s_cbranch_execnz .LBB182_1538
	s_branch .LBB182_1539
.LBB182_1657:
	s_mov_b32 s21, -1
	s_mov_b32 s20, 0
	s_mov_b32 s18, 0
	s_branch .LBB182_1661
.LBB182_1658:
	s_and_not1_saveexec_b32 s25, s25
	s_cbranch_execz .LBB182_1549
.LBB182_1659:
	v_add_f32_e64 v4, 0x42800000, |v2|
	s_and_not1_b32 s24, s24, exec_lo
	s_delay_alu instid0(VALU_DEP_1) | instskip(NEXT) | instid1(VALU_DEP_1)
	v_and_b32_e32 v4, 0xff, v4
	v_cmp_ne_u32_e32 vcc_lo, 0, v4
	s_and_b32 s26, vcc_lo, exec_lo
	s_delay_alu instid0(SALU_CYCLE_1)
	s_or_b32 s24, s24, s26
	s_or_b32 exec_lo, exec_lo, s25
	v_mov_b32_e32 v5, 0
	s_and_saveexec_b32 s25, s24
	s_cbranch_execnz .LBB182_1550
	s_branch .LBB182_1551
.LBB182_1660:
	s_mov_b32 s18, -1
	s_mov_b32 s20, 0
.LBB182_1661:
                                        ; implicit-def: $vgpr7
.LBB182_1662:
	s_and_b32 vcc_lo, exec_lo, s21
	s_cbranch_vccz .LBB182_1666
; %bb.1663:
	s_cmp_eq_u32 s0, 44
	s_cbranch_scc0 .LBB182_1665
; %bb.1664:
	global_load_u8 v1, v[2:3], off
	s_mov_b32 s18, 0
	s_mov_b32 s20, -1
	s_wait_loadcnt 0x0
	v_lshlrev_b32_e32 v4, 23, v1
	v_cmp_ne_u32_e32 vcc_lo, 0xff, v1
	s_delay_alu instid0(VALU_DEP_2) | instskip(NEXT) | instid1(VALU_DEP_1)
	v_cvt_f16_f32_e32 v4, v4
	v_cndmask_b32_e32 v4, 0x7e00, v4, vcc_lo
	v_cmp_ne_u32_e32 vcc_lo, 0, v1
	s_delay_alu instid0(VALU_DEP_2)
	v_cndmask_b32_e32 v7, 0, v4, vcc_lo
	s_branch .LBB182_1666
.LBB182_1665:
	s_mov_b32 s18, -1
                                        ; implicit-def: $vgpr7
.LBB182_1666:
	s_mov_b32 s21, 0
.LBB182_1667:
	s_delay_alu instid0(SALU_CYCLE_1)
	s_and_b32 vcc_lo, exec_lo, s21
	s_cbranch_vccz .LBB182_1671
; %bb.1668:
	s_cmp_eq_u32 s0, 29
	s_cbranch_scc0 .LBB182_1670
; %bb.1669:
	global_load_b64 v[4:5], v[2:3], off
	s_mov_b32 s18, 0
	s_mov_b32 s20, -1
	s_mov_b32 s21, 0
	s_wait_loadcnt 0x0
	v_clz_i32_u32_e32 v1, v5
	s_delay_alu instid0(VALU_DEP_1) | instskip(NEXT) | instid1(VALU_DEP_1)
	v_min_u32_e32 v1, 32, v1
	v_lshlrev_b64_e32 v[4:5], v1, v[4:5]
	v_sub_nc_u32_e32 v1, 32, v1
	s_delay_alu instid0(VALU_DEP_2) | instskip(NEXT) | instid1(VALU_DEP_1)
	v_min_u32_e32 v4, 1, v4
	v_or_b32_e32 v4, v5, v4
	s_delay_alu instid0(VALU_DEP_1) | instskip(NEXT) | instid1(VALU_DEP_1)
	v_cvt_f32_u32_e32 v4, v4
	v_ldexp_f32 v1, v4, v1
	s_delay_alu instid0(VALU_DEP_1)
	v_cvt_f16_f32_e32 v7, v1
	s_branch .LBB182_1672
.LBB182_1670:
	s_mov_b32 s18, -1
                                        ; implicit-def: $vgpr7
.LBB182_1671:
	s_mov_b32 s21, 0
.LBB182_1672:
	s_delay_alu instid0(SALU_CYCLE_1)
	s_and_b32 vcc_lo, exec_lo, s21
	s_cbranch_vccz .LBB182_1690
; %bb.1673:
	s_cmp_lt_i32 s0, 27
	s_cbranch_scc1 .LBB182_1676
; %bb.1674:
	s_cmp_gt_i32 s0, 27
	s_cbranch_scc0 .LBB182_1677
; %bb.1675:
	global_load_b32 v1, v[2:3], off
	s_mov_b32 s20, 0
	s_wait_loadcnt 0x0
	v_cvt_f32_u32_e32 v1, v1
	s_delay_alu instid0(VALU_DEP_1)
	v_cvt_f16_f32_e32 v7, v1
	s_branch .LBB182_1678
.LBB182_1676:
	s_mov_b32 s20, -1
                                        ; implicit-def: $vgpr7
	s_branch .LBB182_1681
.LBB182_1677:
	s_mov_b32 s20, -1
                                        ; implicit-def: $vgpr7
.LBB182_1678:
	s_delay_alu instid0(SALU_CYCLE_1)
	s_and_not1_b32 vcc_lo, exec_lo, s20
	s_cbranch_vccnz .LBB182_1680
; %bb.1679:
	global_load_u16 v1, v[2:3], off
	s_wait_loadcnt 0x0
	v_cvt_f16_u16_e32 v7, v1
.LBB182_1680:
	s_mov_b32 s20, 0
.LBB182_1681:
	s_delay_alu instid0(SALU_CYCLE_1)
	s_and_not1_b32 vcc_lo, exec_lo, s20
	s_cbranch_vccnz .LBB182_1689
; %bb.1682:
	global_load_u8 v1, v[2:3], off
	s_mov_b32 s20, 0
	s_mov_b32 s21, exec_lo
	s_wait_loadcnt 0x0
	v_cmpx_lt_i16_e32 0x7f, v1
	s_xor_b32 s21, exec_lo, s21
	s_cbranch_execz .LBB182_1702
; %bb.1683:
	s_mov_b32 s20, -1
	s_mov_b32 s22, exec_lo
	v_cmpx_eq_u16_e32 0x80, v1
; %bb.1684:
	s_xor_b32 s20, exec_lo, -1
; %bb.1685:
	s_or_b32 exec_lo, exec_lo, s22
	s_delay_alu instid0(SALU_CYCLE_1)
	s_and_b32 s20, s20, exec_lo
	s_or_saveexec_b32 s21, s21
	v_mov_b32_e32 v7, 0x7e00
	s_xor_b32 exec_lo, exec_lo, s21
	s_cbranch_execnz .LBB182_1703
.LBB182_1686:
	s_or_b32 exec_lo, exec_lo, s21
	s_and_saveexec_b32 s21, s20
	s_cbranch_execz .LBB182_1688
.LBB182_1687:
	v_and_b32_e32 v4, 0xffff, v1
	s_delay_alu instid0(VALU_DEP_1) | instskip(SKIP_1) | instid1(VALU_DEP_2)
	v_and_b32_e32 v5, 7, v4
	v_bfe_u32 v9, v4, 3, 4
	v_clz_i32_u32_e32 v7, v5
	s_delay_alu instid0(VALU_DEP_2) | instskip(NEXT) | instid1(VALU_DEP_2)
	v_cmp_eq_u32_e32 vcc_lo, 0, v9
	v_min_u32_e32 v7, 32, v7
	s_delay_alu instid0(VALU_DEP_1) | instskip(NEXT) | instid1(VALU_DEP_1)
	v_subrev_nc_u32_e32 v8, 28, v7
	v_dual_lshlrev_b32 v4, v8, v4 :: v_dual_sub_nc_u32 v7, 29, v7
	s_delay_alu instid0(VALU_DEP_1) | instskip(NEXT) | instid1(VALU_DEP_2)
	v_dual_lshlrev_b32 v1, 24, v1 :: v_dual_bitop2_b32 v4, 7, v4 bitop3:0x40
	v_cndmask_b32_e32 v7, v9, v7, vcc_lo
	s_delay_alu instid0(VALU_DEP_2) | instskip(NEXT) | instid1(VALU_DEP_3)
	v_cndmask_b32_e32 v4, v5, v4, vcc_lo
	v_and_b32_e32 v1, 0x80000000, v1
	s_delay_alu instid0(VALU_DEP_3) | instskip(NEXT) | instid1(VALU_DEP_3)
	v_lshl_add_u32 v5, v7, 23, 0x3b800000
	v_lshlrev_b32_e32 v4, 20, v4
	s_delay_alu instid0(VALU_DEP_1) | instskip(NEXT) | instid1(VALU_DEP_1)
	v_or3_b32 v1, v1, v5, v4
	v_cvt_f16_f32_e32 v7, v1
.LBB182_1688:
	s_or_b32 exec_lo, exec_lo, s21
.LBB182_1689:
	s_mov_b32 s20, -1
.LBB182_1690:
	s_branch .LBB182_1723
.LBB182_1691:
	s_cmp_gt_i32 s0, 22
	s_cbranch_scc0 .LBB182_1701
; %bb.1692:
	s_cmp_lt_i32 s0, 24
	s_cbranch_scc1 .LBB182_1704
; %bb.1693:
	s_cmp_gt_i32 s0, 24
	s_cbranch_scc0 .LBB182_1705
; %bb.1694:
	global_load_u8 v1, v[2:3], off
	s_mov_b32 s20, exec_lo
	s_wait_loadcnt 0x0
	v_cmpx_lt_i16_e32 0x7f, v1
	s_xor_b32 s20, exec_lo, s20
	s_cbranch_execz .LBB182_1717
; %bb.1695:
	s_mov_b32 s19, -1
	s_mov_b32 s21, exec_lo
	v_cmpx_eq_u16_e32 0x80, v1
; %bb.1696:
	s_xor_b32 s19, exec_lo, -1
; %bb.1697:
	s_or_b32 exec_lo, exec_lo, s21
	s_delay_alu instid0(SALU_CYCLE_1)
	s_and_b32 s19, s19, exec_lo
	s_or_saveexec_b32 s20, s20
	v_mov_b32_e32 v7, 0x7e00
	s_xor_b32 exec_lo, exec_lo, s20
	s_cbranch_execnz .LBB182_1718
.LBB182_1698:
	s_or_b32 exec_lo, exec_lo, s20
	s_and_saveexec_b32 s20, s19
	s_cbranch_execz .LBB182_1700
.LBB182_1699:
	v_and_b32_e32 v4, 0xffff, v1
	s_delay_alu instid0(VALU_DEP_1) | instskip(SKIP_1) | instid1(VALU_DEP_2)
	v_and_b32_e32 v5, 3, v4
	v_bfe_u32 v9, v4, 2, 5
	v_clz_i32_u32_e32 v7, v5
	s_delay_alu instid0(VALU_DEP_2) | instskip(NEXT) | instid1(VALU_DEP_2)
	v_cmp_eq_u32_e32 vcc_lo, 0, v9
	v_min_u32_e32 v7, 32, v7
	s_delay_alu instid0(VALU_DEP_1) | instskip(NEXT) | instid1(VALU_DEP_1)
	v_subrev_nc_u32_e32 v8, 29, v7
	v_dual_lshlrev_b32 v4, v8, v4 :: v_dual_sub_nc_u32 v7, 30, v7
	s_delay_alu instid0(VALU_DEP_1) | instskip(NEXT) | instid1(VALU_DEP_2)
	v_dual_lshlrev_b32 v1, 24, v1 :: v_dual_bitop2_b32 v4, 3, v4 bitop3:0x40
	v_cndmask_b32_e32 v7, v9, v7, vcc_lo
	s_delay_alu instid0(VALU_DEP_2) | instskip(NEXT) | instid1(VALU_DEP_3)
	v_cndmask_b32_e32 v4, v5, v4, vcc_lo
	v_and_b32_e32 v1, 0x80000000, v1
	s_delay_alu instid0(VALU_DEP_3) | instskip(NEXT) | instid1(VALU_DEP_3)
	v_lshl_add_u32 v5, v7, 23, 0x37800000
	v_lshlrev_b32_e32 v4, 21, v4
	s_delay_alu instid0(VALU_DEP_1) | instskip(NEXT) | instid1(VALU_DEP_1)
	v_or3_b32 v1, v1, v5, v4
	v_cvt_f16_f32_e32 v7, v1
.LBB182_1700:
	s_or_b32 exec_lo, exec_lo, s20
	s_mov_b32 s19, 0
	s_branch .LBB182_1706
.LBB182_1701:
	s_mov_b32 s19, -1
                                        ; implicit-def: $vgpr7
	s_branch .LBB182_1712
.LBB182_1702:
	s_or_saveexec_b32 s21, s21
	v_mov_b32_e32 v7, 0x7e00
	s_xor_b32 exec_lo, exec_lo, s21
	s_cbranch_execz .LBB182_1686
.LBB182_1703:
	v_cmp_ne_u16_e32 vcc_lo, 0, v1
	v_mov_b32_e32 v7, v1
	s_and_not1_b32 s20, s20, exec_lo
	s_and_b32 s22, vcc_lo, exec_lo
	s_delay_alu instid0(SALU_CYCLE_1)
	s_or_b32 s20, s20, s22
	s_or_b32 exec_lo, exec_lo, s21
	s_and_saveexec_b32 s21, s20
	s_cbranch_execnz .LBB182_1687
	s_branch .LBB182_1688
.LBB182_1704:
	s_mov_b32 s19, -1
                                        ; implicit-def: $vgpr7
	s_branch .LBB182_1709
.LBB182_1705:
	s_mov_b32 s19, -1
                                        ; implicit-def: $vgpr7
.LBB182_1706:
	s_delay_alu instid0(SALU_CYCLE_1)
	s_and_b32 vcc_lo, exec_lo, s19
	s_cbranch_vccz .LBB182_1708
; %bb.1707:
	global_load_u8 v1, v[2:3], off
	s_wait_loadcnt 0x0
	v_lshlrev_b32_e32 v1, 24, v1
	s_delay_alu instid0(VALU_DEP_1) | instskip(NEXT) | instid1(VALU_DEP_1)
	v_and_b32_e32 v4, 0x7f000000, v1
	v_clz_i32_u32_e32 v5, v4
	v_add_nc_u32_e32 v8, 0x1000000, v4
	v_cmp_ne_u32_e32 vcc_lo, 0, v4
	s_delay_alu instid0(VALU_DEP_3) | instskip(NEXT) | instid1(VALU_DEP_1)
	v_min_u32_e32 v5, 32, v5
	v_sub_nc_u32_e64 v5, v5, 4 clamp
	s_delay_alu instid0(VALU_DEP_1) | instskip(NEXT) | instid1(VALU_DEP_1)
	v_dual_lshlrev_b32 v7, v5, v4 :: v_dual_lshlrev_b32 v5, 23, v5
	v_lshrrev_b32_e32 v7, 4, v7
	s_delay_alu instid0(VALU_DEP_1) | instskip(NEXT) | instid1(VALU_DEP_1)
	v_dual_sub_nc_u32 v5, v7, v5 :: v_dual_ashrrev_i32 v7, 8, v8
	v_add_nc_u32_e32 v5, 0x3c000000, v5
	s_delay_alu instid0(VALU_DEP_1) | instskip(NEXT) | instid1(VALU_DEP_1)
	v_and_or_b32 v5, 0x7f800000, v7, v5
	v_cndmask_b32_e32 v4, 0, v5, vcc_lo
	s_delay_alu instid0(VALU_DEP_1) | instskip(NEXT) | instid1(VALU_DEP_1)
	v_and_or_b32 v1, 0x80000000, v1, v4
	v_cvt_f16_f32_e32 v7, v1
.LBB182_1708:
	s_mov_b32 s19, 0
.LBB182_1709:
	s_delay_alu instid0(SALU_CYCLE_1)
	s_and_not1_b32 vcc_lo, exec_lo, s19
	s_cbranch_vccnz .LBB182_1711
; %bb.1710:
	global_load_u8 v1, v[2:3], off
	s_wait_loadcnt 0x0
	v_lshlrev_b32_e32 v4, 25, v1
	v_lshlrev_b16 v1, 8, v1
	s_delay_alu instid0(VALU_DEP_1) | instskip(SKIP_1) | instid1(VALU_DEP_2)
	v_and_or_b32 v7, 0x7f00, v1, 0.5
	v_bfe_i32 v1, v1, 0, 16
	v_dual_add_f32 v7, -0.5, v7 :: v_dual_lshrrev_b32 v5, 4, v4
	v_cmp_gt_u32_e32 vcc_lo, 0x8000000, v4
	s_delay_alu instid0(VALU_DEP_2) | instskip(NEXT) | instid1(VALU_DEP_1)
	v_or_b32_e32 v5, 0x70000000, v5
	v_mul_f32_e32 v5, 0x7800000, v5
	s_delay_alu instid0(VALU_DEP_1) | instskip(NEXT) | instid1(VALU_DEP_1)
	v_cndmask_b32_e32 v4, v5, v7, vcc_lo
	v_and_or_b32 v1, 0x80000000, v1, v4
	s_delay_alu instid0(VALU_DEP_1)
	v_cvt_f16_f32_e32 v7, v1
.LBB182_1711:
	s_mov_b32 s19, 0
	s_mov_b32 s20, -1
.LBB182_1712:
	s_and_not1_b32 vcc_lo, exec_lo, s19
	s_mov_b32 s19, 0
	s_cbranch_vccnz .LBB182_1723
; %bb.1713:
	s_cmp_gt_i32 s0, 14
	s_cbranch_scc0 .LBB182_1716
; %bb.1714:
	s_cmp_eq_u32 s0, 15
	s_cbranch_scc0 .LBB182_1719
; %bb.1715:
	global_load_u16 v1, v[2:3], off
	s_mov_b32 s18, 0
	s_mov_b32 s20, -1
	s_wait_loadcnt 0x0
	v_lshlrev_b32_e32 v1, 16, v1
	s_delay_alu instid0(VALU_DEP_1)
	v_cvt_f16_f32_e32 v7, v1
	s_branch .LBB182_1721
.LBB182_1716:
	s_mov_b32 s19, -1
	s_branch .LBB182_1720
.LBB182_1717:
	s_or_saveexec_b32 s20, s20
	v_mov_b32_e32 v7, 0x7e00
	s_xor_b32 exec_lo, exec_lo, s20
	s_cbranch_execz .LBB182_1698
.LBB182_1718:
	v_cmp_ne_u16_e32 vcc_lo, 0, v1
	v_mov_b32_e32 v7, v1
	s_and_not1_b32 s19, s19, exec_lo
	s_and_b32 s21, vcc_lo, exec_lo
	s_delay_alu instid0(SALU_CYCLE_1)
	s_or_b32 s19, s19, s21
	s_or_b32 exec_lo, exec_lo, s20
	s_and_saveexec_b32 s20, s19
	s_cbranch_execnz .LBB182_1699
	s_branch .LBB182_1700
.LBB182_1719:
	s_mov_b32 s18, -1
.LBB182_1720:
                                        ; implicit-def: $vgpr7
.LBB182_1721:
	s_and_b32 vcc_lo, exec_lo, s19
	s_mov_b32 s19, 0
	s_cbranch_vccz .LBB182_1723
; %bb.1722:
	s_cmp_lg_u32 s0, 11
	s_mov_b32 s19, -1
	s_cselect_b32 s18, -1, 0
.LBB182_1723:
	s_delay_alu instid0(SALU_CYCLE_1)
	s_and_b32 vcc_lo, exec_lo, s18
	s_cbranch_vccnz .LBB182_1786
; %bb.1724:
	s_and_not1_b32 vcc_lo, exec_lo, s19
	s_cbranch_vccnz .LBB182_1726
.LBB182_1725:
	global_load_u8 v1, v[2:3], off
	s_mov_b32 s20, -1
	s_wait_loadcnt 0x0
	v_cmp_ne_u16_e32 vcc_lo, 0, v1
	v_cndmask_b32_e64 v7, 0, 0x3c00, vcc_lo
.LBB182_1726:
	s_branch .LBB182_1650
.LBB182_1727:
	s_and_b32 s0, 0xffff, s13
	s_delay_alu instid0(SALU_CYCLE_1)
	s_cmp_lt_i32 s0, 5
	s_cbranch_scc1 .LBB182_1732
; %bb.1728:
	s_cmp_lt_i32 s0, 8
	s_cbranch_scc1 .LBB182_1733
; %bb.1729:
	;; [unrolled: 3-line block ×3, first 2 shown]
	s_cmp_gt_i32 s0, 9
	s_cbranch_scc0 .LBB182_1735
; %bb.1731:
	global_load_b64 v[4:5], v[2:3], off
	s_mov_b32 s18, 0
	s_wait_loadcnt 0x0
	v_and_or_b32 v1, 0x1ff, v5, v4
	v_lshrrev_b32_e32 v4, 8, v5
	v_bfe_u32 v7, v5, 20, 11
	s_delay_alu instid0(VALU_DEP_3) | instskip(NEXT) | instid1(VALU_DEP_2)
	v_cmp_ne_u32_e32 vcc_lo, 0, v1
	v_sub_nc_u32_e32 v8, 0x3f1, v7
	v_cndmask_b32_e64 v1, 0, 1, vcc_lo
	s_delay_alu instid0(VALU_DEP_1) | instskip(NEXT) | instid1(VALU_DEP_3)
	v_and_or_b32 v1, 0xffe, v4, v1
	v_med3_i32 v4, v8, 0, 13
	s_delay_alu instid0(VALU_DEP_2) | instskip(NEXT) | instid1(VALU_DEP_1)
	v_or_b32_e32 v8, 0x1000, v1
	v_lshrrev_b32_e32 v9, v4, v8
	s_delay_alu instid0(VALU_DEP_1) | instskip(NEXT) | instid1(VALU_DEP_1)
	v_lshlrev_b32_e32 v4, v4, v9
	v_cmp_ne_u32_e32 vcc_lo, v4, v8
	v_cndmask_b32_e64 v4, 0, 1, vcc_lo
	s_delay_alu instid0(VALU_DEP_1) | instskip(SKIP_1) | instid1(VALU_DEP_1)
	v_or_b32_e32 v4, v9, v4
	v_add_nc_u32_e32 v7, 0xfffffc10, v7
	v_lshl_or_b32 v8, v7, 12, v1
	v_cmp_gt_i32_e32 vcc_lo, 1, v7
	s_delay_alu instid0(VALU_DEP_2) | instskip(NEXT) | instid1(VALU_DEP_1)
	v_cndmask_b32_e32 v4, v8, v4, vcc_lo
	v_dual_lshrrev_b32 v4, 2, v4 :: v_dual_bitop2_b32 v8, 7, v4 bitop3:0x40
	s_delay_alu instid0(VALU_DEP_1) | instskip(SKIP_4) | instid1(VALU_DEP_2)
	v_cmp_lt_i32_e32 vcc_lo, 5, v8
	v_cndmask_b32_e64 v9, 0, 1, vcc_lo
	v_cmp_eq_u32_e32 vcc_lo, 3, v8
	v_cndmask_b32_e64 v8, 0, 1, vcc_lo
	v_cmp_ne_u32_e32 vcc_lo, 0, v1
	v_or_b32_e32 v8, v8, v9
	s_delay_alu instid0(VALU_DEP_1) | instskip(NEXT) | instid1(VALU_DEP_1)
	v_dual_mov_b32 v9, 0x7e00 :: v_dual_add_nc_u32 v4, v4, v8
	v_cndmask_b32_e32 v1, 0x7c00, v9, vcc_lo
	v_cmp_gt_i32_e32 vcc_lo, 31, v7
	s_delay_alu instid0(VALU_DEP_3) | instskip(SKIP_1) | instid1(VALU_DEP_2)
	v_cndmask_b32_e32 v4, 0x7c00, v4, vcc_lo
	v_cmp_eq_u32_e32 vcc_lo, 0x40f, v7
	v_cndmask_b32_e32 v1, v4, v1, vcc_lo
	v_lshrrev_b32_e32 v4, 16, v5
	s_delay_alu instid0(VALU_DEP_1)
	v_and_or_b32 v7, 0x8000, v4, v1
	s_branch .LBB182_1736
.LBB182_1732:
                                        ; implicit-def: $vgpr7
	s_branch .LBB182_1754
.LBB182_1733:
	s_mov_b32 s18, -1
                                        ; implicit-def: $vgpr7
	s_branch .LBB182_1742
.LBB182_1734:
	s_mov_b32 s18, -1
                                        ; implicit-def: $vgpr7
	s_branch .LBB182_1739
.LBB182_1735:
	s_mov_b32 s18, -1
                                        ; implicit-def: $vgpr7
.LBB182_1736:
	s_delay_alu instid0(SALU_CYCLE_1)
	s_and_not1_b32 vcc_lo, exec_lo, s18
	s_cbranch_vccnz .LBB182_1738
; %bb.1737:
	global_load_b32 v1, v[2:3], off
	s_wait_loadcnt 0x0
	v_cvt_f16_f32_e32 v7, v1
.LBB182_1738:
	s_mov_b32 s18, 0
.LBB182_1739:
	s_delay_alu instid0(SALU_CYCLE_1)
	s_and_not1_b32 vcc_lo, exec_lo, s18
	s_cbranch_vccnz .LBB182_1741
; %bb.1740:
	global_load_b32 v7, v[2:3], off
.LBB182_1741:
	s_mov_b32 s18, 0
.LBB182_1742:
	s_delay_alu instid0(SALU_CYCLE_1)
	s_and_not1_b32 vcc_lo, exec_lo, s18
	s_cbranch_vccnz .LBB182_1753
; %bb.1743:
	s_cmp_lt_i32 s0, 6
	s_cbranch_scc1 .LBB182_1746
; %bb.1744:
	s_cmp_gt_i32 s0, 6
	s_cbranch_scc0 .LBB182_1747
; %bb.1745:
	global_load_b64 v[4:5], v[2:3], off
	s_mov_b32 s18, 0
	s_wait_loadcnt 0x0
	v_and_or_b32 v1, 0x1ff, v5, v4
	v_lshrrev_b32_e32 v4, 8, v5
	v_bfe_u32 v7, v5, 20, 11
	s_delay_alu instid0(VALU_DEP_3) | instskip(NEXT) | instid1(VALU_DEP_2)
	v_cmp_ne_u32_e32 vcc_lo, 0, v1
	v_sub_nc_u32_e32 v8, 0x3f1, v7
	v_cndmask_b32_e64 v1, 0, 1, vcc_lo
	s_delay_alu instid0(VALU_DEP_1) | instskip(NEXT) | instid1(VALU_DEP_3)
	v_and_or_b32 v1, 0xffe, v4, v1
	v_med3_i32 v4, v8, 0, 13
	s_delay_alu instid0(VALU_DEP_2) | instskip(NEXT) | instid1(VALU_DEP_1)
	v_or_b32_e32 v8, 0x1000, v1
	v_lshrrev_b32_e32 v9, v4, v8
	s_delay_alu instid0(VALU_DEP_1) | instskip(NEXT) | instid1(VALU_DEP_1)
	v_lshlrev_b32_e32 v4, v4, v9
	v_cmp_ne_u32_e32 vcc_lo, v4, v8
	v_cndmask_b32_e64 v4, 0, 1, vcc_lo
	s_delay_alu instid0(VALU_DEP_1) | instskip(SKIP_1) | instid1(VALU_DEP_1)
	v_or_b32_e32 v4, v9, v4
	v_add_nc_u32_e32 v7, 0xfffffc10, v7
	v_lshl_or_b32 v8, v7, 12, v1
	v_cmp_gt_i32_e32 vcc_lo, 1, v7
	s_delay_alu instid0(VALU_DEP_2) | instskip(NEXT) | instid1(VALU_DEP_1)
	v_cndmask_b32_e32 v4, v8, v4, vcc_lo
	v_dual_lshrrev_b32 v4, 2, v4 :: v_dual_bitop2_b32 v8, 7, v4 bitop3:0x40
	s_delay_alu instid0(VALU_DEP_1) | instskip(SKIP_4) | instid1(VALU_DEP_2)
	v_cmp_lt_i32_e32 vcc_lo, 5, v8
	v_cndmask_b32_e64 v9, 0, 1, vcc_lo
	v_cmp_eq_u32_e32 vcc_lo, 3, v8
	v_cndmask_b32_e64 v8, 0, 1, vcc_lo
	v_cmp_ne_u32_e32 vcc_lo, 0, v1
	v_or_b32_e32 v8, v8, v9
	s_delay_alu instid0(VALU_DEP_1) | instskip(NEXT) | instid1(VALU_DEP_1)
	v_dual_mov_b32 v9, 0x7e00 :: v_dual_add_nc_u32 v4, v4, v8
	v_cndmask_b32_e32 v1, 0x7c00, v9, vcc_lo
	v_cmp_gt_i32_e32 vcc_lo, 31, v7
	s_delay_alu instid0(VALU_DEP_3) | instskip(SKIP_1) | instid1(VALU_DEP_2)
	v_cndmask_b32_e32 v4, 0x7c00, v4, vcc_lo
	v_cmp_eq_u32_e32 vcc_lo, 0x40f, v7
	v_cndmask_b32_e32 v1, v4, v1, vcc_lo
	v_lshrrev_b32_e32 v4, 16, v5
	s_delay_alu instid0(VALU_DEP_1)
	v_and_or_b32 v7, 0x8000, v4, v1
	s_branch .LBB182_1748
.LBB182_1746:
	s_mov_b32 s18, -1
                                        ; implicit-def: $vgpr7
	s_branch .LBB182_1751
.LBB182_1747:
	s_mov_b32 s18, -1
                                        ; implicit-def: $vgpr7
.LBB182_1748:
	s_delay_alu instid0(SALU_CYCLE_1)
	s_and_not1_b32 vcc_lo, exec_lo, s18
	s_cbranch_vccnz .LBB182_1750
; %bb.1749:
	global_load_b32 v1, v[2:3], off
	s_wait_loadcnt 0x0
	v_cvt_f16_f32_e32 v7, v1
.LBB182_1750:
	s_mov_b32 s18, 0
.LBB182_1751:
	s_delay_alu instid0(SALU_CYCLE_1)
	s_and_not1_b32 vcc_lo, exec_lo, s18
	s_cbranch_vccnz .LBB182_1753
; %bb.1752:
	s_wait_loadcnt 0x0
	global_load_u16 v7, v[2:3], off
.LBB182_1753:
	s_cbranch_execnz .LBB182_1773
.LBB182_1754:
	s_cmp_lt_i32 s0, 2
	s_cbranch_scc1 .LBB182_1758
; %bb.1755:
	s_cmp_lt_i32 s0, 3
	s_cbranch_scc1 .LBB182_1759
; %bb.1756:
	s_cmp_gt_i32 s0, 3
	s_cbranch_scc0 .LBB182_1760
; %bb.1757:
	global_load_b64 v[4:5], v[2:3], off
	s_mov_b32 s18, 0
	s_wait_loadcnt 0x0
	v_xor_b32_e32 v1, v4, v5
	v_cls_i32_e32 v7, v5
	s_delay_alu instid0(VALU_DEP_2) | instskip(NEXT) | instid1(VALU_DEP_1)
	v_ashrrev_i32_e32 v1, 31, v1
	v_add_nc_u32_e32 v1, 32, v1
	s_delay_alu instid0(VALU_DEP_1) | instskip(NEXT) | instid1(VALU_DEP_1)
	v_add_min_u32_e64 v1, v7, -1, v1
	v_lshlrev_b64_e32 v[4:5], v1, v[4:5]
	v_sub_nc_u32_e32 v1, 32, v1
	s_delay_alu instid0(VALU_DEP_2) | instskip(NEXT) | instid1(VALU_DEP_1)
	v_min_u32_e32 v4, 1, v4
	v_or_b32_e32 v4, v5, v4
	s_delay_alu instid0(VALU_DEP_1) | instskip(NEXT) | instid1(VALU_DEP_1)
	v_cvt_f32_i32_e32 v4, v4
	v_ldexp_f32 v1, v4, v1
	s_delay_alu instid0(VALU_DEP_1)
	v_cvt_f16_f32_e32 v7, v1
	s_branch .LBB182_1761
.LBB182_1758:
	s_mov_b32 s18, -1
                                        ; implicit-def: $vgpr7
	s_branch .LBB182_1767
.LBB182_1759:
	s_mov_b32 s18, -1
                                        ; implicit-def: $vgpr7
	s_branch .LBB182_1764
.LBB182_1760:
	s_mov_b32 s18, -1
                                        ; implicit-def: $vgpr7
.LBB182_1761:
	s_delay_alu instid0(SALU_CYCLE_1)
	s_and_not1_b32 vcc_lo, exec_lo, s18
	s_cbranch_vccnz .LBB182_1763
; %bb.1762:
	global_load_b32 v1, v[2:3], off
	s_wait_loadcnt 0x0
	v_cvt_f32_i32_e32 v1, v1
	s_delay_alu instid0(VALU_DEP_1)
	v_cvt_f16_f32_e32 v7, v1
.LBB182_1763:
	s_mov_b32 s18, 0
.LBB182_1764:
	s_delay_alu instid0(SALU_CYCLE_1)
	s_and_not1_b32 vcc_lo, exec_lo, s18
	s_cbranch_vccnz .LBB182_1766
; %bb.1765:
	global_load_u16 v1, v[2:3], off
	s_wait_loadcnt 0x0
	v_cvt_f16_i16_e32 v7, v1
.LBB182_1766:
	s_mov_b32 s18, 0
.LBB182_1767:
	s_delay_alu instid0(SALU_CYCLE_1)
	s_and_not1_b32 vcc_lo, exec_lo, s18
	s_cbranch_vccnz .LBB182_1773
; %bb.1768:
	s_cmp_gt_i32 s0, 0
	s_mov_b32 s0, 0
	s_cbranch_scc0 .LBB182_1770
; %bb.1769:
	global_load_i8 v1, v[2:3], off
	s_wait_loadcnt 0x0
	v_cvt_f16_i16_e32 v7, v1
	s_branch .LBB182_1771
.LBB182_1770:
	s_mov_b32 s0, -1
                                        ; implicit-def: $vgpr7
.LBB182_1771:
	s_delay_alu instid0(SALU_CYCLE_1)
	s_and_not1_b32 vcc_lo, exec_lo, s0
	s_cbranch_vccnz .LBB182_1773
; %bb.1772:
	global_load_u8 v1, v[2:3], off
	s_wait_loadcnt 0x0
	v_cvt_f16_u16_e32 v7, v1
.LBB182_1773:
.LBB182_1774:
	s_wait_xcnt 0x0
	v_mul_lo_u32 v2, s9, v6
	s_and_b32 s0, 0xffff, s1
	s_delay_alu instid0(SALU_CYCLE_1) | instskip(NEXT) | instid1(VALU_DEP_1)
	s_cmp_lt_i32 s0, 11
	v_ashrrev_i32_e32 v3, 31, v2
	s_delay_alu instid0(VALU_DEP_1)
	v_add_nc_u64_e32 v[4:5], s[6:7], v[2:3]
	s_cbranch_scc1 .LBB182_1781
; %bb.1775:
	s_cmp_gt_i32 s0, 25
	s_mov_b32 s18, 0
	s_cbranch_scc0 .LBB182_1783
; %bb.1776:
	s_cmp_gt_i32 s0, 28
	s_cbranch_scc0 .LBB182_1784
; %bb.1777:
	s_cmp_gt_i32 s0, 43
	;; [unrolled: 3-line block ×3, first 2 shown]
	s_cbranch_scc0 .LBB182_1787
; %bb.1779:
	s_cmp_eq_u32 s0, 46
	s_mov_b32 s20, 0
	s_cbranch_scc0 .LBB182_1788
; %bb.1780:
	global_load_b32 v1, v[4:5], off
	s_mov_b32 s1, 0
	s_mov_b32 s19, -1
	s_wait_loadcnt 0x0
	v_lshlrev_b32_e32 v1, 16, v1
	s_delay_alu instid0(VALU_DEP_1)
	v_cvt_f16_f32_e32 v8, v1
	s_branch .LBB182_1790
.LBB182_1781:
	s_mov_b32 s19, 0
                                        ; implicit-def: $vgpr8
	s_cbranch_execnz .LBB182_1856
.LBB182_1782:
	s_and_not1_b32 vcc_lo, exec_lo, s19
	s_cbranch_vccz .LBB182_1904
	s_branch .LBB182_3190
.LBB182_1783:
	s_mov_b32 s20, -1
	s_mov_b32 s19, 0
	s_mov_b32 s1, 0
                                        ; implicit-def: $vgpr8
	s_branch .LBB182_1819
.LBB182_1784:
	s_mov_b32 s20, -1
	s_mov_b32 s19, 0
	s_mov_b32 s1, 0
                                        ; implicit-def: $vgpr8
	s_branch .LBB182_1800
.LBB182_1785:
	s_mov_b32 s20, -1
	s_mov_b32 s19, 0
	s_mov_b32 s1, 0
                                        ; implicit-def: $vgpr8
	s_branch .LBB182_1795
.LBB182_1786:
	s_or_b32 s14, s14, exec_lo
	s_trap 2
	s_cbranch_execz .LBB182_1725
	s_branch .LBB182_1726
.LBB182_1787:
	s_mov_b32 s20, -1
	s_mov_b32 s19, 0
	s_mov_b32 s1, 0
	s_branch .LBB182_1789
.LBB182_1788:
	s_mov_b32 s1, -1
	s_mov_b32 s19, 0
.LBB182_1789:
                                        ; implicit-def: $vgpr8
.LBB182_1790:
	s_and_b32 vcc_lo, exec_lo, s20
	s_cbranch_vccz .LBB182_1794
; %bb.1791:
	s_cmp_eq_u32 s0, 44
	s_cbranch_scc0 .LBB182_1793
; %bb.1792:
	global_load_u8 v1, v[4:5], off
	s_mov_b32 s1, 0
	s_mov_b32 s19, -1
	s_wait_loadcnt 0x0
	v_lshlrev_b32_e32 v3, 23, v1
	v_cmp_ne_u32_e32 vcc_lo, 0xff, v1
	s_delay_alu instid0(VALU_DEP_2) | instskip(NEXT) | instid1(VALU_DEP_1)
	v_cvt_f16_f32_e32 v3, v3
	v_cndmask_b32_e32 v3, 0x7e00, v3, vcc_lo
	v_cmp_ne_u32_e32 vcc_lo, 0, v1
	s_delay_alu instid0(VALU_DEP_2)
	v_cndmask_b32_e32 v8, 0, v3, vcc_lo
	s_branch .LBB182_1794
.LBB182_1793:
	s_mov_b32 s1, -1
                                        ; implicit-def: $vgpr8
.LBB182_1794:
	s_mov_b32 s20, 0
.LBB182_1795:
	s_delay_alu instid0(SALU_CYCLE_1)
	s_and_b32 vcc_lo, exec_lo, s20
	s_cbranch_vccz .LBB182_1799
; %bb.1796:
	s_cmp_eq_u32 s0, 29
	s_cbranch_scc0 .LBB182_1798
; %bb.1797:
	global_load_b64 v[8:9], v[4:5], off
	s_mov_b32 s1, 0
	s_mov_b32 s19, -1
	s_mov_b32 s20, 0
	s_wait_loadcnt 0x0
	v_clz_i32_u32_e32 v1, v9
	s_delay_alu instid0(VALU_DEP_1) | instskip(NEXT) | instid1(VALU_DEP_1)
	v_min_u32_e32 v1, 32, v1
	v_lshlrev_b64_e32 v[8:9], v1, v[8:9]
	v_sub_nc_u32_e32 v1, 32, v1
	s_delay_alu instid0(VALU_DEP_2) | instskip(NEXT) | instid1(VALU_DEP_1)
	v_min_u32_e32 v3, 1, v8
	v_or_b32_e32 v3, v9, v3
	s_delay_alu instid0(VALU_DEP_1) | instskip(NEXT) | instid1(VALU_DEP_1)
	v_cvt_f32_u32_e32 v3, v3
	v_ldexp_f32 v1, v3, v1
	s_delay_alu instid0(VALU_DEP_1)
	v_cvt_f16_f32_e32 v8, v1
	s_branch .LBB182_1800
.LBB182_1798:
	s_mov_b32 s1, -1
                                        ; implicit-def: $vgpr8
.LBB182_1799:
	s_mov_b32 s20, 0
.LBB182_1800:
	s_delay_alu instid0(SALU_CYCLE_1)
	s_and_b32 vcc_lo, exec_lo, s20
	s_cbranch_vccz .LBB182_1818
; %bb.1801:
	s_cmp_lt_i32 s0, 27
	s_cbranch_scc1 .LBB182_1804
; %bb.1802:
	s_cmp_gt_i32 s0, 27
	s_cbranch_scc0 .LBB182_1805
; %bb.1803:
	global_load_b32 v1, v[4:5], off
	s_mov_b32 s19, 0
	s_wait_loadcnt 0x0
	v_cvt_f32_u32_e32 v1, v1
	s_delay_alu instid0(VALU_DEP_1)
	v_cvt_f16_f32_e32 v8, v1
	s_branch .LBB182_1806
.LBB182_1804:
	s_mov_b32 s19, -1
                                        ; implicit-def: $vgpr8
	s_branch .LBB182_1809
.LBB182_1805:
	s_mov_b32 s19, -1
                                        ; implicit-def: $vgpr8
.LBB182_1806:
	s_delay_alu instid0(SALU_CYCLE_1)
	s_and_not1_b32 vcc_lo, exec_lo, s19
	s_cbranch_vccnz .LBB182_1808
; %bb.1807:
	global_load_u16 v1, v[4:5], off
	s_wait_loadcnt 0x0
	v_cvt_f16_u16_e32 v8, v1
.LBB182_1808:
	s_mov_b32 s19, 0
.LBB182_1809:
	s_delay_alu instid0(SALU_CYCLE_1)
	s_and_not1_b32 vcc_lo, exec_lo, s19
	s_cbranch_vccnz .LBB182_1817
; %bb.1810:
	global_load_u8 v1, v[4:5], off
	s_mov_b32 s19, 0
	s_mov_b32 s20, exec_lo
	s_wait_loadcnt 0x0
	v_cmpx_lt_i16_e32 0x7f, v1
	s_xor_b32 s20, exec_lo, s20
	s_cbranch_execz .LBB182_1831
; %bb.1811:
	s_mov_b32 s19, -1
	s_mov_b32 s21, exec_lo
	v_cmpx_eq_u16_e32 0x80, v1
; %bb.1812:
	s_xor_b32 s19, exec_lo, -1
; %bb.1813:
	s_or_b32 exec_lo, exec_lo, s21
	s_delay_alu instid0(SALU_CYCLE_1)
	s_and_b32 s19, s19, exec_lo
	s_or_saveexec_b32 s20, s20
	v_mov_b32_e32 v8, 0x7e00
	s_xor_b32 exec_lo, exec_lo, s20
	s_cbranch_execnz .LBB182_1832
.LBB182_1814:
	s_or_b32 exec_lo, exec_lo, s20
	s_and_saveexec_b32 s20, s19
	s_cbranch_execz .LBB182_1816
.LBB182_1815:
	v_and_b32_e32 v3, 0xffff, v1
	s_delay_alu instid0(VALU_DEP_1) | instskip(SKIP_1) | instid1(VALU_DEP_2)
	v_and_b32_e32 v8, 7, v3
	v_bfe_u32 v11, v3, 3, 4
	v_clz_i32_u32_e32 v9, v8
	s_delay_alu instid0(VALU_DEP_2) | instskip(NEXT) | instid1(VALU_DEP_2)
	v_cmp_eq_u32_e32 vcc_lo, 0, v11
	v_min_u32_e32 v9, 32, v9
	s_delay_alu instid0(VALU_DEP_1) | instskip(NEXT) | instid1(VALU_DEP_1)
	v_subrev_nc_u32_e32 v10, 28, v9
	v_dual_lshlrev_b32 v3, v10, v3 :: v_dual_sub_nc_u32 v9, 29, v9
	s_delay_alu instid0(VALU_DEP_1) | instskip(NEXT) | instid1(VALU_DEP_1)
	v_dual_lshlrev_b32 v1, 24, v1 :: v_dual_bitop2_b32 v3, 7, v3 bitop3:0x40
	v_dual_cndmask_b32 v3, v8, v3, vcc_lo :: v_dual_cndmask_b32 v9, v11, v9, vcc_lo
	s_delay_alu instid0(VALU_DEP_2) | instskip(NEXT) | instid1(VALU_DEP_2)
	v_and_b32_e32 v1, 0x80000000, v1
	v_lshlrev_b32_e32 v3, 20, v3
	s_delay_alu instid0(VALU_DEP_3) | instskip(NEXT) | instid1(VALU_DEP_1)
	v_lshl_add_u32 v8, v9, 23, 0x3b800000
	v_or3_b32 v1, v1, v8, v3
	s_delay_alu instid0(VALU_DEP_1)
	v_cvt_f16_f32_e32 v8, v1
.LBB182_1816:
	s_or_b32 exec_lo, exec_lo, s20
.LBB182_1817:
	s_mov_b32 s19, -1
.LBB182_1818:
	s_mov_b32 s20, 0
.LBB182_1819:
	s_delay_alu instid0(SALU_CYCLE_1)
	s_and_b32 vcc_lo, exec_lo, s20
	s_cbranch_vccz .LBB182_1852
; %bb.1820:
	s_cmp_gt_i32 s0, 22
	s_cbranch_scc0 .LBB182_1830
; %bb.1821:
	s_cmp_lt_i32 s0, 24
	s_cbranch_scc1 .LBB182_1833
; %bb.1822:
	s_cmp_gt_i32 s0, 24
	s_cbranch_scc0 .LBB182_1834
; %bb.1823:
	global_load_u8 v1, v[4:5], off
	s_mov_b32 s19, exec_lo
	s_wait_loadcnt 0x0
	v_cmpx_lt_i16_e32 0x7f, v1
	s_xor_b32 s19, exec_lo, s19
	s_cbranch_execz .LBB182_1846
; %bb.1824:
	s_mov_b32 s18, -1
	s_mov_b32 s20, exec_lo
	v_cmpx_eq_u16_e32 0x80, v1
; %bb.1825:
	s_xor_b32 s18, exec_lo, -1
; %bb.1826:
	s_or_b32 exec_lo, exec_lo, s20
	s_delay_alu instid0(SALU_CYCLE_1)
	s_and_b32 s18, s18, exec_lo
	s_or_saveexec_b32 s19, s19
	v_mov_b32_e32 v8, 0x7e00
	s_xor_b32 exec_lo, exec_lo, s19
	s_cbranch_execnz .LBB182_1847
.LBB182_1827:
	s_or_b32 exec_lo, exec_lo, s19
	s_and_saveexec_b32 s19, s18
	s_cbranch_execz .LBB182_1829
.LBB182_1828:
	v_and_b32_e32 v3, 0xffff, v1
	s_delay_alu instid0(VALU_DEP_1) | instskip(SKIP_1) | instid1(VALU_DEP_2)
	v_and_b32_e32 v8, 3, v3
	v_bfe_u32 v11, v3, 2, 5
	v_clz_i32_u32_e32 v9, v8
	s_delay_alu instid0(VALU_DEP_2) | instskip(NEXT) | instid1(VALU_DEP_2)
	v_cmp_eq_u32_e32 vcc_lo, 0, v11
	v_min_u32_e32 v9, 32, v9
	s_delay_alu instid0(VALU_DEP_1) | instskip(NEXT) | instid1(VALU_DEP_1)
	v_subrev_nc_u32_e32 v10, 29, v9
	v_dual_lshlrev_b32 v3, v10, v3 :: v_dual_sub_nc_u32 v9, 30, v9
	s_delay_alu instid0(VALU_DEP_1) | instskip(NEXT) | instid1(VALU_DEP_1)
	v_dual_lshlrev_b32 v1, 24, v1 :: v_dual_bitop2_b32 v3, 3, v3 bitop3:0x40
	v_dual_cndmask_b32 v3, v8, v3, vcc_lo :: v_dual_cndmask_b32 v9, v11, v9, vcc_lo
	s_delay_alu instid0(VALU_DEP_2) | instskip(NEXT) | instid1(VALU_DEP_2)
	v_and_b32_e32 v1, 0x80000000, v1
	v_lshlrev_b32_e32 v3, 21, v3
	s_delay_alu instid0(VALU_DEP_3) | instskip(NEXT) | instid1(VALU_DEP_1)
	v_lshl_add_u32 v8, v9, 23, 0x37800000
	v_or3_b32 v1, v1, v8, v3
	s_delay_alu instid0(VALU_DEP_1)
	v_cvt_f16_f32_e32 v8, v1
.LBB182_1829:
	s_or_b32 exec_lo, exec_lo, s19
	s_mov_b32 s18, 0
	s_branch .LBB182_1835
.LBB182_1830:
	s_mov_b32 s18, -1
                                        ; implicit-def: $vgpr8
	s_branch .LBB182_1841
.LBB182_1831:
	s_or_saveexec_b32 s20, s20
	v_mov_b32_e32 v8, 0x7e00
	s_xor_b32 exec_lo, exec_lo, s20
	s_cbranch_execz .LBB182_1814
.LBB182_1832:
	v_cmp_ne_u16_e32 vcc_lo, 0, v1
	v_mov_b32_e32 v8, v1
	s_and_not1_b32 s19, s19, exec_lo
	s_and_b32 s21, vcc_lo, exec_lo
	s_delay_alu instid0(SALU_CYCLE_1)
	s_or_b32 s19, s19, s21
	s_or_b32 exec_lo, exec_lo, s20
	s_and_saveexec_b32 s20, s19
	s_cbranch_execnz .LBB182_1815
	s_branch .LBB182_1816
.LBB182_1833:
	s_mov_b32 s18, -1
                                        ; implicit-def: $vgpr8
	s_branch .LBB182_1838
.LBB182_1834:
	s_mov_b32 s18, -1
                                        ; implicit-def: $vgpr8
.LBB182_1835:
	s_delay_alu instid0(SALU_CYCLE_1)
	s_and_b32 vcc_lo, exec_lo, s18
	s_cbranch_vccz .LBB182_1837
; %bb.1836:
	global_load_u8 v1, v[4:5], off
	s_wait_loadcnt 0x0
	v_lshlrev_b32_e32 v1, 24, v1
	s_delay_alu instid0(VALU_DEP_1) | instskip(NEXT) | instid1(VALU_DEP_1)
	v_and_b32_e32 v3, 0x7f000000, v1
	v_clz_i32_u32_e32 v8, v3
	v_cmp_ne_u32_e32 vcc_lo, 0, v3
	v_add_nc_u32_e32 v10, 0x1000000, v3
	s_delay_alu instid0(VALU_DEP_3) | instskip(NEXT) | instid1(VALU_DEP_1)
	v_min_u32_e32 v8, 32, v8
	v_sub_nc_u32_e64 v8, v8, 4 clamp
	s_delay_alu instid0(VALU_DEP_1) | instskip(NEXT) | instid1(VALU_DEP_1)
	v_dual_lshlrev_b32 v9, v8, v3 :: v_dual_lshlrev_b32 v8, 23, v8
	v_lshrrev_b32_e32 v9, 4, v9
	s_delay_alu instid0(VALU_DEP_1) | instskip(NEXT) | instid1(VALU_DEP_1)
	v_dual_sub_nc_u32 v8, v9, v8 :: v_dual_ashrrev_i32 v9, 8, v10
	v_add_nc_u32_e32 v8, 0x3c000000, v8
	s_delay_alu instid0(VALU_DEP_1) | instskip(NEXT) | instid1(VALU_DEP_1)
	v_and_or_b32 v8, 0x7f800000, v9, v8
	v_cndmask_b32_e32 v3, 0, v8, vcc_lo
	s_delay_alu instid0(VALU_DEP_1) | instskip(NEXT) | instid1(VALU_DEP_1)
	v_and_or_b32 v1, 0x80000000, v1, v3
	v_cvt_f16_f32_e32 v8, v1
.LBB182_1837:
	s_mov_b32 s18, 0
.LBB182_1838:
	s_delay_alu instid0(SALU_CYCLE_1)
	s_and_not1_b32 vcc_lo, exec_lo, s18
	s_cbranch_vccnz .LBB182_1840
; %bb.1839:
	global_load_u8 v1, v[4:5], off
	s_wait_loadcnt 0x0
	v_lshlrev_b32_e32 v3, 25, v1
	v_lshlrev_b16 v1, 8, v1
	s_delay_alu instid0(VALU_DEP_1) | instskip(NEXT) | instid1(VALU_DEP_3)
	v_and_or_b32 v9, 0x7f00, v1, 0.5
	v_lshrrev_b32_e32 v8, 4, v3
	v_bfe_i32 v1, v1, 0, 16
	s_delay_alu instid0(VALU_DEP_3) | instskip(NEXT) | instid1(VALU_DEP_3)
	v_add_f32_e32 v9, -0.5, v9
	v_or_b32_e32 v8, 0x70000000, v8
	s_delay_alu instid0(VALU_DEP_1) | instskip(SKIP_1) | instid1(VALU_DEP_2)
	v_mul_f32_e32 v8, 0x7800000, v8
	v_cmp_gt_u32_e32 vcc_lo, 0x8000000, v3
	v_cndmask_b32_e32 v3, v8, v9, vcc_lo
	s_delay_alu instid0(VALU_DEP_1) | instskip(NEXT) | instid1(VALU_DEP_1)
	v_and_or_b32 v1, 0x80000000, v1, v3
	v_cvt_f16_f32_e32 v8, v1
.LBB182_1840:
	s_mov_b32 s18, 0
	s_mov_b32 s19, -1
.LBB182_1841:
	s_and_not1_b32 vcc_lo, exec_lo, s18
	s_mov_b32 s18, 0
	s_cbranch_vccnz .LBB182_1852
; %bb.1842:
	s_cmp_gt_i32 s0, 14
	s_cbranch_scc0 .LBB182_1845
; %bb.1843:
	s_cmp_eq_u32 s0, 15
	s_cbranch_scc0 .LBB182_1848
; %bb.1844:
	global_load_u16 v1, v[4:5], off
	s_mov_b32 s1, 0
	s_mov_b32 s19, -1
	s_wait_loadcnt 0x0
	v_lshlrev_b32_e32 v1, 16, v1
	s_delay_alu instid0(VALU_DEP_1)
	v_cvt_f16_f32_e32 v8, v1
	s_branch .LBB182_1850
.LBB182_1845:
	s_mov_b32 s18, -1
	s_branch .LBB182_1849
.LBB182_1846:
	s_or_saveexec_b32 s19, s19
	v_mov_b32_e32 v8, 0x7e00
	s_xor_b32 exec_lo, exec_lo, s19
	s_cbranch_execz .LBB182_1827
.LBB182_1847:
	v_cmp_ne_u16_e32 vcc_lo, 0, v1
	v_mov_b32_e32 v8, v1
	s_and_not1_b32 s18, s18, exec_lo
	s_and_b32 s20, vcc_lo, exec_lo
	s_delay_alu instid0(SALU_CYCLE_1)
	s_or_b32 s18, s18, s20
	s_or_b32 exec_lo, exec_lo, s19
	s_and_saveexec_b32 s19, s18
	s_cbranch_execnz .LBB182_1828
	s_branch .LBB182_1829
.LBB182_1848:
	s_mov_b32 s1, -1
.LBB182_1849:
                                        ; implicit-def: $vgpr8
.LBB182_1850:
	s_and_b32 vcc_lo, exec_lo, s18
	s_mov_b32 s18, 0
	s_cbranch_vccz .LBB182_1852
; %bb.1851:
	s_cmp_lg_u32 s0, 11
	s_mov_b32 s18, -1
	s_cselect_b32 s1, -1, 0
.LBB182_1852:
	s_delay_alu instid0(SALU_CYCLE_1)
	s_and_b32 vcc_lo, exec_lo, s1
	s_cbranch_vccnz .LBB182_1934
; %bb.1853:
	s_and_not1_b32 vcc_lo, exec_lo, s18
	s_cbranch_vccnz .LBB182_1855
.LBB182_1854:
	global_load_u8 v1, v[4:5], off
	s_mov_b32 s19, -1
	s_wait_loadcnt 0x0
	v_cmp_ne_u16_e32 vcc_lo, 0, v1
	v_cndmask_b32_e64 v8, 0, 0x3c00, vcc_lo
.LBB182_1855:
	s_branch .LBB182_1782
.LBB182_1856:
	s_cmp_lt_i32 s0, 5
	s_cbranch_scc1 .LBB182_1861
; %bb.1857:
	s_cmp_lt_i32 s0, 8
	s_cbranch_scc1 .LBB182_1862
; %bb.1858:
	;; [unrolled: 3-line block ×3, first 2 shown]
	s_cmp_gt_i32 s0, 9
	s_cbranch_scc0 .LBB182_1864
; %bb.1860:
	global_load_b64 v[8:9], v[4:5], off
	s_mov_b32 s1, 0
	s_wait_loadcnt 0x0
	v_and_or_b32 v1, 0x1ff, v9, v8
	v_lshrrev_b32_e32 v3, 8, v9
	v_bfe_u32 v8, v9, 20, 11
	s_delay_alu instid0(VALU_DEP_3) | instskip(NEXT) | instid1(VALU_DEP_2)
	v_cmp_ne_u32_e32 vcc_lo, 0, v1
	v_sub_nc_u32_e32 v10, 0x3f1, v8
	v_add_nc_u32_e32 v8, 0xfffffc10, v8
	v_cndmask_b32_e64 v1, 0, 1, vcc_lo
	s_delay_alu instid0(VALU_DEP_1) | instskip(NEXT) | instid1(VALU_DEP_4)
	v_and_or_b32 v1, 0xffe, v3, v1
	v_med3_i32 v3, v10, 0, 13
	s_delay_alu instid0(VALU_DEP_2) | instskip(NEXT) | instid1(VALU_DEP_1)
	v_or_b32_e32 v10, 0x1000, v1
	v_lshrrev_b32_e32 v11, v3, v10
	s_delay_alu instid0(VALU_DEP_1) | instskip(NEXT) | instid1(VALU_DEP_1)
	v_lshlrev_b32_e32 v3, v3, v11
	v_cmp_ne_u32_e32 vcc_lo, v3, v10
	v_lshl_or_b32 v10, v8, 12, v1
	v_cndmask_b32_e64 v3, 0, 1, vcc_lo
	v_cmp_gt_i32_e32 vcc_lo, 1, v8
	s_delay_alu instid0(VALU_DEP_2) | instskip(NEXT) | instid1(VALU_DEP_1)
	v_or_b32_e32 v3, v11, v3
	v_cndmask_b32_e32 v3, v10, v3, vcc_lo
	s_delay_alu instid0(VALU_DEP_1) | instskip(NEXT) | instid1(VALU_DEP_1)
	v_dual_lshrrev_b32 v3, 2, v3 :: v_dual_bitop2_b32 v10, 7, v3 bitop3:0x40
	v_cmp_lt_i32_e32 vcc_lo, 5, v10
	v_cndmask_b32_e64 v11, 0, 1, vcc_lo
	v_cmp_eq_u32_e32 vcc_lo, 3, v10
	v_cndmask_b32_e64 v10, 0, 1, vcc_lo
	v_cmp_ne_u32_e32 vcc_lo, 0, v1
	s_delay_alu instid0(VALU_DEP_2) | instskip(SKIP_1) | instid1(VALU_DEP_2)
	v_or_b32_e32 v10, v10, v11
	v_mov_b32_e32 v11, 0x7e00
	v_add_nc_u32_e32 v3, v3, v10
	s_delay_alu instid0(VALU_DEP_2) | instskip(SKIP_1) | instid1(VALU_DEP_3)
	v_cndmask_b32_e32 v1, 0x7c00, v11, vcc_lo
	v_cmp_gt_i32_e32 vcc_lo, 31, v8
	v_cndmask_b32_e32 v3, 0x7c00, v3, vcc_lo
	v_cmp_eq_u32_e32 vcc_lo, 0x40f, v8
	s_delay_alu instid0(VALU_DEP_2) | instskip(SKIP_1) | instid1(VALU_DEP_1)
	v_cndmask_b32_e32 v1, v3, v1, vcc_lo
	v_lshrrev_b32_e32 v3, 16, v9
	v_and_or_b32 v8, 0x8000, v3, v1
	s_branch .LBB182_1865
.LBB182_1861:
	s_mov_b32 s1, -1
                                        ; implicit-def: $vgpr8
	s_branch .LBB182_1883
.LBB182_1862:
	s_mov_b32 s1, -1
                                        ; implicit-def: $vgpr8
	s_branch .LBB182_1871
.LBB182_1863:
	s_mov_b32 s1, -1
                                        ; implicit-def: $vgpr8
	s_branch .LBB182_1868
.LBB182_1864:
	s_mov_b32 s1, -1
                                        ; implicit-def: $vgpr8
.LBB182_1865:
	s_delay_alu instid0(SALU_CYCLE_1)
	s_and_not1_b32 vcc_lo, exec_lo, s1
	s_cbranch_vccnz .LBB182_1867
; %bb.1866:
	global_load_b32 v1, v[4:5], off
	s_wait_loadcnt 0x0
	v_cvt_f16_f32_e32 v8, v1
.LBB182_1867:
	s_mov_b32 s1, 0
.LBB182_1868:
	s_delay_alu instid0(SALU_CYCLE_1)
	s_and_not1_b32 vcc_lo, exec_lo, s1
	s_cbranch_vccnz .LBB182_1870
; %bb.1869:
	global_load_b32 v8, v[4:5], off
.LBB182_1870:
	s_mov_b32 s1, 0
.LBB182_1871:
	s_delay_alu instid0(SALU_CYCLE_1)
	s_and_not1_b32 vcc_lo, exec_lo, s1
	s_cbranch_vccnz .LBB182_1882
; %bb.1872:
	s_cmp_lt_i32 s0, 6
	s_cbranch_scc1 .LBB182_1875
; %bb.1873:
	s_cmp_gt_i32 s0, 6
	s_cbranch_scc0 .LBB182_1876
; %bb.1874:
	s_wait_loadcnt 0x0
	global_load_b64 v[8:9], v[4:5], off
	s_mov_b32 s1, 0
	s_wait_loadcnt 0x0
	v_and_or_b32 v1, 0x1ff, v9, v8
	v_lshrrev_b32_e32 v3, 8, v9
	v_bfe_u32 v8, v9, 20, 11
	s_delay_alu instid0(VALU_DEP_3) | instskip(NEXT) | instid1(VALU_DEP_2)
	v_cmp_ne_u32_e32 vcc_lo, 0, v1
	v_sub_nc_u32_e32 v10, 0x3f1, v8
	v_add_nc_u32_e32 v8, 0xfffffc10, v8
	v_cndmask_b32_e64 v1, 0, 1, vcc_lo
	s_delay_alu instid0(VALU_DEP_1) | instskip(NEXT) | instid1(VALU_DEP_4)
	v_and_or_b32 v1, 0xffe, v3, v1
	v_med3_i32 v3, v10, 0, 13
	s_delay_alu instid0(VALU_DEP_2) | instskip(NEXT) | instid1(VALU_DEP_1)
	v_or_b32_e32 v10, 0x1000, v1
	v_lshrrev_b32_e32 v11, v3, v10
	s_delay_alu instid0(VALU_DEP_1) | instskip(NEXT) | instid1(VALU_DEP_1)
	v_lshlrev_b32_e32 v3, v3, v11
	v_cmp_ne_u32_e32 vcc_lo, v3, v10
	v_lshl_or_b32 v10, v8, 12, v1
	v_cndmask_b32_e64 v3, 0, 1, vcc_lo
	v_cmp_gt_i32_e32 vcc_lo, 1, v8
	s_delay_alu instid0(VALU_DEP_2) | instskip(NEXT) | instid1(VALU_DEP_1)
	v_or_b32_e32 v3, v11, v3
	v_cndmask_b32_e32 v3, v10, v3, vcc_lo
	s_delay_alu instid0(VALU_DEP_1) | instskip(NEXT) | instid1(VALU_DEP_1)
	v_dual_lshrrev_b32 v3, 2, v3 :: v_dual_bitop2_b32 v10, 7, v3 bitop3:0x40
	v_cmp_lt_i32_e32 vcc_lo, 5, v10
	v_cndmask_b32_e64 v11, 0, 1, vcc_lo
	v_cmp_eq_u32_e32 vcc_lo, 3, v10
	v_cndmask_b32_e64 v10, 0, 1, vcc_lo
	v_cmp_ne_u32_e32 vcc_lo, 0, v1
	s_delay_alu instid0(VALU_DEP_2) | instskip(SKIP_1) | instid1(VALU_DEP_2)
	v_or_b32_e32 v10, v10, v11
	v_mov_b32_e32 v11, 0x7e00
	v_add_nc_u32_e32 v3, v3, v10
	s_delay_alu instid0(VALU_DEP_2) | instskip(SKIP_1) | instid1(VALU_DEP_3)
	v_cndmask_b32_e32 v1, 0x7c00, v11, vcc_lo
	v_cmp_gt_i32_e32 vcc_lo, 31, v8
	v_cndmask_b32_e32 v3, 0x7c00, v3, vcc_lo
	v_cmp_eq_u32_e32 vcc_lo, 0x40f, v8
	s_delay_alu instid0(VALU_DEP_2) | instskip(SKIP_1) | instid1(VALU_DEP_1)
	v_cndmask_b32_e32 v1, v3, v1, vcc_lo
	v_lshrrev_b32_e32 v3, 16, v9
	v_and_or_b32 v8, 0x8000, v3, v1
	s_branch .LBB182_1877
.LBB182_1875:
	s_mov_b32 s1, -1
                                        ; implicit-def: $vgpr8
	s_branch .LBB182_1880
.LBB182_1876:
	s_mov_b32 s1, -1
                                        ; implicit-def: $vgpr8
.LBB182_1877:
	s_delay_alu instid0(SALU_CYCLE_1)
	s_and_not1_b32 vcc_lo, exec_lo, s1
	s_cbranch_vccnz .LBB182_1879
; %bb.1878:
	global_load_b32 v1, v[4:5], off
	s_wait_loadcnt 0x0
	v_cvt_f16_f32_e32 v8, v1
.LBB182_1879:
	s_mov_b32 s1, 0
.LBB182_1880:
	s_delay_alu instid0(SALU_CYCLE_1)
	s_and_not1_b32 vcc_lo, exec_lo, s1
	s_cbranch_vccnz .LBB182_1882
; %bb.1881:
	s_wait_loadcnt 0x0
	global_load_u16 v8, v[4:5], off
.LBB182_1882:
	s_mov_b32 s1, 0
.LBB182_1883:
	s_delay_alu instid0(SALU_CYCLE_1)
	s_and_not1_b32 vcc_lo, exec_lo, s1
	s_cbranch_vccnz .LBB182_1903
; %bb.1884:
	s_cmp_lt_i32 s0, 2
	s_cbranch_scc1 .LBB182_1888
; %bb.1885:
	s_cmp_lt_i32 s0, 3
	s_cbranch_scc1 .LBB182_1889
; %bb.1886:
	s_cmp_gt_i32 s0, 3
	s_cbranch_scc0 .LBB182_1890
; %bb.1887:
	s_wait_loadcnt 0x0
	global_load_b64 v[8:9], v[4:5], off
	s_mov_b32 s1, 0
	s_wait_loadcnt 0x0
	v_xor_b32_e32 v1, v8, v9
	v_cls_i32_e32 v3, v9
	s_delay_alu instid0(VALU_DEP_2) | instskip(NEXT) | instid1(VALU_DEP_1)
	v_ashrrev_i32_e32 v1, 31, v1
	v_add_nc_u32_e32 v1, 32, v1
	s_delay_alu instid0(VALU_DEP_1) | instskip(NEXT) | instid1(VALU_DEP_1)
	v_add_min_u32_e64 v1, v3, -1, v1
	v_lshlrev_b64_e32 v[8:9], v1, v[8:9]
	v_sub_nc_u32_e32 v1, 32, v1
	s_delay_alu instid0(VALU_DEP_2) | instskip(NEXT) | instid1(VALU_DEP_1)
	v_min_u32_e32 v3, 1, v8
	v_or_b32_e32 v3, v9, v3
	s_delay_alu instid0(VALU_DEP_1) | instskip(NEXT) | instid1(VALU_DEP_1)
	v_cvt_f32_i32_e32 v3, v3
	v_ldexp_f32 v1, v3, v1
	s_delay_alu instid0(VALU_DEP_1)
	v_cvt_f16_f32_e32 v8, v1
	s_branch .LBB182_1891
.LBB182_1888:
	s_mov_b32 s1, -1
                                        ; implicit-def: $vgpr8
	s_branch .LBB182_1897
.LBB182_1889:
	s_mov_b32 s1, -1
                                        ; implicit-def: $vgpr8
	s_branch .LBB182_1894
.LBB182_1890:
	s_mov_b32 s1, -1
                                        ; implicit-def: $vgpr8
.LBB182_1891:
	s_delay_alu instid0(SALU_CYCLE_1)
	s_and_not1_b32 vcc_lo, exec_lo, s1
	s_cbranch_vccnz .LBB182_1893
; %bb.1892:
	global_load_b32 v1, v[4:5], off
	s_wait_loadcnt 0x0
	v_cvt_f32_i32_e32 v1, v1
	s_delay_alu instid0(VALU_DEP_1)
	v_cvt_f16_f32_e32 v8, v1
.LBB182_1893:
	s_mov_b32 s1, 0
.LBB182_1894:
	s_delay_alu instid0(SALU_CYCLE_1)
	s_and_not1_b32 vcc_lo, exec_lo, s1
	s_cbranch_vccnz .LBB182_1896
; %bb.1895:
	global_load_u16 v1, v[4:5], off
	s_wait_loadcnt 0x0
	v_cvt_f16_i16_e32 v8, v1
.LBB182_1896:
	s_mov_b32 s1, 0
.LBB182_1897:
	s_delay_alu instid0(SALU_CYCLE_1)
	s_and_not1_b32 vcc_lo, exec_lo, s1
	s_cbranch_vccnz .LBB182_1903
; %bb.1898:
	s_cmp_gt_i32 s0, 0
	s_mov_b32 s1, 0
	s_cbranch_scc0 .LBB182_1900
; %bb.1899:
	global_load_i8 v1, v[4:5], off
	s_wait_loadcnt 0x0
	v_cvt_f16_i16_e32 v8, v1
	s_branch .LBB182_1901
.LBB182_1900:
	s_mov_b32 s1, -1
                                        ; implicit-def: $vgpr8
.LBB182_1901:
	s_delay_alu instid0(SALU_CYCLE_1)
	s_and_not1_b32 vcc_lo, exec_lo, s1
	s_cbranch_vccnz .LBB182_1903
; %bb.1902:
	global_load_u8 v1, v[4:5], off
	s_wait_loadcnt 0x0
	v_cvt_f16_u16_e32 v8, v1
.LBB182_1903:
.LBB182_1904:
	s_cmp_lt_i32 s15, 23
	s_cbranch_scc1 .LBB182_1908
; %bb.1905:
	s_and_b32 s19, 0xffff, s15
	s_delay_alu instid0(SALU_CYCLE_1)
	s_cmp_gt_i32 s19, 43
	s_cbranch_scc0 .LBB182_1909
; %bb.1906:
	s_cmp_gt_i32 s19, 45
	s_cbranch_scc0 .LBB182_1910
; %bb.1907:
	s_cmp_lg_u32 s19, 46
	s_mov_b32 s20, 0
	s_mov_b32 s1, -1
	s_cselect_b32 s18, -1, 0
	s_branch .LBB182_1911
.LBB182_1908:
	s_mov_b32 s19, -1
	s_mov_b32 s1, 0
	s_mov_b32 s18, 0
	s_branch .LBB182_1917
.LBB182_1909:
	s_mov_b32 s20, -1
	s_mov_b32 s1, 0
	s_mov_b32 s18, 0
	s_branch .LBB182_1914
.LBB182_1910:
	s_mov_b32 s20, -1
	s_mov_b32 s1, 0
	s_mov_b32 s18, 0
.LBB182_1911:
	s_and_not1_b32 vcc_lo, exec_lo, s20
	s_cbranch_vccnz .LBB182_1913
; %bb.1912:
	s_cmp_eq_u32 s19, 44
	s_cselect_b32 s1, -1, 0
	s_cmp_lg_u32 s19, 44
	s_cselect_b32 s18, -1, 0
.LBB182_1913:
	s_mov_b32 s20, 0
.LBB182_1914:
	s_delay_alu instid0(SALU_CYCLE_1)
	s_and_b32 vcc_lo, exec_lo, s20
	s_cbranch_vccz .LBB182_1916
; %bb.1915:
	s_cmp_lt_i32 s19, 30
	s_cselect_b32 s1, -1, 0
	s_cmp_gt_i32 s19, 29
	s_cselect_b32 s18, -1, 0
.LBB182_1916:
	s_mov_b32 s19, 0
.LBB182_1917:
	s_delay_alu instid0(SALU_CYCLE_1)
	s_and_b32 vcc_lo, exec_lo, s19
	s_cbranch_vccz .LBB182_1922
; %bb.1918:
	s_and_b32 s19, 0xffff, s15
	s_mov_b32 s20, -1
	s_cmp_gt_i32 s19, 14
	s_cbranch_scc0 .LBB182_1920
; %bb.1919:
	s_cmp_eq_u32 s19, 15
	s_mov_b32 s20, 0
	s_cselect_b32 s1, -1, 0
	s_cmp_lg_u32 s19, 15
	s_cselect_b32 s18, -1, 0
.LBB182_1920:
	s_and_not1_b32 vcc_lo, exec_lo, s20
	s_cbranch_vccnz .LBB182_1922
; %bb.1921:
	s_cmp_lt_i32 s19, 12
	s_cselect_b32 s1, -1, 0
	s_cmp_gt_i32 s19, 11
	s_cselect_b32 s18, -1, 0
.LBB182_1922:
	s_delay_alu instid0(SALU_CYCLE_1)
	s_and_b32 vcc_lo, exec_lo, s18
	s_cbranch_vccnz .LBB182_1935
; %bb.1923:
	s_and_not1_b32 vcc_lo, exec_lo, s1
	s_cbranch_vccnz .LBB182_3190
.LBB182_1924:
	s_lshl_b32 s1, s8, 7
	s_cmp_lt_i32 s13, 11
	v_add_nc_u32_e32 v0, s1, v0
	s_delay_alu instid0(VALU_DEP_1) | instskip(SKIP_1) | instid1(VALU_DEP_1)
	v_ashrrev_i32_e32 v1, 31, v0
	s_wait_xcnt 0x0
	v_add_nc_u64_e32 v[4:5], s[4:5], v[0:1]
	s_cbranch_scc1 .LBB182_1931
; %bb.1925:
	s_and_b32 s8, 0xffff, s13
	s_mov_b32 s19, 0
	s_cmp_gt_i32 s8, 25
	s_cbranch_scc0 .LBB182_1932
; %bb.1926:
	s_cmp_gt_i32 s8, 28
	s_cbranch_scc0 .LBB182_1933
; %bb.1927:
	s_cmp_gt_i32 s8, 43
	s_cbranch_scc0 .LBB182_1936
; %bb.1928:
	s_cmp_gt_i32 s8, 45
	s_cbranch_scc0 .LBB182_1937
; %bb.1929:
	s_cmp_eq_u32 s8, 46
	s_mov_b32 s21, 0
	s_cbranch_scc0 .LBB182_1938
; %bb.1930:
	global_load_b32 v1, v[4:5], off
	s_mov_b32 s18, 0
	s_mov_b32 s20, -1
	s_wait_loadcnt 0x0
	v_lshlrev_b32_e32 v1, 16, v1
	s_delay_alu instid0(VALU_DEP_1)
	v_cvt_f16_f32_e32 v9, v1
	s_branch .LBB182_1940
.LBB182_1931:
	s_mov_b32 s8, -1
	s_mov_b32 s20, 0
                                        ; implicit-def: $vgpr9
	s_branch .LBB182_2006
.LBB182_1932:
	s_mov_b32 s21, -1
	s_mov_b32 s20, 0
	s_mov_b32 s18, 0
                                        ; implicit-def: $vgpr9
	s_branch .LBB182_1969
.LBB182_1933:
	s_mov_b32 s21, -1
	s_mov_b32 s20, 0
	s_mov_b32 s18, 0
                                        ; implicit-def: $vgpr9
	s_branch .LBB182_1950
.LBB182_1934:
	s_or_b32 s14, s14, exec_lo
	s_trap 2
	s_cbranch_execz .LBB182_1854
	s_branch .LBB182_1855
.LBB182_1935:
	s_or_b32 s14, s14, exec_lo
	s_trap 2
	s_cbranch_execz .LBB182_1924
	s_branch .LBB182_3190
.LBB182_1936:
	s_mov_b32 s21, -1
	s_mov_b32 s20, 0
	s_mov_b32 s18, 0
                                        ; implicit-def: $vgpr9
	s_branch .LBB182_1945
.LBB182_1937:
	s_mov_b32 s21, -1
	s_mov_b32 s20, 0
	s_mov_b32 s18, 0
	s_branch .LBB182_1939
.LBB182_1938:
	s_mov_b32 s18, -1
	s_mov_b32 s20, 0
.LBB182_1939:
                                        ; implicit-def: $vgpr9
.LBB182_1940:
	s_and_b32 vcc_lo, exec_lo, s21
	s_cbranch_vccz .LBB182_1944
; %bb.1941:
	s_cmp_eq_u32 s8, 44
	s_cbranch_scc0 .LBB182_1943
; %bb.1942:
	global_load_u8 v1, v[4:5], off
	s_mov_b32 s18, 0
	s_mov_b32 s20, -1
	s_wait_loadcnt 0x0
	v_lshlrev_b32_e32 v3, 23, v1
	v_cmp_ne_u32_e32 vcc_lo, 0xff, v1
	s_delay_alu instid0(VALU_DEP_2) | instskip(NEXT) | instid1(VALU_DEP_1)
	v_cvt_f16_f32_e32 v3, v3
	v_cndmask_b32_e32 v3, 0x7e00, v3, vcc_lo
	v_cmp_ne_u32_e32 vcc_lo, 0, v1
	s_delay_alu instid0(VALU_DEP_2)
	v_cndmask_b32_e32 v9, 0, v3, vcc_lo
	s_branch .LBB182_1944
.LBB182_1943:
	s_mov_b32 s18, -1
                                        ; implicit-def: $vgpr9
.LBB182_1944:
	s_mov_b32 s21, 0
.LBB182_1945:
	s_delay_alu instid0(SALU_CYCLE_1)
	s_and_b32 vcc_lo, exec_lo, s21
	s_cbranch_vccz .LBB182_1949
; %bb.1946:
	s_cmp_eq_u32 s8, 29
	s_cbranch_scc0 .LBB182_1948
; %bb.1947:
	global_load_b64 v[10:11], v[4:5], off
	s_mov_b32 s18, 0
	s_mov_b32 s20, -1
	s_mov_b32 s21, 0
	s_wait_loadcnt 0x0
	v_clz_i32_u32_e32 v1, v11
	s_delay_alu instid0(VALU_DEP_1) | instskip(NEXT) | instid1(VALU_DEP_1)
	v_min_u32_e32 v1, 32, v1
	v_lshlrev_b64_e32 v[10:11], v1, v[10:11]
	v_sub_nc_u32_e32 v1, 32, v1
	s_delay_alu instid0(VALU_DEP_2) | instskip(NEXT) | instid1(VALU_DEP_1)
	v_min_u32_e32 v3, 1, v10
	v_or_b32_e32 v3, v11, v3
	s_delay_alu instid0(VALU_DEP_1) | instskip(NEXT) | instid1(VALU_DEP_1)
	v_cvt_f32_u32_e32 v3, v3
	v_ldexp_f32 v1, v3, v1
	s_delay_alu instid0(VALU_DEP_1)
	v_cvt_f16_f32_e32 v9, v1
	s_branch .LBB182_1950
.LBB182_1948:
	s_mov_b32 s18, -1
                                        ; implicit-def: $vgpr9
.LBB182_1949:
	s_mov_b32 s21, 0
.LBB182_1950:
	s_delay_alu instid0(SALU_CYCLE_1)
	s_and_b32 vcc_lo, exec_lo, s21
	s_cbranch_vccz .LBB182_1968
; %bb.1951:
	s_cmp_lt_i32 s8, 27
	s_cbranch_scc1 .LBB182_1954
; %bb.1952:
	s_cmp_gt_i32 s8, 27
	s_cbranch_scc0 .LBB182_1955
; %bb.1953:
	global_load_b32 v1, v[4:5], off
	s_mov_b32 s20, 0
	s_wait_loadcnt 0x0
	v_cvt_f32_u32_e32 v1, v1
	s_delay_alu instid0(VALU_DEP_1)
	v_cvt_f16_f32_e32 v9, v1
	s_branch .LBB182_1956
.LBB182_1954:
	s_mov_b32 s20, -1
                                        ; implicit-def: $vgpr9
	s_branch .LBB182_1959
.LBB182_1955:
	s_mov_b32 s20, -1
                                        ; implicit-def: $vgpr9
.LBB182_1956:
	s_delay_alu instid0(SALU_CYCLE_1)
	s_and_not1_b32 vcc_lo, exec_lo, s20
	s_cbranch_vccnz .LBB182_1958
; %bb.1957:
	global_load_u16 v1, v[4:5], off
	s_wait_loadcnt 0x0
	v_cvt_f16_u16_e32 v9, v1
.LBB182_1958:
	s_mov_b32 s20, 0
.LBB182_1959:
	s_delay_alu instid0(SALU_CYCLE_1)
	s_and_not1_b32 vcc_lo, exec_lo, s20
	s_cbranch_vccnz .LBB182_1967
; %bb.1960:
	global_load_u8 v1, v[4:5], off
	s_mov_b32 s20, 0
	s_mov_b32 s21, exec_lo
	s_wait_loadcnt 0x0
	v_cmpx_lt_i16_e32 0x7f, v1
	s_xor_b32 s21, exec_lo, s21
	s_cbranch_execz .LBB182_1981
; %bb.1961:
	s_mov_b32 s20, -1
	s_mov_b32 s22, exec_lo
	v_cmpx_eq_u16_e32 0x80, v1
; %bb.1962:
	s_xor_b32 s20, exec_lo, -1
; %bb.1963:
	s_or_b32 exec_lo, exec_lo, s22
	s_delay_alu instid0(SALU_CYCLE_1)
	s_and_b32 s20, s20, exec_lo
	s_or_saveexec_b32 s21, s21
	v_mov_b32_e32 v9, 0x7e00
	s_xor_b32 exec_lo, exec_lo, s21
	s_cbranch_execnz .LBB182_1982
.LBB182_1964:
	s_or_b32 exec_lo, exec_lo, s21
	s_and_saveexec_b32 s21, s20
	s_cbranch_execz .LBB182_1966
.LBB182_1965:
	v_and_b32_e32 v3, 0xffff, v1
	s_delay_alu instid0(VALU_DEP_1) | instskip(SKIP_1) | instid1(VALU_DEP_2)
	v_and_b32_e32 v9, 7, v3
	v_bfe_u32 v12, v3, 3, 4
	v_clz_i32_u32_e32 v10, v9
	s_delay_alu instid0(VALU_DEP_2) | instskip(NEXT) | instid1(VALU_DEP_2)
	v_cmp_eq_u32_e32 vcc_lo, 0, v12
	v_min_u32_e32 v10, 32, v10
	s_delay_alu instid0(VALU_DEP_1) | instskip(NEXT) | instid1(VALU_DEP_1)
	v_subrev_nc_u32_e32 v11, 28, v10
	v_dual_lshlrev_b32 v3, v11, v3 :: v_dual_sub_nc_u32 v10, 29, v10
	s_delay_alu instid0(VALU_DEP_1) | instskip(NEXT) | instid1(VALU_DEP_1)
	v_dual_lshlrev_b32 v1, 24, v1 :: v_dual_bitop2_b32 v3, 7, v3 bitop3:0x40
	v_dual_cndmask_b32 v10, v12, v10 :: v_dual_cndmask_b32 v3, v9, v3
	s_delay_alu instid0(VALU_DEP_2) | instskip(NEXT) | instid1(VALU_DEP_2)
	v_and_b32_e32 v1, 0x80000000, v1
	v_lshl_add_u32 v9, v10, 23, 0x3b800000
	s_delay_alu instid0(VALU_DEP_3) | instskip(NEXT) | instid1(VALU_DEP_1)
	v_lshlrev_b32_e32 v3, 20, v3
	v_or3_b32 v1, v1, v9, v3
	s_delay_alu instid0(VALU_DEP_1)
	v_cvt_f16_f32_e32 v9, v1
.LBB182_1966:
	s_or_b32 exec_lo, exec_lo, s21
.LBB182_1967:
	s_mov_b32 s20, -1
.LBB182_1968:
	s_mov_b32 s21, 0
.LBB182_1969:
	s_delay_alu instid0(SALU_CYCLE_1)
	s_and_b32 vcc_lo, exec_lo, s21
	s_cbranch_vccz .LBB182_2002
; %bb.1970:
	s_cmp_gt_i32 s8, 22
	s_cbranch_scc0 .LBB182_1980
; %bb.1971:
	s_cmp_lt_i32 s8, 24
	s_cbranch_scc1 .LBB182_1983
; %bb.1972:
	s_cmp_gt_i32 s8, 24
	s_cbranch_scc0 .LBB182_1984
; %bb.1973:
	global_load_u8 v1, v[4:5], off
	s_mov_b32 s20, exec_lo
	s_wait_loadcnt 0x0
	v_cmpx_lt_i16_e32 0x7f, v1
	s_xor_b32 s20, exec_lo, s20
	s_cbranch_execz .LBB182_1996
; %bb.1974:
	s_mov_b32 s19, -1
	s_mov_b32 s21, exec_lo
	v_cmpx_eq_u16_e32 0x80, v1
; %bb.1975:
	s_xor_b32 s19, exec_lo, -1
; %bb.1976:
	s_or_b32 exec_lo, exec_lo, s21
	s_delay_alu instid0(SALU_CYCLE_1)
	s_and_b32 s19, s19, exec_lo
	s_or_saveexec_b32 s20, s20
	v_mov_b32_e32 v9, 0x7e00
	s_xor_b32 exec_lo, exec_lo, s20
	s_cbranch_execnz .LBB182_1997
.LBB182_1977:
	s_or_b32 exec_lo, exec_lo, s20
	s_and_saveexec_b32 s20, s19
	s_cbranch_execz .LBB182_1979
.LBB182_1978:
	v_and_b32_e32 v3, 0xffff, v1
	s_delay_alu instid0(VALU_DEP_1) | instskip(SKIP_1) | instid1(VALU_DEP_2)
	v_and_b32_e32 v9, 3, v3
	v_bfe_u32 v12, v3, 2, 5
	v_clz_i32_u32_e32 v10, v9
	s_delay_alu instid0(VALU_DEP_2) | instskip(NEXT) | instid1(VALU_DEP_2)
	v_cmp_eq_u32_e32 vcc_lo, 0, v12
	v_min_u32_e32 v10, 32, v10
	s_delay_alu instid0(VALU_DEP_1) | instskip(NEXT) | instid1(VALU_DEP_1)
	v_subrev_nc_u32_e32 v11, 29, v10
	v_dual_lshlrev_b32 v3, v11, v3 :: v_dual_sub_nc_u32 v10, 30, v10
	s_delay_alu instid0(VALU_DEP_1) | instskip(NEXT) | instid1(VALU_DEP_1)
	v_dual_lshlrev_b32 v1, 24, v1 :: v_dual_bitop2_b32 v3, 3, v3 bitop3:0x40
	v_dual_cndmask_b32 v10, v12, v10 :: v_dual_cndmask_b32 v3, v9, v3
	s_delay_alu instid0(VALU_DEP_2) | instskip(NEXT) | instid1(VALU_DEP_2)
	v_and_b32_e32 v1, 0x80000000, v1
	v_lshl_add_u32 v9, v10, 23, 0x37800000
	s_delay_alu instid0(VALU_DEP_3) | instskip(NEXT) | instid1(VALU_DEP_1)
	v_lshlrev_b32_e32 v3, 21, v3
	v_or3_b32 v1, v1, v9, v3
	s_delay_alu instid0(VALU_DEP_1)
	v_cvt_f16_f32_e32 v9, v1
.LBB182_1979:
	s_or_b32 exec_lo, exec_lo, s20
	s_mov_b32 s19, 0
	s_branch .LBB182_1985
.LBB182_1980:
	s_mov_b32 s19, -1
                                        ; implicit-def: $vgpr9
	s_branch .LBB182_1991
.LBB182_1981:
	s_or_saveexec_b32 s21, s21
	v_mov_b32_e32 v9, 0x7e00
	s_xor_b32 exec_lo, exec_lo, s21
	s_cbranch_execz .LBB182_1964
.LBB182_1982:
	v_cmp_ne_u16_e32 vcc_lo, 0, v1
	v_mov_b32_e32 v9, v1
	s_and_not1_b32 s20, s20, exec_lo
	s_and_b32 s22, vcc_lo, exec_lo
	s_delay_alu instid0(SALU_CYCLE_1)
	s_or_b32 s20, s20, s22
	s_or_b32 exec_lo, exec_lo, s21
	s_and_saveexec_b32 s21, s20
	s_cbranch_execnz .LBB182_1965
	s_branch .LBB182_1966
.LBB182_1983:
	s_mov_b32 s19, -1
                                        ; implicit-def: $vgpr9
	s_branch .LBB182_1988
.LBB182_1984:
	s_mov_b32 s19, -1
                                        ; implicit-def: $vgpr9
.LBB182_1985:
	s_delay_alu instid0(SALU_CYCLE_1)
	s_and_b32 vcc_lo, exec_lo, s19
	s_cbranch_vccz .LBB182_1987
; %bb.1986:
	global_load_u8 v1, v[4:5], off
	s_wait_loadcnt 0x0
	v_lshlrev_b32_e32 v1, 24, v1
	s_delay_alu instid0(VALU_DEP_1) | instskip(NEXT) | instid1(VALU_DEP_1)
	v_and_b32_e32 v3, 0x7f000000, v1
	v_clz_i32_u32_e32 v9, v3
	v_add_nc_u32_e32 v11, 0x1000000, v3
	v_cmp_ne_u32_e32 vcc_lo, 0, v3
	s_delay_alu instid0(VALU_DEP_3) | instskip(NEXT) | instid1(VALU_DEP_1)
	v_min_u32_e32 v9, 32, v9
	v_sub_nc_u32_e64 v9, v9, 4 clamp
	s_delay_alu instid0(VALU_DEP_1) | instskip(NEXT) | instid1(VALU_DEP_1)
	v_dual_lshlrev_b32 v10, v9, v3 :: v_dual_lshlrev_b32 v9, 23, v9
	v_lshrrev_b32_e32 v10, 4, v10
	s_delay_alu instid0(VALU_DEP_1) | instskip(NEXT) | instid1(VALU_DEP_1)
	v_dual_sub_nc_u32 v9, v10, v9 :: v_dual_ashrrev_i32 v10, 8, v11
	v_add_nc_u32_e32 v9, 0x3c000000, v9
	s_delay_alu instid0(VALU_DEP_1) | instskip(NEXT) | instid1(VALU_DEP_1)
	v_and_or_b32 v9, 0x7f800000, v10, v9
	v_cndmask_b32_e32 v3, 0, v9, vcc_lo
	s_delay_alu instid0(VALU_DEP_1) | instskip(NEXT) | instid1(VALU_DEP_1)
	v_and_or_b32 v1, 0x80000000, v1, v3
	v_cvt_f16_f32_e32 v9, v1
.LBB182_1987:
	s_mov_b32 s19, 0
.LBB182_1988:
	s_delay_alu instid0(SALU_CYCLE_1)
	s_and_not1_b32 vcc_lo, exec_lo, s19
	s_cbranch_vccnz .LBB182_1990
; %bb.1989:
	global_load_u8 v1, v[4:5], off
	s_wait_loadcnt 0x0
	v_lshlrev_b32_e32 v3, 25, v1
	v_lshlrev_b16 v1, 8, v1
	s_delay_alu instid0(VALU_DEP_1) | instskip(SKIP_1) | instid1(VALU_DEP_2)
	v_and_or_b32 v10, 0x7f00, v1, 0.5
	v_bfe_i32 v1, v1, 0, 16
	v_dual_add_f32 v10, -0.5, v10 :: v_dual_lshrrev_b32 v9, 4, v3
	v_cmp_gt_u32_e32 vcc_lo, 0x8000000, v3
	s_delay_alu instid0(VALU_DEP_2) | instskip(NEXT) | instid1(VALU_DEP_1)
	v_or_b32_e32 v9, 0x70000000, v9
	v_mul_f32_e32 v9, 0x7800000, v9
	s_delay_alu instid0(VALU_DEP_1) | instskip(NEXT) | instid1(VALU_DEP_1)
	v_cndmask_b32_e32 v3, v9, v10, vcc_lo
	v_and_or_b32 v1, 0x80000000, v1, v3
	s_delay_alu instid0(VALU_DEP_1)
	v_cvt_f16_f32_e32 v9, v1
.LBB182_1990:
	s_mov_b32 s19, 0
	s_mov_b32 s20, -1
.LBB182_1991:
	s_and_not1_b32 vcc_lo, exec_lo, s19
	s_mov_b32 s19, 0
	s_cbranch_vccnz .LBB182_2002
; %bb.1992:
	s_cmp_gt_i32 s8, 14
	s_cbranch_scc0 .LBB182_1995
; %bb.1993:
	s_cmp_eq_u32 s8, 15
	s_cbranch_scc0 .LBB182_1998
; %bb.1994:
	global_load_u16 v1, v[4:5], off
	s_mov_b32 s18, 0
	s_mov_b32 s20, -1
	s_wait_loadcnt 0x0
	v_lshlrev_b32_e32 v1, 16, v1
	s_delay_alu instid0(VALU_DEP_1)
	v_cvt_f16_f32_e32 v9, v1
	s_branch .LBB182_2000
.LBB182_1995:
	s_mov_b32 s19, -1
	s_branch .LBB182_1999
.LBB182_1996:
	s_or_saveexec_b32 s20, s20
	v_mov_b32_e32 v9, 0x7e00
	s_xor_b32 exec_lo, exec_lo, s20
	s_cbranch_execz .LBB182_1977
.LBB182_1997:
	v_cmp_ne_u16_e32 vcc_lo, 0, v1
	v_mov_b32_e32 v9, v1
	s_and_not1_b32 s19, s19, exec_lo
	s_and_b32 s21, vcc_lo, exec_lo
	s_delay_alu instid0(SALU_CYCLE_1)
	s_or_b32 s19, s19, s21
	s_or_b32 exec_lo, exec_lo, s20
	s_and_saveexec_b32 s20, s19
	s_cbranch_execnz .LBB182_1978
	s_branch .LBB182_1979
.LBB182_1998:
	s_mov_b32 s18, -1
.LBB182_1999:
                                        ; implicit-def: $vgpr9
.LBB182_2000:
	s_and_b32 vcc_lo, exec_lo, s19
	s_mov_b32 s19, 0
	s_cbranch_vccz .LBB182_2002
; %bb.2001:
	s_cmp_lg_u32 s8, 11
	s_mov_b32 s19, -1
	s_cselect_b32 s18, -1, 0
.LBB182_2002:
	s_delay_alu instid0(SALU_CYCLE_1)
	s_and_b32 vcc_lo, exec_lo, s18
	s_cbranch_vccnz .LBB182_2067
; %bb.2003:
	s_and_not1_b32 vcc_lo, exec_lo, s19
	s_cbranch_vccnz .LBB182_2005
.LBB182_2004:
	global_load_u8 v1, v[4:5], off
	s_mov_b32 s20, -1
	s_wait_loadcnt 0x0
	v_cmp_ne_u16_e32 vcc_lo, 0, v1
	v_cndmask_b32_e64 v9, 0, 0x3c00, vcc_lo
.LBB182_2005:
	s_mov_b32 s8, 0
.LBB182_2006:
	s_delay_alu instid0(SALU_CYCLE_1)
	s_and_b32 vcc_lo, exec_lo, s8
	s_cbranch_vccz .LBB182_2055
; %bb.2007:
	s_and_b32 s8, 0xffff, s13
	s_delay_alu instid0(SALU_CYCLE_1)
	s_cmp_lt_i32 s8, 5
	s_cbranch_scc1 .LBB182_2012
; %bb.2008:
	s_cmp_lt_i32 s8, 8
	s_cbranch_scc1 .LBB182_2013
; %bb.2009:
	;; [unrolled: 3-line block ×3, first 2 shown]
	s_cmp_gt_i32 s8, 9
	s_cbranch_scc0 .LBB182_2015
; %bb.2011:
	global_load_b64 v[10:11], v[4:5], off
	s_mov_b32 s18, 0
	s_wait_loadcnt 0x0
	v_and_or_b32 v1, 0x1ff, v11, v10
	v_lshrrev_b32_e32 v3, 8, v11
	v_bfe_u32 v9, v11, 20, 11
	s_delay_alu instid0(VALU_DEP_3) | instskip(NEXT) | instid1(VALU_DEP_2)
	v_cmp_ne_u32_e32 vcc_lo, 0, v1
	v_sub_nc_u32_e32 v10, 0x3f1, v9
	v_add_nc_u32_e32 v9, 0xfffffc10, v9
	v_cndmask_b32_e64 v1, 0, 1, vcc_lo
	s_delay_alu instid0(VALU_DEP_1) | instskip(NEXT) | instid1(VALU_DEP_4)
	v_and_or_b32 v1, 0xffe, v3, v1
	v_med3_i32 v3, v10, 0, 13
	s_delay_alu instid0(VALU_DEP_2) | instskip(NEXT) | instid1(VALU_DEP_1)
	v_or_b32_e32 v10, 0x1000, v1
	v_lshrrev_b32_e32 v12, v3, v10
	s_delay_alu instid0(VALU_DEP_1) | instskip(NEXT) | instid1(VALU_DEP_1)
	v_lshlrev_b32_e32 v3, v3, v12
	v_cmp_ne_u32_e32 vcc_lo, v3, v10
	v_lshl_or_b32 v10, v9, 12, v1
	v_cndmask_b32_e64 v3, 0, 1, vcc_lo
	v_cmp_gt_i32_e32 vcc_lo, 1, v9
	s_delay_alu instid0(VALU_DEP_2) | instskip(NEXT) | instid1(VALU_DEP_1)
	v_or_b32_e32 v3, v12, v3
	v_cndmask_b32_e32 v3, v10, v3, vcc_lo
	s_delay_alu instid0(VALU_DEP_1) | instskip(NEXT) | instid1(VALU_DEP_1)
	v_dual_lshrrev_b32 v3, 2, v3 :: v_dual_bitop2_b32 v10, 7, v3 bitop3:0x40
	v_cmp_lt_i32_e32 vcc_lo, 5, v10
	v_cndmask_b32_e64 v12, 0, 1, vcc_lo
	v_cmp_eq_u32_e32 vcc_lo, 3, v10
	v_cndmask_b32_e64 v10, 0, 1, vcc_lo
	v_cmp_ne_u32_e32 vcc_lo, 0, v1
	s_delay_alu instid0(VALU_DEP_2) | instskip(NEXT) | instid1(VALU_DEP_1)
	v_or_b32_e32 v10, v10, v12
	v_dual_mov_b32 v12, 0x7e00 :: v_dual_add_nc_u32 v3, v3, v10
	s_delay_alu instid0(VALU_DEP_1) | instskip(SKIP_1) | instid1(VALU_DEP_3)
	v_cndmask_b32_e32 v1, 0x7c00, v12, vcc_lo
	v_cmp_gt_i32_e32 vcc_lo, 31, v9
	v_cndmask_b32_e32 v3, 0x7c00, v3, vcc_lo
	v_cmp_eq_u32_e32 vcc_lo, 0x40f, v9
	s_delay_alu instid0(VALU_DEP_2) | instskip(NEXT) | instid1(VALU_DEP_1)
	v_dual_cndmask_b32 v1, v3, v1, vcc_lo :: v_dual_lshrrev_b32 v3, 16, v11
	v_and_or_b32 v9, 0x8000, v3, v1
	s_branch .LBB182_2016
.LBB182_2012:
	s_mov_b32 s18, -1
                                        ; implicit-def: $vgpr9
	s_branch .LBB182_2034
.LBB182_2013:
	s_mov_b32 s18, -1
                                        ; implicit-def: $vgpr9
	s_branch .LBB182_2022
.LBB182_2014:
	s_mov_b32 s18, -1
                                        ; implicit-def: $vgpr9
	s_branch .LBB182_2019
.LBB182_2015:
	s_mov_b32 s18, -1
                                        ; implicit-def: $vgpr9
.LBB182_2016:
	s_delay_alu instid0(SALU_CYCLE_1)
	s_and_not1_b32 vcc_lo, exec_lo, s18
	s_cbranch_vccnz .LBB182_2018
; %bb.2017:
	global_load_b32 v1, v[4:5], off
	s_wait_loadcnt 0x0
	v_cvt_f16_f32_e32 v9, v1
.LBB182_2018:
	s_mov_b32 s18, 0
.LBB182_2019:
	s_delay_alu instid0(SALU_CYCLE_1)
	s_and_not1_b32 vcc_lo, exec_lo, s18
	s_cbranch_vccnz .LBB182_2021
; %bb.2020:
	global_load_b32 v9, v[4:5], off
.LBB182_2021:
	s_mov_b32 s18, 0
.LBB182_2022:
	s_delay_alu instid0(SALU_CYCLE_1)
	s_and_not1_b32 vcc_lo, exec_lo, s18
	s_cbranch_vccnz .LBB182_2033
; %bb.2023:
	s_cmp_lt_i32 s8, 6
	s_cbranch_scc1 .LBB182_2026
; %bb.2024:
	s_cmp_gt_i32 s8, 6
	s_cbranch_scc0 .LBB182_2027
; %bb.2025:
	global_load_b64 v[10:11], v[4:5], off
	s_mov_b32 s18, 0
	s_wait_loadcnt 0x0
	v_and_or_b32 v1, 0x1ff, v11, v10
	v_lshrrev_b32_e32 v3, 8, v11
	v_bfe_u32 v9, v11, 20, 11
	s_delay_alu instid0(VALU_DEP_3) | instskip(NEXT) | instid1(VALU_DEP_2)
	v_cmp_ne_u32_e32 vcc_lo, 0, v1
	v_sub_nc_u32_e32 v10, 0x3f1, v9
	v_add_nc_u32_e32 v9, 0xfffffc10, v9
	v_cndmask_b32_e64 v1, 0, 1, vcc_lo
	s_delay_alu instid0(VALU_DEP_1) | instskip(NEXT) | instid1(VALU_DEP_4)
	v_and_or_b32 v1, 0xffe, v3, v1
	v_med3_i32 v3, v10, 0, 13
	s_delay_alu instid0(VALU_DEP_2) | instskip(NEXT) | instid1(VALU_DEP_1)
	v_or_b32_e32 v10, 0x1000, v1
	v_lshrrev_b32_e32 v12, v3, v10
	s_delay_alu instid0(VALU_DEP_1) | instskip(NEXT) | instid1(VALU_DEP_1)
	v_lshlrev_b32_e32 v3, v3, v12
	v_cmp_ne_u32_e32 vcc_lo, v3, v10
	v_lshl_or_b32 v10, v9, 12, v1
	v_cndmask_b32_e64 v3, 0, 1, vcc_lo
	v_cmp_gt_i32_e32 vcc_lo, 1, v9
	s_delay_alu instid0(VALU_DEP_2) | instskip(NEXT) | instid1(VALU_DEP_1)
	v_or_b32_e32 v3, v12, v3
	v_cndmask_b32_e32 v3, v10, v3, vcc_lo
	s_delay_alu instid0(VALU_DEP_1) | instskip(NEXT) | instid1(VALU_DEP_1)
	v_dual_lshrrev_b32 v3, 2, v3 :: v_dual_bitop2_b32 v10, 7, v3 bitop3:0x40
	v_cmp_lt_i32_e32 vcc_lo, 5, v10
	v_cndmask_b32_e64 v12, 0, 1, vcc_lo
	v_cmp_eq_u32_e32 vcc_lo, 3, v10
	v_cndmask_b32_e64 v10, 0, 1, vcc_lo
	v_cmp_ne_u32_e32 vcc_lo, 0, v1
	s_delay_alu instid0(VALU_DEP_2) | instskip(NEXT) | instid1(VALU_DEP_1)
	v_or_b32_e32 v10, v10, v12
	v_dual_mov_b32 v12, 0x7e00 :: v_dual_add_nc_u32 v3, v3, v10
	s_delay_alu instid0(VALU_DEP_1) | instskip(SKIP_1) | instid1(VALU_DEP_3)
	v_cndmask_b32_e32 v1, 0x7c00, v12, vcc_lo
	v_cmp_gt_i32_e32 vcc_lo, 31, v9
	v_cndmask_b32_e32 v3, 0x7c00, v3, vcc_lo
	v_cmp_eq_u32_e32 vcc_lo, 0x40f, v9
	s_delay_alu instid0(VALU_DEP_2) | instskip(NEXT) | instid1(VALU_DEP_1)
	v_dual_cndmask_b32 v1, v3, v1, vcc_lo :: v_dual_lshrrev_b32 v3, 16, v11
	v_and_or_b32 v9, 0x8000, v3, v1
	s_branch .LBB182_2028
.LBB182_2026:
	s_mov_b32 s18, -1
                                        ; implicit-def: $vgpr9
	s_branch .LBB182_2031
.LBB182_2027:
	s_mov_b32 s18, -1
                                        ; implicit-def: $vgpr9
.LBB182_2028:
	s_delay_alu instid0(SALU_CYCLE_1)
	s_and_not1_b32 vcc_lo, exec_lo, s18
	s_cbranch_vccnz .LBB182_2030
; %bb.2029:
	global_load_b32 v1, v[4:5], off
	s_wait_loadcnt 0x0
	v_cvt_f16_f32_e32 v9, v1
.LBB182_2030:
	s_mov_b32 s18, 0
.LBB182_2031:
	s_delay_alu instid0(SALU_CYCLE_1)
	s_and_not1_b32 vcc_lo, exec_lo, s18
	s_cbranch_vccnz .LBB182_2033
; %bb.2032:
	s_wait_loadcnt 0x0
	global_load_u16 v9, v[4:5], off
.LBB182_2033:
	s_mov_b32 s18, 0
.LBB182_2034:
	s_delay_alu instid0(SALU_CYCLE_1)
	s_and_not1_b32 vcc_lo, exec_lo, s18
	s_cbranch_vccnz .LBB182_2054
; %bb.2035:
	s_cmp_lt_i32 s8, 2
	s_cbranch_scc1 .LBB182_2039
; %bb.2036:
	s_cmp_lt_i32 s8, 3
	s_cbranch_scc1 .LBB182_2040
; %bb.2037:
	s_cmp_gt_i32 s8, 3
	s_cbranch_scc0 .LBB182_2041
; %bb.2038:
	global_load_b64 v[10:11], v[4:5], off
	s_mov_b32 s18, 0
	s_wait_loadcnt 0x0
	v_xor_b32_e32 v1, v10, v11
	v_cls_i32_e32 v3, v11
	s_delay_alu instid0(VALU_DEP_2) | instskip(NEXT) | instid1(VALU_DEP_1)
	v_ashrrev_i32_e32 v1, 31, v1
	v_add_nc_u32_e32 v1, 32, v1
	s_delay_alu instid0(VALU_DEP_1) | instskip(NEXT) | instid1(VALU_DEP_1)
	v_add_min_u32_e64 v1, v3, -1, v1
	v_lshlrev_b64_e32 v[10:11], v1, v[10:11]
	v_sub_nc_u32_e32 v1, 32, v1
	s_delay_alu instid0(VALU_DEP_2) | instskip(NEXT) | instid1(VALU_DEP_1)
	v_min_u32_e32 v3, 1, v10
	v_or_b32_e32 v3, v11, v3
	s_delay_alu instid0(VALU_DEP_1) | instskip(NEXT) | instid1(VALU_DEP_1)
	v_cvt_f32_i32_e32 v3, v3
	v_ldexp_f32 v1, v3, v1
	s_delay_alu instid0(VALU_DEP_1)
	v_cvt_f16_f32_e32 v9, v1
	s_branch .LBB182_2042
.LBB182_2039:
	s_mov_b32 s18, -1
                                        ; implicit-def: $vgpr9
	s_branch .LBB182_2048
.LBB182_2040:
	s_mov_b32 s18, -1
                                        ; implicit-def: $vgpr9
	s_branch .LBB182_2045
.LBB182_2041:
	s_mov_b32 s18, -1
                                        ; implicit-def: $vgpr9
.LBB182_2042:
	s_delay_alu instid0(SALU_CYCLE_1)
	s_and_not1_b32 vcc_lo, exec_lo, s18
	s_cbranch_vccnz .LBB182_2044
; %bb.2043:
	global_load_b32 v1, v[4:5], off
	s_wait_loadcnt 0x0
	v_cvt_f32_i32_e32 v1, v1
	s_delay_alu instid0(VALU_DEP_1)
	v_cvt_f16_f32_e32 v9, v1
.LBB182_2044:
	s_mov_b32 s18, 0
.LBB182_2045:
	s_delay_alu instid0(SALU_CYCLE_1)
	s_and_not1_b32 vcc_lo, exec_lo, s18
	s_cbranch_vccnz .LBB182_2047
; %bb.2046:
	global_load_u16 v1, v[4:5], off
	s_wait_loadcnt 0x0
	v_cvt_f16_i16_e32 v9, v1
.LBB182_2047:
	s_mov_b32 s18, 0
.LBB182_2048:
	s_delay_alu instid0(SALU_CYCLE_1)
	s_and_not1_b32 vcc_lo, exec_lo, s18
	s_cbranch_vccnz .LBB182_2054
; %bb.2049:
	s_cmp_gt_i32 s8, 0
	s_mov_b32 s8, 0
	s_cbranch_scc0 .LBB182_2051
; %bb.2050:
	global_load_i8 v1, v[4:5], off
	s_wait_loadcnt 0x0
	v_cvt_f16_i16_e32 v9, v1
	s_branch .LBB182_2052
.LBB182_2051:
	s_mov_b32 s8, -1
                                        ; implicit-def: $vgpr9
.LBB182_2052:
	s_delay_alu instid0(SALU_CYCLE_1)
	s_and_not1_b32 vcc_lo, exec_lo, s8
	s_cbranch_vccnz .LBB182_2054
; %bb.2053:
	global_load_u8 v1, v[4:5], off
	s_wait_loadcnt 0x0
	v_cvt_f16_u16_e32 v9, v1
.LBB182_2054:
	s_mov_b32 s20, -1
.LBB182_2055:
	s_delay_alu instid0(SALU_CYCLE_1)
	s_and_not1_b32 vcc_lo, exec_lo, s20
	s_cbranch_vccnz .LBB182_3190
; %bb.2056:
	s_lshl_b32 s8, s9, 7
	s_cmp_lt_i32 s0, 11
	v_add_nc_u32_e32 v2, s8, v2
	s_delay_alu instid0(VALU_DEP_1) | instskip(SKIP_1) | instid1(VALU_DEP_1)
	v_ashrrev_i32_e32 v3, 31, v2
	s_wait_xcnt 0x0
	v_add_nc_u64_e32 v[4:5], s[6:7], v[2:3]
	s_cbranch_scc1 .LBB182_2063
; %bb.2057:
	s_cmp_gt_i32 s0, 25
	s_mov_b32 s18, 0
	s_cbranch_scc0 .LBB182_2064
; %bb.2058:
	s_cmp_gt_i32 s0, 28
	s_cbranch_scc0 .LBB182_2065
; %bb.2059:
	s_cmp_gt_i32 s0, 43
	s_cbranch_scc0 .LBB182_2066
; %bb.2060:
	s_cmp_gt_i32 s0, 45
	s_cbranch_scc0 .LBB182_2068
; %bb.2061:
	s_cmp_eq_u32 s0, 46
	s_mov_b32 s20, 0
	s_cbranch_scc0 .LBB182_2071
; %bb.2062:
	global_load_b32 v1, v[4:5], off
	s_mov_b32 s9, 0
	s_mov_b32 s19, -1
	s_wait_loadcnt 0x0
	v_lshlrev_b32_e32 v1, 16, v1
	s_delay_alu instid0(VALU_DEP_1)
	v_cvt_f16_f32_e32 v10, v1
	s_branch .LBB182_2073
.LBB182_2063:
	s_mov_b32 s9, -1
	s_mov_b32 s19, 0
                                        ; implicit-def: $vgpr10
	s_branch .LBB182_2139
.LBB182_2064:
	s_mov_b32 s20, -1
	s_mov_b32 s19, 0
	s_mov_b32 s9, 0
                                        ; implicit-def: $vgpr10
	s_branch .LBB182_2102
.LBB182_2065:
	s_mov_b32 s20, -1
	s_mov_b32 s19, 0
	s_mov_b32 s9, 0
                                        ; implicit-def: $vgpr10
	s_branch .LBB182_2083
.LBB182_2066:
	s_mov_b32 s20, -1
	s_mov_b32 s19, 0
	s_mov_b32 s9, 0
                                        ; implicit-def: $vgpr10
	s_branch .LBB182_2078
.LBB182_2067:
	s_or_b32 s14, s14, exec_lo
	s_trap 2
	s_cbranch_execz .LBB182_2004
	s_branch .LBB182_2005
.LBB182_2068:
	s_mov_b32 s20, -1
	s_mov_b32 s19, 0
	s_mov_b32 s9, 0
	s_branch .LBB182_2072
.LBB182_2069:
	s_and_not1_saveexec_b32 s37, s37
	s_cbranch_execz .LBB182_1130
.LBB182_2070:
	v_add_f32_e64 v4, 0x46000000, |v3|
	s_and_not1_b32 s36, s36, exec_lo
	s_delay_alu instid0(VALU_DEP_1) | instskip(NEXT) | instid1(VALU_DEP_1)
	v_and_b32_e32 v4, 0xff, v4
	v_cmp_ne_u32_e32 vcc_lo, 0, v4
	s_and_b32 s38, vcc_lo, exec_lo
	s_delay_alu instid0(SALU_CYCLE_1)
	s_or_b32 s36, s36, s38
	s_or_b32 exec_lo, exec_lo, s37
	v_mov_b32_e32 v5, 0
	s_and_saveexec_b32 s37, s36
	s_cbranch_execnz .LBB182_1131
	s_branch .LBB182_1132
.LBB182_2071:
	s_mov_b32 s9, -1
	s_mov_b32 s19, 0
.LBB182_2072:
                                        ; implicit-def: $vgpr10
.LBB182_2073:
	s_and_b32 vcc_lo, exec_lo, s20
	s_cbranch_vccz .LBB182_2077
; %bb.2074:
	s_cmp_eq_u32 s0, 44
	s_cbranch_scc0 .LBB182_2076
; %bb.2075:
	global_load_u8 v1, v[4:5], off
	s_mov_b32 s9, 0
	s_mov_b32 s19, -1
	s_wait_loadcnt 0x0
	v_lshlrev_b32_e32 v3, 23, v1
	v_cmp_ne_u32_e32 vcc_lo, 0xff, v1
	s_delay_alu instid0(VALU_DEP_2) | instskip(NEXT) | instid1(VALU_DEP_1)
	v_cvt_f16_f32_e32 v3, v3
	v_cndmask_b32_e32 v3, 0x7e00, v3, vcc_lo
	v_cmp_ne_u32_e32 vcc_lo, 0, v1
	s_delay_alu instid0(VALU_DEP_2)
	v_cndmask_b32_e32 v10, 0, v3, vcc_lo
	s_branch .LBB182_2077
.LBB182_2076:
	s_mov_b32 s9, -1
                                        ; implicit-def: $vgpr10
.LBB182_2077:
	s_mov_b32 s20, 0
.LBB182_2078:
	s_delay_alu instid0(SALU_CYCLE_1)
	s_and_b32 vcc_lo, exec_lo, s20
	s_cbranch_vccz .LBB182_2082
; %bb.2079:
	s_cmp_eq_u32 s0, 29
	s_cbranch_scc0 .LBB182_2081
; %bb.2080:
	global_load_b64 v[10:11], v[4:5], off
	s_mov_b32 s9, 0
	s_mov_b32 s19, -1
	s_mov_b32 s20, 0
	s_wait_loadcnt 0x0
	v_clz_i32_u32_e32 v1, v11
	s_delay_alu instid0(VALU_DEP_1) | instskip(NEXT) | instid1(VALU_DEP_1)
	v_min_u32_e32 v1, 32, v1
	v_lshlrev_b64_e32 v[10:11], v1, v[10:11]
	v_sub_nc_u32_e32 v1, 32, v1
	s_delay_alu instid0(VALU_DEP_2) | instskip(NEXT) | instid1(VALU_DEP_1)
	v_min_u32_e32 v3, 1, v10
	v_or_b32_e32 v3, v11, v3
	s_delay_alu instid0(VALU_DEP_1) | instskip(NEXT) | instid1(VALU_DEP_1)
	v_cvt_f32_u32_e32 v3, v3
	v_ldexp_f32 v1, v3, v1
	s_delay_alu instid0(VALU_DEP_1)
	v_cvt_f16_f32_e32 v10, v1
	s_branch .LBB182_2083
.LBB182_2081:
	s_mov_b32 s9, -1
                                        ; implicit-def: $vgpr10
.LBB182_2082:
	s_mov_b32 s20, 0
.LBB182_2083:
	s_delay_alu instid0(SALU_CYCLE_1)
	s_and_b32 vcc_lo, exec_lo, s20
	s_cbranch_vccz .LBB182_2101
; %bb.2084:
	s_cmp_lt_i32 s0, 27
	s_cbranch_scc1 .LBB182_2087
; %bb.2085:
	s_cmp_gt_i32 s0, 27
	s_cbranch_scc0 .LBB182_2088
; %bb.2086:
	global_load_b32 v1, v[4:5], off
	s_mov_b32 s19, 0
	s_wait_loadcnt 0x0
	v_cvt_f32_u32_e32 v1, v1
	s_delay_alu instid0(VALU_DEP_1)
	v_cvt_f16_f32_e32 v10, v1
	s_branch .LBB182_2089
.LBB182_2087:
	s_mov_b32 s19, -1
                                        ; implicit-def: $vgpr10
	s_branch .LBB182_2092
.LBB182_2088:
	s_mov_b32 s19, -1
                                        ; implicit-def: $vgpr10
.LBB182_2089:
	s_delay_alu instid0(SALU_CYCLE_1)
	s_and_not1_b32 vcc_lo, exec_lo, s19
	s_cbranch_vccnz .LBB182_2091
; %bb.2090:
	global_load_u16 v1, v[4:5], off
	s_wait_loadcnt 0x0
	v_cvt_f16_u16_e32 v10, v1
.LBB182_2091:
	s_mov_b32 s19, 0
.LBB182_2092:
	s_delay_alu instid0(SALU_CYCLE_1)
	s_and_not1_b32 vcc_lo, exec_lo, s19
	s_cbranch_vccnz .LBB182_2100
; %bb.2093:
	global_load_u8 v1, v[4:5], off
	s_mov_b32 s19, 0
	s_mov_b32 s20, exec_lo
	s_wait_loadcnt 0x0
	v_cmpx_lt_i16_e32 0x7f, v1
	s_xor_b32 s20, exec_lo, s20
	s_cbranch_execz .LBB182_2114
; %bb.2094:
	s_mov_b32 s19, -1
	s_mov_b32 s21, exec_lo
	v_cmpx_eq_u16_e32 0x80, v1
; %bb.2095:
	s_xor_b32 s19, exec_lo, -1
; %bb.2096:
	s_or_b32 exec_lo, exec_lo, s21
	s_delay_alu instid0(SALU_CYCLE_1)
	s_and_b32 s19, s19, exec_lo
	s_or_saveexec_b32 s20, s20
	v_mov_b32_e32 v10, 0x7e00
	s_xor_b32 exec_lo, exec_lo, s20
	s_cbranch_execnz .LBB182_2115
.LBB182_2097:
	s_or_b32 exec_lo, exec_lo, s20
	s_and_saveexec_b32 s20, s19
	s_cbranch_execz .LBB182_2099
.LBB182_2098:
	v_and_b32_e32 v3, 0xffff, v1
	s_delay_alu instid0(VALU_DEP_1) | instskip(SKIP_1) | instid1(VALU_DEP_2)
	v_dual_lshlrev_b32 v1, 24, v1 :: v_dual_bitop2_b32 v10, 7, v3 bitop3:0x40
	v_bfe_u32 v13, v3, 3, 4
	v_and_b32_e32 v1, 0x80000000, v1
	s_delay_alu instid0(VALU_DEP_3) | instskip(NEXT) | instid1(VALU_DEP_3)
	v_clz_i32_u32_e32 v11, v10
	v_cmp_eq_u32_e32 vcc_lo, 0, v13
	s_delay_alu instid0(VALU_DEP_2) | instskip(NEXT) | instid1(VALU_DEP_1)
	v_min_u32_e32 v11, 32, v11
	v_subrev_nc_u32_e32 v12, 28, v11
	v_sub_nc_u32_e32 v11, 29, v11
	s_delay_alu instid0(VALU_DEP_2) | instskip(NEXT) | instid1(VALU_DEP_2)
	v_lshlrev_b32_e32 v3, v12, v3
	v_cndmask_b32_e32 v11, v13, v11, vcc_lo
	s_delay_alu instid0(VALU_DEP_2) | instskip(NEXT) | instid1(VALU_DEP_1)
	v_and_b32_e32 v3, 7, v3
	v_cndmask_b32_e32 v3, v10, v3, vcc_lo
	s_delay_alu instid0(VALU_DEP_3) | instskip(NEXT) | instid1(VALU_DEP_2)
	v_lshl_add_u32 v10, v11, 23, 0x3b800000
	v_lshlrev_b32_e32 v3, 20, v3
	s_delay_alu instid0(VALU_DEP_1) | instskip(NEXT) | instid1(VALU_DEP_1)
	v_or3_b32 v1, v1, v10, v3
	v_cvt_f16_f32_e32 v10, v1
.LBB182_2099:
	s_or_b32 exec_lo, exec_lo, s20
.LBB182_2100:
	s_mov_b32 s19, -1
.LBB182_2101:
	s_mov_b32 s20, 0
.LBB182_2102:
	s_delay_alu instid0(SALU_CYCLE_1)
	s_and_b32 vcc_lo, exec_lo, s20
	s_cbranch_vccz .LBB182_2135
; %bb.2103:
	s_cmp_gt_i32 s0, 22
	s_cbranch_scc0 .LBB182_2113
; %bb.2104:
	s_cmp_lt_i32 s0, 24
	s_cbranch_scc1 .LBB182_2116
; %bb.2105:
	s_cmp_gt_i32 s0, 24
	s_cbranch_scc0 .LBB182_2117
; %bb.2106:
	global_load_u8 v1, v[4:5], off
	s_mov_b32 s19, exec_lo
	s_wait_loadcnt 0x0
	v_cmpx_lt_i16_e32 0x7f, v1
	s_xor_b32 s19, exec_lo, s19
	s_cbranch_execz .LBB182_2129
; %bb.2107:
	s_mov_b32 s18, -1
	s_mov_b32 s20, exec_lo
	v_cmpx_eq_u16_e32 0x80, v1
; %bb.2108:
	s_xor_b32 s18, exec_lo, -1
; %bb.2109:
	s_or_b32 exec_lo, exec_lo, s20
	s_delay_alu instid0(SALU_CYCLE_1)
	s_and_b32 s18, s18, exec_lo
	s_or_saveexec_b32 s19, s19
	v_mov_b32_e32 v10, 0x7e00
	s_xor_b32 exec_lo, exec_lo, s19
	s_cbranch_execnz .LBB182_2130
.LBB182_2110:
	s_or_b32 exec_lo, exec_lo, s19
	s_and_saveexec_b32 s19, s18
	s_cbranch_execz .LBB182_2112
.LBB182_2111:
	v_and_b32_e32 v3, 0xffff, v1
	s_delay_alu instid0(VALU_DEP_1) | instskip(SKIP_1) | instid1(VALU_DEP_2)
	v_dual_lshlrev_b32 v1, 24, v1 :: v_dual_bitop2_b32 v10, 3, v3 bitop3:0x40
	v_bfe_u32 v13, v3, 2, 5
	v_and_b32_e32 v1, 0x80000000, v1
	s_delay_alu instid0(VALU_DEP_3) | instskip(NEXT) | instid1(VALU_DEP_3)
	v_clz_i32_u32_e32 v11, v10
	v_cmp_eq_u32_e32 vcc_lo, 0, v13
	s_delay_alu instid0(VALU_DEP_2) | instskip(NEXT) | instid1(VALU_DEP_1)
	v_min_u32_e32 v11, 32, v11
	v_subrev_nc_u32_e32 v12, 29, v11
	v_sub_nc_u32_e32 v11, 30, v11
	s_delay_alu instid0(VALU_DEP_2) | instskip(NEXT) | instid1(VALU_DEP_2)
	v_lshlrev_b32_e32 v3, v12, v3
	v_cndmask_b32_e32 v11, v13, v11, vcc_lo
	s_delay_alu instid0(VALU_DEP_2) | instskip(NEXT) | instid1(VALU_DEP_1)
	v_and_b32_e32 v3, 3, v3
	v_cndmask_b32_e32 v3, v10, v3, vcc_lo
	s_delay_alu instid0(VALU_DEP_3) | instskip(NEXT) | instid1(VALU_DEP_2)
	v_lshl_add_u32 v10, v11, 23, 0x37800000
	v_lshlrev_b32_e32 v3, 21, v3
	s_delay_alu instid0(VALU_DEP_1) | instskip(NEXT) | instid1(VALU_DEP_1)
	v_or3_b32 v1, v1, v10, v3
	v_cvt_f16_f32_e32 v10, v1
.LBB182_2112:
	s_or_b32 exec_lo, exec_lo, s19
	s_mov_b32 s18, 0
	s_branch .LBB182_2118
.LBB182_2113:
	s_mov_b32 s18, -1
                                        ; implicit-def: $vgpr10
	s_branch .LBB182_2124
.LBB182_2114:
	s_or_saveexec_b32 s20, s20
	v_mov_b32_e32 v10, 0x7e00
	s_xor_b32 exec_lo, exec_lo, s20
	s_cbranch_execz .LBB182_2097
.LBB182_2115:
	v_cmp_ne_u16_e32 vcc_lo, 0, v1
	v_mov_b32_e32 v10, v1
	s_and_not1_b32 s19, s19, exec_lo
	s_and_b32 s21, vcc_lo, exec_lo
	s_delay_alu instid0(SALU_CYCLE_1)
	s_or_b32 s19, s19, s21
	s_or_b32 exec_lo, exec_lo, s20
	s_and_saveexec_b32 s20, s19
	s_cbranch_execnz .LBB182_2098
	s_branch .LBB182_2099
.LBB182_2116:
	s_mov_b32 s18, -1
                                        ; implicit-def: $vgpr10
	s_branch .LBB182_2121
.LBB182_2117:
	s_mov_b32 s18, -1
                                        ; implicit-def: $vgpr10
.LBB182_2118:
	s_delay_alu instid0(SALU_CYCLE_1)
	s_and_b32 vcc_lo, exec_lo, s18
	s_cbranch_vccz .LBB182_2120
; %bb.2119:
	global_load_u8 v1, v[4:5], off
	s_wait_loadcnt 0x0
	v_lshlrev_b32_e32 v1, 24, v1
	s_delay_alu instid0(VALU_DEP_1) | instskip(NEXT) | instid1(VALU_DEP_1)
	v_and_b32_e32 v3, 0x7f000000, v1
	v_clz_i32_u32_e32 v10, v3
	v_cmp_ne_u32_e32 vcc_lo, 0, v3
	v_add_nc_u32_e32 v12, 0x1000000, v3
	s_delay_alu instid0(VALU_DEP_3) | instskip(NEXT) | instid1(VALU_DEP_1)
	v_min_u32_e32 v10, 32, v10
	v_sub_nc_u32_e64 v10, v10, 4 clamp
	s_delay_alu instid0(VALU_DEP_1) | instskip(NEXT) | instid1(VALU_DEP_1)
	v_dual_lshlrev_b32 v11, v10, v3 :: v_dual_lshlrev_b32 v10, 23, v10
	v_lshrrev_b32_e32 v11, 4, v11
	s_delay_alu instid0(VALU_DEP_1) | instskip(NEXT) | instid1(VALU_DEP_1)
	v_dual_sub_nc_u32 v10, v11, v10 :: v_dual_ashrrev_i32 v11, 8, v12
	v_add_nc_u32_e32 v10, 0x3c000000, v10
	s_delay_alu instid0(VALU_DEP_1) | instskip(NEXT) | instid1(VALU_DEP_1)
	v_and_or_b32 v10, 0x7f800000, v11, v10
	v_cndmask_b32_e32 v3, 0, v10, vcc_lo
	s_delay_alu instid0(VALU_DEP_1) | instskip(NEXT) | instid1(VALU_DEP_1)
	v_and_or_b32 v1, 0x80000000, v1, v3
	v_cvt_f16_f32_e32 v10, v1
.LBB182_2120:
	s_mov_b32 s18, 0
.LBB182_2121:
	s_delay_alu instid0(SALU_CYCLE_1)
	s_and_not1_b32 vcc_lo, exec_lo, s18
	s_cbranch_vccnz .LBB182_2123
; %bb.2122:
	global_load_u8 v1, v[4:5], off
	s_wait_loadcnt 0x0
	v_lshlrev_b32_e32 v3, 25, v1
	v_lshlrev_b16 v1, 8, v1
	s_delay_alu instid0(VALU_DEP_1) | instskip(SKIP_1) | instid1(VALU_DEP_2)
	v_and_or_b32 v11, 0x7f00, v1, 0.5
	v_bfe_i32 v1, v1, 0, 16
	v_add_f32_e32 v11, -0.5, v11
	v_lshrrev_b32_e32 v10, 4, v3
	v_cmp_gt_u32_e32 vcc_lo, 0x8000000, v3
	s_delay_alu instid0(VALU_DEP_2) | instskip(NEXT) | instid1(VALU_DEP_1)
	v_or_b32_e32 v10, 0x70000000, v10
	v_mul_f32_e32 v10, 0x7800000, v10
	s_delay_alu instid0(VALU_DEP_1) | instskip(NEXT) | instid1(VALU_DEP_1)
	v_cndmask_b32_e32 v3, v10, v11, vcc_lo
	v_and_or_b32 v1, 0x80000000, v1, v3
	s_delay_alu instid0(VALU_DEP_1)
	v_cvt_f16_f32_e32 v10, v1
.LBB182_2123:
	s_mov_b32 s18, 0
	s_mov_b32 s19, -1
.LBB182_2124:
	s_and_not1_b32 vcc_lo, exec_lo, s18
	s_mov_b32 s18, 0
	s_cbranch_vccnz .LBB182_2135
; %bb.2125:
	s_cmp_gt_i32 s0, 14
	s_cbranch_scc0 .LBB182_2128
; %bb.2126:
	s_cmp_eq_u32 s0, 15
	s_cbranch_scc0 .LBB182_2131
; %bb.2127:
	global_load_u16 v1, v[4:5], off
	s_mov_b32 s9, 0
	s_mov_b32 s19, -1
	s_wait_loadcnt 0x0
	v_lshlrev_b32_e32 v1, 16, v1
	s_delay_alu instid0(VALU_DEP_1)
	v_cvt_f16_f32_e32 v10, v1
	s_branch .LBB182_2133
.LBB182_2128:
	s_mov_b32 s18, -1
	s_branch .LBB182_2132
.LBB182_2129:
	s_or_saveexec_b32 s19, s19
	v_mov_b32_e32 v10, 0x7e00
	s_xor_b32 exec_lo, exec_lo, s19
	s_cbranch_execz .LBB182_2110
.LBB182_2130:
	v_cmp_ne_u16_e32 vcc_lo, 0, v1
	v_mov_b32_e32 v10, v1
	s_and_not1_b32 s18, s18, exec_lo
	s_and_b32 s20, vcc_lo, exec_lo
	s_delay_alu instid0(SALU_CYCLE_1)
	s_or_b32 s18, s18, s20
	s_or_b32 exec_lo, exec_lo, s19
	s_and_saveexec_b32 s19, s18
	s_cbranch_execnz .LBB182_2111
	s_branch .LBB182_2112
.LBB182_2131:
	s_mov_b32 s9, -1
.LBB182_2132:
                                        ; implicit-def: $vgpr10
.LBB182_2133:
	s_and_b32 vcc_lo, exec_lo, s18
	s_mov_b32 s18, 0
	s_cbranch_vccz .LBB182_2135
; %bb.2134:
	s_cmp_lg_u32 s0, 11
	s_mov_b32 s18, -1
	s_cselect_b32 s9, -1, 0
.LBB182_2135:
	s_delay_alu instid0(SALU_CYCLE_1)
	s_and_b32 vcc_lo, exec_lo, s9
	s_cbranch_vccnz .LBB182_2219
; %bb.2136:
	s_and_not1_b32 vcc_lo, exec_lo, s18
	s_cbranch_vccnz .LBB182_2138
.LBB182_2137:
	global_load_u8 v1, v[4:5], off
	s_mov_b32 s19, -1
	s_wait_loadcnt 0x0
	v_cmp_ne_u16_e32 vcc_lo, 0, v1
	v_cndmask_b32_e64 v10, 0, 0x3c00, vcc_lo
.LBB182_2138:
	s_mov_b32 s9, 0
.LBB182_2139:
	s_delay_alu instid0(SALU_CYCLE_1)
	s_and_b32 vcc_lo, exec_lo, s9
	s_cbranch_vccz .LBB182_2188
; %bb.2140:
	s_cmp_lt_i32 s0, 5
	s_cbranch_scc1 .LBB182_2145
; %bb.2141:
	s_cmp_lt_i32 s0, 8
	s_cbranch_scc1 .LBB182_2146
; %bb.2142:
	s_cmp_lt_i32 s0, 9
	s_cbranch_scc1 .LBB182_2147
; %bb.2143:
	s_cmp_gt_i32 s0, 9
	s_cbranch_scc0 .LBB182_2148
; %bb.2144:
	global_load_b64 v[10:11], v[4:5], off
	s_mov_b32 s9, 0
	s_wait_loadcnt 0x0
	v_and_or_b32 v1, 0x1ff, v11, v10
	v_lshrrev_b32_e32 v3, 8, v11
	v_bfe_u32 v10, v11, 20, 11
	s_delay_alu instid0(VALU_DEP_3) | instskip(NEXT) | instid1(VALU_DEP_2)
	v_cmp_ne_u32_e32 vcc_lo, 0, v1
	v_sub_nc_u32_e32 v12, 0x3f1, v10
	v_add_nc_u32_e32 v10, 0xfffffc10, v10
	v_cndmask_b32_e64 v1, 0, 1, vcc_lo
	s_delay_alu instid0(VALU_DEP_1) | instskip(NEXT) | instid1(VALU_DEP_4)
	v_and_or_b32 v1, 0xffe, v3, v1
	v_med3_i32 v3, v12, 0, 13
	s_delay_alu instid0(VALU_DEP_2) | instskip(NEXT) | instid1(VALU_DEP_1)
	v_or_b32_e32 v12, 0x1000, v1
	v_lshrrev_b32_e32 v13, v3, v12
	s_delay_alu instid0(VALU_DEP_1) | instskip(NEXT) | instid1(VALU_DEP_1)
	v_lshlrev_b32_e32 v3, v3, v13
	v_cmp_ne_u32_e32 vcc_lo, v3, v12
	v_lshl_or_b32 v12, v10, 12, v1
	v_cndmask_b32_e64 v3, 0, 1, vcc_lo
	v_cmp_gt_i32_e32 vcc_lo, 1, v10
	s_delay_alu instid0(VALU_DEP_2) | instskip(NEXT) | instid1(VALU_DEP_1)
	v_or_b32_e32 v3, v13, v3
	v_cndmask_b32_e32 v3, v12, v3, vcc_lo
	s_delay_alu instid0(VALU_DEP_1) | instskip(NEXT) | instid1(VALU_DEP_1)
	v_dual_lshrrev_b32 v3, 2, v3 :: v_dual_bitop2_b32 v12, 7, v3 bitop3:0x40
	v_cmp_lt_i32_e32 vcc_lo, 5, v12
	v_cndmask_b32_e64 v13, 0, 1, vcc_lo
	v_cmp_eq_u32_e32 vcc_lo, 3, v12
	v_cndmask_b32_e64 v12, 0, 1, vcc_lo
	v_cmp_ne_u32_e32 vcc_lo, 0, v1
	s_delay_alu instid0(VALU_DEP_2) | instskip(SKIP_1) | instid1(VALU_DEP_2)
	v_or_b32_e32 v12, v12, v13
	v_mov_b32_e32 v13, 0x7e00
	v_add_nc_u32_e32 v3, v3, v12
	s_delay_alu instid0(VALU_DEP_2) | instskip(SKIP_1) | instid1(VALU_DEP_3)
	v_cndmask_b32_e32 v1, 0x7c00, v13, vcc_lo
	v_cmp_gt_i32_e32 vcc_lo, 31, v10
	v_cndmask_b32_e32 v3, 0x7c00, v3, vcc_lo
	v_cmp_eq_u32_e32 vcc_lo, 0x40f, v10
	s_delay_alu instid0(VALU_DEP_2) | instskip(NEXT) | instid1(VALU_DEP_1)
	v_dual_cndmask_b32 v1, v3, v1, vcc_lo :: v_dual_lshrrev_b32 v3, 16, v11
	v_and_or_b32 v10, 0x8000, v3, v1
	s_branch .LBB182_2149
.LBB182_2145:
	s_mov_b32 s9, -1
                                        ; implicit-def: $vgpr10
	s_branch .LBB182_2167
.LBB182_2146:
	s_mov_b32 s9, -1
                                        ; implicit-def: $vgpr10
	s_branch .LBB182_2155
.LBB182_2147:
	s_mov_b32 s9, -1
                                        ; implicit-def: $vgpr10
	s_branch .LBB182_2152
.LBB182_2148:
	s_mov_b32 s9, -1
                                        ; implicit-def: $vgpr10
.LBB182_2149:
	s_delay_alu instid0(SALU_CYCLE_1)
	s_and_not1_b32 vcc_lo, exec_lo, s9
	s_cbranch_vccnz .LBB182_2151
; %bb.2150:
	global_load_b32 v1, v[4:5], off
	s_wait_loadcnt 0x0
	v_cvt_f16_f32_e32 v10, v1
.LBB182_2151:
	s_mov_b32 s9, 0
.LBB182_2152:
	s_delay_alu instid0(SALU_CYCLE_1)
	s_and_not1_b32 vcc_lo, exec_lo, s9
	s_cbranch_vccnz .LBB182_2154
; %bb.2153:
	global_load_b32 v10, v[4:5], off
.LBB182_2154:
	s_mov_b32 s9, 0
.LBB182_2155:
	s_delay_alu instid0(SALU_CYCLE_1)
	s_and_not1_b32 vcc_lo, exec_lo, s9
	s_cbranch_vccnz .LBB182_2166
; %bb.2156:
	s_cmp_lt_i32 s0, 6
	s_cbranch_scc1 .LBB182_2159
; %bb.2157:
	s_cmp_gt_i32 s0, 6
	s_cbranch_scc0 .LBB182_2160
; %bb.2158:
	s_wait_loadcnt 0x0
	global_load_b64 v[10:11], v[4:5], off
	s_mov_b32 s9, 0
	s_wait_loadcnt 0x0
	v_and_or_b32 v1, 0x1ff, v11, v10
	v_lshrrev_b32_e32 v3, 8, v11
	v_bfe_u32 v10, v11, 20, 11
	s_delay_alu instid0(VALU_DEP_3) | instskip(NEXT) | instid1(VALU_DEP_2)
	v_cmp_ne_u32_e32 vcc_lo, 0, v1
	v_sub_nc_u32_e32 v12, 0x3f1, v10
	v_add_nc_u32_e32 v10, 0xfffffc10, v10
	v_cndmask_b32_e64 v1, 0, 1, vcc_lo
	s_delay_alu instid0(VALU_DEP_1) | instskip(NEXT) | instid1(VALU_DEP_4)
	v_and_or_b32 v1, 0xffe, v3, v1
	v_med3_i32 v3, v12, 0, 13
	s_delay_alu instid0(VALU_DEP_2) | instskip(NEXT) | instid1(VALU_DEP_1)
	v_or_b32_e32 v12, 0x1000, v1
	v_lshrrev_b32_e32 v13, v3, v12
	s_delay_alu instid0(VALU_DEP_1) | instskip(NEXT) | instid1(VALU_DEP_1)
	v_lshlrev_b32_e32 v3, v3, v13
	v_cmp_ne_u32_e32 vcc_lo, v3, v12
	v_lshl_or_b32 v12, v10, 12, v1
	v_cndmask_b32_e64 v3, 0, 1, vcc_lo
	v_cmp_gt_i32_e32 vcc_lo, 1, v10
	s_delay_alu instid0(VALU_DEP_2) | instskip(NEXT) | instid1(VALU_DEP_1)
	v_or_b32_e32 v3, v13, v3
	v_cndmask_b32_e32 v3, v12, v3, vcc_lo
	s_delay_alu instid0(VALU_DEP_1) | instskip(NEXT) | instid1(VALU_DEP_1)
	v_dual_lshrrev_b32 v3, 2, v3 :: v_dual_bitop2_b32 v12, 7, v3 bitop3:0x40
	v_cmp_lt_i32_e32 vcc_lo, 5, v12
	v_cndmask_b32_e64 v13, 0, 1, vcc_lo
	v_cmp_eq_u32_e32 vcc_lo, 3, v12
	v_cndmask_b32_e64 v12, 0, 1, vcc_lo
	v_cmp_ne_u32_e32 vcc_lo, 0, v1
	s_delay_alu instid0(VALU_DEP_2) | instskip(SKIP_1) | instid1(VALU_DEP_2)
	v_or_b32_e32 v12, v12, v13
	v_mov_b32_e32 v13, 0x7e00
	v_add_nc_u32_e32 v3, v3, v12
	s_delay_alu instid0(VALU_DEP_2) | instskip(SKIP_1) | instid1(VALU_DEP_3)
	v_cndmask_b32_e32 v1, 0x7c00, v13, vcc_lo
	v_cmp_gt_i32_e32 vcc_lo, 31, v10
	v_cndmask_b32_e32 v3, 0x7c00, v3, vcc_lo
	v_cmp_eq_u32_e32 vcc_lo, 0x40f, v10
	s_delay_alu instid0(VALU_DEP_2) | instskip(NEXT) | instid1(VALU_DEP_1)
	v_dual_cndmask_b32 v1, v3, v1, vcc_lo :: v_dual_lshrrev_b32 v3, 16, v11
	v_and_or_b32 v10, 0x8000, v3, v1
	s_branch .LBB182_2161
.LBB182_2159:
	s_mov_b32 s9, -1
                                        ; implicit-def: $vgpr10
	s_branch .LBB182_2164
.LBB182_2160:
	s_mov_b32 s9, -1
                                        ; implicit-def: $vgpr10
.LBB182_2161:
	s_delay_alu instid0(SALU_CYCLE_1)
	s_and_not1_b32 vcc_lo, exec_lo, s9
	s_cbranch_vccnz .LBB182_2163
; %bb.2162:
	global_load_b32 v1, v[4:5], off
	s_wait_loadcnt 0x0
	v_cvt_f16_f32_e32 v10, v1
.LBB182_2163:
	s_mov_b32 s9, 0
.LBB182_2164:
	s_delay_alu instid0(SALU_CYCLE_1)
	s_and_not1_b32 vcc_lo, exec_lo, s9
	s_cbranch_vccnz .LBB182_2166
; %bb.2165:
	s_wait_loadcnt 0x0
	global_load_u16 v10, v[4:5], off
.LBB182_2166:
	s_mov_b32 s9, 0
.LBB182_2167:
	s_delay_alu instid0(SALU_CYCLE_1)
	s_and_not1_b32 vcc_lo, exec_lo, s9
	s_cbranch_vccnz .LBB182_2187
; %bb.2168:
	s_cmp_lt_i32 s0, 2
	s_cbranch_scc1 .LBB182_2172
; %bb.2169:
	s_cmp_lt_i32 s0, 3
	s_cbranch_scc1 .LBB182_2173
; %bb.2170:
	s_cmp_gt_i32 s0, 3
	s_cbranch_scc0 .LBB182_2174
; %bb.2171:
	s_wait_loadcnt 0x0
	global_load_b64 v[10:11], v[4:5], off
	s_mov_b32 s9, 0
	s_wait_loadcnt 0x0
	v_xor_b32_e32 v1, v10, v11
	v_cls_i32_e32 v3, v11
	s_delay_alu instid0(VALU_DEP_2) | instskip(NEXT) | instid1(VALU_DEP_1)
	v_ashrrev_i32_e32 v1, 31, v1
	v_add_nc_u32_e32 v1, 32, v1
	s_delay_alu instid0(VALU_DEP_1) | instskip(NEXT) | instid1(VALU_DEP_1)
	v_add_min_u32_e64 v1, v3, -1, v1
	v_lshlrev_b64_e32 v[10:11], v1, v[10:11]
	v_sub_nc_u32_e32 v1, 32, v1
	s_delay_alu instid0(VALU_DEP_2) | instskip(NEXT) | instid1(VALU_DEP_1)
	v_min_u32_e32 v3, 1, v10
	v_or_b32_e32 v3, v11, v3
	s_delay_alu instid0(VALU_DEP_1) | instskip(NEXT) | instid1(VALU_DEP_1)
	v_cvt_f32_i32_e32 v3, v3
	v_ldexp_f32 v1, v3, v1
	s_delay_alu instid0(VALU_DEP_1)
	v_cvt_f16_f32_e32 v10, v1
	s_branch .LBB182_2175
.LBB182_2172:
	s_mov_b32 s9, -1
                                        ; implicit-def: $vgpr10
	s_branch .LBB182_2181
.LBB182_2173:
	s_mov_b32 s9, -1
                                        ; implicit-def: $vgpr10
	s_branch .LBB182_2178
.LBB182_2174:
	s_mov_b32 s9, -1
                                        ; implicit-def: $vgpr10
.LBB182_2175:
	s_delay_alu instid0(SALU_CYCLE_1)
	s_and_not1_b32 vcc_lo, exec_lo, s9
	s_cbranch_vccnz .LBB182_2177
; %bb.2176:
	global_load_b32 v1, v[4:5], off
	s_wait_loadcnt 0x0
	v_cvt_f32_i32_e32 v1, v1
	s_delay_alu instid0(VALU_DEP_1)
	v_cvt_f16_f32_e32 v10, v1
.LBB182_2177:
	s_mov_b32 s9, 0
.LBB182_2178:
	s_delay_alu instid0(SALU_CYCLE_1)
	s_and_not1_b32 vcc_lo, exec_lo, s9
	s_cbranch_vccnz .LBB182_2180
; %bb.2179:
	global_load_u16 v1, v[4:5], off
	s_wait_loadcnt 0x0
	v_cvt_f16_i16_e32 v10, v1
.LBB182_2180:
	s_mov_b32 s9, 0
.LBB182_2181:
	s_delay_alu instid0(SALU_CYCLE_1)
	s_and_not1_b32 vcc_lo, exec_lo, s9
	s_cbranch_vccnz .LBB182_2187
; %bb.2182:
	s_cmp_gt_i32 s0, 0
	s_mov_b32 s9, 0
	s_cbranch_scc0 .LBB182_2184
; %bb.2183:
	global_load_i8 v1, v[4:5], off
	s_wait_loadcnt 0x0
	v_cvt_f16_i16_e32 v10, v1
	s_branch .LBB182_2185
.LBB182_2184:
	s_mov_b32 s9, -1
                                        ; implicit-def: $vgpr10
.LBB182_2185:
	s_delay_alu instid0(SALU_CYCLE_1)
	s_and_not1_b32 vcc_lo, exec_lo, s9
	s_cbranch_vccnz .LBB182_2187
; %bb.2186:
	global_load_u8 v1, v[4:5], off
	s_wait_loadcnt 0x0
	v_cvt_f16_u16_e32 v10, v1
.LBB182_2187:
	s_mov_b32 s19, -1
.LBB182_2188:
	s_delay_alu instid0(SALU_CYCLE_1)
	s_and_not1_b32 vcc_lo, exec_lo, s19
	s_cbranch_vccnz .LBB182_3190
; %bb.2189:
	s_cmp_lt_i32 s15, 23
	s_cbranch_scc1 .LBB182_2193
; %bb.2190:
	s_and_b32 s19, 0xffff, s15
	s_delay_alu instid0(SALU_CYCLE_1)
	s_cmp_gt_i32 s19, 43
	s_cbranch_scc0 .LBB182_2194
; %bb.2191:
	s_cmp_gt_i32 s19, 45
	s_cbranch_scc0 .LBB182_2195
; %bb.2192:
	s_cmp_lg_u32 s19, 46
	s_mov_b32 s20, 0
	s_mov_b32 s9, -1
	s_cselect_b32 s18, -1, 0
	s_branch .LBB182_2196
.LBB182_2193:
	s_mov_b32 s19, -1
	s_mov_b32 s9, 0
	s_mov_b32 s18, 0
	s_branch .LBB182_2202
.LBB182_2194:
	s_mov_b32 s20, -1
	s_mov_b32 s9, 0
	s_mov_b32 s18, 0
	s_branch .LBB182_2199
.LBB182_2195:
	s_mov_b32 s20, -1
	s_mov_b32 s9, 0
	s_mov_b32 s18, 0
.LBB182_2196:
	s_and_not1_b32 vcc_lo, exec_lo, s20
	s_cbranch_vccnz .LBB182_2198
; %bb.2197:
	s_cmp_eq_u32 s19, 44
	s_cselect_b32 s9, -1, 0
	s_cmp_lg_u32 s19, 44
	s_cselect_b32 s18, -1, 0
.LBB182_2198:
	s_mov_b32 s20, 0
.LBB182_2199:
	s_delay_alu instid0(SALU_CYCLE_1)
	s_and_b32 vcc_lo, exec_lo, s20
	s_cbranch_vccz .LBB182_2201
; %bb.2200:
	s_cmp_lt_i32 s19, 30
	s_cselect_b32 s9, -1, 0
	s_cmp_gt_i32 s19, 29
	s_cselect_b32 s18, -1, 0
.LBB182_2201:
	s_mov_b32 s19, 0
.LBB182_2202:
	s_delay_alu instid0(SALU_CYCLE_1)
	s_and_b32 vcc_lo, exec_lo, s19
	s_cbranch_vccz .LBB182_2207
; %bb.2203:
	s_and_b32 s19, 0xffff, s15
	s_mov_b32 s20, -1
	s_cmp_gt_i32 s19, 14
	s_cbranch_scc0 .LBB182_2205
; %bb.2204:
	s_cmp_eq_u32 s19, 15
	s_mov_b32 s20, 0
	s_cselect_b32 s9, -1, 0
	s_cmp_lg_u32 s19, 15
	s_cselect_b32 s18, -1, 0
.LBB182_2205:
	s_and_not1_b32 vcc_lo, exec_lo, s20
	s_cbranch_vccnz .LBB182_2207
; %bb.2206:
	s_cmp_lt_i32 s19, 12
	s_cselect_b32 s9, -1, 0
	s_cmp_gt_i32 s19, 11
	s_cselect_b32 s18, -1, 0
.LBB182_2207:
	s_delay_alu instid0(SALU_CYCLE_1)
	s_and_b32 vcc_lo, exec_lo, s18
	s_cbranch_vccnz .LBB182_2220
; %bb.2208:
	s_and_not1_b32 vcc_lo, exec_lo, s9
	s_cbranch_vccnz .LBB182_3190
.LBB182_2209:
	v_add_nc_u32_e32 v0, s1, v0
	s_cmp_lt_i32 s13, 11
	s_delay_alu instid0(VALU_DEP_1) | instskip(SKIP_1) | instid1(VALU_DEP_1)
	v_ashrrev_i32_e32 v1, 31, v0
	s_wait_xcnt 0x0
	v_add_nc_u64_e32 v[4:5], s[4:5], v[0:1]
	s_cbranch_scc1 .LBB182_2216
; %bb.2210:
	s_and_b32 s9, 0xffff, s13
	s_mov_b32 s19, 0
	s_cmp_gt_i32 s9, 25
	s_cbranch_scc0 .LBB182_2217
; %bb.2211:
	s_cmp_gt_i32 s9, 28
	s_cbranch_scc0 .LBB182_2218
; %bb.2212:
	;; [unrolled: 3-line block ×4, first 2 shown]
	s_cmp_eq_u32 s9, 46
	s_mov_b32 s21, 0
	s_cbranch_scc0 .LBB182_2225
; %bb.2215:
	global_load_b32 v1, v[4:5], off
	s_mov_b32 s18, 0
	s_mov_b32 s20, -1
	s_wait_loadcnt 0x0
	v_lshlrev_b32_e32 v1, 16, v1
	s_delay_alu instid0(VALU_DEP_1)
	v_cvt_f16_f32_e32 v11, v1
	s_branch .LBB182_2227
.LBB182_2216:
	s_mov_b32 s9, -1
	s_mov_b32 s20, 0
                                        ; implicit-def: $vgpr11
	s_branch .LBB182_2293
.LBB182_2217:
	s_mov_b32 s21, -1
	s_mov_b32 s20, 0
	s_mov_b32 s18, 0
                                        ; implicit-def: $vgpr11
	s_branch .LBB182_2256
.LBB182_2218:
	s_mov_b32 s21, -1
	s_mov_b32 s20, 0
	s_mov_b32 s18, 0
                                        ; implicit-def: $vgpr11
	s_branch .LBB182_2237
.LBB182_2219:
	s_or_b32 s14, s14, exec_lo
	s_trap 2
	s_cbranch_execz .LBB182_2137
	s_branch .LBB182_2138
.LBB182_2220:
	s_or_b32 s14, s14, exec_lo
	s_trap 2
	s_cbranch_execz .LBB182_2209
	s_branch .LBB182_3190
.LBB182_2221:
	s_mov_b32 s21, -1
	s_mov_b32 s20, 0
	s_mov_b32 s18, 0
                                        ; implicit-def: $vgpr11
	s_branch .LBB182_2232
.LBB182_2222:
	s_and_not1_saveexec_b32 s37, s37
	s_cbranch_execz .LBB182_1143
.LBB182_2223:
	v_add_f32_e64 v4, 0x42800000, |v3|
	s_and_not1_b32 s36, s36, exec_lo
	s_delay_alu instid0(VALU_DEP_1) | instskip(NEXT) | instid1(VALU_DEP_1)
	v_and_b32_e32 v4, 0xff, v4
	v_cmp_ne_u32_e32 vcc_lo, 0, v4
	s_and_b32 s38, vcc_lo, exec_lo
	s_delay_alu instid0(SALU_CYCLE_1)
	s_or_b32 s36, s36, s38
	s_or_b32 exec_lo, exec_lo, s37
	v_mov_b32_e32 v5, 0
	s_and_saveexec_b32 s37, s36
	s_cbranch_execnz .LBB182_1144
	s_branch .LBB182_1145
.LBB182_2224:
	s_mov_b32 s21, -1
	s_mov_b32 s20, 0
	s_mov_b32 s18, 0
	s_branch .LBB182_2226
.LBB182_2225:
	s_mov_b32 s18, -1
	s_mov_b32 s20, 0
.LBB182_2226:
                                        ; implicit-def: $vgpr11
.LBB182_2227:
	s_and_b32 vcc_lo, exec_lo, s21
	s_cbranch_vccz .LBB182_2231
; %bb.2228:
	s_cmp_eq_u32 s9, 44
	s_cbranch_scc0 .LBB182_2230
; %bb.2229:
	global_load_u8 v1, v[4:5], off
	s_mov_b32 s18, 0
	s_mov_b32 s20, -1
	s_wait_loadcnt 0x0
	v_lshlrev_b32_e32 v3, 23, v1
	v_cmp_ne_u32_e32 vcc_lo, 0xff, v1
	s_delay_alu instid0(VALU_DEP_2) | instskip(NEXT) | instid1(VALU_DEP_1)
	v_cvt_f16_f32_e32 v3, v3
	v_cndmask_b32_e32 v3, 0x7e00, v3, vcc_lo
	v_cmp_ne_u32_e32 vcc_lo, 0, v1
	s_delay_alu instid0(VALU_DEP_2)
	v_cndmask_b32_e32 v11, 0, v3, vcc_lo
	s_branch .LBB182_2231
.LBB182_2230:
	s_mov_b32 s18, -1
                                        ; implicit-def: $vgpr11
.LBB182_2231:
	s_mov_b32 s21, 0
.LBB182_2232:
	s_delay_alu instid0(SALU_CYCLE_1)
	s_and_b32 vcc_lo, exec_lo, s21
	s_cbranch_vccz .LBB182_2236
; %bb.2233:
	s_cmp_eq_u32 s9, 29
	s_cbranch_scc0 .LBB182_2235
; %bb.2234:
	global_load_b64 v[12:13], v[4:5], off
	s_mov_b32 s18, 0
	s_mov_b32 s20, -1
	s_mov_b32 s21, 0
	s_wait_loadcnt 0x0
	v_clz_i32_u32_e32 v1, v13
	s_delay_alu instid0(VALU_DEP_1) | instskip(NEXT) | instid1(VALU_DEP_1)
	v_min_u32_e32 v1, 32, v1
	v_lshlrev_b64_e32 v[12:13], v1, v[12:13]
	v_sub_nc_u32_e32 v1, 32, v1
	s_delay_alu instid0(VALU_DEP_2) | instskip(NEXT) | instid1(VALU_DEP_1)
	v_min_u32_e32 v3, 1, v12
	v_or_b32_e32 v3, v13, v3
	s_delay_alu instid0(VALU_DEP_1) | instskip(NEXT) | instid1(VALU_DEP_1)
	v_cvt_f32_u32_e32 v3, v3
	v_ldexp_f32 v1, v3, v1
	s_delay_alu instid0(VALU_DEP_1)
	v_cvt_f16_f32_e32 v11, v1
	s_branch .LBB182_2237
.LBB182_2235:
	s_mov_b32 s18, -1
                                        ; implicit-def: $vgpr11
.LBB182_2236:
	s_mov_b32 s21, 0
.LBB182_2237:
	s_delay_alu instid0(SALU_CYCLE_1)
	s_and_b32 vcc_lo, exec_lo, s21
	s_cbranch_vccz .LBB182_2255
; %bb.2238:
	s_cmp_lt_i32 s9, 27
	s_cbranch_scc1 .LBB182_2241
; %bb.2239:
	s_cmp_gt_i32 s9, 27
	s_cbranch_scc0 .LBB182_2242
; %bb.2240:
	global_load_b32 v1, v[4:5], off
	s_mov_b32 s20, 0
	s_wait_loadcnt 0x0
	v_cvt_f32_u32_e32 v1, v1
	s_delay_alu instid0(VALU_DEP_1)
	v_cvt_f16_f32_e32 v11, v1
	s_branch .LBB182_2243
.LBB182_2241:
	s_mov_b32 s20, -1
                                        ; implicit-def: $vgpr11
	s_branch .LBB182_2246
.LBB182_2242:
	s_mov_b32 s20, -1
                                        ; implicit-def: $vgpr11
.LBB182_2243:
	s_delay_alu instid0(SALU_CYCLE_1)
	s_and_not1_b32 vcc_lo, exec_lo, s20
	s_cbranch_vccnz .LBB182_2245
; %bb.2244:
	global_load_u16 v1, v[4:5], off
	s_wait_loadcnt 0x0
	v_cvt_f16_u16_e32 v11, v1
.LBB182_2245:
	s_mov_b32 s20, 0
.LBB182_2246:
	s_delay_alu instid0(SALU_CYCLE_1)
	s_and_not1_b32 vcc_lo, exec_lo, s20
	s_cbranch_vccnz .LBB182_2254
; %bb.2247:
	global_load_u8 v1, v[4:5], off
	s_mov_b32 s20, 0
	s_mov_b32 s21, exec_lo
	s_wait_loadcnt 0x0
	v_cmpx_lt_i16_e32 0x7f, v1
	s_xor_b32 s21, exec_lo, s21
	s_cbranch_execz .LBB182_2268
; %bb.2248:
	s_mov_b32 s20, -1
	s_mov_b32 s22, exec_lo
	v_cmpx_eq_u16_e32 0x80, v1
; %bb.2249:
	s_xor_b32 s20, exec_lo, -1
; %bb.2250:
	s_or_b32 exec_lo, exec_lo, s22
	s_delay_alu instid0(SALU_CYCLE_1)
	s_and_b32 s20, s20, exec_lo
	s_or_saveexec_b32 s21, s21
	v_mov_b32_e32 v11, 0x7e00
	s_xor_b32 exec_lo, exec_lo, s21
	s_cbranch_execnz .LBB182_2269
.LBB182_2251:
	s_or_b32 exec_lo, exec_lo, s21
	s_and_saveexec_b32 s21, s20
	s_cbranch_execz .LBB182_2253
.LBB182_2252:
	v_and_b32_e32 v3, 0xffff, v1
	s_delay_alu instid0(VALU_DEP_1) | instskip(SKIP_1) | instid1(VALU_DEP_2)
	v_and_b32_e32 v11, 7, v3
	v_bfe_u32 v14, v3, 3, 4
	v_clz_i32_u32_e32 v12, v11
	s_delay_alu instid0(VALU_DEP_2) | instskip(NEXT) | instid1(VALU_DEP_2)
	v_cmp_eq_u32_e32 vcc_lo, 0, v14
	v_min_u32_e32 v12, 32, v12
	s_delay_alu instid0(VALU_DEP_1) | instskip(NEXT) | instid1(VALU_DEP_1)
	v_subrev_nc_u32_e32 v13, 28, v12
	v_dual_lshlrev_b32 v3, v13, v3 :: v_dual_sub_nc_u32 v12, 29, v12
	s_delay_alu instid0(VALU_DEP_1) | instskip(NEXT) | instid1(VALU_DEP_1)
	v_dual_lshlrev_b32 v1, 24, v1 :: v_dual_bitop2_b32 v3, 7, v3 bitop3:0x40
	v_dual_cndmask_b32 v12, v14, v12 :: v_dual_cndmask_b32 v3, v11, v3
	s_delay_alu instid0(VALU_DEP_2) | instskip(NEXT) | instid1(VALU_DEP_2)
	v_and_b32_e32 v1, 0x80000000, v1
	v_lshl_add_u32 v11, v12, 23, 0x3b800000
	s_delay_alu instid0(VALU_DEP_3) | instskip(NEXT) | instid1(VALU_DEP_1)
	v_lshlrev_b32_e32 v3, 20, v3
	v_or3_b32 v1, v1, v11, v3
	s_delay_alu instid0(VALU_DEP_1)
	v_cvt_f16_f32_e32 v11, v1
.LBB182_2253:
	s_or_b32 exec_lo, exec_lo, s21
.LBB182_2254:
	s_mov_b32 s20, -1
.LBB182_2255:
	s_mov_b32 s21, 0
.LBB182_2256:
	s_delay_alu instid0(SALU_CYCLE_1)
	s_and_b32 vcc_lo, exec_lo, s21
	s_cbranch_vccz .LBB182_2289
; %bb.2257:
	s_cmp_gt_i32 s9, 22
	s_cbranch_scc0 .LBB182_2267
; %bb.2258:
	s_cmp_lt_i32 s9, 24
	s_cbranch_scc1 .LBB182_2270
; %bb.2259:
	s_cmp_gt_i32 s9, 24
	s_cbranch_scc0 .LBB182_2271
; %bb.2260:
	global_load_u8 v1, v[4:5], off
	s_mov_b32 s20, exec_lo
	s_wait_loadcnt 0x0
	v_cmpx_lt_i16_e32 0x7f, v1
	s_xor_b32 s20, exec_lo, s20
	s_cbranch_execz .LBB182_2283
; %bb.2261:
	s_mov_b32 s19, -1
	s_mov_b32 s21, exec_lo
	v_cmpx_eq_u16_e32 0x80, v1
; %bb.2262:
	s_xor_b32 s19, exec_lo, -1
; %bb.2263:
	s_or_b32 exec_lo, exec_lo, s21
	s_delay_alu instid0(SALU_CYCLE_1)
	s_and_b32 s19, s19, exec_lo
	s_or_saveexec_b32 s20, s20
	v_mov_b32_e32 v11, 0x7e00
	s_xor_b32 exec_lo, exec_lo, s20
	s_cbranch_execnz .LBB182_2284
.LBB182_2264:
	s_or_b32 exec_lo, exec_lo, s20
	s_and_saveexec_b32 s20, s19
	s_cbranch_execz .LBB182_2266
.LBB182_2265:
	v_and_b32_e32 v3, 0xffff, v1
	s_delay_alu instid0(VALU_DEP_1) | instskip(SKIP_1) | instid1(VALU_DEP_2)
	v_and_b32_e32 v11, 3, v3
	v_bfe_u32 v14, v3, 2, 5
	v_clz_i32_u32_e32 v12, v11
	s_delay_alu instid0(VALU_DEP_2) | instskip(NEXT) | instid1(VALU_DEP_2)
	v_cmp_eq_u32_e32 vcc_lo, 0, v14
	v_min_u32_e32 v12, 32, v12
	s_delay_alu instid0(VALU_DEP_1) | instskip(NEXT) | instid1(VALU_DEP_1)
	v_subrev_nc_u32_e32 v13, 29, v12
	v_dual_lshlrev_b32 v3, v13, v3 :: v_dual_sub_nc_u32 v12, 30, v12
	s_delay_alu instid0(VALU_DEP_1) | instskip(NEXT) | instid1(VALU_DEP_1)
	v_dual_lshlrev_b32 v1, 24, v1 :: v_dual_bitop2_b32 v3, 3, v3 bitop3:0x40
	v_dual_cndmask_b32 v12, v14, v12 :: v_dual_cndmask_b32 v3, v11, v3
	s_delay_alu instid0(VALU_DEP_2) | instskip(NEXT) | instid1(VALU_DEP_2)
	v_and_b32_e32 v1, 0x80000000, v1
	v_lshl_add_u32 v11, v12, 23, 0x37800000
	s_delay_alu instid0(VALU_DEP_3) | instskip(NEXT) | instid1(VALU_DEP_1)
	v_lshlrev_b32_e32 v3, 21, v3
	v_or3_b32 v1, v1, v11, v3
	s_delay_alu instid0(VALU_DEP_1)
	v_cvt_f16_f32_e32 v11, v1
.LBB182_2266:
	s_or_b32 exec_lo, exec_lo, s20
	s_mov_b32 s19, 0
	s_branch .LBB182_2272
.LBB182_2267:
	s_mov_b32 s19, -1
                                        ; implicit-def: $vgpr11
	s_branch .LBB182_2278
.LBB182_2268:
	s_or_saveexec_b32 s21, s21
	v_mov_b32_e32 v11, 0x7e00
	s_xor_b32 exec_lo, exec_lo, s21
	s_cbranch_execz .LBB182_2251
.LBB182_2269:
	v_cmp_ne_u16_e32 vcc_lo, 0, v1
	v_mov_b32_e32 v11, v1
	s_and_not1_b32 s20, s20, exec_lo
	s_and_b32 s22, vcc_lo, exec_lo
	s_delay_alu instid0(SALU_CYCLE_1)
	s_or_b32 s20, s20, s22
	s_or_b32 exec_lo, exec_lo, s21
	s_and_saveexec_b32 s21, s20
	s_cbranch_execnz .LBB182_2252
	s_branch .LBB182_2253
.LBB182_2270:
	s_mov_b32 s19, -1
                                        ; implicit-def: $vgpr11
	s_branch .LBB182_2275
.LBB182_2271:
	s_mov_b32 s19, -1
                                        ; implicit-def: $vgpr11
.LBB182_2272:
	s_delay_alu instid0(SALU_CYCLE_1)
	s_and_b32 vcc_lo, exec_lo, s19
	s_cbranch_vccz .LBB182_2274
; %bb.2273:
	global_load_u8 v1, v[4:5], off
	s_wait_loadcnt 0x0
	v_lshlrev_b32_e32 v1, 24, v1
	s_delay_alu instid0(VALU_DEP_1) | instskip(NEXT) | instid1(VALU_DEP_1)
	v_and_b32_e32 v3, 0x7f000000, v1
	v_clz_i32_u32_e32 v11, v3
	v_add_nc_u32_e32 v13, 0x1000000, v3
	v_cmp_ne_u32_e32 vcc_lo, 0, v3
	s_delay_alu instid0(VALU_DEP_3) | instskip(NEXT) | instid1(VALU_DEP_1)
	v_min_u32_e32 v11, 32, v11
	v_sub_nc_u32_e64 v11, v11, 4 clamp
	s_delay_alu instid0(VALU_DEP_1) | instskip(NEXT) | instid1(VALU_DEP_1)
	v_lshlrev_b32_e32 v12, v11, v3
	v_dual_lshlrev_b32 v11, 23, v11 :: v_dual_lshrrev_b32 v12, 4, v12
	s_delay_alu instid0(VALU_DEP_1) | instskip(NEXT) | instid1(VALU_DEP_1)
	v_dual_sub_nc_u32 v11, v12, v11 :: v_dual_ashrrev_i32 v12, 8, v13
	v_add_nc_u32_e32 v11, 0x3c000000, v11
	s_delay_alu instid0(VALU_DEP_1) | instskip(NEXT) | instid1(VALU_DEP_1)
	v_and_or_b32 v11, 0x7f800000, v12, v11
	v_cndmask_b32_e32 v3, 0, v11, vcc_lo
	s_delay_alu instid0(VALU_DEP_1) | instskip(NEXT) | instid1(VALU_DEP_1)
	v_and_or_b32 v1, 0x80000000, v1, v3
	v_cvt_f16_f32_e32 v11, v1
.LBB182_2274:
	s_mov_b32 s19, 0
.LBB182_2275:
	s_delay_alu instid0(SALU_CYCLE_1)
	s_and_not1_b32 vcc_lo, exec_lo, s19
	s_cbranch_vccnz .LBB182_2277
; %bb.2276:
	global_load_u8 v1, v[4:5], off
	s_wait_loadcnt 0x0
	v_lshlrev_b32_e32 v3, 25, v1
	v_lshlrev_b16 v1, 8, v1
	s_delay_alu instid0(VALU_DEP_1) | instskip(SKIP_1) | instid1(VALU_DEP_2)
	v_and_or_b32 v12, 0x7f00, v1, 0.5
	v_bfe_i32 v1, v1, 0, 16
	v_dual_add_f32 v12, -0.5, v12 :: v_dual_lshrrev_b32 v11, 4, v3
	v_cmp_gt_u32_e32 vcc_lo, 0x8000000, v3
	s_delay_alu instid0(VALU_DEP_2) | instskip(NEXT) | instid1(VALU_DEP_1)
	v_or_b32_e32 v11, 0x70000000, v11
	v_mul_f32_e32 v11, 0x7800000, v11
	s_delay_alu instid0(VALU_DEP_1) | instskip(NEXT) | instid1(VALU_DEP_1)
	v_cndmask_b32_e32 v3, v11, v12, vcc_lo
	v_and_or_b32 v1, 0x80000000, v1, v3
	s_delay_alu instid0(VALU_DEP_1)
	v_cvt_f16_f32_e32 v11, v1
.LBB182_2277:
	s_mov_b32 s19, 0
	s_mov_b32 s20, -1
.LBB182_2278:
	s_and_not1_b32 vcc_lo, exec_lo, s19
	s_mov_b32 s19, 0
	s_cbranch_vccnz .LBB182_2289
; %bb.2279:
	s_cmp_gt_i32 s9, 14
	s_cbranch_scc0 .LBB182_2282
; %bb.2280:
	s_cmp_eq_u32 s9, 15
	s_cbranch_scc0 .LBB182_2285
; %bb.2281:
	global_load_u16 v1, v[4:5], off
	s_mov_b32 s18, 0
	s_mov_b32 s20, -1
	s_wait_loadcnt 0x0
	v_lshlrev_b32_e32 v1, 16, v1
	s_delay_alu instid0(VALU_DEP_1)
	v_cvt_f16_f32_e32 v11, v1
	s_branch .LBB182_2287
.LBB182_2282:
	s_mov_b32 s19, -1
	s_branch .LBB182_2286
.LBB182_2283:
	s_or_saveexec_b32 s20, s20
	v_mov_b32_e32 v11, 0x7e00
	s_xor_b32 exec_lo, exec_lo, s20
	s_cbranch_execz .LBB182_2264
.LBB182_2284:
	v_cmp_ne_u16_e32 vcc_lo, 0, v1
	v_mov_b32_e32 v11, v1
	s_and_not1_b32 s19, s19, exec_lo
	s_and_b32 s21, vcc_lo, exec_lo
	s_delay_alu instid0(SALU_CYCLE_1)
	s_or_b32 s19, s19, s21
	s_or_b32 exec_lo, exec_lo, s20
	s_and_saveexec_b32 s20, s19
	s_cbranch_execnz .LBB182_2265
	s_branch .LBB182_2266
.LBB182_2285:
	s_mov_b32 s18, -1
.LBB182_2286:
                                        ; implicit-def: $vgpr11
.LBB182_2287:
	s_and_b32 vcc_lo, exec_lo, s19
	s_mov_b32 s19, 0
	s_cbranch_vccz .LBB182_2289
; %bb.2288:
	s_cmp_lg_u32 s9, 11
	s_mov_b32 s19, -1
	s_cselect_b32 s18, -1, 0
.LBB182_2289:
	s_delay_alu instid0(SALU_CYCLE_1)
	s_and_b32 vcc_lo, exec_lo, s18
	s_cbranch_vccnz .LBB182_2354
; %bb.2290:
	s_and_not1_b32 vcc_lo, exec_lo, s19
	s_cbranch_vccnz .LBB182_2292
.LBB182_2291:
	global_load_u8 v1, v[4:5], off
	s_mov_b32 s20, -1
	s_wait_loadcnt 0x0
	v_cmp_ne_u16_e32 vcc_lo, 0, v1
	v_cndmask_b32_e64 v11, 0, 0x3c00, vcc_lo
.LBB182_2292:
	s_mov_b32 s9, 0
.LBB182_2293:
	s_delay_alu instid0(SALU_CYCLE_1)
	s_and_b32 vcc_lo, exec_lo, s9
	s_cbranch_vccz .LBB182_2342
; %bb.2294:
	s_and_b32 s9, 0xffff, s13
	s_delay_alu instid0(SALU_CYCLE_1)
	s_cmp_lt_i32 s9, 5
	s_cbranch_scc1 .LBB182_2299
; %bb.2295:
	s_cmp_lt_i32 s9, 8
	s_cbranch_scc1 .LBB182_2300
; %bb.2296:
	;; [unrolled: 3-line block ×3, first 2 shown]
	s_cmp_gt_i32 s9, 9
	s_cbranch_scc0 .LBB182_2302
; %bb.2298:
	global_load_b64 v[12:13], v[4:5], off
	s_mov_b32 s18, 0
	s_wait_loadcnt 0x0
	v_and_or_b32 v1, 0x1ff, v13, v12
	v_lshrrev_b32_e32 v3, 8, v13
	v_bfe_u32 v11, v13, 20, 11
	s_delay_alu instid0(VALU_DEP_3) | instskip(NEXT) | instid1(VALU_DEP_2)
	v_cmp_ne_u32_e32 vcc_lo, 0, v1
	v_sub_nc_u32_e32 v12, 0x3f1, v11
	v_add_nc_u32_e32 v11, 0xfffffc10, v11
	v_cndmask_b32_e64 v1, 0, 1, vcc_lo
	s_delay_alu instid0(VALU_DEP_1) | instskip(NEXT) | instid1(VALU_DEP_4)
	v_and_or_b32 v1, 0xffe, v3, v1
	v_med3_i32 v3, v12, 0, 13
	s_delay_alu instid0(VALU_DEP_2) | instskip(NEXT) | instid1(VALU_DEP_1)
	v_or_b32_e32 v12, 0x1000, v1
	v_lshrrev_b32_e32 v14, v3, v12
	s_delay_alu instid0(VALU_DEP_1) | instskip(NEXT) | instid1(VALU_DEP_1)
	v_lshlrev_b32_e32 v3, v3, v14
	v_cmp_ne_u32_e32 vcc_lo, v3, v12
	v_lshl_or_b32 v12, v11, 12, v1
	v_cndmask_b32_e64 v3, 0, 1, vcc_lo
	v_cmp_gt_i32_e32 vcc_lo, 1, v11
	s_delay_alu instid0(VALU_DEP_2) | instskip(NEXT) | instid1(VALU_DEP_1)
	v_or_b32_e32 v3, v14, v3
	v_cndmask_b32_e32 v3, v12, v3, vcc_lo
	s_delay_alu instid0(VALU_DEP_1) | instskip(NEXT) | instid1(VALU_DEP_1)
	v_dual_lshrrev_b32 v3, 2, v3 :: v_dual_bitop2_b32 v12, 7, v3 bitop3:0x40
	v_cmp_lt_i32_e32 vcc_lo, 5, v12
	v_cndmask_b32_e64 v14, 0, 1, vcc_lo
	v_cmp_eq_u32_e32 vcc_lo, 3, v12
	v_cndmask_b32_e64 v12, 0, 1, vcc_lo
	v_cmp_ne_u32_e32 vcc_lo, 0, v1
	s_delay_alu instid0(VALU_DEP_2) | instskip(NEXT) | instid1(VALU_DEP_1)
	v_or_b32_e32 v12, v12, v14
	v_dual_mov_b32 v14, 0x7e00 :: v_dual_add_nc_u32 v3, v3, v12
	s_delay_alu instid0(VALU_DEP_1) | instskip(SKIP_1) | instid1(VALU_DEP_3)
	v_cndmask_b32_e32 v1, 0x7c00, v14, vcc_lo
	v_cmp_gt_i32_e32 vcc_lo, 31, v11
	v_cndmask_b32_e32 v3, 0x7c00, v3, vcc_lo
	v_cmp_eq_u32_e32 vcc_lo, 0x40f, v11
	s_delay_alu instid0(VALU_DEP_2) | instskip(SKIP_1) | instid1(VALU_DEP_1)
	v_cndmask_b32_e32 v1, v3, v1, vcc_lo
	v_lshrrev_b32_e32 v3, 16, v13
	v_and_or_b32 v11, 0x8000, v3, v1
	s_branch .LBB182_2303
.LBB182_2299:
	s_mov_b32 s18, -1
                                        ; implicit-def: $vgpr11
	s_branch .LBB182_2321
.LBB182_2300:
	s_mov_b32 s18, -1
                                        ; implicit-def: $vgpr11
	s_branch .LBB182_2309
.LBB182_2301:
	s_mov_b32 s18, -1
                                        ; implicit-def: $vgpr11
	s_branch .LBB182_2306
.LBB182_2302:
	s_mov_b32 s18, -1
                                        ; implicit-def: $vgpr11
.LBB182_2303:
	s_delay_alu instid0(SALU_CYCLE_1)
	s_and_not1_b32 vcc_lo, exec_lo, s18
	s_cbranch_vccnz .LBB182_2305
; %bb.2304:
	global_load_b32 v1, v[4:5], off
	s_wait_loadcnt 0x0
	v_cvt_f16_f32_e32 v11, v1
.LBB182_2305:
	s_mov_b32 s18, 0
.LBB182_2306:
	s_delay_alu instid0(SALU_CYCLE_1)
	s_and_not1_b32 vcc_lo, exec_lo, s18
	s_cbranch_vccnz .LBB182_2308
; %bb.2307:
	global_load_b32 v11, v[4:5], off
.LBB182_2308:
	s_mov_b32 s18, 0
.LBB182_2309:
	s_delay_alu instid0(SALU_CYCLE_1)
	s_and_not1_b32 vcc_lo, exec_lo, s18
	s_cbranch_vccnz .LBB182_2320
; %bb.2310:
	s_cmp_lt_i32 s9, 6
	s_cbranch_scc1 .LBB182_2313
; %bb.2311:
	s_cmp_gt_i32 s9, 6
	s_cbranch_scc0 .LBB182_2314
; %bb.2312:
	global_load_b64 v[12:13], v[4:5], off
	s_mov_b32 s18, 0
	s_wait_loadcnt 0x0
	v_and_or_b32 v1, 0x1ff, v13, v12
	v_lshrrev_b32_e32 v3, 8, v13
	v_bfe_u32 v11, v13, 20, 11
	s_delay_alu instid0(VALU_DEP_3) | instskip(NEXT) | instid1(VALU_DEP_2)
	v_cmp_ne_u32_e32 vcc_lo, 0, v1
	v_sub_nc_u32_e32 v12, 0x3f1, v11
	v_add_nc_u32_e32 v11, 0xfffffc10, v11
	v_cndmask_b32_e64 v1, 0, 1, vcc_lo
	s_delay_alu instid0(VALU_DEP_1) | instskip(NEXT) | instid1(VALU_DEP_4)
	v_and_or_b32 v1, 0xffe, v3, v1
	v_med3_i32 v3, v12, 0, 13
	s_delay_alu instid0(VALU_DEP_2) | instskip(NEXT) | instid1(VALU_DEP_1)
	v_or_b32_e32 v12, 0x1000, v1
	v_lshrrev_b32_e32 v14, v3, v12
	s_delay_alu instid0(VALU_DEP_1) | instskip(NEXT) | instid1(VALU_DEP_1)
	v_lshlrev_b32_e32 v3, v3, v14
	v_cmp_ne_u32_e32 vcc_lo, v3, v12
	v_lshl_or_b32 v12, v11, 12, v1
	v_cndmask_b32_e64 v3, 0, 1, vcc_lo
	v_cmp_gt_i32_e32 vcc_lo, 1, v11
	s_delay_alu instid0(VALU_DEP_2) | instskip(NEXT) | instid1(VALU_DEP_1)
	v_or_b32_e32 v3, v14, v3
	v_cndmask_b32_e32 v3, v12, v3, vcc_lo
	s_delay_alu instid0(VALU_DEP_1) | instskip(NEXT) | instid1(VALU_DEP_1)
	v_dual_lshrrev_b32 v3, 2, v3 :: v_dual_bitop2_b32 v12, 7, v3 bitop3:0x40
	v_cmp_lt_i32_e32 vcc_lo, 5, v12
	v_cndmask_b32_e64 v14, 0, 1, vcc_lo
	v_cmp_eq_u32_e32 vcc_lo, 3, v12
	v_cndmask_b32_e64 v12, 0, 1, vcc_lo
	v_cmp_ne_u32_e32 vcc_lo, 0, v1
	s_delay_alu instid0(VALU_DEP_2) | instskip(NEXT) | instid1(VALU_DEP_1)
	v_or_b32_e32 v12, v12, v14
	v_dual_mov_b32 v14, 0x7e00 :: v_dual_add_nc_u32 v3, v3, v12
	s_delay_alu instid0(VALU_DEP_1) | instskip(SKIP_1) | instid1(VALU_DEP_3)
	v_cndmask_b32_e32 v1, 0x7c00, v14, vcc_lo
	v_cmp_gt_i32_e32 vcc_lo, 31, v11
	v_cndmask_b32_e32 v3, 0x7c00, v3, vcc_lo
	v_cmp_eq_u32_e32 vcc_lo, 0x40f, v11
	s_delay_alu instid0(VALU_DEP_2) | instskip(SKIP_1) | instid1(VALU_DEP_1)
	v_cndmask_b32_e32 v1, v3, v1, vcc_lo
	v_lshrrev_b32_e32 v3, 16, v13
	v_and_or_b32 v11, 0x8000, v3, v1
	s_branch .LBB182_2315
.LBB182_2313:
	s_mov_b32 s18, -1
                                        ; implicit-def: $vgpr11
	s_branch .LBB182_2318
.LBB182_2314:
	s_mov_b32 s18, -1
                                        ; implicit-def: $vgpr11
.LBB182_2315:
	s_delay_alu instid0(SALU_CYCLE_1)
	s_and_not1_b32 vcc_lo, exec_lo, s18
	s_cbranch_vccnz .LBB182_2317
; %bb.2316:
	global_load_b32 v1, v[4:5], off
	s_wait_loadcnt 0x0
	v_cvt_f16_f32_e32 v11, v1
.LBB182_2317:
	s_mov_b32 s18, 0
.LBB182_2318:
	s_delay_alu instid0(SALU_CYCLE_1)
	s_and_not1_b32 vcc_lo, exec_lo, s18
	s_cbranch_vccnz .LBB182_2320
; %bb.2319:
	s_wait_loadcnt 0x0
	global_load_u16 v11, v[4:5], off
.LBB182_2320:
	s_mov_b32 s18, 0
.LBB182_2321:
	s_delay_alu instid0(SALU_CYCLE_1)
	s_and_not1_b32 vcc_lo, exec_lo, s18
	s_cbranch_vccnz .LBB182_2341
; %bb.2322:
	s_cmp_lt_i32 s9, 2
	s_cbranch_scc1 .LBB182_2326
; %bb.2323:
	s_cmp_lt_i32 s9, 3
	s_cbranch_scc1 .LBB182_2327
; %bb.2324:
	s_cmp_gt_i32 s9, 3
	s_cbranch_scc0 .LBB182_2328
; %bb.2325:
	global_load_b64 v[12:13], v[4:5], off
	s_mov_b32 s18, 0
	s_wait_loadcnt 0x0
	v_xor_b32_e32 v1, v12, v13
	v_cls_i32_e32 v3, v13
	s_delay_alu instid0(VALU_DEP_2) | instskip(NEXT) | instid1(VALU_DEP_1)
	v_ashrrev_i32_e32 v1, 31, v1
	v_add_nc_u32_e32 v1, 32, v1
	s_delay_alu instid0(VALU_DEP_1) | instskip(NEXT) | instid1(VALU_DEP_1)
	v_add_min_u32_e64 v1, v3, -1, v1
	v_lshlrev_b64_e32 v[12:13], v1, v[12:13]
	v_sub_nc_u32_e32 v1, 32, v1
	s_delay_alu instid0(VALU_DEP_2) | instskip(NEXT) | instid1(VALU_DEP_1)
	v_min_u32_e32 v3, 1, v12
	v_or_b32_e32 v3, v13, v3
	s_delay_alu instid0(VALU_DEP_1) | instskip(NEXT) | instid1(VALU_DEP_1)
	v_cvt_f32_i32_e32 v3, v3
	v_ldexp_f32 v1, v3, v1
	s_delay_alu instid0(VALU_DEP_1)
	v_cvt_f16_f32_e32 v11, v1
	s_branch .LBB182_2329
.LBB182_2326:
	s_mov_b32 s18, -1
                                        ; implicit-def: $vgpr11
	s_branch .LBB182_2335
.LBB182_2327:
	s_mov_b32 s18, -1
                                        ; implicit-def: $vgpr11
	s_branch .LBB182_2332
.LBB182_2328:
	s_mov_b32 s18, -1
                                        ; implicit-def: $vgpr11
.LBB182_2329:
	s_delay_alu instid0(SALU_CYCLE_1)
	s_and_not1_b32 vcc_lo, exec_lo, s18
	s_cbranch_vccnz .LBB182_2331
; %bb.2330:
	global_load_b32 v1, v[4:5], off
	s_wait_loadcnt 0x0
	v_cvt_f32_i32_e32 v1, v1
	s_delay_alu instid0(VALU_DEP_1)
	v_cvt_f16_f32_e32 v11, v1
.LBB182_2331:
	s_mov_b32 s18, 0
.LBB182_2332:
	s_delay_alu instid0(SALU_CYCLE_1)
	s_and_not1_b32 vcc_lo, exec_lo, s18
	s_cbranch_vccnz .LBB182_2334
; %bb.2333:
	global_load_u16 v1, v[4:5], off
	s_wait_loadcnt 0x0
	v_cvt_f16_i16_e32 v11, v1
.LBB182_2334:
	s_mov_b32 s18, 0
.LBB182_2335:
	s_delay_alu instid0(SALU_CYCLE_1)
	s_and_not1_b32 vcc_lo, exec_lo, s18
	s_cbranch_vccnz .LBB182_2341
; %bb.2336:
	s_cmp_gt_i32 s9, 0
	s_mov_b32 s9, 0
	s_cbranch_scc0 .LBB182_2338
; %bb.2337:
	global_load_i8 v1, v[4:5], off
	s_wait_loadcnt 0x0
	v_cvt_f16_i16_e32 v11, v1
	s_branch .LBB182_2339
.LBB182_2338:
	s_mov_b32 s9, -1
                                        ; implicit-def: $vgpr11
.LBB182_2339:
	s_delay_alu instid0(SALU_CYCLE_1)
	s_and_not1_b32 vcc_lo, exec_lo, s9
	s_cbranch_vccnz .LBB182_2341
; %bb.2340:
	global_load_u8 v1, v[4:5], off
	s_wait_loadcnt 0x0
	v_cvt_f16_u16_e32 v11, v1
.LBB182_2341:
	s_mov_b32 s20, -1
.LBB182_2342:
	s_delay_alu instid0(SALU_CYCLE_1)
	s_and_not1_b32 vcc_lo, exec_lo, s20
	s_cbranch_vccnz .LBB182_3190
; %bb.2343:
	v_add_nc_u32_e32 v2, s8, v2
	s_cmp_lt_i32 s0, 11
	s_delay_alu instid0(VALU_DEP_1) | instskip(SKIP_1) | instid1(VALU_DEP_1)
	v_ashrrev_i32_e32 v3, 31, v2
	s_wait_xcnt 0x0
	v_add_nc_u64_e32 v[4:5], s[6:7], v[2:3]
	s_cbranch_scc1 .LBB182_2350
; %bb.2344:
	s_cmp_gt_i32 s0, 25
	s_mov_b32 s18, 0
	s_cbranch_scc0 .LBB182_2351
; %bb.2345:
	s_cmp_gt_i32 s0, 28
	s_cbranch_scc0 .LBB182_2352
; %bb.2346:
	s_cmp_gt_i32 s0, 43
	;; [unrolled: 3-line block ×3, first 2 shown]
	s_cbranch_scc0 .LBB182_2355
; %bb.2348:
	s_cmp_eq_u32 s0, 46
	s_mov_b32 s20, 0
	s_cbranch_scc0 .LBB182_2356
; %bb.2349:
	global_load_b32 v1, v[4:5], off
	s_mov_b32 s9, 0
	s_mov_b32 s19, -1
	s_wait_loadcnt 0x0
	v_lshlrev_b32_e32 v1, 16, v1
	s_delay_alu instid0(VALU_DEP_1)
	v_cvt_f16_f32_e32 v12, v1
	s_branch .LBB182_2358
.LBB182_2350:
	s_mov_b32 s9, -1
	s_mov_b32 s19, 0
                                        ; implicit-def: $vgpr12
	s_branch .LBB182_2424
.LBB182_2351:
	s_mov_b32 s20, -1
	s_mov_b32 s19, 0
	s_mov_b32 s9, 0
                                        ; implicit-def: $vgpr12
	s_branch .LBB182_2387
.LBB182_2352:
	s_mov_b32 s20, -1
	s_mov_b32 s19, 0
	s_mov_b32 s9, 0
                                        ; implicit-def: $vgpr12
	s_branch .LBB182_2368
.LBB182_2353:
	s_mov_b32 s20, -1
	s_mov_b32 s19, 0
	s_mov_b32 s9, 0
                                        ; implicit-def: $vgpr12
	s_branch .LBB182_2363
.LBB182_2354:
	s_or_b32 s14, s14, exec_lo
	s_trap 2
	s_cbranch_execz .LBB182_2291
	s_branch .LBB182_2292
.LBB182_2355:
	s_mov_b32 s20, -1
	s_mov_b32 s19, 0
	s_mov_b32 s9, 0
	s_branch .LBB182_2357
.LBB182_2356:
	s_mov_b32 s9, -1
	s_mov_b32 s19, 0
.LBB182_2357:
                                        ; implicit-def: $vgpr12
.LBB182_2358:
	s_and_b32 vcc_lo, exec_lo, s20
	s_cbranch_vccz .LBB182_2362
; %bb.2359:
	s_cmp_eq_u32 s0, 44
	s_cbranch_scc0 .LBB182_2361
; %bb.2360:
	global_load_u8 v1, v[4:5], off
	s_mov_b32 s9, 0
	s_mov_b32 s19, -1
	s_wait_loadcnt 0x0
	v_lshlrev_b32_e32 v3, 23, v1
	v_cmp_ne_u32_e32 vcc_lo, 0xff, v1
	s_delay_alu instid0(VALU_DEP_2) | instskip(NEXT) | instid1(VALU_DEP_1)
	v_cvt_f16_f32_e32 v3, v3
	v_cndmask_b32_e32 v3, 0x7e00, v3, vcc_lo
	v_cmp_ne_u32_e32 vcc_lo, 0, v1
	s_delay_alu instid0(VALU_DEP_2)
	v_cndmask_b32_e32 v12, 0, v3, vcc_lo
	s_branch .LBB182_2362
.LBB182_2361:
	s_mov_b32 s9, -1
                                        ; implicit-def: $vgpr12
.LBB182_2362:
	s_mov_b32 s20, 0
.LBB182_2363:
	s_delay_alu instid0(SALU_CYCLE_1)
	s_and_b32 vcc_lo, exec_lo, s20
	s_cbranch_vccz .LBB182_2367
; %bb.2364:
	s_cmp_eq_u32 s0, 29
	s_cbranch_scc0 .LBB182_2366
; %bb.2365:
	global_load_b64 v[12:13], v[4:5], off
	s_mov_b32 s9, 0
	s_mov_b32 s19, -1
	s_mov_b32 s20, 0
	s_wait_loadcnt 0x0
	v_clz_i32_u32_e32 v1, v13
	s_delay_alu instid0(VALU_DEP_1) | instskip(NEXT) | instid1(VALU_DEP_1)
	v_min_u32_e32 v1, 32, v1
	v_lshlrev_b64_e32 v[12:13], v1, v[12:13]
	v_sub_nc_u32_e32 v1, 32, v1
	s_delay_alu instid0(VALU_DEP_2) | instskip(NEXT) | instid1(VALU_DEP_1)
	v_min_u32_e32 v3, 1, v12
	v_or_b32_e32 v3, v13, v3
	s_delay_alu instid0(VALU_DEP_1) | instskip(NEXT) | instid1(VALU_DEP_1)
	v_cvt_f32_u32_e32 v3, v3
	v_ldexp_f32 v1, v3, v1
	s_delay_alu instid0(VALU_DEP_1)
	v_cvt_f16_f32_e32 v12, v1
	s_branch .LBB182_2368
.LBB182_2366:
	s_mov_b32 s9, -1
                                        ; implicit-def: $vgpr12
.LBB182_2367:
	s_mov_b32 s20, 0
.LBB182_2368:
	s_delay_alu instid0(SALU_CYCLE_1)
	s_and_b32 vcc_lo, exec_lo, s20
	s_cbranch_vccz .LBB182_2386
; %bb.2369:
	s_cmp_lt_i32 s0, 27
	s_cbranch_scc1 .LBB182_2372
; %bb.2370:
	s_cmp_gt_i32 s0, 27
	s_cbranch_scc0 .LBB182_2373
; %bb.2371:
	global_load_b32 v1, v[4:5], off
	s_mov_b32 s19, 0
	s_wait_loadcnt 0x0
	v_cvt_f32_u32_e32 v1, v1
	s_delay_alu instid0(VALU_DEP_1)
	v_cvt_f16_f32_e32 v12, v1
	s_branch .LBB182_2374
.LBB182_2372:
	s_mov_b32 s19, -1
                                        ; implicit-def: $vgpr12
	s_branch .LBB182_2377
.LBB182_2373:
	s_mov_b32 s19, -1
                                        ; implicit-def: $vgpr12
.LBB182_2374:
	s_delay_alu instid0(SALU_CYCLE_1)
	s_and_not1_b32 vcc_lo, exec_lo, s19
	s_cbranch_vccnz .LBB182_2376
; %bb.2375:
	global_load_u16 v1, v[4:5], off
	s_wait_loadcnt 0x0
	v_cvt_f16_u16_e32 v12, v1
.LBB182_2376:
	s_mov_b32 s19, 0
.LBB182_2377:
	s_delay_alu instid0(SALU_CYCLE_1)
	s_and_not1_b32 vcc_lo, exec_lo, s19
	s_cbranch_vccnz .LBB182_2385
; %bb.2378:
	global_load_u8 v1, v[4:5], off
	s_mov_b32 s19, 0
	s_mov_b32 s20, exec_lo
	s_wait_loadcnt 0x0
	v_cmpx_lt_i16_e32 0x7f, v1
	s_xor_b32 s20, exec_lo, s20
	s_cbranch_execz .LBB182_2399
; %bb.2379:
	s_mov_b32 s19, -1
	s_mov_b32 s21, exec_lo
	v_cmpx_eq_u16_e32 0x80, v1
; %bb.2380:
	s_xor_b32 s19, exec_lo, -1
; %bb.2381:
	s_or_b32 exec_lo, exec_lo, s21
	s_delay_alu instid0(SALU_CYCLE_1)
	s_and_b32 s19, s19, exec_lo
	s_or_saveexec_b32 s20, s20
	v_mov_b32_e32 v12, 0x7e00
	s_xor_b32 exec_lo, exec_lo, s20
	s_cbranch_execnz .LBB182_2400
.LBB182_2382:
	s_or_b32 exec_lo, exec_lo, s20
	s_and_saveexec_b32 s20, s19
	s_cbranch_execz .LBB182_2384
.LBB182_2383:
	v_and_b32_e32 v3, 0xffff, v1
	s_delay_alu instid0(VALU_DEP_1) | instskip(SKIP_1) | instid1(VALU_DEP_2)
	v_and_b32_e32 v12, 7, v3
	v_bfe_u32 v15, v3, 3, 4
	v_clz_i32_u32_e32 v13, v12
	s_delay_alu instid0(VALU_DEP_2) | instskip(NEXT) | instid1(VALU_DEP_2)
	v_cmp_eq_u32_e32 vcc_lo, 0, v15
	v_min_u32_e32 v13, 32, v13
	s_delay_alu instid0(VALU_DEP_1) | instskip(NEXT) | instid1(VALU_DEP_1)
	v_subrev_nc_u32_e32 v14, 28, v13
	v_dual_lshlrev_b32 v3, v14, v3 :: v_dual_sub_nc_u32 v13, 29, v13
	s_delay_alu instid0(VALU_DEP_1) | instskip(NEXT) | instid1(VALU_DEP_1)
	v_dual_lshlrev_b32 v1, 24, v1 :: v_dual_bitop2_b32 v3, 7, v3 bitop3:0x40
	v_dual_cndmask_b32 v3, v12, v3, vcc_lo :: v_dual_cndmask_b32 v13, v15, v13, vcc_lo
	s_delay_alu instid0(VALU_DEP_2) | instskip(NEXT) | instid1(VALU_DEP_2)
	v_and_b32_e32 v1, 0x80000000, v1
	v_lshlrev_b32_e32 v3, 20, v3
	s_delay_alu instid0(VALU_DEP_3) | instskip(NEXT) | instid1(VALU_DEP_1)
	v_lshl_add_u32 v12, v13, 23, 0x3b800000
	v_or3_b32 v1, v1, v12, v3
	s_delay_alu instid0(VALU_DEP_1)
	v_cvt_f16_f32_e32 v12, v1
.LBB182_2384:
	s_or_b32 exec_lo, exec_lo, s20
.LBB182_2385:
	s_mov_b32 s19, -1
.LBB182_2386:
	s_mov_b32 s20, 0
.LBB182_2387:
	s_delay_alu instid0(SALU_CYCLE_1)
	s_and_b32 vcc_lo, exec_lo, s20
	s_cbranch_vccz .LBB182_2420
; %bb.2388:
	s_cmp_gt_i32 s0, 22
	s_cbranch_scc0 .LBB182_2398
; %bb.2389:
	s_cmp_lt_i32 s0, 24
	s_cbranch_scc1 .LBB182_2401
; %bb.2390:
	s_cmp_gt_i32 s0, 24
	s_cbranch_scc0 .LBB182_2402
; %bb.2391:
	global_load_u8 v1, v[4:5], off
	s_mov_b32 s19, exec_lo
	s_wait_loadcnt 0x0
	v_cmpx_lt_i16_e32 0x7f, v1
	s_xor_b32 s19, exec_lo, s19
	s_cbranch_execz .LBB182_2414
; %bb.2392:
	s_mov_b32 s18, -1
	s_mov_b32 s20, exec_lo
	v_cmpx_eq_u16_e32 0x80, v1
; %bb.2393:
	s_xor_b32 s18, exec_lo, -1
; %bb.2394:
	s_or_b32 exec_lo, exec_lo, s20
	s_delay_alu instid0(SALU_CYCLE_1)
	s_and_b32 s18, s18, exec_lo
	s_or_saveexec_b32 s19, s19
	v_mov_b32_e32 v12, 0x7e00
	s_xor_b32 exec_lo, exec_lo, s19
	s_cbranch_execnz .LBB182_2415
.LBB182_2395:
	s_or_b32 exec_lo, exec_lo, s19
	s_and_saveexec_b32 s19, s18
	s_cbranch_execz .LBB182_2397
.LBB182_2396:
	v_and_b32_e32 v3, 0xffff, v1
	s_delay_alu instid0(VALU_DEP_1) | instskip(SKIP_1) | instid1(VALU_DEP_2)
	v_and_b32_e32 v12, 3, v3
	v_bfe_u32 v15, v3, 2, 5
	v_clz_i32_u32_e32 v13, v12
	s_delay_alu instid0(VALU_DEP_2) | instskip(NEXT) | instid1(VALU_DEP_2)
	v_cmp_eq_u32_e32 vcc_lo, 0, v15
	v_min_u32_e32 v13, 32, v13
	s_delay_alu instid0(VALU_DEP_1) | instskip(NEXT) | instid1(VALU_DEP_1)
	v_subrev_nc_u32_e32 v14, 29, v13
	v_dual_lshlrev_b32 v3, v14, v3 :: v_dual_sub_nc_u32 v13, 30, v13
	s_delay_alu instid0(VALU_DEP_1) | instskip(NEXT) | instid1(VALU_DEP_1)
	v_dual_lshlrev_b32 v1, 24, v1 :: v_dual_bitop2_b32 v3, 3, v3 bitop3:0x40
	v_dual_cndmask_b32 v3, v12, v3, vcc_lo :: v_dual_cndmask_b32 v13, v15, v13, vcc_lo
	s_delay_alu instid0(VALU_DEP_2) | instskip(NEXT) | instid1(VALU_DEP_2)
	v_and_b32_e32 v1, 0x80000000, v1
	v_lshlrev_b32_e32 v3, 21, v3
	s_delay_alu instid0(VALU_DEP_3) | instskip(NEXT) | instid1(VALU_DEP_1)
	v_lshl_add_u32 v12, v13, 23, 0x37800000
	v_or3_b32 v1, v1, v12, v3
	s_delay_alu instid0(VALU_DEP_1)
	v_cvt_f16_f32_e32 v12, v1
.LBB182_2397:
	s_or_b32 exec_lo, exec_lo, s19
	s_mov_b32 s18, 0
	s_branch .LBB182_2403
.LBB182_2398:
	s_mov_b32 s18, -1
                                        ; implicit-def: $vgpr12
	s_branch .LBB182_2409
.LBB182_2399:
	s_or_saveexec_b32 s20, s20
	v_mov_b32_e32 v12, 0x7e00
	s_xor_b32 exec_lo, exec_lo, s20
	s_cbranch_execz .LBB182_2382
.LBB182_2400:
	v_cmp_ne_u16_e32 vcc_lo, 0, v1
	v_mov_b32_e32 v12, v1
	s_and_not1_b32 s19, s19, exec_lo
	s_and_b32 s21, vcc_lo, exec_lo
	s_delay_alu instid0(SALU_CYCLE_1)
	s_or_b32 s19, s19, s21
	s_or_b32 exec_lo, exec_lo, s20
	s_and_saveexec_b32 s20, s19
	s_cbranch_execnz .LBB182_2383
	s_branch .LBB182_2384
.LBB182_2401:
	s_mov_b32 s18, -1
                                        ; implicit-def: $vgpr12
	s_branch .LBB182_2406
.LBB182_2402:
	s_mov_b32 s18, -1
                                        ; implicit-def: $vgpr12
.LBB182_2403:
	s_delay_alu instid0(SALU_CYCLE_1)
	s_and_b32 vcc_lo, exec_lo, s18
	s_cbranch_vccz .LBB182_2405
; %bb.2404:
	global_load_u8 v1, v[4:5], off
	s_wait_loadcnt 0x0
	v_lshlrev_b32_e32 v1, 24, v1
	s_delay_alu instid0(VALU_DEP_1) | instskip(NEXT) | instid1(VALU_DEP_1)
	v_and_b32_e32 v3, 0x7f000000, v1
	v_clz_i32_u32_e32 v12, v3
	v_cmp_ne_u32_e32 vcc_lo, 0, v3
	v_add_nc_u32_e32 v14, 0x1000000, v3
	s_delay_alu instid0(VALU_DEP_3) | instskip(NEXT) | instid1(VALU_DEP_1)
	v_min_u32_e32 v12, 32, v12
	v_sub_nc_u32_e64 v12, v12, 4 clamp
	s_delay_alu instid0(VALU_DEP_1) | instskip(NEXT) | instid1(VALU_DEP_1)
	v_dual_lshlrev_b32 v13, v12, v3 :: v_dual_lshlrev_b32 v12, 23, v12
	v_lshrrev_b32_e32 v13, 4, v13
	s_delay_alu instid0(VALU_DEP_1) | instskip(NEXT) | instid1(VALU_DEP_1)
	v_dual_sub_nc_u32 v12, v13, v12 :: v_dual_ashrrev_i32 v13, 8, v14
	v_add_nc_u32_e32 v12, 0x3c000000, v12
	s_delay_alu instid0(VALU_DEP_1) | instskip(NEXT) | instid1(VALU_DEP_1)
	v_and_or_b32 v12, 0x7f800000, v13, v12
	v_cndmask_b32_e32 v3, 0, v12, vcc_lo
	s_delay_alu instid0(VALU_DEP_1) | instskip(NEXT) | instid1(VALU_DEP_1)
	v_and_or_b32 v1, 0x80000000, v1, v3
	v_cvt_f16_f32_e32 v12, v1
.LBB182_2405:
	s_mov_b32 s18, 0
.LBB182_2406:
	s_delay_alu instid0(SALU_CYCLE_1)
	s_and_not1_b32 vcc_lo, exec_lo, s18
	s_cbranch_vccnz .LBB182_2408
; %bb.2407:
	global_load_u8 v1, v[4:5], off
	s_wait_loadcnt 0x0
	v_lshlrev_b32_e32 v3, 25, v1
	v_lshlrev_b16 v1, 8, v1
	s_delay_alu instid0(VALU_DEP_1) | instskip(NEXT) | instid1(VALU_DEP_3)
	v_and_or_b32 v13, 0x7f00, v1, 0.5
	v_lshrrev_b32_e32 v12, 4, v3
	v_bfe_i32 v1, v1, 0, 16
	s_delay_alu instid0(VALU_DEP_3) | instskip(NEXT) | instid1(VALU_DEP_3)
	v_add_f32_e32 v13, -0.5, v13
	v_or_b32_e32 v12, 0x70000000, v12
	s_delay_alu instid0(VALU_DEP_1) | instskip(SKIP_1) | instid1(VALU_DEP_2)
	v_mul_f32_e32 v12, 0x7800000, v12
	v_cmp_gt_u32_e32 vcc_lo, 0x8000000, v3
	v_cndmask_b32_e32 v3, v12, v13, vcc_lo
	s_delay_alu instid0(VALU_DEP_1) | instskip(NEXT) | instid1(VALU_DEP_1)
	v_and_or_b32 v1, 0x80000000, v1, v3
	v_cvt_f16_f32_e32 v12, v1
.LBB182_2408:
	s_mov_b32 s18, 0
	s_mov_b32 s19, -1
.LBB182_2409:
	s_and_not1_b32 vcc_lo, exec_lo, s18
	s_mov_b32 s18, 0
	s_cbranch_vccnz .LBB182_2420
; %bb.2410:
	s_cmp_gt_i32 s0, 14
	s_cbranch_scc0 .LBB182_2413
; %bb.2411:
	s_cmp_eq_u32 s0, 15
	s_cbranch_scc0 .LBB182_2416
; %bb.2412:
	global_load_u16 v1, v[4:5], off
	s_mov_b32 s9, 0
	s_mov_b32 s19, -1
	s_wait_loadcnt 0x0
	v_lshlrev_b32_e32 v1, 16, v1
	s_delay_alu instid0(VALU_DEP_1)
	v_cvt_f16_f32_e32 v12, v1
	s_branch .LBB182_2418
.LBB182_2413:
	s_mov_b32 s18, -1
	s_branch .LBB182_2417
.LBB182_2414:
	s_or_saveexec_b32 s19, s19
	v_mov_b32_e32 v12, 0x7e00
	s_xor_b32 exec_lo, exec_lo, s19
	s_cbranch_execz .LBB182_2395
.LBB182_2415:
	v_cmp_ne_u16_e32 vcc_lo, 0, v1
	v_mov_b32_e32 v12, v1
	s_and_not1_b32 s18, s18, exec_lo
	s_and_b32 s20, vcc_lo, exec_lo
	s_delay_alu instid0(SALU_CYCLE_1)
	s_or_b32 s18, s18, s20
	s_or_b32 exec_lo, exec_lo, s19
	s_and_saveexec_b32 s19, s18
	s_cbranch_execnz .LBB182_2396
	s_branch .LBB182_2397
.LBB182_2416:
	s_mov_b32 s9, -1
.LBB182_2417:
                                        ; implicit-def: $vgpr12
.LBB182_2418:
	s_and_b32 vcc_lo, exec_lo, s18
	s_mov_b32 s18, 0
	s_cbranch_vccz .LBB182_2420
; %bb.2419:
	s_cmp_lg_u32 s0, 11
	s_mov_b32 s18, -1
	s_cselect_b32 s9, -1, 0
.LBB182_2420:
	s_delay_alu instid0(SALU_CYCLE_1)
	s_and_b32 vcc_lo, exec_lo, s9
	s_cbranch_vccnz .LBB182_2504
; %bb.2421:
	s_and_not1_b32 vcc_lo, exec_lo, s18
	s_cbranch_vccnz .LBB182_2423
.LBB182_2422:
	global_load_u8 v1, v[4:5], off
	s_mov_b32 s19, -1
	s_wait_loadcnt 0x0
	v_cmp_ne_u16_e32 vcc_lo, 0, v1
	v_cndmask_b32_e64 v12, 0, 0x3c00, vcc_lo
.LBB182_2423:
	s_mov_b32 s9, 0
.LBB182_2424:
	s_delay_alu instid0(SALU_CYCLE_1)
	s_and_b32 vcc_lo, exec_lo, s9
	s_cbranch_vccz .LBB182_2473
; %bb.2425:
	s_cmp_lt_i32 s0, 5
	s_cbranch_scc1 .LBB182_2430
; %bb.2426:
	s_cmp_lt_i32 s0, 8
	s_cbranch_scc1 .LBB182_2431
	;; [unrolled: 3-line block ×3, first 2 shown]
; %bb.2428:
	s_cmp_gt_i32 s0, 9
	s_cbranch_scc0 .LBB182_2433
; %bb.2429:
	global_load_b64 v[12:13], v[4:5], off
	s_mov_b32 s9, 0
	s_wait_loadcnt 0x0
	v_and_or_b32 v1, 0x1ff, v13, v12
	v_lshrrev_b32_e32 v3, 8, v13
	v_bfe_u32 v12, v13, 20, 11
	s_delay_alu instid0(VALU_DEP_3) | instskip(NEXT) | instid1(VALU_DEP_2)
	v_cmp_ne_u32_e32 vcc_lo, 0, v1
	v_sub_nc_u32_e32 v14, 0x3f1, v12
	v_add_nc_u32_e32 v12, 0xfffffc10, v12
	v_cndmask_b32_e64 v1, 0, 1, vcc_lo
	s_delay_alu instid0(VALU_DEP_1) | instskip(NEXT) | instid1(VALU_DEP_4)
	v_and_or_b32 v1, 0xffe, v3, v1
	v_med3_i32 v3, v14, 0, 13
	s_delay_alu instid0(VALU_DEP_2) | instskip(NEXT) | instid1(VALU_DEP_1)
	v_or_b32_e32 v14, 0x1000, v1
	v_lshrrev_b32_e32 v15, v3, v14
	s_delay_alu instid0(VALU_DEP_1) | instskip(NEXT) | instid1(VALU_DEP_1)
	v_lshlrev_b32_e32 v3, v3, v15
	v_cmp_ne_u32_e32 vcc_lo, v3, v14
	v_lshl_or_b32 v14, v12, 12, v1
	v_cndmask_b32_e64 v3, 0, 1, vcc_lo
	v_cmp_gt_i32_e32 vcc_lo, 1, v12
	s_delay_alu instid0(VALU_DEP_2) | instskip(NEXT) | instid1(VALU_DEP_1)
	v_or_b32_e32 v3, v15, v3
	v_cndmask_b32_e32 v3, v14, v3, vcc_lo
	s_delay_alu instid0(VALU_DEP_1) | instskip(NEXT) | instid1(VALU_DEP_1)
	v_dual_lshrrev_b32 v3, 2, v3 :: v_dual_bitop2_b32 v14, 7, v3 bitop3:0x40
	v_cmp_lt_i32_e32 vcc_lo, 5, v14
	v_cndmask_b32_e64 v15, 0, 1, vcc_lo
	v_cmp_eq_u32_e32 vcc_lo, 3, v14
	v_cndmask_b32_e64 v14, 0, 1, vcc_lo
	v_cmp_ne_u32_e32 vcc_lo, 0, v1
	s_delay_alu instid0(VALU_DEP_2) | instskip(SKIP_1) | instid1(VALU_DEP_2)
	v_or_b32_e32 v14, v14, v15
	v_mov_b32_e32 v15, 0x7e00
	v_add_nc_u32_e32 v3, v3, v14
	s_delay_alu instid0(VALU_DEP_2) | instskip(SKIP_1) | instid1(VALU_DEP_3)
	v_cndmask_b32_e32 v1, 0x7c00, v15, vcc_lo
	v_cmp_gt_i32_e32 vcc_lo, 31, v12
	v_cndmask_b32_e32 v3, 0x7c00, v3, vcc_lo
	v_cmp_eq_u32_e32 vcc_lo, 0x40f, v12
	s_delay_alu instid0(VALU_DEP_2) | instskip(SKIP_1) | instid1(VALU_DEP_1)
	v_cndmask_b32_e32 v1, v3, v1, vcc_lo
	v_lshrrev_b32_e32 v3, 16, v13
	v_and_or_b32 v12, 0x8000, v3, v1
	s_branch .LBB182_2434
.LBB182_2430:
	s_mov_b32 s9, -1
                                        ; implicit-def: $vgpr12
	s_branch .LBB182_2452
.LBB182_2431:
	s_mov_b32 s9, -1
                                        ; implicit-def: $vgpr12
	s_branch .LBB182_2440
.LBB182_2432:
	s_mov_b32 s9, -1
                                        ; implicit-def: $vgpr12
	s_branch .LBB182_2437
.LBB182_2433:
	s_mov_b32 s9, -1
                                        ; implicit-def: $vgpr12
.LBB182_2434:
	s_delay_alu instid0(SALU_CYCLE_1)
	s_and_not1_b32 vcc_lo, exec_lo, s9
	s_cbranch_vccnz .LBB182_2436
; %bb.2435:
	global_load_b32 v1, v[4:5], off
	s_wait_loadcnt 0x0
	v_cvt_f16_f32_e32 v12, v1
.LBB182_2436:
	s_mov_b32 s9, 0
.LBB182_2437:
	s_delay_alu instid0(SALU_CYCLE_1)
	s_and_not1_b32 vcc_lo, exec_lo, s9
	s_cbranch_vccnz .LBB182_2439
; %bb.2438:
	global_load_b32 v12, v[4:5], off
.LBB182_2439:
	s_mov_b32 s9, 0
.LBB182_2440:
	s_delay_alu instid0(SALU_CYCLE_1)
	s_and_not1_b32 vcc_lo, exec_lo, s9
	s_cbranch_vccnz .LBB182_2451
; %bb.2441:
	s_cmp_lt_i32 s0, 6
	s_cbranch_scc1 .LBB182_2444
; %bb.2442:
	s_cmp_gt_i32 s0, 6
	s_cbranch_scc0 .LBB182_2445
; %bb.2443:
	s_wait_loadcnt 0x0
	global_load_b64 v[12:13], v[4:5], off
	s_mov_b32 s9, 0
	s_wait_loadcnt 0x0
	v_and_or_b32 v1, 0x1ff, v13, v12
	v_lshrrev_b32_e32 v3, 8, v13
	v_bfe_u32 v12, v13, 20, 11
	s_delay_alu instid0(VALU_DEP_3) | instskip(NEXT) | instid1(VALU_DEP_2)
	v_cmp_ne_u32_e32 vcc_lo, 0, v1
	v_sub_nc_u32_e32 v14, 0x3f1, v12
	v_add_nc_u32_e32 v12, 0xfffffc10, v12
	v_cndmask_b32_e64 v1, 0, 1, vcc_lo
	s_delay_alu instid0(VALU_DEP_1) | instskip(NEXT) | instid1(VALU_DEP_4)
	v_and_or_b32 v1, 0xffe, v3, v1
	v_med3_i32 v3, v14, 0, 13
	s_delay_alu instid0(VALU_DEP_2) | instskip(NEXT) | instid1(VALU_DEP_1)
	v_or_b32_e32 v14, 0x1000, v1
	v_lshrrev_b32_e32 v15, v3, v14
	s_delay_alu instid0(VALU_DEP_1) | instskip(NEXT) | instid1(VALU_DEP_1)
	v_lshlrev_b32_e32 v3, v3, v15
	v_cmp_ne_u32_e32 vcc_lo, v3, v14
	v_lshl_or_b32 v14, v12, 12, v1
	v_cndmask_b32_e64 v3, 0, 1, vcc_lo
	v_cmp_gt_i32_e32 vcc_lo, 1, v12
	s_delay_alu instid0(VALU_DEP_2) | instskip(NEXT) | instid1(VALU_DEP_1)
	v_or_b32_e32 v3, v15, v3
	v_cndmask_b32_e32 v3, v14, v3, vcc_lo
	s_delay_alu instid0(VALU_DEP_1) | instskip(NEXT) | instid1(VALU_DEP_1)
	v_dual_lshrrev_b32 v3, 2, v3 :: v_dual_bitop2_b32 v14, 7, v3 bitop3:0x40
	v_cmp_lt_i32_e32 vcc_lo, 5, v14
	v_cndmask_b32_e64 v15, 0, 1, vcc_lo
	v_cmp_eq_u32_e32 vcc_lo, 3, v14
	v_cndmask_b32_e64 v14, 0, 1, vcc_lo
	v_cmp_ne_u32_e32 vcc_lo, 0, v1
	s_delay_alu instid0(VALU_DEP_2) | instskip(SKIP_1) | instid1(VALU_DEP_2)
	v_or_b32_e32 v14, v14, v15
	v_mov_b32_e32 v15, 0x7e00
	v_add_nc_u32_e32 v3, v3, v14
	s_delay_alu instid0(VALU_DEP_2) | instskip(SKIP_1) | instid1(VALU_DEP_3)
	v_cndmask_b32_e32 v1, 0x7c00, v15, vcc_lo
	v_cmp_gt_i32_e32 vcc_lo, 31, v12
	v_cndmask_b32_e32 v3, 0x7c00, v3, vcc_lo
	v_cmp_eq_u32_e32 vcc_lo, 0x40f, v12
	s_delay_alu instid0(VALU_DEP_2) | instskip(SKIP_1) | instid1(VALU_DEP_1)
	v_cndmask_b32_e32 v1, v3, v1, vcc_lo
	v_lshrrev_b32_e32 v3, 16, v13
	v_and_or_b32 v12, 0x8000, v3, v1
	s_branch .LBB182_2446
.LBB182_2444:
	s_mov_b32 s9, -1
                                        ; implicit-def: $vgpr12
	s_branch .LBB182_2449
.LBB182_2445:
	s_mov_b32 s9, -1
                                        ; implicit-def: $vgpr12
.LBB182_2446:
	s_delay_alu instid0(SALU_CYCLE_1)
	s_and_not1_b32 vcc_lo, exec_lo, s9
	s_cbranch_vccnz .LBB182_2448
; %bb.2447:
	global_load_b32 v1, v[4:5], off
	s_wait_loadcnt 0x0
	v_cvt_f16_f32_e32 v12, v1
.LBB182_2448:
	s_mov_b32 s9, 0
.LBB182_2449:
	s_delay_alu instid0(SALU_CYCLE_1)
	s_and_not1_b32 vcc_lo, exec_lo, s9
	s_cbranch_vccnz .LBB182_2451
; %bb.2450:
	s_wait_loadcnt 0x0
	global_load_u16 v12, v[4:5], off
.LBB182_2451:
	s_mov_b32 s9, 0
.LBB182_2452:
	s_delay_alu instid0(SALU_CYCLE_1)
	s_and_not1_b32 vcc_lo, exec_lo, s9
	s_cbranch_vccnz .LBB182_2472
; %bb.2453:
	s_cmp_lt_i32 s0, 2
	s_cbranch_scc1 .LBB182_2457
; %bb.2454:
	s_cmp_lt_i32 s0, 3
	s_cbranch_scc1 .LBB182_2458
; %bb.2455:
	s_cmp_gt_i32 s0, 3
	s_cbranch_scc0 .LBB182_2459
; %bb.2456:
	s_wait_loadcnt 0x0
	global_load_b64 v[12:13], v[4:5], off
	s_mov_b32 s9, 0
	s_wait_loadcnt 0x0
	v_xor_b32_e32 v1, v12, v13
	v_cls_i32_e32 v3, v13
	s_delay_alu instid0(VALU_DEP_2) | instskip(NEXT) | instid1(VALU_DEP_1)
	v_ashrrev_i32_e32 v1, 31, v1
	v_add_nc_u32_e32 v1, 32, v1
	s_delay_alu instid0(VALU_DEP_1) | instskip(NEXT) | instid1(VALU_DEP_1)
	v_add_min_u32_e64 v1, v3, -1, v1
	v_lshlrev_b64_e32 v[12:13], v1, v[12:13]
	v_sub_nc_u32_e32 v1, 32, v1
	s_delay_alu instid0(VALU_DEP_2) | instskip(NEXT) | instid1(VALU_DEP_1)
	v_min_u32_e32 v3, 1, v12
	v_or_b32_e32 v3, v13, v3
	s_delay_alu instid0(VALU_DEP_1) | instskip(NEXT) | instid1(VALU_DEP_1)
	v_cvt_f32_i32_e32 v3, v3
	v_ldexp_f32 v1, v3, v1
	s_delay_alu instid0(VALU_DEP_1)
	v_cvt_f16_f32_e32 v12, v1
	s_branch .LBB182_2460
.LBB182_2457:
	s_mov_b32 s9, -1
                                        ; implicit-def: $vgpr12
	s_branch .LBB182_2466
.LBB182_2458:
	s_mov_b32 s9, -1
                                        ; implicit-def: $vgpr12
	s_branch .LBB182_2463
.LBB182_2459:
	s_mov_b32 s9, -1
                                        ; implicit-def: $vgpr12
.LBB182_2460:
	s_delay_alu instid0(SALU_CYCLE_1)
	s_and_not1_b32 vcc_lo, exec_lo, s9
	s_cbranch_vccnz .LBB182_2462
; %bb.2461:
	global_load_b32 v1, v[4:5], off
	s_wait_loadcnt 0x0
	v_cvt_f32_i32_e32 v1, v1
	s_delay_alu instid0(VALU_DEP_1)
	v_cvt_f16_f32_e32 v12, v1
.LBB182_2462:
	s_mov_b32 s9, 0
.LBB182_2463:
	s_delay_alu instid0(SALU_CYCLE_1)
	s_and_not1_b32 vcc_lo, exec_lo, s9
	s_cbranch_vccnz .LBB182_2465
; %bb.2464:
	global_load_u16 v1, v[4:5], off
	s_wait_loadcnt 0x0
	v_cvt_f16_i16_e32 v12, v1
.LBB182_2465:
	s_mov_b32 s9, 0
.LBB182_2466:
	s_delay_alu instid0(SALU_CYCLE_1)
	s_and_not1_b32 vcc_lo, exec_lo, s9
	s_cbranch_vccnz .LBB182_2472
; %bb.2467:
	s_cmp_gt_i32 s0, 0
	s_mov_b32 s9, 0
	s_cbranch_scc0 .LBB182_2469
; %bb.2468:
	global_load_i8 v1, v[4:5], off
	s_wait_loadcnt 0x0
	v_cvt_f16_i16_e32 v12, v1
	s_branch .LBB182_2470
.LBB182_2469:
	s_mov_b32 s9, -1
                                        ; implicit-def: $vgpr12
.LBB182_2470:
	s_delay_alu instid0(SALU_CYCLE_1)
	s_and_not1_b32 vcc_lo, exec_lo, s9
	s_cbranch_vccnz .LBB182_2472
; %bb.2471:
	global_load_u8 v1, v[4:5], off
	s_wait_loadcnt 0x0
	v_cvt_f16_u16_e32 v12, v1
.LBB182_2472:
	s_mov_b32 s19, -1
.LBB182_2473:
	s_delay_alu instid0(SALU_CYCLE_1)
	s_and_not1_b32 vcc_lo, exec_lo, s19
	s_cbranch_vccnz .LBB182_3190
; %bb.2474:
	s_cmp_lt_i32 s15, 23
	s_cbranch_scc1 .LBB182_2478
; %bb.2475:
	s_and_b32 s19, 0xffff, s15
	s_delay_alu instid0(SALU_CYCLE_1)
	s_cmp_gt_i32 s19, 43
	s_cbranch_scc0 .LBB182_2479
; %bb.2476:
	s_cmp_gt_i32 s19, 45
	s_cbranch_scc0 .LBB182_2480
; %bb.2477:
	s_cmp_lg_u32 s19, 46
	s_mov_b32 s20, 0
	s_mov_b32 s9, -1
	s_cselect_b32 s18, -1, 0
	s_branch .LBB182_2481
.LBB182_2478:
	s_mov_b32 s19, -1
	s_mov_b32 s9, 0
	s_mov_b32 s18, 0
	s_branch .LBB182_2487
.LBB182_2479:
	s_mov_b32 s20, -1
	s_mov_b32 s9, 0
	s_mov_b32 s18, 0
	s_branch .LBB182_2484
.LBB182_2480:
	s_mov_b32 s20, -1
	s_mov_b32 s9, 0
	s_mov_b32 s18, 0
.LBB182_2481:
	s_and_not1_b32 vcc_lo, exec_lo, s20
	s_cbranch_vccnz .LBB182_2483
; %bb.2482:
	s_cmp_eq_u32 s19, 44
	s_cselect_b32 s9, -1, 0
	s_cmp_lg_u32 s19, 44
	s_cselect_b32 s18, -1, 0
.LBB182_2483:
	s_mov_b32 s20, 0
.LBB182_2484:
	s_delay_alu instid0(SALU_CYCLE_1)
	s_and_b32 vcc_lo, exec_lo, s20
	s_cbranch_vccz .LBB182_2486
; %bb.2485:
	s_cmp_lt_i32 s19, 30
	s_cselect_b32 s9, -1, 0
	s_cmp_gt_i32 s19, 29
	s_cselect_b32 s18, -1, 0
.LBB182_2486:
	s_mov_b32 s19, 0
.LBB182_2487:
	s_delay_alu instid0(SALU_CYCLE_1)
	s_and_b32 vcc_lo, exec_lo, s19
	s_cbranch_vccz .LBB182_2492
; %bb.2488:
	s_and_b32 s15, 0xffff, s15
	s_mov_b32 s19, -1
	s_cmp_gt_i32 s15, 14
	s_cbranch_scc0 .LBB182_2490
; %bb.2489:
	s_cmp_eq_u32 s15, 15
	s_mov_b32 s19, 0
	s_cselect_b32 s9, -1, 0
	s_cmp_lg_u32 s15, 15
	s_cselect_b32 s18, -1, 0
.LBB182_2490:
	s_and_not1_b32 vcc_lo, exec_lo, s19
	s_cbranch_vccnz .LBB182_2492
; %bb.2491:
	s_cmp_lt_i32 s15, 12
	s_cselect_b32 s9, -1, 0
	s_cmp_gt_i32 s15, 11
	s_cselect_b32 s18, -1, 0
.LBB182_2492:
	s_delay_alu instid0(SALU_CYCLE_1)
	s_and_b32 vcc_lo, exec_lo, s18
	s_cbranch_vccnz .LBB182_2505
; %bb.2493:
	s_and_not1_b32 vcc_lo, exec_lo, s9
	s_cbranch_vccnz .LBB182_3190
.LBB182_2494:
	v_add_nc_u32_e32 v0, s1, v0
	s_cmp_lt_i32 s13, 11
	s_delay_alu instid0(VALU_DEP_1) | instskip(NEXT) | instid1(VALU_DEP_1)
	v_ashrrev_i32_e32 v1, 31, v0
	v_add_nc_u64_e32 v[0:1], s[4:5], v[0:1]
	s_cbranch_scc1 .LBB182_2501
; %bb.2495:
	s_and_b32 s1, 0xffff, s13
	s_mov_b32 s5, 0
	s_cmp_gt_i32 s1, 25
	s_cbranch_scc0 .LBB182_2502
; %bb.2496:
	s_cmp_gt_i32 s1, 28
	s_cbranch_scc0 .LBB182_2503
; %bb.2497:
	;; [unrolled: 3-line block ×4, first 2 shown]
	s_cmp_eq_u32 s1, 46
	s_mov_b32 s15, 0
	s_cbranch_scc0 .LBB182_2508
; %bb.2500:
	global_load_b32 v3, v[0:1], off
	s_mov_b32 s4, 0
	s_mov_b32 s9, -1
	s_wait_loadcnt 0x0
	v_lshlrev_b32_e32 v3, 16, v3
	s_wait_xcnt 0x1
	s_delay_alu instid0(VALU_DEP_1)
	v_cvt_f16_f32_e32 v4, v3
	s_branch .LBB182_2510
.LBB182_2501:
	s_mov_b32 s1, -1
	s_mov_b32 s9, 0
                                        ; implicit-def: $vgpr4
	s_branch .LBB182_2576
.LBB182_2502:
	s_mov_b32 s15, -1
	s_mov_b32 s9, 0
	s_mov_b32 s4, 0
                                        ; implicit-def: $vgpr4
	s_branch .LBB182_2539
.LBB182_2503:
	s_mov_b32 s15, -1
	s_mov_b32 s9, 0
	s_mov_b32 s4, 0
                                        ; implicit-def: $vgpr4
	s_branch .LBB182_2520
.LBB182_2504:
	s_or_b32 s14, s14, exec_lo
	s_trap 2
	s_cbranch_execz .LBB182_2422
	s_branch .LBB182_2423
.LBB182_2505:
	s_or_b32 s14, s14, exec_lo
	s_trap 2
	s_cbranch_execz .LBB182_2494
	s_branch .LBB182_3190
.LBB182_2506:
	s_mov_b32 s15, -1
	s_mov_b32 s9, 0
	s_mov_b32 s4, 0
                                        ; implicit-def: $vgpr4
	s_branch .LBB182_2515
.LBB182_2507:
	s_mov_b32 s15, -1
	s_mov_b32 s9, 0
	s_mov_b32 s4, 0
	s_branch .LBB182_2509
.LBB182_2508:
	s_mov_b32 s4, -1
	s_mov_b32 s9, 0
.LBB182_2509:
                                        ; implicit-def: $vgpr4
.LBB182_2510:
	s_and_b32 vcc_lo, exec_lo, s15
	s_cbranch_vccz .LBB182_2514
; %bb.2511:
	s_cmp_eq_u32 s1, 44
	s_cbranch_scc0 .LBB182_2513
; %bb.2512:
	global_load_u8 v3, v[0:1], off
	s_mov_b32 s4, 0
	s_mov_b32 s9, -1
	s_wait_loadcnt 0x0
	s_wait_xcnt 0x1
	v_lshlrev_b32_e32 v4, 23, v3
	v_cmp_ne_u32_e32 vcc_lo, 0xff, v3
	s_delay_alu instid0(VALU_DEP_2) | instskip(NEXT) | instid1(VALU_DEP_1)
	v_cvt_f16_f32_e32 v4, v4
	v_cndmask_b32_e32 v4, 0x7e00, v4, vcc_lo
	v_cmp_ne_u32_e32 vcc_lo, 0, v3
	s_delay_alu instid0(VALU_DEP_2)
	v_cndmask_b32_e32 v4, 0, v4, vcc_lo
	s_branch .LBB182_2514
.LBB182_2513:
	s_mov_b32 s4, -1
                                        ; implicit-def: $vgpr4
.LBB182_2514:
	s_mov_b32 s15, 0
.LBB182_2515:
	s_delay_alu instid0(SALU_CYCLE_1)
	s_and_b32 vcc_lo, exec_lo, s15
	s_cbranch_vccz .LBB182_2519
; %bb.2516:
	s_cmp_eq_u32 s1, 29
	s_cbranch_scc0 .LBB182_2518
; %bb.2517:
	global_load_b64 v[4:5], v[0:1], off
	s_mov_b32 s4, 0
	s_mov_b32 s9, -1
	s_mov_b32 s15, 0
	s_wait_loadcnt 0x0
	v_clz_i32_u32_e32 v3, v5
	s_delay_alu instid0(VALU_DEP_1) | instskip(NEXT) | instid1(VALU_DEP_1)
	v_min_u32_e32 v3, 32, v3
	v_lshlrev_b64_e32 v[4:5], v3, v[4:5]
	v_sub_nc_u32_e32 v3, 32, v3
	s_delay_alu instid0(VALU_DEP_2) | instskip(NEXT) | instid1(VALU_DEP_1)
	v_min_u32_e32 v4, 1, v4
	v_or_b32_e32 v4, v5, v4
	s_delay_alu instid0(VALU_DEP_1) | instskip(NEXT) | instid1(VALU_DEP_1)
	v_cvt_f32_u32_e32 v4, v4
	v_ldexp_f32 v3, v4, v3
	s_delay_alu instid0(VALU_DEP_1)
	v_cvt_f16_f32_e32 v4, v3
	s_branch .LBB182_2520
.LBB182_2518:
	s_mov_b32 s4, -1
                                        ; implicit-def: $vgpr4
.LBB182_2519:
	s_mov_b32 s15, 0
.LBB182_2520:
	s_delay_alu instid0(SALU_CYCLE_1)
	s_and_b32 vcc_lo, exec_lo, s15
	s_cbranch_vccz .LBB182_2538
; %bb.2521:
	s_cmp_lt_i32 s1, 27
	s_cbranch_scc1 .LBB182_2524
; %bb.2522:
	s_cmp_gt_i32 s1, 27
	s_cbranch_scc0 .LBB182_2525
; %bb.2523:
	global_load_b32 v3, v[0:1], off
	s_mov_b32 s9, 0
	s_wait_loadcnt 0x0
	v_cvt_f32_u32_e32 v3, v3
	s_wait_xcnt 0x1
	s_delay_alu instid0(VALU_DEP_1)
	v_cvt_f16_f32_e32 v4, v3
	s_branch .LBB182_2526
.LBB182_2524:
	s_mov_b32 s9, -1
                                        ; implicit-def: $vgpr4
	s_branch .LBB182_2529
.LBB182_2525:
	s_mov_b32 s9, -1
                                        ; implicit-def: $vgpr4
.LBB182_2526:
	s_delay_alu instid0(SALU_CYCLE_1)
	s_and_not1_b32 vcc_lo, exec_lo, s9
	s_cbranch_vccnz .LBB182_2528
; %bb.2527:
	global_load_u16 v3, v[0:1], off
	s_wait_loadcnt 0x0
	s_wait_xcnt 0x1
	v_cvt_f16_u16_e32 v4, v3
.LBB182_2528:
	s_mov_b32 s9, 0
.LBB182_2529:
	s_delay_alu instid0(SALU_CYCLE_1)
	s_and_not1_b32 vcc_lo, exec_lo, s9
	s_cbranch_vccnz .LBB182_2537
; %bb.2530:
	global_load_u8 v3, v[0:1], off
	s_mov_b32 s9, 0
	s_mov_b32 s15, exec_lo
	s_wait_loadcnt 0x0
	v_cmpx_lt_i16_e32 0x7f, v3
	s_xor_b32 s15, exec_lo, s15
	s_cbranch_execz .LBB182_2551
; %bb.2531:
	s_mov_b32 s9, -1
	s_mov_b32 s18, exec_lo
	v_cmpx_eq_u16_e32 0x80, v3
; %bb.2532:
	s_xor_b32 s9, exec_lo, -1
; %bb.2533:
	s_or_b32 exec_lo, exec_lo, s18
	s_delay_alu instid0(SALU_CYCLE_1)
	s_and_b32 s9, s9, exec_lo
	s_or_saveexec_b32 s15, s15
	v_mov_b32_e32 v4, 0x7e00
	s_xor_b32 exec_lo, exec_lo, s15
	s_cbranch_execnz .LBB182_2552
.LBB182_2534:
	s_or_b32 exec_lo, exec_lo, s15
	s_and_saveexec_b32 s15, s9
	s_cbranch_execz .LBB182_2536
.LBB182_2535:
	v_and_b32_e32 v4, 0xffff, v3
	s_delay_alu instid0(VALU_DEP_1) | instskip(SKIP_1) | instid1(VALU_DEP_2)
	v_and_b32_e32 v5, 7, v4
	v_bfe_u32 v15, v4, 3, 4
	v_clz_i32_u32_e32 v13, v5
	s_delay_alu instid0(VALU_DEP_2) | instskip(NEXT) | instid1(VALU_DEP_2)
	v_cmp_eq_u32_e32 vcc_lo, 0, v15
	v_min_u32_e32 v13, 32, v13
	s_delay_alu instid0(VALU_DEP_1) | instskip(NEXT) | instid1(VALU_DEP_1)
	v_subrev_nc_u32_e32 v14, 28, v13
	v_dual_lshlrev_b32 v4, v14, v4 :: v_dual_sub_nc_u32 v13, 29, v13
	s_delay_alu instid0(VALU_DEP_1) | instskip(NEXT) | instid1(VALU_DEP_1)
	v_dual_lshlrev_b32 v3, 24, v3 :: v_dual_bitop2_b32 v4, 7, v4 bitop3:0x40
	v_dual_cndmask_b32 v13, v15, v13 :: v_dual_cndmask_b32 v4, v5, v4
	s_delay_alu instid0(VALU_DEP_2) | instskip(NEXT) | instid1(VALU_DEP_2)
	v_and_b32_e32 v3, 0x80000000, v3
	v_lshl_add_u32 v5, v13, 23, 0x3b800000
	s_delay_alu instid0(VALU_DEP_3) | instskip(NEXT) | instid1(VALU_DEP_1)
	v_lshlrev_b32_e32 v4, 20, v4
	v_or3_b32 v3, v3, v5, v4
	s_delay_alu instid0(VALU_DEP_1)
	v_cvt_f16_f32_e32 v4, v3
.LBB182_2536:
	s_or_b32 exec_lo, exec_lo, s15
.LBB182_2537:
	s_mov_b32 s9, -1
.LBB182_2538:
	s_mov_b32 s15, 0
.LBB182_2539:
	s_delay_alu instid0(SALU_CYCLE_1)
	s_and_b32 vcc_lo, exec_lo, s15
	s_cbranch_vccz .LBB182_2572
; %bb.2540:
	s_cmp_gt_i32 s1, 22
	s_cbranch_scc0 .LBB182_2550
; %bb.2541:
	s_cmp_lt_i32 s1, 24
	s_cbranch_scc1 .LBB182_2553
; %bb.2542:
	s_cmp_gt_i32 s1, 24
	s_cbranch_scc0 .LBB182_2554
; %bb.2543:
	global_load_u8 v3, v[0:1], off
	s_mov_b32 s9, exec_lo
	s_wait_loadcnt 0x0
	v_cmpx_lt_i16_e32 0x7f, v3
	s_xor_b32 s9, exec_lo, s9
	s_cbranch_execz .LBB182_2566
; %bb.2544:
	s_mov_b32 s5, -1
	s_mov_b32 s15, exec_lo
	v_cmpx_eq_u16_e32 0x80, v3
; %bb.2545:
	s_xor_b32 s5, exec_lo, -1
; %bb.2546:
	s_or_b32 exec_lo, exec_lo, s15
	s_delay_alu instid0(SALU_CYCLE_1)
	s_and_b32 s5, s5, exec_lo
	s_or_saveexec_b32 s9, s9
	v_mov_b32_e32 v4, 0x7e00
	s_xor_b32 exec_lo, exec_lo, s9
	s_cbranch_execnz .LBB182_2567
.LBB182_2547:
	s_or_b32 exec_lo, exec_lo, s9
	s_and_saveexec_b32 s9, s5
	s_cbranch_execz .LBB182_2549
.LBB182_2548:
	v_and_b32_e32 v4, 0xffff, v3
	s_delay_alu instid0(VALU_DEP_1) | instskip(SKIP_1) | instid1(VALU_DEP_2)
	v_and_b32_e32 v5, 3, v4
	v_bfe_u32 v15, v4, 2, 5
	v_clz_i32_u32_e32 v13, v5
	s_delay_alu instid0(VALU_DEP_2) | instskip(NEXT) | instid1(VALU_DEP_2)
	v_cmp_eq_u32_e32 vcc_lo, 0, v15
	v_min_u32_e32 v13, 32, v13
	s_delay_alu instid0(VALU_DEP_1) | instskip(NEXT) | instid1(VALU_DEP_1)
	v_subrev_nc_u32_e32 v14, 29, v13
	v_dual_lshlrev_b32 v4, v14, v4 :: v_dual_sub_nc_u32 v13, 30, v13
	s_delay_alu instid0(VALU_DEP_1) | instskip(NEXT) | instid1(VALU_DEP_1)
	v_dual_lshlrev_b32 v3, 24, v3 :: v_dual_bitop2_b32 v4, 3, v4 bitop3:0x40
	v_dual_cndmask_b32 v13, v15, v13 :: v_dual_cndmask_b32 v4, v5, v4
	s_delay_alu instid0(VALU_DEP_2) | instskip(NEXT) | instid1(VALU_DEP_2)
	v_and_b32_e32 v3, 0x80000000, v3
	v_lshl_add_u32 v5, v13, 23, 0x37800000
	s_delay_alu instid0(VALU_DEP_3) | instskip(NEXT) | instid1(VALU_DEP_1)
	v_lshlrev_b32_e32 v4, 21, v4
	v_or3_b32 v3, v3, v5, v4
	s_delay_alu instid0(VALU_DEP_1)
	v_cvt_f16_f32_e32 v4, v3
.LBB182_2549:
	s_or_b32 exec_lo, exec_lo, s9
	s_mov_b32 s5, 0
	s_branch .LBB182_2555
.LBB182_2550:
	s_mov_b32 s5, -1
                                        ; implicit-def: $vgpr4
	s_branch .LBB182_2561
.LBB182_2551:
	s_or_saveexec_b32 s15, s15
	v_mov_b32_e32 v4, 0x7e00
	s_xor_b32 exec_lo, exec_lo, s15
	s_cbranch_execz .LBB182_2534
.LBB182_2552:
	v_cmp_ne_u16_e32 vcc_lo, 0, v3
	v_mov_b32_e32 v4, v3
	s_and_not1_b32 s9, s9, exec_lo
	s_and_b32 s18, vcc_lo, exec_lo
	s_delay_alu instid0(SALU_CYCLE_1)
	s_or_b32 s9, s9, s18
	s_or_b32 exec_lo, exec_lo, s15
	s_and_saveexec_b32 s15, s9
	s_cbranch_execnz .LBB182_2535
	s_branch .LBB182_2536
.LBB182_2553:
	s_mov_b32 s5, -1
                                        ; implicit-def: $vgpr4
	s_branch .LBB182_2558
.LBB182_2554:
	s_mov_b32 s5, -1
                                        ; implicit-def: $vgpr4
.LBB182_2555:
	s_delay_alu instid0(SALU_CYCLE_1)
	s_and_b32 vcc_lo, exec_lo, s5
	s_cbranch_vccz .LBB182_2557
; %bb.2556:
	global_load_u8 v3, v[0:1], off
	s_wait_loadcnt 0x0
	v_lshlrev_b32_e32 v3, 24, v3
	s_wait_xcnt 0x1
	s_delay_alu instid0(VALU_DEP_1) | instskip(NEXT) | instid1(VALU_DEP_1)
	v_and_b32_e32 v4, 0x7f000000, v3
	v_clz_i32_u32_e32 v5, v4
	v_add_nc_u32_e32 v14, 0x1000000, v4
	v_cmp_ne_u32_e32 vcc_lo, 0, v4
	s_delay_alu instid0(VALU_DEP_3) | instskip(NEXT) | instid1(VALU_DEP_1)
	v_min_u32_e32 v5, 32, v5
	v_sub_nc_u32_e64 v5, v5, 4 clamp
	s_delay_alu instid0(VALU_DEP_1) | instskip(NEXT) | instid1(VALU_DEP_1)
	v_dual_lshlrev_b32 v13, v5, v4 :: v_dual_lshlrev_b32 v5, 23, v5
	v_lshrrev_b32_e32 v13, 4, v13
	s_delay_alu instid0(VALU_DEP_1) | instskip(NEXT) | instid1(VALU_DEP_1)
	v_dual_sub_nc_u32 v5, v13, v5 :: v_dual_ashrrev_i32 v13, 8, v14
	v_add_nc_u32_e32 v5, 0x3c000000, v5
	s_delay_alu instid0(VALU_DEP_1) | instskip(NEXT) | instid1(VALU_DEP_1)
	v_and_or_b32 v5, 0x7f800000, v13, v5
	v_cndmask_b32_e32 v4, 0, v5, vcc_lo
	s_delay_alu instid0(VALU_DEP_1) | instskip(NEXT) | instid1(VALU_DEP_1)
	v_and_or_b32 v3, 0x80000000, v3, v4
	v_cvt_f16_f32_e32 v4, v3
.LBB182_2557:
	s_mov_b32 s5, 0
.LBB182_2558:
	s_delay_alu instid0(SALU_CYCLE_1)
	s_and_not1_b32 vcc_lo, exec_lo, s5
	s_cbranch_vccnz .LBB182_2560
; %bb.2559:
	global_load_u8 v3, v[0:1], off
	s_wait_loadcnt 0x0
	s_wait_xcnt 0x1
	v_lshlrev_b32_e32 v4, 25, v3
	v_lshlrev_b16 v3, 8, v3
	s_delay_alu instid0(VALU_DEP_1) | instskip(SKIP_1) | instid1(VALU_DEP_2)
	v_and_or_b32 v13, 0x7f00, v3, 0.5
	v_bfe_i32 v3, v3, 0, 16
	v_dual_add_f32 v13, -0.5, v13 :: v_dual_lshrrev_b32 v5, 4, v4
	v_cmp_gt_u32_e32 vcc_lo, 0x8000000, v4
	s_delay_alu instid0(VALU_DEP_2) | instskip(NEXT) | instid1(VALU_DEP_1)
	v_or_b32_e32 v5, 0x70000000, v5
	v_mul_f32_e32 v5, 0x7800000, v5
	s_delay_alu instid0(VALU_DEP_1) | instskip(NEXT) | instid1(VALU_DEP_1)
	v_cndmask_b32_e32 v4, v5, v13, vcc_lo
	v_and_or_b32 v3, 0x80000000, v3, v4
	s_delay_alu instid0(VALU_DEP_1)
	v_cvt_f16_f32_e32 v4, v3
.LBB182_2560:
	s_mov_b32 s5, 0
	s_mov_b32 s9, -1
.LBB182_2561:
	s_and_not1_b32 vcc_lo, exec_lo, s5
	s_mov_b32 s5, 0
	s_cbranch_vccnz .LBB182_2572
; %bb.2562:
	s_cmp_gt_i32 s1, 14
	s_cbranch_scc0 .LBB182_2565
; %bb.2563:
	s_cmp_eq_u32 s1, 15
	s_cbranch_scc0 .LBB182_2568
; %bb.2564:
	global_load_u16 v3, v[0:1], off
	s_mov_b32 s4, 0
	s_mov_b32 s9, -1
	s_wait_loadcnt 0x0
	v_lshlrev_b32_e32 v3, 16, v3
	s_wait_xcnt 0x1
	s_delay_alu instid0(VALU_DEP_1)
	v_cvt_f16_f32_e32 v4, v3
	s_branch .LBB182_2570
.LBB182_2565:
	s_mov_b32 s5, -1
	s_branch .LBB182_2569
.LBB182_2566:
	s_or_saveexec_b32 s9, s9
	v_mov_b32_e32 v4, 0x7e00
	s_xor_b32 exec_lo, exec_lo, s9
	s_cbranch_execz .LBB182_2547
.LBB182_2567:
	v_cmp_ne_u16_e32 vcc_lo, 0, v3
	v_mov_b32_e32 v4, v3
	s_and_not1_b32 s5, s5, exec_lo
	s_and_b32 s15, vcc_lo, exec_lo
	s_delay_alu instid0(SALU_CYCLE_1)
	s_or_b32 s5, s5, s15
	s_or_b32 exec_lo, exec_lo, s9
	s_and_saveexec_b32 s9, s5
	s_cbranch_execnz .LBB182_2548
	s_branch .LBB182_2549
.LBB182_2568:
	s_mov_b32 s4, -1
.LBB182_2569:
                                        ; implicit-def: $vgpr4
.LBB182_2570:
	s_and_b32 vcc_lo, exec_lo, s5
	s_mov_b32 s5, 0
	s_cbranch_vccz .LBB182_2572
; %bb.2571:
	s_cmp_lg_u32 s1, 11
	s_mov_b32 s5, -1
	s_cselect_b32 s4, -1, 0
.LBB182_2572:
	s_delay_alu instid0(SALU_CYCLE_1)
	s_and_b32 vcc_lo, exec_lo, s4
	s_cbranch_vccnz .LBB182_2637
; %bb.2573:
	s_and_not1_b32 vcc_lo, exec_lo, s5
	s_cbranch_vccnz .LBB182_2575
.LBB182_2574:
	global_load_u8 v3, v[0:1], off
	s_mov_b32 s9, -1
	s_wait_loadcnt 0x0
	v_cmp_ne_u16_e32 vcc_lo, 0, v3
	s_wait_xcnt 0x1
	v_cndmask_b32_e64 v4, 0, 0x3c00, vcc_lo
.LBB182_2575:
	s_mov_b32 s1, 0
.LBB182_2576:
	s_delay_alu instid0(SALU_CYCLE_1)
	s_and_b32 vcc_lo, exec_lo, s1
	s_cbranch_vccz .LBB182_2625
; %bb.2577:
	s_and_b32 s1, 0xffff, s13
	s_delay_alu instid0(SALU_CYCLE_1)
	s_cmp_lt_i32 s1, 5
	s_cbranch_scc1 .LBB182_2582
; %bb.2578:
	s_cmp_lt_i32 s1, 8
	s_cbranch_scc1 .LBB182_2583
; %bb.2579:
	;; [unrolled: 3-line block ×3, first 2 shown]
	s_cmp_gt_i32 s1, 9
	s_cbranch_scc0 .LBB182_2585
; %bb.2581:
	global_load_b64 v[4:5], v[0:1], off
	s_mov_b32 s4, 0
	s_wait_loadcnt 0x0
	v_and_or_b32 v3, 0x1ff, v5, v4
	v_lshrrev_b32_e32 v4, 8, v5
	v_bfe_u32 v13, v5, 20, 11
	s_delay_alu instid0(VALU_DEP_3) | instskip(NEXT) | instid1(VALU_DEP_2)
	v_cmp_ne_u32_e32 vcc_lo, 0, v3
	v_sub_nc_u32_e32 v14, 0x3f1, v13
	v_add_nc_u32_e32 v13, 0xfffffc10, v13
	v_cndmask_b32_e64 v3, 0, 1, vcc_lo
	s_delay_alu instid0(VALU_DEP_1) | instskip(NEXT) | instid1(VALU_DEP_4)
	v_and_or_b32 v3, 0xffe, v4, v3
	v_med3_i32 v4, v14, 0, 13
	s_delay_alu instid0(VALU_DEP_2) | instskip(NEXT) | instid1(VALU_DEP_1)
	v_or_b32_e32 v14, 0x1000, v3
	v_lshrrev_b32_e32 v15, v4, v14
	s_delay_alu instid0(VALU_DEP_1) | instskip(NEXT) | instid1(VALU_DEP_1)
	v_lshlrev_b32_e32 v4, v4, v15
	v_cmp_ne_u32_e32 vcc_lo, v4, v14
	v_lshl_or_b32 v14, v13, 12, v3
	v_cndmask_b32_e64 v4, 0, 1, vcc_lo
	v_cmp_gt_i32_e32 vcc_lo, 1, v13
	s_delay_alu instid0(VALU_DEP_2) | instskip(NEXT) | instid1(VALU_DEP_1)
	v_or_b32_e32 v4, v15, v4
	v_cndmask_b32_e32 v4, v14, v4, vcc_lo
	s_delay_alu instid0(VALU_DEP_1) | instskip(NEXT) | instid1(VALU_DEP_1)
	v_dual_lshrrev_b32 v4, 2, v4 :: v_dual_bitop2_b32 v14, 7, v4 bitop3:0x40
	v_cmp_lt_i32_e32 vcc_lo, 5, v14
	v_cndmask_b32_e64 v15, 0, 1, vcc_lo
	v_cmp_eq_u32_e32 vcc_lo, 3, v14
	v_cndmask_b32_e64 v14, 0, 1, vcc_lo
	v_cmp_ne_u32_e32 vcc_lo, 0, v3
	s_delay_alu instid0(VALU_DEP_2) | instskip(NEXT) | instid1(VALU_DEP_1)
	v_or_b32_e32 v14, v14, v15
	v_dual_mov_b32 v15, 0x7e00 :: v_dual_add_nc_u32 v4, v4, v14
	s_delay_alu instid0(VALU_DEP_1) | instskip(SKIP_1) | instid1(VALU_DEP_3)
	v_cndmask_b32_e32 v3, 0x7c00, v15, vcc_lo
	v_cmp_gt_i32_e32 vcc_lo, 31, v13
	v_cndmask_b32_e32 v4, 0x7c00, v4, vcc_lo
	v_cmp_eq_u32_e32 vcc_lo, 0x40f, v13
	s_delay_alu instid0(VALU_DEP_2) | instskip(NEXT) | instid1(VALU_DEP_1)
	v_dual_cndmask_b32 v3, v4, v3 :: v_dual_lshrrev_b32 v4, 16, v5
	v_and_or_b32 v4, 0x8000, v4, v3
	s_branch .LBB182_2586
.LBB182_2582:
	s_mov_b32 s4, -1
                                        ; implicit-def: $vgpr4
	s_branch .LBB182_2604
.LBB182_2583:
	s_mov_b32 s4, -1
                                        ; implicit-def: $vgpr4
	s_branch .LBB182_2592
.LBB182_2584:
	s_mov_b32 s4, -1
                                        ; implicit-def: $vgpr4
	s_branch .LBB182_2589
.LBB182_2585:
	s_mov_b32 s4, -1
                                        ; implicit-def: $vgpr4
.LBB182_2586:
	s_delay_alu instid0(SALU_CYCLE_1)
	s_and_not1_b32 vcc_lo, exec_lo, s4
	s_cbranch_vccnz .LBB182_2588
; %bb.2587:
	global_load_b32 v3, v[0:1], off
	s_wait_loadcnt 0x0
	s_wait_xcnt 0x1
	v_cvt_f16_f32_e32 v4, v3
.LBB182_2588:
	s_mov_b32 s4, 0
.LBB182_2589:
	s_delay_alu instid0(SALU_CYCLE_1)
	s_and_not1_b32 vcc_lo, exec_lo, s4
	s_cbranch_vccnz .LBB182_2591
; %bb.2590:
	global_load_b32 v4, v[0:1], off
.LBB182_2591:
	s_mov_b32 s4, 0
.LBB182_2592:
	s_delay_alu instid0(SALU_CYCLE_1)
	s_and_not1_b32 vcc_lo, exec_lo, s4
	s_cbranch_vccnz .LBB182_2603
; %bb.2593:
	s_cmp_lt_i32 s1, 6
	s_cbranch_scc1 .LBB182_2596
; %bb.2594:
	s_cmp_gt_i32 s1, 6
	s_cbranch_scc0 .LBB182_2597
; %bb.2595:
	s_wait_loadcnt 0x0
	global_load_b64 v[4:5], v[0:1], off
	s_mov_b32 s4, 0
	s_wait_loadcnt 0x0
	v_and_or_b32 v3, 0x1ff, v5, v4
	v_lshrrev_b32_e32 v4, 8, v5
	v_bfe_u32 v13, v5, 20, 11
	s_delay_alu instid0(VALU_DEP_3) | instskip(NEXT) | instid1(VALU_DEP_2)
	v_cmp_ne_u32_e32 vcc_lo, 0, v3
	v_sub_nc_u32_e32 v14, 0x3f1, v13
	v_add_nc_u32_e32 v13, 0xfffffc10, v13
	v_cndmask_b32_e64 v3, 0, 1, vcc_lo
	s_delay_alu instid0(VALU_DEP_1) | instskip(NEXT) | instid1(VALU_DEP_4)
	v_and_or_b32 v3, 0xffe, v4, v3
	v_med3_i32 v4, v14, 0, 13
	s_delay_alu instid0(VALU_DEP_2) | instskip(NEXT) | instid1(VALU_DEP_1)
	v_or_b32_e32 v14, 0x1000, v3
	v_lshrrev_b32_e32 v15, v4, v14
	s_delay_alu instid0(VALU_DEP_1) | instskip(NEXT) | instid1(VALU_DEP_1)
	v_lshlrev_b32_e32 v4, v4, v15
	v_cmp_ne_u32_e32 vcc_lo, v4, v14
	v_lshl_or_b32 v14, v13, 12, v3
	v_cndmask_b32_e64 v4, 0, 1, vcc_lo
	v_cmp_gt_i32_e32 vcc_lo, 1, v13
	s_delay_alu instid0(VALU_DEP_2) | instskip(NEXT) | instid1(VALU_DEP_1)
	v_or_b32_e32 v4, v15, v4
	v_cndmask_b32_e32 v4, v14, v4, vcc_lo
	s_delay_alu instid0(VALU_DEP_1) | instskip(NEXT) | instid1(VALU_DEP_1)
	v_dual_lshrrev_b32 v4, 2, v4 :: v_dual_bitop2_b32 v14, 7, v4 bitop3:0x40
	v_cmp_lt_i32_e32 vcc_lo, 5, v14
	v_cndmask_b32_e64 v15, 0, 1, vcc_lo
	v_cmp_eq_u32_e32 vcc_lo, 3, v14
	v_cndmask_b32_e64 v14, 0, 1, vcc_lo
	v_cmp_ne_u32_e32 vcc_lo, 0, v3
	s_delay_alu instid0(VALU_DEP_2) | instskip(NEXT) | instid1(VALU_DEP_1)
	v_or_b32_e32 v14, v14, v15
	v_dual_mov_b32 v15, 0x7e00 :: v_dual_add_nc_u32 v4, v4, v14
	s_delay_alu instid0(VALU_DEP_1) | instskip(SKIP_1) | instid1(VALU_DEP_3)
	v_cndmask_b32_e32 v3, 0x7c00, v15, vcc_lo
	v_cmp_gt_i32_e32 vcc_lo, 31, v13
	v_cndmask_b32_e32 v4, 0x7c00, v4, vcc_lo
	v_cmp_eq_u32_e32 vcc_lo, 0x40f, v13
	s_delay_alu instid0(VALU_DEP_2) | instskip(NEXT) | instid1(VALU_DEP_1)
	v_dual_cndmask_b32 v3, v4, v3 :: v_dual_lshrrev_b32 v4, 16, v5
	v_and_or_b32 v4, 0x8000, v4, v3
	s_branch .LBB182_2598
.LBB182_2596:
	s_mov_b32 s4, -1
                                        ; implicit-def: $vgpr4
	s_branch .LBB182_2601
.LBB182_2597:
	s_mov_b32 s4, -1
                                        ; implicit-def: $vgpr4
.LBB182_2598:
	s_delay_alu instid0(SALU_CYCLE_1)
	s_and_not1_b32 vcc_lo, exec_lo, s4
	s_cbranch_vccnz .LBB182_2600
; %bb.2599:
	global_load_b32 v3, v[0:1], off
	s_wait_loadcnt 0x0
	s_wait_xcnt 0x1
	v_cvt_f16_f32_e32 v4, v3
.LBB182_2600:
	s_mov_b32 s4, 0
.LBB182_2601:
	s_delay_alu instid0(SALU_CYCLE_1)
	s_and_not1_b32 vcc_lo, exec_lo, s4
	s_cbranch_vccnz .LBB182_2603
; %bb.2602:
	s_wait_loadcnt 0x0
	global_load_u16 v4, v[0:1], off
.LBB182_2603:
	s_mov_b32 s4, 0
.LBB182_2604:
	s_delay_alu instid0(SALU_CYCLE_1)
	s_and_not1_b32 vcc_lo, exec_lo, s4
	s_cbranch_vccnz .LBB182_2624
; %bb.2605:
	s_cmp_lt_i32 s1, 2
	s_cbranch_scc1 .LBB182_2609
; %bb.2606:
	s_cmp_lt_i32 s1, 3
	s_cbranch_scc1 .LBB182_2610
; %bb.2607:
	s_cmp_gt_i32 s1, 3
	s_cbranch_scc0 .LBB182_2611
; %bb.2608:
	s_wait_loadcnt 0x0
	global_load_b64 v[4:5], v[0:1], off
	s_mov_b32 s4, 0
	s_wait_loadcnt 0x0
	v_xor_b32_e32 v3, v4, v5
	v_cls_i32_e32 v13, v5
	s_delay_alu instid0(VALU_DEP_2) | instskip(NEXT) | instid1(VALU_DEP_1)
	v_ashrrev_i32_e32 v3, 31, v3
	v_add_nc_u32_e32 v3, 32, v3
	s_delay_alu instid0(VALU_DEP_1) | instskip(NEXT) | instid1(VALU_DEP_1)
	v_add_min_u32_e64 v3, v13, -1, v3
	v_lshlrev_b64_e32 v[4:5], v3, v[4:5]
	v_sub_nc_u32_e32 v3, 32, v3
	s_delay_alu instid0(VALU_DEP_2) | instskip(NEXT) | instid1(VALU_DEP_1)
	v_min_u32_e32 v4, 1, v4
	v_or_b32_e32 v4, v5, v4
	s_delay_alu instid0(VALU_DEP_1) | instskip(NEXT) | instid1(VALU_DEP_1)
	v_cvt_f32_i32_e32 v4, v4
	v_ldexp_f32 v3, v4, v3
	s_delay_alu instid0(VALU_DEP_1)
	v_cvt_f16_f32_e32 v4, v3
	s_branch .LBB182_2612
.LBB182_2609:
	s_mov_b32 s4, -1
                                        ; implicit-def: $vgpr4
	s_branch .LBB182_2618
.LBB182_2610:
	s_mov_b32 s4, -1
                                        ; implicit-def: $vgpr4
	s_branch .LBB182_2615
.LBB182_2611:
	s_mov_b32 s4, -1
                                        ; implicit-def: $vgpr4
.LBB182_2612:
	s_delay_alu instid0(SALU_CYCLE_1)
	s_and_not1_b32 vcc_lo, exec_lo, s4
	s_cbranch_vccnz .LBB182_2614
; %bb.2613:
	global_load_b32 v3, v[0:1], off
	s_wait_loadcnt 0x0
	v_cvt_f32_i32_e32 v3, v3
	s_wait_xcnt 0x1
	s_delay_alu instid0(VALU_DEP_1)
	v_cvt_f16_f32_e32 v4, v3
.LBB182_2614:
	s_mov_b32 s4, 0
.LBB182_2615:
	s_delay_alu instid0(SALU_CYCLE_1)
	s_and_not1_b32 vcc_lo, exec_lo, s4
	s_cbranch_vccnz .LBB182_2617
; %bb.2616:
	global_load_u16 v3, v[0:1], off
	s_wait_loadcnt 0x0
	s_wait_xcnt 0x1
	v_cvt_f16_i16_e32 v4, v3
.LBB182_2617:
	s_mov_b32 s4, 0
.LBB182_2618:
	s_delay_alu instid0(SALU_CYCLE_1)
	s_and_not1_b32 vcc_lo, exec_lo, s4
	s_cbranch_vccnz .LBB182_2624
; %bb.2619:
	s_cmp_gt_i32 s1, 0
	s_mov_b32 s1, 0
	s_cbranch_scc0 .LBB182_2621
; %bb.2620:
	global_load_i8 v3, v[0:1], off
	s_wait_loadcnt 0x0
	s_wait_xcnt 0x1
	v_cvt_f16_i16_e32 v4, v3
	s_branch .LBB182_2622
.LBB182_2621:
	s_mov_b32 s1, -1
                                        ; implicit-def: $vgpr4
.LBB182_2622:
	s_delay_alu instid0(SALU_CYCLE_1)
	s_and_not1_b32 vcc_lo, exec_lo, s1
	s_cbranch_vccnz .LBB182_2624
; %bb.2623:
	global_load_u8 v0, v[0:1], off
	s_wait_loadcnt 0x0
	v_cvt_f16_u16_e32 v4, v0
.LBB182_2624:
	s_mov_b32 s9, -1
.LBB182_2625:
	s_delay_alu instid0(SALU_CYCLE_1)
	s_and_not1_b32 vcc_lo, exec_lo, s9
	s_cbranch_vccnz .LBB182_3190
; %bb.2626:
	s_wait_xcnt 0x0
	v_add_nc_u32_e32 v0, s8, v2
	s_cmp_lt_i32 s0, 11
	s_delay_alu instid0(VALU_DEP_1) | instskip(NEXT) | instid1(VALU_DEP_1)
	v_ashrrev_i32_e32 v1, 31, v0
	v_add_nc_u64_e32 v[0:1], s[6:7], v[0:1]
	s_cbranch_scc1 .LBB182_2633
; %bb.2627:
	s_cmp_gt_i32 s0, 25
	s_mov_b32 s4, 0
	s_cbranch_scc0 .LBB182_2634
; %bb.2628:
	s_cmp_gt_i32 s0, 28
	s_cbranch_scc0 .LBB182_2635
; %bb.2629:
	s_cmp_gt_i32 s0, 43
	;; [unrolled: 3-line block ×3, first 2 shown]
	s_cbranch_scc0 .LBB182_2638
; %bb.2631:
	s_cmp_eq_u32 s0, 46
	s_mov_b32 s6, 0
	s_cbranch_scc0 .LBB182_2639
; %bb.2632:
	global_load_b32 v2, v[0:1], off
	s_mov_b32 s1, 0
	s_mov_b32 s5, -1
	s_wait_loadcnt 0x0
	v_lshlrev_b32_e32 v2, 16, v2
	s_delay_alu instid0(VALU_DEP_1)
	v_cvt_f16_f32_e32 v5, v2
	s_branch .LBB182_2641
.LBB182_2633:
	s_mov_b32 s1, -1
	s_mov_b32 s5, 0
                                        ; implicit-def: $vgpr5
	s_branch .LBB182_2707
.LBB182_2634:
	s_mov_b32 s6, -1
	s_mov_b32 s5, 0
	s_mov_b32 s1, 0
                                        ; implicit-def: $vgpr5
	s_branch .LBB182_2670
.LBB182_2635:
	s_mov_b32 s6, -1
	s_mov_b32 s5, 0
	s_mov_b32 s1, 0
                                        ; implicit-def: $vgpr5
	s_branch .LBB182_2651
.LBB182_2636:
	s_mov_b32 s6, -1
	s_mov_b32 s5, 0
	s_mov_b32 s1, 0
                                        ; implicit-def: $vgpr5
	s_branch .LBB182_2646
.LBB182_2637:
	s_or_b32 s14, s14, exec_lo
	s_trap 2
	s_cbranch_execz .LBB182_2574
	s_branch .LBB182_2575
.LBB182_2638:
	s_mov_b32 s6, -1
	s_mov_b32 s5, 0
	s_mov_b32 s1, 0
	s_branch .LBB182_2640
.LBB182_2639:
	s_mov_b32 s1, -1
	s_mov_b32 s5, 0
.LBB182_2640:
                                        ; implicit-def: $vgpr5
.LBB182_2641:
	s_and_b32 vcc_lo, exec_lo, s6
	s_cbranch_vccz .LBB182_2645
; %bb.2642:
	s_cmp_eq_u32 s0, 44
	s_cbranch_scc0 .LBB182_2644
; %bb.2643:
	global_load_u8 v2, v[0:1], off
	s_mov_b32 s1, 0
	s_mov_b32 s5, -1
	s_wait_loadcnt 0x0
	v_lshlrev_b32_e32 v3, 23, v2
	v_cmp_ne_u32_e32 vcc_lo, 0xff, v2
	s_delay_alu instid0(VALU_DEP_2) | instskip(NEXT) | instid1(VALU_DEP_1)
	v_cvt_f16_f32_e32 v3, v3
	v_cndmask_b32_e32 v3, 0x7e00, v3, vcc_lo
	v_cmp_ne_u32_e32 vcc_lo, 0, v2
	s_delay_alu instid0(VALU_DEP_2)
	v_cndmask_b32_e32 v5, 0, v3, vcc_lo
	s_branch .LBB182_2645
.LBB182_2644:
	s_mov_b32 s1, -1
                                        ; implicit-def: $vgpr5
.LBB182_2645:
	s_mov_b32 s6, 0
.LBB182_2646:
	s_delay_alu instid0(SALU_CYCLE_1)
	s_and_b32 vcc_lo, exec_lo, s6
	s_cbranch_vccz .LBB182_2650
; %bb.2647:
	s_cmp_eq_u32 s0, 29
	s_cbranch_scc0 .LBB182_2649
; %bb.2648:
	global_load_b64 v[2:3], v[0:1], off
	s_mov_b32 s1, 0
	s_mov_b32 s5, -1
	s_mov_b32 s6, 0
	s_wait_loadcnt 0x0
	v_clz_i32_u32_e32 v5, v3
	s_delay_alu instid0(VALU_DEP_1) | instskip(NEXT) | instid1(VALU_DEP_1)
	v_min_u32_e32 v5, 32, v5
	v_lshlrev_b64_e32 v[2:3], v5, v[2:3]
	s_delay_alu instid0(VALU_DEP_1) | instskip(NEXT) | instid1(VALU_DEP_1)
	v_min_u32_e32 v2, 1, v2
	v_dual_sub_nc_u32 v3, 32, v5 :: v_dual_bitop2_b32 v2, v3, v2 bitop3:0x54
	s_delay_alu instid0(VALU_DEP_1) | instskip(NEXT) | instid1(VALU_DEP_1)
	v_cvt_f32_u32_e32 v2, v2
	v_ldexp_f32 v2, v2, v3
	s_delay_alu instid0(VALU_DEP_1)
	v_cvt_f16_f32_e32 v5, v2
	s_branch .LBB182_2651
.LBB182_2649:
	s_mov_b32 s1, -1
                                        ; implicit-def: $vgpr5
.LBB182_2650:
	s_mov_b32 s6, 0
.LBB182_2651:
	s_delay_alu instid0(SALU_CYCLE_1)
	s_and_b32 vcc_lo, exec_lo, s6
	s_cbranch_vccz .LBB182_2669
; %bb.2652:
	s_cmp_lt_i32 s0, 27
	s_cbranch_scc1 .LBB182_2655
; %bb.2653:
	s_cmp_gt_i32 s0, 27
	s_cbranch_scc0 .LBB182_2656
; %bb.2654:
	global_load_b32 v2, v[0:1], off
	s_mov_b32 s5, 0
	s_wait_loadcnt 0x0
	v_cvt_f32_u32_e32 v2, v2
	s_delay_alu instid0(VALU_DEP_1)
	v_cvt_f16_f32_e32 v5, v2
	s_branch .LBB182_2657
.LBB182_2655:
	s_mov_b32 s5, -1
                                        ; implicit-def: $vgpr5
	s_branch .LBB182_2660
.LBB182_2656:
	s_mov_b32 s5, -1
                                        ; implicit-def: $vgpr5
.LBB182_2657:
	s_delay_alu instid0(SALU_CYCLE_1)
	s_and_not1_b32 vcc_lo, exec_lo, s5
	s_cbranch_vccnz .LBB182_2659
; %bb.2658:
	global_load_u16 v2, v[0:1], off
	s_wait_loadcnt 0x0
	v_cvt_f16_u16_e32 v5, v2
.LBB182_2659:
	s_mov_b32 s5, 0
.LBB182_2660:
	s_delay_alu instid0(SALU_CYCLE_1)
	s_and_not1_b32 vcc_lo, exec_lo, s5
	s_cbranch_vccnz .LBB182_2668
; %bb.2661:
	global_load_u8 v2, v[0:1], off
	s_mov_b32 s5, 0
	s_mov_b32 s6, exec_lo
	s_wait_loadcnt 0x0
	v_cmpx_lt_i16_e32 0x7f, v2
	s_xor_b32 s6, exec_lo, s6
	s_cbranch_execz .LBB182_2682
; %bb.2662:
	s_mov_b32 s5, -1
	s_mov_b32 s7, exec_lo
	v_cmpx_eq_u16_e32 0x80, v2
; %bb.2663:
	s_xor_b32 s5, exec_lo, -1
; %bb.2664:
	s_or_b32 exec_lo, exec_lo, s7
	s_delay_alu instid0(SALU_CYCLE_1)
	s_and_b32 s5, s5, exec_lo
	s_or_saveexec_b32 s6, s6
	v_mov_b32_e32 v5, 0x7e00
	s_xor_b32 exec_lo, exec_lo, s6
	s_cbranch_execnz .LBB182_2683
.LBB182_2665:
	s_or_b32 exec_lo, exec_lo, s6
	s_and_saveexec_b32 s6, s5
	s_cbranch_execz .LBB182_2667
.LBB182_2666:
	v_and_b32_e32 v3, 0xffff, v2
	s_delay_alu instid0(VALU_DEP_1) | instskip(SKIP_1) | instid1(VALU_DEP_2)
	v_and_b32_e32 v5, 7, v3
	v_bfe_u32 v15, v3, 3, 4
	v_clz_i32_u32_e32 v13, v5
	s_delay_alu instid0(VALU_DEP_2) | instskip(NEXT) | instid1(VALU_DEP_2)
	v_cmp_eq_u32_e32 vcc_lo, 0, v15
	v_min_u32_e32 v13, 32, v13
	s_delay_alu instid0(VALU_DEP_1) | instskip(NEXT) | instid1(VALU_DEP_1)
	v_subrev_nc_u32_e32 v14, 28, v13
	v_dual_lshlrev_b32 v3, v14, v3 :: v_dual_sub_nc_u32 v13, 29, v13
	s_delay_alu instid0(VALU_DEP_1) | instskip(NEXT) | instid1(VALU_DEP_1)
	v_dual_lshlrev_b32 v2, 24, v2 :: v_dual_bitop2_b32 v3, 7, v3 bitop3:0x40
	v_dual_cndmask_b32 v13, v15, v13, vcc_lo :: v_dual_cndmask_b32 v3, v5, v3, vcc_lo
	s_delay_alu instid0(VALU_DEP_2) | instskip(NEXT) | instid1(VALU_DEP_2)
	v_and_b32_e32 v2, 0x80000000, v2
	v_lshl_add_u32 v5, v13, 23, 0x3b800000
	s_delay_alu instid0(VALU_DEP_3) | instskip(NEXT) | instid1(VALU_DEP_1)
	v_lshlrev_b32_e32 v3, 20, v3
	v_or3_b32 v2, v2, v5, v3
	s_delay_alu instid0(VALU_DEP_1)
	v_cvt_f16_f32_e32 v5, v2
.LBB182_2667:
	s_or_b32 exec_lo, exec_lo, s6
.LBB182_2668:
	s_mov_b32 s5, -1
.LBB182_2669:
	s_mov_b32 s6, 0
.LBB182_2670:
	s_delay_alu instid0(SALU_CYCLE_1)
	s_and_b32 vcc_lo, exec_lo, s6
	s_cbranch_vccz .LBB182_2703
; %bb.2671:
	s_cmp_gt_i32 s0, 22
	s_cbranch_scc0 .LBB182_2681
; %bb.2672:
	s_cmp_lt_i32 s0, 24
	s_cbranch_scc1 .LBB182_2684
; %bb.2673:
	s_cmp_gt_i32 s0, 24
	s_cbranch_scc0 .LBB182_2685
; %bb.2674:
	global_load_u8 v2, v[0:1], off
	s_mov_b32 s5, exec_lo
	s_wait_loadcnt 0x0
	v_cmpx_lt_i16_e32 0x7f, v2
	s_xor_b32 s5, exec_lo, s5
	s_cbranch_execz .LBB182_2697
; %bb.2675:
	s_mov_b32 s4, -1
	s_mov_b32 s6, exec_lo
	v_cmpx_eq_u16_e32 0x80, v2
; %bb.2676:
	s_xor_b32 s4, exec_lo, -1
; %bb.2677:
	s_or_b32 exec_lo, exec_lo, s6
	s_delay_alu instid0(SALU_CYCLE_1)
	s_and_b32 s4, s4, exec_lo
	s_or_saveexec_b32 s5, s5
	v_mov_b32_e32 v5, 0x7e00
	s_xor_b32 exec_lo, exec_lo, s5
	s_cbranch_execnz .LBB182_2698
.LBB182_2678:
	s_or_b32 exec_lo, exec_lo, s5
	s_and_saveexec_b32 s5, s4
	s_cbranch_execz .LBB182_2680
.LBB182_2679:
	v_and_b32_e32 v3, 0xffff, v2
	s_delay_alu instid0(VALU_DEP_1) | instskip(SKIP_1) | instid1(VALU_DEP_2)
	v_and_b32_e32 v5, 3, v3
	v_bfe_u32 v15, v3, 2, 5
	v_clz_i32_u32_e32 v13, v5
	s_delay_alu instid0(VALU_DEP_2) | instskip(NEXT) | instid1(VALU_DEP_2)
	v_cmp_eq_u32_e32 vcc_lo, 0, v15
	v_min_u32_e32 v13, 32, v13
	s_delay_alu instid0(VALU_DEP_1) | instskip(NEXT) | instid1(VALU_DEP_1)
	v_subrev_nc_u32_e32 v14, 29, v13
	v_dual_lshlrev_b32 v3, v14, v3 :: v_dual_sub_nc_u32 v13, 30, v13
	s_delay_alu instid0(VALU_DEP_1) | instskip(NEXT) | instid1(VALU_DEP_1)
	v_dual_lshlrev_b32 v2, 24, v2 :: v_dual_bitop2_b32 v3, 3, v3 bitop3:0x40
	v_dual_cndmask_b32 v13, v15, v13, vcc_lo :: v_dual_cndmask_b32 v3, v5, v3, vcc_lo
	s_delay_alu instid0(VALU_DEP_2) | instskip(NEXT) | instid1(VALU_DEP_2)
	v_and_b32_e32 v2, 0x80000000, v2
	v_lshl_add_u32 v5, v13, 23, 0x37800000
	s_delay_alu instid0(VALU_DEP_3) | instskip(NEXT) | instid1(VALU_DEP_1)
	v_lshlrev_b32_e32 v3, 21, v3
	v_or3_b32 v2, v2, v5, v3
	s_delay_alu instid0(VALU_DEP_1)
	v_cvt_f16_f32_e32 v5, v2
.LBB182_2680:
	s_or_b32 exec_lo, exec_lo, s5
	s_mov_b32 s4, 0
	s_branch .LBB182_2686
.LBB182_2681:
	s_mov_b32 s4, -1
                                        ; implicit-def: $vgpr5
	s_branch .LBB182_2692
.LBB182_2682:
	s_or_saveexec_b32 s6, s6
	v_mov_b32_e32 v5, 0x7e00
	s_xor_b32 exec_lo, exec_lo, s6
	s_cbranch_execz .LBB182_2665
.LBB182_2683:
	v_cmp_ne_u16_e32 vcc_lo, 0, v2
	v_mov_b32_e32 v5, v2
	s_and_not1_b32 s5, s5, exec_lo
	s_and_b32 s7, vcc_lo, exec_lo
	s_delay_alu instid0(SALU_CYCLE_1)
	s_or_b32 s5, s5, s7
	s_or_b32 exec_lo, exec_lo, s6
	s_and_saveexec_b32 s6, s5
	s_cbranch_execnz .LBB182_2666
	s_branch .LBB182_2667
.LBB182_2684:
	s_mov_b32 s4, -1
                                        ; implicit-def: $vgpr5
	s_branch .LBB182_2689
.LBB182_2685:
	s_mov_b32 s4, -1
                                        ; implicit-def: $vgpr5
.LBB182_2686:
	s_delay_alu instid0(SALU_CYCLE_1)
	s_and_b32 vcc_lo, exec_lo, s4
	s_cbranch_vccz .LBB182_2688
; %bb.2687:
	global_load_u8 v2, v[0:1], off
	s_wait_loadcnt 0x0
	v_lshlrev_b32_e32 v2, 24, v2
	s_delay_alu instid0(VALU_DEP_1) | instskip(NEXT) | instid1(VALU_DEP_1)
	v_and_b32_e32 v3, 0x7f000000, v2
	v_clz_i32_u32_e32 v5, v3
	v_cmp_ne_u32_e32 vcc_lo, 0, v3
	v_add_nc_u32_e32 v14, 0x1000000, v3
	s_delay_alu instid0(VALU_DEP_3) | instskip(NEXT) | instid1(VALU_DEP_1)
	v_min_u32_e32 v5, 32, v5
	v_sub_nc_u32_e64 v5, v5, 4 clamp
	s_delay_alu instid0(VALU_DEP_1) | instskip(NEXT) | instid1(VALU_DEP_1)
	v_dual_lshlrev_b32 v13, v5, v3 :: v_dual_lshlrev_b32 v5, 23, v5
	v_lshrrev_b32_e32 v13, 4, v13
	s_delay_alu instid0(VALU_DEP_1) | instskip(NEXT) | instid1(VALU_DEP_1)
	v_dual_sub_nc_u32 v5, v13, v5 :: v_dual_ashrrev_i32 v13, 8, v14
	v_add_nc_u32_e32 v5, 0x3c000000, v5
	s_delay_alu instid0(VALU_DEP_1) | instskip(NEXT) | instid1(VALU_DEP_1)
	v_and_or_b32 v5, 0x7f800000, v13, v5
	v_cndmask_b32_e32 v3, 0, v5, vcc_lo
	s_delay_alu instid0(VALU_DEP_1) | instskip(NEXT) | instid1(VALU_DEP_1)
	v_and_or_b32 v2, 0x80000000, v2, v3
	v_cvt_f16_f32_e32 v5, v2
.LBB182_2688:
	s_mov_b32 s4, 0
.LBB182_2689:
	s_delay_alu instid0(SALU_CYCLE_1)
	s_and_not1_b32 vcc_lo, exec_lo, s4
	s_cbranch_vccnz .LBB182_2691
; %bb.2690:
	global_load_u8 v2, v[0:1], off
	s_wait_loadcnt 0x0
	v_lshlrev_b32_e32 v3, 25, v2
	v_lshlrev_b16 v2, 8, v2
	s_delay_alu instid0(VALU_DEP_1) | instskip(SKIP_1) | instid1(VALU_DEP_2)
	v_and_or_b32 v13, 0x7f00, v2, 0.5
	v_bfe_i32 v2, v2, 0, 16
	v_dual_add_f32 v13, -0.5, v13 :: v_dual_lshrrev_b32 v5, 4, v3
	v_cmp_gt_u32_e32 vcc_lo, 0x8000000, v3
	s_delay_alu instid0(VALU_DEP_2) | instskip(NEXT) | instid1(VALU_DEP_1)
	v_or_b32_e32 v5, 0x70000000, v5
	v_mul_f32_e32 v5, 0x7800000, v5
	s_delay_alu instid0(VALU_DEP_1) | instskip(NEXT) | instid1(VALU_DEP_1)
	v_cndmask_b32_e32 v3, v5, v13, vcc_lo
	v_and_or_b32 v2, 0x80000000, v2, v3
	s_delay_alu instid0(VALU_DEP_1)
	v_cvt_f16_f32_e32 v5, v2
.LBB182_2691:
	s_mov_b32 s4, 0
	s_mov_b32 s5, -1
.LBB182_2692:
	s_and_not1_b32 vcc_lo, exec_lo, s4
	s_mov_b32 s4, 0
	s_cbranch_vccnz .LBB182_2703
; %bb.2693:
	s_cmp_gt_i32 s0, 14
	s_cbranch_scc0 .LBB182_2696
; %bb.2694:
	s_cmp_eq_u32 s0, 15
	s_cbranch_scc0 .LBB182_2699
; %bb.2695:
	global_load_u16 v2, v[0:1], off
	s_mov_b32 s1, 0
	s_mov_b32 s5, -1
	s_wait_loadcnt 0x0
	v_lshlrev_b32_e32 v2, 16, v2
	s_delay_alu instid0(VALU_DEP_1)
	v_cvt_f16_f32_e32 v5, v2
	s_branch .LBB182_2701
.LBB182_2696:
	s_mov_b32 s4, -1
	s_branch .LBB182_2700
.LBB182_2697:
	s_or_saveexec_b32 s5, s5
	v_mov_b32_e32 v5, 0x7e00
	s_xor_b32 exec_lo, exec_lo, s5
	s_cbranch_execz .LBB182_2678
.LBB182_2698:
	v_cmp_ne_u16_e32 vcc_lo, 0, v2
	v_mov_b32_e32 v5, v2
	s_and_not1_b32 s4, s4, exec_lo
	s_and_b32 s6, vcc_lo, exec_lo
	s_delay_alu instid0(SALU_CYCLE_1)
	s_or_b32 s4, s4, s6
	s_or_b32 exec_lo, exec_lo, s5
	s_and_saveexec_b32 s5, s4
	s_cbranch_execnz .LBB182_2679
	s_branch .LBB182_2680
.LBB182_2699:
	s_mov_b32 s1, -1
.LBB182_2700:
                                        ; implicit-def: $vgpr5
.LBB182_2701:
	s_and_b32 vcc_lo, exec_lo, s4
	s_mov_b32 s4, 0
	s_cbranch_vccz .LBB182_2703
; %bb.2702:
	s_cmp_lg_u32 s0, 11
	s_mov_b32 s4, -1
	s_cselect_b32 s1, -1, 0
.LBB182_2703:
	s_delay_alu instid0(SALU_CYCLE_1)
	s_and_b32 vcc_lo, exec_lo, s1
	s_cbranch_vccnz .LBB182_3236
; %bb.2704:
	s_and_not1_b32 vcc_lo, exec_lo, s4
	s_cbranch_vccnz .LBB182_2706
.LBB182_2705:
	global_load_u8 v2, v[0:1], off
	s_mov_b32 s5, -1
	s_wait_loadcnt 0x0
	v_cmp_ne_u16_e32 vcc_lo, 0, v2
	v_cndmask_b32_e64 v5, 0, 0x3c00, vcc_lo
.LBB182_2706:
	s_mov_b32 s1, 0
.LBB182_2707:
	s_delay_alu instid0(SALU_CYCLE_1)
	s_and_b32 vcc_lo, exec_lo, s1
	s_cbranch_vccz .LBB182_2756
; %bb.2708:
	s_cmp_lt_i32 s0, 5
	s_cbranch_scc1 .LBB182_2713
; %bb.2709:
	s_cmp_lt_i32 s0, 8
	s_cbranch_scc1 .LBB182_2714
	;; [unrolled: 3-line block ×3, first 2 shown]
; %bb.2711:
	s_cmp_gt_i32 s0, 9
	s_cbranch_scc0 .LBB182_2716
; %bb.2712:
	global_load_b64 v[2:3], v[0:1], off
	s_mov_b32 s1, 0
	s_wait_loadcnt 0x0
	v_and_or_b32 v2, 0x1ff, v3, v2
	v_lshrrev_b32_e32 v5, 8, v3
	v_bfe_u32 v13, v3, 20, 11
	v_lshrrev_b32_e32 v3, 16, v3
	s_delay_alu instid0(VALU_DEP_4) | instskip(NEXT) | instid1(VALU_DEP_3)
	v_cmp_ne_u32_e32 vcc_lo, 0, v2
	v_sub_nc_u32_e32 v14, 0x3f1, v13
	v_add_nc_u32_e32 v13, 0xfffffc10, v13
	v_cndmask_b32_e64 v2, 0, 1, vcc_lo
	s_delay_alu instid0(VALU_DEP_1) | instskip(NEXT) | instid1(VALU_DEP_4)
	v_and_or_b32 v2, 0xffe, v5, v2
	v_med3_i32 v5, v14, 0, 13
	s_delay_alu instid0(VALU_DEP_2) | instskip(NEXT) | instid1(VALU_DEP_1)
	v_or_b32_e32 v14, 0x1000, v2
	v_lshrrev_b32_e32 v15, v5, v14
	s_delay_alu instid0(VALU_DEP_1) | instskip(NEXT) | instid1(VALU_DEP_1)
	v_lshlrev_b32_e32 v5, v5, v15
	v_cmp_ne_u32_e32 vcc_lo, v5, v14
	v_lshl_or_b32 v14, v13, 12, v2
	v_cndmask_b32_e64 v5, 0, 1, vcc_lo
	v_cmp_gt_i32_e32 vcc_lo, 1, v13
	s_delay_alu instid0(VALU_DEP_2) | instskip(NEXT) | instid1(VALU_DEP_1)
	v_or_b32_e32 v5, v15, v5
	v_cndmask_b32_e32 v5, v14, v5, vcc_lo
	s_delay_alu instid0(VALU_DEP_1) | instskip(NEXT) | instid1(VALU_DEP_1)
	v_dual_lshrrev_b32 v5, 2, v5 :: v_dual_bitop2_b32 v14, 7, v5 bitop3:0x40
	v_cmp_lt_i32_e32 vcc_lo, 5, v14
	v_cndmask_b32_e64 v15, 0, 1, vcc_lo
	v_cmp_eq_u32_e32 vcc_lo, 3, v14
	v_cndmask_b32_e64 v14, 0, 1, vcc_lo
	v_cmp_ne_u32_e32 vcc_lo, 0, v2
	s_delay_alu instid0(VALU_DEP_2) | instskip(SKIP_1) | instid1(VALU_DEP_1)
	v_or_b32_e32 v14, v14, v15
	v_mov_b32_e32 v15, 0x7e00
	v_dual_cndmask_b32 v2, 0x7c00, v15 :: v_dual_add_nc_u32 v5, v5, v14
	v_cmp_gt_i32_e32 vcc_lo, 31, v13
	s_delay_alu instid0(VALU_DEP_2) | instskip(SKIP_1) | instid1(VALU_DEP_2)
	v_cndmask_b32_e32 v5, 0x7c00, v5, vcc_lo
	v_cmp_eq_u32_e32 vcc_lo, 0x40f, v13
	v_cndmask_b32_e32 v2, v5, v2, vcc_lo
	s_delay_alu instid0(VALU_DEP_1)
	v_and_or_b32 v5, 0x8000, v3, v2
	s_branch .LBB182_2717
.LBB182_2713:
	s_mov_b32 s1, -1
                                        ; implicit-def: $vgpr5
	s_branch .LBB182_2735
.LBB182_2714:
	s_mov_b32 s1, -1
                                        ; implicit-def: $vgpr5
	s_branch .LBB182_2723
.LBB182_2715:
	s_mov_b32 s1, -1
                                        ; implicit-def: $vgpr5
	s_branch .LBB182_2720
.LBB182_2716:
	s_mov_b32 s1, -1
                                        ; implicit-def: $vgpr5
.LBB182_2717:
	s_delay_alu instid0(SALU_CYCLE_1)
	s_and_not1_b32 vcc_lo, exec_lo, s1
	s_cbranch_vccnz .LBB182_2719
; %bb.2718:
	global_load_b32 v2, v[0:1], off
	s_wait_loadcnt 0x0
	v_cvt_f16_f32_e32 v5, v2
.LBB182_2719:
	s_mov_b32 s1, 0
.LBB182_2720:
	s_delay_alu instid0(SALU_CYCLE_1)
	s_and_not1_b32 vcc_lo, exec_lo, s1
	s_cbranch_vccnz .LBB182_2722
; %bb.2721:
	global_load_b32 v5, v[0:1], off
.LBB182_2722:
	s_mov_b32 s1, 0
.LBB182_2723:
	s_delay_alu instid0(SALU_CYCLE_1)
	s_and_not1_b32 vcc_lo, exec_lo, s1
	s_cbranch_vccnz .LBB182_2734
; %bb.2724:
	s_cmp_lt_i32 s0, 6
	s_cbranch_scc1 .LBB182_2727
; %bb.2725:
	s_cmp_gt_i32 s0, 6
	s_cbranch_scc0 .LBB182_2728
; %bb.2726:
	global_load_b64 v[2:3], v[0:1], off
	s_mov_b32 s1, 0
	s_wait_loadcnt 0x0
	v_and_or_b32 v2, 0x1ff, v3, v2
	v_lshrrev_b32_e32 v5, 8, v3
	v_bfe_u32 v13, v3, 20, 11
	v_lshrrev_b32_e32 v3, 16, v3
	s_delay_alu instid0(VALU_DEP_4) | instskip(NEXT) | instid1(VALU_DEP_3)
	v_cmp_ne_u32_e32 vcc_lo, 0, v2
	v_sub_nc_u32_e32 v14, 0x3f1, v13
	v_add_nc_u32_e32 v13, 0xfffffc10, v13
	v_cndmask_b32_e64 v2, 0, 1, vcc_lo
	s_delay_alu instid0(VALU_DEP_1) | instskip(NEXT) | instid1(VALU_DEP_4)
	v_and_or_b32 v2, 0xffe, v5, v2
	v_med3_i32 v5, v14, 0, 13
	s_delay_alu instid0(VALU_DEP_2) | instskip(NEXT) | instid1(VALU_DEP_1)
	v_or_b32_e32 v14, 0x1000, v2
	v_lshrrev_b32_e32 v15, v5, v14
	s_delay_alu instid0(VALU_DEP_1) | instskip(NEXT) | instid1(VALU_DEP_1)
	v_lshlrev_b32_e32 v5, v5, v15
	v_cmp_ne_u32_e32 vcc_lo, v5, v14
	v_lshl_or_b32 v14, v13, 12, v2
	v_cndmask_b32_e64 v5, 0, 1, vcc_lo
	v_cmp_gt_i32_e32 vcc_lo, 1, v13
	s_delay_alu instid0(VALU_DEP_2) | instskip(NEXT) | instid1(VALU_DEP_1)
	v_or_b32_e32 v5, v15, v5
	v_cndmask_b32_e32 v5, v14, v5, vcc_lo
	s_delay_alu instid0(VALU_DEP_1) | instskip(NEXT) | instid1(VALU_DEP_1)
	v_dual_lshrrev_b32 v5, 2, v5 :: v_dual_bitop2_b32 v14, 7, v5 bitop3:0x40
	v_cmp_lt_i32_e32 vcc_lo, 5, v14
	v_cndmask_b32_e64 v15, 0, 1, vcc_lo
	v_cmp_eq_u32_e32 vcc_lo, 3, v14
	v_cndmask_b32_e64 v14, 0, 1, vcc_lo
	v_cmp_ne_u32_e32 vcc_lo, 0, v2
	s_delay_alu instid0(VALU_DEP_2) | instskip(SKIP_1) | instid1(VALU_DEP_1)
	v_or_b32_e32 v14, v14, v15
	v_mov_b32_e32 v15, 0x7e00
	v_dual_cndmask_b32 v2, 0x7c00, v15 :: v_dual_add_nc_u32 v5, v5, v14
	v_cmp_gt_i32_e32 vcc_lo, 31, v13
	s_delay_alu instid0(VALU_DEP_2) | instskip(SKIP_1) | instid1(VALU_DEP_2)
	v_cndmask_b32_e32 v5, 0x7c00, v5, vcc_lo
	v_cmp_eq_u32_e32 vcc_lo, 0x40f, v13
	v_cndmask_b32_e32 v2, v5, v2, vcc_lo
	s_delay_alu instid0(VALU_DEP_1)
	v_and_or_b32 v5, 0x8000, v3, v2
	s_branch .LBB182_2729
.LBB182_2727:
	s_mov_b32 s1, -1
                                        ; implicit-def: $vgpr5
	s_branch .LBB182_2732
.LBB182_2728:
	s_mov_b32 s1, -1
                                        ; implicit-def: $vgpr5
.LBB182_2729:
	s_delay_alu instid0(SALU_CYCLE_1)
	s_and_not1_b32 vcc_lo, exec_lo, s1
	s_cbranch_vccnz .LBB182_2731
; %bb.2730:
	global_load_b32 v2, v[0:1], off
	s_wait_loadcnt 0x0
	v_cvt_f16_f32_e32 v5, v2
.LBB182_2731:
	s_mov_b32 s1, 0
.LBB182_2732:
	s_delay_alu instid0(SALU_CYCLE_1)
	s_and_not1_b32 vcc_lo, exec_lo, s1
	s_cbranch_vccnz .LBB182_2734
; %bb.2733:
	s_wait_loadcnt 0x0
	global_load_u16 v5, v[0:1], off
.LBB182_2734:
	s_mov_b32 s1, 0
.LBB182_2735:
	s_delay_alu instid0(SALU_CYCLE_1)
	s_and_not1_b32 vcc_lo, exec_lo, s1
	s_cbranch_vccnz .LBB182_2755
; %bb.2736:
	s_cmp_lt_i32 s0, 2
	s_cbranch_scc1 .LBB182_2740
; %bb.2737:
	s_cmp_lt_i32 s0, 3
	s_cbranch_scc1 .LBB182_2741
; %bb.2738:
	s_cmp_gt_i32 s0, 3
	s_cbranch_scc0 .LBB182_2742
; %bb.2739:
	global_load_b64 v[2:3], v[0:1], off
	s_mov_b32 s1, 0
	s_wait_loadcnt 0x0
	v_xor_b32_e32 v5, v2, v3
	v_cls_i32_e32 v13, v3
	s_delay_alu instid0(VALU_DEP_2) | instskip(NEXT) | instid1(VALU_DEP_1)
	v_ashrrev_i32_e32 v5, 31, v5
	v_add_nc_u32_e32 v5, 32, v5
	s_delay_alu instid0(VALU_DEP_1) | instskip(NEXT) | instid1(VALU_DEP_1)
	v_add_min_u32_e64 v5, v13, -1, v5
	v_lshlrev_b64_e32 v[2:3], v5, v[2:3]
	s_delay_alu instid0(VALU_DEP_1) | instskip(NEXT) | instid1(VALU_DEP_1)
	v_min_u32_e32 v2, 1, v2
	v_dual_sub_nc_u32 v3, 32, v5 :: v_dual_bitop2_b32 v2, v3, v2 bitop3:0x54
	s_delay_alu instid0(VALU_DEP_1) | instskip(NEXT) | instid1(VALU_DEP_1)
	v_cvt_f32_i32_e32 v2, v2
	v_ldexp_f32 v2, v2, v3
	s_delay_alu instid0(VALU_DEP_1)
	v_cvt_f16_f32_e32 v5, v2
	s_branch .LBB182_2743
.LBB182_2740:
	s_mov_b32 s1, -1
                                        ; implicit-def: $vgpr5
	s_branch .LBB182_2749
.LBB182_2741:
	s_mov_b32 s1, -1
                                        ; implicit-def: $vgpr5
	s_branch .LBB182_2746
.LBB182_2742:
	s_mov_b32 s1, -1
                                        ; implicit-def: $vgpr5
.LBB182_2743:
	s_delay_alu instid0(SALU_CYCLE_1)
	s_and_not1_b32 vcc_lo, exec_lo, s1
	s_cbranch_vccnz .LBB182_2745
; %bb.2744:
	global_load_b32 v2, v[0:1], off
	s_wait_loadcnt 0x0
	v_cvt_f32_i32_e32 v2, v2
	s_delay_alu instid0(VALU_DEP_1)
	v_cvt_f16_f32_e32 v5, v2
.LBB182_2745:
	s_mov_b32 s1, 0
.LBB182_2746:
	s_delay_alu instid0(SALU_CYCLE_1)
	s_and_not1_b32 vcc_lo, exec_lo, s1
	s_cbranch_vccnz .LBB182_2748
; %bb.2747:
	global_load_u16 v2, v[0:1], off
	s_wait_loadcnt 0x0
	v_cvt_f16_i16_e32 v5, v2
.LBB182_2748:
	s_mov_b32 s1, 0
.LBB182_2749:
	s_delay_alu instid0(SALU_CYCLE_1)
	s_and_not1_b32 vcc_lo, exec_lo, s1
	s_cbranch_vccnz .LBB182_2755
; %bb.2750:
	s_cmp_gt_i32 s0, 0
	s_mov_b32 s0, 0
	s_cbranch_scc0 .LBB182_2752
; %bb.2751:
	global_load_i8 v2, v[0:1], off
	s_wait_loadcnt 0x0
	v_cvt_f16_i16_e32 v5, v2
	s_branch .LBB182_2753
.LBB182_2752:
	s_mov_b32 s0, -1
                                        ; implicit-def: $vgpr5
.LBB182_2753:
	s_delay_alu instid0(SALU_CYCLE_1)
	s_and_not1_b32 vcc_lo, exec_lo, s0
	s_cbranch_vccnz .LBB182_2755
; %bb.2754:
	global_load_u8 v0, v[0:1], off
	s_wait_loadcnt 0x0
	v_cvt_f16_u16_e32 v5, v0
.LBB182_2755:
	s_mov_b32 s5, -1
.LBB182_2756:
	s_delay_alu instid0(SALU_CYCLE_1)
	s_and_not1_b32 vcc_lo, exec_lo, s5
	s_cbranch_vccnz .LBB182_3190
; %bb.2757:
	s_wait_xcnt 0x0
	v_mul_lo_u32 v0, s11, v6
	s_wait_loadcnt 0x0
	v_mul_f16_e32 v6, s10, v7
	s_and_b32 s18, s12, 0xff
	s_delay_alu instid0(SALU_CYCLE_1) | instskip(NEXT) | instid1(VALU_DEP_2)
	s_cmp_lt_i32 s18, 11
	v_ashrrev_i32_e32 v1, 31, v0
	s_delay_alu instid0(VALU_DEP_1)
	v_add_nc_u64_e32 v[2:3], s[2:3], v[0:1]
	v_mul_f16_e32 v1, v6, v8
	s_cbranch_scc1 .LBB182_2835
; %bb.2758:
	s_and_b32 s1, 0xffff, s18
	s_mov_b32 s6, -1
	s_mov_b32 s4, 0
	s_cmp_gt_i32 s1, 25
	s_mov_b32 s5, 0
	s_mov_b32 s0, 0
	s_cbranch_scc0 .LBB182_2791
; %bb.2759:
	s_cmp_gt_i32 s1, 28
	s_cbranch_scc0 .LBB182_2774
; %bb.2760:
	s_cmp_gt_i32 s1, 43
	;; [unrolled: 3-line block ×3, first 2 shown]
	s_cbranch_scc0 .LBB182_2764
; %bb.2762:
	s_mov_b32 s0, -1
	s_mov_b32 s6, 0
	s_cmp_eq_u32 s1, 46
	s_cbranch_scc0 .LBB182_2764
; %bb.2763:
	v_cvt_f32_f16_e32 v6, v1
	v_cmp_o_f16_e32 vcc_lo, v1, v1
	s_mov_b32 s0, 0
	s_mov_b32 s5, -1
	s_delay_alu instid0(VALU_DEP_2) | instskip(NEXT) | instid1(VALU_DEP_1)
	v_bfe_u32 v7, v6, 16, 1
	v_add3_u32 v6, v6, v7, 0x7fff
	s_delay_alu instid0(VALU_DEP_1) | instskip(NEXT) | instid1(VALU_DEP_1)
	v_lshrrev_b32_e32 v6, 16, v6
	v_cndmask_b32_e32 v6, 0x7fc0, v6, vcc_lo
	global_store_b32 v[2:3], v6, off
.LBB182_2764:
	s_and_b32 vcc_lo, exec_lo, s6
	s_cbranch_vccz .LBB182_2769
; %bb.2765:
	s_cmp_eq_u32 s1, 44
	s_mov_b32 s0, -1
	s_cbranch_scc0 .LBB182_2769
; %bb.2766:
	s_wait_xcnt 0x0
	v_cvt_f32_f16_e32 v6, v1
	v_mov_b32_e32 v7, 0xff
	s_mov_b32 s5, exec_lo
	s_delay_alu instid0(VALU_DEP_2) | instskip(NEXT) | instid1(VALU_DEP_1)
	v_bfe_u32 v8, v6, 23, 8
	v_cmpx_ne_u32_e32 0xff, v8
	s_cbranch_execz .LBB182_2768
; %bb.2767:
	v_and_b32_e32 v7, 0x400000, v6
	v_and_or_b32 v8, 0x3fffff, v6, v8
	v_lshrrev_b32_e32 v6, 23, v6
	s_delay_alu instid0(VALU_DEP_3) | instskip(NEXT) | instid1(VALU_DEP_3)
	v_cmp_ne_u32_e32 vcc_lo, 0, v7
	v_cmp_ne_u32_e64 s0, 0, v8
	s_and_b32 s0, vcc_lo, s0
	s_delay_alu instid0(SALU_CYCLE_1) | instskip(NEXT) | instid1(VALU_DEP_1)
	v_cndmask_b32_e64 v7, 0, 1, s0
	v_add_nc_u32_e32 v7, v6, v7
.LBB182_2768:
	s_or_b32 exec_lo, exec_lo, s5
	s_mov_b32 s0, 0
	s_mov_b32 s5, -1
	global_store_b8 v[2:3], v7, off
.LBB182_2769:
	s_mov_b32 s6, 0
.LBB182_2770:
	s_delay_alu instid0(SALU_CYCLE_1)
	s_and_b32 vcc_lo, exec_lo, s6
	s_cbranch_vccz .LBB182_2773
; %bb.2771:
	s_cmp_eq_u32 s1, 29
	s_mov_b32 s0, -1
	s_cbranch_scc0 .LBB182_2773
; %bb.2772:
	s_wait_xcnt 0x0
	v_cvt_f32_f16_e32 v6, v1
	v_mov_b32_e32 v7, 0
	s_mov_b32 s0, 0
	s_mov_b32 s5, -1
	s_delay_alu instid0(VALU_DEP_2)
	v_cvt_u32_f32_e32 v6, v6
	global_store_b64 v[2:3], v[6:7], off
.LBB182_2773:
	s_mov_b32 s6, 0
.LBB182_2774:
	s_delay_alu instid0(SALU_CYCLE_1)
	s_and_b32 vcc_lo, exec_lo, s6
	s_cbranch_vccz .LBB182_2790
; %bb.2775:
	s_cmp_lt_i32 s1, 27
	s_mov_b32 s5, -1
	s_cbranch_scc1 .LBB182_2781
; %bb.2776:
	s_cmp_gt_i32 s1, 27
	s_cbranch_scc0 .LBB182_2778
; %bb.2777:
	s_wait_xcnt 0x0
	v_cvt_f32_f16_e32 v6, v1
	s_mov_b32 s5, 0
	s_delay_alu instid0(VALU_DEP_1)
	v_cvt_u32_f32_e32 v6, v6
	global_store_b32 v[2:3], v6, off
.LBB182_2778:
	s_and_not1_b32 vcc_lo, exec_lo, s5
	s_cbranch_vccnz .LBB182_2780
; %bb.2779:
	s_wait_xcnt 0x0
	v_cvt_u16_f16_e32 v6, v1
	global_store_b16 v[2:3], v6, off
.LBB182_2780:
	s_mov_b32 s5, 0
.LBB182_2781:
	s_delay_alu instid0(SALU_CYCLE_1)
	s_and_not1_b32 vcc_lo, exec_lo, s5
	s_cbranch_vccnz .LBB182_2789
; %bb.2782:
	s_wait_xcnt 0x0
	v_cvt_f32_f16_e32 v6, v1
	v_mov_b32_e32 v8, 0x80
	s_mov_b32 s5, exec_lo
	s_delay_alu instid0(VALU_DEP_2) | instskip(NEXT) | instid1(VALU_DEP_1)
	v_and_b32_e32 v7, 0x7fffffff, v6
	v_cmpx_gt_u32_e32 0x43800000, v7
	s_cbranch_execz .LBB182_2788
; %bb.2783:
	v_cmp_lt_u32_e32 vcc_lo, 0x3bffffff, v7
	s_mov_b32 s6, 0
                                        ; implicit-def: $vgpr7
	s_and_saveexec_b32 s7, vcc_lo
	s_delay_alu instid0(SALU_CYCLE_1)
	s_xor_b32 s7, exec_lo, s7
	s_cbranch_execz .LBB182_3237
; %bb.2784:
	v_bfe_u32 v7, v6, 20, 1
	s_mov_b32 s6, exec_lo
	s_delay_alu instid0(VALU_DEP_1) | instskip(NEXT) | instid1(VALU_DEP_1)
	v_add3_u32 v7, v6, v7, 0x487ffff
	v_lshrrev_b32_e32 v7, 20, v7
	s_and_not1_saveexec_b32 s7, s7
	s_cbranch_execnz .LBB182_3238
.LBB182_2785:
	s_or_b32 exec_lo, exec_lo, s7
	v_mov_b32_e32 v8, 0
	s_and_saveexec_b32 s7, s6
.LBB182_2786:
	v_lshrrev_b32_e32 v6, 24, v6
	s_delay_alu instid0(VALU_DEP_1)
	v_and_or_b32 v8, 0x80, v6, v7
.LBB182_2787:
	s_or_b32 exec_lo, exec_lo, s7
.LBB182_2788:
	s_delay_alu instid0(SALU_CYCLE_1)
	s_or_b32 exec_lo, exec_lo, s5
	global_store_b8 v[2:3], v8, off
.LBB182_2789:
	s_mov_b32 s5, -1
.LBB182_2790:
	s_mov_b32 s6, 0
.LBB182_2791:
	s_delay_alu instid0(SALU_CYCLE_1)
	s_and_b32 vcc_lo, exec_lo, s6
	s_cbranch_vccz .LBB182_2831
; %bb.2792:
	s_cmp_gt_i32 s1, 22
	s_mov_b32 s4, -1
	s_cbranch_scc0 .LBB182_2824
; %bb.2793:
	s_cmp_lt_i32 s1, 24
	s_cbranch_scc1 .LBB182_2813
; %bb.2794:
	s_cmp_gt_i32 s1, 24
	s_cbranch_scc0 .LBB182_2802
; %bb.2795:
	s_wait_xcnt 0x0
	v_cvt_f32_f16_e32 v6, v1
	v_mov_b32_e32 v8, 0x80
	s_mov_b32 s4, exec_lo
	s_delay_alu instid0(VALU_DEP_2) | instskip(NEXT) | instid1(VALU_DEP_1)
	v_and_b32_e32 v7, 0x7fffffff, v6
	v_cmpx_gt_u32_e32 0x47800000, v7
	s_cbranch_execz .LBB182_2801
; %bb.2796:
	v_cmp_lt_u32_e32 vcc_lo, 0x37ffffff, v7
	s_mov_b32 s5, 0
                                        ; implicit-def: $vgpr7
	s_and_saveexec_b32 s6, vcc_lo
	s_delay_alu instid0(SALU_CYCLE_1)
	s_xor_b32 s6, exec_lo, s6
	s_cbranch_execz .LBB182_3240
; %bb.2797:
	v_bfe_u32 v7, v6, 21, 1
	s_mov_b32 s5, exec_lo
	s_delay_alu instid0(VALU_DEP_1) | instskip(NEXT) | instid1(VALU_DEP_1)
	v_add3_u32 v7, v6, v7, 0x88fffff
	v_lshrrev_b32_e32 v7, 21, v7
	s_and_not1_saveexec_b32 s6, s6
	s_cbranch_execnz .LBB182_3241
.LBB182_2798:
	s_or_b32 exec_lo, exec_lo, s6
	v_mov_b32_e32 v8, 0
	s_and_saveexec_b32 s6, s5
.LBB182_2799:
	v_lshrrev_b32_e32 v6, 24, v6
	s_delay_alu instid0(VALU_DEP_1)
	v_and_or_b32 v8, 0x80, v6, v7
.LBB182_2800:
	s_or_b32 exec_lo, exec_lo, s6
.LBB182_2801:
	s_delay_alu instid0(SALU_CYCLE_1)
	s_or_b32 exec_lo, exec_lo, s4
	s_mov_b32 s4, 0
	global_store_b8 v[2:3], v8, off
.LBB182_2802:
	s_and_b32 vcc_lo, exec_lo, s4
	s_cbranch_vccz .LBB182_2812
; %bb.2803:
	s_wait_xcnt 0x0
	v_cvt_f32_f16_e32 v6, v1
	s_mov_b32 s4, exec_lo
                                        ; implicit-def: $vgpr7
	s_delay_alu instid0(VALU_DEP_1) | instskip(NEXT) | instid1(VALU_DEP_1)
	v_and_b32_e32 v8, 0x7fffffff, v6
	v_cmpx_gt_u32_e32 0x43f00000, v8
	s_xor_b32 s4, exec_lo, s4
	s_cbranch_execz .LBB182_2809
; %bb.2804:
	s_mov_b32 s5, exec_lo
                                        ; implicit-def: $vgpr7
	v_cmpx_lt_u32_e32 0x3c7fffff, v8
	s_xor_b32 s5, exec_lo, s5
; %bb.2805:
	v_bfe_u32 v7, v6, 20, 1
	s_delay_alu instid0(VALU_DEP_1) | instskip(NEXT) | instid1(VALU_DEP_1)
	v_add3_u32 v7, v6, v7, 0x407ffff
	v_and_b32_e32 v8, 0xff00000, v7
	v_lshrrev_b32_e32 v7, 20, v7
	s_delay_alu instid0(VALU_DEP_2) | instskip(NEXT) | instid1(VALU_DEP_2)
	v_cmp_ne_u32_e32 vcc_lo, 0x7f00000, v8
	v_cndmask_b32_e32 v7, 0x7e, v7, vcc_lo
; %bb.2806:
	s_and_not1_saveexec_b32 s5, s5
; %bb.2807:
	v_add_f32_e64 v7, 0x46800000, |v6|
; %bb.2808:
	s_or_b32 exec_lo, exec_lo, s5
                                        ; implicit-def: $vgpr8
.LBB182_2809:
	s_and_not1_saveexec_b32 s4, s4
; %bb.2810:
	v_mov_b32_e32 v7, 0x7f
	v_cmp_lt_u32_e32 vcc_lo, 0x7f800000, v8
	s_delay_alu instid0(VALU_DEP_2)
	v_cndmask_b32_e32 v7, 0x7e, v7, vcc_lo
; %bb.2811:
	s_or_b32 exec_lo, exec_lo, s4
	v_lshrrev_b32_e32 v6, 24, v6
	s_delay_alu instid0(VALU_DEP_1)
	v_and_or_b32 v6, 0x80, v6, v7
	global_store_b8 v[2:3], v6, off
.LBB182_2812:
	s_mov_b32 s4, 0
.LBB182_2813:
	s_delay_alu instid0(SALU_CYCLE_1)
	s_and_not1_b32 vcc_lo, exec_lo, s4
	s_cbranch_vccnz .LBB182_2823
; %bb.2814:
	s_wait_xcnt 0x0
	v_cvt_f32_f16_e32 v6, v1
	s_mov_b32 s4, exec_lo
                                        ; implicit-def: $vgpr7
	s_delay_alu instid0(VALU_DEP_1) | instskip(NEXT) | instid1(VALU_DEP_1)
	v_and_b32_e32 v8, 0x7fffffff, v6
	v_cmpx_gt_u32_e32 0x47800000, v8
	s_xor_b32 s4, exec_lo, s4
	s_cbranch_execz .LBB182_2820
; %bb.2815:
	s_mov_b32 s5, exec_lo
                                        ; implicit-def: $vgpr7
	v_cmpx_lt_u32_e32 0x387fffff, v8
	s_xor_b32 s5, exec_lo, s5
; %bb.2816:
	v_bfe_u32 v7, v6, 21, 1
	s_delay_alu instid0(VALU_DEP_1) | instskip(NEXT) | instid1(VALU_DEP_1)
	v_add3_u32 v7, v6, v7, 0x80fffff
	v_lshrrev_b32_e32 v7, 21, v7
; %bb.2817:
	s_and_not1_saveexec_b32 s5, s5
; %bb.2818:
	v_add_f32_e64 v7, 0x43000000, |v6|
; %bb.2819:
	s_or_b32 exec_lo, exec_lo, s5
                                        ; implicit-def: $vgpr8
.LBB182_2820:
	s_and_not1_saveexec_b32 s4, s4
; %bb.2821:
	v_mov_b32_e32 v7, 0x7f
	v_cmp_lt_u32_e32 vcc_lo, 0x7f800000, v8
	s_delay_alu instid0(VALU_DEP_2)
	v_cndmask_b32_e32 v7, 0x7c, v7, vcc_lo
; %bb.2822:
	s_or_b32 exec_lo, exec_lo, s4
	v_lshrrev_b32_e32 v6, 24, v6
	s_delay_alu instid0(VALU_DEP_1)
	v_and_or_b32 v6, 0x80, v6, v7
	global_store_b8 v[2:3], v6, off
.LBB182_2823:
	s_mov_b32 s4, 0
	s_mov_b32 s5, -1
.LBB182_2824:
	s_and_not1_b32 vcc_lo, exec_lo, s4
	s_mov_b32 s4, 0
	s_cbranch_vccnz .LBB182_2831
; %bb.2825:
	s_cmp_gt_i32 s1, 14
	s_mov_b32 s4, -1
	s_cbranch_scc0 .LBB182_2829
; %bb.2826:
	s_cmp_eq_u32 s1, 15
	s_mov_b32 s0, -1
	s_cbranch_scc0 .LBB182_2828
; %bb.2827:
	s_wait_xcnt 0x0
	v_cvt_f32_f16_e32 v6, v1
	v_cmp_o_f16_e32 vcc_lo, v1, v1
	s_mov_b32 s0, 0
	s_mov_b32 s5, -1
	s_delay_alu instid0(VALU_DEP_2) | instskip(NEXT) | instid1(VALU_DEP_1)
	v_bfe_u32 v7, v6, 16, 1
	v_add3_u32 v6, v6, v7, 0x7fff
	s_delay_alu instid0(VALU_DEP_1) | instskip(NEXT) | instid1(VALU_DEP_1)
	v_lshrrev_b32_e32 v6, 16, v6
	v_cndmask_b32_e32 v6, 0x7fc0, v6, vcc_lo
	global_store_b16 v[2:3], v6, off
.LBB182_2828:
	s_mov_b32 s4, 0
.LBB182_2829:
	s_delay_alu instid0(SALU_CYCLE_1)
	s_and_b32 vcc_lo, exec_lo, s4
	s_mov_b32 s4, 0
	s_cbranch_vccz .LBB182_2831
; %bb.2830:
	s_cmp_lg_u32 s1, 11
	s_mov_b32 s4, -1
	s_cselect_b32 s0, -1, 0
.LBB182_2831:
	s_delay_alu instid0(SALU_CYCLE_1)
	s_and_b32 vcc_lo, exec_lo, s0
	s_cbranch_vccnz .LBB182_3239
; %bb.2832:
	s_and_not1_b32 vcc_lo, exec_lo, s4
	s_cbranch_vccnz .LBB182_2834
.LBB182_2833:
	v_cmp_neq_f16_e32 vcc_lo, 0, v1
	s_mov_b32 s5, -1
	s_wait_xcnt 0x0
	v_cndmask_b32_e64 v6, 0, 1, vcc_lo
	global_store_b8 v[2:3], v6, off
.LBB182_2834:
	s_mov_b32 s0, 0
	s_branch .LBB182_2836
.LBB182_2835:
	s_mov_b32 s0, -1
	s_mov_b32 s5, 0
.LBB182_2836:
	s_and_b32 vcc_lo, exec_lo, s0
	s_cbranch_vccz .LBB182_2875
; %bb.2837:
	s_and_b32 s0, 0xffff, s18
	s_mov_b32 s1, -1
	s_cmp_lt_i32 s0, 5
	s_cbranch_scc1 .LBB182_2858
; %bb.2838:
	s_cmp_lt_i32 s0, 8
	s_cbranch_scc1 .LBB182_2848
; %bb.2839:
	;; [unrolled: 3-line block ×3, first 2 shown]
	s_cmp_gt_i32 s0, 9
	s_cbranch_scc0 .LBB182_2842
; %bb.2841:
	s_wait_xcnt 0x0
	v_cvt_f32_f16_e32 v6, v1
	v_mov_b32_e32 v16, 0
	s_mov_b32 s1, 0
	s_delay_alu instid0(VALU_DEP_2) | instskip(NEXT) | instid1(VALU_DEP_2)
	v_cvt_f64_f32_e32 v[14:15], v6
	v_mov_b32_e32 v17, v16
	global_store_b128 v[2:3], v[14:17], off
.LBB182_2842:
	s_and_not1_b32 vcc_lo, exec_lo, s1
	s_cbranch_vccnz .LBB182_2844
; %bb.2843:
	s_wait_xcnt 0x0
	v_cvt_f32_f16_e32 v6, v1
	v_mov_b32_e32 v7, 0
	global_store_b64 v[2:3], v[6:7], off
.LBB182_2844:
	s_mov_b32 s1, 0
.LBB182_2845:
	s_delay_alu instid0(SALU_CYCLE_1)
	s_and_not1_b32 vcc_lo, exec_lo, s1
	s_cbranch_vccnz .LBB182_2847
; %bb.2846:
	s_wait_xcnt 0x0
	v_and_b32_e32 v6, 0xffff, v1
	global_store_b32 v[2:3], v6, off
.LBB182_2847:
	s_mov_b32 s1, 0
.LBB182_2848:
	s_delay_alu instid0(SALU_CYCLE_1)
	s_and_not1_b32 vcc_lo, exec_lo, s1
	s_cbranch_vccnz .LBB182_2857
; %bb.2849:
	s_cmp_lt_i32 s0, 6
	s_mov_b32 s1, -1
	s_cbranch_scc1 .LBB182_2855
; %bb.2850:
	s_cmp_gt_i32 s0, 6
	s_cbranch_scc0 .LBB182_2852
; %bb.2851:
	s_wait_xcnt 0x0
	v_cvt_f32_f16_e32 v6, v1
	s_mov_b32 s1, 0
	s_delay_alu instid0(VALU_DEP_1)
	v_cvt_f64_f32_e32 v[6:7], v6
	global_store_b64 v[2:3], v[6:7], off
.LBB182_2852:
	s_and_not1_b32 vcc_lo, exec_lo, s1
	s_cbranch_vccnz .LBB182_2854
; %bb.2853:
	s_wait_xcnt 0x0
	v_cvt_f32_f16_e32 v6, v1
	global_store_b32 v[2:3], v6, off
.LBB182_2854:
	s_mov_b32 s1, 0
.LBB182_2855:
	s_delay_alu instid0(SALU_CYCLE_1)
	s_and_not1_b32 vcc_lo, exec_lo, s1
	s_cbranch_vccnz .LBB182_2857
; %bb.2856:
	global_store_b16 v[2:3], v1, off
.LBB182_2857:
	s_mov_b32 s1, 0
.LBB182_2858:
	s_delay_alu instid0(SALU_CYCLE_1)
	s_and_not1_b32 vcc_lo, exec_lo, s1
	s_cbranch_vccnz .LBB182_2874
; %bb.2859:
	s_cmp_lt_i32 s0, 2
	s_mov_b32 s1, -1
	s_cbranch_scc1 .LBB182_2869
; %bb.2860:
	s_cmp_lt_i32 s0, 3
	s_cbranch_scc1 .LBB182_2866
; %bb.2861:
	s_cmp_gt_i32 s0, 3
	s_cbranch_scc0 .LBB182_2863
; %bb.2862:
	s_wait_xcnt 0x0
	v_cvt_f32_f16_e32 v6, v1
	s_mov_b32 s1, 0
	s_delay_alu instid0(VALU_DEP_1) | instskip(NEXT) | instid1(VALU_DEP_1)
	v_cvt_i32_f32_e32 v6, v6
	v_ashrrev_i32_e32 v7, 31, v6
	global_store_b64 v[2:3], v[6:7], off
.LBB182_2863:
	s_and_not1_b32 vcc_lo, exec_lo, s1
	s_cbranch_vccnz .LBB182_2865
; %bb.2864:
	s_wait_xcnt 0x0
	v_cvt_f32_f16_e32 v6, v1
	s_delay_alu instid0(VALU_DEP_1)
	v_cvt_i32_f32_e32 v6, v6
	global_store_b32 v[2:3], v6, off
.LBB182_2865:
	s_mov_b32 s1, 0
.LBB182_2866:
	s_delay_alu instid0(SALU_CYCLE_1)
	s_and_not1_b32 vcc_lo, exec_lo, s1
	s_cbranch_vccnz .LBB182_2868
; %bb.2867:
	s_wait_xcnt 0x0
	v_cvt_i16_f16_e32 v6, v1
	global_store_b16 v[2:3], v6, off
.LBB182_2868:
	s_mov_b32 s1, 0
.LBB182_2869:
	s_delay_alu instid0(SALU_CYCLE_1)
	s_and_not1_b32 vcc_lo, exec_lo, s1
	s_cbranch_vccnz .LBB182_2874
; %bb.2870:
	s_cmp_gt_i32 s0, 0
	s_mov_b32 s0, -1
	s_cbranch_scc0 .LBB182_2872
; %bb.2871:
	s_wait_xcnt 0x0
	v_cvt_i16_f16_e32 v6, v1
	s_mov_b32 s0, 0
	global_store_b8 v[2:3], v6, off
.LBB182_2872:
	s_and_not1_b32 vcc_lo, exec_lo, s0
	s_cbranch_vccnz .LBB182_2874
; %bb.2873:
	s_wait_xcnt 0x0
	v_cvt_f32_f16_e32 v1, v1
	s_delay_alu instid0(VALU_DEP_1)
	v_cvt_i32_f32_e32 v1, v1
	global_store_b8 v[2:3], v1, off
.LBB182_2874:
	s_mov_b32 s5, -1
.LBB182_2875:
	s_delay_alu instid0(SALU_CYCLE_1)
	s_and_not1_b32 vcc_lo, exec_lo, s5
	s_cbranch_vccnz .LBB182_3190
; %bb.2876:
	s_lshl_b32 s1, s11, 7
	s_wait_xcnt 0x0
	v_mul_f16_e32 v6, s10, v9
	v_add_nc_u32_e32 v0, s1, v0
	s_cmp_lt_i32 s18, 11
	s_delay_alu instid0(VALU_DEP_1) | instskip(NEXT) | instid1(VALU_DEP_1)
	v_ashrrev_i32_e32 v1, 31, v0
	v_add_nc_u64_e32 v[2:3], s[2:3], v[0:1]
	v_mul_f16_e32 v1, v6, v10
	s_cbranch_scc1 .LBB182_2954
; %bb.2877:
	s_and_b32 s4, 0xffff, s18
	s_mov_b32 s7, -1
	s_mov_b32 s5, 0
	s_cmp_gt_i32 s4, 25
	s_mov_b32 s6, 0
	s_mov_b32 s0, 0
	s_cbranch_scc0 .LBB182_2910
; %bb.2878:
	s_cmp_gt_i32 s4, 28
	s_cbranch_scc0 .LBB182_2893
; %bb.2879:
	s_cmp_gt_i32 s4, 43
	;; [unrolled: 3-line block ×3, first 2 shown]
	s_cbranch_scc0 .LBB182_2883
; %bb.2881:
	s_mov_b32 s0, -1
	s_mov_b32 s7, 0
	s_cmp_eq_u32 s4, 46
	s_cbranch_scc0 .LBB182_2883
; %bb.2882:
	v_cvt_f32_f16_e32 v6, v1
	v_cmp_o_f16_e32 vcc_lo, v1, v1
	s_mov_b32 s0, 0
	s_mov_b32 s6, -1
	s_delay_alu instid0(VALU_DEP_2) | instskip(NEXT) | instid1(VALU_DEP_1)
	v_bfe_u32 v7, v6, 16, 1
	v_add3_u32 v6, v6, v7, 0x7fff
	s_delay_alu instid0(VALU_DEP_1) | instskip(NEXT) | instid1(VALU_DEP_1)
	v_lshrrev_b32_e32 v6, 16, v6
	v_cndmask_b32_e32 v6, 0x7fc0, v6, vcc_lo
	global_store_b32 v[2:3], v6, off
.LBB182_2883:
	s_and_b32 vcc_lo, exec_lo, s7
	s_cbranch_vccz .LBB182_2888
; %bb.2884:
	s_cmp_eq_u32 s4, 44
	s_mov_b32 s0, -1
	s_cbranch_scc0 .LBB182_2888
; %bb.2885:
	s_wait_xcnt 0x0
	v_cvt_f32_f16_e32 v6, v1
	v_mov_b32_e32 v7, 0xff
	s_mov_b32 s6, exec_lo
	s_delay_alu instid0(VALU_DEP_2) | instskip(NEXT) | instid1(VALU_DEP_1)
	v_bfe_u32 v8, v6, 23, 8
	v_cmpx_ne_u32_e32 0xff, v8
	s_cbranch_execz .LBB182_2887
; %bb.2886:
	v_and_b32_e32 v7, 0x400000, v6
	v_and_or_b32 v8, 0x3fffff, v6, v8
	v_lshrrev_b32_e32 v6, 23, v6
	s_delay_alu instid0(VALU_DEP_3) | instskip(NEXT) | instid1(VALU_DEP_3)
	v_cmp_ne_u32_e32 vcc_lo, 0, v7
	v_cmp_ne_u32_e64 s0, 0, v8
	s_and_b32 s0, vcc_lo, s0
	s_delay_alu instid0(SALU_CYCLE_1) | instskip(NEXT) | instid1(VALU_DEP_1)
	v_cndmask_b32_e64 v7, 0, 1, s0
	v_add_nc_u32_e32 v7, v6, v7
.LBB182_2887:
	s_or_b32 exec_lo, exec_lo, s6
	s_mov_b32 s0, 0
	s_mov_b32 s6, -1
	global_store_b8 v[2:3], v7, off
.LBB182_2888:
	s_mov_b32 s7, 0
.LBB182_2889:
	s_delay_alu instid0(SALU_CYCLE_1)
	s_and_b32 vcc_lo, exec_lo, s7
	s_cbranch_vccz .LBB182_2892
; %bb.2890:
	s_cmp_eq_u32 s4, 29
	s_mov_b32 s0, -1
	s_cbranch_scc0 .LBB182_2892
; %bb.2891:
	s_wait_xcnt 0x0
	v_cvt_f32_f16_e32 v6, v1
	v_mov_b32_e32 v7, 0
	s_mov_b32 s0, 0
	s_mov_b32 s6, -1
	s_delay_alu instid0(VALU_DEP_2)
	v_cvt_u32_f32_e32 v6, v6
	global_store_b64 v[2:3], v[6:7], off
.LBB182_2892:
	s_mov_b32 s7, 0
.LBB182_2893:
	s_delay_alu instid0(SALU_CYCLE_1)
	s_and_b32 vcc_lo, exec_lo, s7
	s_cbranch_vccz .LBB182_2909
; %bb.2894:
	s_cmp_lt_i32 s4, 27
	s_mov_b32 s6, -1
	s_cbranch_scc1 .LBB182_2900
; %bb.2895:
	s_cmp_gt_i32 s4, 27
	s_cbranch_scc0 .LBB182_2897
; %bb.2896:
	s_wait_xcnt 0x0
	v_cvt_f32_f16_e32 v6, v1
	s_mov_b32 s6, 0
	s_delay_alu instid0(VALU_DEP_1)
	v_cvt_u32_f32_e32 v6, v6
	global_store_b32 v[2:3], v6, off
.LBB182_2897:
	s_and_not1_b32 vcc_lo, exec_lo, s6
	s_cbranch_vccnz .LBB182_2899
; %bb.2898:
	s_wait_xcnt 0x0
	v_cvt_u16_f16_e32 v6, v1
	global_store_b16 v[2:3], v6, off
.LBB182_2899:
	s_mov_b32 s6, 0
.LBB182_2900:
	s_delay_alu instid0(SALU_CYCLE_1)
	s_and_not1_b32 vcc_lo, exec_lo, s6
	s_cbranch_vccnz .LBB182_2908
; %bb.2901:
	s_wait_xcnt 0x0
	v_cvt_f32_f16_e32 v6, v1
	v_mov_b32_e32 v8, 0x80
	s_mov_b32 s6, exec_lo
	s_delay_alu instid0(VALU_DEP_2) | instskip(NEXT) | instid1(VALU_DEP_1)
	v_and_b32_e32 v7, 0x7fffffff, v6
	v_cmpx_gt_u32_e32 0x43800000, v7
	s_cbranch_execz .LBB182_2907
; %bb.2902:
	v_cmp_lt_u32_e32 vcc_lo, 0x3bffffff, v7
	s_mov_b32 s7, 0
                                        ; implicit-def: $vgpr7
	s_and_saveexec_b32 s8, vcc_lo
	s_delay_alu instid0(SALU_CYCLE_1)
	s_xor_b32 s8, exec_lo, s8
	s_cbranch_execz .LBB182_3242
; %bb.2903:
	v_bfe_u32 v7, v6, 20, 1
	s_mov_b32 s7, exec_lo
	s_delay_alu instid0(VALU_DEP_1) | instskip(NEXT) | instid1(VALU_DEP_1)
	v_add3_u32 v7, v6, v7, 0x487ffff
	v_lshrrev_b32_e32 v7, 20, v7
	s_and_not1_saveexec_b32 s8, s8
	s_cbranch_execnz .LBB182_3243
.LBB182_2904:
	s_or_b32 exec_lo, exec_lo, s8
	v_mov_b32_e32 v8, 0
	s_and_saveexec_b32 s8, s7
.LBB182_2905:
	v_lshrrev_b32_e32 v6, 24, v6
	s_delay_alu instid0(VALU_DEP_1)
	v_and_or_b32 v8, 0x80, v6, v7
.LBB182_2906:
	s_or_b32 exec_lo, exec_lo, s8
.LBB182_2907:
	s_delay_alu instid0(SALU_CYCLE_1)
	s_or_b32 exec_lo, exec_lo, s6
	global_store_b8 v[2:3], v8, off
.LBB182_2908:
	s_mov_b32 s6, -1
.LBB182_2909:
	s_mov_b32 s7, 0
.LBB182_2910:
	s_delay_alu instid0(SALU_CYCLE_1)
	s_and_b32 vcc_lo, exec_lo, s7
	s_cbranch_vccz .LBB182_2950
; %bb.2911:
	s_cmp_gt_i32 s4, 22
	s_mov_b32 s5, -1
	s_cbranch_scc0 .LBB182_2943
; %bb.2912:
	s_cmp_lt_i32 s4, 24
	s_cbranch_scc1 .LBB182_2932
; %bb.2913:
	s_cmp_gt_i32 s4, 24
	s_cbranch_scc0 .LBB182_2921
; %bb.2914:
	s_wait_xcnt 0x0
	v_cvt_f32_f16_e32 v6, v1
	v_mov_b32_e32 v8, 0x80
	s_mov_b32 s5, exec_lo
	s_delay_alu instid0(VALU_DEP_2) | instskip(NEXT) | instid1(VALU_DEP_1)
	v_and_b32_e32 v7, 0x7fffffff, v6
	v_cmpx_gt_u32_e32 0x47800000, v7
	s_cbranch_execz .LBB182_2920
; %bb.2915:
	v_cmp_lt_u32_e32 vcc_lo, 0x37ffffff, v7
	s_mov_b32 s6, 0
                                        ; implicit-def: $vgpr7
	s_and_saveexec_b32 s7, vcc_lo
	s_delay_alu instid0(SALU_CYCLE_1)
	s_xor_b32 s7, exec_lo, s7
	s_cbranch_execz .LBB182_3245
; %bb.2916:
	v_bfe_u32 v7, v6, 21, 1
	s_mov_b32 s6, exec_lo
	s_delay_alu instid0(VALU_DEP_1) | instskip(NEXT) | instid1(VALU_DEP_1)
	v_add3_u32 v7, v6, v7, 0x88fffff
	v_lshrrev_b32_e32 v7, 21, v7
	s_and_not1_saveexec_b32 s7, s7
	s_cbranch_execnz .LBB182_3246
.LBB182_2917:
	s_or_b32 exec_lo, exec_lo, s7
	v_mov_b32_e32 v8, 0
	s_and_saveexec_b32 s7, s6
.LBB182_2918:
	v_lshrrev_b32_e32 v6, 24, v6
	s_delay_alu instid0(VALU_DEP_1)
	v_and_or_b32 v8, 0x80, v6, v7
.LBB182_2919:
	s_or_b32 exec_lo, exec_lo, s7
.LBB182_2920:
	s_delay_alu instid0(SALU_CYCLE_1)
	s_or_b32 exec_lo, exec_lo, s5
	s_mov_b32 s5, 0
	global_store_b8 v[2:3], v8, off
.LBB182_2921:
	s_and_b32 vcc_lo, exec_lo, s5
	s_cbranch_vccz .LBB182_2931
; %bb.2922:
	s_wait_xcnt 0x0
	v_cvt_f32_f16_e32 v6, v1
	s_mov_b32 s5, exec_lo
                                        ; implicit-def: $vgpr7
	s_delay_alu instid0(VALU_DEP_1) | instskip(NEXT) | instid1(VALU_DEP_1)
	v_and_b32_e32 v8, 0x7fffffff, v6
	v_cmpx_gt_u32_e32 0x43f00000, v8
	s_xor_b32 s5, exec_lo, s5
	s_cbranch_execz .LBB182_2928
; %bb.2923:
	s_mov_b32 s6, exec_lo
                                        ; implicit-def: $vgpr7
	v_cmpx_lt_u32_e32 0x3c7fffff, v8
	s_xor_b32 s6, exec_lo, s6
; %bb.2924:
	v_bfe_u32 v7, v6, 20, 1
	s_delay_alu instid0(VALU_DEP_1) | instskip(NEXT) | instid1(VALU_DEP_1)
	v_add3_u32 v7, v6, v7, 0x407ffff
	v_and_b32_e32 v8, 0xff00000, v7
	v_lshrrev_b32_e32 v7, 20, v7
	s_delay_alu instid0(VALU_DEP_2) | instskip(NEXT) | instid1(VALU_DEP_2)
	v_cmp_ne_u32_e32 vcc_lo, 0x7f00000, v8
	v_cndmask_b32_e32 v7, 0x7e, v7, vcc_lo
; %bb.2925:
	s_and_not1_saveexec_b32 s6, s6
; %bb.2926:
	v_add_f32_e64 v7, 0x46800000, |v6|
; %bb.2927:
	s_or_b32 exec_lo, exec_lo, s6
                                        ; implicit-def: $vgpr8
.LBB182_2928:
	s_and_not1_saveexec_b32 s5, s5
; %bb.2929:
	v_mov_b32_e32 v7, 0x7f
	v_cmp_lt_u32_e32 vcc_lo, 0x7f800000, v8
	s_delay_alu instid0(VALU_DEP_2)
	v_cndmask_b32_e32 v7, 0x7e, v7, vcc_lo
; %bb.2930:
	s_or_b32 exec_lo, exec_lo, s5
	v_lshrrev_b32_e32 v6, 24, v6
	s_delay_alu instid0(VALU_DEP_1)
	v_and_or_b32 v6, 0x80, v6, v7
	global_store_b8 v[2:3], v6, off
.LBB182_2931:
	s_mov_b32 s5, 0
.LBB182_2932:
	s_delay_alu instid0(SALU_CYCLE_1)
	s_and_not1_b32 vcc_lo, exec_lo, s5
	s_cbranch_vccnz .LBB182_2942
; %bb.2933:
	s_wait_xcnt 0x0
	v_cvt_f32_f16_e32 v6, v1
	s_mov_b32 s5, exec_lo
                                        ; implicit-def: $vgpr7
	s_delay_alu instid0(VALU_DEP_1) | instskip(NEXT) | instid1(VALU_DEP_1)
	v_and_b32_e32 v8, 0x7fffffff, v6
	v_cmpx_gt_u32_e32 0x47800000, v8
	s_xor_b32 s5, exec_lo, s5
	s_cbranch_execz .LBB182_2939
; %bb.2934:
	s_mov_b32 s6, exec_lo
                                        ; implicit-def: $vgpr7
	v_cmpx_lt_u32_e32 0x387fffff, v8
	s_xor_b32 s6, exec_lo, s6
; %bb.2935:
	v_bfe_u32 v7, v6, 21, 1
	s_delay_alu instid0(VALU_DEP_1) | instskip(NEXT) | instid1(VALU_DEP_1)
	v_add3_u32 v7, v6, v7, 0x80fffff
	v_lshrrev_b32_e32 v7, 21, v7
; %bb.2936:
	s_and_not1_saveexec_b32 s6, s6
; %bb.2937:
	v_add_f32_e64 v7, 0x43000000, |v6|
; %bb.2938:
	s_or_b32 exec_lo, exec_lo, s6
                                        ; implicit-def: $vgpr8
.LBB182_2939:
	s_and_not1_saveexec_b32 s5, s5
; %bb.2940:
	v_mov_b32_e32 v7, 0x7f
	v_cmp_lt_u32_e32 vcc_lo, 0x7f800000, v8
	s_delay_alu instid0(VALU_DEP_2)
	v_cndmask_b32_e32 v7, 0x7c, v7, vcc_lo
; %bb.2941:
	s_or_b32 exec_lo, exec_lo, s5
	v_lshrrev_b32_e32 v6, 24, v6
	s_delay_alu instid0(VALU_DEP_1)
	v_and_or_b32 v6, 0x80, v6, v7
	global_store_b8 v[2:3], v6, off
.LBB182_2942:
	s_mov_b32 s5, 0
	s_mov_b32 s6, -1
.LBB182_2943:
	s_and_not1_b32 vcc_lo, exec_lo, s5
	s_mov_b32 s5, 0
	s_cbranch_vccnz .LBB182_2950
; %bb.2944:
	s_cmp_gt_i32 s4, 14
	s_mov_b32 s5, -1
	s_cbranch_scc0 .LBB182_2948
; %bb.2945:
	s_cmp_eq_u32 s4, 15
	s_mov_b32 s0, -1
	s_cbranch_scc0 .LBB182_2947
; %bb.2946:
	s_wait_xcnt 0x0
	v_cvt_f32_f16_e32 v6, v1
	v_cmp_o_f16_e32 vcc_lo, v1, v1
	s_mov_b32 s0, 0
	s_mov_b32 s6, -1
	s_delay_alu instid0(VALU_DEP_2) | instskip(NEXT) | instid1(VALU_DEP_1)
	v_bfe_u32 v7, v6, 16, 1
	v_add3_u32 v6, v6, v7, 0x7fff
	s_delay_alu instid0(VALU_DEP_1) | instskip(NEXT) | instid1(VALU_DEP_1)
	v_lshrrev_b32_e32 v6, 16, v6
	v_cndmask_b32_e32 v6, 0x7fc0, v6, vcc_lo
	global_store_b16 v[2:3], v6, off
.LBB182_2947:
	s_mov_b32 s5, 0
.LBB182_2948:
	s_delay_alu instid0(SALU_CYCLE_1)
	s_and_b32 vcc_lo, exec_lo, s5
	s_mov_b32 s5, 0
	s_cbranch_vccz .LBB182_2950
; %bb.2949:
	s_cmp_lg_u32 s4, 11
	s_mov_b32 s5, -1
	s_cselect_b32 s0, -1, 0
.LBB182_2950:
	s_delay_alu instid0(SALU_CYCLE_1)
	s_and_b32 vcc_lo, exec_lo, s0
	s_cbranch_vccnz .LBB182_3244
; %bb.2951:
	s_and_not1_b32 vcc_lo, exec_lo, s5
	s_cbranch_vccnz .LBB182_2953
.LBB182_2952:
	v_cmp_neq_f16_e32 vcc_lo, 0, v1
	s_mov_b32 s6, -1
	s_wait_xcnt 0x0
	v_cndmask_b32_e64 v6, 0, 1, vcc_lo
	global_store_b8 v[2:3], v6, off
.LBB182_2953:
	s_mov_b32 s0, 0
	s_branch .LBB182_2955
.LBB182_2954:
	s_mov_b32 s0, -1
	s_mov_b32 s6, 0
.LBB182_2955:
	s_and_b32 vcc_lo, exec_lo, s0
	s_cbranch_vccz .LBB182_2994
; %bb.2956:
	s_and_b32 s0, 0xffff, s18
	s_mov_b32 s4, -1
	s_cmp_lt_i32 s0, 5
	s_cbranch_scc1 .LBB182_2977
; %bb.2957:
	s_cmp_lt_i32 s0, 8
	s_cbranch_scc1 .LBB182_2967
; %bb.2958:
	;; [unrolled: 3-line block ×3, first 2 shown]
	s_cmp_gt_i32 s0, 9
	s_cbranch_scc0 .LBB182_2961
; %bb.2960:
	s_wait_xcnt 0x0
	v_cvt_f32_f16_e32 v6, v1
	v_mov_b32_e32 v8, 0
	s_mov_b32 s4, 0
	s_delay_alu instid0(VALU_DEP_2) | instskip(NEXT) | instid1(VALU_DEP_2)
	v_cvt_f64_f32_e32 v[6:7], v6
	v_mov_b32_e32 v9, v8
	global_store_b128 v[2:3], v[6:9], off
.LBB182_2961:
	s_and_not1_b32 vcc_lo, exec_lo, s4
	s_cbranch_vccnz .LBB182_2963
; %bb.2962:
	s_wait_xcnt 0x0
	v_cvt_f32_f16_e32 v6, v1
	v_mov_b32_e32 v7, 0
	global_store_b64 v[2:3], v[6:7], off
.LBB182_2963:
	s_mov_b32 s4, 0
.LBB182_2964:
	s_delay_alu instid0(SALU_CYCLE_1)
	s_and_not1_b32 vcc_lo, exec_lo, s4
	s_cbranch_vccnz .LBB182_2966
; %bb.2965:
	s_wait_xcnt 0x0
	v_and_b32_e32 v6, 0xffff, v1
	global_store_b32 v[2:3], v6, off
.LBB182_2966:
	s_mov_b32 s4, 0
.LBB182_2967:
	s_delay_alu instid0(SALU_CYCLE_1)
	s_and_not1_b32 vcc_lo, exec_lo, s4
	s_cbranch_vccnz .LBB182_2976
; %bb.2968:
	s_cmp_lt_i32 s0, 6
	s_mov_b32 s4, -1
	s_cbranch_scc1 .LBB182_2974
; %bb.2969:
	s_cmp_gt_i32 s0, 6
	s_cbranch_scc0 .LBB182_2971
; %bb.2970:
	s_wait_xcnt 0x0
	v_cvt_f32_f16_e32 v6, v1
	s_mov_b32 s4, 0
	s_delay_alu instid0(VALU_DEP_1)
	v_cvt_f64_f32_e32 v[6:7], v6
	global_store_b64 v[2:3], v[6:7], off
.LBB182_2971:
	s_and_not1_b32 vcc_lo, exec_lo, s4
	s_cbranch_vccnz .LBB182_2973
; %bb.2972:
	s_wait_xcnt 0x0
	v_cvt_f32_f16_e32 v6, v1
	global_store_b32 v[2:3], v6, off
.LBB182_2973:
	s_mov_b32 s4, 0
.LBB182_2974:
	s_delay_alu instid0(SALU_CYCLE_1)
	s_and_not1_b32 vcc_lo, exec_lo, s4
	s_cbranch_vccnz .LBB182_2976
; %bb.2975:
	global_store_b16 v[2:3], v1, off
.LBB182_2976:
	s_mov_b32 s4, 0
.LBB182_2977:
	s_delay_alu instid0(SALU_CYCLE_1)
	s_and_not1_b32 vcc_lo, exec_lo, s4
	s_cbranch_vccnz .LBB182_2993
; %bb.2978:
	s_cmp_lt_i32 s0, 2
	s_mov_b32 s4, -1
	s_cbranch_scc1 .LBB182_2988
; %bb.2979:
	s_cmp_lt_i32 s0, 3
	s_cbranch_scc1 .LBB182_2985
; %bb.2980:
	s_cmp_gt_i32 s0, 3
	s_cbranch_scc0 .LBB182_2982
; %bb.2981:
	s_wait_xcnt 0x0
	v_cvt_f32_f16_e32 v6, v1
	s_mov_b32 s4, 0
	s_delay_alu instid0(VALU_DEP_1) | instskip(NEXT) | instid1(VALU_DEP_1)
	v_cvt_i32_f32_e32 v6, v6
	v_ashrrev_i32_e32 v7, 31, v6
	global_store_b64 v[2:3], v[6:7], off
.LBB182_2982:
	s_and_not1_b32 vcc_lo, exec_lo, s4
	s_cbranch_vccnz .LBB182_2984
; %bb.2983:
	s_wait_xcnt 0x0
	v_cvt_f32_f16_e32 v6, v1
	s_delay_alu instid0(VALU_DEP_1)
	v_cvt_i32_f32_e32 v6, v6
	global_store_b32 v[2:3], v6, off
.LBB182_2984:
	s_mov_b32 s4, 0
.LBB182_2985:
	s_delay_alu instid0(SALU_CYCLE_1)
	s_and_not1_b32 vcc_lo, exec_lo, s4
	s_cbranch_vccnz .LBB182_2987
; %bb.2986:
	s_wait_xcnt 0x0
	v_cvt_i16_f16_e32 v6, v1
	global_store_b16 v[2:3], v6, off
.LBB182_2987:
	s_mov_b32 s4, 0
.LBB182_2988:
	s_delay_alu instid0(SALU_CYCLE_1)
	s_and_not1_b32 vcc_lo, exec_lo, s4
	s_cbranch_vccnz .LBB182_2993
; %bb.2989:
	s_cmp_gt_i32 s0, 0
	s_mov_b32 s0, -1
	s_cbranch_scc0 .LBB182_2991
; %bb.2990:
	s_wait_xcnt 0x0
	v_cvt_i16_f16_e32 v6, v1
	s_mov_b32 s0, 0
	global_store_b8 v[2:3], v6, off
.LBB182_2991:
	s_and_not1_b32 vcc_lo, exec_lo, s0
	s_cbranch_vccnz .LBB182_2993
; %bb.2992:
	s_wait_xcnt 0x0
	v_cvt_f32_f16_e32 v1, v1
	s_delay_alu instid0(VALU_DEP_1)
	v_cvt_i32_f32_e32 v1, v1
	global_store_b8 v[2:3], v1, off
.LBB182_2993:
	s_mov_b32 s6, -1
.LBB182_2994:
	s_delay_alu instid0(SALU_CYCLE_1)
	s_and_not1_b32 vcc_lo, exec_lo, s6
	s_cbranch_vccnz .LBB182_3190
; %bb.2995:
	v_add_nc_u32_e32 v0, s1, v0
	s_wait_xcnt 0x0
	v_mul_f16_e32 v6, s10, v11
	s_cmp_lt_i32 s18, 11
	s_delay_alu instid0(VALU_DEP_2) | instskip(NEXT) | instid1(VALU_DEP_1)
	v_ashrrev_i32_e32 v1, 31, v0
	v_add_nc_u64_e32 v[2:3], s[2:3], v[0:1]
	s_delay_alu instid0(VALU_DEP_3)
	v_mul_f16_e32 v1, v6, v12
	s_cbranch_scc1 .LBB182_3073
; %bb.2996:
	s_and_b32 s4, 0xffff, s18
	s_mov_b32 s7, -1
	s_mov_b32 s5, 0
	s_cmp_gt_i32 s4, 25
	s_mov_b32 s6, 0
	s_mov_b32 s0, 0
	s_cbranch_scc0 .LBB182_3029
; %bb.2997:
	s_cmp_gt_i32 s4, 28
	s_cbranch_scc0 .LBB182_3012
; %bb.2998:
	s_cmp_gt_i32 s4, 43
	;; [unrolled: 3-line block ×3, first 2 shown]
	s_cbranch_scc0 .LBB182_3002
; %bb.3000:
	s_mov_b32 s0, -1
	s_mov_b32 s7, 0
	s_cmp_eq_u32 s4, 46
	s_cbranch_scc0 .LBB182_3002
; %bb.3001:
	v_cvt_f32_f16_e32 v6, v1
	v_cmp_o_f16_e32 vcc_lo, v1, v1
	s_mov_b32 s0, 0
	s_mov_b32 s6, -1
	s_delay_alu instid0(VALU_DEP_2) | instskip(NEXT) | instid1(VALU_DEP_1)
	v_bfe_u32 v7, v6, 16, 1
	v_add3_u32 v6, v6, v7, 0x7fff
	s_delay_alu instid0(VALU_DEP_1) | instskip(NEXT) | instid1(VALU_DEP_1)
	v_lshrrev_b32_e32 v6, 16, v6
	v_cndmask_b32_e32 v6, 0x7fc0, v6, vcc_lo
	global_store_b32 v[2:3], v6, off
.LBB182_3002:
	s_and_b32 vcc_lo, exec_lo, s7
	s_cbranch_vccz .LBB182_3007
; %bb.3003:
	s_cmp_eq_u32 s4, 44
	s_mov_b32 s0, -1
	s_cbranch_scc0 .LBB182_3007
; %bb.3004:
	s_wait_xcnt 0x0
	v_cvt_f32_f16_e32 v6, v1
	v_mov_b32_e32 v7, 0xff
	s_mov_b32 s6, exec_lo
	s_delay_alu instid0(VALU_DEP_2) | instskip(NEXT) | instid1(VALU_DEP_1)
	v_bfe_u32 v8, v6, 23, 8
	v_cmpx_ne_u32_e32 0xff, v8
	s_cbranch_execz .LBB182_3006
; %bb.3005:
	v_and_b32_e32 v7, 0x400000, v6
	v_and_or_b32 v8, 0x3fffff, v6, v8
	v_lshrrev_b32_e32 v6, 23, v6
	s_delay_alu instid0(VALU_DEP_3) | instskip(NEXT) | instid1(VALU_DEP_3)
	v_cmp_ne_u32_e32 vcc_lo, 0, v7
	v_cmp_ne_u32_e64 s0, 0, v8
	s_and_b32 s0, vcc_lo, s0
	s_delay_alu instid0(SALU_CYCLE_1) | instskip(NEXT) | instid1(VALU_DEP_1)
	v_cndmask_b32_e64 v7, 0, 1, s0
	v_add_nc_u32_e32 v7, v6, v7
.LBB182_3006:
	s_or_b32 exec_lo, exec_lo, s6
	s_mov_b32 s0, 0
	s_mov_b32 s6, -1
	global_store_b8 v[2:3], v7, off
.LBB182_3007:
	s_mov_b32 s7, 0
.LBB182_3008:
	s_delay_alu instid0(SALU_CYCLE_1)
	s_and_b32 vcc_lo, exec_lo, s7
	s_cbranch_vccz .LBB182_3011
; %bb.3009:
	s_cmp_eq_u32 s4, 29
	s_mov_b32 s0, -1
	s_cbranch_scc0 .LBB182_3011
; %bb.3010:
	s_wait_xcnt 0x0
	v_cvt_f32_f16_e32 v6, v1
	v_mov_b32_e32 v7, 0
	s_mov_b32 s0, 0
	s_mov_b32 s6, -1
	s_delay_alu instid0(VALU_DEP_2)
	v_cvt_u32_f32_e32 v6, v6
	global_store_b64 v[2:3], v[6:7], off
.LBB182_3011:
	s_mov_b32 s7, 0
.LBB182_3012:
	s_delay_alu instid0(SALU_CYCLE_1)
	s_and_b32 vcc_lo, exec_lo, s7
	s_cbranch_vccz .LBB182_3028
; %bb.3013:
	s_cmp_lt_i32 s4, 27
	s_mov_b32 s6, -1
	s_cbranch_scc1 .LBB182_3019
; %bb.3014:
	s_cmp_gt_i32 s4, 27
	s_cbranch_scc0 .LBB182_3016
; %bb.3015:
	s_wait_xcnt 0x0
	v_cvt_f32_f16_e32 v6, v1
	s_mov_b32 s6, 0
	s_delay_alu instid0(VALU_DEP_1)
	v_cvt_u32_f32_e32 v6, v6
	global_store_b32 v[2:3], v6, off
.LBB182_3016:
	s_and_not1_b32 vcc_lo, exec_lo, s6
	s_cbranch_vccnz .LBB182_3018
; %bb.3017:
	s_wait_xcnt 0x0
	v_cvt_u16_f16_e32 v6, v1
	global_store_b16 v[2:3], v6, off
.LBB182_3018:
	s_mov_b32 s6, 0
.LBB182_3019:
	s_delay_alu instid0(SALU_CYCLE_1)
	s_and_not1_b32 vcc_lo, exec_lo, s6
	s_cbranch_vccnz .LBB182_3027
; %bb.3020:
	s_wait_xcnt 0x0
	v_cvt_f32_f16_e32 v6, v1
	v_mov_b32_e32 v8, 0x80
	s_mov_b32 s6, exec_lo
	s_delay_alu instid0(VALU_DEP_2) | instskip(NEXT) | instid1(VALU_DEP_1)
	v_and_b32_e32 v7, 0x7fffffff, v6
	v_cmpx_gt_u32_e32 0x43800000, v7
	s_cbranch_execz .LBB182_3026
; %bb.3021:
	v_cmp_lt_u32_e32 vcc_lo, 0x3bffffff, v7
	s_mov_b32 s7, 0
                                        ; implicit-def: $vgpr7
	s_and_saveexec_b32 s8, vcc_lo
	s_delay_alu instid0(SALU_CYCLE_1)
	s_xor_b32 s8, exec_lo, s8
	s_cbranch_execz .LBB182_3247
; %bb.3022:
	v_bfe_u32 v7, v6, 20, 1
	s_mov_b32 s7, exec_lo
	s_delay_alu instid0(VALU_DEP_1) | instskip(NEXT) | instid1(VALU_DEP_1)
	v_add3_u32 v7, v6, v7, 0x487ffff
	v_lshrrev_b32_e32 v7, 20, v7
	s_and_not1_saveexec_b32 s8, s8
	s_cbranch_execnz .LBB182_3248
.LBB182_3023:
	s_or_b32 exec_lo, exec_lo, s8
	v_mov_b32_e32 v8, 0
	s_and_saveexec_b32 s8, s7
.LBB182_3024:
	v_lshrrev_b32_e32 v6, 24, v6
	s_delay_alu instid0(VALU_DEP_1)
	v_and_or_b32 v8, 0x80, v6, v7
.LBB182_3025:
	s_or_b32 exec_lo, exec_lo, s8
.LBB182_3026:
	s_delay_alu instid0(SALU_CYCLE_1)
	s_or_b32 exec_lo, exec_lo, s6
	global_store_b8 v[2:3], v8, off
.LBB182_3027:
	s_mov_b32 s6, -1
.LBB182_3028:
	s_mov_b32 s7, 0
.LBB182_3029:
	s_delay_alu instid0(SALU_CYCLE_1)
	s_and_b32 vcc_lo, exec_lo, s7
	s_cbranch_vccz .LBB182_3069
; %bb.3030:
	s_cmp_gt_i32 s4, 22
	s_mov_b32 s5, -1
	s_cbranch_scc0 .LBB182_3062
; %bb.3031:
	s_cmp_lt_i32 s4, 24
	s_cbranch_scc1 .LBB182_3051
; %bb.3032:
	s_cmp_gt_i32 s4, 24
	s_cbranch_scc0 .LBB182_3040
; %bb.3033:
	s_wait_xcnt 0x0
	v_cvt_f32_f16_e32 v6, v1
	v_mov_b32_e32 v8, 0x80
	s_mov_b32 s5, exec_lo
	s_delay_alu instid0(VALU_DEP_2) | instskip(NEXT) | instid1(VALU_DEP_1)
	v_and_b32_e32 v7, 0x7fffffff, v6
	v_cmpx_gt_u32_e32 0x47800000, v7
	s_cbranch_execz .LBB182_3039
; %bb.3034:
	v_cmp_lt_u32_e32 vcc_lo, 0x37ffffff, v7
	s_mov_b32 s6, 0
                                        ; implicit-def: $vgpr7
	s_and_saveexec_b32 s7, vcc_lo
	s_delay_alu instid0(SALU_CYCLE_1)
	s_xor_b32 s7, exec_lo, s7
	s_cbranch_execz .LBB182_3250
; %bb.3035:
	v_bfe_u32 v7, v6, 21, 1
	s_mov_b32 s6, exec_lo
	s_delay_alu instid0(VALU_DEP_1) | instskip(NEXT) | instid1(VALU_DEP_1)
	v_add3_u32 v7, v6, v7, 0x88fffff
	v_lshrrev_b32_e32 v7, 21, v7
	s_and_not1_saveexec_b32 s7, s7
	s_cbranch_execnz .LBB182_3251
.LBB182_3036:
	s_or_b32 exec_lo, exec_lo, s7
	v_mov_b32_e32 v8, 0
	s_and_saveexec_b32 s7, s6
.LBB182_3037:
	v_lshrrev_b32_e32 v6, 24, v6
	s_delay_alu instid0(VALU_DEP_1)
	v_and_or_b32 v8, 0x80, v6, v7
.LBB182_3038:
	s_or_b32 exec_lo, exec_lo, s7
.LBB182_3039:
	s_delay_alu instid0(SALU_CYCLE_1)
	s_or_b32 exec_lo, exec_lo, s5
	s_mov_b32 s5, 0
	global_store_b8 v[2:3], v8, off
.LBB182_3040:
	s_and_b32 vcc_lo, exec_lo, s5
	s_cbranch_vccz .LBB182_3050
; %bb.3041:
	s_wait_xcnt 0x0
	v_cvt_f32_f16_e32 v6, v1
	s_mov_b32 s5, exec_lo
                                        ; implicit-def: $vgpr7
	s_delay_alu instid0(VALU_DEP_1) | instskip(NEXT) | instid1(VALU_DEP_1)
	v_and_b32_e32 v8, 0x7fffffff, v6
	v_cmpx_gt_u32_e32 0x43f00000, v8
	s_xor_b32 s5, exec_lo, s5
	s_cbranch_execz .LBB182_3047
; %bb.3042:
	s_mov_b32 s6, exec_lo
                                        ; implicit-def: $vgpr7
	v_cmpx_lt_u32_e32 0x3c7fffff, v8
	s_xor_b32 s6, exec_lo, s6
; %bb.3043:
	v_bfe_u32 v7, v6, 20, 1
	s_delay_alu instid0(VALU_DEP_1) | instskip(NEXT) | instid1(VALU_DEP_1)
	v_add3_u32 v7, v6, v7, 0x407ffff
	v_and_b32_e32 v8, 0xff00000, v7
	v_lshrrev_b32_e32 v7, 20, v7
	s_delay_alu instid0(VALU_DEP_2) | instskip(NEXT) | instid1(VALU_DEP_2)
	v_cmp_ne_u32_e32 vcc_lo, 0x7f00000, v8
	v_cndmask_b32_e32 v7, 0x7e, v7, vcc_lo
; %bb.3044:
	s_and_not1_saveexec_b32 s6, s6
; %bb.3045:
	v_add_f32_e64 v7, 0x46800000, |v6|
; %bb.3046:
	s_or_b32 exec_lo, exec_lo, s6
                                        ; implicit-def: $vgpr8
.LBB182_3047:
	s_and_not1_saveexec_b32 s5, s5
; %bb.3048:
	v_mov_b32_e32 v7, 0x7f
	v_cmp_lt_u32_e32 vcc_lo, 0x7f800000, v8
	s_delay_alu instid0(VALU_DEP_2)
	v_cndmask_b32_e32 v7, 0x7e, v7, vcc_lo
; %bb.3049:
	s_or_b32 exec_lo, exec_lo, s5
	v_lshrrev_b32_e32 v6, 24, v6
	s_delay_alu instid0(VALU_DEP_1)
	v_and_or_b32 v6, 0x80, v6, v7
	global_store_b8 v[2:3], v6, off
.LBB182_3050:
	s_mov_b32 s5, 0
.LBB182_3051:
	s_delay_alu instid0(SALU_CYCLE_1)
	s_and_not1_b32 vcc_lo, exec_lo, s5
	s_cbranch_vccnz .LBB182_3061
; %bb.3052:
	s_wait_xcnt 0x0
	v_cvt_f32_f16_e32 v6, v1
	s_mov_b32 s5, exec_lo
                                        ; implicit-def: $vgpr7
	s_delay_alu instid0(VALU_DEP_1) | instskip(NEXT) | instid1(VALU_DEP_1)
	v_and_b32_e32 v8, 0x7fffffff, v6
	v_cmpx_gt_u32_e32 0x47800000, v8
	s_xor_b32 s5, exec_lo, s5
	s_cbranch_execz .LBB182_3058
; %bb.3053:
	s_mov_b32 s6, exec_lo
                                        ; implicit-def: $vgpr7
	v_cmpx_lt_u32_e32 0x387fffff, v8
	s_xor_b32 s6, exec_lo, s6
; %bb.3054:
	v_bfe_u32 v7, v6, 21, 1
	s_delay_alu instid0(VALU_DEP_1) | instskip(NEXT) | instid1(VALU_DEP_1)
	v_add3_u32 v7, v6, v7, 0x80fffff
	v_lshrrev_b32_e32 v7, 21, v7
; %bb.3055:
	s_and_not1_saveexec_b32 s6, s6
; %bb.3056:
	v_add_f32_e64 v7, 0x43000000, |v6|
; %bb.3057:
	s_or_b32 exec_lo, exec_lo, s6
                                        ; implicit-def: $vgpr8
.LBB182_3058:
	s_and_not1_saveexec_b32 s5, s5
; %bb.3059:
	v_mov_b32_e32 v7, 0x7f
	v_cmp_lt_u32_e32 vcc_lo, 0x7f800000, v8
	s_delay_alu instid0(VALU_DEP_2)
	v_cndmask_b32_e32 v7, 0x7c, v7, vcc_lo
; %bb.3060:
	s_or_b32 exec_lo, exec_lo, s5
	v_lshrrev_b32_e32 v6, 24, v6
	s_delay_alu instid0(VALU_DEP_1)
	v_and_or_b32 v6, 0x80, v6, v7
	global_store_b8 v[2:3], v6, off
.LBB182_3061:
	s_mov_b32 s5, 0
	s_mov_b32 s6, -1
.LBB182_3062:
	s_and_not1_b32 vcc_lo, exec_lo, s5
	s_mov_b32 s5, 0
	s_cbranch_vccnz .LBB182_3069
; %bb.3063:
	s_cmp_gt_i32 s4, 14
	s_mov_b32 s5, -1
	s_cbranch_scc0 .LBB182_3067
; %bb.3064:
	s_cmp_eq_u32 s4, 15
	s_mov_b32 s0, -1
	s_cbranch_scc0 .LBB182_3066
; %bb.3065:
	s_wait_xcnt 0x0
	v_cvt_f32_f16_e32 v6, v1
	v_cmp_o_f16_e32 vcc_lo, v1, v1
	s_mov_b32 s0, 0
	s_mov_b32 s6, -1
	s_delay_alu instid0(VALU_DEP_2) | instskip(NEXT) | instid1(VALU_DEP_1)
	v_bfe_u32 v7, v6, 16, 1
	v_add3_u32 v6, v6, v7, 0x7fff
	s_delay_alu instid0(VALU_DEP_1) | instskip(NEXT) | instid1(VALU_DEP_1)
	v_lshrrev_b32_e32 v6, 16, v6
	v_cndmask_b32_e32 v6, 0x7fc0, v6, vcc_lo
	global_store_b16 v[2:3], v6, off
.LBB182_3066:
	s_mov_b32 s5, 0
.LBB182_3067:
	s_delay_alu instid0(SALU_CYCLE_1)
	s_and_b32 vcc_lo, exec_lo, s5
	s_mov_b32 s5, 0
	s_cbranch_vccz .LBB182_3069
; %bb.3068:
	s_cmp_lg_u32 s4, 11
	s_mov_b32 s5, -1
	s_cselect_b32 s0, -1, 0
.LBB182_3069:
	s_delay_alu instid0(SALU_CYCLE_1)
	s_and_b32 vcc_lo, exec_lo, s0
	s_cbranch_vccnz .LBB182_3249
; %bb.3070:
	s_and_not1_b32 vcc_lo, exec_lo, s5
	s_cbranch_vccnz .LBB182_3072
.LBB182_3071:
	v_cmp_neq_f16_e32 vcc_lo, 0, v1
	s_mov_b32 s6, -1
	s_wait_xcnt 0x0
	v_cndmask_b32_e64 v6, 0, 1, vcc_lo
	global_store_b8 v[2:3], v6, off
.LBB182_3072:
	s_mov_b32 s0, 0
	s_branch .LBB182_3074
.LBB182_3073:
	s_mov_b32 s0, -1
	s_mov_b32 s6, 0
.LBB182_3074:
	s_and_b32 vcc_lo, exec_lo, s0
	s_cbranch_vccz .LBB182_3113
; %bb.3075:
	s_and_b32 s0, 0xffff, s18
	s_mov_b32 s4, -1
	s_cmp_lt_i32 s0, 5
	s_cbranch_scc1 .LBB182_3096
; %bb.3076:
	s_cmp_lt_i32 s0, 8
	s_cbranch_scc1 .LBB182_3086
; %bb.3077:
	;; [unrolled: 3-line block ×3, first 2 shown]
	s_cmp_gt_i32 s0, 9
	s_cbranch_scc0 .LBB182_3080
; %bb.3079:
	s_wait_xcnt 0x0
	v_cvt_f32_f16_e32 v6, v1
	v_mov_b32_e32 v8, 0
	s_mov_b32 s4, 0
	s_delay_alu instid0(VALU_DEP_2) | instskip(NEXT) | instid1(VALU_DEP_2)
	v_cvt_f64_f32_e32 v[6:7], v6
	v_mov_b32_e32 v9, v8
	global_store_b128 v[2:3], v[6:9], off
.LBB182_3080:
	s_and_not1_b32 vcc_lo, exec_lo, s4
	s_cbranch_vccnz .LBB182_3082
; %bb.3081:
	s_wait_xcnt 0x0
	v_cvt_f32_f16_e32 v6, v1
	v_mov_b32_e32 v7, 0
	global_store_b64 v[2:3], v[6:7], off
.LBB182_3082:
	s_mov_b32 s4, 0
.LBB182_3083:
	s_delay_alu instid0(SALU_CYCLE_1)
	s_and_not1_b32 vcc_lo, exec_lo, s4
	s_cbranch_vccnz .LBB182_3085
; %bb.3084:
	s_wait_xcnt 0x0
	v_and_b32_e32 v6, 0xffff, v1
	global_store_b32 v[2:3], v6, off
.LBB182_3085:
	s_mov_b32 s4, 0
.LBB182_3086:
	s_delay_alu instid0(SALU_CYCLE_1)
	s_and_not1_b32 vcc_lo, exec_lo, s4
	s_cbranch_vccnz .LBB182_3095
; %bb.3087:
	s_cmp_lt_i32 s0, 6
	s_mov_b32 s4, -1
	s_cbranch_scc1 .LBB182_3093
; %bb.3088:
	s_cmp_gt_i32 s0, 6
	s_cbranch_scc0 .LBB182_3090
; %bb.3089:
	s_wait_xcnt 0x0
	v_cvt_f32_f16_e32 v6, v1
	s_mov_b32 s4, 0
	s_delay_alu instid0(VALU_DEP_1)
	v_cvt_f64_f32_e32 v[6:7], v6
	global_store_b64 v[2:3], v[6:7], off
.LBB182_3090:
	s_and_not1_b32 vcc_lo, exec_lo, s4
	s_cbranch_vccnz .LBB182_3092
; %bb.3091:
	s_wait_xcnt 0x0
	v_cvt_f32_f16_e32 v6, v1
	global_store_b32 v[2:3], v6, off
.LBB182_3092:
	s_mov_b32 s4, 0
.LBB182_3093:
	s_delay_alu instid0(SALU_CYCLE_1)
	s_and_not1_b32 vcc_lo, exec_lo, s4
	s_cbranch_vccnz .LBB182_3095
; %bb.3094:
	global_store_b16 v[2:3], v1, off
.LBB182_3095:
	s_mov_b32 s4, 0
.LBB182_3096:
	s_delay_alu instid0(SALU_CYCLE_1)
	s_and_not1_b32 vcc_lo, exec_lo, s4
	s_cbranch_vccnz .LBB182_3112
; %bb.3097:
	s_cmp_lt_i32 s0, 2
	s_mov_b32 s4, -1
	s_cbranch_scc1 .LBB182_3107
; %bb.3098:
	s_cmp_lt_i32 s0, 3
	s_cbranch_scc1 .LBB182_3104
; %bb.3099:
	s_cmp_gt_i32 s0, 3
	s_cbranch_scc0 .LBB182_3101
; %bb.3100:
	s_wait_xcnt 0x0
	v_cvt_f32_f16_e32 v6, v1
	s_mov_b32 s4, 0
	s_delay_alu instid0(VALU_DEP_1) | instskip(NEXT) | instid1(VALU_DEP_1)
	v_cvt_i32_f32_e32 v6, v6
	v_ashrrev_i32_e32 v7, 31, v6
	global_store_b64 v[2:3], v[6:7], off
.LBB182_3101:
	s_and_not1_b32 vcc_lo, exec_lo, s4
	s_cbranch_vccnz .LBB182_3103
; %bb.3102:
	s_wait_xcnt 0x0
	v_cvt_f32_f16_e32 v6, v1
	s_delay_alu instid0(VALU_DEP_1)
	v_cvt_i32_f32_e32 v6, v6
	global_store_b32 v[2:3], v6, off
.LBB182_3103:
	s_mov_b32 s4, 0
.LBB182_3104:
	s_delay_alu instid0(SALU_CYCLE_1)
	s_and_not1_b32 vcc_lo, exec_lo, s4
	s_cbranch_vccnz .LBB182_3106
; %bb.3105:
	s_wait_xcnt 0x0
	v_cvt_i16_f16_e32 v6, v1
	global_store_b16 v[2:3], v6, off
.LBB182_3106:
	s_mov_b32 s4, 0
.LBB182_3107:
	s_delay_alu instid0(SALU_CYCLE_1)
	s_and_not1_b32 vcc_lo, exec_lo, s4
	s_cbranch_vccnz .LBB182_3112
; %bb.3108:
	s_cmp_gt_i32 s0, 0
	s_mov_b32 s0, -1
	s_cbranch_scc0 .LBB182_3110
; %bb.3109:
	s_wait_xcnt 0x0
	v_cvt_i16_f16_e32 v6, v1
	s_mov_b32 s0, 0
	global_store_b8 v[2:3], v6, off
.LBB182_3110:
	s_and_not1_b32 vcc_lo, exec_lo, s0
	s_cbranch_vccnz .LBB182_3112
; %bb.3111:
	s_wait_xcnt 0x0
	v_cvt_f32_f16_e32 v1, v1
	s_delay_alu instid0(VALU_DEP_1)
	v_cvt_i32_f32_e32 v1, v1
	global_store_b8 v[2:3], v1, off
.LBB182_3112:
	s_mov_b32 s6, -1
.LBB182_3113:
	s_delay_alu instid0(SALU_CYCLE_1)
	s_and_not1_b32 vcc_lo, exec_lo, s6
	s_cbranch_vccnz .LBB182_3190
; %bb.3114:
	v_add_nc_u32_e32 v0, s1, v0
	s_wait_xcnt 0x0
	v_mul_f16_e32 v2, s10, v4
	s_cmp_lt_i32 s18, 11
	s_delay_alu instid0(VALU_DEP_2) | instskip(NEXT) | instid1(VALU_DEP_2)
	v_ashrrev_i32_e32 v1, 31, v0
	v_mul_f16_e32 v2, v2, v5
	s_delay_alu instid0(VALU_DEP_2)
	v_add_nc_u64_e32 v[0:1], s[2:3], v[0:1]
	s_cbranch_scc1 .LBB182_3235
; %bb.3115:
	s_and_b32 s2, 0xffff, s18
	s_mov_b32 s3, -1
	s_mov_b32 s1, 0
	s_cmp_gt_i32 s2, 25
	s_mov_b32 s0, 0
	s_cbranch_scc0 .LBB182_3148
; %bb.3116:
	s_cmp_gt_i32 s2, 28
	s_cbranch_scc0 .LBB182_3132
; %bb.3117:
	s_cmp_gt_i32 s2, 43
	;; [unrolled: 3-line block ×3, first 2 shown]
	s_cbranch_scc0 .LBB182_3122
; %bb.3119:
	s_cmp_eq_u32 s2, 46
	s_mov_b32 s0, -1
	s_cbranch_scc0 .LBB182_3121
; %bb.3120:
	v_cvt_f32_f16_e32 v3, v2
	v_cmp_o_f16_e32 vcc_lo, v2, v2
	s_mov_b32 s0, 0
	s_delay_alu instid0(VALU_DEP_2) | instskip(NEXT) | instid1(VALU_DEP_1)
	v_bfe_u32 v4, v3, 16, 1
	v_add3_u32 v3, v3, v4, 0x7fff
	s_delay_alu instid0(VALU_DEP_1) | instskip(NEXT) | instid1(VALU_DEP_1)
	v_lshrrev_b32_e32 v3, 16, v3
	v_cndmask_b32_e32 v3, 0x7fc0, v3, vcc_lo
	global_store_b32 v[0:1], v3, off
.LBB182_3121:
	s_mov_b32 s3, 0
.LBB182_3122:
	s_delay_alu instid0(SALU_CYCLE_1)
	s_and_b32 vcc_lo, exec_lo, s3
	s_cbranch_vccz .LBB182_3127
; %bb.3123:
	s_cmp_eq_u32 s2, 44
	s_mov_b32 s0, -1
	s_cbranch_scc0 .LBB182_3127
; %bb.3124:
	s_wait_xcnt 0x0
	v_cvt_f32_f16_e32 v3, v2
	v_mov_b32_e32 v4, 0xff
	s_mov_b32 s3, exec_lo
	s_delay_alu instid0(VALU_DEP_2) | instskip(NEXT) | instid1(VALU_DEP_1)
	v_bfe_u32 v5, v3, 23, 8
	v_cmpx_ne_u32_e32 0xff, v5
	s_cbranch_execz .LBB182_3126
; %bb.3125:
	v_and_b32_e32 v4, 0x400000, v3
	v_and_or_b32 v5, 0x3fffff, v3, v5
	v_lshrrev_b32_e32 v3, 23, v3
	s_delay_alu instid0(VALU_DEP_3) | instskip(NEXT) | instid1(VALU_DEP_3)
	v_cmp_ne_u32_e32 vcc_lo, 0, v4
	v_cmp_ne_u32_e64 s0, 0, v5
	s_and_b32 s0, vcc_lo, s0
	s_delay_alu instid0(SALU_CYCLE_1) | instskip(NEXT) | instid1(VALU_DEP_1)
	v_cndmask_b32_e64 v4, 0, 1, s0
	v_add_nc_u32_e32 v4, v3, v4
.LBB182_3126:
	s_or_b32 exec_lo, exec_lo, s3
	s_mov_b32 s0, 0
	global_store_b8 v[0:1], v4, off
.LBB182_3127:
	s_mov_b32 s3, 0
.LBB182_3128:
	s_delay_alu instid0(SALU_CYCLE_1)
	s_and_b32 vcc_lo, exec_lo, s3
	s_cbranch_vccz .LBB182_3131
; %bb.3129:
	s_cmp_eq_u32 s2, 29
	s_mov_b32 s0, -1
	s_cbranch_scc0 .LBB182_3131
; %bb.3130:
	s_wait_xcnt 0x0
	v_cvt_f32_f16_e32 v3, v2
	v_mov_b32_e32 v5, 0
	s_mov_b32 s0, 0
	s_delay_alu instid0(VALU_DEP_2)
	v_cvt_u32_f32_e32 v4, v3
	global_store_b64 v[0:1], v[4:5], off
.LBB182_3131:
	s_mov_b32 s3, 0
.LBB182_3132:
	s_delay_alu instid0(SALU_CYCLE_1)
	s_and_b32 vcc_lo, exec_lo, s3
	s_cbranch_vccz .LBB182_3147
; %bb.3133:
	s_cmp_lt_i32 s2, 27
	s_mov_b32 s3, -1
	s_cbranch_scc1 .LBB182_3139
; %bb.3134:
	s_cmp_gt_i32 s2, 27
	s_cbranch_scc0 .LBB182_3136
; %bb.3135:
	s_wait_xcnt 0x0
	v_cvt_f32_f16_e32 v3, v2
	s_mov_b32 s3, 0
	s_delay_alu instid0(VALU_DEP_1)
	v_cvt_u32_f32_e32 v3, v3
	global_store_b32 v[0:1], v3, off
.LBB182_3136:
	s_and_not1_b32 vcc_lo, exec_lo, s3
	s_cbranch_vccnz .LBB182_3138
; %bb.3137:
	s_wait_xcnt 0x0
	v_cvt_u16_f16_e32 v3, v2
	global_store_b16 v[0:1], v3, off
.LBB182_3138:
	s_mov_b32 s3, 0
.LBB182_3139:
	s_delay_alu instid0(SALU_CYCLE_1)
	s_and_not1_b32 vcc_lo, exec_lo, s3
	s_cbranch_vccnz .LBB182_3147
; %bb.3140:
	s_wait_xcnt 0x0
	v_cvt_f32_f16_e32 v3, v2
	v_mov_b32_e32 v5, 0x80
	s_mov_b32 s3, exec_lo
	s_delay_alu instid0(VALU_DEP_2) | instskip(NEXT) | instid1(VALU_DEP_1)
	v_and_b32_e32 v4, 0x7fffffff, v3
	v_cmpx_gt_u32_e32 0x43800000, v4
	s_cbranch_execz .LBB182_3146
; %bb.3141:
	v_cmp_lt_u32_e32 vcc_lo, 0x3bffffff, v4
	s_mov_b32 s4, 0
                                        ; implicit-def: $vgpr4
	s_and_saveexec_b32 s5, vcc_lo
	s_delay_alu instid0(SALU_CYCLE_1)
	s_xor_b32 s5, exec_lo, s5
	s_cbranch_execz .LBB182_3252
; %bb.3142:
	v_bfe_u32 v4, v3, 20, 1
	s_mov_b32 s4, exec_lo
	s_delay_alu instid0(VALU_DEP_1) | instskip(NEXT) | instid1(VALU_DEP_1)
	v_add3_u32 v4, v3, v4, 0x487ffff
	v_lshrrev_b32_e32 v4, 20, v4
	s_and_not1_saveexec_b32 s5, s5
	s_cbranch_execnz .LBB182_3253
.LBB182_3143:
	s_or_b32 exec_lo, exec_lo, s5
	v_mov_b32_e32 v5, 0
	s_and_saveexec_b32 s5, s4
.LBB182_3144:
	v_lshrrev_b32_e32 v3, 24, v3
	s_delay_alu instid0(VALU_DEP_1)
	v_and_or_b32 v5, 0x80, v3, v4
.LBB182_3145:
	s_or_b32 exec_lo, exec_lo, s5
.LBB182_3146:
	s_delay_alu instid0(SALU_CYCLE_1)
	s_or_b32 exec_lo, exec_lo, s3
	global_store_b8 v[0:1], v5, off
.LBB182_3147:
	s_mov_b32 s3, 0
.LBB182_3148:
	s_delay_alu instid0(SALU_CYCLE_1)
	s_and_b32 vcc_lo, exec_lo, s3
	s_cbranch_vccz .LBB182_3188
; %bb.3149:
	s_cmp_gt_i32 s2, 22
	s_mov_b32 s1, -1
	s_cbranch_scc0 .LBB182_3181
; %bb.3150:
	s_cmp_lt_i32 s2, 24
	s_cbranch_scc1 .LBB182_3170
; %bb.3151:
	s_cmp_gt_i32 s2, 24
	s_cbranch_scc0 .LBB182_3159
; %bb.3152:
	s_wait_xcnt 0x0
	v_cvt_f32_f16_e32 v3, v2
	v_mov_b32_e32 v5, 0x80
	s_mov_b32 s1, exec_lo
	s_delay_alu instid0(VALU_DEP_2) | instskip(NEXT) | instid1(VALU_DEP_1)
	v_and_b32_e32 v4, 0x7fffffff, v3
	v_cmpx_gt_u32_e32 0x47800000, v4
	s_cbranch_execz .LBB182_3158
; %bb.3153:
	v_cmp_lt_u32_e32 vcc_lo, 0x37ffffff, v4
	s_mov_b32 s3, 0
                                        ; implicit-def: $vgpr4
	s_and_saveexec_b32 s4, vcc_lo
	s_delay_alu instid0(SALU_CYCLE_1)
	s_xor_b32 s4, exec_lo, s4
	s_cbranch_execz .LBB182_3255
; %bb.3154:
	v_bfe_u32 v4, v3, 21, 1
	s_mov_b32 s3, exec_lo
	s_delay_alu instid0(VALU_DEP_1) | instskip(NEXT) | instid1(VALU_DEP_1)
	v_add3_u32 v4, v3, v4, 0x88fffff
	v_lshrrev_b32_e32 v4, 21, v4
	s_and_not1_saveexec_b32 s4, s4
	s_cbranch_execnz .LBB182_3256
.LBB182_3155:
	s_or_b32 exec_lo, exec_lo, s4
	v_mov_b32_e32 v5, 0
	s_and_saveexec_b32 s4, s3
.LBB182_3156:
	v_lshrrev_b32_e32 v3, 24, v3
	s_delay_alu instid0(VALU_DEP_1)
	v_and_or_b32 v5, 0x80, v3, v4
.LBB182_3157:
	s_or_b32 exec_lo, exec_lo, s4
.LBB182_3158:
	s_delay_alu instid0(SALU_CYCLE_1)
	s_or_b32 exec_lo, exec_lo, s1
	s_mov_b32 s1, 0
	global_store_b8 v[0:1], v5, off
.LBB182_3159:
	s_and_b32 vcc_lo, exec_lo, s1
	s_cbranch_vccz .LBB182_3169
; %bb.3160:
	s_wait_xcnt 0x0
	v_cvt_f32_f16_e32 v3, v2
	s_mov_b32 s1, exec_lo
                                        ; implicit-def: $vgpr4
	s_delay_alu instid0(VALU_DEP_1) | instskip(NEXT) | instid1(VALU_DEP_1)
	v_and_b32_e32 v5, 0x7fffffff, v3
	v_cmpx_gt_u32_e32 0x43f00000, v5
	s_xor_b32 s1, exec_lo, s1
	s_cbranch_execz .LBB182_3166
; %bb.3161:
	s_mov_b32 s3, exec_lo
                                        ; implicit-def: $vgpr4
	v_cmpx_lt_u32_e32 0x3c7fffff, v5
	s_xor_b32 s3, exec_lo, s3
; %bb.3162:
	v_bfe_u32 v4, v3, 20, 1
	s_delay_alu instid0(VALU_DEP_1) | instskip(NEXT) | instid1(VALU_DEP_1)
	v_add3_u32 v4, v3, v4, 0x407ffff
	v_and_b32_e32 v5, 0xff00000, v4
	v_lshrrev_b32_e32 v4, 20, v4
	s_delay_alu instid0(VALU_DEP_2) | instskip(NEXT) | instid1(VALU_DEP_2)
	v_cmp_ne_u32_e32 vcc_lo, 0x7f00000, v5
	v_cndmask_b32_e32 v4, 0x7e, v4, vcc_lo
; %bb.3163:
	s_and_not1_saveexec_b32 s3, s3
; %bb.3164:
	v_add_f32_e64 v4, 0x46800000, |v3|
; %bb.3165:
	s_or_b32 exec_lo, exec_lo, s3
                                        ; implicit-def: $vgpr5
.LBB182_3166:
	s_and_not1_saveexec_b32 s1, s1
; %bb.3167:
	v_mov_b32_e32 v4, 0x7f
	v_cmp_lt_u32_e32 vcc_lo, 0x7f800000, v5
	s_delay_alu instid0(VALU_DEP_2)
	v_cndmask_b32_e32 v4, 0x7e, v4, vcc_lo
; %bb.3168:
	s_or_b32 exec_lo, exec_lo, s1
	v_lshrrev_b32_e32 v3, 24, v3
	s_delay_alu instid0(VALU_DEP_1)
	v_and_or_b32 v3, 0x80, v3, v4
	global_store_b8 v[0:1], v3, off
.LBB182_3169:
	s_mov_b32 s1, 0
.LBB182_3170:
	s_delay_alu instid0(SALU_CYCLE_1)
	s_and_not1_b32 vcc_lo, exec_lo, s1
	s_cbranch_vccnz .LBB182_3180
; %bb.3171:
	s_wait_xcnt 0x0
	v_cvt_f32_f16_e32 v3, v2
	s_mov_b32 s1, exec_lo
                                        ; implicit-def: $vgpr4
	s_delay_alu instid0(VALU_DEP_1) | instskip(NEXT) | instid1(VALU_DEP_1)
	v_and_b32_e32 v5, 0x7fffffff, v3
	v_cmpx_gt_u32_e32 0x47800000, v5
	s_xor_b32 s1, exec_lo, s1
	s_cbranch_execz .LBB182_3177
; %bb.3172:
	s_mov_b32 s3, exec_lo
                                        ; implicit-def: $vgpr4
	v_cmpx_lt_u32_e32 0x387fffff, v5
	s_xor_b32 s3, exec_lo, s3
; %bb.3173:
	v_bfe_u32 v4, v3, 21, 1
	s_delay_alu instid0(VALU_DEP_1) | instskip(NEXT) | instid1(VALU_DEP_1)
	v_add3_u32 v4, v3, v4, 0x80fffff
	v_lshrrev_b32_e32 v4, 21, v4
; %bb.3174:
	s_and_not1_saveexec_b32 s3, s3
; %bb.3175:
	v_add_f32_e64 v4, 0x43000000, |v3|
; %bb.3176:
	s_or_b32 exec_lo, exec_lo, s3
                                        ; implicit-def: $vgpr5
.LBB182_3177:
	s_and_not1_saveexec_b32 s1, s1
; %bb.3178:
	v_mov_b32_e32 v4, 0x7f
	v_cmp_lt_u32_e32 vcc_lo, 0x7f800000, v5
	s_delay_alu instid0(VALU_DEP_2)
	v_cndmask_b32_e32 v4, 0x7c, v4, vcc_lo
; %bb.3179:
	s_or_b32 exec_lo, exec_lo, s1
	v_lshrrev_b32_e32 v3, 24, v3
	s_delay_alu instid0(VALU_DEP_1)
	v_and_or_b32 v3, 0x80, v3, v4
	global_store_b8 v[0:1], v3, off
.LBB182_3180:
	s_mov_b32 s1, 0
.LBB182_3181:
	s_delay_alu instid0(SALU_CYCLE_1)
	s_and_not1_b32 vcc_lo, exec_lo, s1
	s_mov_b32 s1, 0
	s_cbranch_vccnz .LBB182_3188
; %bb.3182:
	s_cmp_gt_i32 s2, 14
	s_mov_b32 s1, -1
	s_cbranch_scc0 .LBB182_3186
; %bb.3183:
	s_cmp_eq_u32 s2, 15
	s_mov_b32 s0, -1
	s_cbranch_scc0 .LBB182_3185
; %bb.3184:
	s_wait_xcnt 0x0
	v_cvt_f32_f16_e32 v3, v2
	v_cmp_o_f16_e32 vcc_lo, v2, v2
	s_mov_b32 s0, 0
	s_delay_alu instid0(VALU_DEP_2) | instskip(NEXT) | instid1(VALU_DEP_1)
	v_bfe_u32 v4, v3, 16, 1
	v_add3_u32 v3, v3, v4, 0x7fff
	s_delay_alu instid0(VALU_DEP_1) | instskip(NEXT) | instid1(VALU_DEP_1)
	v_lshrrev_b32_e32 v3, 16, v3
	v_cndmask_b32_e32 v3, 0x7fc0, v3, vcc_lo
	global_store_b16 v[0:1], v3, off
.LBB182_3185:
	s_mov_b32 s1, 0
.LBB182_3186:
	s_delay_alu instid0(SALU_CYCLE_1)
	s_and_b32 vcc_lo, exec_lo, s1
	s_mov_b32 s1, 0
	s_cbranch_vccz .LBB182_3188
; %bb.3187:
	s_cmp_lg_u32 s2, 11
	s_mov_b32 s1, -1
	s_cselect_b32 s0, -1, 0
.LBB182_3188:
	s_delay_alu instid0(SALU_CYCLE_1)
	s_and_b32 vcc_lo, exec_lo, s0
	s_cbranch_vccnz .LBB182_3254
.LBB182_3189:
	s_mov_b32 s0, 0
	s_branch .LBB182_3191
.LBB182_3190:
	s_mov_b32 s0, 0
	s_mov_b32 s1, 0
                                        ; implicit-def: $sgpr18
                                        ; implicit-def: $vgpr0_vgpr1
                                        ; implicit-def: $vgpr2
.LBB182_3191:
	s_and_not1_b32 s2, s17, exec_lo
	s_and_b32 s3, s14, exec_lo
	s_and_b32 s0, s0, exec_lo
	;; [unrolled: 1-line block ×3, first 2 shown]
	s_or_b32 s17, s2, s3
.LBB182_3192:
	s_wait_xcnt 0x0
	s_or_b32 exec_lo, exec_lo, s16
	s_and_saveexec_b32 s1, s17
	s_cbranch_execz .LBB182_3195
; %bb.3193:
	; divergent unreachable
	s_or_b32 exec_lo, exec_lo, s1
	s_and_saveexec_b32 s1, s14
	s_delay_alu instid0(SALU_CYCLE_1)
	s_xor_b32 s1, exec_lo, s1
	s_cbranch_execnz .LBB182_3196
.LBB182_3194:
	s_or_b32 exec_lo, exec_lo, s1
	s_and_saveexec_b32 s1, s0
	s_cbranch_execnz .LBB182_3197
	s_branch .LBB182_3234
.LBB182_3195:
	s_or_b32 exec_lo, exec_lo, s1
	s_and_saveexec_b32 s1, s14
	s_delay_alu instid0(SALU_CYCLE_1)
	s_xor_b32 s1, exec_lo, s1
	s_cbranch_execz .LBB182_3194
.LBB182_3196:
	s_wait_loadcnt 0x0
	v_cmp_neq_f16_e32 vcc_lo, 0, v2
	v_cndmask_b32_e64 v3, 0, 1, vcc_lo
	global_store_b8 v[0:1], v3, off
	s_wait_xcnt 0x0
	s_or_b32 exec_lo, exec_lo, s1
	s_and_saveexec_b32 s1, s0
	s_cbranch_execz .LBB182_3234
.LBB182_3197:
	s_sext_i32_i16 s1, s18
	s_mov_b32 s0, -1
	s_cmp_lt_i32 s1, 5
	s_cbranch_scc1 .LBB182_3218
; %bb.3198:
	s_cmp_lt_i32 s1, 8
	s_cbranch_scc1 .LBB182_3208
; %bb.3199:
	;; [unrolled: 3-line block ×3, first 2 shown]
	s_cmp_gt_i32 s1, 9
	s_cbranch_scc0 .LBB182_3202
; %bb.3201:
	s_wait_loadcnt 0x0
	v_cvt_f32_f16_e32 v3, v2
	v_mov_b32_e32 v6, 0
	s_mov_b32 s0, 0
	s_delay_alu instid0(VALU_DEP_2) | instskip(NEXT) | instid1(VALU_DEP_2)
	v_cvt_f64_f32_e32 v[4:5], v3
	v_mov_b32_e32 v7, v6
	global_store_b128 v[0:1], v[4:7], off
.LBB182_3202:
	s_and_not1_b32 vcc_lo, exec_lo, s0
	s_cbranch_vccnz .LBB182_3204
; %bb.3203:
	s_wait_loadcnt 0x0
	v_cvt_f32_f16_e32 v4, v2
	v_mov_b32_e32 v5, 0
	global_store_b64 v[0:1], v[4:5], off
.LBB182_3204:
	s_mov_b32 s0, 0
.LBB182_3205:
	s_delay_alu instid0(SALU_CYCLE_1)
	s_and_not1_b32 vcc_lo, exec_lo, s0
	s_cbranch_vccnz .LBB182_3207
; %bb.3206:
	s_wait_loadcnt 0x0
	v_and_b32_e32 v3, 0xffff, v2
	global_store_b32 v[0:1], v3, off
.LBB182_3207:
	s_mov_b32 s0, 0
.LBB182_3208:
	s_delay_alu instid0(SALU_CYCLE_1)
	s_and_not1_b32 vcc_lo, exec_lo, s0
	s_cbranch_vccnz .LBB182_3217
; %bb.3209:
	s_sext_i32_i16 s1, s18
	s_mov_b32 s0, -1
	s_cmp_lt_i32 s1, 6
	s_cbranch_scc1 .LBB182_3215
; %bb.3210:
	s_cmp_gt_i32 s1, 6
	s_cbranch_scc0 .LBB182_3212
; %bb.3211:
	s_wait_loadcnt 0x0
	v_cvt_f32_f16_e32 v3, v2
	s_mov_b32 s0, 0
	s_delay_alu instid0(VALU_DEP_1)
	v_cvt_f64_f32_e32 v[4:5], v3
	global_store_b64 v[0:1], v[4:5], off
.LBB182_3212:
	s_and_not1_b32 vcc_lo, exec_lo, s0
	s_cbranch_vccnz .LBB182_3214
; %bb.3213:
	s_wait_loadcnt 0x0
	v_cvt_f32_f16_e32 v3, v2
	global_store_b32 v[0:1], v3, off
.LBB182_3214:
	s_mov_b32 s0, 0
.LBB182_3215:
	s_delay_alu instid0(SALU_CYCLE_1)
	s_and_not1_b32 vcc_lo, exec_lo, s0
	s_cbranch_vccnz .LBB182_3217
; %bb.3216:
	s_wait_loadcnt 0x0
	global_store_b16 v[0:1], v2, off
.LBB182_3217:
	s_mov_b32 s0, 0
.LBB182_3218:
	s_delay_alu instid0(SALU_CYCLE_1)
	s_and_not1_b32 vcc_lo, exec_lo, s0
	s_cbranch_vccnz .LBB182_3234
; %bb.3219:
	s_sext_i32_i16 s1, s18
	s_mov_b32 s0, -1
	s_cmp_lt_i32 s1, 2
	s_cbranch_scc1 .LBB182_3229
; %bb.3220:
	s_cmp_lt_i32 s1, 3
	s_cbranch_scc1 .LBB182_3226
; %bb.3221:
	s_cmp_gt_i32 s1, 3
	s_cbranch_scc0 .LBB182_3223
; %bb.3222:
	s_wait_loadcnt 0x0
	v_cvt_f32_f16_e32 v3, v2
	s_mov_b32 s0, 0
	s_delay_alu instid0(VALU_DEP_1) | instskip(NEXT) | instid1(VALU_DEP_1)
	v_cvt_i32_f32_e32 v4, v3
	v_ashrrev_i32_e32 v5, 31, v4
	global_store_b64 v[0:1], v[4:5], off
.LBB182_3223:
	s_and_not1_b32 vcc_lo, exec_lo, s0
	s_cbranch_vccnz .LBB182_3225
; %bb.3224:
	s_wait_loadcnt 0x0
	v_cvt_f32_f16_e32 v3, v2
	s_delay_alu instid0(VALU_DEP_1)
	v_cvt_i32_f32_e32 v3, v3
	global_store_b32 v[0:1], v3, off
.LBB182_3225:
	s_mov_b32 s0, 0
.LBB182_3226:
	s_delay_alu instid0(SALU_CYCLE_1)
	s_and_not1_b32 vcc_lo, exec_lo, s0
	s_cbranch_vccnz .LBB182_3228
; %bb.3227:
	s_wait_loadcnt 0x0
	v_cvt_i16_f16_e32 v3, v2
	global_store_b16 v[0:1], v3, off
.LBB182_3228:
	s_mov_b32 s0, 0
.LBB182_3229:
	s_delay_alu instid0(SALU_CYCLE_1)
	s_and_not1_b32 vcc_lo, exec_lo, s0
	s_cbranch_vccnz .LBB182_3234
; %bb.3230:
	s_sext_i32_i16 s0, s18
	s_delay_alu instid0(SALU_CYCLE_1)
	s_cmp_gt_i32 s0, 0
	s_mov_b32 s0, -1
	s_cbranch_scc0 .LBB182_3232
; %bb.3231:
	s_wait_loadcnt 0x0
	v_cvt_i16_f16_e32 v3, v2
	s_mov_b32 s0, 0
	global_store_b8 v[0:1], v3, off
.LBB182_3232:
	s_and_not1_b32 vcc_lo, exec_lo, s0
	s_cbranch_vccnz .LBB182_3234
; %bb.3233:
	s_wait_loadcnt 0x0
	v_cvt_f32_f16_e32 v2, v2
	s_delay_alu instid0(VALU_DEP_1)
	v_cvt_i32_f32_e32 v2, v2
	global_store_b8 v[0:1], v2, off
	s_endpgm
.LBB182_3234:
	s_endpgm
.LBB182_3235:
	s_mov_b32 s1, 0
	s_mov_b32 s0, -1
	s_branch .LBB182_3191
.LBB182_3236:
	s_or_b32 s14, s14, exec_lo
	s_trap 2
	s_cbranch_execz .LBB182_2705
	s_branch .LBB182_2706
.LBB182_3237:
	s_and_not1_saveexec_b32 s7, s7
	s_cbranch_execz .LBB182_2785
.LBB182_3238:
	v_add_f32_e64 v7, 0x46000000, |v6|
	s_and_not1_b32 s6, s6, exec_lo
	s_delay_alu instid0(VALU_DEP_1) | instskip(NEXT) | instid1(VALU_DEP_1)
	v_and_b32_e32 v7, 0xff, v7
	v_cmp_ne_u32_e32 vcc_lo, 0, v7
	s_and_b32 s8, vcc_lo, exec_lo
	s_delay_alu instid0(SALU_CYCLE_1)
	s_or_b32 s6, s6, s8
	s_or_b32 exec_lo, exec_lo, s7
	v_mov_b32_e32 v8, 0
	s_and_saveexec_b32 s7, s6
	s_cbranch_execnz .LBB182_2786
	s_branch .LBB182_2787
.LBB182_3239:
	s_or_b32 s14, s14, exec_lo
	s_trap 2
	s_cbranch_execz .LBB182_2833
	s_branch .LBB182_2834
.LBB182_3240:
	s_and_not1_saveexec_b32 s6, s6
	s_cbranch_execz .LBB182_2798
.LBB182_3241:
	v_add_f32_e64 v7, 0x42800000, |v6|
	s_and_not1_b32 s5, s5, exec_lo
	s_delay_alu instid0(VALU_DEP_1) | instskip(NEXT) | instid1(VALU_DEP_1)
	v_and_b32_e32 v7, 0xff, v7
	v_cmp_ne_u32_e32 vcc_lo, 0, v7
	s_and_b32 s7, vcc_lo, exec_lo
	s_delay_alu instid0(SALU_CYCLE_1)
	s_or_b32 s5, s5, s7
	s_or_b32 exec_lo, exec_lo, s6
	v_mov_b32_e32 v8, 0
	s_and_saveexec_b32 s6, s5
	s_cbranch_execnz .LBB182_2799
	s_branch .LBB182_2800
.LBB182_3242:
	s_and_not1_saveexec_b32 s8, s8
	s_cbranch_execz .LBB182_2904
.LBB182_3243:
	v_add_f32_e64 v7, 0x46000000, |v6|
	s_and_not1_b32 s7, s7, exec_lo
	s_delay_alu instid0(VALU_DEP_1) | instskip(NEXT) | instid1(VALU_DEP_1)
	v_and_b32_e32 v7, 0xff, v7
	v_cmp_ne_u32_e32 vcc_lo, 0, v7
	s_and_b32 s9, vcc_lo, exec_lo
	s_delay_alu instid0(SALU_CYCLE_1)
	s_or_b32 s7, s7, s9
	s_or_b32 exec_lo, exec_lo, s8
	v_mov_b32_e32 v8, 0
	s_and_saveexec_b32 s8, s7
	s_cbranch_execnz .LBB182_2905
	s_branch .LBB182_2906
.LBB182_3244:
	s_or_b32 s14, s14, exec_lo
	s_trap 2
	s_cbranch_execz .LBB182_2952
	s_branch .LBB182_2953
.LBB182_3245:
	s_and_not1_saveexec_b32 s7, s7
	s_cbranch_execz .LBB182_2917
.LBB182_3246:
	v_add_f32_e64 v7, 0x42800000, |v6|
	s_and_not1_b32 s6, s6, exec_lo
	s_delay_alu instid0(VALU_DEP_1) | instskip(NEXT) | instid1(VALU_DEP_1)
	v_and_b32_e32 v7, 0xff, v7
	v_cmp_ne_u32_e32 vcc_lo, 0, v7
	s_and_b32 s8, vcc_lo, exec_lo
	s_delay_alu instid0(SALU_CYCLE_1)
	s_or_b32 s6, s6, s8
	s_or_b32 exec_lo, exec_lo, s7
	v_mov_b32_e32 v8, 0
	s_and_saveexec_b32 s7, s6
	s_cbranch_execnz .LBB182_2918
	s_branch .LBB182_2919
.LBB182_3247:
	s_and_not1_saveexec_b32 s8, s8
	s_cbranch_execz .LBB182_3023
.LBB182_3248:
	v_add_f32_e64 v7, 0x46000000, |v6|
	s_and_not1_b32 s7, s7, exec_lo
	s_delay_alu instid0(VALU_DEP_1) | instskip(NEXT) | instid1(VALU_DEP_1)
	v_and_b32_e32 v7, 0xff, v7
	v_cmp_ne_u32_e32 vcc_lo, 0, v7
	s_and_b32 s9, vcc_lo, exec_lo
	s_delay_alu instid0(SALU_CYCLE_1)
	s_or_b32 s7, s7, s9
	s_or_b32 exec_lo, exec_lo, s8
	v_mov_b32_e32 v8, 0
	s_and_saveexec_b32 s8, s7
	s_cbranch_execnz .LBB182_3024
	s_branch .LBB182_3025
.LBB182_3249:
	s_or_b32 s14, s14, exec_lo
	s_trap 2
	s_cbranch_execz .LBB182_3071
	s_branch .LBB182_3072
.LBB182_3250:
	s_and_not1_saveexec_b32 s7, s7
	s_cbranch_execz .LBB182_3036
.LBB182_3251:
	v_add_f32_e64 v7, 0x42800000, |v6|
	s_and_not1_b32 s6, s6, exec_lo
	s_delay_alu instid0(VALU_DEP_1) | instskip(NEXT) | instid1(VALU_DEP_1)
	v_and_b32_e32 v7, 0xff, v7
	v_cmp_ne_u32_e32 vcc_lo, 0, v7
	s_and_b32 s8, vcc_lo, exec_lo
	s_delay_alu instid0(SALU_CYCLE_1)
	s_or_b32 s6, s6, s8
	s_or_b32 exec_lo, exec_lo, s7
	v_mov_b32_e32 v8, 0
	s_and_saveexec_b32 s7, s6
	s_cbranch_execnz .LBB182_3037
	s_branch .LBB182_3038
.LBB182_3252:
	s_and_not1_saveexec_b32 s5, s5
	s_cbranch_execz .LBB182_3143
.LBB182_3253:
	v_add_f32_e64 v4, 0x46000000, |v3|
	s_and_not1_b32 s4, s4, exec_lo
	s_delay_alu instid0(VALU_DEP_1) | instskip(NEXT) | instid1(VALU_DEP_1)
	v_and_b32_e32 v4, 0xff, v4
	v_cmp_ne_u32_e32 vcc_lo, 0, v4
	s_and_b32 s6, vcc_lo, exec_lo
	s_delay_alu instid0(SALU_CYCLE_1)
	s_or_b32 s4, s4, s6
	s_or_b32 exec_lo, exec_lo, s5
	v_mov_b32_e32 v5, 0
	s_and_saveexec_b32 s5, s4
	s_cbranch_execnz .LBB182_3144
	s_branch .LBB182_3145
.LBB182_3254:
	s_mov_b32 s1, 0
	s_or_b32 s14, s14, exec_lo
	s_trap 2
	s_branch .LBB182_3189
.LBB182_3255:
	s_and_not1_saveexec_b32 s4, s4
	s_cbranch_execz .LBB182_3155
.LBB182_3256:
	v_add_f32_e64 v4, 0x42800000, |v3|
	s_and_not1_b32 s3, s3, exec_lo
	s_delay_alu instid0(VALU_DEP_1) | instskip(NEXT) | instid1(VALU_DEP_1)
	v_and_b32_e32 v4, 0xff, v4
	v_cmp_ne_u32_e32 vcc_lo, 0, v4
	s_and_b32 s5, vcc_lo, exec_lo
	s_delay_alu instid0(SALU_CYCLE_1)
	s_or_b32 s3, s3, s5
	s_or_b32 exec_lo, exec_lo, s4
	v_mov_b32_e32 v5, 0
	s_and_saveexec_b32 s4, s3
	s_cbranch_execnz .LBB182_3156
	s_branch .LBB182_3157
	.section	.rodata,"a",@progbits
	.p2align	6, 0x0
	.amdhsa_kernel _ZN2at6native32elementwise_kernel_manual_unrollILi128ELi4EZNS0_15gpu_kernel_implIZZZNS0_12_GLOBAL__N_116addr_kernel_cudaERNS_14TensorIteratorERKN3c106ScalarES9_ENKUlvE_clEvENKUlvE9_clEvEUlNS6_4HalfESC_SC_E_EEvRNS_18TensorIteratorBaseERKT_EUlibE_EEviT1_
		.amdhsa_group_segment_fixed_size 0
		.amdhsa_private_segment_fixed_size 0
		.amdhsa_kernarg_size 64
		.amdhsa_user_sgpr_count 2
		.amdhsa_user_sgpr_dispatch_ptr 0
		.amdhsa_user_sgpr_queue_ptr 0
		.amdhsa_user_sgpr_kernarg_segment_ptr 1
		.amdhsa_user_sgpr_dispatch_id 0
		.amdhsa_user_sgpr_kernarg_preload_length 0
		.amdhsa_user_sgpr_kernarg_preload_offset 0
		.amdhsa_user_sgpr_private_segment_size 0
		.amdhsa_wavefront_size32 1
		.amdhsa_uses_dynamic_stack 0
		.amdhsa_enable_private_segment 0
		.amdhsa_system_sgpr_workgroup_id_x 1
		.amdhsa_system_sgpr_workgroup_id_y 0
		.amdhsa_system_sgpr_workgroup_id_z 0
		.amdhsa_system_sgpr_workgroup_info 0
		.amdhsa_system_vgpr_workitem_id 0
		.amdhsa_next_free_vgpr 18
		.amdhsa_next_free_sgpr 39
		.amdhsa_named_barrier_count 0
		.amdhsa_reserve_vcc 1
		.amdhsa_float_round_mode_32 0
		.amdhsa_float_round_mode_16_64 0
		.amdhsa_float_denorm_mode_32 3
		.amdhsa_float_denorm_mode_16_64 3
		.amdhsa_fp16_overflow 0
		.amdhsa_memory_ordered 1
		.amdhsa_forward_progress 1
		.amdhsa_inst_pref_size 255
		.amdhsa_round_robin_scheduling 0
		.amdhsa_exception_fp_ieee_invalid_op 0
		.amdhsa_exception_fp_denorm_src 0
		.amdhsa_exception_fp_ieee_div_zero 0
		.amdhsa_exception_fp_ieee_overflow 0
		.amdhsa_exception_fp_ieee_underflow 0
		.amdhsa_exception_fp_ieee_inexact 0
		.amdhsa_exception_int_div_zero 0
	.end_amdhsa_kernel
	.section	.text._ZN2at6native32elementwise_kernel_manual_unrollILi128ELi4EZNS0_15gpu_kernel_implIZZZNS0_12_GLOBAL__N_116addr_kernel_cudaERNS_14TensorIteratorERKN3c106ScalarES9_ENKUlvE_clEvENKUlvE9_clEvEUlNS6_4HalfESC_SC_E_EEvRNS_18TensorIteratorBaseERKT_EUlibE_EEviT1_,"axG",@progbits,_ZN2at6native32elementwise_kernel_manual_unrollILi128ELi4EZNS0_15gpu_kernel_implIZZZNS0_12_GLOBAL__N_116addr_kernel_cudaERNS_14TensorIteratorERKN3c106ScalarES9_ENKUlvE_clEvENKUlvE9_clEvEUlNS6_4HalfESC_SC_E_EEvRNS_18TensorIteratorBaseERKT_EUlibE_EEviT1_,comdat
.Lfunc_end182:
	.size	_ZN2at6native32elementwise_kernel_manual_unrollILi128ELi4EZNS0_15gpu_kernel_implIZZZNS0_12_GLOBAL__N_116addr_kernel_cudaERNS_14TensorIteratorERKN3c106ScalarES9_ENKUlvE_clEvENKUlvE9_clEvEUlNS6_4HalfESC_SC_E_EEvRNS_18TensorIteratorBaseERKT_EUlibE_EEviT1_, .Lfunc_end182-_ZN2at6native32elementwise_kernel_manual_unrollILi128ELi4EZNS0_15gpu_kernel_implIZZZNS0_12_GLOBAL__N_116addr_kernel_cudaERNS_14TensorIteratorERKN3c106ScalarES9_ENKUlvE_clEvENKUlvE9_clEvEUlNS6_4HalfESC_SC_E_EEvRNS_18TensorIteratorBaseERKT_EUlibE_EEviT1_
                                        ; -- End function
	.set _ZN2at6native32elementwise_kernel_manual_unrollILi128ELi4EZNS0_15gpu_kernel_implIZZZNS0_12_GLOBAL__N_116addr_kernel_cudaERNS_14TensorIteratorERKN3c106ScalarES9_ENKUlvE_clEvENKUlvE9_clEvEUlNS6_4HalfESC_SC_E_EEvRNS_18TensorIteratorBaseERKT_EUlibE_EEviT1_.num_vgpr, 18
	.set _ZN2at6native32elementwise_kernel_manual_unrollILi128ELi4EZNS0_15gpu_kernel_implIZZZNS0_12_GLOBAL__N_116addr_kernel_cudaERNS_14TensorIteratorERKN3c106ScalarES9_ENKUlvE_clEvENKUlvE9_clEvEUlNS6_4HalfESC_SC_E_EEvRNS_18TensorIteratorBaseERKT_EUlibE_EEviT1_.num_agpr, 0
	.set _ZN2at6native32elementwise_kernel_manual_unrollILi128ELi4EZNS0_15gpu_kernel_implIZZZNS0_12_GLOBAL__N_116addr_kernel_cudaERNS_14TensorIteratorERKN3c106ScalarES9_ENKUlvE_clEvENKUlvE9_clEvEUlNS6_4HalfESC_SC_E_EEvRNS_18TensorIteratorBaseERKT_EUlibE_EEviT1_.numbered_sgpr, 39
	.set _ZN2at6native32elementwise_kernel_manual_unrollILi128ELi4EZNS0_15gpu_kernel_implIZZZNS0_12_GLOBAL__N_116addr_kernel_cudaERNS_14TensorIteratorERKN3c106ScalarES9_ENKUlvE_clEvENKUlvE9_clEvEUlNS6_4HalfESC_SC_E_EEvRNS_18TensorIteratorBaseERKT_EUlibE_EEviT1_.num_named_barrier, 0
	.set _ZN2at6native32elementwise_kernel_manual_unrollILi128ELi4EZNS0_15gpu_kernel_implIZZZNS0_12_GLOBAL__N_116addr_kernel_cudaERNS_14TensorIteratorERKN3c106ScalarES9_ENKUlvE_clEvENKUlvE9_clEvEUlNS6_4HalfESC_SC_E_EEvRNS_18TensorIteratorBaseERKT_EUlibE_EEviT1_.private_seg_size, 0
	.set _ZN2at6native32elementwise_kernel_manual_unrollILi128ELi4EZNS0_15gpu_kernel_implIZZZNS0_12_GLOBAL__N_116addr_kernel_cudaERNS_14TensorIteratorERKN3c106ScalarES9_ENKUlvE_clEvENKUlvE9_clEvEUlNS6_4HalfESC_SC_E_EEvRNS_18TensorIteratorBaseERKT_EUlibE_EEviT1_.uses_vcc, 1
	.set _ZN2at6native32elementwise_kernel_manual_unrollILi128ELi4EZNS0_15gpu_kernel_implIZZZNS0_12_GLOBAL__N_116addr_kernel_cudaERNS_14TensorIteratorERKN3c106ScalarES9_ENKUlvE_clEvENKUlvE9_clEvEUlNS6_4HalfESC_SC_E_EEvRNS_18TensorIteratorBaseERKT_EUlibE_EEviT1_.uses_flat_scratch, 0
	.set _ZN2at6native32elementwise_kernel_manual_unrollILi128ELi4EZNS0_15gpu_kernel_implIZZZNS0_12_GLOBAL__N_116addr_kernel_cudaERNS_14TensorIteratorERKN3c106ScalarES9_ENKUlvE_clEvENKUlvE9_clEvEUlNS6_4HalfESC_SC_E_EEvRNS_18TensorIteratorBaseERKT_EUlibE_EEviT1_.has_dyn_sized_stack, 0
	.set _ZN2at6native32elementwise_kernel_manual_unrollILi128ELi4EZNS0_15gpu_kernel_implIZZZNS0_12_GLOBAL__N_116addr_kernel_cudaERNS_14TensorIteratorERKN3c106ScalarES9_ENKUlvE_clEvENKUlvE9_clEvEUlNS6_4HalfESC_SC_E_EEvRNS_18TensorIteratorBaseERKT_EUlibE_EEviT1_.has_recursion, 0
	.set _ZN2at6native32elementwise_kernel_manual_unrollILi128ELi4EZNS0_15gpu_kernel_implIZZZNS0_12_GLOBAL__N_116addr_kernel_cudaERNS_14TensorIteratorERKN3c106ScalarES9_ENKUlvE_clEvENKUlvE9_clEvEUlNS6_4HalfESC_SC_E_EEvRNS_18TensorIteratorBaseERKT_EUlibE_EEviT1_.has_indirect_call, 0
	.section	.AMDGPU.csdata,"",@progbits
; Kernel info:
; codeLenInByte = 67260
; TotalNumSgprs: 41
; NumVgprs: 18
; ScratchSize: 0
; MemoryBound: 0
; FloatMode: 240
; IeeeMode: 1
; LDSByteSize: 0 bytes/workgroup (compile time only)
; SGPRBlocks: 0
; VGPRBlocks: 1
; NumSGPRsForWavesPerEU: 41
; NumVGPRsForWavesPerEU: 18
; NamedBarCnt: 0
; Occupancy: 16
; WaveLimiterHint : 0
; COMPUTE_PGM_RSRC2:SCRATCH_EN: 0
; COMPUTE_PGM_RSRC2:USER_SGPR: 2
; COMPUTE_PGM_RSRC2:TRAP_HANDLER: 0
; COMPUTE_PGM_RSRC2:TGID_X_EN: 1
; COMPUTE_PGM_RSRC2:TGID_Y_EN: 0
; COMPUTE_PGM_RSRC2:TGID_Z_EN: 0
; COMPUTE_PGM_RSRC2:TIDIG_COMP_CNT: 0
	.section	.text._ZN2at6native32elementwise_kernel_manual_unrollILi128ELi4EZNS0_15gpu_kernel_implIZZZNS0_12_GLOBAL__N_116addr_kernel_cudaERNS_14TensorIteratorERKN3c106ScalarES9_ENKUlvE_clEvENKUlvE9_clEvEUlNS6_4HalfESC_SC_E_EEvRNS_18TensorIteratorBaseERKT_EUlibE0_EEviT1_,"axG",@progbits,_ZN2at6native32elementwise_kernel_manual_unrollILi128ELi4EZNS0_15gpu_kernel_implIZZZNS0_12_GLOBAL__N_116addr_kernel_cudaERNS_14TensorIteratorERKN3c106ScalarES9_ENKUlvE_clEvENKUlvE9_clEvEUlNS6_4HalfESC_SC_E_EEvRNS_18TensorIteratorBaseERKT_EUlibE0_EEviT1_,comdat
	.globl	_ZN2at6native32elementwise_kernel_manual_unrollILi128ELi4EZNS0_15gpu_kernel_implIZZZNS0_12_GLOBAL__N_116addr_kernel_cudaERNS_14TensorIteratorERKN3c106ScalarES9_ENKUlvE_clEvENKUlvE9_clEvEUlNS6_4HalfESC_SC_E_EEvRNS_18TensorIteratorBaseERKT_EUlibE0_EEviT1_ ; -- Begin function _ZN2at6native32elementwise_kernel_manual_unrollILi128ELi4EZNS0_15gpu_kernel_implIZZZNS0_12_GLOBAL__N_116addr_kernel_cudaERNS_14TensorIteratorERKN3c106ScalarES9_ENKUlvE_clEvENKUlvE9_clEvEUlNS6_4HalfESC_SC_E_EEvRNS_18TensorIteratorBaseERKT_EUlibE0_EEviT1_
	.p2align	8
	.type	_ZN2at6native32elementwise_kernel_manual_unrollILi128ELi4EZNS0_15gpu_kernel_implIZZZNS0_12_GLOBAL__N_116addr_kernel_cudaERNS_14TensorIteratorERKN3c106ScalarES9_ENKUlvE_clEvENKUlvE9_clEvEUlNS6_4HalfESC_SC_E_EEvRNS_18TensorIteratorBaseERKT_EUlibE0_EEviT1_,@function
_ZN2at6native32elementwise_kernel_manual_unrollILi128ELi4EZNS0_15gpu_kernel_implIZZZNS0_12_GLOBAL__N_116addr_kernel_cudaERNS_14TensorIteratorERKN3c106ScalarES9_ENKUlvE_clEvENKUlvE9_clEvEUlNS6_4HalfESC_SC_E_EEvRNS_18TensorIteratorBaseERKT_EUlibE0_EEviT1_: ; @_ZN2at6native32elementwise_kernel_manual_unrollILi128ELi4EZNS0_15gpu_kernel_implIZZZNS0_12_GLOBAL__N_116addr_kernel_cudaERNS_14TensorIteratorERKN3c106ScalarES9_ENKUlvE_clEvENKUlvE9_clEvEUlNS6_4HalfESC_SC_E_EEvRNS_18TensorIteratorBaseERKT_EUlibE0_EEviT1_
; %bb.0:
	s_clause 0x1
	s_load_b32 s15, s[0:1], 0x8
	s_load_b32 s40, s[0:1], 0x0
	s_bfe_u32 s2, ttmp6, 0x4000c
	s_and_b32 s3, ttmp6, 15
	s_add_co_i32 s2, s2, 1
	s_getreg_b32 s4, hwreg(HW_REG_IB_STS2, 6, 4)
	s_mul_i32 s2, ttmp9, s2
	s_mov_b32 s29, 0
	s_add_co_i32 s3, s3, s2
	s_cmp_eq_u32 s4, 0
	s_mov_b32 s24, -1
	s_cselect_b32 s2, ttmp9, s3
	s_mov_b32 s6, 0
	v_lshl_or_b32 v0, s2, 9, v0
	s_add_nc_u64 s[2:3], s[0:1], 8
	s_wait_xcnt 0x0
	s_mov_b32 s0, exec_lo
	s_delay_alu instid0(VALU_DEP_1) | instskip(SKIP_2) | instid1(SALU_CYCLE_1)
	v_or_b32_e32 v5, 0x180, v0
	s_wait_kmcnt 0x0
	s_add_co_i32 s28, s15, -1
	s_cmp_gt_u32 s28, 1
	s_cselect_b32 s30, -1, 0
	v_cmpx_le_i32_e64 s40, v5
	s_xor_b32 s31, exec_lo, s0
	s_cbranch_execz .LBB183_1670
; %bb.1:
	v_mov_b32_e32 v1, 0
	s_clause 0x7
	s_load_b128 s[8:11], s[2:3], 0x4
	s_load_b64 s[0:1], s[2:3], 0x14
	s_load_b32 s37, s[2:3], 0xc4
	s_load_b96 s[12:14], s[2:3], 0xcc
	s_load_b64 s[20:21], s[2:3], 0xdc
	s_load_b64 s[16:17], s[2:3], 0x1c8
	s_load_b32 s33, s[2:3], 0x1e8
	s_load_b128 s[4:7], s[2:3], 0x1d8
	s_cmp_lg_u32 s15, 0
	s_mov_b32 s19, 0
	s_cselect_b32 s41, -1, 0
	global_load_b32 v1, v1, s[2:3] offset:490
	s_min_u32 s39, s28, 15
	s_cmp_gt_u32 s15, 1
	s_mov_b32 s23, s19
	s_mov_b32 s45, s19
	;; [unrolled: 1-line block ×4, first 2 shown]
	s_cselect_b32 s38, -1, 0
	s_mov_b32 s42, s19
	s_wait_kmcnt 0x0
	s_mov_b32 s18, s9
	s_mov_b32 s22, s0
	s_mov_b32 s46, exec_lo
	s_wait_loadcnt 0x0
	v_readfirstlane_b32 s34, v1
	s_lshr_b32 s35, s34, 16
	s_lshr_b32 s36, s34, 8
	;; [unrolled: 1-line block ×3, first 2 shown]
	v_cmpx_gt_i32_e64 s40, v0
	s_cbranch_execz .LBB183_413
; %bb.2:
	s_and_not1_b32 vcc_lo, exec_lo, s30
	s_cbranch_vccnz .LBB183_8
; %bb.3:
	s_and_not1_b32 vcc_lo, exec_lo, s41
	s_cbranch_vccnz .LBB183_9
; %bb.4:
	v_dual_mov_b32 v2, 0 :: v_dual_mov_b32 v1, v0
	v_dual_mov_b32 v6, 0 :: v_dual_mov_b32 v4, 0
	s_add_co_i32 s0, s39, 1
	s_mov_b64 s[24:25], 0xffffffffffffffe0
	s_and_b32 s0, s0, 30
	s_add_nc_u64 s[24:25], s[2:3], s[24:25]
	s_mov_b64 s[26:27], s[2:3]
.LBB183_5:                              ; =>This Inner Loop Header: Depth=1
	s_clause 0x1
	s_load_b128 s[48:51], s[26:27], 0x4
	s_load_b64 s[42:43], s[26:27], 0x14
	s_load_b32 s44, s[24:25], 0xe4
	s_add_co_i32 s0, s0, -2
	s_wait_xcnt 0x0
	s_add_nc_u64 s[26:27], s[26:27], 24
	s_cmp_lg_u32 s0, 0
	s_wait_kmcnt 0x0
	v_mul_hi_u32 v3, s49, v1
	s_delay_alu instid0(VALU_DEP_1) | instskip(NEXT) | instid1(VALU_DEP_1)
	v_add_nc_u32_e32 v3, v1, v3
	v_lshrrev_b32_e32 v3, s50, v3
	s_delay_alu instid0(VALU_DEP_1) | instskip(SKIP_2) | instid1(VALU_DEP_1)
	v_mul_hi_u32 v5, s42, v3
	v_mul_lo_u32 v7, v3, s48
	s_load_b96 s[48:50], s[24:25], 0xec
	v_dual_add_nc_u32 v5, v3, v5 :: v_dual_sub_nc_u32 v7, v1, v7
	s_delay_alu instid0(VALU_DEP_1) | instskip(SKIP_1) | instid1(VALU_DEP_2)
	v_lshrrev_b32_e32 v1, s43, v5
	s_load_b64 s[42:43], s[24:25], 0xfc
	v_mad_u32 v2, v7, s44, v2
	s_wait_xcnt 0x0
	s_add_nc_u64 s[24:25], s[24:25], 32
	v_mul_lo_u32 v5, v1, s51
	s_wait_kmcnt 0x0
	v_mad_u32 v4, v7, s49, v4
	v_mad_u32 v6, v7, s48, v6
	s_delay_alu instid0(VALU_DEP_3) | instskip(NEXT) | instid1(VALU_DEP_1)
	v_sub_nc_u32_e32 v3, v3, v5
	v_mad_u32 v2, v3, s50, v2
	s_delay_alu instid0(VALU_DEP_4) | instskip(NEXT) | instid1(VALU_DEP_4)
	v_mad_u32 v4, v3, s43, v4
	v_mad_u32 v6, v3, s42, v6
	s_cbranch_scc1 .LBB183_5
; %bb.6:
	s_bitcmp1_b32 s39, 0
	s_cselect_b32 s0, -1, 0
	s_delay_alu instid0(SALU_CYCLE_1)
	s_and_b32 vcc_lo, exec_lo, s0
	s_cbranch_vccnz .LBB183_10
; %bb.7:
	s_load_b96 s[48:50], s[26:27], 0x4
	s_load_b32 s0, s[24:25], 0xe4
	s_wait_xcnt 0x0
	s_load_b64 s[26:27], s[24:25], 0xec
	s_wait_kmcnt 0x0
	v_mul_hi_u32 v3, s49, v1
	s_delay_alu instid0(VALU_DEP_1) | instskip(NEXT) | instid1(VALU_DEP_1)
	v_add_nc_u32_e32 v3, v1, v3
	v_lshrrev_b32_e32 v3, s50, v3
	s_delay_alu instid0(VALU_DEP_1) | instskip(NEXT) | instid1(VALU_DEP_1)
	v_mul_lo_u32 v3, v3, s48
	v_sub_nc_u32_e32 v1, v1, v3
	s_delay_alu instid0(VALU_DEP_1)
	v_mad_u32 v2, v1, s0, v2
	v_mad_u32 v6, v1, s26, v6
	;; [unrolled: 1-line block ×3, first 2 shown]
	s_cbranch_execz .LBB183_11
	s_branch .LBB183_13
.LBB183_8:
                                        ; implicit-def: $vgpr4
                                        ; implicit-def: $vgpr6
                                        ; implicit-def: $vgpr2
	s_branch .LBB183_11
.LBB183_9:
	v_dual_mov_b32 v4, 0 :: v_dual_mov_b32 v6, 0
	v_mov_b32_e32 v2, 0
.LBB183_10:
	s_cbranch_execnz .LBB183_13
.LBB183_11:
	v_mov_b32_e32 v1, 0
	s_and_not1_b32 vcc_lo, exec_lo, s38
	s_delay_alu instid0(VALU_DEP_1) | instskip(NEXT) | instid1(VALU_DEP_1)
	v_mul_u64_e32 v[2:3], s[18:19], v[0:1]
	v_add_nc_u32_e32 v2, v0, v3
	s_delay_alu instid0(VALU_DEP_1) | instskip(NEXT) | instid1(VALU_DEP_1)
	v_lshrrev_b32_e32 v8, s10, v2
	v_mul_lo_u32 v2, v8, s8
	s_delay_alu instid0(VALU_DEP_1) | instskip(NEXT) | instid1(VALU_DEP_1)
	v_sub_nc_u32_e32 v3, v0, v2
	v_mul_lo_u32 v2, v3, s37
	v_mul_lo_u32 v4, v3, s13
	;; [unrolled: 1-line block ×3, first 2 shown]
	s_cbranch_vccnz .LBB183_13
; %bb.12:
	v_mov_b32_e32 v9, v1
	s_delay_alu instid0(VALU_DEP_1) | instskip(NEXT) | instid1(VALU_DEP_1)
	v_mul_u64_e32 v[10:11], s[22:23], v[8:9]
	v_add_nc_u32_e32 v1, v8, v11
	s_delay_alu instid0(VALU_DEP_1) | instskip(NEXT) | instid1(VALU_DEP_1)
	v_lshrrev_b32_e32 v1, s1, v1
	v_mul_lo_u32 v1, v1, s11
	s_delay_alu instid0(VALU_DEP_1) | instskip(NEXT) | instid1(VALU_DEP_1)
	v_sub_nc_u32_e32 v1, v8, v1
	v_mad_u32 v2, v1, s14, v2
	v_mad_u32 v6, v1, s20, v6
	;; [unrolled: 1-line block ×3, first 2 shown]
.LBB183_13:
	s_and_b32 s24, s36, 0xff
	s_delay_alu instid0(SALU_CYCLE_1)
	s_cmp_lt_i32 s24, 23
	s_cbranch_scc1 .LBB183_17
; %bb.14:
	s_and_b32 s26, 0xffff, s24
	s_delay_alu instid0(SALU_CYCLE_1)
	s_cmp_gt_i32 s26, 43
	s_cbranch_scc0 .LBB183_18
; %bb.15:
	s_cmp_gt_i32 s26, 45
	s_cbranch_scc0 .LBB183_19
; %bb.16:
	s_cmp_eq_u32 s26, 46
	s_mov_b32 s27, 0
	s_mov_b32 s25, -1
	s_cselect_b32 s0, -1, 0
	s_branch .LBB183_20
.LBB183_17:
	s_mov_b32 s25, 0
	s_mov_b32 s0, 0
	s_cbranch_execnz .LBB183_25
	s_branch .LBB183_29
.LBB183_18:
	s_mov_b32 s25, 0
	s_mov_b32 s0, 0
	s_cbranch_execnz .LBB183_23
	s_branch .LBB183_24
.LBB183_19:
	s_mov_b32 s27, -1
	s_mov_b32 s25, 0
	s_mov_b32 s0, 0
.LBB183_20:
	s_and_not1_b32 vcc_lo, exec_lo, s27
	s_cbranch_vccnz .LBB183_22
; %bb.21:
	s_cmp_eq_u32 s26, 44
	s_cselect_b32 s0, -1, 0
	s_cmp_lg_u32 s26, 44
	s_cselect_b32 s25, -1, 0
.LBB183_22:
	s_branch .LBB183_24
.LBB183_23:
	s_cmp_lt_i32 s26, 30
	s_cselect_b32 s0, -1, 0
	s_cmp_gt_i32 s26, 29
	s_cselect_b32 s25, -1, 0
.LBB183_24:
	s_branch .LBB183_29
.LBB183_25:
	s_and_b32 s24, 0xffff, s24
	s_mov_b32 s26, -1
	s_cmp_gt_i32 s24, 14
	s_cbranch_scc0 .LBB183_27
; %bb.26:
	s_cmp_eq_u32 s24, 15
	s_mov_b32 s26, 0
	s_cselect_b32 s0, -1, 0
	s_cmp_lg_u32 s24, 15
	s_cselect_b32 s25, -1, 0
.LBB183_27:
	s_and_not1_b32 vcc_lo, exec_lo, s26
	s_cbranch_vccnz .LBB183_29
; %bb.28:
	s_cmp_lt_i32 s24, 12
	s_cselect_b32 s0, -1, 0
	s_cmp_gt_i32 s24, 11
	s_cselect_b32 s25, -1, 0
.LBB183_29:
	s_and_b32 vcc_lo, exec_lo, s0
	s_cbranch_vccz .LBB183_37
; %bb.30:
	v_mov_b32_e32 v7, 0
	s_and_b32 s0, s35, 0xff
	s_delay_alu instid0(SALU_CYCLE_1) | instskip(NEXT) | instid1(VALU_DEP_1)
	s_cmp_lt_i32 s0, 11
	v_add_nc_u64_e32 v[6:7], s[4:5], v[6:7]
	s_cbranch_scc1 .LBB183_39
; %bb.31:
	s_and_b32 s25, 0xffff, s0
	s_delay_alu instid0(SALU_CYCLE_1)
	s_cmp_gt_i32 s25, 25
	s_cbranch_scc0 .LBB183_40
; %bb.32:
	s_cmp_gt_i32 s25, 28
	s_cbranch_scc0 .LBB183_41
; %bb.33:
	;; [unrolled: 3-line block ×4, first 2 shown]
	s_cmp_eq_u32 s25, 46
	s_mov_b32 s27, 0
	s_cbranch_scc0 .LBB183_44
; %bb.36:
	global_load_b32 v1, v[6:7], off
	s_mov_b32 s26, -1
	s_mov_b32 s24, 0
	s_wait_loadcnt 0x0
	v_lshlrev_b32_e32 v1, 16, v1
	s_delay_alu instid0(VALU_DEP_1)
	v_cvt_f16_f32_e32 v1, v1
	s_branch .LBB183_46
.LBB183_37:
	s_mov_b32 s0, 0
	s_mov_b32 s26, 0
	;; [unrolled: 1-line block ×3, first 2 shown]
.LBB183_38:
	s_mov_b32 s27, 0
                                        ; implicit-def: $vgpr0
	s_branch .LBB183_412
.LBB183_39:
	s_mov_b32 s24, 0
	s_mov_b32 s26, 0
                                        ; implicit-def: $vgpr1
	s_cbranch_execnz .LBB183_111
	s_branch .LBB183_159
.LBB183_40:
	s_mov_b32 s27, -1
	s_mov_b32 s24, 0
	s_mov_b32 s26, 0
                                        ; implicit-def: $vgpr1
	s_branch .LBB183_75
.LBB183_41:
	s_mov_b32 s27, -1
	s_mov_b32 s24, 0
	s_mov_b32 s26, 0
                                        ; implicit-def: $vgpr1
	s_branch .LBB183_56
.LBB183_42:
	s_mov_b32 s27, -1
	s_mov_b32 s24, 0
	s_mov_b32 s26, 0
                                        ; implicit-def: $vgpr1
	s_branch .LBB183_51
.LBB183_43:
	s_mov_b32 s27, -1
	s_mov_b32 s24, 0
	s_branch .LBB183_45
.LBB183_44:
	s_mov_b32 s24, -1
.LBB183_45:
	s_mov_b32 s26, 0
                                        ; implicit-def: $vgpr1
.LBB183_46:
	s_and_b32 vcc_lo, exec_lo, s27
	s_cbranch_vccz .LBB183_50
; %bb.47:
	s_cmp_eq_u32 s25, 44
	s_cbranch_scc0 .LBB183_49
; %bb.48:
	global_load_u8 v1, v[6:7], off
	s_mov_b32 s24, 0
	s_mov_b32 s26, -1
	s_wait_loadcnt 0x0
	v_lshlrev_b32_e32 v3, 23, v1
	v_cmp_ne_u32_e32 vcc_lo, 0xff, v1
	s_delay_alu instid0(VALU_DEP_2) | instskip(NEXT) | instid1(VALU_DEP_1)
	v_cvt_f16_f32_e32 v3, v3
	v_cndmask_b32_e32 v3, 0x7e00, v3, vcc_lo
	v_cmp_ne_u32_e32 vcc_lo, 0, v1
	s_delay_alu instid0(VALU_DEP_2)
	v_cndmask_b32_e32 v1, 0, v3, vcc_lo
	s_branch .LBB183_50
.LBB183_49:
	s_mov_b32 s24, -1
                                        ; implicit-def: $vgpr1
.LBB183_50:
	s_mov_b32 s27, 0
.LBB183_51:
	s_delay_alu instid0(SALU_CYCLE_1)
	s_and_b32 vcc_lo, exec_lo, s27
	s_cbranch_vccz .LBB183_55
; %bb.52:
	s_cmp_eq_u32 s25, 29
	s_cbranch_scc0 .LBB183_54
; %bb.53:
	global_load_b64 v[8:9], v[6:7], off
	s_mov_b32 s26, -1
	s_mov_b32 s24, 0
	s_mov_b32 s27, 0
	s_wait_loadcnt 0x0
	v_clz_i32_u32_e32 v1, v9
	s_delay_alu instid0(VALU_DEP_1) | instskip(NEXT) | instid1(VALU_DEP_1)
	v_min_u32_e32 v1, 32, v1
	v_lshlrev_b64_e32 v[8:9], v1, v[8:9]
	v_sub_nc_u32_e32 v1, 32, v1
	s_delay_alu instid0(VALU_DEP_2) | instskip(NEXT) | instid1(VALU_DEP_1)
	v_min_u32_e32 v3, 1, v8
	v_or_b32_e32 v3, v9, v3
	s_delay_alu instid0(VALU_DEP_1) | instskip(NEXT) | instid1(VALU_DEP_1)
	v_cvt_f32_u32_e32 v3, v3
	v_ldexp_f32 v1, v3, v1
	s_delay_alu instid0(VALU_DEP_1)
	v_cvt_f16_f32_e32 v1, v1
	s_branch .LBB183_56
.LBB183_54:
	s_mov_b32 s24, -1
                                        ; implicit-def: $vgpr1
.LBB183_55:
	s_mov_b32 s27, 0
.LBB183_56:
	s_delay_alu instid0(SALU_CYCLE_1)
	s_and_b32 vcc_lo, exec_lo, s27
	s_cbranch_vccz .LBB183_74
; %bb.57:
	s_cmp_lt_i32 s25, 27
	s_cbranch_scc1 .LBB183_60
; %bb.58:
	s_cmp_gt_i32 s25, 27
	s_cbranch_scc0 .LBB183_61
; %bb.59:
	global_load_b32 v1, v[6:7], off
	s_mov_b32 s26, 0
	s_wait_loadcnt 0x0
	v_cvt_f32_u32_e32 v1, v1
	s_delay_alu instid0(VALU_DEP_1)
	v_cvt_f16_f32_e32 v1, v1
	s_branch .LBB183_62
.LBB183_60:
	s_mov_b32 s26, -1
                                        ; implicit-def: $vgpr1
	s_branch .LBB183_65
.LBB183_61:
	s_mov_b32 s26, -1
                                        ; implicit-def: $vgpr1
.LBB183_62:
	s_delay_alu instid0(SALU_CYCLE_1)
	s_and_not1_b32 vcc_lo, exec_lo, s26
	s_cbranch_vccnz .LBB183_64
; %bb.63:
	global_load_u16 v1, v[6:7], off
	s_wait_loadcnt 0x0
	v_cvt_f16_u16_e32 v1, v1
.LBB183_64:
	s_mov_b32 s26, 0
.LBB183_65:
	s_delay_alu instid0(SALU_CYCLE_1)
	s_and_not1_b32 vcc_lo, exec_lo, s26
	s_cbranch_vccnz .LBB183_73
; %bb.66:
	global_load_u8 v3, v[6:7], off
	s_mov_b32 s26, 0
	s_mov_b32 s27, exec_lo
	s_wait_loadcnt 0x0
	v_cmpx_lt_i16_e32 0x7f, v3
	s_xor_b32 s27, exec_lo, s27
	s_cbranch_execz .LBB183_87
; %bb.67:
	s_mov_b32 s26, -1
	s_mov_b32 s42, exec_lo
	v_cmpx_eq_u16_e32 0x80, v3
; %bb.68:
	s_xor_b32 s26, exec_lo, -1
; %bb.69:
	s_or_b32 exec_lo, exec_lo, s42
	s_delay_alu instid0(SALU_CYCLE_1)
	s_and_b32 s26, s26, exec_lo
	s_or_saveexec_b32 s27, s27
	v_mov_b32_e32 v1, 0x7e00
	s_xor_b32 exec_lo, exec_lo, s27
	s_cbranch_execnz .LBB183_88
.LBB183_70:
	s_or_b32 exec_lo, exec_lo, s27
	s_and_saveexec_b32 s27, s26
	s_cbranch_execz .LBB183_72
.LBB183_71:
	v_and_b32_e32 v1, 0xffff, v3
	s_delay_alu instid0(VALU_DEP_1) | instskip(SKIP_1) | instid1(VALU_DEP_2)
	v_and_b32_e32 v5, 7, v1
	v_bfe_u32 v10, v1, 3, 4
	v_clz_i32_u32_e32 v8, v5
	s_delay_alu instid0(VALU_DEP_2) | instskip(NEXT) | instid1(VALU_DEP_2)
	v_cmp_eq_u32_e32 vcc_lo, 0, v10
	v_min_u32_e32 v8, 32, v8
	s_delay_alu instid0(VALU_DEP_1) | instskip(NEXT) | instid1(VALU_DEP_1)
	v_subrev_nc_u32_e32 v9, 28, v8
	v_dual_lshlrev_b32 v1, v9, v1 :: v_dual_sub_nc_u32 v8, 29, v8
	s_delay_alu instid0(VALU_DEP_1) | instskip(NEXT) | instid1(VALU_DEP_1)
	v_dual_lshlrev_b32 v3, 24, v3 :: v_dual_bitop2_b32 v1, 7, v1 bitop3:0x40
	v_dual_cndmask_b32 v8, v10, v8 :: v_dual_cndmask_b32 v1, v5, v1
	s_delay_alu instid0(VALU_DEP_2) | instskip(NEXT) | instid1(VALU_DEP_2)
	v_and_b32_e32 v3, 0x80000000, v3
	v_lshl_add_u32 v5, v8, 23, 0x3b800000
	s_delay_alu instid0(VALU_DEP_3) | instskip(NEXT) | instid1(VALU_DEP_1)
	v_lshlrev_b32_e32 v1, 20, v1
	v_or3_b32 v1, v3, v5, v1
	s_delay_alu instid0(VALU_DEP_1)
	v_cvt_f16_f32_e32 v1, v1
.LBB183_72:
	s_or_b32 exec_lo, exec_lo, s27
.LBB183_73:
	s_mov_b32 s26, -1
.LBB183_74:
	s_mov_b32 s27, 0
.LBB183_75:
	s_delay_alu instid0(SALU_CYCLE_1)
	s_and_b32 vcc_lo, exec_lo, s27
	s_cbranch_vccz .LBB183_110
; %bb.76:
	s_cmp_gt_i32 s25, 22
	s_cbranch_scc0 .LBB183_86
; %bb.77:
	s_cmp_lt_i32 s25, 24
	s_cbranch_scc1 .LBB183_89
; %bb.78:
	s_cmp_gt_i32 s25, 24
	s_cbranch_scc0 .LBB183_90
; %bb.79:
	global_load_u8 v3, v[6:7], off
	s_mov_b32 s26, 0
	s_mov_b32 s27, exec_lo
	s_wait_loadcnt 0x0
	v_cmpx_lt_i16_e32 0x7f, v3
	s_xor_b32 s27, exec_lo, s27
	s_cbranch_execz .LBB183_102
; %bb.80:
	s_mov_b32 s26, -1
	s_mov_b32 s42, exec_lo
	v_cmpx_eq_u16_e32 0x80, v3
; %bb.81:
	s_xor_b32 s26, exec_lo, -1
; %bb.82:
	s_or_b32 exec_lo, exec_lo, s42
	s_delay_alu instid0(SALU_CYCLE_1)
	s_and_b32 s26, s26, exec_lo
	s_or_saveexec_b32 s27, s27
	v_mov_b32_e32 v1, 0x7e00
	s_xor_b32 exec_lo, exec_lo, s27
	s_cbranch_execnz .LBB183_103
.LBB183_83:
	s_or_b32 exec_lo, exec_lo, s27
	s_and_saveexec_b32 s27, s26
	s_cbranch_execz .LBB183_85
.LBB183_84:
	v_and_b32_e32 v1, 0xffff, v3
	s_delay_alu instid0(VALU_DEP_1) | instskip(SKIP_1) | instid1(VALU_DEP_2)
	v_and_b32_e32 v5, 3, v1
	v_bfe_u32 v10, v1, 2, 5
	v_clz_i32_u32_e32 v8, v5
	s_delay_alu instid0(VALU_DEP_2) | instskip(NEXT) | instid1(VALU_DEP_2)
	v_cmp_eq_u32_e32 vcc_lo, 0, v10
	v_min_u32_e32 v8, 32, v8
	s_delay_alu instid0(VALU_DEP_1) | instskip(NEXT) | instid1(VALU_DEP_1)
	v_subrev_nc_u32_e32 v9, 29, v8
	v_dual_lshlrev_b32 v1, v9, v1 :: v_dual_sub_nc_u32 v8, 30, v8
	s_delay_alu instid0(VALU_DEP_1) | instskip(NEXT) | instid1(VALU_DEP_1)
	v_dual_lshlrev_b32 v3, 24, v3 :: v_dual_bitop2_b32 v1, 3, v1 bitop3:0x40
	v_dual_cndmask_b32 v8, v10, v8 :: v_dual_cndmask_b32 v1, v5, v1
	s_delay_alu instid0(VALU_DEP_2) | instskip(NEXT) | instid1(VALU_DEP_2)
	v_and_b32_e32 v3, 0x80000000, v3
	v_lshl_add_u32 v5, v8, 23, 0x37800000
	s_delay_alu instid0(VALU_DEP_3) | instskip(NEXT) | instid1(VALU_DEP_1)
	v_lshlrev_b32_e32 v1, 21, v1
	v_or3_b32 v1, v3, v5, v1
	s_delay_alu instid0(VALU_DEP_1)
	v_cvt_f16_f32_e32 v1, v1
.LBB183_85:
	s_or_b32 exec_lo, exec_lo, s27
	s_mov_b32 s26, 0
	s_branch .LBB183_91
.LBB183_86:
	s_mov_b32 s27, -1
                                        ; implicit-def: $vgpr1
	s_branch .LBB183_97
.LBB183_87:
	s_or_saveexec_b32 s27, s27
	v_mov_b32_e32 v1, 0x7e00
	s_xor_b32 exec_lo, exec_lo, s27
	s_cbranch_execz .LBB183_70
.LBB183_88:
	v_cmp_ne_u16_e32 vcc_lo, 0, v3
	v_mov_b32_e32 v1, v3
	s_and_not1_b32 s26, s26, exec_lo
	s_and_b32 s42, vcc_lo, exec_lo
	s_delay_alu instid0(SALU_CYCLE_1)
	s_or_b32 s26, s26, s42
	s_or_b32 exec_lo, exec_lo, s27
	s_and_saveexec_b32 s27, s26
	s_cbranch_execnz .LBB183_71
	s_branch .LBB183_72
.LBB183_89:
	s_mov_b32 s26, -1
                                        ; implicit-def: $vgpr1
	s_branch .LBB183_94
.LBB183_90:
	s_mov_b32 s26, -1
                                        ; implicit-def: $vgpr1
.LBB183_91:
	s_delay_alu instid0(SALU_CYCLE_1)
	s_and_b32 vcc_lo, exec_lo, s26
	s_cbranch_vccz .LBB183_93
; %bb.92:
	global_load_u8 v1, v[6:7], off
	s_wait_loadcnt 0x0
	v_lshlrev_b32_e32 v1, 24, v1
	s_delay_alu instid0(VALU_DEP_1) | instskip(NEXT) | instid1(VALU_DEP_1)
	v_and_b32_e32 v3, 0x7f000000, v1
	v_clz_i32_u32_e32 v5, v3
	v_add_nc_u32_e32 v9, 0x1000000, v3
	v_cmp_ne_u32_e32 vcc_lo, 0, v3
	s_delay_alu instid0(VALU_DEP_3) | instskip(NEXT) | instid1(VALU_DEP_1)
	v_min_u32_e32 v5, 32, v5
	v_sub_nc_u32_e64 v5, v5, 4 clamp
	s_delay_alu instid0(VALU_DEP_1) | instskip(NEXT) | instid1(VALU_DEP_1)
	v_dual_lshlrev_b32 v8, v5, v3 :: v_dual_lshlrev_b32 v5, 23, v5
	v_lshrrev_b32_e32 v8, 4, v8
	s_delay_alu instid0(VALU_DEP_1) | instskip(SKIP_1) | instid1(VALU_DEP_2)
	v_sub_nc_u32_e32 v5, v8, v5
	v_ashrrev_i32_e32 v8, 8, v9
	v_add_nc_u32_e32 v5, 0x3c000000, v5
	s_delay_alu instid0(VALU_DEP_1) | instskip(NEXT) | instid1(VALU_DEP_1)
	v_and_or_b32 v5, 0x7f800000, v8, v5
	v_cndmask_b32_e32 v3, 0, v5, vcc_lo
	s_delay_alu instid0(VALU_DEP_1) | instskip(NEXT) | instid1(VALU_DEP_1)
	v_and_or_b32 v1, 0x80000000, v1, v3
	v_cvt_f16_f32_e32 v1, v1
.LBB183_93:
	s_mov_b32 s26, 0
.LBB183_94:
	s_delay_alu instid0(SALU_CYCLE_1)
	s_and_not1_b32 vcc_lo, exec_lo, s26
	s_cbranch_vccnz .LBB183_96
; %bb.95:
	global_load_u8 v1, v[6:7], off
	s_wait_loadcnt 0x0
	v_lshlrev_b32_e32 v3, 25, v1
	v_lshlrev_b16 v1, 8, v1
	s_delay_alu instid0(VALU_DEP_1) | instskip(SKIP_1) | instid1(VALU_DEP_2)
	v_and_or_b32 v8, 0x7f00, v1, 0.5
	v_bfe_i32 v1, v1, 0, 16
	v_dual_add_f32 v8, -0.5, v8 :: v_dual_lshrrev_b32 v5, 4, v3
	v_cmp_gt_u32_e32 vcc_lo, 0x8000000, v3
	s_delay_alu instid0(VALU_DEP_2) | instskip(NEXT) | instid1(VALU_DEP_1)
	v_or_b32_e32 v5, 0x70000000, v5
	v_mul_f32_e32 v5, 0x7800000, v5
	s_delay_alu instid0(VALU_DEP_1) | instskip(NEXT) | instid1(VALU_DEP_1)
	v_cndmask_b32_e32 v3, v5, v8, vcc_lo
	v_and_or_b32 v1, 0x80000000, v1, v3
	s_delay_alu instid0(VALU_DEP_1)
	v_cvt_f16_f32_e32 v1, v1
.LBB183_96:
	s_mov_b32 s27, 0
	s_mov_b32 s26, -1
.LBB183_97:
	s_and_not1_b32 vcc_lo, exec_lo, s27
	s_cbranch_vccnz .LBB183_110
; %bb.98:
	s_cmp_gt_i32 s25, 14
	s_cbranch_scc0 .LBB183_101
; %bb.99:
	s_cmp_eq_u32 s25, 15
	s_cbranch_scc0 .LBB183_104
; %bb.100:
	global_load_u16 v1, v[6:7], off
	s_mov_b32 s26, -1
	s_mov_b32 s24, 0
	s_wait_loadcnt 0x0
	v_lshlrev_b32_e32 v1, 16, v1
	s_delay_alu instid0(VALU_DEP_1)
	v_cvt_f16_f32_e32 v1, v1
	s_branch .LBB183_105
.LBB183_101:
	s_mov_b32 s27, -1
                                        ; implicit-def: $vgpr1
	s_branch .LBB183_106
.LBB183_102:
	s_or_saveexec_b32 s27, s27
	v_mov_b32_e32 v1, 0x7e00
	s_xor_b32 exec_lo, exec_lo, s27
	s_cbranch_execz .LBB183_83
.LBB183_103:
	v_cmp_ne_u16_e32 vcc_lo, 0, v3
	v_mov_b32_e32 v1, v3
	s_and_not1_b32 s26, s26, exec_lo
	s_and_b32 s42, vcc_lo, exec_lo
	s_delay_alu instid0(SALU_CYCLE_1)
	s_or_b32 s26, s26, s42
	s_or_b32 exec_lo, exec_lo, s27
	s_and_saveexec_b32 s27, s26
	s_cbranch_execnz .LBB183_84
	s_branch .LBB183_85
.LBB183_104:
	s_mov_b32 s24, -1
                                        ; implicit-def: $vgpr1
.LBB183_105:
	s_mov_b32 s27, 0
.LBB183_106:
	s_delay_alu instid0(SALU_CYCLE_1)
	s_and_b32 vcc_lo, exec_lo, s27
	s_cbranch_vccz .LBB183_110
; %bb.107:
	s_cmp_eq_u32 s25, 11
	s_cbranch_scc0 .LBB183_109
; %bb.108:
	global_load_u8 v1, v[6:7], off
	s_mov_b32 s24, 0
	s_mov_b32 s26, -1
	s_wait_loadcnt 0x0
	v_cmp_ne_u16_e32 vcc_lo, 0, v1
	v_cndmask_b32_e64 v1, 0, 0x3c00, vcc_lo
	s_branch .LBB183_110
.LBB183_109:
	s_mov_b32 s24, -1
                                        ; implicit-def: $vgpr1
.LBB183_110:
	s_branch .LBB183_159
.LBB183_111:
	s_and_b32 s0, 0xffff, s0
	s_delay_alu instid0(SALU_CYCLE_1)
	s_cmp_lt_i32 s0, 5
	s_cbranch_scc1 .LBB183_116
; %bb.112:
	s_cmp_lt_i32 s0, 8
	s_cbranch_scc1 .LBB183_117
; %bb.113:
	;; [unrolled: 3-line block ×3, first 2 shown]
	s_cmp_gt_i32 s0, 9
	s_cbranch_scc0 .LBB183_119
; %bb.115:
	global_load_b64 v[8:9], v[6:7], off
	s_mov_b32 s25, 0
	s_wait_loadcnt 0x0
	v_and_or_b32 v1, 0x1ff, v9, v8
	v_lshrrev_b32_e32 v3, 8, v9
	v_bfe_u32 v5, v9, 20, 11
	s_delay_alu instid0(VALU_DEP_3) | instskip(NEXT) | instid1(VALU_DEP_2)
	v_cmp_ne_u32_e32 vcc_lo, 0, v1
	v_sub_nc_u32_e32 v8, 0x3f1, v5
	v_add_nc_u32_e32 v5, 0xfffffc10, v5
	v_cndmask_b32_e64 v1, 0, 1, vcc_lo
	s_delay_alu instid0(VALU_DEP_1) | instskip(NEXT) | instid1(VALU_DEP_4)
	v_and_or_b32 v1, 0xffe, v3, v1
	v_med3_i32 v3, v8, 0, 13
	s_delay_alu instid0(VALU_DEP_2) | instskip(NEXT) | instid1(VALU_DEP_1)
	v_or_b32_e32 v8, 0x1000, v1
	v_lshrrev_b32_e32 v10, v3, v8
	s_delay_alu instid0(VALU_DEP_1) | instskip(NEXT) | instid1(VALU_DEP_1)
	v_lshlrev_b32_e32 v3, v3, v10
	v_cmp_ne_u32_e32 vcc_lo, v3, v8
	v_lshl_or_b32 v8, v5, 12, v1
	v_cndmask_b32_e64 v3, 0, 1, vcc_lo
	v_cmp_gt_i32_e32 vcc_lo, 1, v5
	s_delay_alu instid0(VALU_DEP_2) | instskip(NEXT) | instid1(VALU_DEP_1)
	v_or_b32_e32 v3, v10, v3
	v_cndmask_b32_e32 v3, v8, v3, vcc_lo
	s_delay_alu instid0(VALU_DEP_1) | instskip(NEXT) | instid1(VALU_DEP_1)
	v_dual_lshrrev_b32 v3, 2, v3 :: v_dual_bitop2_b32 v8, 7, v3 bitop3:0x40
	v_cmp_lt_i32_e32 vcc_lo, 5, v8
	v_cndmask_b32_e64 v10, 0, 1, vcc_lo
	v_cmp_eq_u32_e32 vcc_lo, 3, v8
	v_cndmask_b32_e64 v8, 0, 1, vcc_lo
	v_cmp_ne_u32_e32 vcc_lo, 0, v1
	s_delay_alu instid0(VALU_DEP_2) | instskip(NEXT) | instid1(VALU_DEP_1)
	v_or_b32_e32 v8, v8, v10
	v_dual_mov_b32 v10, 0x7e00 :: v_dual_add_nc_u32 v3, v3, v8
	s_delay_alu instid0(VALU_DEP_1) | instskip(SKIP_1) | instid1(VALU_DEP_3)
	v_cndmask_b32_e32 v1, 0x7c00, v10, vcc_lo
	v_cmp_gt_i32_e32 vcc_lo, 31, v5
	v_cndmask_b32_e32 v3, 0x7c00, v3, vcc_lo
	v_cmp_eq_u32_e32 vcc_lo, 0x40f, v5
	s_delay_alu instid0(VALU_DEP_2) | instskip(SKIP_1) | instid1(VALU_DEP_1)
	v_cndmask_b32_e32 v1, v3, v1, vcc_lo
	v_lshrrev_b32_e32 v3, 16, v9
	v_and_or_b32 v1, 0x8000, v3, v1
	s_branch .LBB183_120
.LBB183_116:
	s_mov_b32 s25, -1
                                        ; implicit-def: $vgpr1
	s_branch .LBB183_138
.LBB183_117:
	s_mov_b32 s25, -1
                                        ; implicit-def: $vgpr1
	s_branch .LBB183_126
.LBB183_118:
	s_mov_b32 s25, -1
                                        ; implicit-def: $vgpr1
	s_branch .LBB183_123
.LBB183_119:
	s_mov_b32 s25, -1
                                        ; implicit-def: $vgpr1
.LBB183_120:
	s_delay_alu instid0(SALU_CYCLE_1)
	s_and_not1_b32 vcc_lo, exec_lo, s25
	s_cbranch_vccnz .LBB183_122
; %bb.121:
	global_load_b32 v1, v[6:7], off
	s_wait_loadcnt 0x0
	v_cvt_f16_f32_e32 v1, v1
.LBB183_122:
	s_mov_b32 s25, 0
.LBB183_123:
	s_delay_alu instid0(SALU_CYCLE_1)
	s_and_not1_b32 vcc_lo, exec_lo, s25
	s_cbranch_vccnz .LBB183_125
; %bb.124:
	global_load_b32 v1, v[6:7], off
.LBB183_125:
	s_mov_b32 s25, 0
.LBB183_126:
	s_delay_alu instid0(SALU_CYCLE_1)
	s_and_not1_b32 vcc_lo, exec_lo, s25
	s_cbranch_vccnz .LBB183_137
; %bb.127:
	s_cmp_lt_i32 s0, 6
	s_cbranch_scc1 .LBB183_130
; %bb.128:
	s_cmp_gt_i32 s0, 6
	s_cbranch_scc0 .LBB183_131
; %bb.129:
	global_load_b64 v[8:9], v[6:7], off
	s_mov_b32 s25, 0
	s_wait_loadcnt 0x0
	v_and_or_b32 v1, 0x1ff, v9, v8
	v_lshrrev_b32_e32 v3, 8, v9
	v_bfe_u32 v5, v9, 20, 11
	s_delay_alu instid0(VALU_DEP_3) | instskip(NEXT) | instid1(VALU_DEP_2)
	v_cmp_ne_u32_e32 vcc_lo, 0, v1
	v_sub_nc_u32_e32 v8, 0x3f1, v5
	v_add_nc_u32_e32 v5, 0xfffffc10, v5
	v_cndmask_b32_e64 v1, 0, 1, vcc_lo
	s_delay_alu instid0(VALU_DEP_1) | instskip(NEXT) | instid1(VALU_DEP_4)
	v_and_or_b32 v1, 0xffe, v3, v1
	v_med3_i32 v3, v8, 0, 13
	s_delay_alu instid0(VALU_DEP_2) | instskip(NEXT) | instid1(VALU_DEP_1)
	v_or_b32_e32 v8, 0x1000, v1
	v_lshrrev_b32_e32 v10, v3, v8
	s_delay_alu instid0(VALU_DEP_1) | instskip(NEXT) | instid1(VALU_DEP_1)
	v_lshlrev_b32_e32 v3, v3, v10
	v_cmp_ne_u32_e32 vcc_lo, v3, v8
	v_lshl_or_b32 v8, v5, 12, v1
	v_cndmask_b32_e64 v3, 0, 1, vcc_lo
	v_cmp_gt_i32_e32 vcc_lo, 1, v5
	s_delay_alu instid0(VALU_DEP_2) | instskip(NEXT) | instid1(VALU_DEP_1)
	v_or_b32_e32 v3, v10, v3
	v_cndmask_b32_e32 v3, v8, v3, vcc_lo
	s_delay_alu instid0(VALU_DEP_1) | instskip(NEXT) | instid1(VALU_DEP_1)
	v_dual_lshrrev_b32 v3, 2, v3 :: v_dual_bitop2_b32 v8, 7, v3 bitop3:0x40
	v_cmp_lt_i32_e32 vcc_lo, 5, v8
	v_cndmask_b32_e64 v10, 0, 1, vcc_lo
	v_cmp_eq_u32_e32 vcc_lo, 3, v8
	v_cndmask_b32_e64 v8, 0, 1, vcc_lo
	v_cmp_ne_u32_e32 vcc_lo, 0, v1
	s_delay_alu instid0(VALU_DEP_2) | instskip(NEXT) | instid1(VALU_DEP_1)
	v_or_b32_e32 v8, v8, v10
	v_dual_mov_b32 v10, 0x7e00 :: v_dual_add_nc_u32 v3, v3, v8
	s_delay_alu instid0(VALU_DEP_1) | instskip(SKIP_1) | instid1(VALU_DEP_3)
	v_cndmask_b32_e32 v1, 0x7c00, v10, vcc_lo
	v_cmp_gt_i32_e32 vcc_lo, 31, v5
	v_cndmask_b32_e32 v3, 0x7c00, v3, vcc_lo
	v_cmp_eq_u32_e32 vcc_lo, 0x40f, v5
	s_delay_alu instid0(VALU_DEP_2) | instskip(SKIP_1) | instid1(VALU_DEP_1)
	v_cndmask_b32_e32 v1, v3, v1, vcc_lo
	v_lshrrev_b32_e32 v3, 16, v9
	v_and_or_b32 v1, 0x8000, v3, v1
	s_branch .LBB183_132
.LBB183_130:
	s_mov_b32 s25, -1
                                        ; implicit-def: $vgpr1
	s_branch .LBB183_135
.LBB183_131:
	s_mov_b32 s25, -1
                                        ; implicit-def: $vgpr1
.LBB183_132:
	s_delay_alu instid0(SALU_CYCLE_1)
	s_and_not1_b32 vcc_lo, exec_lo, s25
	s_cbranch_vccnz .LBB183_134
; %bb.133:
	s_wait_loadcnt 0x0
	global_load_b32 v1, v[6:7], off
	s_wait_loadcnt 0x0
	v_cvt_f16_f32_e32 v1, v1
.LBB183_134:
	s_mov_b32 s25, 0
.LBB183_135:
	s_delay_alu instid0(SALU_CYCLE_1)
	s_and_not1_b32 vcc_lo, exec_lo, s25
	s_cbranch_vccnz .LBB183_137
; %bb.136:
	s_wait_loadcnt 0x0
	global_load_u16 v1, v[6:7], off
.LBB183_137:
	s_mov_b32 s25, 0
.LBB183_138:
	s_delay_alu instid0(SALU_CYCLE_1)
	s_and_not1_b32 vcc_lo, exec_lo, s25
	s_cbranch_vccnz .LBB183_158
; %bb.139:
	s_cmp_lt_i32 s0, 2
	s_cbranch_scc1 .LBB183_143
; %bb.140:
	s_cmp_lt_i32 s0, 3
	s_cbranch_scc1 .LBB183_144
; %bb.141:
	s_cmp_gt_i32 s0, 3
	s_cbranch_scc0 .LBB183_145
; %bb.142:
	global_load_b64 v[8:9], v[6:7], off
	s_mov_b32 s25, 0
	s_wait_loadcnt 0x0
	v_xor_b32_e32 v1, v8, v9
	v_cls_i32_e32 v3, v9
	s_delay_alu instid0(VALU_DEP_2) | instskip(NEXT) | instid1(VALU_DEP_1)
	v_ashrrev_i32_e32 v1, 31, v1
	v_add_nc_u32_e32 v1, 32, v1
	s_delay_alu instid0(VALU_DEP_1) | instskip(NEXT) | instid1(VALU_DEP_1)
	v_add_min_u32_e64 v1, v3, -1, v1
	v_lshlrev_b64_e32 v[8:9], v1, v[8:9]
	v_sub_nc_u32_e32 v1, 32, v1
	s_delay_alu instid0(VALU_DEP_2) | instskip(NEXT) | instid1(VALU_DEP_1)
	v_min_u32_e32 v3, 1, v8
	v_or_b32_e32 v3, v9, v3
	s_delay_alu instid0(VALU_DEP_1) | instskip(NEXT) | instid1(VALU_DEP_1)
	v_cvt_f32_i32_e32 v3, v3
	v_ldexp_f32 v1, v3, v1
	s_delay_alu instid0(VALU_DEP_1)
	v_cvt_f16_f32_e32 v1, v1
	s_branch .LBB183_146
.LBB183_143:
	s_mov_b32 s25, -1
                                        ; implicit-def: $vgpr1
	s_branch .LBB183_152
.LBB183_144:
	s_mov_b32 s25, -1
                                        ; implicit-def: $vgpr1
	s_branch .LBB183_149
.LBB183_145:
	s_mov_b32 s25, -1
                                        ; implicit-def: $vgpr1
.LBB183_146:
	s_delay_alu instid0(SALU_CYCLE_1)
	s_and_not1_b32 vcc_lo, exec_lo, s25
	s_cbranch_vccnz .LBB183_148
; %bb.147:
	s_wait_loadcnt 0x0
	global_load_b32 v1, v[6:7], off
	s_wait_loadcnt 0x0
	v_cvt_f32_i32_e32 v1, v1
	s_delay_alu instid0(VALU_DEP_1)
	v_cvt_f16_f32_e32 v1, v1
.LBB183_148:
	s_mov_b32 s25, 0
.LBB183_149:
	s_delay_alu instid0(SALU_CYCLE_1)
	s_and_not1_b32 vcc_lo, exec_lo, s25
	s_cbranch_vccnz .LBB183_151
; %bb.150:
	s_wait_loadcnt 0x0
	global_load_u16 v1, v[6:7], off
	s_wait_loadcnt 0x0
	v_cvt_f16_i16_e32 v1, v1
.LBB183_151:
	s_mov_b32 s25, 0
.LBB183_152:
	s_delay_alu instid0(SALU_CYCLE_1)
	s_and_not1_b32 vcc_lo, exec_lo, s25
	s_cbranch_vccnz .LBB183_158
; %bb.153:
	s_cmp_gt_i32 s0, 0
	s_mov_b32 s0, 0
	s_cbranch_scc0 .LBB183_155
; %bb.154:
	s_wait_loadcnt 0x0
	global_load_i8 v1, v[6:7], off
	s_wait_loadcnt 0x0
	v_cvt_f16_i16_e32 v1, v1
	s_branch .LBB183_156
.LBB183_155:
	s_mov_b32 s0, -1
                                        ; implicit-def: $vgpr1
.LBB183_156:
	s_delay_alu instid0(SALU_CYCLE_1)
	s_and_not1_b32 vcc_lo, exec_lo, s0
	s_cbranch_vccnz .LBB183_158
; %bb.157:
	s_wait_loadcnt 0x0
	global_load_u8 v1, v[6:7], off
	s_wait_loadcnt 0x0
	v_cvt_f16_u16_e32 v1, v1
.LBB183_158:
	s_mov_b32 s26, -1
.LBB183_159:
	s_mov_b32 s25, 0
	s_mov_b32 s0, 0
	s_and_not1_b32 vcc_lo, exec_lo, s26
	s_mov_b32 s26, 0
	s_mov_b32 s27, 0
	s_cbranch_vccnz .LBB183_412
; %bb.160:
	v_mov_b32_e32 v5, 0
	s_and_b32 s0, 0xffff, s9
	s_delay_alu instid0(SALU_CYCLE_1) | instskip(NEXT) | instid1(VALU_DEP_1)
	s_cmp_lt_i32 s0, 11
	v_add_nc_u64_e32 v[4:5], s[6:7], v[4:5]
	s_cbranch_scc1 .LBB183_167
; %bb.161:
	s_cmp_gt_i32 s0, 25
	s_cbranch_scc0 .LBB183_168
; %bb.162:
	s_cmp_gt_i32 s0, 28
	s_cbranch_scc0 .LBB183_169
	;; [unrolled: 3-line block ×4, first 2 shown]
; %bb.165:
	s_cmp_eq_u32 s0, 46
	s_mov_b32 s42, 0
	s_cbranch_scc0 .LBB183_172
; %bb.166:
	global_load_b32 v3, v[4:5], off
	s_mov_b32 s27, -1
	s_wait_loadcnt 0x0
	v_lshlrev_b32_e32 v3, 16, v3
	s_delay_alu instid0(VALU_DEP_1)
	v_cvt_f16_f32_e32 v6, v3
	s_branch .LBB183_174
.LBB183_167:
	s_mov_b32 s42, -1
                                        ; implicit-def: $vgpr6
	s_branch .LBB183_239
.LBB183_168:
	s_mov_b32 s42, -1
                                        ; implicit-def: $vgpr6
	s_branch .LBB183_203
.LBB183_169:
	s_mov_b32 s42, -1
                                        ; implicit-def: $vgpr6
	s_branch .LBB183_184
.LBB183_170:
	s_mov_b32 s42, -1
                                        ; implicit-def: $vgpr6
	s_branch .LBB183_179
.LBB183_171:
	s_mov_b32 s42, -1
	s_branch .LBB183_173
.LBB183_172:
	s_mov_b32 s26, -1
.LBB183_173:
                                        ; implicit-def: $vgpr6
.LBB183_174:
	s_and_b32 vcc_lo, exec_lo, s42
	s_cbranch_vccz .LBB183_178
; %bb.175:
	s_cmp_eq_u32 s0, 44
	s_cbranch_scc0 .LBB183_177
; %bb.176:
	global_load_u8 v3, v[4:5], off
	s_mov_b32 s26, 0
	s_mov_b32 s27, -1
	s_wait_loadcnt 0x0
	v_lshlrev_b32_e32 v6, 23, v3
	v_cmp_ne_u32_e32 vcc_lo, 0xff, v3
	s_delay_alu instid0(VALU_DEP_2) | instskip(NEXT) | instid1(VALU_DEP_1)
	v_cvt_f16_f32_e32 v6, v6
	v_cndmask_b32_e32 v6, 0x7e00, v6, vcc_lo
	v_cmp_ne_u32_e32 vcc_lo, 0, v3
	s_delay_alu instid0(VALU_DEP_2)
	v_cndmask_b32_e32 v6, 0, v6, vcc_lo
	s_branch .LBB183_178
.LBB183_177:
	s_mov_b32 s26, -1
                                        ; implicit-def: $vgpr6
.LBB183_178:
	s_mov_b32 s42, 0
.LBB183_179:
	s_delay_alu instid0(SALU_CYCLE_1)
	s_and_b32 vcc_lo, exec_lo, s42
	s_cbranch_vccz .LBB183_183
; %bb.180:
	s_cmp_eq_u32 s0, 29
	s_cbranch_scc0 .LBB183_182
; %bb.181:
	global_load_b64 v[6:7], v[4:5], off
	s_mov_b32 s27, -1
	s_mov_b32 s26, 0
	s_mov_b32 s42, 0
	s_wait_loadcnt 0x0
	v_clz_i32_u32_e32 v3, v7
	s_delay_alu instid0(VALU_DEP_1) | instskip(NEXT) | instid1(VALU_DEP_1)
	v_min_u32_e32 v3, 32, v3
	v_lshlrev_b64_e32 v[6:7], v3, v[6:7]
	v_sub_nc_u32_e32 v3, 32, v3
	s_delay_alu instid0(VALU_DEP_2) | instskip(NEXT) | instid1(VALU_DEP_1)
	v_min_u32_e32 v6, 1, v6
	v_or_b32_e32 v6, v7, v6
	s_delay_alu instid0(VALU_DEP_1) | instskip(NEXT) | instid1(VALU_DEP_1)
	v_cvt_f32_u32_e32 v6, v6
	v_ldexp_f32 v3, v6, v3
	s_delay_alu instid0(VALU_DEP_1)
	v_cvt_f16_f32_e32 v6, v3
	s_branch .LBB183_184
.LBB183_182:
	s_mov_b32 s26, -1
                                        ; implicit-def: $vgpr6
.LBB183_183:
	s_mov_b32 s42, 0
.LBB183_184:
	s_delay_alu instid0(SALU_CYCLE_1)
	s_and_b32 vcc_lo, exec_lo, s42
	s_cbranch_vccz .LBB183_202
; %bb.185:
	s_cmp_lt_i32 s0, 27
	s_cbranch_scc1 .LBB183_188
; %bb.186:
	s_cmp_gt_i32 s0, 27
	s_cbranch_scc0 .LBB183_189
; %bb.187:
	global_load_b32 v3, v[4:5], off
	s_mov_b32 s27, 0
	s_wait_loadcnt 0x0
	v_cvt_f32_u32_e32 v3, v3
	s_delay_alu instid0(VALU_DEP_1)
	v_cvt_f16_f32_e32 v6, v3
	s_branch .LBB183_190
.LBB183_188:
	s_mov_b32 s27, -1
                                        ; implicit-def: $vgpr6
	s_branch .LBB183_193
.LBB183_189:
	s_mov_b32 s27, -1
                                        ; implicit-def: $vgpr6
.LBB183_190:
	s_delay_alu instid0(SALU_CYCLE_1)
	s_and_not1_b32 vcc_lo, exec_lo, s27
	s_cbranch_vccnz .LBB183_192
; %bb.191:
	global_load_u16 v3, v[4:5], off
	s_wait_loadcnt 0x0
	v_cvt_f16_u16_e32 v6, v3
.LBB183_192:
	s_mov_b32 s27, 0
.LBB183_193:
	s_delay_alu instid0(SALU_CYCLE_1)
	s_and_not1_b32 vcc_lo, exec_lo, s27
	s_cbranch_vccnz .LBB183_201
; %bb.194:
	global_load_u8 v3, v[4:5], off
	s_mov_b32 s27, 0
	s_mov_b32 s42, exec_lo
	s_wait_loadcnt 0x0
	v_cmpx_lt_i16_e32 0x7f, v3
	s_xor_b32 s42, exec_lo, s42
	s_cbranch_execz .LBB183_215
; %bb.195:
	s_mov_b32 s27, -1
	s_mov_b32 s43, exec_lo
	v_cmpx_eq_u16_e32 0x80, v3
; %bb.196:
	s_xor_b32 s27, exec_lo, -1
; %bb.197:
	s_or_b32 exec_lo, exec_lo, s43
	s_delay_alu instid0(SALU_CYCLE_1)
	s_and_b32 s27, s27, exec_lo
	s_or_saveexec_b32 s42, s42
	v_mov_b32_e32 v6, 0x7e00
	s_xor_b32 exec_lo, exec_lo, s42
	s_cbranch_execnz .LBB183_216
.LBB183_198:
	s_or_b32 exec_lo, exec_lo, s42
	s_and_saveexec_b32 s42, s27
	s_cbranch_execz .LBB183_200
.LBB183_199:
	v_and_b32_e32 v6, 0xffff, v3
	s_delay_alu instid0(VALU_DEP_1) | instskip(SKIP_1) | instid1(VALU_DEP_2)
	v_and_b32_e32 v7, 7, v6
	v_bfe_u32 v10, v6, 3, 4
	v_clz_i32_u32_e32 v8, v7
	s_delay_alu instid0(VALU_DEP_2) | instskip(NEXT) | instid1(VALU_DEP_2)
	v_cmp_eq_u32_e32 vcc_lo, 0, v10
	v_min_u32_e32 v8, 32, v8
	s_delay_alu instid0(VALU_DEP_1) | instskip(NEXT) | instid1(VALU_DEP_1)
	v_subrev_nc_u32_e32 v9, 28, v8
	v_dual_lshlrev_b32 v6, v9, v6 :: v_dual_sub_nc_u32 v8, 29, v8
	s_delay_alu instid0(VALU_DEP_1) | instskip(NEXT) | instid1(VALU_DEP_1)
	v_dual_lshlrev_b32 v3, 24, v3 :: v_dual_bitop2_b32 v6, 7, v6 bitop3:0x40
	v_dual_cndmask_b32 v8, v10, v8, vcc_lo :: v_dual_cndmask_b32 v6, v7, v6, vcc_lo
	s_delay_alu instid0(VALU_DEP_2) | instskip(NEXT) | instid1(VALU_DEP_2)
	v_and_b32_e32 v3, 0x80000000, v3
	v_lshl_add_u32 v7, v8, 23, 0x3b800000
	s_delay_alu instid0(VALU_DEP_3) | instskip(NEXT) | instid1(VALU_DEP_1)
	v_lshlrev_b32_e32 v6, 20, v6
	v_or3_b32 v3, v3, v7, v6
	s_delay_alu instid0(VALU_DEP_1)
	v_cvt_f16_f32_e32 v6, v3
.LBB183_200:
	s_or_b32 exec_lo, exec_lo, s42
.LBB183_201:
	s_mov_b32 s27, -1
.LBB183_202:
	s_mov_b32 s42, 0
.LBB183_203:
	s_delay_alu instid0(SALU_CYCLE_1)
	s_and_b32 vcc_lo, exec_lo, s42
	s_cbranch_vccz .LBB183_238
; %bb.204:
	s_cmp_gt_i32 s0, 22
	s_cbranch_scc0 .LBB183_214
; %bb.205:
	s_cmp_lt_i32 s0, 24
	s_cbranch_scc1 .LBB183_217
; %bb.206:
	s_cmp_gt_i32 s0, 24
	s_cbranch_scc0 .LBB183_218
; %bb.207:
	global_load_u8 v3, v[4:5], off
	s_mov_b32 s27, 0
	s_mov_b32 s42, exec_lo
	s_wait_loadcnt 0x0
	v_cmpx_lt_i16_e32 0x7f, v3
	s_xor_b32 s42, exec_lo, s42
	s_cbranch_execz .LBB183_230
; %bb.208:
	s_mov_b32 s27, -1
	s_mov_b32 s43, exec_lo
	v_cmpx_eq_u16_e32 0x80, v3
; %bb.209:
	s_xor_b32 s27, exec_lo, -1
; %bb.210:
	s_or_b32 exec_lo, exec_lo, s43
	s_delay_alu instid0(SALU_CYCLE_1)
	s_and_b32 s27, s27, exec_lo
	s_or_saveexec_b32 s42, s42
	v_mov_b32_e32 v6, 0x7e00
	s_xor_b32 exec_lo, exec_lo, s42
	s_cbranch_execnz .LBB183_231
.LBB183_211:
	s_or_b32 exec_lo, exec_lo, s42
	s_and_saveexec_b32 s42, s27
	s_cbranch_execz .LBB183_213
.LBB183_212:
	v_and_b32_e32 v6, 0xffff, v3
	s_delay_alu instid0(VALU_DEP_1) | instskip(SKIP_1) | instid1(VALU_DEP_2)
	v_and_b32_e32 v7, 3, v6
	v_bfe_u32 v10, v6, 2, 5
	v_clz_i32_u32_e32 v8, v7
	s_delay_alu instid0(VALU_DEP_2) | instskip(NEXT) | instid1(VALU_DEP_2)
	v_cmp_eq_u32_e32 vcc_lo, 0, v10
	v_min_u32_e32 v8, 32, v8
	s_delay_alu instid0(VALU_DEP_1) | instskip(NEXT) | instid1(VALU_DEP_1)
	v_subrev_nc_u32_e32 v9, 29, v8
	v_dual_lshlrev_b32 v6, v9, v6 :: v_dual_sub_nc_u32 v8, 30, v8
	s_delay_alu instid0(VALU_DEP_1) | instskip(NEXT) | instid1(VALU_DEP_1)
	v_dual_lshlrev_b32 v3, 24, v3 :: v_dual_bitop2_b32 v6, 3, v6 bitop3:0x40
	v_dual_cndmask_b32 v8, v10, v8, vcc_lo :: v_dual_cndmask_b32 v6, v7, v6, vcc_lo
	s_delay_alu instid0(VALU_DEP_2) | instskip(NEXT) | instid1(VALU_DEP_2)
	v_and_b32_e32 v3, 0x80000000, v3
	v_lshl_add_u32 v7, v8, 23, 0x37800000
	s_delay_alu instid0(VALU_DEP_3) | instskip(NEXT) | instid1(VALU_DEP_1)
	v_lshlrev_b32_e32 v6, 21, v6
	v_or3_b32 v3, v3, v7, v6
	s_delay_alu instid0(VALU_DEP_1)
	v_cvt_f16_f32_e32 v6, v3
.LBB183_213:
	s_or_b32 exec_lo, exec_lo, s42
	s_mov_b32 s27, 0
	s_branch .LBB183_219
.LBB183_214:
	s_mov_b32 s42, -1
                                        ; implicit-def: $vgpr6
	s_branch .LBB183_225
.LBB183_215:
	s_or_saveexec_b32 s42, s42
	v_mov_b32_e32 v6, 0x7e00
	s_xor_b32 exec_lo, exec_lo, s42
	s_cbranch_execz .LBB183_198
.LBB183_216:
	v_cmp_ne_u16_e32 vcc_lo, 0, v3
	v_mov_b32_e32 v6, v3
	s_and_not1_b32 s27, s27, exec_lo
	s_and_b32 s43, vcc_lo, exec_lo
	s_delay_alu instid0(SALU_CYCLE_1)
	s_or_b32 s27, s27, s43
	s_or_b32 exec_lo, exec_lo, s42
	s_and_saveexec_b32 s42, s27
	s_cbranch_execnz .LBB183_199
	s_branch .LBB183_200
.LBB183_217:
	s_mov_b32 s27, -1
                                        ; implicit-def: $vgpr6
	s_branch .LBB183_222
.LBB183_218:
	s_mov_b32 s27, -1
                                        ; implicit-def: $vgpr6
.LBB183_219:
	s_delay_alu instid0(SALU_CYCLE_1)
	s_and_b32 vcc_lo, exec_lo, s27
	s_cbranch_vccz .LBB183_221
; %bb.220:
	global_load_u8 v3, v[4:5], off
	s_wait_loadcnt 0x0
	v_lshlrev_b32_e32 v3, 24, v3
	s_delay_alu instid0(VALU_DEP_1) | instskip(NEXT) | instid1(VALU_DEP_1)
	v_and_b32_e32 v6, 0x7f000000, v3
	v_clz_i32_u32_e32 v7, v6
	v_cmp_ne_u32_e32 vcc_lo, 0, v6
	v_add_nc_u32_e32 v9, 0x1000000, v6
	s_delay_alu instid0(VALU_DEP_3) | instskip(NEXT) | instid1(VALU_DEP_1)
	v_min_u32_e32 v7, 32, v7
	v_sub_nc_u32_e64 v7, v7, 4 clamp
	s_delay_alu instid0(VALU_DEP_1) | instskip(NEXT) | instid1(VALU_DEP_1)
	v_dual_lshlrev_b32 v8, v7, v6 :: v_dual_lshlrev_b32 v7, 23, v7
	v_lshrrev_b32_e32 v8, 4, v8
	s_delay_alu instid0(VALU_DEP_1) | instskip(NEXT) | instid1(VALU_DEP_1)
	v_dual_sub_nc_u32 v7, v8, v7 :: v_dual_ashrrev_i32 v8, 8, v9
	v_add_nc_u32_e32 v7, 0x3c000000, v7
	s_delay_alu instid0(VALU_DEP_1) | instskip(NEXT) | instid1(VALU_DEP_1)
	v_and_or_b32 v7, 0x7f800000, v8, v7
	v_cndmask_b32_e32 v6, 0, v7, vcc_lo
	s_delay_alu instid0(VALU_DEP_1) | instskip(NEXT) | instid1(VALU_DEP_1)
	v_and_or_b32 v3, 0x80000000, v3, v6
	v_cvt_f16_f32_e32 v6, v3
.LBB183_221:
	s_mov_b32 s27, 0
.LBB183_222:
	s_delay_alu instid0(SALU_CYCLE_1)
	s_and_not1_b32 vcc_lo, exec_lo, s27
	s_cbranch_vccnz .LBB183_224
; %bb.223:
	global_load_u8 v3, v[4:5], off
	s_wait_loadcnt 0x0
	v_lshlrev_b32_e32 v6, 25, v3
	v_lshlrev_b16 v3, 8, v3
	s_delay_alu instid0(VALU_DEP_1) | instskip(SKIP_1) | instid1(VALU_DEP_2)
	v_and_or_b32 v8, 0x7f00, v3, 0.5
	v_bfe_i32 v3, v3, 0, 16
	v_dual_add_f32 v8, -0.5, v8 :: v_dual_lshrrev_b32 v7, 4, v6
	v_cmp_gt_u32_e32 vcc_lo, 0x8000000, v6
	s_delay_alu instid0(VALU_DEP_2) | instskip(NEXT) | instid1(VALU_DEP_1)
	v_or_b32_e32 v7, 0x70000000, v7
	v_mul_f32_e32 v7, 0x7800000, v7
	s_delay_alu instid0(VALU_DEP_1) | instskip(NEXT) | instid1(VALU_DEP_1)
	v_cndmask_b32_e32 v6, v7, v8, vcc_lo
	v_and_or_b32 v3, 0x80000000, v3, v6
	s_delay_alu instid0(VALU_DEP_1)
	v_cvt_f16_f32_e32 v6, v3
.LBB183_224:
	s_mov_b32 s42, 0
	s_mov_b32 s27, -1
.LBB183_225:
	s_and_not1_b32 vcc_lo, exec_lo, s42
	s_cbranch_vccnz .LBB183_238
; %bb.226:
	s_cmp_gt_i32 s0, 14
	s_cbranch_scc0 .LBB183_229
; %bb.227:
	s_cmp_eq_u32 s0, 15
	s_cbranch_scc0 .LBB183_232
; %bb.228:
	global_load_u16 v3, v[4:5], off
	s_mov_b32 s27, -1
	s_mov_b32 s26, 0
	s_wait_loadcnt 0x0
	v_lshlrev_b32_e32 v3, 16, v3
	s_delay_alu instid0(VALU_DEP_1)
	v_cvt_f16_f32_e32 v6, v3
	s_branch .LBB183_233
.LBB183_229:
	s_mov_b32 s42, -1
                                        ; implicit-def: $vgpr6
	s_branch .LBB183_234
.LBB183_230:
	s_or_saveexec_b32 s42, s42
	v_mov_b32_e32 v6, 0x7e00
	s_xor_b32 exec_lo, exec_lo, s42
	s_cbranch_execz .LBB183_211
.LBB183_231:
	v_cmp_ne_u16_e32 vcc_lo, 0, v3
	v_mov_b32_e32 v6, v3
	s_and_not1_b32 s27, s27, exec_lo
	s_and_b32 s43, vcc_lo, exec_lo
	s_delay_alu instid0(SALU_CYCLE_1)
	s_or_b32 s27, s27, s43
	s_or_b32 exec_lo, exec_lo, s42
	s_and_saveexec_b32 s42, s27
	s_cbranch_execnz .LBB183_212
	s_branch .LBB183_213
.LBB183_232:
	s_mov_b32 s26, -1
                                        ; implicit-def: $vgpr6
.LBB183_233:
	s_mov_b32 s42, 0
.LBB183_234:
	s_delay_alu instid0(SALU_CYCLE_1)
	s_and_b32 vcc_lo, exec_lo, s42
	s_cbranch_vccz .LBB183_238
; %bb.235:
	s_cmp_eq_u32 s0, 11
	s_cbranch_scc0 .LBB183_237
; %bb.236:
	global_load_u8 v3, v[4:5], off
	s_mov_b32 s26, 0
	s_mov_b32 s27, -1
	s_wait_loadcnt 0x0
	v_cmp_ne_u16_e32 vcc_lo, 0, v3
	v_cndmask_b32_e64 v6, 0, 0x3c00, vcc_lo
	s_branch .LBB183_238
.LBB183_237:
	s_mov_b32 s26, -1
                                        ; implicit-def: $vgpr6
.LBB183_238:
	s_mov_b32 s42, 0
.LBB183_239:
	s_delay_alu instid0(SALU_CYCLE_1)
	s_and_b32 vcc_lo, exec_lo, s42
	s_cbranch_vccz .LBB183_288
; %bb.240:
	s_cmp_lt_i32 s0, 5
	s_cbranch_scc1 .LBB183_245
; %bb.241:
	s_cmp_lt_i32 s0, 8
	s_cbranch_scc1 .LBB183_246
	;; [unrolled: 3-line block ×3, first 2 shown]
; %bb.243:
	s_cmp_gt_i32 s0, 9
	s_cbranch_scc0 .LBB183_248
; %bb.244:
	global_load_b64 v[6:7], v[4:5], off
	s_mov_b32 s27, 0
	s_wait_loadcnt 0x0
	v_and_or_b32 v3, 0x1ff, v7, v6
	v_lshrrev_b32_e32 v6, 8, v7
	v_bfe_u32 v8, v7, 20, 11
	s_delay_alu instid0(VALU_DEP_3) | instskip(NEXT) | instid1(VALU_DEP_2)
	v_cmp_ne_u32_e32 vcc_lo, 0, v3
	v_sub_nc_u32_e32 v9, 0x3f1, v8
	v_add_nc_u32_e32 v8, 0xfffffc10, v8
	v_cndmask_b32_e64 v3, 0, 1, vcc_lo
	s_delay_alu instid0(VALU_DEP_1) | instskip(NEXT) | instid1(VALU_DEP_4)
	v_and_or_b32 v3, 0xffe, v6, v3
	v_med3_i32 v6, v9, 0, 13
	s_delay_alu instid0(VALU_DEP_2) | instskip(NEXT) | instid1(VALU_DEP_1)
	v_or_b32_e32 v9, 0x1000, v3
	v_lshrrev_b32_e32 v10, v6, v9
	s_delay_alu instid0(VALU_DEP_1) | instskip(NEXT) | instid1(VALU_DEP_1)
	v_lshlrev_b32_e32 v6, v6, v10
	v_cmp_ne_u32_e32 vcc_lo, v6, v9
	v_lshl_or_b32 v9, v8, 12, v3
	v_cndmask_b32_e64 v6, 0, 1, vcc_lo
	v_cmp_gt_i32_e32 vcc_lo, 1, v8
	s_delay_alu instid0(VALU_DEP_2) | instskip(NEXT) | instid1(VALU_DEP_1)
	v_or_b32_e32 v6, v10, v6
	v_cndmask_b32_e32 v6, v9, v6, vcc_lo
	s_delay_alu instid0(VALU_DEP_1) | instskip(NEXT) | instid1(VALU_DEP_1)
	v_dual_lshrrev_b32 v6, 2, v6 :: v_dual_bitop2_b32 v9, 7, v6 bitop3:0x40
	v_cmp_lt_i32_e32 vcc_lo, 5, v9
	v_cndmask_b32_e64 v10, 0, 1, vcc_lo
	v_cmp_eq_u32_e32 vcc_lo, 3, v9
	v_cndmask_b32_e64 v9, 0, 1, vcc_lo
	v_cmp_ne_u32_e32 vcc_lo, 0, v3
	s_delay_alu instid0(VALU_DEP_2) | instskip(SKIP_1) | instid1(VALU_DEP_1)
	v_or_b32_e32 v9, v9, v10
	v_mov_b32_e32 v10, 0x7e00
	v_dual_cndmask_b32 v3, 0x7c00, v10 :: v_dual_add_nc_u32 v6, v6, v9
	v_cmp_gt_i32_e32 vcc_lo, 31, v8
	s_delay_alu instid0(VALU_DEP_2) | instskip(SKIP_1) | instid1(VALU_DEP_2)
	v_cndmask_b32_e32 v6, 0x7c00, v6, vcc_lo
	v_cmp_eq_u32_e32 vcc_lo, 0x40f, v8
	v_cndmask_b32_e32 v3, v6, v3, vcc_lo
	v_lshrrev_b32_e32 v6, 16, v7
	s_delay_alu instid0(VALU_DEP_1)
	v_and_or_b32 v6, 0x8000, v6, v3
	s_branch .LBB183_249
.LBB183_245:
	s_mov_b32 s27, -1
                                        ; implicit-def: $vgpr6
	s_branch .LBB183_267
.LBB183_246:
	s_mov_b32 s27, -1
                                        ; implicit-def: $vgpr6
	s_branch .LBB183_255
.LBB183_247:
	s_mov_b32 s27, -1
                                        ; implicit-def: $vgpr6
	s_branch .LBB183_252
.LBB183_248:
	s_mov_b32 s27, -1
                                        ; implicit-def: $vgpr6
.LBB183_249:
	s_delay_alu instid0(SALU_CYCLE_1)
	s_and_not1_b32 vcc_lo, exec_lo, s27
	s_cbranch_vccnz .LBB183_251
; %bb.250:
	global_load_b32 v3, v[4:5], off
	s_wait_loadcnt 0x0
	v_cvt_f16_f32_e32 v6, v3
.LBB183_251:
	s_mov_b32 s27, 0
.LBB183_252:
	s_delay_alu instid0(SALU_CYCLE_1)
	s_and_not1_b32 vcc_lo, exec_lo, s27
	s_cbranch_vccnz .LBB183_254
; %bb.253:
	global_load_b32 v6, v[4:5], off
.LBB183_254:
	s_mov_b32 s27, 0
.LBB183_255:
	s_delay_alu instid0(SALU_CYCLE_1)
	s_and_not1_b32 vcc_lo, exec_lo, s27
	s_cbranch_vccnz .LBB183_266
; %bb.256:
	s_cmp_lt_i32 s0, 6
	s_cbranch_scc1 .LBB183_259
; %bb.257:
	s_cmp_gt_i32 s0, 6
	s_cbranch_scc0 .LBB183_260
; %bb.258:
	s_wait_loadcnt 0x0
	global_load_b64 v[6:7], v[4:5], off
	s_mov_b32 s27, 0
	s_wait_loadcnt 0x0
	v_and_or_b32 v3, 0x1ff, v7, v6
	v_lshrrev_b32_e32 v6, 8, v7
	v_bfe_u32 v8, v7, 20, 11
	s_delay_alu instid0(VALU_DEP_3) | instskip(NEXT) | instid1(VALU_DEP_2)
	v_cmp_ne_u32_e32 vcc_lo, 0, v3
	v_sub_nc_u32_e32 v9, 0x3f1, v8
	v_add_nc_u32_e32 v8, 0xfffffc10, v8
	v_cndmask_b32_e64 v3, 0, 1, vcc_lo
	s_delay_alu instid0(VALU_DEP_1) | instskip(NEXT) | instid1(VALU_DEP_4)
	v_and_or_b32 v3, 0xffe, v6, v3
	v_med3_i32 v6, v9, 0, 13
	s_delay_alu instid0(VALU_DEP_2) | instskip(NEXT) | instid1(VALU_DEP_1)
	v_or_b32_e32 v9, 0x1000, v3
	v_lshrrev_b32_e32 v10, v6, v9
	s_delay_alu instid0(VALU_DEP_1) | instskip(NEXT) | instid1(VALU_DEP_1)
	v_lshlrev_b32_e32 v6, v6, v10
	v_cmp_ne_u32_e32 vcc_lo, v6, v9
	v_lshl_or_b32 v9, v8, 12, v3
	v_cndmask_b32_e64 v6, 0, 1, vcc_lo
	v_cmp_gt_i32_e32 vcc_lo, 1, v8
	s_delay_alu instid0(VALU_DEP_2) | instskip(NEXT) | instid1(VALU_DEP_1)
	v_or_b32_e32 v6, v10, v6
	v_cndmask_b32_e32 v6, v9, v6, vcc_lo
	s_delay_alu instid0(VALU_DEP_1) | instskip(NEXT) | instid1(VALU_DEP_1)
	v_dual_lshrrev_b32 v6, 2, v6 :: v_dual_bitop2_b32 v9, 7, v6 bitop3:0x40
	v_cmp_lt_i32_e32 vcc_lo, 5, v9
	v_cndmask_b32_e64 v10, 0, 1, vcc_lo
	v_cmp_eq_u32_e32 vcc_lo, 3, v9
	v_cndmask_b32_e64 v9, 0, 1, vcc_lo
	v_cmp_ne_u32_e32 vcc_lo, 0, v3
	s_delay_alu instid0(VALU_DEP_2) | instskip(SKIP_1) | instid1(VALU_DEP_1)
	v_or_b32_e32 v9, v9, v10
	v_mov_b32_e32 v10, 0x7e00
	v_dual_cndmask_b32 v3, 0x7c00, v10 :: v_dual_add_nc_u32 v6, v6, v9
	v_cmp_gt_i32_e32 vcc_lo, 31, v8
	s_delay_alu instid0(VALU_DEP_2) | instskip(SKIP_1) | instid1(VALU_DEP_2)
	v_cndmask_b32_e32 v6, 0x7c00, v6, vcc_lo
	v_cmp_eq_u32_e32 vcc_lo, 0x40f, v8
	v_cndmask_b32_e32 v3, v6, v3, vcc_lo
	v_lshrrev_b32_e32 v6, 16, v7
	s_delay_alu instid0(VALU_DEP_1)
	v_and_or_b32 v6, 0x8000, v6, v3
	s_branch .LBB183_261
.LBB183_259:
	s_mov_b32 s27, -1
                                        ; implicit-def: $vgpr6
	s_branch .LBB183_264
.LBB183_260:
	s_mov_b32 s27, -1
                                        ; implicit-def: $vgpr6
.LBB183_261:
	s_delay_alu instid0(SALU_CYCLE_1)
	s_and_not1_b32 vcc_lo, exec_lo, s27
	s_cbranch_vccnz .LBB183_263
; %bb.262:
	global_load_b32 v3, v[4:5], off
	s_wait_loadcnt 0x0
	v_cvt_f16_f32_e32 v6, v3
.LBB183_263:
	s_mov_b32 s27, 0
.LBB183_264:
	s_delay_alu instid0(SALU_CYCLE_1)
	s_and_not1_b32 vcc_lo, exec_lo, s27
	s_cbranch_vccnz .LBB183_266
; %bb.265:
	s_wait_loadcnt 0x0
	global_load_u16 v6, v[4:5], off
.LBB183_266:
	s_mov_b32 s27, 0
.LBB183_267:
	s_delay_alu instid0(SALU_CYCLE_1)
	s_and_not1_b32 vcc_lo, exec_lo, s27
	s_cbranch_vccnz .LBB183_287
; %bb.268:
	s_cmp_lt_i32 s0, 2
	s_cbranch_scc1 .LBB183_272
; %bb.269:
	s_cmp_lt_i32 s0, 3
	s_cbranch_scc1 .LBB183_273
; %bb.270:
	s_cmp_gt_i32 s0, 3
	s_cbranch_scc0 .LBB183_274
; %bb.271:
	s_wait_loadcnt 0x0
	global_load_b64 v[6:7], v[4:5], off
	s_mov_b32 s27, 0
	s_wait_loadcnt 0x0
	v_xor_b32_e32 v3, v6, v7
	v_cls_i32_e32 v8, v7
	s_delay_alu instid0(VALU_DEP_2) | instskip(NEXT) | instid1(VALU_DEP_1)
	v_ashrrev_i32_e32 v3, 31, v3
	v_add_nc_u32_e32 v3, 32, v3
	s_delay_alu instid0(VALU_DEP_1) | instskip(NEXT) | instid1(VALU_DEP_1)
	v_add_min_u32_e64 v3, v8, -1, v3
	v_lshlrev_b64_e32 v[6:7], v3, v[6:7]
	v_sub_nc_u32_e32 v3, 32, v3
	s_delay_alu instid0(VALU_DEP_2) | instskip(NEXT) | instid1(VALU_DEP_1)
	v_min_u32_e32 v6, 1, v6
	v_or_b32_e32 v6, v7, v6
	s_delay_alu instid0(VALU_DEP_1) | instskip(NEXT) | instid1(VALU_DEP_1)
	v_cvt_f32_i32_e32 v6, v6
	v_ldexp_f32 v3, v6, v3
	s_delay_alu instid0(VALU_DEP_1)
	v_cvt_f16_f32_e32 v6, v3
	s_branch .LBB183_275
.LBB183_272:
	s_mov_b32 s27, -1
                                        ; implicit-def: $vgpr6
	s_branch .LBB183_281
.LBB183_273:
	s_mov_b32 s27, -1
                                        ; implicit-def: $vgpr6
	s_branch .LBB183_278
.LBB183_274:
	s_mov_b32 s27, -1
                                        ; implicit-def: $vgpr6
.LBB183_275:
	s_delay_alu instid0(SALU_CYCLE_1)
	s_and_not1_b32 vcc_lo, exec_lo, s27
	s_cbranch_vccnz .LBB183_277
; %bb.276:
	global_load_b32 v3, v[4:5], off
	s_wait_loadcnt 0x0
	v_cvt_f32_i32_e32 v3, v3
	s_delay_alu instid0(VALU_DEP_1)
	v_cvt_f16_f32_e32 v6, v3
.LBB183_277:
	s_mov_b32 s27, 0
.LBB183_278:
	s_delay_alu instid0(SALU_CYCLE_1)
	s_and_not1_b32 vcc_lo, exec_lo, s27
	s_cbranch_vccnz .LBB183_280
; %bb.279:
	global_load_u16 v3, v[4:5], off
	s_wait_loadcnt 0x0
	v_cvt_f16_i16_e32 v6, v3
.LBB183_280:
	s_mov_b32 s27, 0
.LBB183_281:
	s_delay_alu instid0(SALU_CYCLE_1)
	s_and_not1_b32 vcc_lo, exec_lo, s27
	s_cbranch_vccnz .LBB183_287
; %bb.282:
	s_cmp_gt_i32 s0, 0
	s_mov_b32 s0, 0
	s_cbranch_scc0 .LBB183_284
; %bb.283:
	global_load_i8 v3, v[4:5], off
	s_wait_loadcnt 0x0
	v_cvt_f16_i16_e32 v6, v3
	s_branch .LBB183_285
.LBB183_284:
	s_mov_b32 s0, -1
                                        ; implicit-def: $vgpr6
.LBB183_285:
	s_delay_alu instid0(SALU_CYCLE_1)
	s_and_not1_b32 vcc_lo, exec_lo, s0
	s_cbranch_vccnz .LBB183_287
; %bb.286:
	global_load_u8 v3, v[4:5], off
	s_wait_loadcnt 0x0
	v_cvt_f16_u16_e32 v6, v3
.LBB183_287:
	s_mov_b32 s27, -1
.LBB183_288:
	s_delay_alu instid0(SALU_CYCLE_1)
	s_and_not1_b32 vcc_lo, exec_lo, s27
	s_cbranch_vccnz .LBB183_296
; %bb.289:
	v_mov_b32_e32 v3, 0
	s_wait_loadcnt 0x0
	v_mul_f16_e32 v1, s33, v1
	s_and_b32 s27, s34, 0xff
	s_delay_alu instid0(SALU_CYCLE_1) | instskip(SKIP_1) | instid1(VALU_DEP_2)
	s_cmp_lt_i32 s27, 11
	v_add_nc_u64_e32 v[2:3], s[16:17], v[2:3]
	v_mul_f16_e32 v1, v1, v6
	s_cbranch_scc1 .LBB183_297
; %bb.290:
	s_and_b32 s42, 0xffff, s27
	s_delay_alu instid0(SALU_CYCLE_1)
	s_cmp_gt_i32 s42, 25
	s_cbranch_scc0 .LBB183_298
; %bb.291:
	s_cmp_gt_i32 s42, 28
	s_cbranch_scc0 .LBB183_299
; %bb.292:
	;; [unrolled: 3-line block ×4, first 2 shown]
	s_mov_b32 s44, 0
	s_mov_b32 s0, -1
	s_cmp_eq_u32 s42, 46
	s_mov_b32 s43, 0
	s_cbranch_scc0 .LBB183_302
; %bb.295:
	v_cvt_f32_f16_e32 v4, v1
	v_cmp_o_f16_e32 vcc_lo, v1, v1
	s_mov_b32 s43, -1
	s_mov_b32 s0, 0
	s_delay_alu instid0(VALU_DEP_2) | instskip(NEXT) | instid1(VALU_DEP_1)
	v_bfe_u32 v5, v4, 16, 1
	v_add3_u32 v4, v4, v5, 0x7fff
	s_delay_alu instid0(VALU_DEP_1) | instskip(NEXT) | instid1(VALU_DEP_1)
	v_lshrrev_b32_e32 v4, 16, v4
	v_cndmask_b32_e32 v4, 0x7fc0, v4, vcc_lo
	global_store_b32 v[2:3], v4, off
	s_branch .LBB183_302
.LBB183_296:
	s_mov_b32 s0, 0
	s_branch .LBB183_38
.LBB183_297:
	s_mov_b32 s42, -1
	s_mov_b32 s0, 0
	s_mov_b32 s43, 0
	s_branch .LBB183_371
.LBB183_298:
	s_mov_b32 s44, -1
	s_mov_b32 s0, 0
	s_mov_b32 s43, 0
	s_branch .LBB183_329
.LBB183_299:
	s_mov_b32 s44, -1
	s_mov_b32 s0, 0
	s_mov_b32 s43, 0
	s_branch .LBB183_312
.LBB183_300:
	s_mov_b32 s44, -1
	s_mov_b32 s0, 0
	s_mov_b32 s43, 0
	s_branch .LBB183_308
.LBB183_301:
	s_mov_b32 s44, -1
	s_mov_b32 s0, 0
	s_mov_b32 s43, 0
.LBB183_302:
	s_and_b32 vcc_lo, exec_lo, s44
	s_cbranch_vccz .LBB183_307
; %bb.303:
	s_cmp_eq_u32 s42, 44
	s_mov_b32 s0, -1
	s_cbranch_scc0 .LBB183_307
; %bb.304:
	s_wait_xcnt 0x0
	v_cvt_f32_f16_e32 v4, v1
	v_mov_b32_e32 v5, 0xff
	s_mov_b32 s43, exec_lo
	s_delay_alu instid0(VALU_DEP_2) | instskip(NEXT) | instid1(VALU_DEP_1)
	v_bfe_u32 v6, v4, 23, 8
	v_cmpx_ne_u32_e32 0xff, v6
	s_cbranch_execz .LBB183_306
; %bb.305:
	v_and_b32_e32 v5, 0x400000, v4
	v_and_or_b32 v6, 0x3fffff, v4, v6
	v_lshrrev_b32_e32 v4, 23, v4
	s_delay_alu instid0(VALU_DEP_3) | instskip(NEXT) | instid1(VALU_DEP_3)
	v_cmp_ne_u32_e32 vcc_lo, 0, v5
	v_cmp_ne_u32_e64 s0, 0, v6
	s_and_b32 s0, vcc_lo, s0
	s_delay_alu instid0(SALU_CYCLE_1) | instskip(NEXT) | instid1(VALU_DEP_1)
	v_cndmask_b32_e64 v5, 0, 1, s0
	v_add_nc_u32_e32 v5, v4, v5
.LBB183_306:
	s_or_b32 exec_lo, exec_lo, s43
	s_mov_b32 s43, -1
	s_mov_b32 s0, 0
	global_store_b8 v[2:3], v5, off
.LBB183_307:
	s_mov_b32 s44, 0
.LBB183_308:
	s_delay_alu instid0(SALU_CYCLE_1)
	s_and_b32 vcc_lo, exec_lo, s44
	s_cbranch_vccz .LBB183_311
; %bb.309:
	s_cmp_eq_u32 s42, 29
	s_mov_b32 s0, -1
	s_cbranch_scc0 .LBB183_311
; %bb.310:
	s_wait_xcnt 0x0
	v_cvt_f32_f16_e32 v4, v1
	v_mov_b32_e32 v5, 0
	s_mov_b32 s43, -1
	s_mov_b32 s0, 0
	s_mov_b32 s44, 0
	v_cvt_u32_f32_e32 v4, v4
	global_store_b64 v[2:3], v[4:5], off
	s_branch .LBB183_312
.LBB183_311:
	s_mov_b32 s44, 0
.LBB183_312:
	s_delay_alu instid0(SALU_CYCLE_1)
	s_and_b32 vcc_lo, exec_lo, s44
	s_cbranch_vccz .LBB183_328
; %bb.313:
	s_cmp_lt_i32 s42, 27
	s_mov_b32 s43, -1
	s_cbranch_scc1 .LBB183_319
; %bb.314:
	s_cmp_gt_i32 s42, 27
	s_cbranch_scc0 .LBB183_316
; %bb.315:
	s_wait_xcnt 0x0
	v_cvt_f32_f16_e32 v4, v1
	s_mov_b32 s43, 0
	s_delay_alu instid0(VALU_DEP_1)
	v_cvt_u32_f32_e32 v4, v4
	global_store_b32 v[2:3], v4, off
.LBB183_316:
	s_and_not1_b32 vcc_lo, exec_lo, s43
	s_cbranch_vccnz .LBB183_318
; %bb.317:
	s_wait_xcnt 0x0
	v_cvt_u16_f16_e32 v4, v1
	global_store_b16 v[2:3], v4, off
.LBB183_318:
	s_mov_b32 s43, 0
.LBB183_319:
	s_delay_alu instid0(SALU_CYCLE_1)
	s_and_not1_b32 vcc_lo, exec_lo, s43
	s_cbranch_vccnz .LBB183_327
; %bb.320:
	s_wait_xcnt 0x0
	v_cvt_f32_f16_e32 v4, v1
	v_mov_b32_e32 v6, 0x80
	s_mov_b32 s43, exec_lo
	s_delay_alu instid0(VALU_DEP_2) | instskip(NEXT) | instid1(VALU_DEP_1)
	v_and_b32_e32 v5, 0x7fffffff, v4
	v_cmpx_gt_u32_e32 0x43800000, v5
	s_cbranch_execz .LBB183_326
; %bb.321:
	v_cmp_lt_u32_e32 vcc_lo, 0x3bffffff, v5
	s_mov_b32 s44, 0
                                        ; implicit-def: $vgpr5
	s_and_saveexec_b32 s45, vcc_lo
	s_delay_alu instid0(SALU_CYCLE_1)
	s_xor_b32 s45, exec_lo, s45
	s_cbranch_execz .LBB183_458
; %bb.322:
	v_bfe_u32 v5, v4, 20, 1
	s_mov_b32 s44, exec_lo
	s_delay_alu instid0(VALU_DEP_1) | instskip(NEXT) | instid1(VALU_DEP_1)
	v_add3_u32 v5, v4, v5, 0x487ffff
	v_lshrrev_b32_e32 v5, 20, v5
	s_and_not1_saveexec_b32 s45, s45
	s_cbranch_execnz .LBB183_459
.LBB183_323:
	s_or_b32 exec_lo, exec_lo, s45
	v_mov_b32_e32 v6, 0
	s_and_saveexec_b32 s45, s44
.LBB183_324:
	v_lshrrev_b32_e32 v4, 24, v4
	s_delay_alu instid0(VALU_DEP_1)
	v_and_or_b32 v6, 0x80, v4, v5
.LBB183_325:
	s_or_b32 exec_lo, exec_lo, s45
.LBB183_326:
	s_delay_alu instid0(SALU_CYCLE_1)
	s_or_b32 exec_lo, exec_lo, s43
	global_store_b8 v[2:3], v6, off
.LBB183_327:
	s_mov_b32 s43, -1
.LBB183_328:
	s_mov_b32 s44, 0
.LBB183_329:
	s_delay_alu instid0(SALU_CYCLE_1)
	s_and_b32 vcc_lo, exec_lo, s44
	s_cbranch_vccz .LBB183_370
; %bb.330:
	s_cmp_gt_i32 s42, 22
	s_mov_b32 s44, -1
	s_cbranch_scc0 .LBB183_362
; %bb.331:
	s_cmp_lt_i32 s42, 24
	s_mov_b32 s43, -1
	s_cbranch_scc1 .LBB183_351
; %bb.332:
	s_cmp_gt_i32 s42, 24
	s_cbranch_scc0 .LBB183_340
; %bb.333:
	s_wait_xcnt 0x0
	v_cvt_f32_f16_e32 v4, v1
	v_mov_b32_e32 v6, 0x80
	s_mov_b32 s43, exec_lo
	s_delay_alu instid0(VALU_DEP_2) | instskip(NEXT) | instid1(VALU_DEP_1)
	v_and_b32_e32 v5, 0x7fffffff, v4
	v_cmpx_gt_u32_e32 0x47800000, v5
	s_cbranch_execz .LBB183_339
; %bb.334:
	v_cmp_lt_u32_e32 vcc_lo, 0x37ffffff, v5
	s_mov_b32 s44, 0
                                        ; implicit-def: $vgpr5
	s_and_saveexec_b32 s45, vcc_lo
	s_delay_alu instid0(SALU_CYCLE_1)
	s_xor_b32 s45, exec_lo, s45
	s_cbranch_execz .LBB183_589
; %bb.335:
	v_bfe_u32 v5, v4, 21, 1
	s_mov_b32 s44, exec_lo
	s_delay_alu instid0(VALU_DEP_1) | instskip(NEXT) | instid1(VALU_DEP_1)
	v_add3_u32 v5, v4, v5, 0x88fffff
	v_lshrrev_b32_e32 v5, 21, v5
	s_and_not1_saveexec_b32 s45, s45
	s_cbranch_execnz .LBB183_590
.LBB183_336:
	s_or_b32 exec_lo, exec_lo, s45
	v_mov_b32_e32 v6, 0
	s_and_saveexec_b32 s45, s44
.LBB183_337:
	v_lshrrev_b32_e32 v4, 24, v4
	s_delay_alu instid0(VALU_DEP_1)
	v_and_or_b32 v6, 0x80, v4, v5
.LBB183_338:
	s_or_b32 exec_lo, exec_lo, s45
.LBB183_339:
	s_delay_alu instid0(SALU_CYCLE_1)
	s_or_b32 exec_lo, exec_lo, s43
	s_mov_b32 s43, 0
	global_store_b8 v[2:3], v6, off
.LBB183_340:
	s_and_b32 vcc_lo, exec_lo, s43
	s_cbranch_vccz .LBB183_350
; %bb.341:
	s_wait_xcnt 0x0
	v_cvt_f32_f16_e32 v4, v1
	s_mov_b32 s43, exec_lo
                                        ; implicit-def: $vgpr5
	s_delay_alu instid0(VALU_DEP_1) | instskip(NEXT) | instid1(VALU_DEP_1)
	v_and_b32_e32 v6, 0x7fffffff, v4
	v_cmpx_gt_u32_e32 0x43f00000, v6
	s_xor_b32 s43, exec_lo, s43
	s_cbranch_execz .LBB183_347
; %bb.342:
	s_mov_b32 s44, exec_lo
                                        ; implicit-def: $vgpr5
	v_cmpx_lt_u32_e32 0x3c7fffff, v6
	s_xor_b32 s44, exec_lo, s44
; %bb.343:
	v_bfe_u32 v5, v4, 20, 1
	s_delay_alu instid0(VALU_DEP_1) | instskip(NEXT) | instid1(VALU_DEP_1)
	v_add3_u32 v5, v4, v5, 0x407ffff
	v_and_b32_e32 v6, 0xff00000, v5
	v_lshrrev_b32_e32 v5, 20, v5
	s_delay_alu instid0(VALU_DEP_2) | instskip(NEXT) | instid1(VALU_DEP_2)
	v_cmp_ne_u32_e32 vcc_lo, 0x7f00000, v6
	v_cndmask_b32_e32 v5, 0x7e, v5, vcc_lo
; %bb.344:
	s_and_not1_saveexec_b32 s44, s44
; %bb.345:
	v_add_f32_e64 v5, 0x46800000, |v4|
; %bb.346:
	s_or_b32 exec_lo, exec_lo, s44
                                        ; implicit-def: $vgpr6
.LBB183_347:
	s_and_not1_saveexec_b32 s43, s43
; %bb.348:
	v_mov_b32_e32 v5, 0x7f
	v_cmp_lt_u32_e32 vcc_lo, 0x7f800000, v6
	s_delay_alu instid0(VALU_DEP_2)
	v_cndmask_b32_e32 v5, 0x7e, v5, vcc_lo
; %bb.349:
	s_or_b32 exec_lo, exec_lo, s43
	v_lshrrev_b32_e32 v4, 24, v4
	s_delay_alu instid0(VALU_DEP_1)
	v_and_or_b32 v4, 0x80, v4, v5
	global_store_b8 v[2:3], v4, off
.LBB183_350:
	s_mov_b32 s43, 0
.LBB183_351:
	s_delay_alu instid0(SALU_CYCLE_1)
	s_and_not1_b32 vcc_lo, exec_lo, s43
	s_cbranch_vccnz .LBB183_361
; %bb.352:
	s_wait_xcnt 0x0
	v_cvt_f32_f16_e32 v4, v1
	s_mov_b32 s43, exec_lo
                                        ; implicit-def: $vgpr5
	s_delay_alu instid0(VALU_DEP_1) | instskip(NEXT) | instid1(VALU_DEP_1)
	v_and_b32_e32 v6, 0x7fffffff, v4
	v_cmpx_gt_u32_e32 0x47800000, v6
	s_xor_b32 s43, exec_lo, s43
	s_cbranch_execz .LBB183_358
; %bb.353:
	s_mov_b32 s44, exec_lo
                                        ; implicit-def: $vgpr5
	v_cmpx_lt_u32_e32 0x387fffff, v6
	s_xor_b32 s44, exec_lo, s44
; %bb.354:
	v_bfe_u32 v5, v4, 21, 1
	s_delay_alu instid0(VALU_DEP_1) | instskip(NEXT) | instid1(VALU_DEP_1)
	v_add3_u32 v5, v4, v5, 0x80fffff
	v_lshrrev_b32_e32 v5, 21, v5
; %bb.355:
	s_and_not1_saveexec_b32 s44, s44
; %bb.356:
	v_add_f32_e64 v5, 0x43000000, |v4|
; %bb.357:
	s_or_b32 exec_lo, exec_lo, s44
                                        ; implicit-def: $vgpr6
.LBB183_358:
	s_and_not1_saveexec_b32 s43, s43
; %bb.359:
	v_mov_b32_e32 v5, 0x7f
	v_cmp_lt_u32_e32 vcc_lo, 0x7f800000, v6
	s_delay_alu instid0(VALU_DEP_2)
	v_cndmask_b32_e32 v5, 0x7c, v5, vcc_lo
; %bb.360:
	s_or_b32 exec_lo, exec_lo, s43
	v_lshrrev_b32_e32 v4, 24, v4
	s_delay_alu instid0(VALU_DEP_1)
	v_and_or_b32 v4, 0x80, v4, v5
	global_store_b8 v[2:3], v4, off
.LBB183_361:
	s_mov_b32 s44, 0
	s_mov_b32 s43, -1
.LBB183_362:
	s_and_not1_b32 vcc_lo, exec_lo, s44
	s_cbranch_vccnz .LBB183_370
; %bb.363:
	s_cmp_gt_i32 s42, 14
	s_mov_b32 s44, -1
	s_cbranch_scc0 .LBB183_367
; %bb.364:
	s_cmp_eq_u32 s42, 15
	s_mov_b32 s0, -1
	s_cbranch_scc0 .LBB183_366
; %bb.365:
	s_wait_xcnt 0x0
	v_cvt_f32_f16_e32 v4, v1
	v_cmp_o_f16_e32 vcc_lo, v1, v1
	s_mov_b32 s43, -1
	s_mov_b32 s0, 0
	s_delay_alu instid0(VALU_DEP_2) | instskip(NEXT) | instid1(VALU_DEP_1)
	v_bfe_u32 v5, v4, 16, 1
	v_add3_u32 v4, v4, v5, 0x7fff
	s_delay_alu instid0(VALU_DEP_1) | instskip(NEXT) | instid1(VALU_DEP_1)
	v_lshrrev_b32_e32 v4, 16, v4
	v_cndmask_b32_e32 v4, 0x7fc0, v4, vcc_lo
	global_store_b16 v[2:3], v4, off
.LBB183_366:
	s_mov_b32 s44, 0
.LBB183_367:
	s_delay_alu instid0(SALU_CYCLE_1)
	s_and_b32 vcc_lo, exec_lo, s44
	s_cbranch_vccz .LBB183_370
; %bb.368:
	s_cmp_eq_u32 s42, 11
	s_mov_b32 s0, -1
	s_cbranch_scc0 .LBB183_370
; %bb.369:
	v_cmp_neq_f16_e32 vcc_lo, 0, v1
	s_mov_b32 s0, 0
	s_mov_b32 s43, -1
	s_wait_xcnt 0x0
	v_cndmask_b32_e64 v4, 0, 1, vcc_lo
	global_store_b8 v[2:3], v4, off
.LBB183_370:
	s_mov_b32 s42, 0
.LBB183_371:
	s_delay_alu instid0(SALU_CYCLE_1)
	s_and_b32 vcc_lo, exec_lo, s42
	s_cbranch_vccz .LBB183_410
; %bb.372:
	s_and_b32 s27, 0xffff, s27
	s_mov_b32 s42, -1
	s_cmp_lt_i32 s27, 5
	s_cbranch_scc1 .LBB183_393
; %bb.373:
	s_cmp_lt_i32 s27, 8
	s_cbranch_scc1 .LBB183_383
; %bb.374:
	;; [unrolled: 3-line block ×3, first 2 shown]
	s_cmp_gt_i32 s27, 9
	s_cbranch_scc0 .LBB183_377
; %bb.376:
	s_wait_xcnt 0x0
	v_cvt_f32_f16_e32 v4, v1
	v_mov_b32_e32 v6, 0
	s_mov_b32 s42, 0
	s_delay_alu instid0(VALU_DEP_2) | instskip(NEXT) | instid1(VALU_DEP_2)
	v_cvt_f64_f32_e32 v[4:5], v4
	v_mov_b32_e32 v7, v6
	global_store_b128 v[2:3], v[4:7], off
.LBB183_377:
	s_and_not1_b32 vcc_lo, exec_lo, s42
	s_cbranch_vccnz .LBB183_379
; %bb.378:
	s_wait_xcnt 0x0
	v_cvt_f32_f16_e32 v4, v1
	v_mov_b32_e32 v5, 0
	global_store_b64 v[2:3], v[4:5], off
.LBB183_379:
	s_mov_b32 s42, 0
.LBB183_380:
	s_delay_alu instid0(SALU_CYCLE_1)
	s_and_not1_b32 vcc_lo, exec_lo, s42
	s_cbranch_vccnz .LBB183_382
; %bb.381:
	s_wait_xcnt 0x0
	v_and_b32_e32 v4, 0xffff, v1
	global_store_b32 v[2:3], v4, off
.LBB183_382:
	s_mov_b32 s42, 0
.LBB183_383:
	s_delay_alu instid0(SALU_CYCLE_1)
	s_and_not1_b32 vcc_lo, exec_lo, s42
	s_cbranch_vccnz .LBB183_392
; %bb.384:
	s_cmp_lt_i32 s27, 6
	s_mov_b32 s42, -1
	s_cbranch_scc1 .LBB183_390
; %bb.385:
	s_cmp_gt_i32 s27, 6
	s_cbranch_scc0 .LBB183_387
; %bb.386:
	s_wait_xcnt 0x0
	v_cvt_f32_f16_e32 v4, v1
	s_mov_b32 s42, 0
	s_delay_alu instid0(VALU_DEP_1)
	v_cvt_f64_f32_e32 v[4:5], v4
	global_store_b64 v[2:3], v[4:5], off
.LBB183_387:
	s_and_not1_b32 vcc_lo, exec_lo, s42
	s_cbranch_vccnz .LBB183_389
; %bb.388:
	s_wait_xcnt 0x0
	v_cvt_f32_f16_e32 v4, v1
	global_store_b32 v[2:3], v4, off
.LBB183_389:
	s_mov_b32 s42, 0
.LBB183_390:
	s_delay_alu instid0(SALU_CYCLE_1)
	s_and_not1_b32 vcc_lo, exec_lo, s42
	s_cbranch_vccnz .LBB183_392
; %bb.391:
	global_store_b16 v[2:3], v1, off
.LBB183_392:
	s_mov_b32 s42, 0
.LBB183_393:
	s_delay_alu instid0(SALU_CYCLE_1)
	s_and_not1_b32 vcc_lo, exec_lo, s42
	s_cbranch_vccnz .LBB183_409
; %bb.394:
	s_cmp_lt_i32 s27, 2
	s_mov_b32 s42, -1
	s_cbranch_scc1 .LBB183_404
; %bb.395:
	s_cmp_lt_i32 s27, 3
	s_cbranch_scc1 .LBB183_401
; %bb.396:
	s_cmp_gt_i32 s27, 3
	s_cbranch_scc0 .LBB183_398
; %bb.397:
	s_wait_xcnt 0x0
	v_cvt_f32_f16_e32 v4, v1
	s_mov_b32 s42, 0
	s_delay_alu instid0(VALU_DEP_1) | instskip(NEXT) | instid1(VALU_DEP_1)
	v_cvt_i32_f32_e32 v4, v4
	v_ashrrev_i32_e32 v5, 31, v4
	global_store_b64 v[2:3], v[4:5], off
.LBB183_398:
	s_and_not1_b32 vcc_lo, exec_lo, s42
	s_cbranch_vccnz .LBB183_400
; %bb.399:
	s_wait_xcnt 0x0
	v_cvt_f32_f16_e32 v4, v1
	s_delay_alu instid0(VALU_DEP_1)
	v_cvt_i32_f32_e32 v4, v4
	global_store_b32 v[2:3], v4, off
.LBB183_400:
	s_mov_b32 s42, 0
.LBB183_401:
	s_delay_alu instid0(SALU_CYCLE_1)
	s_and_not1_b32 vcc_lo, exec_lo, s42
	s_cbranch_vccnz .LBB183_403
; %bb.402:
	s_wait_xcnt 0x0
	v_cvt_i16_f16_e32 v4, v1
	global_store_b16 v[2:3], v4, off
.LBB183_403:
	s_mov_b32 s42, 0
.LBB183_404:
	s_delay_alu instid0(SALU_CYCLE_1)
	s_and_not1_b32 vcc_lo, exec_lo, s42
	s_cbranch_vccnz .LBB183_409
; %bb.405:
	s_cmp_gt_i32 s27, 0
	s_mov_b32 s27, -1
	s_cbranch_scc0 .LBB183_407
; %bb.406:
	s_wait_xcnt 0x0
	v_cvt_i16_f16_e32 v4, v1
	s_mov_b32 s27, 0
	global_store_b8 v[2:3], v4, off
.LBB183_407:
	s_and_not1_b32 vcc_lo, exec_lo, s27
	s_cbranch_vccnz .LBB183_409
; %bb.408:
	s_wait_xcnt 0x0
	v_cvt_f32_f16_e32 v1, v1
	s_delay_alu instid0(VALU_DEP_1)
	v_cvt_i32_f32_e32 v1, v1
	global_store_b8 v[2:3], v1, off
.LBB183_409:
	s_mov_b32 s43, -1
.LBB183_410:
	s_delay_alu instid0(SALU_CYCLE_1)
	s_and_not1_b32 vcc_lo, exec_lo, s43
	s_cbranch_vccnz .LBB183_38
; %bb.411:
	v_add_nc_u32_e32 v0, 0x80, v0
	s_mov_b32 s27, -1
.LBB183_412:
	s_and_b32 s42, s0, exec_lo
	s_and_b32 s43, s26, exec_lo
	s_and_b32 s44, s24, exec_lo
	s_and_b32 s45, s25, exec_lo
	s_or_not1_b32 s24, s27, exec_lo
.LBB183_413:
	s_wait_xcnt 0x0
	s_or_b32 exec_lo, exec_lo, s46
                                        ; implicit-def: $vgpr4
                                        ; implicit-def: $vgpr6
                                        ; implicit-def: $vgpr2
	s_and_saveexec_b32 s46, s24
	s_cbranch_execz .LBB183_1291
; %bb.414:
	s_mov_b32 s24, -1
	s_mov_b32 s47, s45
	s_mov_b32 s50, s44
	;; [unrolled: 1-line block ×4, first 2 shown]
	s_mov_b32 s51, exec_lo
	v_cmpx_gt_i32_e64 s40, v0
	s_cbranch_execz .LBB183_832
; %bb.415:
	s_and_not1_b32 vcc_lo, exec_lo, s30
	s_cbranch_vccnz .LBB183_421
; %bb.416:
	s_and_not1_b32 vcc_lo, exec_lo, s41
	s_cbranch_vccnz .LBB183_422
; %bb.417:
	s_wait_loadcnt 0x0
	v_dual_mov_b32 v2, 0 :: v_dual_mov_b32 v1, v0
	v_dual_mov_b32 v6, 0 :: v_dual_mov_b32 v4, 0
	s_add_co_i32 s0, s39, 1
	s_mov_b64 s[24:25], 0xffffffffffffffe0
	s_and_b32 s0, s0, 30
	s_add_nc_u64 s[24:25], s[2:3], s[24:25]
	s_mov_b64 s[26:27], s[2:3]
.LBB183_418:                            ; =>This Inner Loop Header: Depth=1
	s_clause 0x1
	s_load_b128 s[52:55], s[26:27], 0x4
	s_load_b64 s[56:57], s[26:27], 0x14
	s_clause 0x1
	s_load_b32 s47, s[24:25], 0xe4
	s_load_b96 s[48:50], s[24:25], 0xec
	s_add_co_i32 s0, s0, -2
	s_wait_xcnt 0x0
	s_add_nc_u64 s[26:27], s[26:27], 24
	s_cmp_eq_u32 s0, 0
	s_wait_kmcnt 0x0
	v_mul_hi_u32 v3, s53, v1
	s_delay_alu instid0(VALU_DEP_1) | instskip(NEXT) | instid1(VALU_DEP_1)
	v_add_nc_u32_e32 v3, v1, v3
	v_lshrrev_b32_e32 v3, s54, v3
	s_delay_alu instid0(VALU_DEP_1) | instskip(SKIP_4) | instid1(VALU_DEP_1)
	v_mul_hi_u32 v5, s56, v3
	v_mul_lo_u32 v7, v3, s52
	s_load_b64 s[52:53], s[24:25], 0xfc
	s_wait_xcnt 0x0
	s_add_nc_u64 s[24:25], s[24:25], 32
	v_dual_add_nc_u32 v5, v3, v5 :: v_dual_sub_nc_u32 v7, v1, v7
	s_delay_alu instid0(VALU_DEP_1) | instskip(NEXT) | instid1(VALU_DEP_2)
	v_lshrrev_b32_e32 v1, s57, v5
	v_mad_u32 v2, v7, s47, v2
	v_mad_u32 v4, v7, s49, v4
	;; [unrolled: 1-line block ×3, first 2 shown]
	s_delay_alu instid0(VALU_DEP_4) | instskip(NEXT) | instid1(VALU_DEP_1)
	v_mul_lo_u32 v5, v1, s55
	v_sub_nc_u32_e32 v3, v3, v5
	s_delay_alu instid0(VALU_DEP_1)
	v_mad_u32 v2, v3, s50, v2
	s_wait_kmcnt 0x0
	v_mad_u32 v4, v3, s53, v4
	v_mad_u32 v6, v3, s52, v6
	s_cbranch_scc0 .LBB183_418
; %bb.419:
	s_bitcmp1_b32 s39, 0
	s_cselect_b32 s0, -1, 0
	s_delay_alu instid0(SALU_CYCLE_1)
	s_and_b32 vcc_lo, exec_lo, s0
	s_cbranch_vccnz .LBB183_423
; %bb.420:
	s_load_b96 s[48:50], s[26:27], 0x4
	s_load_b32 s0, s[24:25], 0xe4
	s_wait_xcnt 0x0
	s_load_b64 s[26:27], s[24:25], 0xec
	s_wait_kmcnt 0x0
	v_mul_hi_u32 v3, s49, v1
	s_delay_alu instid0(VALU_DEP_1) | instskip(NEXT) | instid1(VALU_DEP_1)
	v_add_nc_u32_e32 v3, v1, v3
	v_lshrrev_b32_e32 v3, s50, v3
	s_delay_alu instid0(VALU_DEP_1) | instskip(NEXT) | instid1(VALU_DEP_1)
	v_mul_lo_u32 v3, v3, s48
	v_sub_nc_u32_e32 v1, v1, v3
	s_delay_alu instid0(VALU_DEP_1)
	v_mad_u32 v2, v1, s0, v2
	v_mad_u32 v6, v1, s26, v6
	;; [unrolled: 1-line block ×3, first 2 shown]
	s_branch .LBB183_423
.LBB183_421:
                                        ; implicit-def: $vgpr4
                                        ; implicit-def: $vgpr6
                                        ; implicit-def: $vgpr2
	s_branch .LBB183_424
.LBB183_422:
	s_wait_loadcnt 0x0
	v_dual_mov_b32 v4, 0 :: v_dual_mov_b32 v6, 0
	v_mov_b32_e32 v2, 0
.LBB183_423:
	s_cbranch_execnz .LBB183_426
.LBB183_424:
	s_wait_loadcnt 0x0
	v_mov_b32_e32 v1, 0
	s_and_not1_b32 vcc_lo, exec_lo, s38
	s_delay_alu instid0(VALU_DEP_1) | instskip(NEXT) | instid1(VALU_DEP_1)
	v_mul_u64_e32 v[2:3], s[18:19], v[0:1]
	v_add_nc_u32_e32 v2, v0, v3
	s_delay_alu instid0(VALU_DEP_1) | instskip(NEXT) | instid1(VALU_DEP_1)
	v_lshrrev_b32_e32 v8, s10, v2
	v_mul_lo_u32 v2, v8, s8
	s_delay_alu instid0(VALU_DEP_1) | instskip(NEXT) | instid1(VALU_DEP_1)
	v_sub_nc_u32_e32 v3, v0, v2
	v_mul_lo_u32 v2, v3, s37
	v_mul_lo_u32 v4, v3, s13
	;; [unrolled: 1-line block ×3, first 2 shown]
	s_cbranch_vccnz .LBB183_426
; %bb.425:
	v_mov_b32_e32 v9, v1
	s_delay_alu instid0(VALU_DEP_1) | instskip(NEXT) | instid1(VALU_DEP_1)
	v_mul_u64_e32 v[10:11], s[22:23], v[8:9]
	v_add_nc_u32_e32 v1, v8, v11
	s_delay_alu instid0(VALU_DEP_1) | instskip(NEXT) | instid1(VALU_DEP_1)
	v_lshrrev_b32_e32 v1, s1, v1
	v_mul_lo_u32 v1, v1, s11
	s_delay_alu instid0(VALU_DEP_1) | instskip(NEXT) | instid1(VALU_DEP_1)
	v_sub_nc_u32_e32 v1, v8, v1
	v_mad_u32 v2, v1, s14, v2
	v_mad_u32 v6, v1, s20, v6
	;; [unrolled: 1-line block ×3, first 2 shown]
.LBB183_426:
	s_and_b32 s24, s36, 0xff
	s_delay_alu instid0(SALU_CYCLE_1)
	s_cmp_lt_i32 s24, 23
	s_cbranch_scc1 .LBB183_430
; %bb.427:
	s_and_b32 s26, 0xffff, s24
	s_delay_alu instid0(SALU_CYCLE_1)
	s_cmp_gt_i32 s26, 43
	s_cbranch_scc0 .LBB183_431
; %bb.428:
	s_cmp_gt_i32 s26, 45
	s_cbranch_scc0 .LBB183_432
; %bb.429:
	s_cmp_eq_u32 s26, 46
	s_mov_b32 s27, 0
	s_cselect_b32 s0, -1, 0
	s_or_b32 s25, s45, exec_lo
	s_branch .LBB183_433
.LBB183_430:
	s_mov_b32 s0, 0
	s_mov_b32 s25, s45
	s_cbranch_execnz .LBB183_439
	s_branch .LBB183_443
.LBB183_431:
	s_mov_b32 s27, -1
	s_mov_b32 s0, 0
	s_mov_b32 s25, s45
	s_branch .LBB183_436
.LBB183_432:
	s_mov_b32 s27, -1
	s_mov_b32 s0, 0
	s_mov_b32 s25, s45
.LBB183_433:
	s_and_not1_b32 vcc_lo, exec_lo, s27
	s_cbranch_vccnz .LBB183_435
; %bb.434:
	s_cmp_eq_u32 s26, 44
	s_cselect_b32 s0, -1, 0
	s_cmp_lg_u32 s26, 44
	s_cselect_b32 s27, -1, 0
	s_and_not1_b32 s25, s25, exec_lo
	s_and_b32 s27, s27, exec_lo
	s_delay_alu instid0(SALU_CYCLE_1)
	s_or_b32 s25, s25, s27
.LBB183_435:
	s_mov_b32 s27, 0
.LBB183_436:
	s_delay_alu instid0(SALU_CYCLE_1)
	s_and_b32 vcc_lo, exec_lo, s27
	s_cbranch_vccz .LBB183_438
; %bb.437:
	s_cmp_lt_i32 s26, 30
	s_cselect_b32 s0, -1, 0
	s_cmp_gt_i32 s26, 29
	s_cselect_b32 s26, -1, 0
	s_and_not1_b32 s25, s25, exec_lo
	s_and_b32 s26, s26, exec_lo
	s_delay_alu instid0(SALU_CYCLE_1)
	s_or_b32 s25, s25, s26
.LBB183_438:
	s_branch .LBB183_443
.LBB183_439:
	s_and_b32 s24, 0xffff, s24
	s_mov_b32 s26, -1
	s_cmp_gt_i32 s24, 14
	s_cbranch_scc0 .LBB183_441
; %bb.440:
	s_cmp_eq_u32 s24, 15
	s_cselect_b32 s0, -1, 0
	s_cmp_lg_u32 s24, 15
	s_cselect_b32 s26, -1, 0
	s_and_not1_b32 s25, s25, exec_lo
	s_and_b32 s27, s26, exec_lo
	s_mov_b32 s26, 0
	s_or_b32 s25, s25, s27
.LBB183_441:
	s_and_not1_b32 vcc_lo, exec_lo, s26
	s_cbranch_vccnz .LBB183_443
; %bb.442:
	s_cmp_lt_i32 s24, 12
	s_cselect_b32 s0, -1, 0
	s_cmp_gt_i32 s24, 11
	s_cselect_b32 s24, -1, 0
	s_and_not1_b32 s25, s25, exec_lo
	s_and_b32 s24, s24, exec_lo
	s_delay_alu instid0(SALU_CYCLE_1)
	s_or_b32 s25, s25, s24
.LBB183_443:
	s_and_b32 vcc_lo, exec_lo, s0
	s_cbranch_vccz .LBB183_451
; %bb.444:
	v_mov_b32_e32 v7, 0
	s_and_b32 s0, s35, 0xff
	s_delay_alu instid0(SALU_CYCLE_1) | instskip(SKIP_1) | instid1(VALU_DEP_1)
	s_cmp_lt_i32 s0, 11
	s_wait_loadcnt 0x0
	v_add_nc_u64_e32 v[6:7], s[4:5], v[6:7]
	s_cbranch_scc1 .LBB183_453
; %bb.445:
	s_and_b32 s25, 0xffff, s0
	s_delay_alu instid0(SALU_CYCLE_1)
	s_cmp_gt_i32 s25, 25
	s_cbranch_scc0 .LBB183_454
; %bb.446:
	s_cmp_gt_i32 s25, 28
	s_cbranch_scc0 .LBB183_455
; %bb.447:
	;; [unrolled: 3-line block ×4, first 2 shown]
	s_cmp_eq_u32 s25, 46
	s_mov_b32 s27, 0
	s_cbranch_scc0 .LBB183_460
; %bb.450:
	global_load_b32 v1, v[6:7], off
	s_mov_b32 s26, -1
	s_mov_b32 s24, 0
	s_wait_loadcnt 0x0
	v_lshlrev_b32_e32 v1, 16, v1
	s_delay_alu instid0(VALU_DEP_1)
	v_cvt_f16_f32_e32 v1, v1
	s_branch .LBB183_462
.LBB183_451:
	s_mov_b32 s27, 0
	s_mov_b32 s0, s42
	;; [unrolled: 1-line block ×4, first 2 shown]
.LBB183_452:
                                        ; implicit-def: $vgpr0
	s_branch .LBB183_831
.LBB183_453:
	s_mov_b32 s25, -1
	s_mov_b32 s26, 0
	s_mov_b32 s24, s44
                                        ; implicit-def: $vgpr1
	s_branch .LBB183_527
.LBB183_454:
	s_mov_b32 s27, -1
	s_mov_b32 s26, 0
	s_mov_b32 s24, s44
                                        ; implicit-def: $vgpr1
	s_branch .LBB183_491
.LBB183_455:
	s_mov_b32 s27, -1
	s_mov_b32 s26, 0
	s_mov_b32 s24, s44
                                        ; implicit-def: $vgpr1
	s_branch .LBB183_472
.LBB183_456:
	s_mov_b32 s27, -1
	s_mov_b32 s26, 0
	s_mov_b32 s24, s44
                                        ; implicit-def: $vgpr1
	s_branch .LBB183_467
.LBB183_457:
	s_mov_b32 s27, -1
	s_mov_b32 s26, 0
	s_mov_b32 s24, s44
	s_branch .LBB183_461
.LBB183_458:
	s_and_not1_saveexec_b32 s45, s45
	s_cbranch_execz .LBB183_323
.LBB183_459:
	v_add_f32_e64 v5, 0x46000000, |v4|
	s_and_not1_b32 s44, s44, exec_lo
	s_delay_alu instid0(VALU_DEP_1) | instskip(NEXT) | instid1(VALU_DEP_1)
	v_and_b32_e32 v5, 0xff, v5
	v_cmp_ne_u32_e32 vcc_lo, 0, v5
	s_and_b32 s47, vcc_lo, exec_lo
	s_delay_alu instid0(SALU_CYCLE_1)
	s_or_b32 s44, s44, s47
	s_or_b32 exec_lo, exec_lo, s45
	v_mov_b32_e32 v6, 0
	s_and_saveexec_b32 s45, s44
	s_cbranch_execnz .LBB183_324
	s_branch .LBB183_325
.LBB183_460:
	s_mov_b32 s24, -1
	s_mov_b32 s26, 0
.LBB183_461:
                                        ; implicit-def: $vgpr1
.LBB183_462:
	s_and_b32 vcc_lo, exec_lo, s27
	s_cbranch_vccz .LBB183_466
; %bb.463:
	s_cmp_eq_u32 s25, 44
	s_cbranch_scc0 .LBB183_465
; %bb.464:
	global_load_u8 v1, v[6:7], off
	s_mov_b32 s24, 0
	s_mov_b32 s26, -1
	s_wait_loadcnt 0x0
	v_lshlrev_b32_e32 v3, 23, v1
	v_cmp_ne_u32_e32 vcc_lo, 0xff, v1
	s_delay_alu instid0(VALU_DEP_2) | instskip(NEXT) | instid1(VALU_DEP_1)
	v_cvt_f16_f32_e32 v3, v3
	v_cndmask_b32_e32 v3, 0x7e00, v3, vcc_lo
	v_cmp_ne_u32_e32 vcc_lo, 0, v1
	s_delay_alu instid0(VALU_DEP_2)
	v_cndmask_b32_e32 v1, 0, v3, vcc_lo
	s_branch .LBB183_466
.LBB183_465:
	s_mov_b32 s24, -1
                                        ; implicit-def: $vgpr1
.LBB183_466:
	s_mov_b32 s27, 0
.LBB183_467:
	s_delay_alu instid0(SALU_CYCLE_1)
	s_and_b32 vcc_lo, exec_lo, s27
	s_cbranch_vccz .LBB183_471
; %bb.468:
	s_cmp_eq_u32 s25, 29
	s_cbranch_scc0 .LBB183_470
; %bb.469:
	global_load_b64 v[8:9], v[6:7], off
	s_mov_b32 s26, -1
	s_mov_b32 s24, 0
	s_mov_b32 s27, 0
	s_wait_loadcnt 0x0
	v_clz_i32_u32_e32 v1, v9
	s_delay_alu instid0(VALU_DEP_1) | instskip(NEXT) | instid1(VALU_DEP_1)
	v_min_u32_e32 v1, 32, v1
	v_lshlrev_b64_e32 v[8:9], v1, v[8:9]
	v_sub_nc_u32_e32 v1, 32, v1
	s_delay_alu instid0(VALU_DEP_2) | instskip(NEXT) | instid1(VALU_DEP_1)
	v_min_u32_e32 v3, 1, v8
	v_or_b32_e32 v3, v9, v3
	s_delay_alu instid0(VALU_DEP_1) | instskip(NEXT) | instid1(VALU_DEP_1)
	v_cvt_f32_u32_e32 v3, v3
	v_ldexp_f32 v1, v3, v1
	s_delay_alu instid0(VALU_DEP_1)
	v_cvt_f16_f32_e32 v1, v1
	s_branch .LBB183_472
.LBB183_470:
	s_mov_b32 s24, -1
                                        ; implicit-def: $vgpr1
.LBB183_471:
	s_mov_b32 s27, 0
.LBB183_472:
	s_delay_alu instid0(SALU_CYCLE_1)
	s_and_b32 vcc_lo, exec_lo, s27
	s_cbranch_vccz .LBB183_490
; %bb.473:
	s_cmp_lt_i32 s25, 27
	s_cbranch_scc1 .LBB183_476
; %bb.474:
	s_cmp_gt_i32 s25, 27
	s_cbranch_scc0 .LBB183_477
; %bb.475:
	global_load_b32 v1, v[6:7], off
	s_mov_b32 s26, 0
	s_wait_loadcnt 0x0
	v_cvt_f32_u32_e32 v1, v1
	s_delay_alu instid0(VALU_DEP_1)
	v_cvt_f16_f32_e32 v1, v1
	s_branch .LBB183_478
.LBB183_476:
	s_mov_b32 s26, -1
                                        ; implicit-def: $vgpr1
	s_branch .LBB183_481
.LBB183_477:
	s_mov_b32 s26, -1
                                        ; implicit-def: $vgpr1
.LBB183_478:
	s_delay_alu instid0(SALU_CYCLE_1)
	s_and_not1_b32 vcc_lo, exec_lo, s26
	s_cbranch_vccnz .LBB183_480
; %bb.479:
	global_load_u16 v1, v[6:7], off
	s_wait_loadcnt 0x0
	v_cvt_f16_u16_e32 v1, v1
.LBB183_480:
	s_mov_b32 s26, 0
.LBB183_481:
	s_delay_alu instid0(SALU_CYCLE_1)
	s_and_not1_b32 vcc_lo, exec_lo, s26
	s_cbranch_vccnz .LBB183_489
; %bb.482:
	global_load_u8 v3, v[6:7], off
	s_mov_b32 s26, 0
	s_mov_b32 s27, exec_lo
	s_wait_loadcnt 0x0
	v_cmpx_lt_i16_e32 0x7f, v3
	s_xor_b32 s27, exec_lo, s27
	s_cbranch_execz .LBB183_503
; %bb.483:
	s_mov_b32 s26, -1
	s_mov_b32 s47, exec_lo
	v_cmpx_eq_u16_e32 0x80, v3
; %bb.484:
	s_xor_b32 s26, exec_lo, -1
; %bb.485:
	s_or_b32 exec_lo, exec_lo, s47
	s_delay_alu instid0(SALU_CYCLE_1)
	s_and_b32 s26, s26, exec_lo
	s_or_saveexec_b32 s27, s27
	v_mov_b32_e32 v1, 0x7e00
	s_xor_b32 exec_lo, exec_lo, s27
	s_cbranch_execnz .LBB183_504
.LBB183_486:
	s_or_b32 exec_lo, exec_lo, s27
	s_and_saveexec_b32 s27, s26
	s_cbranch_execz .LBB183_488
.LBB183_487:
	v_and_b32_e32 v1, 0xffff, v3
	s_delay_alu instid0(VALU_DEP_1) | instskip(SKIP_1) | instid1(VALU_DEP_2)
	v_and_b32_e32 v5, 7, v1
	v_bfe_u32 v10, v1, 3, 4
	v_clz_i32_u32_e32 v8, v5
	s_delay_alu instid0(VALU_DEP_2) | instskip(NEXT) | instid1(VALU_DEP_2)
	v_cmp_eq_u32_e32 vcc_lo, 0, v10
	v_min_u32_e32 v8, 32, v8
	s_delay_alu instid0(VALU_DEP_1) | instskip(NEXT) | instid1(VALU_DEP_1)
	v_subrev_nc_u32_e32 v9, 28, v8
	v_dual_lshlrev_b32 v1, v9, v1 :: v_dual_sub_nc_u32 v8, 29, v8
	s_delay_alu instid0(VALU_DEP_1) | instskip(NEXT) | instid1(VALU_DEP_1)
	v_dual_lshlrev_b32 v3, 24, v3 :: v_dual_bitop2_b32 v1, 7, v1 bitop3:0x40
	v_dual_cndmask_b32 v8, v10, v8 :: v_dual_cndmask_b32 v1, v5, v1
	s_delay_alu instid0(VALU_DEP_2) | instskip(NEXT) | instid1(VALU_DEP_2)
	v_and_b32_e32 v3, 0x80000000, v3
	v_lshl_add_u32 v5, v8, 23, 0x3b800000
	s_delay_alu instid0(VALU_DEP_3) | instskip(NEXT) | instid1(VALU_DEP_1)
	v_lshlrev_b32_e32 v1, 20, v1
	v_or3_b32 v1, v3, v5, v1
	s_delay_alu instid0(VALU_DEP_1)
	v_cvt_f16_f32_e32 v1, v1
.LBB183_488:
	s_or_b32 exec_lo, exec_lo, s27
.LBB183_489:
	s_mov_b32 s26, -1
.LBB183_490:
	s_mov_b32 s27, 0
.LBB183_491:
	s_delay_alu instid0(SALU_CYCLE_1)
	s_and_b32 vcc_lo, exec_lo, s27
	s_cbranch_vccz .LBB183_526
; %bb.492:
	s_cmp_gt_i32 s25, 22
	s_cbranch_scc0 .LBB183_502
; %bb.493:
	s_cmp_lt_i32 s25, 24
	s_cbranch_scc1 .LBB183_505
; %bb.494:
	s_cmp_gt_i32 s25, 24
	s_cbranch_scc0 .LBB183_506
; %bb.495:
	global_load_u8 v3, v[6:7], off
	s_mov_b32 s26, 0
	s_mov_b32 s27, exec_lo
	s_wait_loadcnt 0x0
	v_cmpx_lt_i16_e32 0x7f, v3
	s_xor_b32 s27, exec_lo, s27
	s_cbranch_execz .LBB183_518
; %bb.496:
	s_mov_b32 s26, -1
	s_mov_b32 s47, exec_lo
	v_cmpx_eq_u16_e32 0x80, v3
; %bb.497:
	s_xor_b32 s26, exec_lo, -1
; %bb.498:
	s_or_b32 exec_lo, exec_lo, s47
	s_delay_alu instid0(SALU_CYCLE_1)
	s_and_b32 s26, s26, exec_lo
	s_or_saveexec_b32 s27, s27
	v_mov_b32_e32 v1, 0x7e00
	s_xor_b32 exec_lo, exec_lo, s27
	s_cbranch_execnz .LBB183_519
.LBB183_499:
	s_or_b32 exec_lo, exec_lo, s27
	s_and_saveexec_b32 s27, s26
	s_cbranch_execz .LBB183_501
.LBB183_500:
	v_and_b32_e32 v1, 0xffff, v3
	s_delay_alu instid0(VALU_DEP_1) | instskip(SKIP_1) | instid1(VALU_DEP_2)
	v_and_b32_e32 v5, 3, v1
	v_bfe_u32 v10, v1, 2, 5
	v_clz_i32_u32_e32 v8, v5
	s_delay_alu instid0(VALU_DEP_2) | instskip(NEXT) | instid1(VALU_DEP_2)
	v_cmp_eq_u32_e32 vcc_lo, 0, v10
	v_min_u32_e32 v8, 32, v8
	s_delay_alu instid0(VALU_DEP_1) | instskip(NEXT) | instid1(VALU_DEP_1)
	v_subrev_nc_u32_e32 v9, 29, v8
	v_dual_lshlrev_b32 v1, v9, v1 :: v_dual_sub_nc_u32 v8, 30, v8
	s_delay_alu instid0(VALU_DEP_1) | instskip(NEXT) | instid1(VALU_DEP_1)
	v_dual_lshlrev_b32 v3, 24, v3 :: v_dual_bitop2_b32 v1, 3, v1 bitop3:0x40
	v_dual_cndmask_b32 v8, v10, v8 :: v_dual_cndmask_b32 v1, v5, v1
	s_delay_alu instid0(VALU_DEP_2) | instskip(NEXT) | instid1(VALU_DEP_2)
	v_and_b32_e32 v3, 0x80000000, v3
	v_lshl_add_u32 v5, v8, 23, 0x37800000
	s_delay_alu instid0(VALU_DEP_3) | instskip(NEXT) | instid1(VALU_DEP_1)
	v_lshlrev_b32_e32 v1, 21, v1
	v_or3_b32 v1, v3, v5, v1
	s_delay_alu instid0(VALU_DEP_1)
	v_cvt_f16_f32_e32 v1, v1
.LBB183_501:
	s_or_b32 exec_lo, exec_lo, s27
	s_mov_b32 s26, 0
	s_branch .LBB183_507
.LBB183_502:
	s_mov_b32 s27, -1
                                        ; implicit-def: $vgpr1
	s_branch .LBB183_513
.LBB183_503:
	s_or_saveexec_b32 s27, s27
	v_mov_b32_e32 v1, 0x7e00
	s_xor_b32 exec_lo, exec_lo, s27
	s_cbranch_execz .LBB183_486
.LBB183_504:
	v_cmp_ne_u16_e32 vcc_lo, 0, v3
	v_mov_b32_e32 v1, v3
	s_and_not1_b32 s26, s26, exec_lo
	s_and_b32 s47, vcc_lo, exec_lo
	s_delay_alu instid0(SALU_CYCLE_1)
	s_or_b32 s26, s26, s47
	s_or_b32 exec_lo, exec_lo, s27
	s_and_saveexec_b32 s27, s26
	s_cbranch_execnz .LBB183_487
	s_branch .LBB183_488
.LBB183_505:
	s_mov_b32 s26, -1
                                        ; implicit-def: $vgpr1
	s_branch .LBB183_510
.LBB183_506:
	s_mov_b32 s26, -1
                                        ; implicit-def: $vgpr1
.LBB183_507:
	s_delay_alu instid0(SALU_CYCLE_1)
	s_and_b32 vcc_lo, exec_lo, s26
	s_cbranch_vccz .LBB183_509
; %bb.508:
	global_load_u8 v1, v[6:7], off
	s_wait_loadcnt 0x0
	v_lshlrev_b32_e32 v1, 24, v1
	s_delay_alu instid0(VALU_DEP_1) | instskip(NEXT) | instid1(VALU_DEP_1)
	v_and_b32_e32 v3, 0x7f000000, v1
	v_clz_i32_u32_e32 v5, v3
	v_add_nc_u32_e32 v9, 0x1000000, v3
	v_cmp_ne_u32_e32 vcc_lo, 0, v3
	s_delay_alu instid0(VALU_DEP_3) | instskip(NEXT) | instid1(VALU_DEP_1)
	v_min_u32_e32 v5, 32, v5
	v_sub_nc_u32_e64 v5, v5, 4 clamp
	s_delay_alu instid0(VALU_DEP_1) | instskip(NEXT) | instid1(VALU_DEP_1)
	v_dual_lshlrev_b32 v8, v5, v3 :: v_dual_lshlrev_b32 v5, 23, v5
	v_lshrrev_b32_e32 v8, 4, v8
	s_delay_alu instid0(VALU_DEP_1) | instskip(SKIP_1) | instid1(VALU_DEP_2)
	v_sub_nc_u32_e32 v5, v8, v5
	v_ashrrev_i32_e32 v8, 8, v9
	v_add_nc_u32_e32 v5, 0x3c000000, v5
	s_delay_alu instid0(VALU_DEP_1) | instskip(NEXT) | instid1(VALU_DEP_1)
	v_and_or_b32 v5, 0x7f800000, v8, v5
	v_cndmask_b32_e32 v3, 0, v5, vcc_lo
	s_delay_alu instid0(VALU_DEP_1) | instskip(NEXT) | instid1(VALU_DEP_1)
	v_and_or_b32 v1, 0x80000000, v1, v3
	v_cvt_f16_f32_e32 v1, v1
.LBB183_509:
	s_mov_b32 s26, 0
.LBB183_510:
	s_delay_alu instid0(SALU_CYCLE_1)
	s_and_not1_b32 vcc_lo, exec_lo, s26
	s_cbranch_vccnz .LBB183_512
; %bb.511:
	global_load_u8 v1, v[6:7], off
	s_wait_loadcnt 0x0
	v_lshlrev_b32_e32 v3, 25, v1
	v_lshlrev_b16 v1, 8, v1
	s_delay_alu instid0(VALU_DEP_1) | instskip(SKIP_1) | instid1(VALU_DEP_2)
	v_and_or_b32 v8, 0x7f00, v1, 0.5
	v_bfe_i32 v1, v1, 0, 16
	v_dual_add_f32 v8, -0.5, v8 :: v_dual_lshrrev_b32 v5, 4, v3
	v_cmp_gt_u32_e32 vcc_lo, 0x8000000, v3
	s_delay_alu instid0(VALU_DEP_2) | instskip(NEXT) | instid1(VALU_DEP_1)
	v_or_b32_e32 v5, 0x70000000, v5
	v_mul_f32_e32 v5, 0x7800000, v5
	s_delay_alu instid0(VALU_DEP_1) | instskip(NEXT) | instid1(VALU_DEP_1)
	v_cndmask_b32_e32 v3, v5, v8, vcc_lo
	v_and_or_b32 v1, 0x80000000, v1, v3
	s_delay_alu instid0(VALU_DEP_1)
	v_cvt_f16_f32_e32 v1, v1
.LBB183_512:
	s_mov_b32 s27, 0
	s_mov_b32 s26, -1
.LBB183_513:
	s_and_not1_b32 vcc_lo, exec_lo, s27
	s_cbranch_vccnz .LBB183_526
; %bb.514:
	s_cmp_gt_i32 s25, 14
	s_cbranch_scc0 .LBB183_517
; %bb.515:
	s_cmp_eq_u32 s25, 15
	s_cbranch_scc0 .LBB183_520
; %bb.516:
	global_load_u16 v1, v[6:7], off
	s_mov_b32 s26, -1
	s_mov_b32 s24, 0
	s_wait_loadcnt 0x0
	v_lshlrev_b32_e32 v1, 16, v1
	s_delay_alu instid0(VALU_DEP_1)
	v_cvt_f16_f32_e32 v1, v1
	s_branch .LBB183_521
.LBB183_517:
	s_mov_b32 s27, -1
                                        ; implicit-def: $vgpr1
	s_branch .LBB183_522
.LBB183_518:
	s_or_saveexec_b32 s27, s27
	v_mov_b32_e32 v1, 0x7e00
	s_xor_b32 exec_lo, exec_lo, s27
	s_cbranch_execz .LBB183_499
.LBB183_519:
	v_cmp_ne_u16_e32 vcc_lo, 0, v3
	v_mov_b32_e32 v1, v3
	s_and_not1_b32 s26, s26, exec_lo
	s_and_b32 s47, vcc_lo, exec_lo
	s_delay_alu instid0(SALU_CYCLE_1)
	s_or_b32 s26, s26, s47
	s_or_b32 exec_lo, exec_lo, s27
	s_and_saveexec_b32 s27, s26
	s_cbranch_execnz .LBB183_500
	s_branch .LBB183_501
.LBB183_520:
	s_mov_b32 s24, -1
                                        ; implicit-def: $vgpr1
.LBB183_521:
	s_mov_b32 s27, 0
.LBB183_522:
	s_delay_alu instid0(SALU_CYCLE_1)
	s_and_b32 vcc_lo, exec_lo, s27
	s_cbranch_vccz .LBB183_526
; %bb.523:
	s_cmp_eq_u32 s25, 11
	s_cbranch_scc0 .LBB183_525
; %bb.524:
	global_load_u8 v1, v[6:7], off
	s_mov_b32 s24, 0
	s_mov_b32 s26, -1
	s_wait_loadcnt 0x0
	v_cmp_ne_u16_e32 vcc_lo, 0, v1
	v_cndmask_b32_e64 v1, 0, 0x3c00, vcc_lo
	s_branch .LBB183_526
.LBB183_525:
	s_mov_b32 s24, -1
                                        ; implicit-def: $vgpr1
.LBB183_526:
	s_mov_b32 s25, 0
.LBB183_527:
	s_delay_alu instid0(SALU_CYCLE_1)
	s_and_b32 vcc_lo, exec_lo, s25
	s_cbranch_vccz .LBB183_576
; %bb.528:
	s_and_b32 s0, 0xffff, s0
	s_delay_alu instid0(SALU_CYCLE_1)
	s_cmp_lt_i32 s0, 5
	s_cbranch_scc1 .LBB183_533
; %bb.529:
	s_cmp_lt_i32 s0, 8
	s_cbranch_scc1 .LBB183_534
; %bb.530:
	;; [unrolled: 3-line block ×3, first 2 shown]
	s_cmp_gt_i32 s0, 9
	s_cbranch_scc0 .LBB183_536
; %bb.532:
	global_load_b64 v[8:9], v[6:7], off
	s_mov_b32 s25, 0
	s_wait_loadcnt 0x0
	v_and_or_b32 v1, 0x1ff, v9, v8
	v_lshrrev_b32_e32 v3, 8, v9
	v_bfe_u32 v5, v9, 20, 11
	s_delay_alu instid0(VALU_DEP_3) | instskip(NEXT) | instid1(VALU_DEP_2)
	v_cmp_ne_u32_e32 vcc_lo, 0, v1
	v_sub_nc_u32_e32 v8, 0x3f1, v5
	v_add_nc_u32_e32 v5, 0xfffffc10, v5
	v_cndmask_b32_e64 v1, 0, 1, vcc_lo
	s_delay_alu instid0(VALU_DEP_1) | instskip(NEXT) | instid1(VALU_DEP_4)
	v_and_or_b32 v1, 0xffe, v3, v1
	v_med3_i32 v3, v8, 0, 13
	s_delay_alu instid0(VALU_DEP_2) | instskip(NEXT) | instid1(VALU_DEP_1)
	v_or_b32_e32 v8, 0x1000, v1
	v_lshrrev_b32_e32 v10, v3, v8
	s_delay_alu instid0(VALU_DEP_1) | instskip(NEXT) | instid1(VALU_DEP_1)
	v_lshlrev_b32_e32 v3, v3, v10
	v_cmp_ne_u32_e32 vcc_lo, v3, v8
	v_lshl_or_b32 v8, v5, 12, v1
	v_cndmask_b32_e64 v3, 0, 1, vcc_lo
	v_cmp_gt_i32_e32 vcc_lo, 1, v5
	s_delay_alu instid0(VALU_DEP_2) | instskip(NEXT) | instid1(VALU_DEP_1)
	v_or_b32_e32 v3, v10, v3
	v_cndmask_b32_e32 v3, v8, v3, vcc_lo
	s_delay_alu instid0(VALU_DEP_1) | instskip(NEXT) | instid1(VALU_DEP_1)
	v_dual_lshrrev_b32 v3, 2, v3 :: v_dual_bitop2_b32 v8, 7, v3 bitop3:0x40
	v_cmp_lt_i32_e32 vcc_lo, 5, v8
	v_cndmask_b32_e64 v10, 0, 1, vcc_lo
	v_cmp_eq_u32_e32 vcc_lo, 3, v8
	v_cndmask_b32_e64 v8, 0, 1, vcc_lo
	v_cmp_ne_u32_e32 vcc_lo, 0, v1
	s_delay_alu instid0(VALU_DEP_2) | instskip(NEXT) | instid1(VALU_DEP_1)
	v_or_b32_e32 v8, v8, v10
	v_dual_mov_b32 v10, 0x7e00 :: v_dual_add_nc_u32 v3, v3, v8
	s_delay_alu instid0(VALU_DEP_1) | instskip(SKIP_1) | instid1(VALU_DEP_3)
	v_cndmask_b32_e32 v1, 0x7c00, v10, vcc_lo
	v_cmp_gt_i32_e32 vcc_lo, 31, v5
	v_cndmask_b32_e32 v3, 0x7c00, v3, vcc_lo
	v_cmp_eq_u32_e32 vcc_lo, 0x40f, v5
	s_delay_alu instid0(VALU_DEP_2) | instskip(SKIP_1) | instid1(VALU_DEP_1)
	v_cndmask_b32_e32 v1, v3, v1, vcc_lo
	v_lshrrev_b32_e32 v3, 16, v9
	v_and_or_b32 v1, 0x8000, v3, v1
	s_branch .LBB183_537
.LBB183_533:
	s_mov_b32 s25, -1
                                        ; implicit-def: $vgpr1
	s_branch .LBB183_555
.LBB183_534:
	s_mov_b32 s25, -1
                                        ; implicit-def: $vgpr1
	s_branch .LBB183_543
.LBB183_535:
	s_mov_b32 s25, -1
                                        ; implicit-def: $vgpr1
	s_branch .LBB183_540
.LBB183_536:
	s_mov_b32 s25, -1
                                        ; implicit-def: $vgpr1
.LBB183_537:
	s_delay_alu instid0(SALU_CYCLE_1)
	s_and_not1_b32 vcc_lo, exec_lo, s25
	s_cbranch_vccnz .LBB183_539
; %bb.538:
	global_load_b32 v1, v[6:7], off
	s_wait_loadcnt 0x0
	v_cvt_f16_f32_e32 v1, v1
.LBB183_539:
	s_mov_b32 s25, 0
.LBB183_540:
	s_delay_alu instid0(SALU_CYCLE_1)
	s_and_not1_b32 vcc_lo, exec_lo, s25
	s_cbranch_vccnz .LBB183_542
; %bb.541:
	global_load_b32 v1, v[6:7], off
.LBB183_542:
	s_mov_b32 s25, 0
.LBB183_543:
	s_delay_alu instid0(SALU_CYCLE_1)
	s_and_not1_b32 vcc_lo, exec_lo, s25
	s_cbranch_vccnz .LBB183_554
; %bb.544:
	s_cmp_lt_i32 s0, 6
	s_cbranch_scc1 .LBB183_547
; %bb.545:
	s_cmp_gt_i32 s0, 6
	s_cbranch_scc0 .LBB183_548
; %bb.546:
	global_load_b64 v[8:9], v[6:7], off
	s_mov_b32 s25, 0
	s_wait_loadcnt 0x0
	v_and_or_b32 v1, 0x1ff, v9, v8
	v_lshrrev_b32_e32 v3, 8, v9
	v_bfe_u32 v5, v9, 20, 11
	s_delay_alu instid0(VALU_DEP_3) | instskip(NEXT) | instid1(VALU_DEP_2)
	v_cmp_ne_u32_e32 vcc_lo, 0, v1
	v_sub_nc_u32_e32 v8, 0x3f1, v5
	v_add_nc_u32_e32 v5, 0xfffffc10, v5
	v_cndmask_b32_e64 v1, 0, 1, vcc_lo
	s_delay_alu instid0(VALU_DEP_1) | instskip(NEXT) | instid1(VALU_DEP_4)
	v_and_or_b32 v1, 0xffe, v3, v1
	v_med3_i32 v3, v8, 0, 13
	s_delay_alu instid0(VALU_DEP_2) | instskip(NEXT) | instid1(VALU_DEP_1)
	v_or_b32_e32 v8, 0x1000, v1
	v_lshrrev_b32_e32 v10, v3, v8
	s_delay_alu instid0(VALU_DEP_1) | instskip(NEXT) | instid1(VALU_DEP_1)
	v_lshlrev_b32_e32 v3, v3, v10
	v_cmp_ne_u32_e32 vcc_lo, v3, v8
	v_lshl_or_b32 v8, v5, 12, v1
	v_cndmask_b32_e64 v3, 0, 1, vcc_lo
	v_cmp_gt_i32_e32 vcc_lo, 1, v5
	s_delay_alu instid0(VALU_DEP_2) | instskip(NEXT) | instid1(VALU_DEP_1)
	v_or_b32_e32 v3, v10, v3
	v_cndmask_b32_e32 v3, v8, v3, vcc_lo
	s_delay_alu instid0(VALU_DEP_1) | instskip(NEXT) | instid1(VALU_DEP_1)
	v_dual_lshrrev_b32 v3, 2, v3 :: v_dual_bitop2_b32 v8, 7, v3 bitop3:0x40
	v_cmp_lt_i32_e32 vcc_lo, 5, v8
	v_cndmask_b32_e64 v10, 0, 1, vcc_lo
	v_cmp_eq_u32_e32 vcc_lo, 3, v8
	v_cndmask_b32_e64 v8, 0, 1, vcc_lo
	v_cmp_ne_u32_e32 vcc_lo, 0, v1
	s_delay_alu instid0(VALU_DEP_2) | instskip(NEXT) | instid1(VALU_DEP_1)
	v_or_b32_e32 v8, v8, v10
	v_dual_mov_b32 v10, 0x7e00 :: v_dual_add_nc_u32 v3, v3, v8
	s_delay_alu instid0(VALU_DEP_1) | instskip(SKIP_1) | instid1(VALU_DEP_3)
	v_cndmask_b32_e32 v1, 0x7c00, v10, vcc_lo
	v_cmp_gt_i32_e32 vcc_lo, 31, v5
	v_cndmask_b32_e32 v3, 0x7c00, v3, vcc_lo
	v_cmp_eq_u32_e32 vcc_lo, 0x40f, v5
	s_delay_alu instid0(VALU_DEP_2) | instskip(SKIP_1) | instid1(VALU_DEP_1)
	v_cndmask_b32_e32 v1, v3, v1, vcc_lo
	v_lshrrev_b32_e32 v3, 16, v9
	v_and_or_b32 v1, 0x8000, v3, v1
	s_branch .LBB183_549
.LBB183_547:
	s_mov_b32 s25, -1
                                        ; implicit-def: $vgpr1
	s_branch .LBB183_552
.LBB183_548:
	s_mov_b32 s25, -1
                                        ; implicit-def: $vgpr1
.LBB183_549:
	s_delay_alu instid0(SALU_CYCLE_1)
	s_and_not1_b32 vcc_lo, exec_lo, s25
	s_cbranch_vccnz .LBB183_551
; %bb.550:
	s_wait_loadcnt 0x0
	global_load_b32 v1, v[6:7], off
	s_wait_loadcnt 0x0
	v_cvt_f16_f32_e32 v1, v1
.LBB183_551:
	s_mov_b32 s25, 0
.LBB183_552:
	s_delay_alu instid0(SALU_CYCLE_1)
	s_and_not1_b32 vcc_lo, exec_lo, s25
	s_cbranch_vccnz .LBB183_554
; %bb.553:
	s_wait_loadcnt 0x0
	global_load_u16 v1, v[6:7], off
.LBB183_554:
	s_mov_b32 s25, 0
.LBB183_555:
	s_delay_alu instid0(SALU_CYCLE_1)
	s_and_not1_b32 vcc_lo, exec_lo, s25
	s_cbranch_vccnz .LBB183_575
; %bb.556:
	s_cmp_lt_i32 s0, 2
	s_cbranch_scc1 .LBB183_560
; %bb.557:
	s_cmp_lt_i32 s0, 3
	s_cbranch_scc1 .LBB183_561
; %bb.558:
	s_cmp_gt_i32 s0, 3
	s_cbranch_scc0 .LBB183_562
; %bb.559:
	global_load_b64 v[8:9], v[6:7], off
	s_mov_b32 s25, 0
	s_wait_loadcnt 0x0
	v_xor_b32_e32 v1, v8, v9
	v_cls_i32_e32 v3, v9
	s_delay_alu instid0(VALU_DEP_2) | instskip(NEXT) | instid1(VALU_DEP_1)
	v_ashrrev_i32_e32 v1, 31, v1
	v_add_nc_u32_e32 v1, 32, v1
	s_delay_alu instid0(VALU_DEP_1) | instskip(NEXT) | instid1(VALU_DEP_1)
	v_add_min_u32_e64 v1, v3, -1, v1
	v_lshlrev_b64_e32 v[8:9], v1, v[8:9]
	v_sub_nc_u32_e32 v1, 32, v1
	s_delay_alu instid0(VALU_DEP_2) | instskip(NEXT) | instid1(VALU_DEP_1)
	v_min_u32_e32 v3, 1, v8
	v_or_b32_e32 v3, v9, v3
	s_delay_alu instid0(VALU_DEP_1) | instskip(NEXT) | instid1(VALU_DEP_1)
	v_cvt_f32_i32_e32 v3, v3
	v_ldexp_f32 v1, v3, v1
	s_delay_alu instid0(VALU_DEP_1)
	v_cvt_f16_f32_e32 v1, v1
	s_branch .LBB183_563
.LBB183_560:
	s_mov_b32 s25, -1
                                        ; implicit-def: $vgpr1
	s_branch .LBB183_569
.LBB183_561:
	s_mov_b32 s25, -1
                                        ; implicit-def: $vgpr1
	s_branch .LBB183_566
.LBB183_562:
	s_mov_b32 s25, -1
                                        ; implicit-def: $vgpr1
.LBB183_563:
	s_delay_alu instid0(SALU_CYCLE_1)
	s_and_not1_b32 vcc_lo, exec_lo, s25
	s_cbranch_vccnz .LBB183_565
; %bb.564:
	s_wait_loadcnt 0x0
	global_load_b32 v1, v[6:7], off
	s_wait_loadcnt 0x0
	v_cvt_f32_i32_e32 v1, v1
	s_delay_alu instid0(VALU_DEP_1)
	v_cvt_f16_f32_e32 v1, v1
.LBB183_565:
	s_mov_b32 s25, 0
.LBB183_566:
	s_delay_alu instid0(SALU_CYCLE_1)
	s_and_not1_b32 vcc_lo, exec_lo, s25
	s_cbranch_vccnz .LBB183_568
; %bb.567:
	s_wait_loadcnt 0x0
	global_load_u16 v1, v[6:7], off
	s_wait_loadcnt 0x0
	v_cvt_f16_i16_e32 v1, v1
.LBB183_568:
	s_mov_b32 s25, 0
.LBB183_569:
	s_delay_alu instid0(SALU_CYCLE_1)
	s_and_not1_b32 vcc_lo, exec_lo, s25
	s_cbranch_vccnz .LBB183_575
; %bb.570:
	s_cmp_gt_i32 s0, 0
	s_mov_b32 s0, 0
	s_cbranch_scc0 .LBB183_572
; %bb.571:
	s_wait_loadcnt 0x0
	global_load_i8 v1, v[6:7], off
	s_wait_loadcnt 0x0
	v_cvt_f16_i16_e32 v1, v1
	s_branch .LBB183_573
.LBB183_572:
	s_mov_b32 s0, -1
                                        ; implicit-def: $vgpr1
.LBB183_573:
	s_delay_alu instid0(SALU_CYCLE_1)
	s_and_not1_b32 vcc_lo, exec_lo, s0
	s_cbranch_vccnz .LBB183_575
; %bb.574:
	s_wait_loadcnt 0x0
	global_load_u8 v1, v[6:7], off
	s_wait_loadcnt 0x0
	v_cvt_f16_u16_e32 v1, v1
.LBB183_575:
	s_mov_b32 s26, -1
.LBB183_576:
	s_mov_b32 s25, 0
	s_mov_b32 s0, s42
	s_and_not1_b32 vcc_lo, exec_lo, s26
	s_mov_b32 s26, s43
	s_mov_b32 s27, 0
	s_cbranch_vccnz .LBB183_831
; %bb.577:
	v_mov_b32_e32 v5, 0
	s_and_b32 s0, 0xffff, s9
	s_delay_alu instid0(SALU_CYCLE_1) | instskip(NEXT) | instid1(VALU_DEP_1)
	s_cmp_lt_i32 s0, 11
	v_add_nc_u64_e32 v[4:5], s[6:7], v[4:5]
	s_cbranch_scc1 .LBB183_584
; %bb.578:
	s_cmp_gt_i32 s0, 25
	s_cbranch_scc0 .LBB183_585
; %bb.579:
	s_cmp_gt_i32 s0, 28
	s_cbranch_scc0 .LBB183_586
	;; [unrolled: 3-line block ×4, first 2 shown]
; %bb.582:
	s_cmp_eq_u32 s0, 46
	s_mov_b32 s47, 0
	s_cbranch_scc0 .LBB183_591
; %bb.583:
	global_load_b32 v3, v[4:5], off
	s_mov_b32 s27, -1
	s_mov_b32 s26, 0
	s_wait_loadcnt 0x0
	v_lshlrev_b32_e32 v3, 16, v3
	s_wait_xcnt 0x1
	s_delay_alu instid0(VALU_DEP_1)
	v_cvt_f16_f32_e32 v6, v3
	s_branch .LBB183_593
.LBB183_584:
	s_mov_b32 s47, -1
	s_mov_b32 s26, s43
                                        ; implicit-def: $vgpr6
	s_branch .LBB183_658
.LBB183_585:
	s_mov_b32 s47, -1
	s_mov_b32 s26, s43
                                        ; implicit-def: $vgpr6
	s_branch .LBB183_622
.LBB183_586:
	s_mov_b32 s47, -1
	s_mov_b32 s26, s43
                                        ; implicit-def: $vgpr6
	s_branch .LBB183_603
.LBB183_587:
	s_mov_b32 s47, -1
	s_mov_b32 s26, s43
                                        ; implicit-def: $vgpr6
	s_branch .LBB183_598
.LBB183_588:
	s_mov_b32 s47, -1
	s_mov_b32 s26, s43
	s_branch .LBB183_592
.LBB183_589:
	s_and_not1_saveexec_b32 s45, s45
	s_cbranch_execz .LBB183_336
.LBB183_590:
	v_add_f32_e64 v5, 0x42800000, |v4|
	s_and_not1_b32 s44, s44, exec_lo
	s_delay_alu instid0(VALU_DEP_1) | instskip(NEXT) | instid1(VALU_DEP_1)
	v_and_b32_e32 v5, 0xff, v5
	v_cmp_ne_u32_e32 vcc_lo, 0, v5
	s_and_b32 s47, vcc_lo, exec_lo
	s_delay_alu instid0(SALU_CYCLE_1)
	s_or_b32 s44, s44, s47
	s_or_b32 exec_lo, exec_lo, s45
	v_mov_b32_e32 v6, 0
	s_and_saveexec_b32 s45, s44
	s_cbranch_execnz .LBB183_337
	s_branch .LBB183_338
.LBB183_591:
	s_mov_b32 s26, -1
.LBB183_592:
                                        ; implicit-def: $vgpr6
.LBB183_593:
	s_and_b32 vcc_lo, exec_lo, s47
	s_cbranch_vccz .LBB183_597
; %bb.594:
	s_cmp_eq_u32 s0, 44
	s_cbranch_scc0 .LBB183_596
; %bb.595:
	global_load_u8 v3, v[4:5], off
	s_mov_b32 s26, 0
	s_mov_b32 s27, -1
	s_wait_loadcnt 0x0
	s_wait_xcnt 0x1
	v_lshlrev_b32_e32 v6, 23, v3
	v_cmp_ne_u32_e32 vcc_lo, 0xff, v3
	s_delay_alu instid0(VALU_DEP_2) | instskip(NEXT) | instid1(VALU_DEP_1)
	v_cvt_f16_f32_e32 v6, v6
	v_cndmask_b32_e32 v6, 0x7e00, v6, vcc_lo
	v_cmp_ne_u32_e32 vcc_lo, 0, v3
	s_delay_alu instid0(VALU_DEP_2)
	v_cndmask_b32_e32 v6, 0, v6, vcc_lo
	s_branch .LBB183_597
.LBB183_596:
	s_mov_b32 s26, -1
                                        ; implicit-def: $vgpr6
.LBB183_597:
	s_mov_b32 s47, 0
.LBB183_598:
	s_delay_alu instid0(SALU_CYCLE_1)
	s_and_b32 vcc_lo, exec_lo, s47
	s_cbranch_vccz .LBB183_602
; %bb.599:
	s_cmp_eq_u32 s0, 29
	s_cbranch_scc0 .LBB183_601
; %bb.600:
	global_load_b64 v[6:7], v[4:5], off
	s_mov_b32 s27, -1
	s_mov_b32 s26, 0
	s_mov_b32 s47, 0
	s_wait_loadcnt 0x0
	v_clz_i32_u32_e32 v3, v7
	s_delay_alu instid0(VALU_DEP_1) | instskip(NEXT) | instid1(VALU_DEP_1)
	v_min_u32_e32 v3, 32, v3
	v_lshlrev_b64_e32 v[6:7], v3, v[6:7]
	v_sub_nc_u32_e32 v3, 32, v3
	s_delay_alu instid0(VALU_DEP_2) | instskip(NEXT) | instid1(VALU_DEP_1)
	v_min_u32_e32 v6, 1, v6
	v_or_b32_e32 v6, v7, v6
	s_delay_alu instid0(VALU_DEP_1) | instskip(NEXT) | instid1(VALU_DEP_1)
	v_cvt_f32_u32_e32 v6, v6
	v_ldexp_f32 v3, v6, v3
	s_delay_alu instid0(VALU_DEP_1)
	v_cvt_f16_f32_e32 v6, v3
	s_branch .LBB183_603
.LBB183_601:
	s_mov_b32 s26, -1
                                        ; implicit-def: $vgpr6
.LBB183_602:
	s_mov_b32 s47, 0
.LBB183_603:
	s_delay_alu instid0(SALU_CYCLE_1)
	s_and_b32 vcc_lo, exec_lo, s47
	s_cbranch_vccz .LBB183_621
; %bb.604:
	s_cmp_lt_i32 s0, 27
	s_cbranch_scc1 .LBB183_607
; %bb.605:
	s_cmp_gt_i32 s0, 27
	s_cbranch_scc0 .LBB183_608
; %bb.606:
	global_load_b32 v3, v[4:5], off
	s_mov_b32 s27, 0
	s_wait_loadcnt 0x0
	v_cvt_f32_u32_e32 v3, v3
	s_wait_xcnt 0x1
	s_delay_alu instid0(VALU_DEP_1)
	v_cvt_f16_f32_e32 v6, v3
	s_branch .LBB183_609
.LBB183_607:
	s_mov_b32 s27, -1
                                        ; implicit-def: $vgpr6
	s_branch .LBB183_612
.LBB183_608:
	s_mov_b32 s27, -1
                                        ; implicit-def: $vgpr6
.LBB183_609:
	s_delay_alu instid0(SALU_CYCLE_1)
	s_and_not1_b32 vcc_lo, exec_lo, s27
	s_cbranch_vccnz .LBB183_611
; %bb.610:
	global_load_u16 v3, v[4:5], off
	s_wait_loadcnt 0x0
	s_wait_xcnt 0x1
	v_cvt_f16_u16_e32 v6, v3
.LBB183_611:
	s_mov_b32 s27, 0
.LBB183_612:
	s_delay_alu instid0(SALU_CYCLE_1)
	s_and_not1_b32 vcc_lo, exec_lo, s27
	s_cbranch_vccnz .LBB183_620
; %bb.613:
	global_load_u8 v3, v[4:5], off
	s_mov_b32 s27, 0
	s_mov_b32 s47, exec_lo
	s_wait_loadcnt 0x0
	v_cmpx_lt_i16_e32 0x7f, v3
	s_xor_b32 s47, exec_lo, s47
	s_cbranch_execz .LBB183_634
; %bb.614:
	s_mov_b32 s27, -1
	s_mov_b32 s48, exec_lo
	v_cmpx_eq_u16_e32 0x80, v3
; %bb.615:
	s_xor_b32 s27, exec_lo, -1
; %bb.616:
	s_or_b32 exec_lo, exec_lo, s48
	s_delay_alu instid0(SALU_CYCLE_1)
	s_and_b32 s27, s27, exec_lo
	s_or_saveexec_b32 s47, s47
	v_mov_b32_e32 v6, 0x7e00
	s_xor_b32 exec_lo, exec_lo, s47
	s_cbranch_execnz .LBB183_635
.LBB183_617:
	s_or_b32 exec_lo, exec_lo, s47
	s_and_saveexec_b32 s47, s27
	s_cbranch_execz .LBB183_619
.LBB183_618:
	v_and_b32_e32 v6, 0xffff, v3
	s_delay_alu instid0(VALU_DEP_1) | instskip(SKIP_1) | instid1(VALU_DEP_2)
	v_and_b32_e32 v7, 7, v6
	v_bfe_u32 v10, v6, 3, 4
	v_clz_i32_u32_e32 v8, v7
	s_delay_alu instid0(VALU_DEP_2) | instskip(NEXT) | instid1(VALU_DEP_2)
	v_cmp_eq_u32_e32 vcc_lo, 0, v10
	v_min_u32_e32 v8, 32, v8
	s_delay_alu instid0(VALU_DEP_1) | instskip(NEXT) | instid1(VALU_DEP_1)
	v_subrev_nc_u32_e32 v9, 28, v8
	v_dual_lshlrev_b32 v6, v9, v6 :: v_dual_sub_nc_u32 v8, 29, v8
	s_delay_alu instid0(VALU_DEP_1) | instskip(NEXT) | instid1(VALU_DEP_1)
	v_dual_lshlrev_b32 v3, 24, v3 :: v_dual_bitop2_b32 v6, 7, v6 bitop3:0x40
	v_dual_cndmask_b32 v8, v10, v8, vcc_lo :: v_dual_cndmask_b32 v6, v7, v6, vcc_lo
	s_delay_alu instid0(VALU_DEP_2) | instskip(NEXT) | instid1(VALU_DEP_2)
	v_and_b32_e32 v3, 0x80000000, v3
	v_lshl_add_u32 v7, v8, 23, 0x3b800000
	s_delay_alu instid0(VALU_DEP_3) | instskip(NEXT) | instid1(VALU_DEP_1)
	v_lshlrev_b32_e32 v6, 20, v6
	v_or3_b32 v3, v3, v7, v6
	s_delay_alu instid0(VALU_DEP_1)
	v_cvt_f16_f32_e32 v6, v3
.LBB183_619:
	s_or_b32 exec_lo, exec_lo, s47
.LBB183_620:
	s_mov_b32 s27, -1
.LBB183_621:
	s_mov_b32 s47, 0
.LBB183_622:
	s_delay_alu instid0(SALU_CYCLE_1)
	s_and_b32 vcc_lo, exec_lo, s47
	s_cbranch_vccz .LBB183_657
; %bb.623:
	s_cmp_gt_i32 s0, 22
	s_cbranch_scc0 .LBB183_633
; %bb.624:
	s_cmp_lt_i32 s0, 24
	s_cbranch_scc1 .LBB183_636
; %bb.625:
	s_cmp_gt_i32 s0, 24
	s_cbranch_scc0 .LBB183_637
; %bb.626:
	global_load_u8 v3, v[4:5], off
	s_mov_b32 s27, 0
	s_mov_b32 s47, exec_lo
	s_wait_loadcnt 0x0
	v_cmpx_lt_i16_e32 0x7f, v3
	s_xor_b32 s47, exec_lo, s47
	s_cbranch_execz .LBB183_649
; %bb.627:
	s_mov_b32 s27, -1
	s_mov_b32 s48, exec_lo
	v_cmpx_eq_u16_e32 0x80, v3
; %bb.628:
	s_xor_b32 s27, exec_lo, -1
; %bb.629:
	s_or_b32 exec_lo, exec_lo, s48
	s_delay_alu instid0(SALU_CYCLE_1)
	s_and_b32 s27, s27, exec_lo
	s_or_saveexec_b32 s47, s47
	v_mov_b32_e32 v6, 0x7e00
	s_xor_b32 exec_lo, exec_lo, s47
	s_cbranch_execnz .LBB183_650
.LBB183_630:
	s_or_b32 exec_lo, exec_lo, s47
	s_and_saveexec_b32 s47, s27
	s_cbranch_execz .LBB183_632
.LBB183_631:
	v_and_b32_e32 v6, 0xffff, v3
	s_delay_alu instid0(VALU_DEP_1) | instskip(SKIP_1) | instid1(VALU_DEP_2)
	v_and_b32_e32 v7, 3, v6
	v_bfe_u32 v10, v6, 2, 5
	v_clz_i32_u32_e32 v8, v7
	s_delay_alu instid0(VALU_DEP_2) | instskip(NEXT) | instid1(VALU_DEP_2)
	v_cmp_eq_u32_e32 vcc_lo, 0, v10
	v_min_u32_e32 v8, 32, v8
	s_delay_alu instid0(VALU_DEP_1) | instskip(NEXT) | instid1(VALU_DEP_1)
	v_subrev_nc_u32_e32 v9, 29, v8
	v_dual_lshlrev_b32 v6, v9, v6 :: v_dual_sub_nc_u32 v8, 30, v8
	s_delay_alu instid0(VALU_DEP_1) | instskip(NEXT) | instid1(VALU_DEP_1)
	v_dual_lshlrev_b32 v3, 24, v3 :: v_dual_bitop2_b32 v6, 3, v6 bitop3:0x40
	v_dual_cndmask_b32 v8, v10, v8, vcc_lo :: v_dual_cndmask_b32 v6, v7, v6, vcc_lo
	s_delay_alu instid0(VALU_DEP_2) | instskip(NEXT) | instid1(VALU_DEP_2)
	v_and_b32_e32 v3, 0x80000000, v3
	v_lshl_add_u32 v7, v8, 23, 0x37800000
	s_delay_alu instid0(VALU_DEP_3) | instskip(NEXT) | instid1(VALU_DEP_1)
	v_lshlrev_b32_e32 v6, 21, v6
	v_or3_b32 v3, v3, v7, v6
	s_delay_alu instid0(VALU_DEP_1)
	v_cvt_f16_f32_e32 v6, v3
.LBB183_632:
	s_or_b32 exec_lo, exec_lo, s47
	s_mov_b32 s27, 0
	s_branch .LBB183_638
.LBB183_633:
	s_mov_b32 s47, -1
                                        ; implicit-def: $vgpr6
	s_branch .LBB183_644
.LBB183_634:
	s_or_saveexec_b32 s47, s47
	v_mov_b32_e32 v6, 0x7e00
	s_xor_b32 exec_lo, exec_lo, s47
	s_cbranch_execz .LBB183_617
.LBB183_635:
	v_cmp_ne_u16_e32 vcc_lo, 0, v3
	v_mov_b32_e32 v6, v3
	s_and_not1_b32 s27, s27, exec_lo
	s_and_b32 s48, vcc_lo, exec_lo
	s_delay_alu instid0(SALU_CYCLE_1)
	s_or_b32 s27, s27, s48
	s_or_b32 exec_lo, exec_lo, s47
	s_and_saveexec_b32 s47, s27
	s_cbranch_execnz .LBB183_618
	s_branch .LBB183_619
.LBB183_636:
	s_mov_b32 s27, -1
                                        ; implicit-def: $vgpr6
	s_branch .LBB183_641
.LBB183_637:
	s_mov_b32 s27, -1
                                        ; implicit-def: $vgpr6
.LBB183_638:
	s_delay_alu instid0(SALU_CYCLE_1)
	s_and_b32 vcc_lo, exec_lo, s27
	s_cbranch_vccz .LBB183_640
; %bb.639:
	global_load_u8 v3, v[4:5], off
	s_wait_loadcnt 0x0
	v_lshlrev_b32_e32 v3, 24, v3
	s_wait_xcnt 0x1
	s_delay_alu instid0(VALU_DEP_1) | instskip(NEXT) | instid1(VALU_DEP_1)
	v_and_b32_e32 v6, 0x7f000000, v3
	v_clz_i32_u32_e32 v7, v6
	v_cmp_ne_u32_e32 vcc_lo, 0, v6
	v_add_nc_u32_e32 v9, 0x1000000, v6
	s_delay_alu instid0(VALU_DEP_3) | instskip(NEXT) | instid1(VALU_DEP_1)
	v_min_u32_e32 v7, 32, v7
	v_sub_nc_u32_e64 v7, v7, 4 clamp
	s_delay_alu instid0(VALU_DEP_1) | instskip(NEXT) | instid1(VALU_DEP_1)
	v_dual_lshlrev_b32 v8, v7, v6 :: v_dual_lshlrev_b32 v7, 23, v7
	v_lshrrev_b32_e32 v8, 4, v8
	s_delay_alu instid0(VALU_DEP_1) | instskip(NEXT) | instid1(VALU_DEP_1)
	v_dual_sub_nc_u32 v7, v8, v7 :: v_dual_ashrrev_i32 v8, 8, v9
	v_add_nc_u32_e32 v7, 0x3c000000, v7
	s_delay_alu instid0(VALU_DEP_1) | instskip(NEXT) | instid1(VALU_DEP_1)
	v_and_or_b32 v7, 0x7f800000, v8, v7
	v_cndmask_b32_e32 v6, 0, v7, vcc_lo
	s_delay_alu instid0(VALU_DEP_1) | instskip(NEXT) | instid1(VALU_DEP_1)
	v_and_or_b32 v3, 0x80000000, v3, v6
	v_cvt_f16_f32_e32 v6, v3
.LBB183_640:
	s_mov_b32 s27, 0
.LBB183_641:
	s_delay_alu instid0(SALU_CYCLE_1)
	s_and_not1_b32 vcc_lo, exec_lo, s27
	s_cbranch_vccnz .LBB183_643
; %bb.642:
	global_load_u8 v3, v[4:5], off
	s_wait_loadcnt 0x0
	s_wait_xcnt 0x1
	v_lshlrev_b32_e32 v6, 25, v3
	v_lshlrev_b16 v3, 8, v3
	s_delay_alu instid0(VALU_DEP_1) | instskip(SKIP_1) | instid1(VALU_DEP_2)
	v_and_or_b32 v8, 0x7f00, v3, 0.5
	v_bfe_i32 v3, v3, 0, 16
	v_dual_add_f32 v8, -0.5, v8 :: v_dual_lshrrev_b32 v7, 4, v6
	v_cmp_gt_u32_e32 vcc_lo, 0x8000000, v6
	s_delay_alu instid0(VALU_DEP_2) | instskip(NEXT) | instid1(VALU_DEP_1)
	v_or_b32_e32 v7, 0x70000000, v7
	v_mul_f32_e32 v7, 0x7800000, v7
	s_delay_alu instid0(VALU_DEP_1) | instskip(NEXT) | instid1(VALU_DEP_1)
	v_cndmask_b32_e32 v6, v7, v8, vcc_lo
	v_and_or_b32 v3, 0x80000000, v3, v6
	s_delay_alu instid0(VALU_DEP_1)
	v_cvt_f16_f32_e32 v6, v3
.LBB183_643:
	s_mov_b32 s47, 0
	s_mov_b32 s27, -1
.LBB183_644:
	s_and_not1_b32 vcc_lo, exec_lo, s47
	s_cbranch_vccnz .LBB183_657
; %bb.645:
	s_cmp_gt_i32 s0, 14
	s_cbranch_scc0 .LBB183_648
; %bb.646:
	s_cmp_eq_u32 s0, 15
	s_cbranch_scc0 .LBB183_651
; %bb.647:
	global_load_u16 v3, v[4:5], off
	s_mov_b32 s27, -1
	s_mov_b32 s26, 0
	s_wait_loadcnt 0x0
	v_lshlrev_b32_e32 v3, 16, v3
	s_wait_xcnt 0x1
	s_delay_alu instid0(VALU_DEP_1)
	v_cvt_f16_f32_e32 v6, v3
	s_branch .LBB183_652
.LBB183_648:
	s_mov_b32 s47, -1
                                        ; implicit-def: $vgpr6
	s_branch .LBB183_653
.LBB183_649:
	s_or_saveexec_b32 s47, s47
	v_mov_b32_e32 v6, 0x7e00
	s_xor_b32 exec_lo, exec_lo, s47
	s_cbranch_execz .LBB183_630
.LBB183_650:
	v_cmp_ne_u16_e32 vcc_lo, 0, v3
	v_mov_b32_e32 v6, v3
	s_and_not1_b32 s27, s27, exec_lo
	s_and_b32 s48, vcc_lo, exec_lo
	s_delay_alu instid0(SALU_CYCLE_1)
	s_or_b32 s27, s27, s48
	s_or_b32 exec_lo, exec_lo, s47
	s_and_saveexec_b32 s47, s27
	s_cbranch_execnz .LBB183_631
	s_branch .LBB183_632
.LBB183_651:
	s_mov_b32 s26, -1
                                        ; implicit-def: $vgpr6
.LBB183_652:
	s_mov_b32 s47, 0
.LBB183_653:
	s_delay_alu instid0(SALU_CYCLE_1)
	s_and_b32 vcc_lo, exec_lo, s47
	s_cbranch_vccz .LBB183_657
; %bb.654:
	s_cmp_eq_u32 s0, 11
	s_cbranch_scc0 .LBB183_656
; %bb.655:
	global_load_u8 v3, v[4:5], off
	s_mov_b32 s26, 0
	s_mov_b32 s27, -1
	s_wait_loadcnt 0x0
	v_cmp_ne_u16_e32 vcc_lo, 0, v3
	s_wait_xcnt 0x1
	v_cndmask_b32_e64 v6, 0, 0x3c00, vcc_lo
	s_branch .LBB183_657
.LBB183_656:
	s_mov_b32 s26, -1
                                        ; implicit-def: $vgpr6
.LBB183_657:
	s_mov_b32 s47, 0
.LBB183_658:
	s_delay_alu instid0(SALU_CYCLE_1)
	s_and_b32 vcc_lo, exec_lo, s47
	s_cbranch_vccz .LBB183_707
; %bb.659:
	s_cmp_lt_i32 s0, 5
	s_cbranch_scc1 .LBB183_664
; %bb.660:
	s_cmp_lt_i32 s0, 8
	s_cbranch_scc1 .LBB183_665
	;; [unrolled: 3-line block ×3, first 2 shown]
; %bb.662:
	s_cmp_gt_i32 s0, 9
	s_cbranch_scc0 .LBB183_667
; %bb.663:
	global_load_b64 v[6:7], v[4:5], off
	s_mov_b32 s27, 0
	s_wait_loadcnt 0x0
	v_and_or_b32 v3, 0x1ff, v7, v6
	v_lshrrev_b32_e32 v6, 8, v7
	v_bfe_u32 v8, v7, 20, 11
	s_delay_alu instid0(VALU_DEP_3) | instskip(NEXT) | instid1(VALU_DEP_2)
	v_cmp_ne_u32_e32 vcc_lo, 0, v3
	v_sub_nc_u32_e32 v9, 0x3f1, v8
	v_add_nc_u32_e32 v8, 0xfffffc10, v8
	v_cndmask_b32_e64 v3, 0, 1, vcc_lo
	s_delay_alu instid0(VALU_DEP_1) | instskip(NEXT) | instid1(VALU_DEP_4)
	v_and_or_b32 v3, 0xffe, v6, v3
	v_med3_i32 v6, v9, 0, 13
	s_delay_alu instid0(VALU_DEP_2) | instskip(NEXT) | instid1(VALU_DEP_1)
	v_or_b32_e32 v9, 0x1000, v3
	v_lshrrev_b32_e32 v10, v6, v9
	s_delay_alu instid0(VALU_DEP_1) | instskip(NEXT) | instid1(VALU_DEP_1)
	v_lshlrev_b32_e32 v6, v6, v10
	v_cmp_ne_u32_e32 vcc_lo, v6, v9
	v_lshl_or_b32 v9, v8, 12, v3
	v_cndmask_b32_e64 v6, 0, 1, vcc_lo
	v_cmp_gt_i32_e32 vcc_lo, 1, v8
	s_delay_alu instid0(VALU_DEP_2) | instskip(NEXT) | instid1(VALU_DEP_1)
	v_or_b32_e32 v6, v10, v6
	v_cndmask_b32_e32 v6, v9, v6, vcc_lo
	s_delay_alu instid0(VALU_DEP_1) | instskip(NEXT) | instid1(VALU_DEP_1)
	v_dual_lshrrev_b32 v6, 2, v6 :: v_dual_bitop2_b32 v9, 7, v6 bitop3:0x40
	v_cmp_lt_i32_e32 vcc_lo, 5, v9
	v_cndmask_b32_e64 v10, 0, 1, vcc_lo
	v_cmp_eq_u32_e32 vcc_lo, 3, v9
	v_cndmask_b32_e64 v9, 0, 1, vcc_lo
	v_cmp_ne_u32_e32 vcc_lo, 0, v3
	s_delay_alu instid0(VALU_DEP_2) | instskip(SKIP_1) | instid1(VALU_DEP_1)
	v_or_b32_e32 v9, v9, v10
	v_mov_b32_e32 v10, 0x7e00
	v_dual_cndmask_b32 v3, 0x7c00, v10 :: v_dual_add_nc_u32 v6, v6, v9
	v_cmp_gt_i32_e32 vcc_lo, 31, v8
	s_delay_alu instid0(VALU_DEP_2) | instskip(SKIP_1) | instid1(VALU_DEP_2)
	v_cndmask_b32_e32 v6, 0x7c00, v6, vcc_lo
	v_cmp_eq_u32_e32 vcc_lo, 0x40f, v8
	v_cndmask_b32_e32 v3, v6, v3, vcc_lo
	v_lshrrev_b32_e32 v6, 16, v7
	s_delay_alu instid0(VALU_DEP_1)
	v_and_or_b32 v6, 0x8000, v6, v3
	s_branch .LBB183_668
.LBB183_664:
	s_mov_b32 s27, -1
                                        ; implicit-def: $vgpr6
	s_branch .LBB183_686
.LBB183_665:
	s_mov_b32 s27, -1
                                        ; implicit-def: $vgpr6
	s_branch .LBB183_674
.LBB183_666:
	s_mov_b32 s27, -1
                                        ; implicit-def: $vgpr6
	s_branch .LBB183_671
.LBB183_667:
	s_mov_b32 s27, -1
                                        ; implicit-def: $vgpr6
.LBB183_668:
	s_delay_alu instid0(SALU_CYCLE_1)
	s_and_not1_b32 vcc_lo, exec_lo, s27
	s_cbranch_vccnz .LBB183_670
; %bb.669:
	global_load_b32 v3, v[4:5], off
	s_wait_loadcnt 0x0
	s_wait_xcnt 0x1
	v_cvt_f16_f32_e32 v6, v3
.LBB183_670:
	s_mov_b32 s27, 0
.LBB183_671:
	s_delay_alu instid0(SALU_CYCLE_1)
	s_and_not1_b32 vcc_lo, exec_lo, s27
	s_cbranch_vccnz .LBB183_673
; %bb.672:
	global_load_b32 v6, v[4:5], off
.LBB183_673:
	s_mov_b32 s27, 0
.LBB183_674:
	s_delay_alu instid0(SALU_CYCLE_1)
	s_and_not1_b32 vcc_lo, exec_lo, s27
	s_cbranch_vccnz .LBB183_685
; %bb.675:
	s_cmp_lt_i32 s0, 6
	s_cbranch_scc1 .LBB183_678
; %bb.676:
	s_cmp_gt_i32 s0, 6
	s_cbranch_scc0 .LBB183_679
; %bb.677:
	s_wait_loadcnt 0x0
	global_load_b64 v[6:7], v[4:5], off
	s_mov_b32 s27, 0
	s_wait_loadcnt 0x0
	v_and_or_b32 v3, 0x1ff, v7, v6
	v_lshrrev_b32_e32 v6, 8, v7
	v_bfe_u32 v8, v7, 20, 11
	s_delay_alu instid0(VALU_DEP_3) | instskip(NEXT) | instid1(VALU_DEP_2)
	v_cmp_ne_u32_e32 vcc_lo, 0, v3
	v_sub_nc_u32_e32 v9, 0x3f1, v8
	v_add_nc_u32_e32 v8, 0xfffffc10, v8
	v_cndmask_b32_e64 v3, 0, 1, vcc_lo
	s_delay_alu instid0(VALU_DEP_1) | instskip(NEXT) | instid1(VALU_DEP_4)
	v_and_or_b32 v3, 0xffe, v6, v3
	v_med3_i32 v6, v9, 0, 13
	s_delay_alu instid0(VALU_DEP_2) | instskip(NEXT) | instid1(VALU_DEP_1)
	v_or_b32_e32 v9, 0x1000, v3
	v_lshrrev_b32_e32 v10, v6, v9
	s_delay_alu instid0(VALU_DEP_1) | instskip(NEXT) | instid1(VALU_DEP_1)
	v_lshlrev_b32_e32 v6, v6, v10
	v_cmp_ne_u32_e32 vcc_lo, v6, v9
	v_lshl_or_b32 v9, v8, 12, v3
	v_cndmask_b32_e64 v6, 0, 1, vcc_lo
	v_cmp_gt_i32_e32 vcc_lo, 1, v8
	s_delay_alu instid0(VALU_DEP_2) | instskip(NEXT) | instid1(VALU_DEP_1)
	v_or_b32_e32 v6, v10, v6
	v_cndmask_b32_e32 v6, v9, v6, vcc_lo
	s_delay_alu instid0(VALU_DEP_1) | instskip(NEXT) | instid1(VALU_DEP_1)
	v_dual_lshrrev_b32 v6, 2, v6 :: v_dual_bitop2_b32 v9, 7, v6 bitop3:0x40
	v_cmp_lt_i32_e32 vcc_lo, 5, v9
	v_cndmask_b32_e64 v10, 0, 1, vcc_lo
	v_cmp_eq_u32_e32 vcc_lo, 3, v9
	v_cndmask_b32_e64 v9, 0, 1, vcc_lo
	v_cmp_ne_u32_e32 vcc_lo, 0, v3
	s_delay_alu instid0(VALU_DEP_2) | instskip(SKIP_1) | instid1(VALU_DEP_1)
	v_or_b32_e32 v9, v9, v10
	v_mov_b32_e32 v10, 0x7e00
	v_dual_cndmask_b32 v3, 0x7c00, v10 :: v_dual_add_nc_u32 v6, v6, v9
	v_cmp_gt_i32_e32 vcc_lo, 31, v8
	s_delay_alu instid0(VALU_DEP_2) | instskip(SKIP_1) | instid1(VALU_DEP_2)
	v_cndmask_b32_e32 v6, 0x7c00, v6, vcc_lo
	v_cmp_eq_u32_e32 vcc_lo, 0x40f, v8
	v_cndmask_b32_e32 v3, v6, v3, vcc_lo
	v_lshrrev_b32_e32 v6, 16, v7
	s_delay_alu instid0(VALU_DEP_1)
	v_and_or_b32 v6, 0x8000, v6, v3
	s_branch .LBB183_680
.LBB183_678:
	s_mov_b32 s27, -1
                                        ; implicit-def: $vgpr6
	s_branch .LBB183_683
.LBB183_679:
	s_mov_b32 s27, -1
                                        ; implicit-def: $vgpr6
.LBB183_680:
	s_delay_alu instid0(SALU_CYCLE_1)
	s_and_not1_b32 vcc_lo, exec_lo, s27
	s_cbranch_vccnz .LBB183_682
; %bb.681:
	global_load_b32 v3, v[4:5], off
	s_wait_loadcnt 0x0
	s_wait_xcnt 0x1
	v_cvt_f16_f32_e32 v6, v3
.LBB183_682:
	s_mov_b32 s27, 0
.LBB183_683:
	s_delay_alu instid0(SALU_CYCLE_1)
	s_and_not1_b32 vcc_lo, exec_lo, s27
	s_cbranch_vccnz .LBB183_685
; %bb.684:
	s_wait_loadcnt 0x0
	global_load_u16 v6, v[4:5], off
.LBB183_685:
	s_mov_b32 s27, 0
.LBB183_686:
	s_delay_alu instid0(SALU_CYCLE_1)
	s_and_not1_b32 vcc_lo, exec_lo, s27
	s_cbranch_vccnz .LBB183_706
; %bb.687:
	s_cmp_lt_i32 s0, 2
	s_cbranch_scc1 .LBB183_691
; %bb.688:
	s_cmp_lt_i32 s0, 3
	s_cbranch_scc1 .LBB183_692
; %bb.689:
	s_cmp_gt_i32 s0, 3
	s_cbranch_scc0 .LBB183_693
; %bb.690:
	s_wait_loadcnt 0x0
	global_load_b64 v[6:7], v[4:5], off
	s_mov_b32 s27, 0
	s_wait_loadcnt 0x0
	v_xor_b32_e32 v3, v6, v7
	v_cls_i32_e32 v8, v7
	s_delay_alu instid0(VALU_DEP_2) | instskip(NEXT) | instid1(VALU_DEP_1)
	v_ashrrev_i32_e32 v3, 31, v3
	v_add_nc_u32_e32 v3, 32, v3
	s_delay_alu instid0(VALU_DEP_1) | instskip(NEXT) | instid1(VALU_DEP_1)
	v_add_min_u32_e64 v3, v8, -1, v3
	v_lshlrev_b64_e32 v[6:7], v3, v[6:7]
	v_sub_nc_u32_e32 v3, 32, v3
	s_delay_alu instid0(VALU_DEP_2) | instskip(NEXT) | instid1(VALU_DEP_1)
	v_min_u32_e32 v6, 1, v6
	v_or_b32_e32 v6, v7, v6
	s_delay_alu instid0(VALU_DEP_1) | instskip(NEXT) | instid1(VALU_DEP_1)
	v_cvt_f32_i32_e32 v6, v6
	v_ldexp_f32 v3, v6, v3
	s_delay_alu instid0(VALU_DEP_1)
	v_cvt_f16_f32_e32 v6, v3
	s_branch .LBB183_694
.LBB183_691:
	s_mov_b32 s27, -1
                                        ; implicit-def: $vgpr6
	s_branch .LBB183_700
.LBB183_692:
	s_mov_b32 s27, -1
                                        ; implicit-def: $vgpr6
	s_branch .LBB183_697
.LBB183_693:
	s_mov_b32 s27, -1
                                        ; implicit-def: $vgpr6
.LBB183_694:
	s_delay_alu instid0(SALU_CYCLE_1)
	s_and_not1_b32 vcc_lo, exec_lo, s27
	s_cbranch_vccnz .LBB183_696
; %bb.695:
	global_load_b32 v3, v[4:5], off
	s_wait_loadcnt 0x0
	v_cvt_f32_i32_e32 v3, v3
	s_wait_xcnt 0x1
	s_delay_alu instid0(VALU_DEP_1)
	v_cvt_f16_f32_e32 v6, v3
.LBB183_696:
	s_mov_b32 s27, 0
.LBB183_697:
	s_delay_alu instid0(SALU_CYCLE_1)
	s_and_not1_b32 vcc_lo, exec_lo, s27
	s_cbranch_vccnz .LBB183_699
; %bb.698:
	global_load_u16 v3, v[4:5], off
	s_wait_loadcnt 0x0
	s_wait_xcnt 0x1
	v_cvt_f16_i16_e32 v6, v3
.LBB183_699:
	s_mov_b32 s27, 0
.LBB183_700:
	s_delay_alu instid0(SALU_CYCLE_1)
	s_and_not1_b32 vcc_lo, exec_lo, s27
	s_cbranch_vccnz .LBB183_706
; %bb.701:
	s_cmp_gt_i32 s0, 0
	s_mov_b32 s0, 0
	s_cbranch_scc0 .LBB183_703
; %bb.702:
	global_load_i8 v3, v[4:5], off
	s_wait_loadcnt 0x0
	s_wait_xcnt 0x1
	v_cvt_f16_i16_e32 v6, v3
	s_branch .LBB183_704
.LBB183_703:
	s_mov_b32 s0, -1
                                        ; implicit-def: $vgpr6
.LBB183_704:
	s_delay_alu instid0(SALU_CYCLE_1)
	s_and_not1_b32 vcc_lo, exec_lo, s0
	s_cbranch_vccnz .LBB183_706
; %bb.705:
	global_load_u8 v3, v[4:5], off
	s_wait_loadcnt 0x0
	s_wait_xcnt 0x1
	v_cvt_f16_u16_e32 v6, v3
.LBB183_706:
	s_mov_b32 s27, -1
.LBB183_707:
	s_delay_alu instid0(SALU_CYCLE_1)
	s_and_not1_b32 vcc_lo, exec_lo, s27
	s_cbranch_vccnz .LBB183_715
; %bb.708:
	v_mov_b32_e32 v3, 0
	s_wait_loadcnt 0x0
	v_mul_f16_e32 v1, s33, v1
	s_and_b32 s27, s34, 0xff
	s_delay_alu instid0(SALU_CYCLE_1) | instskip(SKIP_1) | instid1(VALU_DEP_2)
	s_cmp_lt_i32 s27, 11
	v_add_nc_u64_e32 v[2:3], s[16:17], v[2:3]
	v_mul_f16_e32 v1, v1, v6
	s_cbranch_scc1 .LBB183_716
; %bb.709:
	s_and_b32 s47, 0xffff, s27
	s_delay_alu instid0(SALU_CYCLE_1)
	s_cmp_gt_i32 s47, 25
	s_cbranch_scc0 .LBB183_717
; %bb.710:
	s_cmp_gt_i32 s47, 28
	s_cbranch_scc0 .LBB183_718
; %bb.711:
	;; [unrolled: 3-line block ×4, first 2 shown]
	s_mov_b32 s49, 0
	s_mov_b32 s0, -1
	s_cmp_eq_u32 s47, 46
	s_mov_b32 s48, 0
	s_cbranch_scc0 .LBB183_721
; %bb.714:
	s_wait_xcnt 0x0
	v_cvt_f32_f16_e32 v4, v1
	v_cmp_o_f16_e32 vcc_lo, v1, v1
	s_mov_b32 s48, -1
	s_mov_b32 s0, 0
	s_delay_alu instid0(VALU_DEP_2) | instskip(NEXT) | instid1(VALU_DEP_1)
	v_bfe_u32 v5, v4, 16, 1
	v_add3_u32 v4, v4, v5, 0x7fff
	s_delay_alu instid0(VALU_DEP_1) | instskip(NEXT) | instid1(VALU_DEP_1)
	v_lshrrev_b32_e32 v4, 16, v4
	v_cndmask_b32_e32 v4, 0x7fc0, v4, vcc_lo
	global_store_b32 v[2:3], v4, off
	s_branch .LBB183_721
.LBB183_715:
	s_mov_b32 s27, 0
	s_mov_b32 s0, s42
	s_branch .LBB183_452
.LBB183_716:
	s_mov_b32 s47, -1
	s_mov_b32 s48, 0
	s_mov_b32 s0, s42
	s_branch .LBB183_790
.LBB183_717:
	s_mov_b32 s49, -1
	s_mov_b32 s48, 0
	s_mov_b32 s0, s42
	s_branch .LBB183_748
.LBB183_718:
	s_mov_b32 s49, -1
	s_mov_b32 s48, 0
	s_mov_b32 s0, s42
	s_branch .LBB183_731
.LBB183_719:
	s_mov_b32 s49, -1
	s_mov_b32 s48, 0
	s_mov_b32 s0, s42
	s_branch .LBB183_727
.LBB183_720:
	s_mov_b32 s49, -1
	s_mov_b32 s48, 0
	s_mov_b32 s0, s42
.LBB183_721:
	s_and_b32 vcc_lo, exec_lo, s49
	s_cbranch_vccz .LBB183_726
; %bb.722:
	s_cmp_eq_u32 s47, 44
	s_mov_b32 s0, -1
	s_cbranch_scc0 .LBB183_726
; %bb.723:
	s_wait_xcnt 0x0
	v_cvt_f32_f16_e32 v4, v1
	v_mov_b32_e32 v5, 0xff
	s_mov_b32 s48, exec_lo
	s_delay_alu instid0(VALU_DEP_2) | instskip(NEXT) | instid1(VALU_DEP_1)
	v_bfe_u32 v6, v4, 23, 8
	v_cmpx_ne_u32_e32 0xff, v6
	s_cbranch_execz .LBB183_725
; %bb.724:
	v_and_b32_e32 v5, 0x400000, v4
	v_and_or_b32 v6, 0x3fffff, v4, v6
	v_lshrrev_b32_e32 v4, 23, v4
	s_delay_alu instid0(VALU_DEP_3) | instskip(NEXT) | instid1(VALU_DEP_3)
	v_cmp_ne_u32_e32 vcc_lo, 0, v5
	v_cmp_ne_u32_e64 s0, 0, v6
	s_and_b32 s0, vcc_lo, s0
	s_delay_alu instid0(SALU_CYCLE_1) | instskip(NEXT) | instid1(VALU_DEP_1)
	v_cndmask_b32_e64 v5, 0, 1, s0
	v_add_nc_u32_e32 v5, v4, v5
.LBB183_725:
	s_or_b32 exec_lo, exec_lo, s48
	s_mov_b32 s48, -1
	s_mov_b32 s0, 0
	global_store_b8 v[2:3], v5, off
.LBB183_726:
	s_mov_b32 s49, 0
.LBB183_727:
	s_delay_alu instid0(SALU_CYCLE_1)
	s_and_b32 vcc_lo, exec_lo, s49
	s_cbranch_vccz .LBB183_730
; %bb.728:
	s_cmp_eq_u32 s47, 29
	s_mov_b32 s0, -1
	s_cbranch_scc0 .LBB183_730
; %bb.729:
	s_wait_xcnt 0x0
	v_cvt_f32_f16_e32 v4, v1
	v_mov_b32_e32 v5, 0
	s_mov_b32 s48, -1
	s_mov_b32 s0, 0
	s_mov_b32 s49, 0
	v_cvt_u32_f32_e32 v4, v4
	global_store_b64 v[2:3], v[4:5], off
	s_branch .LBB183_731
.LBB183_730:
	s_mov_b32 s49, 0
.LBB183_731:
	s_delay_alu instid0(SALU_CYCLE_1)
	s_and_b32 vcc_lo, exec_lo, s49
	s_cbranch_vccz .LBB183_747
; %bb.732:
	s_cmp_lt_i32 s47, 27
	s_mov_b32 s48, -1
	s_cbranch_scc1 .LBB183_738
; %bb.733:
	s_cmp_gt_i32 s47, 27
	s_cbranch_scc0 .LBB183_735
; %bb.734:
	s_wait_xcnt 0x0
	v_cvt_f32_f16_e32 v4, v1
	s_mov_b32 s48, 0
	s_delay_alu instid0(VALU_DEP_1)
	v_cvt_u32_f32_e32 v4, v4
	global_store_b32 v[2:3], v4, off
.LBB183_735:
	s_and_not1_b32 vcc_lo, exec_lo, s48
	s_cbranch_vccnz .LBB183_737
; %bb.736:
	s_wait_xcnt 0x0
	v_cvt_u16_f16_e32 v4, v1
	global_store_b16 v[2:3], v4, off
.LBB183_737:
	s_mov_b32 s48, 0
.LBB183_738:
	s_delay_alu instid0(SALU_CYCLE_1)
	s_and_not1_b32 vcc_lo, exec_lo, s48
	s_cbranch_vccnz .LBB183_746
; %bb.739:
	s_wait_xcnt 0x0
	v_cvt_f32_f16_e32 v4, v1
	v_mov_b32_e32 v6, 0x80
	s_mov_b32 s48, exec_lo
	s_delay_alu instid0(VALU_DEP_2) | instskip(NEXT) | instid1(VALU_DEP_1)
	v_and_b32_e32 v5, 0x7fffffff, v4
	v_cmpx_gt_u32_e32 0x43800000, v5
	s_cbranch_execz .LBB183_745
; %bb.740:
	v_cmp_lt_u32_e32 vcc_lo, 0x3bffffff, v5
	s_mov_b32 s49, 0
                                        ; implicit-def: $vgpr5
	s_and_saveexec_b32 s50, vcc_lo
	s_delay_alu instid0(SALU_CYCLE_1)
	s_xor_b32 s50, exec_lo, s50
	s_cbranch_execz .LBB183_880
; %bb.741:
	v_bfe_u32 v5, v4, 20, 1
	s_mov_b32 s49, exec_lo
	s_delay_alu instid0(VALU_DEP_1) | instskip(NEXT) | instid1(VALU_DEP_1)
	v_add3_u32 v5, v4, v5, 0x487ffff
	v_lshrrev_b32_e32 v5, 20, v5
	s_and_not1_saveexec_b32 s50, s50
	s_cbranch_execnz .LBB183_881
.LBB183_742:
	s_or_b32 exec_lo, exec_lo, s50
	v_mov_b32_e32 v6, 0
	s_and_saveexec_b32 s50, s49
.LBB183_743:
	v_lshrrev_b32_e32 v4, 24, v4
	s_delay_alu instid0(VALU_DEP_1)
	v_and_or_b32 v6, 0x80, v4, v5
.LBB183_744:
	s_or_b32 exec_lo, exec_lo, s50
.LBB183_745:
	s_delay_alu instid0(SALU_CYCLE_1)
	s_or_b32 exec_lo, exec_lo, s48
	global_store_b8 v[2:3], v6, off
.LBB183_746:
	s_mov_b32 s48, -1
.LBB183_747:
	s_mov_b32 s49, 0
.LBB183_748:
	s_delay_alu instid0(SALU_CYCLE_1)
	s_and_b32 vcc_lo, exec_lo, s49
	s_cbranch_vccz .LBB183_789
; %bb.749:
	s_cmp_gt_i32 s47, 22
	s_mov_b32 s49, -1
	s_cbranch_scc0 .LBB183_781
; %bb.750:
	s_cmp_lt_i32 s47, 24
	s_mov_b32 s48, -1
	s_cbranch_scc1 .LBB183_770
; %bb.751:
	s_cmp_gt_i32 s47, 24
	s_cbranch_scc0 .LBB183_759
; %bb.752:
	s_wait_xcnt 0x0
	v_cvt_f32_f16_e32 v4, v1
	v_mov_b32_e32 v6, 0x80
	s_mov_b32 s48, exec_lo
	s_delay_alu instid0(VALU_DEP_2) | instskip(NEXT) | instid1(VALU_DEP_1)
	v_and_b32_e32 v5, 0x7fffffff, v4
	v_cmpx_gt_u32_e32 0x47800000, v5
	s_cbranch_execz .LBB183_758
; %bb.753:
	v_cmp_lt_u32_e32 vcc_lo, 0x37ffffff, v5
	s_mov_b32 s49, 0
                                        ; implicit-def: $vgpr5
	s_and_saveexec_b32 s50, vcc_lo
	s_delay_alu instid0(SALU_CYCLE_1)
	s_xor_b32 s50, exec_lo, s50
	s_cbranch_execz .LBB183_1011
; %bb.754:
	v_bfe_u32 v5, v4, 21, 1
	s_mov_b32 s49, exec_lo
	s_delay_alu instid0(VALU_DEP_1) | instskip(NEXT) | instid1(VALU_DEP_1)
	v_add3_u32 v5, v4, v5, 0x88fffff
	v_lshrrev_b32_e32 v5, 21, v5
	s_and_not1_saveexec_b32 s50, s50
	s_cbranch_execnz .LBB183_1012
.LBB183_755:
	s_or_b32 exec_lo, exec_lo, s50
	v_mov_b32_e32 v6, 0
	s_and_saveexec_b32 s50, s49
.LBB183_756:
	v_lshrrev_b32_e32 v4, 24, v4
	s_delay_alu instid0(VALU_DEP_1)
	v_and_or_b32 v6, 0x80, v4, v5
.LBB183_757:
	s_or_b32 exec_lo, exec_lo, s50
.LBB183_758:
	s_delay_alu instid0(SALU_CYCLE_1)
	s_or_b32 exec_lo, exec_lo, s48
	s_mov_b32 s48, 0
	global_store_b8 v[2:3], v6, off
.LBB183_759:
	s_and_b32 vcc_lo, exec_lo, s48
	s_cbranch_vccz .LBB183_769
; %bb.760:
	s_wait_xcnt 0x0
	v_cvt_f32_f16_e32 v4, v1
	s_mov_b32 s48, exec_lo
                                        ; implicit-def: $vgpr5
	s_delay_alu instid0(VALU_DEP_1) | instskip(NEXT) | instid1(VALU_DEP_1)
	v_and_b32_e32 v6, 0x7fffffff, v4
	v_cmpx_gt_u32_e32 0x43f00000, v6
	s_xor_b32 s48, exec_lo, s48
	s_cbranch_execz .LBB183_766
; %bb.761:
	s_mov_b32 s49, exec_lo
                                        ; implicit-def: $vgpr5
	v_cmpx_lt_u32_e32 0x3c7fffff, v6
	s_xor_b32 s49, exec_lo, s49
; %bb.762:
	v_bfe_u32 v5, v4, 20, 1
	s_delay_alu instid0(VALU_DEP_1) | instskip(NEXT) | instid1(VALU_DEP_1)
	v_add3_u32 v5, v4, v5, 0x407ffff
	v_and_b32_e32 v6, 0xff00000, v5
	v_lshrrev_b32_e32 v5, 20, v5
	s_delay_alu instid0(VALU_DEP_2) | instskip(NEXT) | instid1(VALU_DEP_2)
	v_cmp_ne_u32_e32 vcc_lo, 0x7f00000, v6
	v_cndmask_b32_e32 v5, 0x7e, v5, vcc_lo
; %bb.763:
	s_and_not1_saveexec_b32 s49, s49
; %bb.764:
	v_add_f32_e64 v5, 0x46800000, |v4|
; %bb.765:
	s_or_b32 exec_lo, exec_lo, s49
                                        ; implicit-def: $vgpr6
.LBB183_766:
	s_and_not1_saveexec_b32 s48, s48
; %bb.767:
	v_mov_b32_e32 v5, 0x7f
	v_cmp_lt_u32_e32 vcc_lo, 0x7f800000, v6
	s_delay_alu instid0(VALU_DEP_2)
	v_cndmask_b32_e32 v5, 0x7e, v5, vcc_lo
; %bb.768:
	s_or_b32 exec_lo, exec_lo, s48
	v_lshrrev_b32_e32 v4, 24, v4
	s_delay_alu instid0(VALU_DEP_1)
	v_and_or_b32 v4, 0x80, v4, v5
	global_store_b8 v[2:3], v4, off
.LBB183_769:
	s_mov_b32 s48, 0
.LBB183_770:
	s_delay_alu instid0(SALU_CYCLE_1)
	s_and_not1_b32 vcc_lo, exec_lo, s48
	s_cbranch_vccnz .LBB183_780
; %bb.771:
	s_wait_xcnt 0x0
	v_cvt_f32_f16_e32 v4, v1
	s_mov_b32 s48, exec_lo
                                        ; implicit-def: $vgpr5
	s_delay_alu instid0(VALU_DEP_1) | instskip(NEXT) | instid1(VALU_DEP_1)
	v_and_b32_e32 v6, 0x7fffffff, v4
	v_cmpx_gt_u32_e32 0x47800000, v6
	s_xor_b32 s48, exec_lo, s48
	s_cbranch_execz .LBB183_777
; %bb.772:
	s_mov_b32 s49, exec_lo
                                        ; implicit-def: $vgpr5
	v_cmpx_lt_u32_e32 0x387fffff, v6
	s_xor_b32 s49, exec_lo, s49
; %bb.773:
	v_bfe_u32 v5, v4, 21, 1
	s_delay_alu instid0(VALU_DEP_1) | instskip(NEXT) | instid1(VALU_DEP_1)
	v_add3_u32 v5, v4, v5, 0x80fffff
	v_lshrrev_b32_e32 v5, 21, v5
; %bb.774:
	s_and_not1_saveexec_b32 s49, s49
; %bb.775:
	v_add_f32_e64 v5, 0x43000000, |v4|
; %bb.776:
	s_or_b32 exec_lo, exec_lo, s49
                                        ; implicit-def: $vgpr6
.LBB183_777:
	s_and_not1_saveexec_b32 s48, s48
; %bb.778:
	v_mov_b32_e32 v5, 0x7f
	v_cmp_lt_u32_e32 vcc_lo, 0x7f800000, v6
	s_delay_alu instid0(VALU_DEP_2)
	v_cndmask_b32_e32 v5, 0x7c, v5, vcc_lo
; %bb.779:
	s_or_b32 exec_lo, exec_lo, s48
	v_lshrrev_b32_e32 v4, 24, v4
	s_delay_alu instid0(VALU_DEP_1)
	v_and_or_b32 v4, 0x80, v4, v5
	global_store_b8 v[2:3], v4, off
.LBB183_780:
	s_mov_b32 s49, 0
	s_mov_b32 s48, -1
.LBB183_781:
	s_and_not1_b32 vcc_lo, exec_lo, s49
	s_cbranch_vccnz .LBB183_789
; %bb.782:
	s_cmp_gt_i32 s47, 14
	s_mov_b32 s49, -1
	s_cbranch_scc0 .LBB183_786
; %bb.783:
	s_cmp_eq_u32 s47, 15
	s_mov_b32 s0, -1
	s_cbranch_scc0 .LBB183_785
; %bb.784:
	s_wait_xcnt 0x0
	v_cvt_f32_f16_e32 v4, v1
	v_cmp_o_f16_e32 vcc_lo, v1, v1
	s_mov_b32 s48, -1
	s_mov_b32 s0, 0
	s_delay_alu instid0(VALU_DEP_2) | instskip(NEXT) | instid1(VALU_DEP_1)
	v_bfe_u32 v5, v4, 16, 1
	v_add3_u32 v4, v4, v5, 0x7fff
	s_delay_alu instid0(VALU_DEP_1) | instskip(NEXT) | instid1(VALU_DEP_1)
	v_lshrrev_b32_e32 v4, 16, v4
	v_cndmask_b32_e32 v4, 0x7fc0, v4, vcc_lo
	global_store_b16 v[2:3], v4, off
.LBB183_785:
	s_mov_b32 s49, 0
.LBB183_786:
	s_delay_alu instid0(SALU_CYCLE_1)
	s_and_b32 vcc_lo, exec_lo, s49
	s_cbranch_vccz .LBB183_789
; %bb.787:
	s_cmp_eq_u32 s47, 11
	s_mov_b32 s0, -1
	s_cbranch_scc0 .LBB183_789
; %bb.788:
	v_cmp_neq_f16_e32 vcc_lo, 0, v1
	s_mov_b32 s0, 0
	s_mov_b32 s48, -1
	s_wait_xcnt 0x0
	v_cndmask_b32_e64 v4, 0, 1, vcc_lo
	global_store_b8 v[2:3], v4, off
.LBB183_789:
	s_mov_b32 s47, 0
.LBB183_790:
	s_delay_alu instid0(SALU_CYCLE_1)
	s_and_b32 vcc_lo, exec_lo, s47
	s_cbranch_vccz .LBB183_829
; %bb.791:
	s_and_b32 s27, 0xffff, s27
	s_mov_b32 s47, -1
	s_cmp_lt_i32 s27, 5
	s_cbranch_scc1 .LBB183_812
; %bb.792:
	s_cmp_lt_i32 s27, 8
	s_cbranch_scc1 .LBB183_802
; %bb.793:
	;; [unrolled: 3-line block ×3, first 2 shown]
	s_cmp_gt_i32 s27, 9
	s_cbranch_scc0 .LBB183_796
; %bb.795:
	s_wait_xcnt 0x0
	v_cvt_f32_f16_e32 v4, v1
	v_mov_b32_e32 v6, 0
	s_mov_b32 s47, 0
	s_delay_alu instid0(VALU_DEP_2) | instskip(NEXT) | instid1(VALU_DEP_2)
	v_cvt_f64_f32_e32 v[4:5], v4
	v_mov_b32_e32 v7, v6
	global_store_b128 v[2:3], v[4:7], off
.LBB183_796:
	s_and_not1_b32 vcc_lo, exec_lo, s47
	s_cbranch_vccnz .LBB183_798
; %bb.797:
	s_wait_xcnt 0x0
	v_cvt_f32_f16_e32 v4, v1
	v_mov_b32_e32 v5, 0
	global_store_b64 v[2:3], v[4:5], off
.LBB183_798:
	s_mov_b32 s47, 0
.LBB183_799:
	s_delay_alu instid0(SALU_CYCLE_1)
	s_and_not1_b32 vcc_lo, exec_lo, s47
	s_cbranch_vccnz .LBB183_801
; %bb.800:
	s_wait_xcnt 0x0
	v_and_b32_e32 v4, 0xffff, v1
	global_store_b32 v[2:3], v4, off
.LBB183_801:
	s_mov_b32 s47, 0
.LBB183_802:
	s_delay_alu instid0(SALU_CYCLE_1)
	s_and_not1_b32 vcc_lo, exec_lo, s47
	s_cbranch_vccnz .LBB183_811
; %bb.803:
	s_cmp_lt_i32 s27, 6
	s_mov_b32 s47, -1
	s_cbranch_scc1 .LBB183_809
; %bb.804:
	s_cmp_gt_i32 s27, 6
	s_cbranch_scc0 .LBB183_806
; %bb.805:
	s_wait_xcnt 0x0
	v_cvt_f32_f16_e32 v4, v1
	s_mov_b32 s47, 0
	s_delay_alu instid0(VALU_DEP_1)
	v_cvt_f64_f32_e32 v[4:5], v4
	global_store_b64 v[2:3], v[4:5], off
.LBB183_806:
	s_and_not1_b32 vcc_lo, exec_lo, s47
	s_cbranch_vccnz .LBB183_808
; %bb.807:
	s_wait_xcnt 0x0
	v_cvt_f32_f16_e32 v4, v1
	global_store_b32 v[2:3], v4, off
.LBB183_808:
	s_mov_b32 s47, 0
.LBB183_809:
	s_delay_alu instid0(SALU_CYCLE_1)
	s_and_not1_b32 vcc_lo, exec_lo, s47
	s_cbranch_vccnz .LBB183_811
; %bb.810:
	global_store_b16 v[2:3], v1, off
.LBB183_811:
	s_mov_b32 s47, 0
.LBB183_812:
	s_delay_alu instid0(SALU_CYCLE_1)
	s_and_not1_b32 vcc_lo, exec_lo, s47
	s_cbranch_vccnz .LBB183_828
; %bb.813:
	s_cmp_lt_i32 s27, 2
	s_mov_b32 s47, -1
	s_cbranch_scc1 .LBB183_823
; %bb.814:
	s_cmp_lt_i32 s27, 3
	s_cbranch_scc1 .LBB183_820
; %bb.815:
	s_cmp_gt_i32 s27, 3
	s_cbranch_scc0 .LBB183_817
; %bb.816:
	s_wait_xcnt 0x0
	v_cvt_f32_f16_e32 v4, v1
	s_mov_b32 s47, 0
	s_delay_alu instid0(VALU_DEP_1) | instskip(NEXT) | instid1(VALU_DEP_1)
	v_cvt_i32_f32_e32 v4, v4
	v_ashrrev_i32_e32 v5, 31, v4
	global_store_b64 v[2:3], v[4:5], off
.LBB183_817:
	s_and_not1_b32 vcc_lo, exec_lo, s47
	s_cbranch_vccnz .LBB183_819
; %bb.818:
	s_wait_xcnt 0x0
	v_cvt_f32_f16_e32 v4, v1
	s_delay_alu instid0(VALU_DEP_1)
	v_cvt_i32_f32_e32 v4, v4
	global_store_b32 v[2:3], v4, off
.LBB183_819:
	s_mov_b32 s47, 0
.LBB183_820:
	s_delay_alu instid0(SALU_CYCLE_1)
	s_and_not1_b32 vcc_lo, exec_lo, s47
	s_cbranch_vccnz .LBB183_822
; %bb.821:
	s_wait_xcnt 0x0
	v_cvt_i16_f16_e32 v4, v1
	global_store_b16 v[2:3], v4, off
.LBB183_822:
	s_mov_b32 s47, 0
.LBB183_823:
	s_delay_alu instid0(SALU_CYCLE_1)
	s_and_not1_b32 vcc_lo, exec_lo, s47
	s_cbranch_vccnz .LBB183_828
; %bb.824:
	s_cmp_gt_i32 s27, 0
	s_mov_b32 s27, -1
	s_cbranch_scc0 .LBB183_826
; %bb.825:
	s_wait_xcnt 0x0
	v_cvt_i16_f16_e32 v4, v1
	s_mov_b32 s27, 0
	global_store_b8 v[2:3], v4, off
.LBB183_826:
	s_and_not1_b32 vcc_lo, exec_lo, s27
	s_cbranch_vccnz .LBB183_828
; %bb.827:
	s_wait_xcnt 0x0
	v_cvt_f32_f16_e32 v1, v1
	s_delay_alu instid0(VALU_DEP_1)
	v_cvt_i32_f32_e32 v1, v1
	global_store_b8 v[2:3], v1, off
.LBB183_828:
	s_mov_b32 s48, -1
.LBB183_829:
	s_delay_alu instid0(SALU_CYCLE_1)
	s_and_not1_b32 vcc_lo, exec_lo, s48
	s_cbranch_vccnz .LBB183_852
; %bb.830:
	v_add_nc_u32_e32 v0, 0x80, v0
	s_mov_b32 s27, -1
.LBB183_831:
	s_and_not1_b32 s47, s42, exec_lo
	s_and_b32 s0, s0, exec_lo
	s_and_not1_b32 s49, s43, exec_lo
	s_and_b32 s26, s26, exec_lo
	s_or_b32 s48, s47, s0
	s_or_b32 s49, s49, s26
	s_and_not1_b32 s0, s44, exec_lo
	s_and_b32 s24, s24, exec_lo
	s_and_not1_b32 s26, s45, exec_lo
	s_and_b32 s25, s25, exec_lo
	s_or_b32 s50, s0, s24
	s_or_b32 s47, s26, s25
	s_or_not1_b32 s24, s27, exec_lo
.LBB183_832:
	s_wait_xcnt 0x0
	s_or_b32 exec_lo, exec_lo, s51
	s_mov_b32 s0, 0
                                        ; implicit-def: $vgpr4
                                        ; implicit-def: $vgpr6
                                        ; implicit-def: $vgpr2
	s_and_saveexec_b32 s51, s24
	s_cbranch_execz .LBB183_1290
; %bb.833:
	s_mov_b32 s25, -1
	s_mov_b32 s0, s47
	s_mov_b32 s54, s50
	;; [unrolled: 1-line block ×4, first 2 shown]
	s_mov_b32 s52, exec_lo
	v_cmpx_gt_i32_e64 s40, v0
	s_cbranch_execz .LBB183_1254
; %bb.834:
	s_and_not1_b32 vcc_lo, exec_lo, s30
	s_cbranch_vccnz .LBB183_840
; %bb.835:
	s_and_not1_b32 vcc_lo, exec_lo, s41
	s_cbranch_vccnz .LBB183_841
; %bb.836:
	s_wait_loadcnt 0x0
	v_dual_mov_b32 v2, 0 :: v_dual_mov_b32 v1, v0
	v_dual_mov_b32 v6, 0 :: v_dual_mov_b32 v4, 0
	s_add_co_i32 s0, s39, 1
	s_mov_b64 s[24:25], 0xffffffffffffffe0
	s_and_b32 s0, s0, 30
	s_add_nc_u64 s[24:25], s[2:3], s[24:25]
	s_mov_b64 s[26:27], s[2:3]
.LBB183_837:                            ; =>This Inner Loop Header: Depth=1
	s_clause 0x1
	s_load_b128 s[56:59], s[26:27], 0x4
	s_load_b64 s[54:55], s[26:27], 0x14
	s_load_b32 s53, s[24:25], 0xe4
	s_add_co_i32 s0, s0, -2
	s_wait_xcnt 0x0
	s_add_nc_u64 s[26:27], s[26:27], 24
	s_cmp_eq_u32 s0, 0
	s_wait_kmcnt 0x0
	v_mul_hi_u32 v3, s57, v1
	s_delay_alu instid0(VALU_DEP_1) | instskip(NEXT) | instid1(VALU_DEP_1)
	v_add_nc_u32_e32 v3, v1, v3
	v_lshrrev_b32_e32 v3, s58, v3
	s_delay_alu instid0(VALU_DEP_1) | instskip(SKIP_2) | instid1(VALU_DEP_1)
	v_mul_hi_u32 v5, s54, v3
	v_mul_lo_u32 v7, v3, s56
	s_load_b96 s[56:58], s[24:25], 0xec
	v_dual_add_nc_u32 v5, v3, v5 :: v_dual_sub_nc_u32 v7, v1, v7
	s_delay_alu instid0(VALU_DEP_1) | instskip(SKIP_1) | instid1(VALU_DEP_2)
	v_lshrrev_b32_e32 v1, s55, v5
	s_load_b64 s[54:55], s[24:25], 0xfc
	v_mad_u32 v2, v7, s53, v2
	s_wait_xcnt 0x0
	s_add_nc_u64 s[24:25], s[24:25], 32
	v_mul_lo_u32 v5, v1, s59
	s_wait_kmcnt 0x0
	v_mad_u32 v4, v7, s57, v4
	v_mad_u32 v6, v7, s56, v6
	s_delay_alu instid0(VALU_DEP_3) | instskip(NEXT) | instid1(VALU_DEP_1)
	v_sub_nc_u32_e32 v3, v3, v5
	v_mad_u32 v2, v3, s58, v2
	s_delay_alu instid0(VALU_DEP_4) | instskip(NEXT) | instid1(VALU_DEP_4)
	v_mad_u32 v4, v3, s55, v4
	v_mad_u32 v6, v3, s54, v6
	s_cbranch_scc0 .LBB183_837
; %bb.838:
	s_bitcmp1_b32 s39, 0
	s_cselect_b32 s0, -1, 0
	s_delay_alu instid0(SALU_CYCLE_1)
	s_and_b32 vcc_lo, exec_lo, s0
	s_cbranch_vccnz .LBB183_842
; %bb.839:
	s_load_b96 s[56:58], s[26:27], 0x4
	s_load_b32 s0, s[24:25], 0xe4
	s_wait_xcnt 0x0
	s_load_b64 s[26:27], s[24:25], 0xec
	s_wait_kmcnt 0x0
	v_mul_hi_u32 v3, s57, v1
	s_delay_alu instid0(VALU_DEP_1) | instskip(NEXT) | instid1(VALU_DEP_1)
	v_add_nc_u32_e32 v3, v1, v3
	v_lshrrev_b32_e32 v3, s58, v3
	s_delay_alu instid0(VALU_DEP_1) | instskip(NEXT) | instid1(VALU_DEP_1)
	v_mul_lo_u32 v3, v3, s56
	v_sub_nc_u32_e32 v1, v1, v3
	s_delay_alu instid0(VALU_DEP_1)
	v_mad_u32 v2, v1, s0, v2
	v_mad_u32 v6, v1, s26, v6
	;; [unrolled: 1-line block ×3, first 2 shown]
	s_branch .LBB183_842
.LBB183_840:
	s_mov_b32 s0, -1
                                        ; implicit-def: $vgpr4
                                        ; implicit-def: $vgpr6
                                        ; implicit-def: $vgpr2
	s_branch .LBB183_843
.LBB183_841:
	s_wait_loadcnt 0x0
	v_dual_mov_b32 v4, 0 :: v_dual_mov_b32 v6, 0
	v_mov_b32_e32 v2, 0
.LBB183_842:
	s_mov_b32 s0, 0
.LBB183_843:
	s_delay_alu instid0(SALU_CYCLE_1)
	s_and_not1_b32 vcc_lo, exec_lo, s0
	s_cbranch_vccnz .LBB183_846
; %bb.844:
	s_wait_loadcnt 0x0
	v_mov_b32_e32 v1, 0
	s_and_not1_b32 vcc_lo, exec_lo, s38
	s_delay_alu instid0(VALU_DEP_1) | instskip(NEXT) | instid1(VALU_DEP_1)
	v_mul_u64_e32 v[2:3], s[18:19], v[0:1]
	v_add_nc_u32_e32 v2, v0, v3
	s_delay_alu instid0(VALU_DEP_1) | instskip(NEXT) | instid1(VALU_DEP_1)
	v_lshrrev_b32_e32 v8, s10, v2
	v_mul_lo_u32 v2, v8, s8
	s_delay_alu instid0(VALU_DEP_1) | instskip(NEXT) | instid1(VALU_DEP_1)
	v_sub_nc_u32_e32 v3, v0, v2
	v_mul_lo_u32 v2, v3, s37
	v_mul_lo_u32 v4, v3, s13
	;; [unrolled: 1-line block ×3, first 2 shown]
	s_cbranch_vccnz .LBB183_846
; %bb.845:
	v_mov_b32_e32 v9, v1
	s_delay_alu instid0(VALU_DEP_1) | instskip(NEXT) | instid1(VALU_DEP_1)
	v_mul_u64_e32 v[10:11], s[22:23], v[8:9]
	v_add_nc_u32_e32 v1, v8, v11
	s_delay_alu instid0(VALU_DEP_1) | instskip(NEXT) | instid1(VALU_DEP_1)
	v_lshrrev_b32_e32 v1, s1, v1
	v_mul_lo_u32 v1, v1, s11
	s_delay_alu instid0(VALU_DEP_1) | instskip(NEXT) | instid1(VALU_DEP_1)
	v_sub_nc_u32_e32 v1, v8, v1
	v_mad_u32 v2, v1, s14, v2
	v_mad_u32 v6, v1, s20, v6
	;; [unrolled: 1-line block ×3, first 2 shown]
.LBB183_846:
	s_and_b32 s24, s36, 0xff
	s_delay_alu instid0(SALU_CYCLE_1)
	s_cmp_lt_i32 s24, 23
	s_cbranch_scc1 .LBB183_850
; %bb.847:
	s_and_b32 s26, 0xffff, s24
	s_delay_alu instid0(SALU_CYCLE_1)
	s_cmp_gt_i32 s26, 43
	s_cbranch_scc0 .LBB183_851
; %bb.848:
	s_cmp_gt_i32 s26, 45
	s_cbranch_scc0 .LBB183_853
; %bb.849:
	s_cmp_eq_u32 s26, 46
	s_mov_b32 s27, 0
	s_cselect_b32 s0, -1, 0
	s_or_b32 s25, s47, exec_lo
	s_branch .LBB183_854
.LBB183_850:
	s_mov_b32 s26, -1
	s_mov_b32 s0, 0
	s_mov_b32 s25, s47
	s_branch .LBB183_860
.LBB183_851:
	s_mov_b32 s27, -1
	s_mov_b32 s0, 0
	s_mov_b32 s25, s47
	s_branch .LBB183_857
.LBB183_852:
	s_mov_b32 s27, 0
	s_branch .LBB183_452
.LBB183_853:
	s_mov_b32 s27, -1
	s_mov_b32 s0, 0
	s_mov_b32 s25, s47
.LBB183_854:
	s_and_not1_b32 vcc_lo, exec_lo, s27
	s_cbranch_vccnz .LBB183_856
; %bb.855:
	s_cmp_eq_u32 s26, 44
	s_cselect_b32 s0, -1, 0
	s_cmp_lg_u32 s26, 44
	s_cselect_b32 s27, -1, 0
	s_and_not1_b32 s25, s25, exec_lo
	s_and_b32 s27, s27, exec_lo
	s_delay_alu instid0(SALU_CYCLE_1)
	s_or_b32 s25, s25, s27
.LBB183_856:
	s_mov_b32 s27, 0
.LBB183_857:
	s_delay_alu instid0(SALU_CYCLE_1)
	s_and_b32 vcc_lo, exec_lo, s27
	s_cbranch_vccz .LBB183_859
; %bb.858:
	s_cmp_lt_i32 s26, 30
	s_cselect_b32 s0, -1, 0
	s_cmp_gt_i32 s26, 29
	s_cselect_b32 s26, -1, 0
	s_and_not1_b32 s25, s25, exec_lo
	s_and_b32 s26, s26, exec_lo
	s_delay_alu instid0(SALU_CYCLE_1)
	s_or_b32 s25, s25, s26
.LBB183_859:
	s_mov_b32 s26, 0
.LBB183_860:
	s_delay_alu instid0(SALU_CYCLE_1)
	s_and_b32 vcc_lo, exec_lo, s26
	s_cbranch_vccz .LBB183_865
; %bb.861:
	s_and_b32 s24, 0xffff, s24
	s_mov_b32 s26, -1
	s_cmp_gt_i32 s24, 14
	s_cbranch_scc0 .LBB183_863
; %bb.862:
	s_cmp_eq_u32 s24, 15
	s_cselect_b32 s0, -1, 0
	s_cmp_lg_u32 s24, 15
	s_cselect_b32 s26, -1, 0
	s_and_not1_b32 s25, s25, exec_lo
	s_and_b32 s27, s26, exec_lo
	s_mov_b32 s26, 0
	s_or_b32 s25, s25, s27
.LBB183_863:
	s_and_not1_b32 vcc_lo, exec_lo, s26
	s_cbranch_vccnz .LBB183_865
; %bb.864:
	s_cmp_lt_i32 s24, 12
	s_cselect_b32 s0, -1, 0
	s_cmp_gt_i32 s24, 11
	s_cselect_b32 s24, -1, 0
	s_and_not1_b32 s25, s25, exec_lo
	s_and_b32 s24, s24, exec_lo
	s_delay_alu instid0(SALU_CYCLE_1)
	s_or_b32 s25, s25, s24
.LBB183_865:
	s_and_b32 vcc_lo, exec_lo, s0
	s_cbranch_vccz .LBB183_873
; %bb.866:
	v_mov_b32_e32 v7, 0
	s_and_b32 s0, s35, 0xff
	s_delay_alu instid0(SALU_CYCLE_1) | instskip(SKIP_1) | instid1(VALU_DEP_1)
	s_cmp_lt_i32 s0, 11
	s_wait_loadcnt 0x0
	v_add_nc_u64_e32 v[6:7], s[4:5], v[6:7]
	s_cbranch_scc1 .LBB183_875
; %bb.867:
	s_and_b32 s25, 0xffff, s0
	s_delay_alu instid0(SALU_CYCLE_1)
	s_cmp_gt_i32 s25, 25
	s_cbranch_scc0 .LBB183_876
; %bb.868:
	s_cmp_gt_i32 s25, 28
	s_cbranch_scc0 .LBB183_877
; %bb.869:
	s_cmp_gt_i32 s25, 43
	s_cbranch_scc0 .LBB183_878
; %bb.870:
	s_cmp_gt_i32 s25, 45
	s_cbranch_scc0 .LBB183_879
; %bb.871:
	s_cmp_eq_u32 s25, 46
	s_mov_b32 s27, 0
	s_cbranch_scc0 .LBB183_882
; %bb.872:
	global_load_b32 v1, v[6:7], off
	s_mov_b32 s26, -1
	s_mov_b32 s24, 0
	s_wait_loadcnt 0x0
	v_lshlrev_b32_e32 v1, 16, v1
	s_delay_alu instid0(VALU_DEP_1)
	v_cvt_f16_f32_e32 v1, v1
	s_branch .LBB183_884
.LBB183_873:
	s_mov_b32 s27, 0
	s_mov_b32 s0, s48
	;; [unrolled: 1-line block ×4, first 2 shown]
.LBB183_874:
                                        ; implicit-def: $vgpr0
	s_branch .LBB183_1253
.LBB183_875:
	s_mov_b32 s25, -1
	s_mov_b32 s26, 0
	s_mov_b32 s24, s50
                                        ; implicit-def: $vgpr1
	s_branch .LBB183_949
.LBB183_876:
	s_mov_b32 s27, -1
	s_mov_b32 s26, 0
	s_mov_b32 s24, s50
                                        ; implicit-def: $vgpr1
	s_branch .LBB183_913
.LBB183_877:
	s_mov_b32 s27, -1
	s_mov_b32 s26, 0
	s_mov_b32 s24, s50
                                        ; implicit-def: $vgpr1
	s_branch .LBB183_894
.LBB183_878:
	s_mov_b32 s27, -1
	s_mov_b32 s26, 0
	s_mov_b32 s24, s50
                                        ; implicit-def: $vgpr1
	s_branch .LBB183_889
.LBB183_879:
	s_mov_b32 s27, -1
	s_mov_b32 s26, 0
	s_mov_b32 s24, s50
	s_branch .LBB183_883
.LBB183_880:
	s_and_not1_saveexec_b32 s50, s50
	s_cbranch_execz .LBB183_742
.LBB183_881:
	v_add_f32_e64 v5, 0x46000000, |v4|
	s_and_not1_b32 s49, s49, exec_lo
	s_delay_alu instid0(VALU_DEP_1) | instskip(NEXT) | instid1(VALU_DEP_1)
	v_and_b32_e32 v5, 0xff, v5
	v_cmp_ne_u32_e32 vcc_lo, 0, v5
	s_and_b32 s52, vcc_lo, exec_lo
	s_delay_alu instid0(SALU_CYCLE_1)
	s_or_b32 s49, s49, s52
	s_or_b32 exec_lo, exec_lo, s50
	v_mov_b32_e32 v6, 0
	s_and_saveexec_b32 s50, s49
	s_cbranch_execnz .LBB183_743
	s_branch .LBB183_744
.LBB183_882:
	s_mov_b32 s24, -1
	s_mov_b32 s26, 0
.LBB183_883:
                                        ; implicit-def: $vgpr1
.LBB183_884:
	s_and_b32 vcc_lo, exec_lo, s27
	s_cbranch_vccz .LBB183_888
; %bb.885:
	s_cmp_eq_u32 s25, 44
	s_cbranch_scc0 .LBB183_887
; %bb.886:
	global_load_u8 v1, v[6:7], off
	s_mov_b32 s24, 0
	s_mov_b32 s26, -1
	s_wait_loadcnt 0x0
	v_lshlrev_b32_e32 v3, 23, v1
	v_cmp_ne_u32_e32 vcc_lo, 0xff, v1
	s_delay_alu instid0(VALU_DEP_2) | instskip(NEXT) | instid1(VALU_DEP_1)
	v_cvt_f16_f32_e32 v3, v3
	v_cndmask_b32_e32 v3, 0x7e00, v3, vcc_lo
	v_cmp_ne_u32_e32 vcc_lo, 0, v1
	s_delay_alu instid0(VALU_DEP_2)
	v_cndmask_b32_e32 v1, 0, v3, vcc_lo
	s_branch .LBB183_888
.LBB183_887:
	s_mov_b32 s24, -1
                                        ; implicit-def: $vgpr1
.LBB183_888:
	s_mov_b32 s27, 0
.LBB183_889:
	s_delay_alu instid0(SALU_CYCLE_1)
	s_and_b32 vcc_lo, exec_lo, s27
	s_cbranch_vccz .LBB183_893
; %bb.890:
	s_cmp_eq_u32 s25, 29
	s_cbranch_scc0 .LBB183_892
; %bb.891:
	global_load_b64 v[8:9], v[6:7], off
	s_mov_b32 s26, -1
	s_mov_b32 s24, 0
	s_mov_b32 s27, 0
	s_wait_loadcnt 0x0
	v_clz_i32_u32_e32 v1, v9
	s_delay_alu instid0(VALU_DEP_1) | instskip(NEXT) | instid1(VALU_DEP_1)
	v_min_u32_e32 v1, 32, v1
	v_lshlrev_b64_e32 v[8:9], v1, v[8:9]
	v_sub_nc_u32_e32 v1, 32, v1
	s_delay_alu instid0(VALU_DEP_2) | instskip(NEXT) | instid1(VALU_DEP_1)
	v_min_u32_e32 v3, 1, v8
	v_or_b32_e32 v3, v9, v3
	s_delay_alu instid0(VALU_DEP_1) | instskip(NEXT) | instid1(VALU_DEP_1)
	v_cvt_f32_u32_e32 v3, v3
	v_ldexp_f32 v1, v3, v1
	s_delay_alu instid0(VALU_DEP_1)
	v_cvt_f16_f32_e32 v1, v1
	s_branch .LBB183_894
.LBB183_892:
	s_mov_b32 s24, -1
                                        ; implicit-def: $vgpr1
.LBB183_893:
	s_mov_b32 s27, 0
.LBB183_894:
	s_delay_alu instid0(SALU_CYCLE_1)
	s_and_b32 vcc_lo, exec_lo, s27
	s_cbranch_vccz .LBB183_912
; %bb.895:
	s_cmp_lt_i32 s25, 27
	s_cbranch_scc1 .LBB183_898
; %bb.896:
	s_cmp_gt_i32 s25, 27
	s_cbranch_scc0 .LBB183_899
; %bb.897:
	global_load_b32 v1, v[6:7], off
	s_mov_b32 s26, 0
	s_wait_loadcnt 0x0
	v_cvt_f32_u32_e32 v1, v1
	s_delay_alu instid0(VALU_DEP_1)
	v_cvt_f16_f32_e32 v1, v1
	s_branch .LBB183_900
.LBB183_898:
	s_mov_b32 s26, -1
                                        ; implicit-def: $vgpr1
	s_branch .LBB183_903
.LBB183_899:
	s_mov_b32 s26, -1
                                        ; implicit-def: $vgpr1
.LBB183_900:
	s_delay_alu instid0(SALU_CYCLE_1)
	s_and_not1_b32 vcc_lo, exec_lo, s26
	s_cbranch_vccnz .LBB183_902
; %bb.901:
	global_load_u16 v1, v[6:7], off
	s_wait_loadcnt 0x0
	v_cvt_f16_u16_e32 v1, v1
.LBB183_902:
	s_mov_b32 s26, 0
.LBB183_903:
	s_delay_alu instid0(SALU_CYCLE_1)
	s_and_not1_b32 vcc_lo, exec_lo, s26
	s_cbranch_vccnz .LBB183_911
; %bb.904:
	global_load_u8 v3, v[6:7], off
	s_mov_b32 s26, 0
	s_mov_b32 s27, exec_lo
	s_wait_loadcnt 0x0
	v_cmpx_lt_i16_e32 0x7f, v3
	s_xor_b32 s27, exec_lo, s27
	s_cbranch_execz .LBB183_925
; %bb.905:
	s_mov_b32 s26, -1
	s_mov_b32 s53, exec_lo
	v_cmpx_eq_u16_e32 0x80, v3
; %bb.906:
	s_xor_b32 s26, exec_lo, -1
; %bb.907:
	s_or_b32 exec_lo, exec_lo, s53
	s_delay_alu instid0(SALU_CYCLE_1)
	s_and_b32 s26, s26, exec_lo
	s_or_saveexec_b32 s27, s27
	v_mov_b32_e32 v1, 0x7e00
	s_xor_b32 exec_lo, exec_lo, s27
	s_cbranch_execnz .LBB183_926
.LBB183_908:
	s_or_b32 exec_lo, exec_lo, s27
	s_and_saveexec_b32 s27, s26
	s_cbranch_execz .LBB183_910
.LBB183_909:
	v_and_b32_e32 v1, 0xffff, v3
	s_delay_alu instid0(VALU_DEP_1) | instskip(SKIP_1) | instid1(VALU_DEP_2)
	v_and_b32_e32 v5, 7, v1
	v_bfe_u32 v10, v1, 3, 4
	v_clz_i32_u32_e32 v8, v5
	s_delay_alu instid0(VALU_DEP_2) | instskip(NEXT) | instid1(VALU_DEP_2)
	v_cmp_eq_u32_e32 vcc_lo, 0, v10
	v_min_u32_e32 v8, 32, v8
	s_delay_alu instid0(VALU_DEP_1) | instskip(NEXT) | instid1(VALU_DEP_1)
	v_subrev_nc_u32_e32 v9, 28, v8
	v_dual_lshlrev_b32 v1, v9, v1 :: v_dual_sub_nc_u32 v8, 29, v8
	s_delay_alu instid0(VALU_DEP_1) | instskip(NEXT) | instid1(VALU_DEP_1)
	v_dual_lshlrev_b32 v3, 24, v3 :: v_dual_bitop2_b32 v1, 7, v1 bitop3:0x40
	v_dual_cndmask_b32 v8, v10, v8 :: v_dual_cndmask_b32 v1, v5, v1
	s_delay_alu instid0(VALU_DEP_2) | instskip(NEXT) | instid1(VALU_DEP_2)
	v_and_b32_e32 v3, 0x80000000, v3
	v_lshl_add_u32 v5, v8, 23, 0x3b800000
	s_delay_alu instid0(VALU_DEP_3) | instskip(NEXT) | instid1(VALU_DEP_1)
	v_lshlrev_b32_e32 v1, 20, v1
	v_or3_b32 v1, v3, v5, v1
	s_delay_alu instid0(VALU_DEP_1)
	v_cvt_f16_f32_e32 v1, v1
.LBB183_910:
	s_or_b32 exec_lo, exec_lo, s27
.LBB183_911:
	s_mov_b32 s26, -1
.LBB183_912:
	s_mov_b32 s27, 0
.LBB183_913:
	s_delay_alu instid0(SALU_CYCLE_1)
	s_and_b32 vcc_lo, exec_lo, s27
	s_cbranch_vccz .LBB183_948
; %bb.914:
	s_cmp_gt_i32 s25, 22
	s_cbranch_scc0 .LBB183_924
; %bb.915:
	s_cmp_lt_i32 s25, 24
	s_cbranch_scc1 .LBB183_927
; %bb.916:
	s_cmp_gt_i32 s25, 24
	s_cbranch_scc0 .LBB183_928
; %bb.917:
	global_load_u8 v3, v[6:7], off
	s_mov_b32 s26, 0
	s_mov_b32 s27, exec_lo
	s_wait_loadcnt 0x0
	v_cmpx_lt_i16_e32 0x7f, v3
	s_xor_b32 s27, exec_lo, s27
	s_cbranch_execz .LBB183_940
; %bb.918:
	s_mov_b32 s26, -1
	s_mov_b32 s53, exec_lo
	v_cmpx_eq_u16_e32 0x80, v3
; %bb.919:
	s_xor_b32 s26, exec_lo, -1
; %bb.920:
	s_or_b32 exec_lo, exec_lo, s53
	s_delay_alu instid0(SALU_CYCLE_1)
	s_and_b32 s26, s26, exec_lo
	s_or_saveexec_b32 s27, s27
	v_mov_b32_e32 v1, 0x7e00
	s_xor_b32 exec_lo, exec_lo, s27
	s_cbranch_execnz .LBB183_941
.LBB183_921:
	s_or_b32 exec_lo, exec_lo, s27
	s_and_saveexec_b32 s27, s26
	s_cbranch_execz .LBB183_923
.LBB183_922:
	v_and_b32_e32 v1, 0xffff, v3
	s_delay_alu instid0(VALU_DEP_1) | instskip(SKIP_1) | instid1(VALU_DEP_2)
	v_and_b32_e32 v5, 3, v1
	v_bfe_u32 v10, v1, 2, 5
	v_clz_i32_u32_e32 v8, v5
	s_delay_alu instid0(VALU_DEP_2) | instskip(NEXT) | instid1(VALU_DEP_2)
	v_cmp_eq_u32_e32 vcc_lo, 0, v10
	v_min_u32_e32 v8, 32, v8
	s_delay_alu instid0(VALU_DEP_1) | instskip(NEXT) | instid1(VALU_DEP_1)
	v_subrev_nc_u32_e32 v9, 29, v8
	v_dual_lshlrev_b32 v1, v9, v1 :: v_dual_sub_nc_u32 v8, 30, v8
	s_delay_alu instid0(VALU_DEP_1) | instskip(NEXT) | instid1(VALU_DEP_1)
	v_dual_lshlrev_b32 v3, 24, v3 :: v_dual_bitop2_b32 v1, 3, v1 bitop3:0x40
	v_dual_cndmask_b32 v8, v10, v8 :: v_dual_cndmask_b32 v1, v5, v1
	s_delay_alu instid0(VALU_DEP_2) | instskip(NEXT) | instid1(VALU_DEP_2)
	v_and_b32_e32 v3, 0x80000000, v3
	v_lshl_add_u32 v5, v8, 23, 0x37800000
	s_delay_alu instid0(VALU_DEP_3) | instskip(NEXT) | instid1(VALU_DEP_1)
	v_lshlrev_b32_e32 v1, 21, v1
	v_or3_b32 v1, v3, v5, v1
	s_delay_alu instid0(VALU_DEP_1)
	v_cvt_f16_f32_e32 v1, v1
.LBB183_923:
	s_or_b32 exec_lo, exec_lo, s27
	s_mov_b32 s26, 0
	s_branch .LBB183_929
.LBB183_924:
	s_mov_b32 s27, -1
                                        ; implicit-def: $vgpr1
	s_branch .LBB183_935
.LBB183_925:
	s_or_saveexec_b32 s27, s27
	v_mov_b32_e32 v1, 0x7e00
	s_xor_b32 exec_lo, exec_lo, s27
	s_cbranch_execz .LBB183_908
.LBB183_926:
	v_cmp_ne_u16_e32 vcc_lo, 0, v3
	v_mov_b32_e32 v1, v3
	s_and_not1_b32 s26, s26, exec_lo
	s_and_b32 s53, vcc_lo, exec_lo
	s_delay_alu instid0(SALU_CYCLE_1)
	s_or_b32 s26, s26, s53
	s_or_b32 exec_lo, exec_lo, s27
	s_and_saveexec_b32 s27, s26
	s_cbranch_execnz .LBB183_909
	s_branch .LBB183_910
.LBB183_927:
	s_mov_b32 s26, -1
                                        ; implicit-def: $vgpr1
	s_branch .LBB183_932
.LBB183_928:
	s_mov_b32 s26, -1
                                        ; implicit-def: $vgpr1
.LBB183_929:
	s_delay_alu instid0(SALU_CYCLE_1)
	s_and_b32 vcc_lo, exec_lo, s26
	s_cbranch_vccz .LBB183_931
; %bb.930:
	global_load_u8 v1, v[6:7], off
	s_wait_loadcnt 0x0
	v_lshlrev_b32_e32 v1, 24, v1
	s_delay_alu instid0(VALU_DEP_1) | instskip(NEXT) | instid1(VALU_DEP_1)
	v_and_b32_e32 v3, 0x7f000000, v1
	v_clz_i32_u32_e32 v5, v3
	v_add_nc_u32_e32 v9, 0x1000000, v3
	v_cmp_ne_u32_e32 vcc_lo, 0, v3
	s_delay_alu instid0(VALU_DEP_3) | instskip(NEXT) | instid1(VALU_DEP_1)
	v_min_u32_e32 v5, 32, v5
	v_sub_nc_u32_e64 v5, v5, 4 clamp
	s_delay_alu instid0(VALU_DEP_1) | instskip(NEXT) | instid1(VALU_DEP_1)
	v_dual_lshlrev_b32 v8, v5, v3 :: v_dual_lshlrev_b32 v5, 23, v5
	v_lshrrev_b32_e32 v8, 4, v8
	s_delay_alu instid0(VALU_DEP_1) | instskip(SKIP_1) | instid1(VALU_DEP_2)
	v_sub_nc_u32_e32 v5, v8, v5
	v_ashrrev_i32_e32 v8, 8, v9
	v_add_nc_u32_e32 v5, 0x3c000000, v5
	s_delay_alu instid0(VALU_DEP_1) | instskip(NEXT) | instid1(VALU_DEP_1)
	v_and_or_b32 v5, 0x7f800000, v8, v5
	v_cndmask_b32_e32 v3, 0, v5, vcc_lo
	s_delay_alu instid0(VALU_DEP_1) | instskip(NEXT) | instid1(VALU_DEP_1)
	v_and_or_b32 v1, 0x80000000, v1, v3
	v_cvt_f16_f32_e32 v1, v1
.LBB183_931:
	s_mov_b32 s26, 0
.LBB183_932:
	s_delay_alu instid0(SALU_CYCLE_1)
	s_and_not1_b32 vcc_lo, exec_lo, s26
	s_cbranch_vccnz .LBB183_934
; %bb.933:
	global_load_u8 v1, v[6:7], off
	s_wait_loadcnt 0x0
	v_lshlrev_b32_e32 v3, 25, v1
	v_lshlrev_b16 v1, 8, v1
	s_delay_alu instid0(VALU_DEP_1) | instskip(SKIP_1) | instid1(VALU_DEP_2)
	v_and_or_b32 v8, 0x7f00, v1, 0.5
	v_bfe_i32 v1, v1, 0, 16
	v_dual_add_f32 v8, -0.5, v8 :: v_dual_lshrrev_b32 v5, 4, v3
	v_cmp_gt_u32_e32 vcc_lo, 0x8000000, v3
	s_delay_alu instid0(VALU_DEP_2) | instskip(NEXT) | instid1(VALU_DEP_1)
	v_or_b32_e32 v5, 0x70000000, v5
	v_mul_f32_e32 v5, 0x7800000, v5
	s_delay_alu instid0(VALU_DEP_1) | instskip(NEXT) | instid1(VALU_DEP_1)
	v_cndmask_b32_e32 v3, v5, v8, vcc_lo
	v_and_or_b32 v1, 0x80000000, v1, v3
	s_delay_alu instid0(VALU_DEP_1)
	v_cvt_f16_f32_e32 v1, v1
.LBB183_934:
	s_mov_b32 s27, 0
	s_mov_b32 s26, -1
.LBB183_935:
	s_and_not1_b32 vcc_lo, exec_lo, s27
	s_cbranch_vccnz .LBB183_948
; %bb.936:
	s_cmp_gt_i32 s25, 14
	s_cbranch_scc0 .LBB183_939
; %bb.937:
	s_cmp_eq_u32 s25, 15
	s_cbranch_scc0 .LBB183_942
; %bb.938:
	global_load_u16 v1, v[6:7], off
	s_mov_b32 s26, -1
	s_mov_b32 s24, 0
	s_wait_loadcnt 0x0
	v_lshlrev_b32_e32 v1, 16, v1
	s_delay_alu instid0(VALU_DEP_1)
	v_cvt_f16_f32_e32 v1, v1
	s_branch .LBB183_943
.LBB183_939:
	s_mov_b32 s27, -1
                                        ; implicit-def: $vgpr1
	s_branch .LBB183_944
.LBB183_940:
	s_or_saveexec_b32 s27, s27
	v_mov_b32_e32 v1, 0x7e00
	s_xor_b32 exec_lo, exec_lo, s27
	s_cbranch_execz .LBB183_921
.LBB183_941:
	v_cmp_ne_u16_e32 vcc_lo, 0, v3
	v_mov_b32_e32 v1, v3
	s_and_not1_b32 s26, s26, exec_lo
	s_and_b32 s53, vcc_lo, exec_lo
	s_delay_alu instid0(SALU_CYCLE_1)
	s_or_b32 s26, s26, s53
	s_or_b32 exec_lo, exec_lo, s27
	s_and_saveexec_b32 s27, s26
	s_cbranch_execnz .LBB183_922
	s_branch .LBB183_923
.LBB183_942:
	s_mov_b32 s24, -1
                                        ; implicit-def: $vgpr1
.LBB183_943:
	s_mov_b32 s27, 0
.LBB183_944:
	s_delay_alu instid0(SALU_CYCLE_1)
	s_and_b32 vcc_lo, exec_lo, s27
	s_cbranch_vccz .LBB183_948
; %bb.945:
	s_cmp_eq_u32 s25, 11
	s_cbranch_scc0 .LBB183_947
; %bb.946:
	global_load_u8 v1, v[6:7], off
	s_mov_b32 s24, 0
	s_mov_b32 s26, -1
	s_wait_loadcnt 0x0
	v_cmp_ne_u16_e32 vcc_lo, 0, v1
	v_cndmask_b32_e64 v1, 0, 0x3c00, vcc_lo
	s_branch .LBB183_948
.LBB183_947:
	s_mov_b32 s24, -1
                                        ; implicit-def: $vgpr1
.LBB183_948:
	s_mov_b32 s25, 0
.LBB183_949:
	s_delay_alu instid0(SALU_CYCLE_1)
	s_and_b32 vcc_lo, exec_lo, s25
	s_cbranch_vccz .LBB183_998
; %bb.950:
	s_and_b32 s0, 0xffff, s0
	s_delay_alu instid0(SALU_CYCLE_1)
	s_cmp_lt_i32 s0, 5
	s_cbranch_scc1 .LBB183_955
; %bb.951:
	s_cmp_lt_i32 s0, 8
	s_cbranch_scc1 .LBB183_956
; %bb.952:
	;; [unrolled: 3-line block ×3, first 2 shown]
	s_cmp_gt_i32 s0, 9
	s_cbranch_scc0 .LBB183_958
; %bb.954:
	global_load_b64 v[8:9], v[6:7], off
	s_mov_b32 s25, 0
	s_wait_loadcnt 0x0
	v_and_or_b32 v1, 0x1ff, v9, v8
	v_lshrrev_b32_e32 v3, 8, v9
	v_bfe_u32 v5, v9, 20, 11
	s_delay_alu instid0(VALU_DEP_3) | instskip(NEXT) | instid1(VALU_DEP_2)
	v_cmp_ne_u32_e32 vcc_lo, 0, v1
	v_sub_nc_u32_e32 v8, 0x3f1, v5
	v_add_nc_u32_e32 v5, 0xfffffc10, v5
	v_cndmask_b32_e64 v1, 0, 1, vcc_lo
	s_delay_alu instid0(VALU_DEP_1) | instskip(NEXT) | instid1(VALU_DEP_4)
	v_and_or_b32 v1, 0xffe, v3, v1
	v_med3_i32 v3, v8, 0, 13
	s_delay_alu instid0(VALU_DEP_2) | instskip(NEXT) | instid1(VALU_DEP_1)
	v_or_b32_e32 v8, 0x1000, v1
	v_lshrrev_b32_e32 v10, v3, v8
	s_delay_alu instid0(VALU_DEP_1) | instskip(NEXT) | instid1(VALU_DEP_1)
	v_lshlrev_b32_e32 v3, v3, v10
	v_cmp_ne_u32_e32 vcc_lo, v3, v8
	v_lshl_or_b32 v8, v5, 12, v1
	v_cndmask_b32_e64 v3, 0, 1, vcc_lo
	v_cmp_gt_i32_e32 vcc_lo, 1, v5
	s_delay_alu instid0(VALU_DEP_2) | instskip(NEXT) | instid1(VALU_DEP_1)
	v_or_b32_e32 v3, v10, v3
	v_cndmask_b32_e32 v3, v8, v3, vcc_lo
	s_delay_alu instid0(VALU_DEP_1) | instskip(NEXT) | instid1(VALU_DEP_1)
	v_dual_lshrrev_b32 v3, 2, v3 :: v_dual_bitop2_b32 v8, 7, v3 bitop3:0x40
	v_cmp_lt_i32_e32 vcc_lo, 5, v8
	v_cndmask_b32_e64 v10, 0, 1, vcc_lo
	v_cmp_eq_u32_e32 vcc_lo, 3, v8
	v_cndmask_b32_e64 v8, 0, 1, vcc_lo
	v_cmp_ne_u32_e32 vcc_lo, 0, v1
	s_delay_alu instid0(VALU_DEP_2) | instskip(NEXT) | instid1(VALU_DEP_1)
	v_or_b32_e32 v8, v8, v10
	v_dual_mov_b32 v10, 0x7e00 :: v_dual_add_nc_u32 v3, v3, v8
	s_delay_alu instid0(VALU_DEP_1) | instskip(SKIP_1) | instid1(VALU_DEP_3)
	v_cndmask_b32_e32 v1, 0x7c00, v10, vcc_lo
	v_cmp_gt_i32_e32 vcc_lo, 31, v5
	v_cndmask_b32_e32 v3, 0x7c00, v3, vcc_lo
	v_cmp_eq_u32_e32 vcc_lo, 0x40f, v5
	s_delay_alu instid0(VALU_DEP_2) | instskip(SKIP_1) | instid1(VALU_DEP_1)
	v_cndmask_b32_e32 v1, v3, v1, vcc_lo
	v_lshrrev_b32_e32 v3, 16, v9
	v_and_or_b32 v1, 0x8000, v3, v1
	s_branch .LBB183_959
.LBB183_955:
	s_mov_b32 s25, -1
                                        ; implicit-def: $vgpr1
	s_branch .LBB183_977
.LBB183_956:
	s_mov_b32 s25, -1
                                        ; implicit-def: $vgpr1
	s_branch .LBB183_965
.LBB183_957:
	s_mov_b32 s25, -1
                                        ; implicit-def: $vgpr1
	s_branch .LBB183_962
.LBB183_958:
	s_mov_b32 s25, -1
                                        ; implicit-def: $vgpr1
.LBB183_959:
	s_delay_alu instid0(SALU_CYCLE_1)
	s_and_not1_b32 vcc_lo, exec_lo, s25
	s_cbranch_vccnz .LBB183_961
; %bb.960:
	global_load_b32 v1, v[6:7], off
	s_wait_loadcnt 0x0
	v_cvt_f16_f32_e32 v1, v1
.LBB183_961:
	s_mov_b32 s25, 0
.LBB183_962:
	s_delay_alu instid0(SALU_CYCLE_1)
	s_and_not1_b32 vcc_lo, exec_lo, s25
	s_cbranch_vccnz .LBB183_964
; %bb.963:
	global_load_b32 v1, v[6:7], off
.LBB183_964:
	s_mov_b32 s25, 0
.LBB183_965:
	s_delay_alu instid0(SALU_CYCLE_1)
	s_and_not1_b32 vcc_lo, exec_lo, s25
	s_cbranch_vccnz .LBB183_976
; %bb.966:
	s_cmp_lt_i32 s0, 6
	s_cbranch_scc1 .LBB183_969
; %bb.967:
	s_cmp_gt_i32 s0, 6
	s_cbranch_scc0 .LBB183_970
; %bb.968:
	global_load_b64 v[8:9], v[6:7], off
	s_mov_b32 s25, 0
	s_wait_loadcnt 0x0
	v_and_or_b32 v1, 0x1ff, v9, v8
	v_lshrrev_b32_e32 v3, 8, v9
	v_bfe_u32 v5, v9, 20, 11
	s_delay_alu instid0(VALU_DEP_3) | instskip(NEXT) | instid1(VALU_DEP_2)
	v_cmp_ne_u32_e32 vcc_lo, 0, v1
	v_sub_nc_u32_e32 v8, 0x3f1, v5
	v_add_nc_u32_e32 v5, 0xfffffc10, v5
	v_cndmask_b32_e64 v1, 0, 1, vcc_lo
	s_delay_alu instid0(VALU_DEP_1) | instskip(NEXT) | instid1(VALU_DEP_4)
	v_and_or_b32 v1, 0xffe, v3, v1
	v_med3_i32 v3, v8, 0, 13
	s_delay_alu instid0(VALU_DEP_2) | instskip(NEXT) | instid1(VALU_DEP_1)
	v_or_b32_e32 v8, 0x1000, v1
	v_lshrrev_b32_e32 v10, v3, v8
	s_delay_alu instid0(VALU_DEP_1) | instskip(NEXT) | instid1(VALU_DEP_1)
	v_lshlrev_b32_e32 v3, v3, v10
	v_cmp_ne_u32_e32 vcc_lo, v3, v8
	v_lshl_or_b32 v8, v5, 12, v1
	v_cndmask_b32_e64 v3, 0, 1, vcc_lo
	v_cmp_gt_i32_e32 vcc_lo, 1, v5
	s_delay_alu instid0(VALU_DEP_2) | instskip(NEXT) | instid1(VALU_DEP_1)
	v_or_b32_e32 v3, v10, v3
	v_cndmask_b32_e32 v3, v8, v3, vcc_lo
	s_delay_alu instid0(VALU_DEP_1) | instskip(NEXT) | instid1(VALU_DEP_1)
	v_dual_lshrrev_b32 v3, 2, v3 :: v_dual_bitop2_b32 v8, 7, v3 bitop3:0x40
	v_cmp_lt_i32_e32 vcc_lo, 5, v8
	v_cndmask_b32_e64 v10, 0, 1, vcc_lo
	v_cmp_eq_u32_e32 vcc_lo, 3, v8
	v_cndmask_b32_e64 v8, 0, 1, vcc_lo
	v_cmp_ne_u32_e32 vcc_lo, 0, v1
	s_delay_alu instid0(VALU_DEP_2) | instskip(NEXT) | instid1(VALU_DEP_1)
	v_or_b32_e32 v8, v8, v10
	v_dual_mov_b32 v10, 0x7e00 :: v_dual_add_nc_u32 v3, v3, v8
	s_delay_alu instid0(VALU_DEP_1) | instskip(SKIP_1) | instid1(VALU_DEP_3)
	v_cndmask_b32_e32 v1, 0x7c00, v10, vcc_lo
	v_cmp_gt_i32_e32 vcc_lo, 31, v5
	v_cndmask_b32_e32 v3, 0x7c00, v3, vcc_lo
	v_cmp_eq_u32_e32 vcc_lo, 0x40f, v5
	s_delay_alu instid0(VALU_DEP_2) | instskip(SKIP_1) | instid1(VALU_DEP_1)
	v_cndmask_b32_e32 v1, v3, v1, vcc_lo
	v_lshrrev_b32_e32 v3, 16, v9
	v_and_or_b32 v1, 0x8000, v3, v1
	s_branch .LBB183_971
.LBB183_969:
	s_mov_b32 s25, -1
                                        ; implicit-def: $vgpr1
	s_branch .LBB183_974
.LBB183_970:
	s_mov_b32 s25, -1
                                        ; implicit-def: $vgpr1
.LBB183_971:
	s_delay_alu instid0(SALU_CYCLE_1)
	s_and_not1_b32 vcc_lo, exec_lo, s25
	s_cbranch_vccnz .LBB183_973
; %bb.972:
	s_wait_loadcnt 0x0
	global_load_b32 v1, v[6:7], off
	s_wait_loadcnt 0x0
	v_cvt_f16_f32_e32 v1, v1
.LBB183_973:
	s_mov_b32 s25, 0
.LBB183_974:
	s_delay_alu instid0(SALU_CYCLE_1)
	s_and_not1_b32 vcc_lo, exec_lo, s25
	s_cbranch_vccnz .LBB183_976
; %bb.975:
	s_wait_loadcnt 0x0
	global_load_u16 v1, v[6:7], off
.LBB183_976:
	s_mov_b32 s25, 0
.LBB183_977:
	s_delay_alu instid0(SALU_CYCLE_1)
	s_and_not1_b32 vcc_lo, exec_lo, s25
	s_cbranch_vccnz .LBB183_997
; %bb.978:
	s_cmp_lt_i32 s0, 2
	s_cbranch_scc1 .LBB183_982
; %bb.979:
	s_cmp_lt_i32 s0, 3
	s_cbranch_scc1 .LBB183_983
; %bb.980:
	s_cmp_gt_i32 s0, 3
	s_cbranch_scc0 .LBB183_984
; %bb.981:
	global_load_b64 v[8:9], v[6:7], off
	s_mov_b32 s25, 0
	s_wait_loadcnt 0x0
	v_xor_b32_e32 v1, v8, v9
	v_cls_i32_e32 v3, v9
	s_delay_alu instid0(VALU_DEP_2) | instskip(NEXT) | instid1(VALU_DEP_1)
	v_ashrrev_i32_e32 v1, 31, v1
	v_add_nc_u32_e32 v1, 32, v1
	s_delay_alu instid0(VALU_DEP_1) | instskip(NEXT) | instid1(VALU_DEP_1)
	v_add_min_u32_e64 v1, v3, -1, v1
	v_lshlrev_b64_e32 v[8:9], v1, v[8:9]
	v_sub_nc_u32_e32 v1, 32, v1
	s_delay_alu instid0(VALU_DEP_2) | instskip(NEXT) | instid1(VALU_DEP_1)
	v_min_u32_e32 v3, 1, v8
	v_or_b32_e32 v3, v9, v3
	s_delay_alu instid0(VALU_DEP_1) | instskip(NEXT) | instid1(VALU_DEP_1)
	v_cvt_f32_i32_e32 v3, v3
	v_ldexp_f32 v1, v3, v1
	s_delay_alu instid0(VALU_DEP_1)
	v_cvt_f16_f32_e32 v1, v1
	s_branch .LBB183_985
.LBB183_982:
	s_mov_b32 s25, -1
                                        ; implicit-def: $vgpr1
	s_branch .LBB183_991
.LBB183_983:
	s_mov_b32 s25, -1
                                        ; implicit-def: $vgpr1
	s_branch .LBB183_988
.LBB183_984:
	s_mov_b32 s25, -1
                                        ; implicit-def: $vgpr1
.LBB183_985:
	s_delay_alu instid0(SALU_CYCLE_1)
	s_and_not1_b32 vcc_lo, exec_lo, s25
	s_cbranch_vccnz .LBB183_987
; %bb.986:
	s_wait_loadcnt 0x0
	global_load_b32 v1, v[6:7], off
	s_wait_loadcnt 0x0
	v_cvt_f32_i32_e32 v1, v1
	s_delay_alu instid0(VALU_DEP_1)
	v_cvt_f16_f32_e32 v1, v1
.LBB183_987:
	s_mov_b32 s25, 0
.LBB183_988:
	s_delay_alu instid0(SALU_CYCLE_1)
	s_and_not1_b32 vcc_lo, exec_lo, s25
	s_cbranch_vccnz .LBB183_990
; %bb.989:
	s_wait_loadcnt 0x0
	global_load_u16 v1, v[6:7], off
	s_wait_loadcnt 0x0
	v_cvt_f16_i16_e32 v1, v1
.LBB183_990:
	s_mov_b32 s25, 0
.LBB183_991:
	s_delay_alu instid0(SALU_CYCLE_1)
	s_and_not1_b32 vcc_lo, exec_lo, s25
	s_cbranch_vccnz .LBB183_997
; %bb.992:
	s_cmp_gt_i32 s0, 0
	s_mov_b32 s0, 0
	s_cbranch_scc0 .LBB183_994
; %bb.993:
	s_wait_loadcnt 0x0
	global_load_i8 v1, v[6:7], off
	s_wait_loadcnt 0x0
	v_cvt_f16_i16_e32 v1, v1
	s_branch .LBB183_995
.LBB183_994:
	s_mov_b32 s0, -1
                                        ; implicit-def: $vgpr1
.LBB183_995:
	s_delay_alu instid0(SALU_CYCLE_1)
	s_and_not1_b32 vcc_lo, exec_lo, s0
	s_cbranch_vccnz .LBB183_997
; %bb.996:
	s_wait_loadcnt 0x0
	global_load_u8 v1, v[6:7], off
	s_wait_loadcnt 0x0
	v_cvt_f16_u16_e32 v1, v1
.LBB183_997:
	s_mov_b32 s26, -1
.LBB183_998:
	s_mov_b32 s25, 0
	s_mov_b32 s0, s48
	s_and_not1_b32 vcc_lo, exec_lo, s26
	s_mov_b32 s26, s49
	s_mov_b32 s27, 0
	s_cbranch_vccnz .LBB183_1253
; %bb.999:
	v_mov_b32_e32 v5, 0
	s_and_b32 s0, 0xffff, s9
	s_delay_alu instid0(SALU_CYCLE_1) | instskip(NEXT) | instid1(VALU_DEP_1)
	s_cmp_lt_i32 s0, 11
	v_add_nc_u64_e32 v[4:5], s[6:7], v[4:5]
	s_cbranch_scc1 .LBB183_1006
; %bb.1000:
	s_cmp_gt_i32 s0, 25
	s_cbranch_scc0 .LBB183_1007
; %bb.1001:
	s_cmp_gt_i32 s0, 28
	s_cbranch_scc0 .LBB183_1008
	;; [unrolled: 3-line block ×4, first 2 shown]
; %bb.1004:
	s_cmp_eq_u32 s0, 46
	s_mov_b32 s53, 0
	s_cbranch_scc0 .LBB183_1013
; %bb.1005:
	global_load_b32 v3, v[4:5], off
	s_mov_b32 s27, -1
	s_mov_b32 s26, 0
	s_wait_loadcnt 0x0
	v_lshlrev_b32_e32 v3, 16, v3
	s_wait_xcnt 0x1
	s_delay_alu instid0(VALU_DEP_1)
	v_cvt_f16_f32_e32 v6, v3
	s_branch .LBB183_1015
.LBB183_1006:
	s_mov_b32 s53, -1
	s_mov_b32 s26, s49
                                        ; implicit-def: $vgpr6
	s_branch .LBB183_1080
.LBB183_1007:
	s_mov_b32 s53, -1
	s_mov_b32 s26, s49
                                        ; implicit-def: $vgpr6
	s_branch .LBB183_1044
.LBB183_1008:
	s_mov_b32 s53, -1
	s_mov_b32 s26, s49
                                        ; implicit-def: $vgpr6
	s_branch .LBB183_1025
.LBB183_1009:
	s_mov_b32 s53, -1
	s_mov_b32 s26, s49
                                        ; implicit-def: $vgpr6
	s_branch .LBB183_1020
.LBB183_1010:
	s_mov_b32 s53, -1
	s_mov_b32 s26, s49
	s_branch .LBB183_1014
.LBB183_1011:
	s_and_not1_saveexec_b32 s50, s50
	s_cbranch_execz .LBB183_755
.LBB183_1012:
	v_add_f32_e64 v5, 0x42800000, |v4|
	s_and_not1_b32 s49, s49, exec_lo
	s_delay_alu instid0(VALU_DEP_1) | instskip(NEXT) | instid1(VALU_DEP_1)
	v_and_b32_e32 v5, 0xff, v5
	v_cmp_ne_u32_e32 vcc_lo, 0, v5
	s_and_b32 s52, vcc_lo, exec_lo
	s_delay_alu instid0(SALU_CYCLE_1)
	s_or_b32 s49, s49, s52
	s_or_b32 exec_lo, exec_lo, s50
	v_mov_b32_e32 v6, 0
	s_and_saveexec_b32 s50, s49
	s_cbranch_execnz .LBB183_756
	s_branch .LBB183_757
.LBB183_1013:
	s_mov_b32 s26, -1
.LBB183_1014:
                                        ; implicit-def: $vgpr6
.LBB183_1015:
	s_and_b32 vcc_lo, exec_lo, s53
	s_cbranch_vccz .LBB183_1019
; %bb.1016:
	s_cmp_eq_u32 s0, 44
	s_cbranch_scc0 .LBB183_1018
; %bb.1017:
	global_load_u8 v3, v[4:5], off
	s_mov_b32 s26, 0
	s_mov_b32 s27, -1
	s_wait_loadcnt 0x0
	s_wait_xcnt 0x1
	v_lshlrev_b32_e32 v6, 23, v3
	v_cmp_ne_u32_e32 vcc_lo, 0xff, v3
	s_delay_alu instid0(VALU_DEP_2) | instskip(NEXT) | instid1(VALU_DEP_1)
	v_cvt_f16_f32_e32 v6, v6
	v_cndmask_b32_e32 v6, 0x7e00, v6, vcc_lo
	v_cmp_ne_u32_e32 vcc_lo, 0, v3
	s_delay_alu instid0(VALU_DEP_2)
	v_cndmask_b32_e32 v6, 0, v6, vcc_lo
	s_branch .LBB183_1019
.LBB183_1018:
	s_mov_b32 s26, -1
                                        ; implicit-def: $vgpr6
.LBB183_1019:
	s_mov_b32 s53, 0
.LBB183_1020:
	s_delay_alu instid0(SALU_CYCLE_1)
	s_and_b32 vcc_lo, exec_lo, s53
	s_cbranch_vccz .LBB183_1024
; %bb.1021:
	s_cmp_eq_u32 s0, 29
	s_cbranch_scc0 .LBB183_1023
; %bb.1022:
	global_load_b64 v[6:7], v[4:5], off
	s_mov_b32 s27, -1
	s_mov_b32 s26, 0
	s_mov_b32 s53, 0
	s_wait_loadcnt 0x0
	v_clz_i32_u32_e32 v3, v7
	s_delay_alu instid0(VALU_DEP_1) | instskip(NEXT) | instid1(VALU_DEP_1)
	v_min_u32_e32 v3, 32, v3
	v_lshlrev_b64_e32 v[6:7], v3, v[6:7]
	v_sub_nc_u32_e32 v3, 32, v3
	s_delay_alu instid0(VALU_DEP_2) | instskip(NEXT) | instid1(VALU_DEP_1)
	v_min_u32_e32 v6, 1, v6
	v_or_b32_e32 v6, v7, v6
	s_delay_alu instid0(VALU_DEP_1) | instskip(NEXT) | instid1(VALU_DEP_1)
	v_cvt_f32_u32_e32 v6, v6
	v_ldexp_f32 v3, v6, v3
	s_delay_alu instid0(VALU_DEP_1)
	v_cvt_f16_f32_e32 v6, v3
	s_branch .LBB183_1025
.LBB183_1023:
	s_mov_b32 s26, -1
                                        ; implicit-def: $vgpr6
.LBB183_1024:
	s_mov_b32 s53, 0
.LBB183_1025:
	s_delay_alu instid0(SALU_CYCLE_1)
	s_and_b32 vcc_lo, exec_lo, s53
	s_cbranch_vccz .LBB183_1043
; %bb.1026:
	s_cmp_lt_i32 s0, 27
	s_cbranch_scc1 .LBB183_1029
; %bb.1027:
	s_cmp_gt_i32 s0, 27
	s_cbranch_scc0 .LBB183_1030
; %bb.1028:
	global_load_b32 v3, v[4:5], off
	s_mov_b32 s27, 0
	s_wait_loadcnt 0x0
	v_cvt_f32_u32_e32 v3, v3
	s_wait_xcnt 0x1
	s_delay_alu instid0(VALU_DEP_1)
	v_cvt_f16_f32_e32 v6, v3
	s_branch .LBB183_1031
.LBB183_1029:
	s_mov_b32 s27, -1
                                        ; implicit-def: $vgpr6
	s_branch .LBB183_1034
.LBB183_1030:
	s_mov_b32 s27, -1
                                        ; implicit-def: $vgpr6
.LBB183_1031:
	s_delay_alu instid0(SALU_CYCLE_1)
	s_and_not1_b32 vcc_lo, exec_lo, s27
	s_cbranch_vccnz .LBB183_1033
; %bb.1032:
	global_load_u16 v3, v[4:5], off
	s_wait_loadcnt 0x0
	s_wait_xcnt 0x1
	v_cvt_f16_u16_e32 v6, v3
.LBB183_1033:
	s_mov_b32 s27, 0
.LBB183_1034:
	s_delay_alu instid0(SALU_CYCLE_1)
	s_and_not1_b32 vcc_lo, exec_lo, s27
	s_cbranch_vccnz .LBB183_1042
; %bb.1035:
	global_load_u8 v3, v[4:5], off
	s_mov_b32 s27, 0
	s_mov_b32 s53, exec_lo
	s_wait_loadcnt 0x0
	v_cmpx_lt_i16_e32 0x7f, v3
	s_xor_b32 s53, exec_lo, s53
	s_cbranch_execz .LBB183_1056
; %bb.1036:
	s_mov_b32 s27, -1
	s_mov_b32 s54, exec_lo
	v_cmpx_eq_u16_e32 0x80, v3
; %bb.1037:
	s_xor_b32 s27, exec_lo, -1
; %bb.1038:
	s_or_b32 exec_lo, exec_lo, s54
	s_delay_alu instid0(SALU_CYCLE_1)
	s_and_b32 s27, s27, exec_lo
	s_or_saveexec_b32 s53, s53
	v_mov_b32_e32 v6, 0x7e00
	s_xor_b32 exec_lo, exec_lo, s53
	s_cbranch_execnz .LBB183_1057
.LBB183_1039:
	s_or_b32 exec_lo, exec_lo, s53
	s_and_saveexec_b32 s53, s27
	s_cbranch_execz .LBB183_1041
.LBB183_1040:
	v_and_b32_e32 v6, 0xffff, v3
	s_delay_alu instid0(VALU_DEP_1) | instskip(SKIP_1) | instid1(VALU_DEP_2)
	v_and_b32_e32 v7, 7, v6
	v_bfe_u32 v10, v6, 3, 4
	v_clz_i32_u32_e32 v8, v7
	s_delay_alu instid0(VALU_DEP_2) | instskip(NEXT) | instid1(VALU_DEP_2)
	v_cmp_eq_u32_e32 vcc_lo, 0, v10
	v_min_u32_e32 v8, 32, v8
	s_delay_alu instid0(VALU_DEP_1) | instskip(NEXT) | instid1(VALU_DEP_1)
	v_subrev_nc_u32_e32 v9, 28, v8
	v_dual_lshlrev_b32 v6, v9, v6 :: v_dual_sub_nc_u32 v8, 29, v8
	s_delay_alu instid0(VALU_DEP_1) | instskip(NEXT) | instid1(VALU_DEP_1)
	v_dual_lshlrev_b32 v3, 24, v3 :: v_dual_bitop2_b32 v6, 7, v6 bitop3:0x40
	v_dual_cndmask_b32 v8, v10, v8, vcc_lo :: v_dual_cndmask_b32 v6, v7, v6, vcc_lo
	s_delay_alu instid0(VALU_DEP_2) | instskip(NEXT) | instid1(VALU_DEP_2)
	v_and_b32_e32 v3, 0x80000000, v3
	v_lshl_add_u32 v7, v8, 23, 0x3b800000
	s_delay_alu instid0(VALU_DEP_3) | instskip(NEXT) | instid1(VALU_DEP_1)
	v_lshlrev_b32_e32 v6, 20, v6
	v_or3_b32 v3, v3, v7, v6
	s_delay_alu instid0(VALU_DEP_1)
	v_cvt_f16_f32_e32 v6, v3
.LBB183_1041:
	s_or_b32 exec_lo, exec_lo, s53
.LBB183_1042:
	s_mov_b32 s27, -1
.LBB183_1043:
	s_mov_b32 s53, 0
.LBB183_1044:
	s_delay_alu instid0(SALU_CYCLE_1)
	s_and_b32 vcc_lo, exec_lo, s53
	s_cbranch_vccz .LBB183_1079
; %bb.1045:
	s_cmp_gt_i32 s0, 22
	s_cbranch_scc0 .LBB183_1055
; %bb.1046:
	s_cmp_lt_i32 s0, 24
	s_cbranch_scc1 .LBB183_1058
; %bb.1047:
	s_cmp_gt_i32 s0, 24
	s_cbranch_scc0 .LBB183_1059
; %bb.1048:
	global_load_u8 v3, v[4:5], off
	s_mov_b32 s27, 0
	s_mov_b32 s53, exec_lo
	s_wait_loadcnt 0x0
	v_cmpx_lt_i16_e32 0x7f, v3
	s_xor_b32 s53, exec_lo, s53
	s_cbranch_execz .LBB183_1071
; %bb.1049:
	s_mov_b32 s27, -1
	s_mov_b32 s54, exec_lo
	v_cmpx_eq_u16_e32 0x80, v3
; %bb.1050:
	s_xor_b32 s27, exec_lo, -1
; %bb.1051:
	s_or_b32 exec_lo, exec_lo, s54
	s_delay_alu instid0(SALU_CYCLE_1)
	s_and_b32 s27, s27, exec_lo
	s_or_saveexec_b32 s53, s53
	v_mov_b32_e32 v6, 0x7e00
	s_xor_b32 exec_lo, exec_lo, s53
	s_cbranch_execnz .LBB183_1072
.LBB183_1052:
	s_or_b32 exec_lo, exec_lo, s53
	s_and_saveexec_b32 s53, s27
	s_cbranch_execz .LBB183_1054
.LBB183_1053:
	v_and_b32_e32 v6, 0xffff, v3
	s_delay_alu instid0(VALU_DEP_1) | instskip(SKIP_1) | instid1(VALU_DEP_2)
	v_and_b32_e32 v7, 3, v6
	v_bfe_u32 v10, v6, 2, 5
	v_clz_i32_u32_e32 v8, v7
	s_delay_alu instid0(VALU_DEP_2) | instskip(NEXT) | instid1(VALU_DEP_2)
	v_cmp_eq_u32_e32 vcc_lo, 0, v10
	v_min_u32_e32 v8, 32, v8
	s_delay_alu instid0(VALU_DEP_1) | instskip(NEXT) | instid1(VALU_DEP_1)
	v_subrev_nc_u32_e32 v9, 29, v8
	v_dual_lshlrev_b32 v6, v9, v6 :: v_dual_sub_nc_u32 v8, 30, v8
	s_delay_alu instid0(VALU_DEP_1) | instskip(NEXT) | instid1(VALU_DEP_1)
	v_dual_lshlrev_b32 v3, 24, v3 :: v_dual_bitop2_b32 v6, 3, v6 bitop3:0x40
	v_dual_cndmask_b32 v8, v10, v8, vcc_lo :: v_dual_cndmask_b32 v6, v7, v6, vcc_lo
	s_delay_alu instid0(VALU_DEP_2) | instskip(NEXT) | instid1(VALU_DEP_2)
	v_and_b32_e32 v3, 0x80000000, v3
	v_lshl_add_u32 v7, v8, 23, 0x37800000
	s_delay_alu instid0(VALU_DEP_3) | instskip(NEXT) | instid1(VALU_DEP_1)
	v_lshlrev_b32_e32 v6, 21, v6
	v_or3_b32 v3, v3, v7, v6
	s_delay_alu instid0(VALU_DEP_1)
	v_cvt_f16_f32_e32 v6, v3
.LBB183_1054:
	s_or_b32 exec_lo, exec_lo, s53
	s_mov_b32 s27, 0
	s_branch .LBB183_1060
.LBB183_1055:
	s_mov_b32 s53, -1
                                        ; implicit-def: $vgpr6
	s_branch .LBB183_1066
.LBB183_1056:
	s_or_saveexec_b32 s53, s53
	v_mov_b32_e32 v6, 0x7e00
	s_xor_b32 exec_lo, exec_lo, s53
	s_cbranch_execz .LBB183_1039
.LBB183_1057:
	v_cmp_ne_u16_e32 vcc_lo, 0, v3
	v_mov_b32_e32 v6, v3
	s_and_not1_b32 s27, s27, exec_lo
	s_and_b32 s54, vcc_lo, exec_lo
	s_delay_alu instid0(SALU_CYCLE_1)
	s_or_b32 s27, s27, s54
	s_or_b32 exec_lo, exec_lo, s53
	s_and_saveexec_b32 s53, s27
	s_cbranch_execnz .LBB183_1040
	s_branch .LBB183_1041
.LBB183_1058:
	s_mov_b32 s27, -1
                                        ; implicit-def: $vgpr6
	s_branch .LBB183_1063
.LBB183_1059:
	s_mov_b32 s27, -1
                                        ; implicit-def: $vgpr6
.LBB183_1060:
	s_delay_alu instid0(SALU_CYCLE_1)
	s_and_b32 vcc_lo, exec_lo, s27
	s_cbranch_vccz .LBB183_1062
; %bb.1061:
	global_load_u8 v3, v[4:5], off
	s_wait_loadcnt 0x0
	v_lshlrev_b32_e32 v3, 24, v3
	s_wait_xcnt 0x1
	s_delay_alu instid0(VALU_DEP_1) | instskip(NEXT) | instid1(VALU_DEP_1)
	v_and_b32_e32 v6, 0x7f000000, v3
	v_clz_i32_u32_e32 v7, v6
	v_cmp_ne_u32_e32 vcc_lo, 0, v6
	v_add_nc_u32_e32 v9, 0x1000000, v6
	s_delay_alu instid0(VALU_DEP_3) | instskip(NEXT) | instid1(VALU_DEP_1)
	v_min_u32_e32 v7, 32, v7
	v_sub_nc_u32_e64 v7, v7, 4 clamp
	s_delay_alu instid0(VALU_DEP_1) | instskip(NEXT) | instid1(VALU_DEP_1)
	v_dual_lshlrev_b32 v8, v7, v6 :: v_dual_lshlrev_b32 v7, 23, v7
	v_lshrrev_b32_e32 v8, 4, v8
	s_delay_alu instid0(VALU_DEP_1) | instskip(NEXT) | instid1(VALU_DEP_1)
	v_dual_sub_nc_u32 v7, v8, v7 :: v_dual_ashrrev_i32 v8, 8, v9
	v_add_nc_u32_e32 v7, 0x3c000000, v7
	s_delay_alu instid0(VALU_DEP_1) | instskip(NEXT) | instid1(VALU_DEP_1)
	v_and_or_b32 v7, 0x7f800000, v8, v7
	v_cndmask_b32_e32 v6, 0, v7, vcc_lo
	s_delay_alu instid0(VALU_DEP_1) | instskip(NEXT) | instid1(VALU_DEP_1)
	v_and_or_b32 v3, 0x80000000, v3, v6
	v_cvt_f16_f32_e32 v6, v3
.LBB183_1062:
	s_mov_b32 s27, 0
.LBB183_1063:
	s_delay_alu instid0(SALU_CYCLE_1)
	s_and_not1_b32 vcc_lo, exec_lo, s27
	s_cbranch_vccnz .LBB183_1065
; %bb.1064:
	global_load_u8 v3, v[4:5], off
	s_wait_loadcnt 0x0
	s_wait_xcnt 0x1
	v_lshlrev_b32_e32 v6, 25, v3
	v_lshlrev_b16 v3, 8, v3
	s_delay_alu instid0(VALU_DEP_1) | instskip(SKIP_1) | instid1(VALU_DEP_2)
	v_and_or_b32 v8, 0x7f00, v3, 0.5
	v_bfe_i32 v3, v3, 0, 16
	v_dual_add_f32 v8, -0.5, v8 :: v_dual_lshrrev_b32 v7, 4, v6
	v_cmp_gt_u32_e32 vcc_lo, 0x8000000, v6
	s_delay_alu instid0(VALU_DEP_2) | instskip(NEXT) | instid1(VALU_DEP_1)
	v_or_b32_e32 v7, 0x70000000, v7
	v_mul_f32_e32 v7, 0x7800000, v7
	s_delay_alu instid0(VALU_DEP_1) | instskip(NEXT) | instid1(VALU_DEP_1)
	v_cndmask_b32_e32 v6, v7, v8, vcc_lo
	v_and_or_b32 v3, 0x80000000, v3, v6
	s_delay_alu instid0(VALU_DEP_1)
	v_cvt_f16_f32_e32 v6, v3
.LBB183_1065:
	s_mov_b32 s53, 0
	s_mov_b32 s27, -1
.LBB183_1066:
	s_and_not1_b32 vcc_lo, exec_lo, s53
	s_cbranch_vccnz .LBB183_1079
; %bb.1067:
	s_cmp_gt_i32 s0, 14
	s_cbranch_scc0 .LBB183_1070
; %bb.1068:
	s_cmp_eq_u32 s0, 15
	s_cbranch_scc0 .LBB183_1073
; %bb.1069:
	global_load_u16 v3, v[4:5], off
	s_mov_b32 s27, -1
	s_mov_b32 s26, 0
	s_wait_loadcnt 0x0
	v_lshlrev_b32_e32 v3, 16, v3
	s_wait_xcnt 0x1
	s_delay_alu instid0(VALU_DEP_1)
	v_cvt_f16_f32_e32 v6, v3
	s_branch .LBB183_1074
.LBB183_1070:
	s_mov_b32 s53, -1
                                        ; implicit-def: $vgpr6
	s_branch .LBB183_1075
.LBB183_1071:
	s_or_saveexec_b32 s53, s53
	v_mov_b32_e32 v6, 0x7e00
	s_xor_b32 exec_lo, exec_lo, s53
	s_cbranch_execz .LBB183_1052
.LBB183_1072:
	v_cmp_ne_u16_e32 vcc_lo, 0, v3
	v_mov_b32_e32 v6, v3
	s_and_not1_b32 s27, s27, exec_lo
	s_and_b32 s54, vcc_lo, exec_lo
	s_delay_alu instid0(SALU_CYCLE_1)
	s_or_b32 s27, s27, s54
	s_or_b32 exec_lo, exec_lo, s53
	s_and_saveexec_b32 s53, s27
	s_cbranch_execnz .LBB183_1053
	s_branch .LBB183_1054
.LBB183_1073:
	s_mov_b32 s26, -1
                                        ; implicit-def: $vgpr6
.LBB183_1074:
	s_mov_b32 s53, 0
.LBB183_1075:
	s_delay_alu instid0(SALU_CYCLE_1)
	s_and_b32 vcc_lo, exec_lo, s53
	s_cbranch_vccz .LBB183_1079
; %bb.1076:
	s_cmp_eq_u32 s0, 11
	s_cbranch_scc0 .LBB183_1078
; %bb.1077:
	global_load_u8 v3, v[4:5], off
	s_mov_b32 s26, 0
	s_mov_b32 s27, -1
	s_wait_loadcnt 0x0
	v_cmp_ne_u16_e32 vcc_lo, 0, v3
	s_wait_xcnt 0x1
	v_cndmask_b32_e64 v6, 0, 0x3c00, vcc_lo
	s_branch .LBB183_1079
.LBB183_1078:
	s_mov_b32 s26, -1
                                        ; implicit-def: $vgpr6
.LBB183_1079:
	s_mov_b32 s53, 0
.LBB183_1080:
	s_delay_alu instid0(SALU_CYCLE_1)
	s_and_b32 vcc_lo, exec_lo, s53
	s_cbranch_vccz .LBB183_1129
; %bb.1081:
	s_cmp_lt_i32 s0, 5
	s_cbranch_scc1 .LBB183_1086
; %bb.1082:
	s_cmp_lt_i32 s0, 8
	s_cbranch_scc1 .LBB183_1087
	;; [unrolled: 3-line block ×3, first 2 shown]
; %bb.1084:
	s_cmp_gt_i32 s0, 9
	s_cbranch_scc0 .LBB183_1089
; %bb.1085:
	global_load_b64 v[6:7], v[4:5], off
	s_mov_b32 s27, 0
	s_wait_loadcnt 0x0
	v_and_or_b32 v3, 0x1ff, v7, v6
	v_lshrrev_b32_e32 v6, 8, v7
	v_bfe_u32 v8, v7, 20, 11
	s_delay_alu instid0(VALU_DEP_3) | instskip(NEXT) | instid1(VALU_DEP_2)
	v_cmp_ne_u32_e32 vcc_lo, 0, v3
	v_sub_nc_u32_e32 v9, 0x3f1, v8
	v_add_nc_u32_e32 v8, 0xfffffc10, v8
	v_cndmask_b32_e64 v3, 0, 1, vcc_lo
	s_delay_alu instid0(VALU_DEP_1) | instskip(NEXT) | instid1(VALU_DEP_4)
	v_and_or_b32 v3, 0xffe, v6, v3
	v_med3_i32 v6, v9, 0, 13
	s_delay_alu instid0(VALU_DEP_2) | instskip(NEXT) | instid1(VALU_DEP_1)
	v_or_b32_e32 v9, 0x1000, v3
	v_lshrrev_b32_e32 v10, v6, v9
	s_delay_alu instid0(VALU_DEP_1) | instskip(NEXT) | instid1(VALU_DEP_1)
	v_lshlrev_b32_e32 v6, v6, v10
	v_cmp_ne_u32_e32 vcc_lo, v6, v9
	v_lshl_or_b32 v9, v8, 12, v3
	v_cndmask_b32_e64 v6, 0, 1, vcc_lo
	v_cmp_gt_i32_e32 vcc_lo, 1, v8
	s_delay_alu instid0(VALU_DEP_2) | instskip(NEXT) | instid1(VALU_DEP_1)
	v_or_b32_e32 v6, v10, v6
	v_cndmask_b32_e32 v6, v9, v6, vcc_lo
	s_delay_alu instid0(VALU_DEP_1) | instskip(NEXT) | instid1(VALU_DEP_1)
	v_dual_lshrrev_b32 v6, 2, v6 :: v_dual_bitop2_b32 v9, 7, v6 bitop3:0x40
	v_cmp_lt_i32_e32 vcc_lo, 5, v9
	v_cndmask_b32_e64 v10, 0, 1, vcc_lo
	v_cmp_eq_u32_e32 vcc_lo, 3, v9
	v_cndmask_b32_e64 v9, 0, 1, vcc_lo
	v_cmp_ne_u32_e32 vcc_lo, 0, v3
	s_delay_alu instid0(VALU_DEP_2) | instskip(SKIP_1) | instid1(VALU_DEP_1)
	v_or_b32_e32 v9, v9, v10
	v_mov_b32_e32 v10, 0x7e00
	v_dual_cndmask_b32 v3, 0x7c00, v10 :: v_dual_add_nc_u32 v6, v6, v9
	v_cmp_gt_i32_e32 vcc_lo, 31, v8
	s_delay_alu instid0(VALU_DEP_2) | instskip(SKIP_1) | instid1(VALU_DEP_2)
	v_cndmask_b32_e32 v6, 0x7c00, v6, vcc_lo
	v_cmp_eq_u32_e32 vcc_lo, 0x40f, v8
	v_cndmask_b32_e32 v3, v6, v3, vcc_lo
	v_lshrrev_b32_e32 v6, 16, v7
	s_delay_alu instid0(VALU_DEP_1)
	v_and_or_b32 v6, 0x8000, v6, v3
	s_branch .LBB183_1090
.LBB183_1086:
	s_mov_b32 s27, -1
                                        ; implicit-def: $vgpr6
	s_branch .LBB183_1108
.LBB183_1087:
	s_mov_b32 s27, -1
                                        ; implicit-def: $vgpr6
	s_branch .LBB183_1096
.LBB183_1088:
	s_mov_b32 s27, -1
                                        ; implicit-def: $vgpr6
	s_branch .LBB183_1093
.LBB183_1089:
	s_mov_b32 s27, -1
                                        ; implicit-def: $vgpr6
.LBB183_1090:
	s_delay_alu instid0(SALU_CYCLE_1)
	s_and_not1_b32 vcc_lo, exec_lo, s27
	s_cbranch_vccnz .LBB183_1092
; %bb.1091:
	global_load_b32 v3, v[4:5], off
	s_wait_loadcnt 0x0
	s_wait_xcnt 0x1
	v_cvt_f16_f32_e32 v6, v3
.LBB183_1092:
	s_mov_b32 s27, 0
.LBB183_1093:
	s_delay_alu instid0(SALU_CYCLE_1)
	s_and_not1_b32 vcc_lo, exec_lo, s27
	s_cbranch_vccnz .LBB183_1095
; %bb.1094:
	global_load_b32 v6, v[4:5], off
.LBB183_1095:
	s_mov_b32 s27, 0
.LBB183_1096:
	s_delay_alu instid0(SALU_CYCLE_1)
	s_and_not1_b32 vcc_lo, exec_lo, s27
	s_cbranch_vccnz .LBB183_1107
; %bb.1097:
	s_cmp_lt_i32 s0, 6
	s_cbranch_scc1 .LBB183_1100
; %bb.1098:
	s_cmp_gt_i32 s0, 6
	s_cbranch_scc0 .LBB183_1101
; %bb.1099:
	s_wait_loadcnt 0x0
	global_load_b64 v[6:7], v[4:5], off
	s_mov_b32 s27, 0
	s_wait_loadcnt 0x0
	v_and_or_b32 v3, 0x1ff, v7, v6
	v_lshrrev_b32_e32 v6, 8, v7
	v_bfe_u32 v8, v7, 20, 11
	s_delay_alu instid0(VALU_DEP_3) | instskip(NEXT) | instid1(VALU_DEP_2)
	v_cmp_ne_u32_e32 vcc_lo, 0, v3
	v_sub_nc_u32_e32 v9, 0x3f1, v8
	v_add_nc_u32_e32 v8, 0xfffffc10, v8
	v_cndmask_b32_e64 v3, 0, 1, vcc_lo
	s_delay_alu instid0(VALU_DEP_1) | instskip(NEXT) | instid1(VALU_DEP_4)
	v_and_or_b32 v3, 0xffe, v6, v3
	v_med3_i32 v6, v9, 0, 13
	s_delay_alu instid0(VALU_DEP_2) | instskip(NEXT) | instid1(VALU_DEP_1)
	v_or_b32_e32 v9, 0x1000, v3
	v_lshrrev_b32_e32 v10, v6, v9
	s_delay_alu instid0(VALU_DEP_1) | instskip(NEXT) | instid1(VALU_DEP_1)
	v_lshlrev_b32_e32 v6, v6, v10
	v_cmp_ne_u32_e32 vcc_lo, v6, v9
	v_lshl_or_b32 v9, v8, 12, v3
	v_cndmask_b32_e64 v6, 0, 1, vcc_lo
	v_cmp_gt_i32_e32 vcc_lo, 1, v8
	s_delay_alu instid0(VALU_DEP_2) | instskip(NEXT) | instid1(VALU_DEP_1)
	v_or_b32_e32 v6, v10, v6
	v_cndmask_b32_e32 v6, v9, v6, vcc_lo
	s_delay_alu instid0(VALU_DEP_1) | instskip(NEXT) | instid1(VALU_DEP_1)
	v_dual_lshrrev_b32 v6, 2, v6 :: v_dual_bitop2_b32 v9, 7, v6 bitop3:0x40
	v_cmp_lt_i32_e32 vcc_lo, 5, v9
	v_cndmask_b32_e64 v10, 0, 1, vcc_lo
	v_cmp_eq_u32_e32 vcc_lo, 3, v9
	v_cndmask_b32_e64 v9, 0, 1, vcc_lo
	v_cmp_ne_u32_e32 vcc_lo, 0, v3
	s_delay_alu instid0(VALU_DEP_2) | instskip(SKIP_1) | instid1(VALU_DEP_1)
	v_or_b32_e32 v9, v9, v10
	v_mov_b32_e32 v10, 0x7e00
	v_dual_cndmask_b32 v3, 0x7c00, v10 :: v_dual_add_nc_u32 v6, v6, v9
	v_cmp_gt_i32_e32 vcc_lo, 31, v8
	s_delay_alu instid0(VALU_DEP_2) | instskip(SKIP_1) | instid1(VALU_DEP_2)
	v_cndmask_b32_e32 v6, 0x7c00, v6, vcc_lo
	v_cmp_eq_u32_e32 vcc_lo, 0x40f, v8
	v_cndmask_b32_e32 v3, v6, v3, vcc_lo
	v_lshrrev_b32_e32 v6, 16, v7
	s_delay_alu instid0(VALU_DEP_1)
	v_and_or_b32 v6, 0x8000, v6, v3
	s_branch .LBB183_1102
.LBB183_1100:
	s_mov_b32 s27, -1
                                        ; implicit-def: $vgpr6
	s_branch .LBB183_1105
.LBB183_1101:
	s_mov_b32 s27, -1
                                        ; implicit-def: $vgpr6
.LBB183_1102:
	s_delay_alu instid0(SALU_CYCLE_1)
	s_and_not1_b32 vcc_lo, exec_lo, s27
	s_cbranch_vccnz .LBB183_1104
; %bb.1103:
	global_load_b32 v3, v[4:5], off
	s_wait_loadcnt 0x0
	s_wait_xcnt 0x1
	v_cvt_f16_f32_e32 v6, v3
.LBB183_1104:
	s_mov_b32 s27, 0
.LBB183_1105:
	s_delay_alu instid0(SALU_CYCLE_1)
	s_and_not1_b32 vcc_lo, exec_lo, s27
	s_cbranch_vccnz .LBB183_1107
; %bb.1106:
	s_wait_loadcnt 0x0
	global_load_u16 v6, v[4:5], off
.LBB183_1107:
	s_mov_b32 s27, 0
.LBB183_1108:
	s_delay_alu instid0(SALU_CYCLE_1)
	s_and_not1_b32 vcc_lo, exec_lo, s27
	s_cbranch_vccnz .LBB183_1128
; %bb.1109:
	s_cmp_lt_i32 s0, 2
	s_cbranch_scc1 .LBB183_1113
; %bb.1110:
	s_cmp_lt_i32 s0, 3
	s_cbranch_scc1 .LBB183_1114
; %bb.1111:
	s_cmp_gt_i32 s0, 3
	s_cbranch_scc0 .LBB183_1115
; %bb.1112:
	s_wait_loadcnt 0x0
	global_load_b64 v[6:7], v[4:5], off
	s_mov_b32 s27, 0
	s_wait_loadcnt 0x0
	v_xor_b32_e32 v3, v6, v7
	v_cls_i32_e32 v8, v7
	s_delay_alu instid0(VALU_DEP_2) | instskip(NEXT) | instid1(VALU_DEP_1)
	v_ashrrev_i32_e32 v3, 31, v3
	v_add_nc_u32_e32 v3, 32, v3
	s_delay_alu instid0(VALU_DEP_1) | instskip(NEXT) | instid1(VALU_DEP_1)
	v_add_min_u32_e64 v3, v8, -1, v3
	v_lshlrev_b64_e32 v[6:7], v3, v[6:7]
	v_sub_nc_u32_e32 v3, 32, v3
	s_delay_alu instid0(VALU_DEP_2) | instskip(NEXT) | instid1(VALU_DEP_1)
	v_min_u32_e32 v6, 1, v6
	v_or_b32_e32 v6, v7, v6
	s_delay_alu instid0(VALU_DEP_1) | instskip(NEXT) | instid1(VALU_DEP_1)
	v_cvt_f32_i32_e32 v6, v6
	v_ldexp_f32 v3, v6, v3
	s_delay_alu instid0(VALU_DEP_1)
	v_cvt_f16_f32_e32 v6, v3
	s_branch .LBB183_1116
.LBB183_1113:
	s_mov_b32 s27, -1
                                        ; implicit-def: $vgpr6
	s_branch .LBB183_1122
.LBB183_1114:
	s_mov_b32 s27, -1
                                        ; implicit-def: $vgpr6
	s_branch .LBB183_1119
.LBB183_1115:
	s_mov_b32 s27, -1
                                        ; implicit-def: $vgpr6
.LBB183_1116:
	s_delay_alu instid0(SALU_CYCLE_1)
	s_and_not1_b32 vcc_lo, exec_lo, s27
	s_cbranch_vccnz .LBB183_1118
; %bb.1117:
	global_load_b32 v3, v[4:5], off
	s_wait_loadcnt 0x0
	v_cvt_f32_i32_e32 v3, v3
	s_wait_xcnt 0x1
	s_delay_alu instid0(VALU_DEP_1)
	v_cvt_f16_f32_e32 v6, v3
.LBB183_1118:
	s_mov_b32 s27, 0
.LBB183_1119:
	s_delay_alu instid0(SALU_CYCLE_1)
	s_and_not1_b32 vcc_lo, exec_lo, s27
	s_cbranch_vccnz .LBB183_1121
; %bb.1120:
	global_load_u16 v3, v[4:5], off
	s_wait_loadcnt 0x0
	s_wait_xcnt 0x1
	v_cvt_f16_i16_e32 v6, v3
.LBB183_1121:
	s_mov_b32 s27, 0
.LBB183_1122:
	s_delay_alu instid0(SALU_CYCLE_1)
	s_and_not1_b32 vcc_lo, exec_lo, s27
	s_cbranch_vccnz .LBB183_1128
; %bb.1123:
	s_cmp_gt_i32 s0, 0
	s_mov_b32 s0, 0
	s_cbranch_scc0 .LBB183_1125
; %bb.1124:
	global_load_i8 v3, v[4:5], off
	s_wait_loadcnt 0x0
	s_wait_xcnt 0x1
	v_cvt_f16_i16_e32 v6, v3
	s_branch .LBB183_1126
.LBB183_1125:
	s_mov_b32 s0, -1
                                        ; implicit-def: $vgpr6
.LBB183_1126:
	s_delay_alu instid0(SALU_CYCLE_1)
	s_and_not1_b32 vcc_lo, exec_lo, s0
	s_cbranch_vccnz .LBB183_1128
; %bb.1127:
	global_load_u8 v3, v[4:5], off
	s_wait_loadcnt 0x0
	s_wait_xcnt 0x1
	v_cvt_f16_u16_e32 v6, v3
.LBB183_1128:
	s_mov_b32 s27, -1
.LBB183_1129:
	s_delay_alu instid0(SALU_CYCLE_1)
	s_and_not1_b32 vcc_lo, exec_lo, s27
	s_cbranch_vccnz .LBB183_1137
; %bb.1130:
	v_mov_b32_e32 v3, 0
	s_wait_loadcnt 0x0
	v_mul_f16_e32 v1, s33, v1
	s_and_b32 s27, s34, 0xff
	s_delay_alu instid0(SALU_CYCLE_1) | instskip(SKIP_1) | instid1(VALU_DEP_2)
	s_cmp_lt_i32 s27, 11
	v_add_nc_u64_e32 v[2:3], s[16:17], v[2:3]
	v_mul_f16_e32 v1, v1, v6
	s_cbranch_scc1 .LBB183_1138
; %bb.1131:
	s_and_b32 s53, 0xffff, s27
	s_delay_alu instid0(SALU_CYCLE_1)
	s_cmp_gt_i32 s53, 25
	s_cbranch_scc0 .LBB183_1139
; %bb.1132:
	s_cmp_gt_i32 s53, 28
	s_cbranch_scc0 .LBB183_1140
; %bb.1133:
	;; [unrolled: 3-line block ×4, first 2 shown]
	s_mov_b32 s55, 0
	s_mov_b32 s0, -1
	s_cmp_eq_u32 s53, 46
	s_mov_b32 s54, 0
	s_cbranch_scc0 .LBB183_1143
; %bb.1136:
	s_wait_xcnt 0x0
	v_cvt_f32_f16_e32 v4, v1
	v_cmp_o_f16_e32 vcc_lo, v1, v1
	s_mov_b32 s54, -1
	s_mov_b32 s0, 0
	s_delay_alu instid0(VALU_DEP_2) | instskip(NEXT) | instid1(VALU_DEP_1)
	v_bfe_u32 v5, v4, 16, 1
	v_add3_u32 v4, v4, v5, 0x7fff
	s_delay_alu instid0(VALU_DEP_1) | instskip(NEXT) | instid1(VALU_DEP_1)
	v_lshrrev_b32_e32 v4, 16, v4
	v_cndmask_b32_e32 v4, 0x7fc0, v4, vcc_lo
	global_store_b32 v[2:3], v4, off
	s_branch .LBB183_1143
.LBB183_1137:
	s_mov_b32 s27, 0
	s_mov_b32 s0, s48
	s_branch .LBB183_874
.LBB183_1138:
	s_mov_b32 s53, -1
	s_mov_b32 s54, 0
	s_mov_b32 s0, s48
	s_branch .LBB183_1212
.LBB183_1139:
	s_mov_b32 s55, -1
	s_mov_b32 s54, 0
	s_mov_b32 s0, s48
	s_branch .LBB183_1170
.LBB183_1140:
	s_mov_b32 s55, -1
	s_mov_b32 s54, 0
	s_mov_b32 s0, s48
	s_branch .LBB183_1153
.LBB183_1141:
	s_mov_b32 s55, -1
	s_mov_b32 s54, 0
	s_mov_b32 s0, s48
	s_branch .LBB183_1149
.LBB183_1142:
	s_mov_b32 s55, -1
	s_mov_b32 s54, 0
	s_mov_b32 s0, s48
.LBB183_1143:
	s_and_b32 vcc_lo, exec_lo, s55
	s_cbranch_vccz .LBB183_1148
; %bb.1144:
	s_cmp_eq_u32 s53, 44
	s_mov_b32 s0, -1
	s_cbranch_scc0 .LBB183_1148
; %bb.1145:
	s_wait_xcnt 0x0
	v_cvt_f32_f16_e32 v4, v1
	v_mov_b32_e32 v5, 0xff
	s_mov_b32 s54, exec_lo
	s_delay_alu instid0(VALU_DEP_2) | instskip(NEXT) | instid1(VALU_DEP_1)
	v_bfe_u32 v6, v4, 23, 8
	v_cmpx_ne_u32_e32 0xff, v6
	s_cbranch_execz .LBB183_1147
; %bb.1146:
	v_and_b32_e32 v5, 0x400000, v4
	v_and_or_b32 v6, 0x3fffff, v4, v6
	v_lshrrev_b32_e32 v4, 23, v4
	s_delay_alu instid0(VALU_DEP_3) | instskip(NEXT) | instid1(VALU_DEP_3)
	v_cmp_ne_u32_e32 vcc_lo, 0, v5
	v_cmp_ne_u32_e64 s0, 0, v6
	s_and_b32 s0, vcc_lo, s0
	s_delay_alu instid0(SALU_CYCLE_1) | instskip(NEXT) | instid1(VALU_DEP_1)
	v_cndmask_b32_e64 v5, 0, 1, s0
	v_add_nc_u32_e32 v5, v4, v5
.LBB183_1147:
	s_or_b32 exec_lo, exec_lo, s54
	s_mov_b32 s54, -1
	s_mov_b32 s0, 0
	global_store_b8 v[2:3], v5, off
.LBB183_1148:
	s_mov_b32 s55, 0
.LBB183_1149:
	s_delay_alu instid0(SALU_CYCLE_1)
	s_and_b32 vcc_lo, exec_lo, s55
	s_cbranch_vccz .LBB183_1152
; %bb.1150:
	s_cmp_eq_u32 s53, 29
	s_mov_b32 s0, -1
	s_cbranch_scc0 .LBB183_1152
; %bb.1151:
	s_wait_xcnt 0x0
	v_cvt_f32_f16_e32 v4, v1
	v_mov_b32_e32 v5, 0
	s_mov_b32 s54, -1
	s_mov_b32 s0, 0
	s_mov_b32 s55, 0
	v_cvt_u32_f32_e32 v4, v4
	global_store_b64 v[2:3], v[4:5], off
	s_branch .LBB183_1153
.LBB183_1152:
	s_mov_b32 s55, 0
.LBB183_1153:
	s_delay_alu instid0(SALU_CYCLE_1)
	s_and_b32 vcc_lo, exec_lo, s55
	s_cbranch_vccz .LBB183_1169
; %bb.1154:
	s_cmp_lt_i32 s53, 27
	s_mov_b32 s54, -1
	s_cbranch_scc1 .LBB183_1160
; %bb.1155:
	s_cmp_gt_i32 s53, 27
	s_cbranch_scc0 .LBB183_1157
; %bb.1156:
	s_wait_xcnt 0x0
	v_cvt_f32_f16_e32 v4, v1
	s_mov_b32 s54, 0
	s_delay_alu instid0(VALU_DEP_1)
	v_cvt_u32_f32_e32 v4, v4
	global_store_b32 v[2:3], v4, off
.LBB183_1157:
	s_and_not1_b32 vcc_lo, exec_lo, s54
	s_cbranch_vccnz .LBB183_1159
; %bb.1158:
	s_wait_xcnt 0x0
	v_cvt_u16_f16_e32 v4, v1
	global_store_b16 v[2:3], v4, off
.LBB183_1159:
	s_mov_b32 s54, 0
.LBB183_1160:
	s_delay_alu instid0(SALU_CYCLE_1)
	s_and_not1_b32 vcc_lo, exec_lo, s54
	s_cbranch_vccnz .LBB183_1168
; %bb.1161:
	s_wait_xcnt 0x0
	v_cvt_f32_f16_e32 v4, v1
	v_mov_b32_e32 v6, 0x80
	s_mov_b32 s54, exec_lo
	s_delay_alu instid0(VALU_DEP_2) | instskip(NEXT) | instid1(VALU_DEP_1)
	v_and_b32_e32 v5, 0x7fffffff, v4
	v_cmpx_gt_u32_e32 0x43800000, v5
	s_cbranch_execz .LBB183_1167
; %bb.1162:
	v_cmp_lt_u32_e32 vcc_lo, 0x3bffffff, v5
	s_mov_b32 s55, 0
                                        ; implicit-def: $vgpr5
	s_and_saveexec_b32 s56, vcc_lo
	s_delay_alu instid0(SALU_CYCLE_1)
	s_xor_b32 s56, exec_lo, s56
	s_cbranch_execz .LBB183_2159
; %bb.1163:
	v_bfe_u32 v5, v4, 20, 1
	s_mov_b32 s55, exec_lo
	s_delay_alu instid0(VALU_DEP_1) | instskip(NEXT) | instid1(VALU_DEP_1)
	v_add3_u32 v5, v4, v5, 0x487ffff
	v_lshrrev_b32_e32 v5, 20, v5
	s_and_not1_saveexec_b32 s56, s56
	s_cbranch_execnz .LBB183_2160
.LBB183_1164:
	s_or_b32 exec_lo, exec_lo, s56
	v_mov_b32_e32 v6, 0
	s_and_saveexec_b32 s56, s55
.LBB183_1165:
	v_lshrrev_b32_e32 v4, 24, v4
	s_delay_alu instid0(VALU_DEP_1)
	v_and_or_b32 v6, 0x80, v4, v5
.LBB183_1166:
	s_or_b32 exec_lo, exec_lo, s56
.LBB183_1167:
	s_delay_alu instid0(SALU_CYCLE_1)
	s_or_b32 exec_lo, exec_lo, s54
	global_store_b8 v[2:3], v6, off
.LBB183_1168:
	s_mov_b32 s54, -1
.LBB183_1169:
	s_mov_b32 s55, 0
.LBB183_1170:
	s_delay_alu instid0(SALU_CYCLE_1)
	s_and_b32 vcc_lo, exec_lo, s55
	s_cbranch_vccz .LBB183_1211
; %bb.1171:
	s_cmp_gt_i32 s53, 22
	s_mov_b32 s55, -1
	s_cbranch_scc0 .LBB183_1203
; %bb.1172:
	s_cmp_lt_i32 s53, 24
	s_mov_b32 s54, -1
	s_cbranch_scc1 .LBB183_1192
; %bb.1173:
	s_cmp_gt_i32 s53, 24
	s_cbranch_scc0 .LBB183_1181
; %bb.1174:
	s_wait_xcnt 0x0
	v_cvt_f32_f16_e32 v4, v1
	v_mov_b32_e32 v6, 0x80
	s_mov_b32 s54, exec_lo
	s_delay_alu instid0(VALU_DEP_2) | instskip(NEXT) | instid1(VALU_DEP_1)
	v_and_b32_e32 v5, 0x7fffffff, v4
	v_cmpx_gt_u32_e32 0x47800000, v5
	s_cbranch_execz .LBB183_1180
; %bb.1175:
	v_cmp_lt_u32_e32 vcc_lo, 0x37ffffff, v5
	s_mov_b32 s55, 0
                                        ; implicit-def: $vgpr5
	s_and_saveexec_b32 s56, vcc_lo
	s_delay_alu instid0(SALU_CYCLE_1)
	s_xor_b32 s56, exec_lo, s56
	s_cbranch_execz .LBB183_2312
; %bb.1176:
	v_bfe_u32 v5, v4, 21, 1
	s_mov_b32 s55, exec_lo
	s_delay_alu instid0(VALU_DEP_1) | instskip(NEXT) | instid1(VALU_DEP_1)
	v_add3_u32 v5, v4, v5, 0x88fffff
	v_lshrrev_b32_e32 v5, 21, v5
	s_and_not1_saveexec_b32 s56, s56
	s_cbranch_execnz .LBB183_2313
.LBB183_1177:
	s_or_b32 exec_lo, exec_lo, s56
	v_mov_b32_e32 v6, 0
	s_and_saveexec_b32 s56, s55
.LBB183_1178:
	v_lshrrev_b32_e32 v4, 24, v4
	s_delay_alu instid0(VALU_DEP_1)
	v_and_or_b32 v6, 0x80, v4, v5
.LBB183_1179:
	s_or_b32 exec_lo, exec_lo, s56
.LBB183_1180:
	s_delay_alu instid0(SALU_CYCLE_1)
	s_or_b32 exec_lo, exec_lo, s54
	s_mov_b32 s54, 0
	global_store_b8 v[2:3], v6, off
.LBB183_1181:
	s_and_b32 vcc_lo, exec_lo, s54
	s_cbranch_vccz .LBB183_1191
; %bb.1182:
	s_wait_xcnt 0x0
	v_cvt_f32_f16_e32 v4, v1
	s_mov_b32 s54, exec_lo
                                        ; implicit-def: $vgpr5
	s_delay_alu instid0(VALU_DEP_1) | instskip(NEXT) | instid1(VALU_DEP_1)
	v_and_b32_e32 v6, 0x7fffffff, v4
	v_cmpx_gt_u32_e32 0x43f00000, v6
	s_xor_b32 s54, exec_lo, s54
	s_cbranch_execz .LBB183_1188
; %bb.1183:
	s_mov_b32 s55, exec_lo
                                        ; implicit-def: $vgpr5
	v_cmpx_lt_u32_e32 0x3c7fffff, v6
	s_xor_b32 s55, exec_lo, s55
; %bb.1184:
	v_bfe_u32 v5, v4, 20, 1
	s_delay_alu instid0(VALU_DEP_1) | instskip(NEXT) | instid1(VALU_DEP_1)
	v_add3_u32 v5, v4, v5, 0x407ffff
	v_and_b32_e32 v6, 0xff00000, v5
	v_lshrrev_b32_e32 v5, 20, v5
	s_delay_alu instid0(VALU_DEP_2) | instskip(NEXT) | instid1(VALU_DEP_2)
	v_cmp_ne_u32_e32 vcc_lo, 0x7f00000, v6
	v_cndmask_b32_e32 v5, 0x7e, v5, vcc_lo
; %bb.1185:
	s_and_not1_saveexec_b32 s55, s55
; %bb.1186:
	v_add_f32_e64 v5, 0x46800000, |v4|
; %bb.1187:
	s_or_b32 exec_lo, exec_lo, s55
                                        ; implicit-def: $vgpr6
.LBB183_1188:
	s_and_not1_saveexec_b32 s54, s54
; %bb.1189:
	v_mov_b32_e32 v5, 0x7f
	v_cmp_lt_u32_e32 vcc_lo, 0x7f800000, v6
	s_delay_alu instid0(VALU_DEP_2)
	v_cndmask_b32_e32 v5, 0x7e, v5, vcc_lo
; %bb.1190:
	s_or_b32 exec_lo, exec_lo, s54
	v_lshrrev_b32_e32 v4, 24, v4
	s_delay_alu instid0(VALU_DEP_1)
	v_and_or_b32 v4, 0x80, v4, v5
	global_store_b8 v[2:3], v4, off
.LBB183_1191:
	s_mov_b32 s54, 0
.LBB183_1192:
	s_delay_alu instid0(SALU_CYCLE_1)
	s_and_not1_b32 vcc_lo, exec_lo, s54
	s_cbranch_vccnz .LBB183_1202
; %bb.1193:
	s_wait_xcnt 0x0
	v_cvt_f32_f16_e32 v4, v1
	s_mov_b32 s54, exec_lo
                                        ; implicit-def: $vgpr5
	s_delay_alu instid0(VALU_DEP_1) | instskip(NEXT) | instid1(VALU_DEP_1)
	v_and_b32_e32 v6, 0x7fffffff, v4
	v_cmpx_gt_u32_e32 0x47800000, v6
	s_xor_b32 s54, exec_lo, s54
	s_cbranch_execz .LBB183_1199
; %bb.1194:
	s_mov_b32 s55, exec_lo
                                        ; implicit-def: $vgpr5
	v_cmpx_lt_u32_e32 0x387fffff, v6
	s_xor_b32 s55, exec_lo, s55
; %bb.1195:
	v_bfe_u32 v5, v4, 21, 1
	s_delay_alu instid0(VALU_DEP_1) | instskip(NEXT) | instid1(VALU_DEP_1)
	v_add3_u32 v5, v4, v5, 0x80fffff
	v_lshrrev_b32_e32 v5, 21, v5
; %bb.1196:
	s_and_not1_saveexec_b32 s55, s55
; %bb.1197:
	v_add_f32_e64 v5, 0x43000000, |v4|
; %bb.1198:
	s_or_b32 exec_lo, exec_lo, s55
                                        ; implicit-def: $vgpr6
.LBB183_1199:
	s_and_not1_saveexec_b32 s54, s54
; %bb.1200:
	v_mov_b32_e32 v5, 0x7f
	v_cmp_lt_u32_e32 vcc_lo, 0x7f800000, v6
	s_delay_alu instid0(VALU_DEP_2)
	v_cndmask_b32_e32 v5, 0x7c, v5, vcc_lo
; %bb.1201:
	s_or_b32 exec_lo, exec_lo, s54
	v_lshrrev_b32_e32 v4, 24, v4
	s_delay_alu instid0(VALU_DEP_1)
	v_and_or_b32 v4, 0x80, v4, v5
	global_store_b8 v[2:3], v4, off
.LBB183_1202:
	s_mov_b32 s55, 0
	s_mov_b32 s54, -1
.LBB183_1203:
	s_and_not1_b32 vcc_lo, exec_lo, s55
	s_cbranch_vccnz .LBB183_1211
; %bb.1204:
	s_cmp_gt_i32 s53, 14
	s_mov_b32 s55, -1
	s_cbranch_scc0 .LBB183_1208
; %bb.1205:
	s_cmp_eq_u32 s53, 15
	s_mov_b32 s0, -1
	s_cbranch_scc0 .LBB183_1207
; %bb.1206:
	s_wait_xcnt 0x0
	v_cvt_f32_f16_e32 v4, v1
	v_cmp_o_f16_e32 vcc_lo, v1, v1
	s_mov_b32 s54, -1
	s_mov_b32 s0, 0
	s_delay_alu instid0(VALU_DEP_2) | instskip(NEXT) | instid1(VALU_DEP_1)
	v_bfe_u32 v5, v4, 16, 1
	v_add3_u32 v4, v4, v5, 0x7fff
	s_delay_alu instid0(VALU_DEP_1) | instskip(NEXT) | instid1(VALU_DEP_1)
	v_lshrrev_b32_e32 v4, 16, v4
	v_cndmask_b32_e32 v4, 0x7fc0, v4, vcc_lo
	global_store_b16 v[2:3], v4, off
.LBB183_1207:
	s_mov_b32 s55, 0
.LBB183_1208:
	s_delay_alu instid0(SALU_CYCLE_1)
	s_and_b32 vcc_lo, exec_lo, s55
	s_cbranch_vccz .LBB183_1211
; %bb.1209:
	s_cmp_eq_u32 s53, 11
	s_mov_b32 s0, -1
	s_cbranch_scc0 .LBB183_1211
; %bb.1210:
	v_cmp_neq_f16_e32 vcc_lo, 0, v1
	s_mov_b32 s0, 0
	s_mov_b32 s54, -1
	s_wait_xcnt 0x0
	v_cndmask_b32_e64 v4, 0, 1, vcc_lo
	global_store_b8 v[2:3], v4, off
.LBB183_1211:
	s_mov_b32 s53, 0
.LBB183_1212:
	s_delay_alu instid0(SALU_CYCLE_1)
	s_and_b32 vcc_lo, exec_lo, s53
	s_cbranch_vccz .LBB183_1251
; %bb.1213:
	s_and_b32 s27, 0xffff, s27
	s_mov_b32 s53, -1
	s_cmp_lt_i32 s27, 5
	s_cbranch_scc1 .LBB183_1234
; %bb.1214:
	s_cmp_lt_i32 s27, 8
	s_cbranch_scc1 .LBB183_1224
; %bb.1215:
	;; [unrolled: 3-line block ×3, first 2 shown]
	s_cmp_gt_i32 s27, 9
	s_cbranch_scc0 .LBB183_1218
; %bb.1217:
	s_wait_xcnt 0x0
	v_cvt_f32_f16_e32 v4, v1
	v_mov_b32_e32 v6, 0
	s_mov_b32 s53, 0
	s_delay_alu instid0(VALU_DEP_2) | instskip(NEXT) | instid1(VALU_DEP_2)
	v_cvt_f64_f32_e32 v[4:5], v4
	v_mov_b32_e32 v7, v6
	global_store_b128 v[2:3], v[4:7], off
.LBB183_1218:
	s_and_not1_b32 vcc_lo, exec_lo, s53
	s_cbranch_vccnz .LBB183_1220
; %bb.1219:
	s_wait_xcnt 0x0
	v_cvt_f32_f16_e32 v4, v1
	v_mov_b32_e32 v5, 0
	global_store_b64 v[2:3], v[4:5], off
.LBB183_1220:
	s_mov_b32 s53, 0
.LBB183_1221:
	s_delay_alu instid0(SALU_CYCLE_1)
	s_and_not1_b32 vcc_lo, exec_lo, s53
	s_cbranch_vccnz .LBB183_1223
; %bb.1222:
	s_wait_xcnt 0x0
	v_and_b32_e32 v4, 0xffff, v1
	global_store_b32 v[2:3], v4, off
.LBB183_1223:
	s_mov_b32 s53, 0
.LBB183_1224:
	s_delay_alu instid0(SALU_CYCLE_1)
	s_and_not1_b32 vcc_lo, exec_lo, s53
	s_cbranch_vccnz .LBB183_1233
; %bb.1225:
	s_cmp_lt_i32 s27, 6
	s_mov_b32 s53, -1
	s_cbranch_scc1 .LBB183_1231
; %bb.1226:
	s_cmp_gt_i32 s27, 6
	s_cbranch_scc0 .LBB183_1228
; %bb.1227:
	s_wait_xcnt 0x0
	v_cvt_f32_f16_e32 v4, v1
	s_mov_b32 s53, 0
	s_delay_alu instid0(VALU_DEP_1)
	v_cvt_f64_f32_e32 v[4:5], v4
	global_store_b64 v[2:3], v[4:5], off
.LBB183_1228:
	s_and_not1_b32 vcc_lo, exec_lo, s53
	s_cbranch_vccnz .LBB183_1230
; %bb.1229:
	s_wait_xcnt 0x0
	v_cvt_f32_f16_e32 v4, v1
	global_store_b32 v[2:3], v4, off
.LBB183_1230:
	s_mov_b32 s53, 0
.LBB183_1231:
	s_delay_alu instid0(SALU_CYCLE_1)
	s_and_not1_b32 vcc_lo, exec_lo, s53
	s_cbranch_vccnz .LBB183_1233
; %bb.1232:
	global_store_b16 v[2:3], v1, off
.LBB183_1233:
	s_mov_b32 s53, 0
.LBB183_1234:
	s_delay_alu instid0(SALU_CYCLE_1)
	s_and_not1_b32 vcc_lo, exec_lo, s53
	s_cbranch_vccnz .LBB183_1250
; %bb.1235:
	s_cmp_lt_i32 s27, 2
	s_mov_b32 s53, -1
	s_cbranch_scc1 .LBB183_1245
; %bb.1236:
	s_cmp_lt_i32 s27, 3
	s_cbranch_scc1 .LBB183_1242
; %bb.1237:
	s_cmp_gt_i32 s27, 3
	s_cbranch_scc0 .LBB183_1239
; %bb.1238:
	s_wait_xcnt 0x0
	v_cvt_f32_f16_e32 v4, v1
	s_mov_b32 s53, 0
	s_delay_alu instid0(VALU_DEP_1) | instskip(NEXT) | instid1(VALU_DEP_1)
	v_cvt_i32_f32_e32 v4, v4
	v_ashrrev_i32_e32 v5, 31, v4
	global_store_b64 v[2:3], v[4:5], off
.LBB183_1239:
	s_and_not1_b32 vcc_lo, exec_lo, s53
	s_cbranch_vccnz .LBB183_1241
; %bb.1240:
	s_wait_xcnt 0x0
	v_cvt_f32_f16_e32 v4, v1
	s_delay_alu instid0(VALU_DEP_1)
	v_cvt_i32_f32_e32 v4, v4
	global_store_b32 v[2:3], v4, off
.LBB183_1241:
	s_mov_b32 s53, 0
.LBB183_1242:
	s_delay_alu instid0(SALU_CYCLE_1)
	s_and_not1_b32 vcc_lo, exec_lo, s53
	s_cbranch_vccnz .LBB183_1244
; %bb.1243:
	s_wait_xcnt 0x0
	v_cvt_i16_f16_e32 v4, v1
	global_store_b16 v[2:3], v4, off
.LBB183_1244:
	s_mov_b32 s53, 0
.LBB183_1245:
	s_delay_alu instid0(SALU_CYCLE_1)
	s_and_not1_b32 vcc_lo, exec_lo, s53
	s_cbranch_vccnz .LBB183_1250
; %bb.1246:
	s_cmp_gt_i32 s27, 0
	s_mov_b32 s27, -1
	s_cbranch_scc0 .LBB183_1248
; %bb.1247:
	s_wait_xcnt 0x0
	v_cvt_i16_f16_e32 v4, v1
	s_mov_b32 s27, 0
	global_store_b8 v[2:3], v4, off
.LBB183_1248:
	s_and_not1_b32 vcc_lo, exec_lo, s27
	s_cbranch_vccnz .LBB183_1250
; %bb.1249:
	s_wait_xcnt 0x0
	v_cvt_f32_f16_e32 v1, v1
	s_delay_alu instid0(VALU_DEP_1)
	v_cvt_i32_f32_e32 v1, v1
	global_store_b8 v[2:3], v1, off
.LBB183_1250:
	s_mov_b32 s54, -1
.LBB183_1251:
	s_delay_alu instid0(SALU_CYCLE_1)
	s_and_not1_b32 vcc_lo, exec_lo, s54
	s_cbranch_vccnz .LBB183_1274
; %bb.1252:
	v_add_nc_u32_e32 v0, 0x80, v0
	s_mov_b32 s27, -1
.LBB183_1253:
	s_and_not1_b32 s53, s48, exec_lo
	s_and_b32 s0, s0, exec_lo
	s_and_not1_b32 s54, s49, exec_lo
	s_and_b32 s26, s26, exec_lo
	s_or_b32 s55, s53, s0
	s_or_b32 s53, s54, s26
	s_and_not1_b32 s0, s50, exec_lo
	s_and_b32 s24, s24, exec_lo
	s_and_not1_b32 s26, s47, exec_lo
	s_and_b32 s25, s25, exec_lo
	s_or_b32 s54, s0, s24
	s_or_b32 s0, s26, s25
	s_or_not1_b32 s25, s27, exec_lo
.LBB183_1254:
	s_wait_xcnt 0x0
	s_or_b32 exec_lo, exec_lo, s52
	s_mov_b32 s24, 0
                                        ; implicit-def: $vgpr4
                                        ; implicit-def: $vgpr6
                                        ; implicit-def: $vgpr2
	s_and_saveexec_b32 s52, s25
	s_cbranch_execz .LBB183_1289
; %bb.1255:
	v_cmp_gt_i32_e32 vcc_lo, s40, v0
	s_mov_b32 s25, s0
                                        ; implicit-def: $vgpr4
                                        ; implicit-def: $vgpr6
                                        ; implicit-def: $vgpr2
	s_and_saveexec_b32 s40, vcc_lo
	s_cbranch_execz .LBB183_1288
; %bb.1256:
	s_and_not1_b32 vcc_lo, exec_lo, s30
	s_cbranch_vccnz .LBB183_1262
; %bb.1257:
	s_and_not1_b32 vcc_lo, exec_lo, s41
	s_cbranch_vccnz .LBB183_1263
; %bb.1258:
	s_wait_loadcnt 0x0
	v_dual_mov_b32 v2, 0 :: v_dual_mov_b32 v1, v0
	v_dual_mov_b32 v6, 0 :: v_dual_mov_b32 v4, 0
	s_add_co_i32 s26, s39, 1
	s_mov_b64 s[24:25], 0xffffffffffffffe0
	s_and_b32 s41, s26, 30
	s_add_nc_u64 s[24:25], s[2:3], s[24:25]
	s_mov_b64 s[26:27], s[2:3]
.LBB183_1259:                           ; =>This Inner Loop Header: Depth=1
	s_clause 0x1
	s_load_b128 s[56:59], s[26:27], 0x4
	s_load_b64 s[60:61], s[26:27], 0x14
	s_load_b32 s62, s[24:25], 0xe4
	s_add_co_i32 s41, s41, -2
	s_wait_xcnt 0x0
	s_add_nc_u64 s[26:27], s[26:27], 24
	s_cmp_eq_u32 s41, 0
	s_wait_kmcnt 0x0
	v_mul_hi_u32 v3, s57, v1
	s_delay_alu instid0(VALU_DEP_1) | instskip(NEXT) | instid1(VALU_DEP_1)
	v_add_nc_u32_e32 v3, v1, v3
	v_lshrrev_b32_e32 v3, s58, v3
	s_delay_alu instid0(VALU_DEP_1) | instskip(SKIP_2) | instid1(VALU_DEP_1)
	v_mul_hi_u32 v5, s60, v3
	v_mul_lo_u32 v7, v3, s56
	s_load_b96 s[56:58], s[24:25], 0xec
	v_dual_add_nc_u32 v5, v3, v5 :: v_dual_sub_nc_u32 v7, v1, v7
	s_delay_alu instid0(VALU_DEP_1) | instskip(SKIP_1) | instid1(VALU_DEP_2)
	v_lshrrev_b32_e32 v1, s61, v5
	s_load_b64 s[60:61], s[24:25], 0xfc
	v_mad_u32 v2, v7, s62, v2
	s_wait_xcnt 0x0
	s_add_nc_u64 s[24:25], s[24:25], 32
	v_mul_lo_u32 v5, v1, s59
	s_wait_kmcnt 0x0
	v_mad_u32 v4, v7, s57, v4
	v_mad_u32 v6, v7, s56, v6
	s_delay_alu instid0(VALU_DEP_3) | instskip(NEXT) | instid1(VALU_DEP_1)
	v_sub_nc_u32_e32 v3, v3, v5
	v_mad_u32 v2, v3, s58, v2
	s_delay_alu instid0(VALU_DEP_4) | instskip(NEXT) | instid1(VALU_DEP_4)
	v_mad_u32 v4, v3, s61, v4
	v_mad_u32 v6, v3, s60, v6
	s_cbranch_scc0 .LBB183_1259
; %bb.1260:
	s_bitcmp1_b32 s39, 0
	s_cselect_b32 s39, -1, 0
	s_delay_alu instid0(SALU_CYCLE_1)
	s_and_b32 vcc_lo, exec_lo, s39
	s_cbranch_vccnz .LBB183_1264
; %bb.1261:
	s_load_b96 s[56:58], s[26:27], 0x4
	s_load_b32 s39, s[24:25], 0xe4
	s_wait_xcnt 0x0
	s_load_b64 s[26:27], s[24:25], 0xec
	s_wait_kmcnt 0x0
	v_mul_hi_u32 v3, s57, v1
	s_delay_alu instid0(VALU_DEP_1) | instskip(NEXT) | instid1(VALU_DEP_1)
	v_add_nc_u32_e32 v3, v1, v3
	v_lshrrev_b32_e32 v3, s58, v3
	s_delay_alu instid0(VALU_DEP_1) | instskip(NEXT) | instid1(VALU_DEP_1)
	v_mul_lo_u32 v3, v3, s56
	v_sub_nc_u32_e32 v1, v1, v3
	s_delay_alu instid0(VALU_DEP_1)
	v_mad_u32 v2, v1, s39, v2
	v_mad_u32 v6, v1, s26, v6
	;; [unrolled: 1-line block ×3, first 2 shown]
	s_branch .LBB183_1264
.LBB183_1262:
	s_mov_b32 s24, -1
                                        ; implicit-def: $vgpr4
                                        ; implicit-def: $vgpr6
                                        ; implicit-def: $vgpr2
	s_branch .LBB183_1265
.LBB183_1263:
	s_wait_loadcnt 0x0
	v_dual_mov_b32 v4, 0 :: v_dual_mov_b32 v6, 0
	v_mov_b32_e32 v2, 0
.LBB183_1264:
	s_mov_b32 s24, 0
.LBB183_1265:
	s_delay_alu instid0(SALU_CYCLE_1)
	s_and_not1_b32 vcc_lo, exec_lo, s24
	s_cbranch_vccnz .LBB183_1268
; %bb.1266:
	s_wait_loadcnt 0x0
	v_mov_b32_e32 v1, 0
	s_and_not1_b32 vcc_lo, exec_lo, s38
	s_delay_alu instid0(VALU_DEP_1) | instskip(NEXT) | instid1(VALU_DEP_1)
	v_mul_u64_e32 v[2:3], s[18:19], v[0:1]
	v_add_nc_u32_e32 v2, v0, v3
	s_delay_alu instid0(VALU_DEP_1) | instskip(NEXT) | instid1(VALU_DEP_1)
	v_lshrrev_b32_e32 v8, s10, v2
	v_mul_lo_u32 v2, v8, s8
	s_delay_alu instid0(VALU_DEP_1) | instskip(NEXT) | instid1(VALU_DEP_1)
	v_sub_nc_u32_e32 v0, v0, v2
	v_mul_lo_u32 v2, v0, s37
	v_mul_lo_u32 v4, v0, s13
	;; [unrolled: 1-line block ×3, first 2 shown]
	s_cbranch_vccnz .LBB183_1268
; %bb.1267:
	v_mov_b32_e32 v9, v1
	s_delay_alu instid0(VALU_DEP_1) | instskip(NEXT) | instid1(VALU_DEP_1)
	v_mul_u64_e32 v[0:1], s[22:23], v[8:9]
	v_add_nc_u32_e32 v0, v8, v1
	s_delay_alu instid0(VALU_DEP_1) | instskip(NEXT) | instid1(VALU_DEP_1)
	v_lshrrev_b32_e32 v0, s1, v0
	v_mul_lo_u32 v0, v0, s11
	s_delay_alu instid0(VALU_DEP_1) | instskip(NEXT) | instid1(VALU_DEP_1)
	v_sub_nc_u32_e32 v0, v8, v0
	v_mad_u32 v2, v0, s14, v2
	v_mad_u32 v6, v0, s20, v6
	;; [unrolled: 1-line block ×3, first 2 shown]
.LBB183_1268:
	s_and_b32 s10, s36, 0xff
	s_delay_alu instid0(SALU_CYCLE_1)
	s_cmp_lt_i32 s10, 23
	s_cbranch_scc1 .LBB183_1272
; %bb.1269:
	s_and_b32 s11, 0xffff, s10
	s_delay_alu instid0(SALU_CYCLE_1)
	s_cmp_gt_i32 s11, 43
	s_cbranch_scc0 .LBB183_1273
; %bb.1270:
	s_cmp_gt_i32 s11, 45
	s_cbranch_scc0 .LBB183_1275
; %bb.1271:
	s_cmp_lg_u32 s11, 46
	s_mov_b32 s12, 0
	s_cselect_b32 s1, -1, 0
	s_and_not1_b32 s8, s0, exec_lo
	s_and_b32 s13, s1, exec_lo
	s_mov_b32 s1, -1
	s_or_b32 s8, s8, s13
	s_branch .LBB183_1276
.LBB183_1272:
	s_mov_b32 s11, -1
	s_mov_b32 s1, 0
	s_mov_b32 s8, s0
	s_branch .LBB183_1282
.LBB183_1273:
	s_mov_b32 s12, -1
	s_mov_b32 s1, 0
	s_mov_b32 s8, s0
	s_branch .LBB183_1279
.LBB183_1274:
	s_mov_b32 s27, 0
	s_branch .LBB183_874
.LBB183_1275:
	s_mov_b32 s12, -1
	s_mov_b32 s1, 0
	s_mov_b32 s8, s0
.LBB183_1276:
	s_and_not1_b32 vcc_lo, exec_lo, s12
	s_cbranch_vccnz .LBB183_1278
; %bb.1277:
	s_cmp_eq_u32 s11, 44
	s_cselect_b32 s1, -1, 0
	s_cmp_lg_u32 s11, 44
	s_cselect_b32 s12, -1, 0
	s_and_not1_b32 s8, s8, exec_lo
	s_and_b32 s12, s12, exec_lo
	s_delay_alu instid0(SALU_CYCLE_1)
	s_or_b32 s8, s8, s12
.LBB183_1278:
	s_mov_b32 s12, 0
.LBB183_1279:
	s_delay_alu instid0(SALU_CYCLE_1)
	s_and_b32 vcc_lo, exec_lo, s12
	s_cbranch_vccz .LBB183_1281
; %bb.1280:
	s_cmp_lt_i32 s11, 30
	s_cselect_b32 s1, -1, 0
	s_cmp_gt_i32 s11, 29
	s_cselect_b32 s11, -1, 0
	s_and_not1_b32 s8, s8, exec_lo
	s_and_b32 s11, s11, exec_lo
	s_delay_alu instid0(SALU_CYCLE_1)
	s_or_b32 s8, s8, s11
.LBB183_1281:
	s_mov_b32 s11, 0
.LBB183_1282:
	s_delay_alu instid0(SALU_CYCLE_1)
	s_and_b32 vcc_lo, exec_lo, s11
	s_cbranch_vccz .LBB183_1287
; %bb.1283:
	s_and_b32 s10, 0xffff, s10
	s_mov_b32 s11, -1
	s_cmp_gt_i32 s10, 14
	s_cbranch_scc0 .LBB183_1285
; %bb.1284:
	s_cmp_eq_u32 s10, 15
	s_cselect_b32 s1, -1, 0
	s_cmp_lg_u32 s10, 15
	s_cselect_b32 s11, -1, 0
	s_and_not1_b32 s8, s8, exec_lo
	s_and_b32 s12, s11, exec_lo
	s_mov_b32 s11, 0
	s_or_b32 s8, s8, s12
.LBB183_1285:
	s_and_not1_b32 vcc_lo, exec_lo, s11
	s_cbranch_vccnz .LBB183_1287
; %bb.1286:
	s_cmp_lt_i32 s10, 12
	s_cselect_b32 s1, -1, 0
	s_cmp_gt_i32 s10, 11
	s_cselect_b32 s10, -1, 0
	s_and_not1_b32 s8, s8, exec_lo
	s_and_b32 s10, s10, exec_lo
	s_delay_alu instid0(SALU_CYCLE_1)
	s_or_b32 s8, s8, s10
.LBB183_1287:
	s_and_not1_b32 s10, s0, exec_lo
	s_and_b32 s8, s8, exec_lo
	s_and_b32 s24, s1, exec_lo
	s_or_b32 s25, s10, s8
.LBB183_1288:
	s_or_b32 exec_lo, exec_lo, s40
	s_delay_alu instid0(SALU_CYCLE_1)
	s_and_not1_b32 s0, s0, exec_lo
	s_and_b32 s1, s25, exec_lo
	s_and_b32 s24, s24, exec_lo
	s_or_b32 s0, s0, s1
.LBB183_1289:
	s_or_b32 exec_lo, exec_lo, s52
	s_delay_alu instid0(SALU_CYCLE_1)
	s_and_not1_b32 s1, s48, exec_lo
	s_and_b32 s8, s55, exec_lo
	s_and_not1_b32 s10, s50, exec_lo
	s_or_b32 s48, s1, s8
	s_and_not1_b32 s1, s49, exec_lo
	s_and_b32 s8, s53, exec_lo
	s_and_b32 s11, s54, exec_lo
	s_or_b32 s49, s1, s8
	s_and_not1_b32 s1, s47, exec_lo
	s_and_b32 s8, s0, exec_lo
	s_or_b32 s50, s10, s11
	s_and_b32 s0, s24, exec_lo
	s_or_b32 s47, s1, s8
.LBB183_1290:
	s_or_b32 exec_lo, exec_lo, s51
	s_delay_alu instid0(SALU_CYCLE_1)
	s_and_not1_b32 s1, s42, exec_lo
	s_and_b32 s8, s48, exec_lo
	s_and_not1_b32 s10, s44, exec_lo
	s_or_b32 s42, s1, s8
	s_and_not1_b32 s1, s43, exec_lo
	s_and_b32 s8, s49, exec_lo
	s_and_b32 s11, s50, exec_lo
	s_or_b32 s43, s1, s8
	s_and_not1_b32 s1, s45, exec_lo
	s_and_b32 s8, s47, exec_lo
	s_or_b32 s44, s10, s11
	s_and_b32 s19, s0, exec_lo
	s_or_b32 s45, s1, s8
.LBB183_1291:
	s_or_b32 exec_lo, exec_lo, s46
	s_mov_b32 s11, 0
	s_mov_b32 s1, 0
	s_and_saveexec_b32 s0, s45
	s_cbranch_execnz .LBB183_1306
.LBB183_1292:
	s_or_b32 exec_lo, exec_lo, s0
	s_mov_b32 s12, 0
	s_mov_b32 s10, 0
                                        ; implicit-def: $sgpr0
                                        ; implicit-def: $vgpr0_vgpr1
                                        ; implicit-def: $vgpr7
	s_and_saveexec_b32 s8, s19
	s_cbranch_execz .LBB183_1300
; %bb.1293:
	v_mov_b32_e32 v7, 0
	s_and_b32 s0, s35, 0xff
	s_delay_alu instid0(SALU_CYCLE_1) | instskip(SKIP_1) | instid1(VALU_DEP_1)
	s_cmp_lt_i32 s0, 11
	s_wait_loadcnt 0x0
	v_add_nc_u64_e32 v[0:1], s[4:5], v[6:7]
	s_cbranch_scc1 .LBB183_1303
; %bb.1294:
	s_and_b32 s4, 0xffff, s0
	s_delay_alu instid0(SALU_CYCLE_1)
	s_cmp_gt_i32 s4, 25
	s_cbranch_scc0 .LBB183_1304
; %bb.1295:
	s_cmp_gt_i32 s4, 28
	s_cbranch_scc0 .LBB183_1305
; %bb.1296:
	;; [unrolled: 3-line block ×4, first 2 shown]
	s_cmp_eq_u32 s4, 46
	s_cbranch_scc0 .LBB183_1309
; %bb.1299:
	global_load_b32 v3, v[0:1], off
	s_mov_b32 s5, 0
	s_mov_b32 s10, -1
	s_wait_loadcnt 0x0
	v_lshlrev_b32_e32 v3, 16, v3
	s_delay_alu instid0(VALU_DEP_1)
	v_cvt_f16_f32_e32 v7, v3
	s_branch .LBB183_1311
.LBB183_1300:
	s_or_b32 exec_lo, exec_lo, s8
	s_and_saveexec_b32 s4, s44
	s_cbranch_execnz .LBB183_1374
.LBB183_1301:
	s_or_b32 exec_lo, exec_lo, s4
	s_and_saveexec_b32 s4, s11
	s_delay_alu instid0(SALU_CYCLE_1)
	s_xor_b32 s4, exec_lo, s4
	s_cbranch_execz .LBB183_1375
.LBB183_1302:
	s_wait_loadcnt 0x0
	global_load_u8 v3, v[0:1], off
	s_or_b32 s10, s10, exec_lo
	s_wait_loadcnt 0x0
	v_cmp_ne_u16_e32 vcc_lo, 0, v3
	v_cndmask_b32_e64 v7, 0, 0x3c00, vcc_lo
	s_wait_xcnt 0x0
	s_or_b32 exec_lo, exec_lo, s4
	s_and_saveexec_b32 s4, s12
	s_cbranch_execz .LBB183_1421
	s_branch .LBB183_1376
.LBB183_1303:
	s_mov_b32 s4, -1
	s_mov_b32 s5, s44
                                        ; implicit-def: $vgpr7
	s_branch .LBB183_1373
.LBB183_1304:
	s_mov_b32 s5, s44
                                        ; implicit-def: $vgpr7
	s_cbranch_execnz .LBB183_1340
	s_branch .LBB183_1372
.LBB183_1305:
	s_mov_b32 s12, -1
	s_mov_b32 s5, s44
                                        ; implicit-def: $vgpr7
	s_branch .LBB183_1321
.LBB183_1306:
	s_mov_b32 s1, exec_lo
	s_and_not1_b32 s19, s19, exec_lo
	s_trap 2
	s_branch .LBB183_1292
.LBB183_1307:
	s_mov_b32 s12, -1
	s_mov_b32 s5, s44
                                        ; implicit-def: $vgpr7
	s_branch .LBB183_1316
.LBB183_1308:
	s_mov_b32 s12, -1
	s_mov_b32 s5, s44
	s_branch .LBB183_1310
.LBB183_1309:
	s_mov_b32 s5, -1
.LBB183_1310:
                                        ; implicit-def: $vgpr7
.LBB183_1311:
	s_and_b32 vcc_lo, exec_lo, s12
	s_cbranch_vccz .LBB183_1315
; %bb.1312:
	s_cmp_eq_u32 s4, 44
	s_cbranch_scc0 .LBB183_1314
; %bb.1313:
	global_load_u8 v3, v[0:1], off
	s_mov_b32 s5, 0
	s_mov_b32 s10, -1
	s_wait_loadcnt 0x0
	v_lshlrev_b32_e32 v5, 23, v3
	v_cmp_ne_u32_e32 vcc_lo, 0xff, v3
	s_delay_alu instid0(VALU_DEP_2) | instskip(NEXT) | instid1(VALU_DEP_1)
	v_cvt_f16_f32_e32 v5, v5
	v_cndmask_b32_e32 v5, 0x7e00, v5, vcc_lo
	v_cmp_ne_u32_e32 vcc_lo, 0, v3
	s_delay_alu instid0(VALU_DEP_2)
	v_cndmask_b32_e32 v7, 0, v5, vcc_lo
	s_branch .LBB183_1315
.LBB183_1314:
	s_mov_b32 s5, -1
                                        ; implicit-def: $vgpr7
.LBB183_1315:
	s_mov_b32 s12, 0
.LBB183_1316:
	s_delay_alu instid0(SALU_CYCLE_1)
	s_and_b32 vcc_lo, exec_lo, s12
	s_cbranch_vccz .LBB183_1320
; %bb.1317:
	s_cmp_eq_u32 s4, 29
	s_cbranch_scc0 .LBB183_1319
; %bb.1318:
	global_load_b64 v[6:7], v[0:1], off
	s_mov_b32 s5, 0
	s_mov_b32 s10, -1
	s_mov_b32 s12, 0
	s_wait_loadcnt 0x0
	v_clz_i32_u32_e32 v3, v7
	s_delay_alu instid0(VALU_DEP_1) | instskip(NEXT) | instid1(VALU_DEP_1)
	v_min_u32_e32 v3, 32, v3
	v_lshlrev_b64_e32 v[6:7], v3, v[6:7]
	v_sub_nc_u32_e32 v3, 32, v3
	s_delay_alu instid0(VALU_DEP_2) | instskip(NEXT) | instid1(VALU_DEP_1)
	v_min_u32_e32 v5, 1, v6
	v_or_b32_e32 v5, v7, v5
	s_delay_alu instid0(VALU_DEP_1) | instskip(NEXT) | instid1(VALU_DEP_1)
	v_cvt_f32_u32_e32 v5, v5
	v_ldexp_f32 v3, v5, v3
	s_delay_alu instid0(VALU_DEP_1)
	v_cvt_f16_f32_e32 v7, v3
	s_branch .LBB183_1321
.LBB183_1319:
	s_mov_b32 s5, -1
                                        ; implicit-def: $vgpr7
.LBB183_1320:
	s_mov_b32 s12, 0
.LBB183_1321:
	s_delay_alu instid0(SALU_CYCLE_1)
	s_and_b32 vcc_lo, exec_lo, s12
	s_cbranch_vccz .LBB183_1339
; %bb.1322:
	s_cmp_lt_i32 s4, 27
	s_cbranch_scc1 .LBB183_1325
; %bb.1323:
	s_cmp_gt_i32 s4, 27
	s_cbranch_scc0 .LBB183_1326
; %bb.1324:
	global_load_b32 v3, v[0:1], off
	s_mov_b32 s10, 0
	s_wait_loadcnt 0x0
	v_cvt_f32_u32_e32 v3, v3
	s_delay_alu instid0(VALU_DEP_1)
	v_cvt_f16_f32_e32 v7, v3
	s_branch .LBB183_1327
.LBB183_1325:
	s_mov_b32 s10, -1
                                        ; implicit-def: $vgpr7
	s_branch .LBB183_1330
.LBB183_1326:
	s_mov_b32 s10, -1
                                        ; implicit-def: $vgpr7
.LBB183_1327:
	s_delay_alu instid0(SALU_CYCLE_1)
	s_and_not1_b32 vcc_lo, exec_lo, s10
	s_cbranch_vccnz .LBB183_1329
; %bb.1328:
	global_load_u16 v3, v[0:1], off
	s_wait_loadcnt 0x0
	v_cvt_f16_u16_e32 v7, v3
.LBB183_1329:
	s_mov_b32 s10, 0
.LBB183_1330:
	s_delay_alu instid0(SALU_CYCLE_1)
	s_and_not1_b32 vcc_lo, exec_lo, s10
	s_cbranch_vccnz .LBB183_1338
; %bb.1331:
	global_load_u8 v3, v[0:1], off
	s_mov_b32 s10, 0
	s_mov_b32 s12, exec_lo
	s_wait_loadcnt 0x0
	v_cmpx_lt_i16_e32 0x7f, v3
	s_xor_b32 s12, exec_lo, s12
	s_cbranch_execz .LBB183_1351
; %bb.1332:
	s_mov_b32 s10, -1
	s_mov_b32 s13, exec_lo
	v_cmpx_eq_u16_e32 0x80, v3
; %bb.1333:
	s_xor_b32 s10, exec_lo, -1
; %bb.1334:
	s_or_b32 exec_lo, exec_lo, s13
	s_delay_alu instid0(SALU_CYCLE_1)
	s_and_b32 s10, s10, exec_lo
	s_or_saveexec_b32 s12, s12
	v_mov_b32_e32 v7, 0x7e00
	s_xor_b32 exec_lo, exec_lo, s12
	s_cbranch_execnz .LBB183_1352
.LBB183_1335:
	s_or_b32 exec_lo, exec_lo, s12
	s_and_saveexec_b32 s12, s10
	s_cbranch_execz .LBB183_1337
.LBB183_1336:
	v_and_b32_e32 v5, 0xffff, v3
	s_delay_alu instid0(VALU_DEP_1) | instskip(SKIP_1) | instid1(VALU_DEP_2)
	v_and_b32_e32 v6, 7, v5
	v_bfe_u32 v9, v5, 3, 4
	v_clz_i32_u32_e32 v7, v6
	s_delay_alu instid0(VALU_DEP_2) | instskip(NEXT) | instid1(VALU_DEP_2)
	v_cmp_eq_u32_e32 vcc_lo, 0, v9
	v_min_u32_e32 v7, 32, v7
	s_delay_alu instid0(VALU_DEP_1) | instskip(NEXT) | instid1(VALU_DEP_1)
	v_subrev_nc_u32_e32 v8, 28, v7
	v_dual_lshlrev_b32 v5, v8, v5 :: v_dual_sub_nc_u32 v7, 29, v7
	s_delay_alu instid0(VALU_DEP_1) | instskip(NEXT) | instid1(VALU_DEP_1)
	v_dual_lshlrev_b32 v3, 24, v3 :: v_dual_bitop2_b32 v5, 7, v5 bitop3:0x40
	v_dual_cndmask_b32 v5, v6, v5, vcc_lo :: v_dual_cndmask_b32 v7, v9, v7, vcc_lo
	s_delay_alu instid0(VALU_DEP_2) | instskip(NEXT) | instid1(VALU_DEP_2)
	v_and_b32_e32 v3, 0x80000000, v3
	v_lshlrev_b32_e32 v5, 20, v5
	s_delay_alu instid0(VALU_DEP_3) | instskip(NEXT) | instid1(VALU_DEP_1)
	v_lshl_add_u32 v6, v7, 23, 0x3b800000
	v_or3_b32 v3, v3, v6, v5
	s_delay_alu instid0(VALU_DEP_1)
	v_cvt_f16_f32_e32 v7, v3
.LBB183_1337:
	s_or_b32 exec_lo, exec_lo, s12
.LBB183_1338:
	s_mov_b32 s10, -1
.LBB183_1339:
	s_branch .LBB183_1372
.LBB183_1340:
	s_cmp_gt_i32 s4, 22
	s_cbranch_scc0 .LBB183_1350
; %bb.1341:
	s_cmp_lt_i32 s4, 24
	s_cbranch_scc1 .LBB183_1353
; %bb.1342:
	s_cmp_gt_i32 s4, 24
	s_cbranch_scc0 .LBB183_1354
; %bb.1343:
	global_load_u8 v3, v[0:1], off
	s_mov_b32 s10, 0
	s_mov_b32 s11, exec_lo
	s_wait_loadcnt 0x0
	v_cmpx_lt_i16_e32 0x7f, v3
	s_xor_b32 s11, exec_lo, s11
	s_cbranch_execz .LBB183_1366
; %bb.1344:
	s_mov_b32 s10, -1
	s_mov_b32 s12, exec_lo
	v_cmpx_eq_u16_e32 0x80, v3
; %bb.1345:
	s_xor_b32 s10, exec_lo, -1
; %bb.1346:
	s_or_b32 exec_lo, exec_lo, s12
	s_delay_alu instid0(SALU_CYCLE_1)
	s_and_b32 s10, s10, exec_lo
	s_or_saveexec_b32 s11, s11
	v_mov_b32_e32 v7, 0x7e00
	s_xor_b32 exec_lo, exec_lo, s11
	s_cbranch_execnz .LBB183_1367
.LBB183_1347:
	s_or_b32 exec_lo, exec_lo, s11
	s_and_saveexec_b32 s11, s10
	s_cbranch_execz .LBB183_1349
.LBB183_1348:
	v_and_b32_e32 v5, 0xffff, v3
	s_delay_alu instid0(VALU_DEP_1) | instskip(SKIP_1) | instid1(VALU_DEP_2)
	v_and_b32_e32 v6, 3, v5
	v_bfe_u32 v9, v5, 2, 5
	v_clz_i32_u32_e32 v7, v6
	s_delay_alu instid0(VALU_DEP_2) | instskip(NEXT) | instid1(VALU_DEP_2)
	v_cmp_eq_u32_e32 vcc_lo, 0, v9
	v_min_u32_e32 v7, 32, v7
	s_delay_alu instid0(VALU_DEP_1) | instskip(NEXT) | instid1(VALU_DEP_1)
	v_subrev_nc_u32_e32 v8, 29, v7
	v_dual_lshlrev_b32 v5, v8, v5 :: v_dual_sub_nc_u32 v7, 30, v7
	s_delay_alu instid0(VALU_DEP_1) | instskip(NEXT) | instid1(VALU_DEP_1)
	v_dual_lshlrev_b32 v3, 24, v3 :: v_dual_bitop2_b32 v5, 3, v5 bitop3:0x40
	v_dual_cndmask_b32 v5, v6, v5, vcc_lo :: v_dual_cndmask_b32 v7, v9, v7, vcc_lo
	s_delay_alu instid0(VALU_DEP_2) | instskip(NEXT) | instid1(VALU_DEP_2)
	v_and_b32_e32 v3, 0x80000000, v3
	v_lshlrev_b32_e32 v5, 21, v5
	s_delay_alu instid0(VALU_DEP_3) | instskip(NEXT) | instid1(VALU_DEP_1)
	v_lshl_add_u32 v6, v7, 23, 0x37800000
	v_or3_b32 v3, v3, v6, v5
	s_delay_alu instid0(VALU_DEP_1)
	v_cvt_f16_f32_e32 v7, v3
.LBB183_1349:
	s_or_b32 exec_lo, exec_lo, s11
	s_mov_b32 s10, 0
	s_branch .LBB183_1355
.LBB183_1350:
	s_mov_b32 s11, -1
                                        ; implicit-def: $vgpr7
	s_branch .LBB183_1361
.LBB183_1351:
	s_or_saveexec_b32 s12, s12
	v_mov_b32_e32 v7, 0x7e00
	s_xor_b32 exec_lo, exec_lo, s12
	s_cbranch_execz .LBB183_1335
.LBB183_1352:
	v_cmp_ne_u16_e32 vcc_lo, 0, v3
	v_mov_b32_e32 v7, v3
	s_and_not1_b32 s10, s10, exec_lo
	s_and_b32 s13, vcc_lo, exec_lo
	s_delay_alu instid0(SALU_CYCLE_1)
	s_or_b32 s10, s10, s13
	s_or_b32 exec_lo, exec_lo, s12
	s_and_saveexec_b32 s12, s10
	s_cbranch_execnz .LBB183_1336
	s_branch .LBB183_1337
.LBB183_1353:
	s_mov_b32 s10, -1
                                        ; implicit-def: $vgpr7
	s_branch .LBB183_1358
.LBB183_1354:
	s_mov_b32 s10, -1
                                        ; implicit-def: $vgpr7
.LBB183_1355:
	s_delay_alu instid0(SALU_CYCLE_1)
	s_and_b32 vcc_lo, exec_lo, s10
	s_cbranch_vccz .LBB183_1357
; %bb.1356:
	global_load_u8 v3, v[0:1], off
	s_wait_loadcnt 0x0
	v_lshlrev_b32_e32 v3, 24, v3
	s_delay_alu instid0(VALU_DEP_1) | instskip(NEXT) | instid1(VALU_DEP_1)
	v_and_b32_e32 v5, 0x7f000000, v3
	v_clz_i32_u32_e32 v6, v5
	v_cmp_ne_u32_e32 vcc_lo, 0, v5
	v_add_nc_u32_e32 v8, 0x1000000, v5
	s_delay_alu instid0(VALU_DEP_3) | instskip(NEXT) | instid1(VALU_DEP_1)
	v_min_u32_e32 v6, 32, v6
	v_sub_nc_u32_e64 v6, v6, 4 clamp
	s_delay_alu instid0(VALU_DEP_1) | instskip(NEXT) | instid1(VALU_DEP_1)
	v_dual_lshlrev_b32 v7, v6, v5 :: v_dual_lshlrev_b32 v6, 23, v6
	v_lshrrev_b32_e32 v7, 4, v7
	s_delay_alu instid0(VALU_DEP_1) | instskip(NEXT) | instid1(VALU_DEP_1)
	v_dual_sub_nc_u32 v6, v7, v6 :: v_dual_ashrrev_i32 v7, 8, v8
	v_add_nc_u32_e32 v6, 0x3c000000, v6
	s_delay_alu instid0(VALU_DEP_1) | instskip(NEXT) | instid1(VALU_DEP_1)
	v_and_or_b32 v6, 0x7f800000, v7, v6
	v_cndmask_b32_e32 v5, 0, v6, vcc_lo
	s_delay_alu instid0(VALU_DEP_1) | instskip(NEXT) | instid1(VALU_DEP_1)
	v_and_or_b32 v3, 0x80000000, v3, v5
	v_cvt_f16_f32_e32 v7, v3
.LBB183_1357:
	s_mov_b32 s10, 0
.LBB183_1358:
	s_delay_alu instid0(SALU_CYCLE_1)
	s_and_not1_b32 vcc_lo, exec_lo, s10
	s_cbranch_vccnz .LBB183_1360
; %bb.1359:
	global_load_u8 v3, v[0:1], off
	s_wait_loadcnt 0x0
	v_lshlrev_b32_e32 v5, 25, v3
	v_lshlrev_b16 v3, 8, v3
	s_delay_alu instid0(VALU_DEP_1) | instskip(NEXT) | instid1(VALU_DEP_3)
	v_and_or_b32 v7, 0x7f00, v3, 0.5
	v_lshrrev_b32_e32 v6, 4, v5
	v_bfe_i32 v3, v3, 0, 16
	s_delay_alu instid0(VALU_DEP_3) | instskip(NEXT) | instid1(VALU_DEP_3)
	v_add_f32_e32 v7, -0.5, v7
	v_or_b32_e32 v6, 0x70000000, v6
	s_delay_alu instid0(VALU_DEP_1) | instskip(SKIP_1) | instid1(VALU_DEP_2)
	v_mul_f32_e32 v6, 0x7800000, v6
	v_cmp_gt_u32_e32 vcc_lo, 0x8000000, v5
	v_cndmask_b32_e32 v5, v6, v7, vcc_lo
	s_delay_alu instid0(VALU_DEP_1) | instskip(NEXT) | instid1(VALU_DEP_1)
	v_and_or_b32 v3, 0x80000000, v3, v5
	v_cvt_f16_f32_e32 v7, v3
.LBB183_1360:
	s_mov_b32 s11, 0
	s_mov_b32 s10, -1
.LBB183_1361:
	s_and_not1_b32 vcc_lo, exec_lo, s11
	s_mov_b32 s11, 0
	s_cbranch_vccnz .LBB183_1372
; %bb.1362:
	s_cmp_gt_i32 s4, 14
	s_cbranch_scc0 .LBB183_1365
; %bb.1363:
	s_cmp_eq_u32 s4, 15
	s_cbranch_scc0 .LBB183_1368
; %bb.1364:
	global_load_u16 v3, v[0:1], off
	s_mov_b32 s5, 0
	s_mov_b32 s10, -1
	s_wait_loadcnt 0x0
	v_lshlrev_b32_e32 v3, 16, v3
	s_delay_alu instid0(VALU_DEP_1)
	v_cvt_f16_f32_e32 v7, v3
	s_branch .LBB183_1370
.LBB183_1365:
	s_mov_b32 s11, -1
	s_branch .LBB183_1369
.LBB183_1366:
	s_or_saveexec_b32 s11, s11
	v_mov_b32_e32 v7, 0x7e00
	s_xor_b32 exec_lo, exec_lo, s11
	s_cbranch_execz .LBB183_1347
.LBB183_1367:
	v_cmp_ne_u16_e32 vcc_lo, 0, v3
	v_mov_b32_e32 v7, v3
	s_and_not1_b32 s10, s10, exec_lo
	s_and_b32 s12, vcc_lo, exec_lo
	s_delay_alu instid0(SALU_CYCLE_1)
	s_or_b32 s10, s10, s12
	s_or_b32 exec_lo, exec_lo, s11
	s_and_saveexec_b32 s11, s10
	s_cbranch_execnz .LBB183_1348
	s_branch .LBB183_1349
.LBB183_1368:
	s_mov_b32 s5, -1
.LBB183_1369:
                                        ; implicit-def: $vgpr7
.LBB183_1370:
	s_and_b32 vcc_lo, exec_lo, s11
	s_mov_b32 s11, 0
	s_cbranch_vccz .LBB183_1372
; %bb.1371:
	s_cmp_lg_u32 s4, 11
	s_mov_b32 s11, -1
	s_cselect_b32 s4, -1, 0
	s_and_not1_b32 s5, s5, exec_lo
	s_and_b32 s4, s4, exec_lo
	s_delay_alu instid0(SALU_CYCLE_1)
	s_or_b32 s5, s5, s4
.LBB183_1372:
	s_mov_b32 s4, 0
.LBB183_1373:
	s_delay_alu instid0(SALU_CYCLE_1)
	s_and_b32 s12, s4, exec_lo
	s_and_not1_b32 s4, s44, exec_lo
	s_and_b32 s5, s5, exec_lo
	s_and_b32 s10, s10, exec_lo
	;; [unrolled: 1-line block ×3, first 2 shown]
	s_or_b32 s44, s4, s5
	s_wait_xcnt 0x0
	s_or_b32 exec_lo, exec_lo, s8
	s_and_saveexec_b32 s4, s44
	s_cbranch_execz .LBB183_1301
.LBB183_1374:
	s_or_b32 s1, s1, exec_lo
	s_and_not1_b32 s11, s11, exec_lo
	s_trap 2
	s_or_b32 exec_lo, exec_lo, s4
	s_and_saveexec_b32 s4, s11
	s_delay_alu instid0(SALU_CYCLE_1)
	s_xor_b32 s4, exec_lo, s4
	s_cbranch_execnz .LBB183_1302
.LBB183_1375:
	s_or_b32 exec_lo, exec_lo, s4
	s_and_saveexec_b32 s4, s12
	s_cbranch_execz .LBB183_1421
.LBB183_1376:
	s_sext_i32_i16 s5, s0
	s_delay_alu instid0(SALU_CYCLE_1)
	s_cmp_lt_i32 s5, 5
	s_cbranch_scc1 .LBB183_1381
; %bb.1377:
	s_cmp_lt_i32 s5, 8
	s_cbranch_scc1 .LBB183_1382
; %bb.1378:
	;; [unrolled: 3-line block ×3, first 2 shown]
	s_cmp_gt_i32 s5, 9
	s_cbranch_scc0 .LBB183_1384
; %bb.1380:
	s_wait_loadcnt 0x0
	global_load_b64 v[6:7], v[0:1], off
	s_mov_b32 s5, 0
	s_wait_loadcnt 0x0
	v_and_or_b32 v3, 0x1ff, v7, v6
	v_lshrrev_b32_e32 v5, 8, v7
	v_bfe_u32 v6, v7, 20, 11
	s_delay_alu instid0(VALU_DEP_3) | instskip(NEXT) | instid1(VALU_DEP_2)
	v_cmp_ne_u32_e32 vcc_lo, 0, v3
	v_sub_nc_u32_e32 v8, 0x3f1, v6
	v_add_nc_u32_e32 v6, 0xfffffc10, v6
	v_cndmask_b32_e64 v3, 0, 1, vcc_lo
	s_delay_alu instid0(VALU_DEP_1) | instskip(NEXT) | instid1(VALU_DEP_4)
	v_and_or_b32 v3, 0xffe, v5, v3
	v_med3_i32 v5, v8, 0, 13
	s_delay_alu instid0(VALU_DEP_2) | instskip(NEXT) | instid1(VALU_DEP_1)
	v_or_b32_e32 v8, 0x1000, v3
	v_lshrrev_b32_e32 v9, v5, v8
	s_delay_alu instid0(VALU_DEP_1) | instskip(NEXT) | instid1(VALU_DEP_1)
	v_lshlrev_b32_e32 v5, v5, v9
	v_cmp_ne_u32_e32 vcc_lo, v5, v8
	v_lshl_or_b32 v8, v6, 12, v3
	v_cndmask_b32_e64 v5, 0, 1, vcc_lo
	v_cmp_gt_i32_e32 vcc_lo, 1, v6
	s_delay_alu instid0(VALU_DEP_2) | instskip(NEXT) | instid1(VALU_DEP_1)
	v_or_b32_e32 v5, v9, v5
	v_cndmask_b32_e32 v5, v8, v5, vcc_lo
	s_delay_alu instid0(VALU_DEP_1) | instskip(NEXT) | instid1(VALU_DEP_1)
	v_dual_lshrrev_b32 v5, 2, v5 :: v_dual_bitop2_b32 v8, 7, v5 bitop3:0x40
	v_cmp_lt_i32_e32 vcc_lo, 5, v8
	v_cndmask_b32_e64 v9, 0, 1, vcc_lo
	v_cmp_eq_u32_e32 vcc_lo, 3, v8
	v_cndmask_b32_e64 v8, 0, 1, vcc_lo
	v_cmp_ne_u32_e32 vcc_lo, 0, v3
	s_delay_alu instid0(VALU_DEP_2) | instskip(SKIP_1) | instid1(VALU_DEP_2)
	v_or_b32_e32 v8, v8, v9
	v_mov_b32_e32 v9, 0x7e00
	v_add_nc_u32_e32 v5, v5, v8
	s_delay_alu instid0(VALU_DEP_2) | instskip(SKIP_1) | instid1(VALU_DEP_3)
	v_cndmask_b32_e32 v3, 0x7c00, v9, vcc_lo
	v_cmp_gt_i32_e32 vcc_lo, 31, v6
	v_cndmask_b32_e32 v5, 0x7c00, v5, vcc_lo
	v_cmp_eq_u32_e32 vcc_lo, 0x40f, v6
	s_delay_alu instid0(VALU_DEP_2) | instskip(SKIP_1) | instid1(VALU_DEP_1)
	v_cndmask_b32_e32 v3, v5, v3, vcc_lo
	v_lshrrev_b32_e32 v5, 16, v7
	v_and_or_b32 v7, 0x8000, v5, v3
	s_branch .LBB183_1385
.LBB183_1381:
                                        ; implicit-def: $vgpr7
	s_branch .LBB183_1402
.LBB183_1382:
                                        ; implicit-def: $vgpr7
	s_branch .LBB183_1391
.LBB183_1383:
	s_mov_b32 s5, -1
                                        ; implicit-def: $vgpr7
	s_branch .LBB183_1388
.LBB183_1384:
	s_mov_b32 s5, -1
                                        ; implicit-def: $vgpr7
.LBB183_1385:
	s_delay_alu instid0(SALU_CYCLE_1)
	s_and_not1_b32 vcc_lo, exec_lo, s5
	s_cbranch_vccnz .LBB183_1387
; %bb.1386:
	s_wait_loadcnt 0x0
	global_load_b32 v3, v[0:1], off
	s_wait_loadcnt 0x0
	v_cvt_f16_f32_e32 v7, v3
.LBB183_1387:
	s_mov_b32 s5, 0
.LBB183_1388:
	s_delay_alu instid0(SALU_CYCLE_1)
	s_and_not1_b32 vcc_lo, exec_lo, s5
	s_cbranch_vccnz .LBB183_1390
; %bb.1389:
	s_wait_loadcnt 0x0
	global_load_b32 v7, v[0:1], off
.LBB183_1390:
	s_cbranch_execnz .LBB183_1401
.LBB183_1391:
	s_sext_i32_i16 s5, s0
	s_delay_alu instid0(SALU_CYCLE_1)
	s_cmp_lt_i32 s5, 6
	s_cbranch_scc1 .LBB183_1394
; %bb.1392:
	s_cmp_gt_i32 s5, 6
	s_cbranch_scc0 .LBB183_1395
; %bb.1393:
	s_wait_loadcnt 0x0
	global_load_b64 v[6:7], v[0:1], off
	s_mov_b32 s5, 0
	s_wait_loadcnt 0x0
	v_and_or_b32 v3, 0x1ff, v7, v6
	v_lshrrev_b32_e32 v5, 8, v7
	v_bfe_u32 v6, v7, 20, 11
	s_delay_alu instid0(VALU_DEP_3) | instskip(NEXT) | instid1(VALU_DEP_2)
	v_cmp_ne_u32_e32 vcc_lo, 0, v3
	v_sub_nc_u32_e32 v8, 0x3f1, v6
	v_add_nc_u32_e32 v6, 0xfffffc10, v6
	v_cndmask_b32_e64 v3, 0, 1, vcc_lo
	s_delay_alu instid0(VALU_DEP_1) | instskip(NEXT) | instid1(VALU_DEP_4)
	v_and_or_b32 v3, 0xffe, v5, v3
	v_med3_i32 v5, v8, 0, 13
	s_delay_alu instid0(VALU_DEP_2) | instskip(NEXT) | instid1(VALU_DEP_1)
	v_or_b32_e32 v8, 0x1000, v3
	v_lshrrev_b32_e32 v9, v5, v8
	s_delay_alu instid0(VALU_DEP_1) | instskip(NEXT) | instid1(VALU_DEP_1)
	v_lshlrev_b32_e32 v5, v5, v9
	v_cmp_ne_u32_e32 vcc_lo, v5, v8
	v_lshl_or_b32 v8, v6, 12, v3
	v_cndmask_b32_e64 v5, 0, 1, vcc_lo
	v_cmp_gt_i32_e32 vcc_lo, 1, v6
	s_delay_alu instid0(VALU_DEP_2) | instskip(NEXT) | instid1(VALU_DEP_1)
	v_or_b32_e32 v5, v9, v5
	v_cndmask_b32_e32 v5, v8, v5, vcc_lo
	s_delay_alu instid0(VALU_DEP_1) | instskip(NEXT) | instid1(VALU_DEP_1)
	v_dual_lshrrev_b32 v5, 2, v5 :: v_dual_bitop2_b32 v8, 7, v5 bitop3:0x40
	v_cmp_lt_i32_e32 vcc_lo, 5, v8
	v_cndmask_b32_e64 v9, 0, 1, vcc_lo
	v_cmp_eq_u32_e32 vcc_lo, 3, v8
	v_cndmask_b32_e64 v8, 0, 1, vcc_lo
	v_cmp_ne_u32_e32 vcc_lo, 0, v3
	s_delay_alu instid0(VALU_DEP_2) | instskip(SKIP_1) | instid1(VALU_DEP_2)
	v_or_b32_e32 v8, v8, v9
	v_mov_b32_e32 v9, 0x7e00
	v_add_nc_u32_e32 v5, v5, v8
	s_delay_alu instid0(VALU_DEP_2) | instskip(SKIP_1) | instid1(VALU_DEP_3)
	v_cndmask_b32_e32 v3, 0x7c00, v9, vcc_lo
	v_cmp_gt_i32_e32 vcc_lo, 31, v6
	v_cndmask_b32_e32 v5, 0x7c00, v5, vcc_lo
	v_cmp_eq_u32_e32 vcc_lo, 0x40f, v6
	s_delay_alu instid0(VALU_DEP_2) | instskip(SKIP_1) | instid1(VALU_DEP_1)
	v_cndmask_b32_e32 v3, v5, v3, vcc_lo
	v_lshrrev_b32_e32 v5, 16, v7
	v_and_or_b32 v7, 0x8000, v5, v3
	s_branch .LBB183_1396
.LBB183_1394:
	s_mov_b32 s5, -1
                                        ; implicit-def: $vgpr7
	s_branch .LBB183_1399
.LBB183_1395:
	s_mov_b32 s5, -1
                                        ; implicit-def: $vgpr7
.LBB183_1396:
	s_delay_alu instid0(SALU_CYCLE_1)
	s_and_not1_b32 vcc_lo, exec_lo, s5
	s_cbranch_vccnz .LBB183_1398
; %bb.1397:
	s_wait_loadcnt 0x0
	global_load_b32 v3, v[0:1], off
	s_wait_loadcnt 0x0
	v_cvt_f16_f32_e32 v7, v3
.LBB183_1398:
	s_mov_b32 s5, 0
.LBB183_1399:
	s_delay_alu instid0(SALU_CYCLE_1)
	s_and_not1_b32 vcc_lo, exec_lo, s5
	s_cbranch_vccnz .LBB183_1401
; %bb.1400:
	s_wait_loadcnt 0x0
	global_load_u16 v7, v[0:1], off
.LBB183_1401:
	s_cbranch_execnz .LBB183_1420
.LBB183_1402:
	s_sext_i32_i16 s5, s0
	s_delay_alu instid0(SALU_CYCLE_1)
	s_cmp_lt_i32 s5, 2
	s_cbranch_scc1 .LBB183_1406
; %bb.1403:
	s_cmp_lt_i32 s5, 3
	s_cbranch_scc1 .LBB183_1407
; %bb.1404:
	s_cmp_gt_i32 s5, 3
	s_cbranch_scc0 .LBB183_1408
; %bb.1405:
	s_wait_loadcnt 0x0
	global_load_b64 v[6:7], v[0:1], off
	s_mov_b32 s5, 0
	s_wait_loadcnt 0x0
	v_xor_b32_e32 v3, v6, v7
	v_cls_i32_e32 v5, v7
	s_delay_alu instid0(VALU_DEP_2) | instskip(NEXT) | instid1(VALU_DEP_1)
	v_ashrrev_i32_e32 v3, 31, v3
	v_add_nc_u32_e32 v3, 32, v3
	s_delay_alu instid0(VALU_DEP_1) | instskip(NEXT) | instid1(VALU_DEP_1)
	v_add_min_u32_e64 v3, v5, -1, v3
	v_lshlrev_b64_e32 v[6:7], v3, v[6:7]
	v_sub_nc_u32_e32 v3, 32, v3
	s_delay_alu instid0(VALU_DEP_2) | instskip(NEXT) | instid1(VALU_DEP_1)
	v_min_u32_e32 v5, 1, v6
	v_or_b32_e32 v5, v7, v5
	s_delay_alu instid0(VALU_DEP_1) | instskip(NEXT) | instid1(VALU_DEP_1)
	v_cvt_f32_i32_e32 v5, v5
	v_ldexp_f32 v3, v5, v3
	s_delay_alu instid0(VALU_DEP_1)
	v_cvt_f16_f32_e32 v7, v3
	s_branch .LBB183_1409
.LBB183_1406:
                                        ; implicit-def: $vgpr7
	s_branch .LBB183_1415
.LBB183_1407:
	s_mov_b32 s5, -1
                                        ; implicit-def: $vgpr7
	s_branch .LBB183_1412
.LBB183_1408:
	s_mov_b32 s5, -1
                                        ; implicit-def: $vgpr7
.LBB183_1409:
	s_delay_alu instid0(SALU_CYCLE_1)
	s_and_not1_b32 vcc_lo, exec_lo, s5
	s_cbranch_vccnz .LBB183_1411
; %bb.1410:
	s_wait_loadcnt 0x0
	global_load_b32 v3, v[0:1], off
	s_wait_loadcnt 0x0
	v_cvt_f32_i32_e32 v3, v3
	s_delay_alu instid0(VALU_DEP_1)
	v_cvt_f16_f32_e32 v7, v3
.LBB183_1411:
	s_mov_b32 s5, 0
.LBB183_1412:
	s_delay_alu instid0(SALU_CYCLE_1)
	s_and_not1_b32 vcc_lo, exec_lo, s5
	s_cbranch_vccnz .LBB183_1414
; %bb.1413:
	s_wait_loadcnt 0x0
	global_load_u16 v3, v[0:1], off
	s_wait_loadcnt 0x0
	v_cvt_f16_i16_e32 v7, v3
.LBB183_1414:
	s_cbranch_execnz .LBB183_1420
.LBB183_1415:
	s_sext_i32_i16 s0, s0
	s_delay_alu instid0(SALU_CYCLE_1)
	s_cmp_gt_i32 s0, 0
	s_mov_b32 s0, 0
	s_cbranch_scc0 .LBB183_1417
; %bb.1416:
	s_wait_loadcnt 0x0
	global_load_i8 v3, v[0:1], off
	s_wait_loadcnt 0x0
	v_cvt_f16_i16_e32 v7, v3
	s_branch .LBB183_1418
.LBB183_1417:
	s_mov_b32 s0, -1
                                        ; implicit-def: $vgpr7
.LBB183_1418:
	s_delay_alu instid0(SALU_CYCLE_1)
	s_and_not1_b32 vcc_lo, exec_lo, s0
	s_cbranch_vccnz .LBB183_1420
; %bb.1419:
	s_wait_loadcnt 0x0
	global_load_u8 v0, v[0:1], off
	s_wait_loadcnt 0x0
	v_cvt_f16_u16_e32 v7, v0
.LBB183_1420:
	s_or_b32 s10, s10, exec_lo
.LBB183_1421:
	s_wait_xcnt 0x0
	s_or_b32 exec_lo, exec_lo, s4
	s_mov_b32 s5, 0
	s_mov_b32 s4, 0
	s_mov_b32 s8, 0
                                        ; implicit-def: $vgpr0_vgpr1
                                        ; implicit-def: $vgpr5
	s_and_saveexec_b32 s0, s10
	s_cbranch_execz .LBB183_1429
; %bb.1422:
	v_mov_b32_e32 v5, 0
	s_and_b32 s4, 0xffff, s9
	s_delay_alu instid0(SALU_CYCLE_1) | instskip(SKIP_1) | instid1(VALU_DEP_1)
	s_cmp_lt_i32 s4, 11
	s_wait_loadcnt 0x0
	v_add_nc_u64_e32 v[0:1], s[6:7], v[4:5]
	s_cbranch_scc1 .LBB183_1432
; %bb.1423:
	s_cmp_gt_i32 s4, 25
	s_mov_b32 s6, 0
	s_cbranch_scc0 .LBB183_1433
; %bb.1424:
	s_cmp_gt_i32 s4, 28
	s_cbranch_scc0 .LBB183_1434
; %bb.1425:
	s_cmp_gt_i32 s4, 43
	;; [unrolled: 3-line block ×3, first 2 shown]
	s_cbranch_scc0 .LBB183_1436
; %bb.1427:
	s_cmp_eq_u32 s4, 46
	s_cbranch_scc0 .LBB183_1437
; %bb.1428:
	global_load_b32 v3, v[0:1], off
	s_mov_b32 s7, -1
	s_wait_loadcnt 0x0
	v_lshlrev_b32_e32 v3, 16, v3
	s_delay_alu instid0(VALU_DEP_1)
	v_cvt_f16_f32_e32 v5, v3
	s_branch .LBB183_1439
.LBB183_1429:
	s_or_b32 exec_lo, exec_lo, s0
	s_and_saveexec_b32 s0, s43
	s_cbranch_execnz .LBB183_1502
.LBB183_1430:
	s_or_b32 exec_lo, exec_lo, s0
	s_and_saveexec_b32 s0, s5
	s_delay_alu instid0(SALU_CYCLE_1)
	s_xor_b32 s0, exec_lo, s0
	s_cbranch_execz .LBB183_1503
.LBB183_1431:
	s_wait_loadcnt 0x0
	global_load_u8 v3, v[0:1], off
	s_or_b32 s8, s8, exec_lo
	s_wait_loadcnt 0x0
	v_cmp_ne_u16_e32 vcc_lo, 0, v3
	v_cndmask_b32_e64 v5, 0, 0x3c00, vcc_lo
	s_wait_xcnt 0x0
	s_or_b32 exec_lo, exec_lo, s0
	s_and_saveexec_b32 s0, s4
	s_cbranch_execz .LBB183_1549
	s_branch .LBB183_1504
.LBB183_1432:
	s_mov_b32 s4, -1
	s_mov_b32 s7, 0
	s_mov_b32 s6, 0
	;; [unrolled: 1-line block ×3, first 2 shown]
                                        ; implicit-def: $vgpr5
	s_branch .LBB183_1501
.LBB183_1433:
	s_mov_b32 s7, 0
	s_mov_b32 s5, s43
                                        ; implicit-def: $vgpr5
	s_cbranch_execnz .LBB183_1468
	s_branch .LBB183_1500
.LBB183_1434:
	s_mov_b32 s8, -1
	s_mov_b32 s7, 0
	s_mov_b32 s5, s43
                                        ; implicit-def: $vgpr5
	s_branch .LBB183_1449
.LBB183_1435:
	s_mov_b32 s8, -1
	s_mov_b32 s7, 0
	s_mov_b32 s5, s43
                                        ; implicit-def: $vgpr5
	s_branch .LBB183_1444
.LBB183_1436:
	s_mov_b32 s8, -1
	s_mov_b32 s7, 0
	s_mov_b32 s5, s43
	s_branch .LBB183_1438
.LBB183_1437:
	s_mov_b32 s5, -1
	s_mov_b32 s7, 0
.LBB183_1438:
                                        ; implicit-def: $vgpr5
.LBB183_1439:
	s_and_b32 vcc_lo, exec_lo, s8
	s_cbranch_vccz .LBB183_1443
; %bb.1440:
	s_cmp_eq_u32 s4, 44
	s_cbranch_scc0 .LBB183_1442
; %bb.1441:
	global_load_u8 v3, v[0:1], off
	s_mov_b32 s5, 0
	s_mov_b32 s7, -1
	s_wait_loadcnt 0x0
	v_lshlrev_b32_e32 v4, 23, v3
	v_cmp_ne_u32_e32 vcc_lo, 0xff, v3
	s_delay_alu instid0(VALU_DEP_2) | instskip(NEXT) | instid1(VALU_DEP_1)
	v_cvt_f16_f32_e32 v4, v4
	v_cndmask_b32_e32 v4, 0x7e00, v4, vcc_lo
	v_cmp_ne_u32_e32 vcc_lo, 0, v3
	s_delay_alu instid0(VALU_DEP_2)
	v_cndmask_b32_e32 v5, 0, v4, vcc_lo
	s_branch .LBB183_1443
.LBB183_1442:
	s_mov_b32 s5, -1
                                        ; implicit-def: $vgpr5
.LBB183_1443:
	s_mov_b32 s8, 0
.LBB183_1444:
	s_delay_alu instid0(SALU_CYCLE_1)
	s_and_b32 vcc_lo, exec_lo, s8
	s_cbranch_vccz .LBB183_1448
; %bb.1445:
	s_cmp_eq_u32 s4, 29
	s_cbranch_scc0 .LBB183_1447
; %bb.1446:
	global_load_b64 v[4:5], v[0:1], off
	s_mov_b32 s5, 0
	s_mov_b32 s7, -1
	s_mov_b32 s8, 0
	s_wait_loadcnt 0x0
	v_clz_i32_u32_e32 v3, v5
	s_delay_alu instid0(VALU_DEP_1) | instskip(NEXT) | instid1(VALU_DEP_1)
	v_min_u32_e32 v3, 32, v3
	v_lshlrev_b64_e32 v[4:5], v3, v[4:5]
	v_sub_nc_u32_e32 v3, 32, v3
	s_delay_alu instid0(VALU_DEP_2) | instskip(NEXT) | instid1(VALU_DEP_1)
	v_min_u32_e32 v4, 1, v4
	v_or_b32_e32 v4, v5, v4
	s_delay_alu instid0(VALU_DEP_1) | instskip(NEXT) | instid1(VALU_DEP_1)
	v_cvt_f32_u32_e32 v4, v4
	v_ldexp_f32 v3, v4, v3
	s_delay_alu instid0(VALU_DEP_1)
	v_cvt_f16_f32_e32 v5, v3
	s_branch .LBB183_1449
.LBB183_1447:
	s_mov_b32 s5, -1
                                        ; implicit-def: $vgpr5
.LBB183_1448:
	s_mov_b32 s8, 0
.LBB183_1449:
	s_delay_alu instid0(SALU_CYCLE_1)
	s_and_b32 vcc_lo, exec_lo, s8
	s_cbranch_vccz .LBB183_1467
; %bb.1450:
	s_cmp_lt_i32 s4, 27
	s_cbranch_scc1 .LBB183_1453
; %bb.1451:
	s_cmp_gt_i32 s4, 27
	s_cbranch_scc0 .LBB183_1454
; %bb.1452:
	global_load_b32 v3, v[0:1], off
	s_mov_b32 s7, 0
	s_wait_loadcnt 0x0
	v_cvt_f32_u32_e32 v3, v3
	s_delay_alu instid0(VALU_DEP_1)
	v_cvt_f16_f32_e32 v5, v3
	s_branch .LBB183_1455
.LBB183_1453:
	s_mov_b32 s7, -1
                                        ; implicit-def: $vgpr5
	s_branch .LBB183_1458
.LBB183_1454:
	s_mov_b32 s7, -1
                                        ; implicit-def: $vgpr5
.LBB183_1455:
	s_delay_alu instid0(SALU_CYCLE_1)
	s_and_not1_b32 vcc_lo, exec_lo, s7
	s_cbranch_vccnz .LBB183_1457
; %bb.1456:
	global_load_u16 v3, v[0:1], off
	s_wait_loadcnt 0x0
	v_cvt_f16_u16_e32 v5, v3
.LBB183_1457:
	s_mov_b32 s7, 0
.LBB183_1458:
	s_delay_alu instid0(SALU_CYCLE_1)
	s_and_not1_b32 vcc_lo, exec_lo, s7
	s_cbranch_vccnz .LBB183_1466
; %bb.1459:
	global_load_u8 v3, v[0:1], off
	s_mov_b32 s7, 0
	s_mov_b32 s8, exec_lo
	s_wait_loadcnt 0x0
	v_cmpx_lt_i16_e32 0x7f, v3
	s_xor_b32 s8, exec_lo, s8
	s_cbranch_execz .LBB183_1479
; %bb.1460:
	s_mov_b32 s7, -1
	s_mov_b32 s10, exec_lo
	v_cmpx_eq_u16_e32 0x80, v3
; %bb.1461:
	s_xor_b32 s7, exec_lo, -1
; %bb.1462:
	s_or_b32 exec_lo, exec_lo, s10
	s_delay_alu instid0(SALU_CYCLE_1)
	s_and_b32 s7, s7, exec_lo
	s_or_saveexec_b32 s8, s8
	v_mov_b32_e32 v5, 0x7e00
	s_xor_b32 exec_lo, exec_lo, s8
	s_cbranch_execnz .LBB183_1480
.LBB183_1463:
	s_or_b32 exec_lo, exec_lo, s8
	s_and_saveexec_b32 s8, s7
	s_cbranch_execz .LBB183_1465
.LBB183_1464:
	v_and_b32_e32 v4, 0xffff, v3
	s_delay_alu instid0(VALU_DEP_1) | instskip(SKIP_1) | instid1(VALU_DEP_2)
	v_and_b32_e32 v5, 7, v4
	v_bfe_u32 v9, v4, 3, 4
	v_clz_i32_u32_e32 v6, v5
	s_delay_alu instid0(VALU_DEP_2) | instskip(NEXT) | instid1(VALU_DEP_2)
	v_cmp_eq_u32_e32 vcc_lo, 0, v9
	v_min_u32_e32 v6, 32, v6
	s_delay_alu instid0(VALU_DEP_1) | instskip(NEXT) | instid1(VALU_DEP_1)
	v_subrev_nc_u32_e32 v8, 28, v6
	v_dual_lshlrev_b32 v4, v8, v4 :: v_dual_sub_nc_u32 v6, 29, v6
	s_delay_alu instid0(VALU_DEP_1) | instskip(NEXT) | instid1(VALU_DEP_2)
	v_dual_lshlrev_b32 v3, 24, v3 :: v_dual_bitop2_b32 v4, 7, v4 bitop3:0x40
	v_cndmask_b32_e32 v6, v9, v6, vcc_lo
	s_delay_alu instid0(VALU_DEP_2) | instskip(NEXT) | instid1(VALU_DEP_3)
	v_cndmask_b32_e32 v4, v5, v4, vcc_lo
	v_and_b32_e32 v3, 0x80000000, v3
	s_delay_alu instid0(VALU_DEP_3) | instskip(NEXT) | instid1(VALU_DEP_3)
	v_lshl_add_u32 v5, v6, 23, 0x3b800000
	v_lshlrev_b32_e32 v4, 20, v4
	s_delay_alu instid0(VALU_DEP_1) | instskip(NEXT) | instid1(VALU_DEP_1)
	v_or3_b32 v3, v3, v5, v4
	v_cvt_f16_f32_e32 v5, v3
.LBB183_1465:
	s_or_b32 exec_lo, exec_lo, s8
.LBB183_1466:
	s_mov_b32 s7, -1
.LBB183_1467:
	s_branch .LBB183_1500
.LBB183_1468:
	s_cmp_gt_i32 s4, 22
	s_cbranch_scc0 .LBB183_1478
; %bb.1469:
	s_cmp_lt_i32 s4, 24
	s_cbranch_scc1 .LBB183_1481
; %bb.1470:
	s_cmp_gt_i32 s4, 24
	s_cbranch_scc0 .LBB183_1482
; %bb.1471:
	global_load_u8 v3, v[0:1], off
	s_mov_b32 s7, exec_lo
	s_wait_loadcnt 0x0
	v_cmpx_lt_i16_e32 0x7f, v3
	s_xor_b32 s7, exec_lo, s7
	s_cbranch_execz .LBB183_1494
; %bb.1472:
	s_mov_b32 s6, -1
	s_mov_b32 s8, exec_lo
	v_cmpx_eq_u16_e32 0x80, v3
; %bb.1473:
	s_xor_b32 s6, exec_lo, -1
; %bb.1474:
	s_or_b32 exec_lo, exec_lo, s8
	s_delay_alu instid0(SALU_CYCLE_1)
	s_and_b32 s6, s6, exec_lo
	s_or_saveexec_b32 s7, s7
	v_mov_b32_e32 v5, 0x7e00
	s_xor_b32 exec_lo, exec_lo, s7
	s_cbranch_execnz .LBB183_1495
.LBB183_1475:
	s_or_b32 exec_lo, exec_lo, s7
	s_and_saveexec_b32 s7, s6
	s_cbranch_execz .LBB183_1477
.LBB183_1476:
	v_and_b32_e32 v4, 0xffff, v3
	s_delay_alu instid0(VALU_DEP_1) | instskip(SKIP_1) | instid1(VALU_DEP_2)
	v_and_b32_e32 v5, 3, v4
	v_bfe_u32 v9, v4, 2, 5
	v_clz_i32_u32_e32 v6, v5
	s_delay_alu instid0(VALU_DEP_2) | instskip(NEXT) | instid1(VALU_DEP_2)
	v_cmp_eq_u32_e32 vcc_lo, 0, v9
	v_min_u32_e32 v6, 32, v6
	s_delay_alu instid0(VALU_DEP_1) | instskip(NEXT) | instid1(VALU_DEP_1)
	v_subrev_nc_u32_e32 v8, 29, v6
	v_dual_lshlrev_b32 v4, v8, v4 :: v_dual_sub_nc_u32 v6, 30, v6
	s_delay_alu instid0(VALU_DEP_1) | instskip(NEXT) | instid1(VALU_DEP_2)
	v_dual_lshlrev_b32 v3, 24, v3 :: v_dual_bitop2_b32 v4, 3, v4 bitop3:0x40
	v_cndmask_b32_e32 v6, v9, v6, vcc_lo
	s_delay_alu instid0(VALU_DEP_2) | instskip(NEXT) | instid1(VALU_DEP_3)
	v_cndmask_b32_e32 v4, v5, v4, vcc_lo
	v_and_b32_e32 v3, 0x80000000, v3
	s_delay_alu instid0(VALU_DEP_3) | instskip(NEXT) | instid1(VALU_DEP_3)
	v_lshl_add_u32 v5, v6, 23, 0x37800000
	v_lshlrev_b32_e32 v4, 21, v4
	s_delay_alu instid0(VALU_DEP_1) | instskip(NEXT) | instid1(VALU_DEP_1)
	v_or3_b32 v3, v3, v5, v4
	v_cvt_f16_f32_e32 v5, v3
.LBB183_1477:
	s_or_b32 exec_lo, exec_lo, s7
	s_mov_b32 s6, 0
	s_branch .LBB183_1483
.LBB183_1478:
	s_mov_b32 s6, -1
                                        ; implicit-def: $vgpr5
	s_branch .LBB183_1489
.LBB183_1479:
	s_or_saveexec_b32 s8, s8
	v_mov_b32_e32 v5, 0x7e00
	s_xor_b32 exec_lo, exec_lo, s8
	s_cbranch_execz .LBB183_1463
.LBB183_1480:
	v_cmp_ne_u16_e32 vcc_lo, 0, v3
	v_mov_b32_e32 v5, v3
	s_and_not1_b32 s7, s7, exec_lo
	s_and_b32 s10, vcc_lo, exec_lo
	s_delay_alu instid0(SALU_CYCLE_1)
	s_or_b32 s7, s7, s10
	s_or_b32 exec_lo, exec_lo, s8
	s_and_saveexec_b32 s8, s7
	s_cbranch_execnz .LBB183_1464
	s_branch .LBB183_1465
.LBB183_1481:
	s_mov_b32 s6, -1
                                        ; implicit-def: $vgpr5
	s_branch .LBB183_1486
.LBB183_1482:
	s_mov_b32 s6, -1
                                        ; implicit-def: $vgpr5
.LBB183_1483:
	s_delay_alu instid0(SALU_CYCLE_1)
	s_and_b32 vcc_lo, exec_lo, s6
	s_cbranch_vccz .LBB183_1485
; %bb.1484:
	global_load_u8 v3, v[0:1], off
	s_wait_loadcnt 0x0
	v_lshlrev_b32_e32 v3, 24, v3
	s_delay_alu instid0(VALU_DEP_1) | instskip(NEXT) | instid1(VALU_DEP_1)
	v_and_b32_e32 v4, 0x7f000000, v3
	v_clz_i32_u32_e32 v5, v4
	v_add_nc_u32_e32 v8, 0x1000000, v4
	v_cmp_ne_u32_e32 vcc_lo, 0, v4
	s_delay_alu instid0(VALU_DEP_3) | instskip(NEXT) | instid1(VALU_DEP_1)
	v_min_u32_e32 v5, 32, v5
	v_sub_nc_u32_e64 v5, v5, 4 clamp
	s_delay_alu instid0(VALU_DEP_1) | instskip(NEXT) | instid1(VALU_DEP_1)
	v_dual_lshlrev_b32 v6, v5, v4 :: v_dual_lshlrev_b32 v5, 23, v5
	v_lshrrev_b32_e32 v6, 4, v6
	s_delay_alu instid0(VALU_DEP_1) | instskip(NEXT) | instid1(VALU_DEP_1)
	v_dual_sub_nc_u32 v5, v6, v5 :: v_dual_ashrrev_i32 v6, 8, v8
	v_add_nc_u32_e32 v5, 0x3c000000, v5
	s_delay_alu instid0(VALU_DEP_1) | instskip(NEXT) | instid1(VALU_DEP_1)
	v_and_or_b32 v5, 0x7f800000, v6, v5
	v_cndmask_b32_e32 v4, 0, v5, vcc_lo
	s_delay_alu instid0(VALU_DEP_1) | instskip(NEXT) | instid1(VALU_DEP_1)
	v_and_or_b32 v3, 0x80000000, v3, v4
	v_cvt_f16_f32_e32 v5, v3
.LBB183_1485:
	s_mov_b32 s6, 0
.LBB183_1486:
	s_delay_alu instid0(SALU_CYCLE_1)
	s_and_not1_b32 vcc_lo, exec_lo, s6
	s_cbranch_vccnz .LBB183_1488
; %bb.1487:
	global_load_u8 v3, v[0:1], off
	s_wait_loadcnt 0x0
	v_lshlrev_b32_e32 v4, 25, v3
	v_lshlrev_b16 v3, 8, v3
	s_delay_alu instid0(VALU_DEP_1) | instskip(SKIP_1) | instid1(VALU_DEP_2)
	v_and_or_b32 v6, 0x7f00, v3, 0.5
	v_bfe_i32 v3, v3, 0, 16
	v_dual_add_f32 v6, -0.5, v6 :: v_dual_lshrrev_b32 v5, 4, v4
	v_cmp_gt_u32_e32 vcc_lo, 0x8000000, v4
	s_delay_alu instid0(VALU_DEP_2) | instskip(NEXT) | instid1(VALU_DEP_1)
	v_or_b32_e32 v5, 0x70000000, v5
	v_mul_f32_e32 v5, 0x7800000, v5
	s_delay_alu instid0(VALU_DEP_1) | instskip(NEXT) | instid1(VALU_DEP_1)
	v_cndmask_b32_e32 v4, v5, v6, vcc_lo
	v_and_or_b32 v3, 0x80000000, v3, v4
	s_delay_alu instid0(VALU_DEP_1)
	v_cvt_f16_f32_e32 v5, v3
.LBB183_1488:
	s_mov_b32 s6, 0
	s_mov_b32 s7, -1
.LBB183_1489:
	s_and_not1_b32 vcc_lo, exec_lo, s6
	s_mov_b32 s6, 0
	s_cbranch_vccnz .LBB183_1500
; %bb.1490:
	s_cmp_gt_i32 s4, 14
	s_cbranch_scc0 .LBB183_1493
; %bb.1491:
	s_cmp_eq_u32 s4, 15
	s_cbranch_scc0 .LBB183_1496
; %bb.1492:
	global_load_u16 v3, v[0:1], off
	s_mov_b32 s5, 0
	s_mov_b32 s7, -1
	s_wait_loadcnt 0x0
	v_lshlrev_b32_e32 v3, 16, v3
	s_delay_alu instid0(VALU_DEP_1)
	v_cvt_f16_f32_e32 v5, v3
	s_branch .LBB183_1498
.LBB183_1493:
	s_mov_b32 s6, -1
	s_branch .LBB183_1497
.LBB183_1494:
	s_or_saveexec_b32 s7, s7
	v_mov_b32_e32 v5, 0x7e00
	s_xor_b32 exec_lo, exec_lo, s7
	s_cbranch_execz .LBB183_1475
.LBB183_1495:
	v_cmp_ne_u16_e32 vcc_lo, 0, v3
	v_mov_b32_e32 v5, v3
	s_and_not1_b32 s6, s6, exec_lo
	s_and_b32 s8, vcc_lo, exec_lo
	s_delay_alu instid0(SALU_CYCLE_1)
	s_or_b32 s6, s6, s8
	s_or_b32 exec_lo, exec_lo, s7
	s_and_saveexec_b32 s7, s6
	s_cbranch_execnz .LBB183_1476
	s_branch .LBB183_1477
.LBB183_1496:
	s_mov_b32 s5, -1
.LBB183_1497:
                                        ; implicit-def: $vgpr5
.LBB183_1498:
	s_and_b32 vcc_lo, exec_lo, s6
	s_mov_b32 s6, 0
	s_cbranch_vccz .LBB183_1500
; %bb.1499:
	s_cmp_lg_u32 s4, 11
	s_mov_b32 s6, -1
	s_cselect_b32 s4, -1, 0
	s_and_not1_b32 s5, s5, exec_lo
	s_and_b32 s4, s4, exec_lo
	s_delay_alu instid0(SALU_CYCLE_1)
	s_or_b32 s5, s5, s4
.LBB183_1500:
	s_mov_b32 s4, 0
.LBB183_1501:
	s_and_b32 s8, s7, exec_lo
	s_and_not1_b32 s7, s43, exec_lo
	s_and_b32 s10, s5, exec_lo
	s_and_b32 s4, s4, exec_lo
	s_and_b32 s5, s6, exec_lo
	s_or_b32 s43, s7, s10
	s_wait_xcnt 0x0
	s_or_b32 exec_lo, exec_lo, s0
	s_and_saveexec_b32 s0, s43
	s_cbranch_execz .LBB183_1430
.LBB183_1502:
	s_or_b32 s1, s1, exec_lo
	s_and_not1_b32 s5, s5, exec_lo
	s_trap 2
	s_or_b32 exec_lo, exec_lo, s0
	s_and_saveexec_b32 s0, s5
	s_delay_alu instid0(SALU_CYCLE_1)
	s_xor_b32 s0, exec_lo, s0
	s_cbranch_execnz .LBB183_1431
.LBB183_1503:
	s_or_b32 exec_lo, exec_lo, s0
	s_and_saveexec_b32 s0, s4
	s_cbranch_execz .LBB183_1549
.LBB183_1504:
	s_sext_i32_i16 s4, s9
	s_delay_alu instid0(SALU_CYCLE_1)
	s_cmp_lt_i32 s4, 5
	s_cbranch_scc1 .LBB183_1509
; %bb.1505:
	s_cmp_lt_i32 s4, 8
	s_cbranch_scc1 .LBB183_1510
; %bb.1506:
	s_cmp_lt_i32 s4, 9
	s_cbranch_scc1 .LBB183_1511
; %bb.1507:
	s_cmp_gt_i32 s4, 9
	s_cbranch_scc0 .LBB183_1512
; %bb.1508:
	s_wait_loadcnt 0x0
	global_load_b64 v[4:5], v[0:1], off
	s_mov_b32 s4, 0
	s_wait_loadcnt 0x0
	v_and_or_b32 v3, 0x1ff, v5, v4
	v_lshrrev_b32_e32 v4, 8, v5
	v_bfe_u32 v6, v5, 20, 11
	s_delay_alu instid0(VALU_DEP_3) | instskip(NEXT) | instid1(VALU_DEP_2)
	v_cmp_ne_u32_e32 vcc_lo, 0, v3
	v_sub_nc_u32_e32 v8, 0x3f1, v6
	v_add_nc_u32_e32 v6, 0xfffffc10, v6
	v_cndmask_b32_e64 v3, 0, 1, vcc_lo
	s_delay_alu instid0(VALU_DEP_1) | instskip(NEXT) | instid1(VALU_DEP_4)
	v_and_or_b32 v3, 0xffe, v4, v3
	v_med3_i32 v4, v8, 0, 13
	s_delay_alu instid0(VALU_DEP_2) | instskip(NEXT) | instid1(VALU_DEP_1)
	v_or_b32_e32 v8, 0x1000, v3
	v_lshrrev_b32_e32 v9, v4, v8
	s_delay_alu instid0(VALU_DEP_1) | instskip(NEXT) | instid1(VALU_DEP_1)
	v_lshlrev_b32_e32 v4, v4, v9
	v_cmp_ne_u32_e32 vcc_lo, v4, v8
	v_lshl_or_b32 v8, v6, 12, v3
	v_cndmask_b32_e64 v4, 0, 1, vcc_lo
	v_cmp_gt_i32_e32 vcc_lo, 1, v6
	s_delay_alu instid0(VALU_DEP_2) | instskip(NEXT) | instid1(VALU_DEP_1)
	v_or_b32_e32 v4, v9, v4
	v_cndmask_b32_e32 v4, v8, v4, vcc_lo
	s_delay_alu instid0(VALU_DEP_1) | instskip(NEXT) | instid1(VALU_DEP_1)
	v_and_b32_e32 v8, 7, v4
	v_cmp_lt_i32_e32 vcc_lo, 5, v8
	v_cndmask_b32_e64 v9, 0, 1, vcc_lo
	v_cmp_eq_u32_e32 vcc_lo, 3, v8
	v_cndmask_b32_e64 v8, 0, 1, vcc_lo
	v_cmp_ne_u32_e32 vcc_lo, 0, v3
	s_delay_alu instid0(VALU_DEP_2) | instskip(NEXT) | instid1(VALU_DEP_1)
	v_dual_lshrrev_b32 v4, 2, v4 :: v_dual_bitop2_b32 v8, v8, v9 bitop3:0x54
	v_dual_mov_b32 v9, 0x7e00 :: v_dual_add_nc_u32 v4, v4, v8
	s_delay_alu instid0(VALU_DEP_1) | instskip(SKIP_1) | instid1(VALU_DEP_3)
	v_cndmask_b32_e32 v3, 0x7c00, v9, vcc_lo
	v_cmp_gt_i32_e32 vcc_lo, 31, v6
	v_cndmask_b32_e32 v4, 0x7c00, v4, vcc_lo
	v_cmp_eq_u32_e32 vcc_lo, 0x40f, v6
	s_delay_alu instid0(VALU_DEP_2) | instskip(NEXT) | instid1(VALU_DEP_1)
	v_dual_cndmask_b32 v3, v4, v3 :: v_dual_lshrrev_b32 v4, 16, v5
	v_and_or_b32 v5, 0x8000, v4, v3
	s_branch .LBB183_1513
.LBB183_1509:
                                        ; implicit-def: $vgpr5
	s_branch .LBB183_1530
.LBB183_1510:
                                        ; implicit-def: $vgpr5
	s_branch .LBB183_1519
.LBB183_1511:
	s_mov_b32 s4, -1
                                        ; implicit-def: $vgpr5
	s_branch .LBB183_1516
.LBB183_1512:
	s_mov_b32 s4, -1
                                        ; implicit-def: $vgpr5
.LBB183_1513:
	s_delay_alu instid0(SALU_CYCLE_1)
	s_and_not1_b32 vcc_lo, exec_lo, s4
	s_cbranch_vccnz .LBB183_1515
; %bb.1514:
	s_wait_loadcnt 0x0
	global_load_b32 v3, v[0:1], off
	s_wait_loadcnt 0x0
	v_cvt_f16_f32_e32 v5, v3
.LBB183_1515:
	s_mov_b32 s4, 0
.LBB183_1516:
	s_delay_alu instid0(SALU_CYCLE_1)
	s_and_not1_b32 vcc_lo, exec_lo, s4
	s_cbranch_vccnz .LBB183_1518
; %bb.1517:
	s_wait_loadcnt 0x0
	global_load_b32 v5, v[0:1], off
.LBB183_1518:
	s_cbranch_execnz .LBB183_1529
.LBB183_1519:
	s_sext_i32_i16 s4, s9
	s_delay_alu instid0(SALU_CYCLE_1)
	s_cmp_lt_i32 s4, 6
	s_cbranch_scc1 .LBB183_1522
; %bb.1520:
	s_cmp_gt_i32 s4, 6
	s_cbranch_scc0 .LBB183_1523
; %bb.1521:
	s_wait_loadcnt 0x0
	global_load_b64 v[4:5], v[0:1], off
	s_mov_b32 s4, 0
	s_wait_loadcnt 0x0
	v_and_or_b32 v3, 0x1ff, v5, v4
	v_lshrrev_b32_e32 v4, 8, v5
	v_bfe_u32 v6, v5, 20, 11
	s_delay_alu instid0(VALU_DEP_3) | instskip(NEXT) | instid1(VALU_DEP_2)
	v_cmp_ne_u32_e32 vcc_lo, 0, v3
	v_sub_nc_u32_e32 v8, 0x3f1, v6
	v_add_nc_u32_e32 v6, 0xfffffc10, v6
	v_cndmask_b32_e64 v3, 0, 1, vcc_lo
	s_delay_alu instid0(VALU_DEP_1) | instskip(NEXT) | instid1(VALU_DEP_4)
	v_and_or_b32 v3, 0xffe, v4, v3
	v_med3_i32 v4, v8, 0, 13
	s_delay_alu instid0(VALU_DEP_2) | instskip(NEXT) | instid1(VALU_DEP_1)
	v_or_b32_e32 v8, 0x1000, v3
	v_lshrrev_b32_e32 v9, v4, v8
	s_delay_alu instid0(VALU_DEP_1) | instskip(NEXT) | instid1(VALU_DEP_1)
	v_lshlrev_b32_e32 v4, v4, v9
	v_cmp_ne_u32_e32 vcc_lo, v4, v8
	v_lshl_or_b32 v8, v6, 12, v3
	v_cndmask_b32_e64 v4, 0, 1, vcc_lo
	v_cmp_gt_i32_e32 vcc_lo, 1, v6
	s_delay_alu instid0(VALU_DEP_2) | instskip(NEXT) | instid1(VALU_DEP_1)
	v_or_b32_e32 v4, v9, v4
	v_cndmask_b32_e32 v4, v8, v4, vcc_lo
	s_delay_alu instid0(VALU_DEP_1) | instskip(NEXT) | instid1(VALU_DEP_1)
	v_and_b32_e32 v8, 7, v4
	v_cmp_lt_i32_e32 vcc_lo, 5, v8
	v_cndmask_b32_e64 v9, 0, 1, vcc_lo
	v_cmp_eq_u32_e32 vcc_lo, 3, v8
	v_cndmask_b32_e64 v8, 0, 1, vcc_lo
	v_cmp_ne_u32_e32 vcc_lo, 0, v3
	s_delay_alu instid0(VALU_DEP_2) | instskip(NEXT) | instid1(VALU_DEP_1)
	v_dual_lshrrev_b32 v4, 2, v4 :: v_dual_bitop2_b32 v8, v8, v9 bitop3:0x54
	v_dual_mov_b32 v9, 0x7e00 :: v_dual_add_nc_u32 v4, v4, v8
	s_delay_alu instid0(VALU_DEP_1) | instskip(SKIP_1) | instid1(VALU_DEP_3)
	v_cndmask_b32_e32 v3, 0x7c00, v9, vcc_lo
	v_cmp_gt_i32_e32 vcc_lo, 31, v6
	v_cndmask_b32_e32 v4, 0x7c00, v4, vcc_lo
	v_cmp_eq_u32_e32 vcc_lo, 0x40f, v6
	s_delay_alu instid0(VALU_DEP_2) | instskip(NEXT) | instid1(VALU_DEP_1)
	v_dual_cndmask_b32 v3, v4, v3 :: v_dual_lshrrev_b32 v4, 16, v5
	v_and_or_b32 v5, 0x8000, v4, v3
	s_branch .LBB183_1524
.LBB183_1522:
	s_mov_b32 s4, -1
                                        ; implicit-def: $vgpr5
	s_branch .LBB183_1527
.LBB183_1523:
	s_mov_b32 s4, -1
                                        ; implicit-def: $vgpr5
.LBB183_1524:
	s_delay_alu instid0(SALU_CYCLE_1)
	s_and_not1_b32 vcc_lo, exec_lo, s4
	s_cbranch_vccnz .LBB183_1526
; %bb.1525:
	s_wait_loadcnt 0x0
	global_load_b32 v3, v[0:1], off
	s_wait_loadcnt 0x0
	v_cvt_f16_f32_e32 v5, v3
.LBB183_1526:
	s_mov_b32 s4, 0
.LBB183_1527:
	s_delay_alu instid0(SALU_CYCLE_1)
	s_and_not1_b32 vcc_lo, exec_lo, s4
	s_cbranch_vccnz .LBB183_1529
; %bb.1528:
	s_wait_loadcnt 0x0
	global_load_u16 v5, v[0:1], off
.LBB183_1529:
	s_cbranch_execnz .LBB183_1548
.LBB183_1530:
	s_sext_i32_i16 s4, s9
	s_delay_alu instid0(SALU_CYCLE_1)
	s_cmp_lt_i32 s4, 2
	s_cbranch_scc1 .LBB183_1534
; %bb.1531:
	s_cmp_lt_i32 s4, 3
	s_cbranch_scc1 .LBB183_1535
; %bb.1532:
	s_cmp_gt_i32 s4, 3
	s_cbranch_scc0 .LBB183_1536
; %bb.1533:
	s_wait_loadcnt 0x0
	global_load_b64 v[4:5], v[0:1], off
	s_mov_b32 s4, 0
	s_wait_loadcnt 0x0
	v_xor_b32_e32 v3, v4, v5
	v_cls_i32_e32 v6, v5
	s_delay_alu instid0(VALU_DEP_2) | instskip(NEXT) | instid1(VALU_DEP_1)
	v_ashrrev_i32_e32 v3, 31, v3
	v_add_nc_u32_e32 v3, 32, v3
	s_delay_alu instid0(VALU_DEP_1) | instskip(NEXT) | instid1(VALU_DEP_1)
	v_add_min_u32_e64 v3, v6, -1, v3
	v_lshlrev_b64_e32 v[4:5], v3, v[4:5]
	v_sub_nc_u32_e32 v3, 32, v3
	s_delay_alu instid0(VALU_DEP_2) | instskip(NEXT) | instid1(VALU_DEP_1)
	v_min_u32_e32 v4, 1, v4
	v_or_b32_e32 v4, v5, v4
	s_delay_alu instid0(VALU_DEP_1) | instskip(NEXT) | instid1(VALU_DEP_1)
	v_cvt_f32_i32_e32 v4, v4
	v_ldexp_f32 v3, v4, v3
	s_delay_alu instid0(VALU_DEP_1)
	v_cvt_f16_f32_e32 v5, v3
	s_branch .LBB183_1537
.LBB183_1534:
                                        ; implicit-def: $vgpr5
	s_branch .LBB183_1543
.LBB183_1535:
	s_mov_b32 s4, -1
                                        ; implicit-def: $vgpr5
	s_branch .LBB183_1540
.LBB183_1536:
	s_mov_b32 s4, -1
                                        ; implicit-def: $vgpr5
.LBB183_1537:
	s_delay_alu instid0(SALU_CYCLE_1)
	s_and_not1_b32 vcc_lo, exec_lo, s4
	s_cbranch_vccnz .LBB183_1539
; %bb.1538:
	s_wait_loadcnt 0x0
	global_load_b32 v3, v[0:1], off
	s_wait_loadcnt 0x0
	v_cvt_f32_i32_e32 v3, v3
	s_delay_alu instid0(VALU_DEP_1)
	v_cvt_f16_f32_e32 v5, v3
.LBB183_1539:
	s_mov_b32 s4, 0
.LBB183_1540:
	s_delay_alu instid0(SALU_CYCLE_1)
	s_and_not1_b32 vcc_lo, exec_lo, s4
	s_cbranch_vccnz .LBB183_1542
; %bb.1541:
	s_wait_loadcnt 0x0
	global_load_u16 v3, v[0:1], off
	s_wait_loadcnt 0x0
	v_cvt_f16_i16_e32 v5, v3
.LBB183_1542:
	s_cbranch_execnz .LBB183_1548
.LBB183_1543:
	s_sext_i32_i16 s4, s9
	s_delay_alu instid0(SALU_CYCLE_1)
	s_cmp_gt_i32 s4, 0
	s_mov_b32 s4, 0
	s_cbranch_scc0 .LBB183_1545
; %bb.1544:
	s_wait_loadcnt 0x0
	global_load_i8 v3, v[0:1], off
	s_wait_loadcnt 0x0
	v_cvt_f16_i16_e32 v5, v3
	s_branch .LBB183_1546
.LBB183_1545:
	s_mov_b32 s4, -1
                                        ; implicit-def: $vgpr5
.LBB183_1546:
	s_delay_alu instid0(SALU_CYCLE_1)
	s_and_not1_b32 vcc_lo, exec_lo, s4
	s_cbranch_vccnz .LBB183_1548
; %bb.1547:
	s_wait_loadcnt 0x0
	global_load_u8 v0, v[0:1], off
	s_wait_loadcnt 0x0
	v_cvt_f16_u16_e32 v5, v0
.LBB183_1548:
	s_or_b32 s8, s8, exec_lo
.LBB183_1549:
	s_wait_xcnt 0x0
	s_or_b32 exec_lo, exec_lo, s0
	s_mov_b32 s0, 0
	s_mov_b32 s6, 0
                                        ; implicit-def: $sgpr4
                                        ; implicit-def: $vgpr0_vgpr1
                                        ; implicit-def: $vgpr3
	s_and_saveexec_b32 s5, s8
	s_cbranch_execz .LBB183_1557
; %bb.1550:
	v_mov_b32_e32 v3, 0
	s_wait_loadcnt 0x0
	v_mul_f16_e32 v4, s33, v7
	s_and_b32 s4, s34, 0xff
	s_delay_alu instid0(SALU_CYCLE_1) | instskip(SKIP_1) | instid1(VALU_DEP_2)
	s_cmp_lt_i32 s4, 11
	v_add_nc_u64_e32 v[0:1], s[16:17], v[2:3]
	v_mul_f16_e32 v3, v4, v5
	s_cbranch_scc1 .LBB183_1560
; %bb.1551:
	s_and_b32 s6, 0xffff, s4
	s_mov_b32 s7, -1
	s_cmp_gt_i32 s6, 25
	s_mov_b32 s0, s42
	s_cbranch_scc0 .LBB183_1588
; %bb.1552:
	s_cmp_gt_i32 s6, 28
	s_mov_b32 s0, s42
	s_cbranch_scc0 .LBB183_1572
; %bb.1553:
	;; [unrolled: 4-line block ×4, first 2 shown]
	s_cmp_eq_u32 s6, 46
	s_mov_b32 s0, -1
	s_cbranch_scc0 .LBB183_1561
; %bb.1556:
	v_cvt_f32_f16_e32 v2, v3
	v_cmp_o_f16_e32 vcc_lo, v3, v3
	s_mov_b32 s0, 0
	s_mov_b32 s7, 0
	s_delay_alu instid0(VALU_DEP_2) | instskip(NEXT) | instid1(VALU_DEP_1)
	v_bfe_u32 v4, v2, 16, 1
	v_add3_u32 v2, v2, v4, 0x7fff
	s_delay_alu instid0(VALU_DEP_1) | instskip(NEXT) | instid1(VALU_DEP_1)
	v_lshrrev_b32_e32 v2, 16, v2
	v_cndmask_b32_e32 v2, 0x7fc0, v2, vcc_lo
	global_store_b32 v[0:1], v2, off
	s_branch .LBB183_1562
.LBB183_1557:
	s_or_b32 exec_lo, exec_lo, s5
	s_and_saveexec_b32 s5, s42
	s_cbranch_execnz .LBB183_1630
.LBB183_1558:
	s_or_b32 exec_lo, exec_lo, s5
	s_and_saveexec_b32 s5, s0
	s_delay_alu instid0(SALU_CYCLE_1)
	s_xor_b32 s0, exec_lo, s5
	s_cbranch_execz .LBB183_1631
.LBB183_1559:
	v_cmp_neq_f16_e32 vcc_lo, 0, v3
	v_cndmask_b32_e64 v2, 0, 1, vcc_lo
	s_wait_loadcnt 0x0
	global_store_b8 v[0:1], v2, off
	s_wait_xcnt 0x0
	s_or_b32 exec_lo, exec_lo, s0
	s_and_saveexec_b32 s0, s6
	s_delay_alu instid0(SALU_CYCLE_1)
	s_xor_b32 s0, exec_lo, s0
	s_cbranch_execz .LBB183_1669
	s_branch .LBB183_1632
.LBB183_1560:
	s_mov_b32 s8, 0
	s_mov_b32 s7, -1
	s_mov_b32 s0, s42
	s_branch .LBB183_1629
.LBB183_1561:
	s_mov_b32 s7, 0
.LBB183_1562:
	s_delay_alu instid0(SALU_CYCLE_1)
	s_and_b32 vcc_lo, exec_lo, s7
	s_cbranch_vccz .LBB183_1567
; %bb.1563:
	s_cmp_eq_u32 s6, 44
	s_mov_b32 s0, -1
	s_cbranch_scc0 .LBB183_1567
; %bb.1564:
	s_wait_xcnt 0x0
	v_cvt_f32_f16_e32 v2, v3
	v_mov_b32_e32 v4, 0xff
	s_mov_b32 s7, exec_lo
	s_delay_alu instid0(VALU_DEP_2) | instskip(NEXT) | instid1(VALU_DEP_1)
	v_bfe_u32 v5, v2, 23, 8
	v_cmpx_ne_u32_e32 0xff, v5
	s_cbranch_execz .LBB183_1566
; %bb.1565:
	v_and_b32_e32 v4, 0x400000, v2
	v_and_or_b32 v5, 0x3fffff, v2, v5
	v_lshrrev_b32_e32 v2, 23, v2
	s_delay_alu instid0(VALU_DEP_3) | instskip(NEXT) | instid1(VALU_DEP_3)
	v_cmp_ne_u32_e32 vcc_lo, 0, v4
	v_cmp_ne_u32_e64 s0, 0, v5
	s_and_b32 s0, vcc_lo, s0
	s_delay_alu instid0(SALU_CYCLE_1) | instskip(NEXT) | instid1(VALU_DEP_1)
	v_cndmask_b32_e64 v4, 0, 1, s0
	v_add_nc_u32_e32 v4, v2, v4
.LBB183_1566:
	s_or_b32 exec_lo, exec_lo, s7
	s_mov_b32 s0, 0
	global_store_b8 v[0:1], v4, off
.LBB183_1567:
	s_mov_b32 s7, 0
.LBB183_1568:
	s_delay_alu instid0(SALU_CYCLE_1)
	s_and_b32 vcc_lo, exec_lo, s7
	s_cbranch_vccz .LBB183_1571
; %bb.1569:
	s_cmp_eq_u32 s6, 29
	s_mov_b32 s0, -1
	s_cbranch_scc0 .LBB183_1571
; %bb.1570:
	s_wait_xcnt 0x0
	v_cvt_f32_f16_e32 v2, v3
	v_mov_b32_e32 v5, 0
	s_mov_b32 s0, 0
	s_mov_b32 s7, 0
	s_delay_alu instid0(VALU_DEP_2)
	v_cvt_u32_f32_e32 v4, v2
	global_store_b64 v[0:1], v[4:5], off
	s_branch .LBB183_1572
.LBB183_1571:
	s_mov_b32 s7, 0
.LBB183_1572:
	s_delay_alu instid0(SALU_CYCLE_1)
	s_and_b32 vcc_lo, exec_lo, s7
	s_cbranch_vccz .LBB183_1587
; %bb.1573:
	s_cmp_lt_i32 s6, 27
	s_mov_b32 s7, -1
	s_cbranch_scc1 .LBB183_1579
; %bb.1574:
	s_cmp_gt_i32 s6, 27
	s_cbranch_scc0 .LBB183_1576
; %bb.1575:
	s_wait_xcnt 0x0
	v_cvt_f32_f16_e32 v2, v3
	s_mov_b32 s7, 0
	s_delay_alu instid0(VALU_DEP_1)
	v_cvt_u32_f32_e32 v2, v2
	global_store_b32 v[0:1], v2, off
.LBB183_1576:
	s_and_not1_b32 vcc_lo, exec_lo, s7
	s_cbranch_vccnz .LBB183_1578
; %bb.1577:
	s_wait_xcnt 0x0
	v_cvt_u16_f16_e32 v2, v3
	global_store_b16 v[0:1], v2, off
.LBB183_1578:
	s_mov_b32 s7, 0
.LBB183_1579:
	s_delay_alu instid0(SALU_CYCLE_1)
	s_and_not1_b32 vcc_lo, exec_lo, s7
	s_cbranch_vccnz .LBB183_1587
; %bb.1580:
	s_wait_xcnt 0x0
	v_cvt_f32_f16_e32 v2, v3
	v_mov_b32_e32 v5, 0x80
	s_mov_b32 s7, exec_lo
	s_delay_alu instid0(VALU_DEP_2) | instskip(NEXT) | instid1(VALU_DEP_1)
	v_and_b32_e32 v4, 0x7fffffff, v2
	v_cmpx_gt_u32_e32 0x43800000, v4
	s_cbranch_execz .LBB183_1586
; %bb.1581:
	v_cmp_lt_u32_e32 vcc_lo, 0x3bffffff, v4
	s_mov_b32 s8, 0
                                        ; implicit-def: $vgpr4
	s_and_saveexec_b32 s9, vcc_lo
	s_delay_alu instid0(SALU_CYCLE_1)
	s_xor_b32 s9, exec_lo, s9
	s_cbranch_execz .LBB183_1745
; %bb.1582:
	v_bfe_u32 v4, v2, 20, 1
	s_mov_b32 s8, exec_lo
	s_delay_alu instid0(VALU_DEP_1) | instskip(NEXT) | instid1(VALU_DEP_1)
	v_add3_u32 v4, v2, v4, 0x487ffff
	v_lshrrev_b32_e32 v4, 20, v4
	s_and_not1_saveexec_b32 s9, s9
	s_cbranch_execnz .LBB183_1746
.LBB183_1583:
	s_or_b32 exec_lo, exec_lo, s9
	v_mov_b32_e32 v5, 0
	s_and_saveexec_b32 s9, s8
.LBB183_1584:
	v_lshrrev_b32_e32 v2, 24, v2
	s_delay_alu instid0(VALU_DEP_1)
	v_and_or_b32 v5, 0x80, v2, v4
.LBB183_1585:
	s_or_b32 exec_lo, exec_lo, s9
.LBB183_1586:
	s_delay_alu instid0(SALU_CYCLE_1)
	s_or_b32 exec_lo, exec_lo, s7
	global_store_b8 v[0:1], v5, off
.LBB183_1587:
	s_mov_b32 s7, 0
.LBB183_1588:
	s_delay_alu instid0(SALU_CYCLE_1)
	s_and_b32 vcc_lo, exec_lo, s7
	s_mov_b32 s7, 0
	s_cbranch_vccz .LBB183_1628
; %bb.1589:
	s_cmp_gt_i32 s6, 22
	s_mov_b32 s8, -1
	s_cbranch_scc0 .LBB183_1621
; %bb.1590:
	s_cmp_lt_i32 s6, 24
	s_cbranch_scc1 .LBB183_1610
; %bb.1591:
	s_cmp_gt_i32 s6, 24
	s_cbranch_scc0 .LBB183_1599
; %bb.1592:
	s_wait_xcnt 0x0
	v_cvt_f32_f16_e32 v2, v3
	v_mov_b32_e32 v5, 0x80
	s_mov_b32 s8, exec_lo
	s_delay_alu instid0(VALU_DEP_2) | instskip(NEXT) | instid1(VALU_DEP_1)
	v_and_b32_e32 v4, 0x7fffffff, v2
	v_cmpx_gt_u32_e32 0x47800000, v4
	s_cbranch_execz .LBB183_1598
; %bb.1593:
	v_cmp_lt_u32_e32 vcc_lo, 0x37ffffff, v4
	s_mov_b32 s9, 0
                                        ; implicit-def: $vgpr4
	s_and_saveexec_b32 s10, vcc_lo
	s_delay_alu instid0(SALU_CYCLE_1)
	s_xor_b32 s10, exec_lo, s10
	s_cbranch_execz .LBB183_1748
; %bb.1594:
	v_bfe_u32 v4, v2, 21, 1
	s_mov_b32 s9, exec_lo
	s_delay_alu instid0(VALU_DEP_1) | instskip(NEXT) | instid1(VALU_DEP_1)
	v_add3_u32 v4, v2, v4, 0x88fffff
	v_lshrrev_b32_e32 v4, 21, v4
	s_and_not1_saveexec_b32 s10, s10
	s_cbranch_execnz .LBB183_1749
.LBB183_1595:
	s_or_b32 exec_lo, exec_lo, s10
	v_mov_b32_e32 v5, 0
	s_and_saveexec_b32 s10, s9
.LBB183_1596:
	v_lshrrev_b32_e32 v2, 24, v2
	s_delay_alu instid0(VALU_DEP_1)
	v_and_or_b32 v5, 0x80, v2, v4
.LBB183_1597:
	s_or_b32 exec_lo, exec_lo, s10
.LBB183_1598:
	s_delay_alu instid0(SALU_CYCLE_1)
	s_or_b32 exec_lo, exec_lo, s8
	s_mov_b32 s8, 0
	global_store_b8 v[0:1], v5, off
.LBB183_1599:
	s_and_b32 vcc_lo, exec_lo, s8
	s_cbranch_vccz .LBB183_1609
; %bb.1600:
	s_wait_xcnt 0x0
	v_cvt_f32_f16_e32 v2, v3
	s_mov_b32 s8, exec_lo
                                        ; implicit-def: $vgpr4
	s_delay_alu instid0(VALU_DEP_1) | instskip(NEXT) | instid1(VALU_DEP_1)
	v_and_b32_e32 v5, 0x7fffffff, v2
	v_cmpx_gt_u32_e32 0x43f00000, v5
	s_xor_b32 s8, exec_lo, s8
	s_cbranch_execz .LBB183_1606
; %bb.1601:
	s_mov_b32 s9, exec_lo
                                        ; implicit-def: $vgpr4
	v_cmpx_lt_u32_e32 0x3c7fffff, v5
	s_xor_b32 s9, exec_lo, s9
; %bb.1602:
	v_bfe_u32 v4, v2, 20, 1
	s_delay_alu instid0(VALU_DEP_1) | instskip(NEXT) | instid1(VALU_DEP_1)
	v_add3_u32 v4, v2, v4, 0x407ffff
	v_and_b32_e32 v5, 0xff00000, v4
	v_lshrrev_b32_e32 v4, 20, v4
	s_delay_alu instid0(VALU_DEP_2) | instskip(NEXT) | instid1(VALU_DEP_2)
	v_cmp_ne_u32_e32 vcc_lo, 0x7f00000, v5
	v_cndmask_b32_e32 v4, 0x7e, v4, vcc_lo
; %bb.1603:
	s_and_not1_saveexec_b32 s9, s9
; %bb.1604:
	v_add_f32_e64 v4, 0x46800000, |v2|
; %bb.1605:
	s_or_b32 exec_lo, exec_lo, s9
                                        ; implicit-def: $vgpr5
.LBB183_1606:
	s_and_not1_saveexec_b32 s8, s8
; %bb.1607:
	v_mov_b32_e32 v4, 0x7f
	v_cmp_lt_u32_e32 vcc_lo, 0x7f800000, v5
	s_delay_alu instid0(VALU_DEP_2)
	v_cndmask_b32_e32 v4, 0x7e, v4, vcc_lo
; %bb.1608:
	s_or_b32 exec_lo, exec_lo, s8
	v_lshrrev_b32_e32 v2, 24, v2
	s_delay_alu instid0(VALU_DEP_1)
	v_and_or_b32 v2, 0x80, v2, v4
	global_store_b8 v[0:1], v2, off
.LBB183_1609:
	s_mov_b32 s8, 0
.LBB183_1610:
	s_delay_alu instid0(SALU_CYCLE_1)
	s_and_not1_b32 vcc_lo, exec_lo, s8
	s_cbranch_vccnz .LBB183_1620
; %bb.1611:
	s_wait_xcnt 0x0
	v_cvt_f32_f16_e32 v2, v3
	s_mov_b32 s8, exec_lo
                                        ; implicit-def: $vgpr4
	s_delay_alu instid0(VALU_DEP_1) | instskip(NEXT) | instid1(VALU_DEP_1)
	v_and_b32_e32 v5, 0x7fffffff, v2
	v_cmpx_gt_u32_e32 0x47800000, v5
	s_xor_b32 s8, exec_lo, s8
	s_cbranch_execz .LBB183_1617
; %bb.1612:
	s_mov_b32 s9, exec_lo
                                        ; implicit-def: $vgpr4
	v_cmpx_lt_u32_e32 0x387fffff, v5
	s_xor_b32 s9, exec_lo, s9
; %bb.1613:
	v_bfe_u32 v4, v2, 21, 1
	s_delay_alu instid0(VALU_DEP_1) | instskip(NEXT) | instid1(VALU_DEP_1)
	v_add3_u32 v4, v2, v4, 0x80fffff
	v_lshrrev_b32_e32 v4, 21, v4
; %bb.1614:
	s_and_not1_saveexec_b32 s9, s9
; %bb.1615:
	v_add_f32_e64 v4, 0x43000000, |v2|
; %bb.1616:
	s_or_b32 exec_lo, exec_lo, s9
                                        ; implicit-def: $vgpr5
.LBB183_1617:
	s_and_not1_saveexec_b32 s8, s8
; %bb.1618:
	v_mov_b32_e32 v4, 0x7f
	v_cmp_lt_u32_e32 vcc_lo, 0x7f800000, v5
	s_delay_alu instid0(VALU_DEP_2)
	v_cndmask_b32_e32 v4, 0x7c, v4, vcc_lo
; %bb.1619:
	s_or_b32 exec_lo, exec_lo, s8
	v_lshrrev_b32_e32 v2, 24, v2
	s_delay_alu instid0(VALU_DEP_1)
	v_and_or_b32 v2, 0x80, v2, v4
	global_store_b8 v[0:1], v2, off
.LBB183_1620:
	s_mov_b32 s8, 0
.LBB183_1621:
	s_delay_alu instid0(SALU_CYCLE_1)
	s_and_not1_b32 vcc_lo, exec_lo, s8
	s_mov_b32 s8, 0
	s_cbranch_vccnz .LBB183_1629
; %bb.1622:
	s_cmp_gt_i32 s6, 14
	s_mov_b32 s8, -1
	s_cbranch_scc0 .LBB183_1626
; %bb.1623:
	s_cmp_eq_u32 s6, 15
	s_mov_b32 s0, -1
	s_cbranch_scc0 .LBB183_1625
; %bb.1624:
	s_wait_xcnt 0x0
	v_cvt_f32_f16_e32 v2, v3
	v_cmp_o_f16_e32 vcc_lo, v3, v3
	s_mov_b32 s0, 0
	s_delay_alu instid0(VALU_DEP_2) | instskip(NEXT) | instid1(VALU_DEP_1)
	v_bfe_u32 v4, v2, 16, 1
	v_add3_u32 v2, v2, v4, 0x7fff
	s_delay_alu instid0(VALU_DEP_1) | instskip(NEXT) | instid1(VALU_DEP_1)
	v_lshrrev_b32_e32 v2, 16, v2
	v_cndmask_b32_e32 v2, 0x7fc0, v2, vcc_lo
	global_store_b16 v[0:1], v2, off
.LBB183_1625:
	s_mov_b32 s8, 0
.LBB183_1626:
	s_delay_alu instid0(SALU_CYCLE_1)
	s_and_b32 vcc_lo, exec_lo, s8
	s_mov_b32 s8, 0
	s_cbranch_vccz .LBB183_1629
; %bb.1627:
	s_cmp_lg_u32 s6, 11
	s_mov_b32 s8, -1
	s_cselect_b32 s6, -1, 0
	s_and_not1_b32 s0, s0, exec_lo
	s_and_b32 s6, s6, exec_lo
	s_delay_alu instid0(SALU_CYCLE_1)
	s_or_b32 s0, s0, s6
	s_branch .LBB183_1629
.LBB183_1628:
	s_mov_b32 s8, 0
.LBB183_1629:
	s_and_b32 s6, s7, exec_lo
	s_and_not1_b32 s7, s42, exec_lo
	s_and_b32 s9, s0, exec_lo
	s_and_b32 s0, s8, exec_lo
	s_or_b32 s42, s7, s9
	s_wait_xcnt 0x0
	s_or_b32 exec_lo, exec_lo, s5
	s_and_saveexec_b32 s5, s42
	s_cbranch_execz .LBB183_1558
.LBB183_1630:
	s_or_b32 s1, s1, exec_lo
	s_and_not1_b32 s0, s0, exec_lo
	s_trap 2
	s_or_b32 exec_lo, exec_lo, s5
	s_and_saveexec_b32 s5, s0
	s_delay_alu instid0(SALU_CYCLE_1)
	s_xor_b32 s0, exec_lo, s5
	s_cbranch_execnz .LBB183_1559
.LBB183_1631:
	s_or_b32 exec_lo, exec_lo, s0
	s_and_saveexec_b32 s0, s6
	s_delay_alu instid0(SALU_CYCLE_1)
	s_xor_b32 s0, exec_lo, s0
	s_cbranch_execz .LBB183_1669
.LBB183_1632:
	s_sext_i32_i16 s6, s4
	s_mov_b32 s5, -1
	s_cmp_lt_i32 s6, 5
	s_cbranch_scc1 .LBB183_1653
; %bb.1633:
	s_cmp_lt_i32 s6, 8
	s_cbranch_scc1 .LBB183_1643
; %bb.1634:
	;; [unrolled: 3-line block ×3, first 2 shown]
	s_cmp_gt_i32 s6, 9
	s_cbranch_scc0 .LBB183_1637
; %bb.1636:
	v_cvt_f32_f16_e32 v2, v3
	s_wait_loadcnt 0x0
	v_mov_b32_e32 v6, 0
	s_mov_b32 s5, 0
	s_delay_alu instid0(VALU_DEP_2) | instskip(NEXT) | instid1(VALU_DEP_2)
	v_cvt_f64_f32_e32 v[4:5], v2
	v_mov_b32_e32 v7, v6
	global_store_b128 v[0:1], v[4:7], off
.LBB183_1637:
	s_and_not1_b32 vcc_lo, exec_lo, s5
	s_cbranch_vccnz .LBB183_1639
; %bb.1638:
	s_wait_xcnt 0x0
	v_cvt_f32_f16_e32 v4, v3
	s_wait_loadcnt 0x0
	v_mov_b32_e32 v5, 0
	global_store_b64 v[0:1], v[4:5], off
.LBB183_1639:
	s_mov_b32 s5, 0
.LBB183_1640:
	s_delay_alu instid0(SALU_CYCLE_1)
	s_and_not1_b32 vcc_lo, exec_lo, s5
	s_cbranch_vccnz .LBB183_1642
; %bb.1641:
	v_and_b32_e32 v2, 0xffff, v3
	s_wait_loadcnt 0x0
	global_store_b32 v[0:1], v2, off
.LBB183_1642:
	s_mov_b32 s5, 0
.LBB183_1643:
	s_delay_alu instid0(SALU_CYCLE_1)
	s_and_not1_b32 vcc_lo, exec_lo, s5
	s_cbranch_vccnz .LBB183_1652
; %bb.1644:
	s_sext_i32_i16 s6, s4
	s_mov_b32 s5, -1
	s_cmp_lt_i32 s6, 6
	s_cbranch_scc1 .LBB183_1650
; %bb.1645:
	s_cmp_gt_i32 s6, 6
	s_cbranch_scc0 .LBB183_1647
; %bb.1646:
	s_wait_xcnt 0x0
	v_cvt_f32_f16_e32 v2, v3
	s_mov_b32 s5, 0
	s_wait_loadcnt 0x0
	s_delay_alu instid0(VALU_DEP_1)
	v_cvt_f64_f32_e32 v[4:5], v2
	global_store_b64 v[0:1], v[4:5], off
.LBB183_1647:
	s_and_not1_b32 vcc_lo, exec_lo, s5
	s_cbranch_vccnz .LBB183_1649
; %bb.1648:
	s_wait_xcnt 0x0
	v_cvt_f32_f16_e32 v2, v3
	s_wait_loadcnt 0x0
	global_store_b32 v[0:1], v2, off
.LBB183_1649:
	s_mov_b32 s5, 0
.LBB183_1650:
	s_delay_alu instid0(SALU_CYCLE_1)
	s_and_not1_b32 vcc_lo, exec_lo, s5
	s_cbranch_vccnz .LBB183_1652
; %bb.1651:
	s_wait_loadcnt 0x0
	global_store_b16 v[0:1], v3, off
.LBB183_1652:
	s_mov_b32 s5, 0
.LBB183_1653:
	s_delay_alu instid0(SALU_CYCLE_1)
	s_and_not1_b32 vcc_lo, exec_lo, s5
	s_cbranch_vccnz .LBB183_1669
; %bb.1654:
	s_sext_i32_i16 s6, s4
	s_mov_b32 s5, -1
	s_cmp_lt_i32 s6, 2
	s_cbranch_scc1 .LBB183_1664
; %bb.1655:
	s_cmp_lt_i32 s6, 3
	s_cbranch_scc1 .LBB183_1661
; %bb.1656:
	s_cmp_gt_i32 s6, 3
	s_cbranch_scc0 .LBB183_1658
; %bb.1657:
	s_wait_xcnt 0x0
	v_cvt_f32_f16_e32 v2, v3
	s_mov_b32 s5, 0
	s_delay_alu instid0(VALU_DEP_1) | instskip(SKIP_1) | instid1(VALU_DEP_1)
	v_cvt_i32_f32_e32 v4, v2
	s_wait_loadcnt 0x0
	v_ashrrev_i32_e32 v5, 31, v4
	global_store_b64 v[0:1], v[4:5], off
.LBB183_1658:
	s_and_not1_b32 vcc_lo, exec_lo, s5
	s_cbranch_vccnz .LBB183_1660
; %bb.1659:
	s_wait_xcnt 0x0
	v_cvt_f32_f16_e32 v2, v3
	s_delay_alu instid0(VALU_DEP_1)
	v_cvt_i32_f32_e32 v2, v2
	s_wait_loadcnt 0x0
	global_store_b32 v[0:1], v2, off
.LBB183_1660:
	s_mov_b32 s5, 0
.LBB183_1661:
	s_delay_alu instid0(SALU_CYCLE_1)
	s_and_not1_b32 vcc_lo, exec_lo, s5
	s_cbranch_vccnz .LBB183_1663
; %bb.1662:
	s_wait_xcnt 0x0
	v_cvt_i16_f16_e32 v2, v3
	s_wait_loadcnt 0x0
	global_store_b16 v[0:1], v2, off
.LBB183_1663:
	s_mov_b32 s5, 0
.LBB183_1664:
	s_delay_alu instid0(SALU_CYCLE_1)
	s_and_not1_b32 vcc_lo, exec_lo, s5
	s_cbranch_vccnz .LBB183_1669
; %bb.1665:
	s_sext_i32_i16 s4, s4
	s_delay_alu instid0(SALU_CYCLE_1)
	s_cmp_gt_i32 s4, 0
	s_mov_b32 s4, -1
	s_cbranch_scc0 .LBB183_1667
; %bb.1666:
	s_wait_xcnt 0x0
	v_cvt_i16_f16_e32 v2, v3
	s_mov_b32 s4, 0
	s_wait_loadcnt 0x0
	global_store_b8 v[0:1], v2, off
.LBB183_1667:
	s_and_not1_b32 vcc_lo, exec_lo, s4
	s_cbranch_vccnz .LBB183_1669
; %bb.1668:
	s_wait_xcnt 0x0
	v_cvt_f32_f16_e32 v2, v3
	s_delay_alu instid0(VALU_DEP_1)
	v_cvt_i32_f32_e32 v2, v2
	s_wait_loadcnt 0x0
	global_store_b8 v[0:1], v2, off
.LBB183_1669:
	s_wait_xcnt 0x0
	s_or_b32 exec_lo, exec_lo, s0
	s_delay_alu instid0(SALU_CYCLE_1)
	s_and_b32 s6, s1, exec_lo
                                        ; implicit-def: $vgpr5
                                        ; implicit-def: $vgpr0
.LBB183_1670:
	s_or_saveexec_b32 s7, s31
	s_mov_b32 s0, 0
                                        ; implicit-def: $vgpr2_vgpr3
                                        ; implicit-def: $sgpr1
                                        ; implicit-def: $vgpr1
	s_xor_b32 exec_lo, exec_lo, s7
	s_cbranch_execz .LBB183_3282
; %bb.1671:
	s_wait_loadcnt 0x0
	v_cndmask_b32_e64 v1, 0, 1, s30
	s_and_not1_b32 vcc_lo, exec_lo, s30
	s_cbranch_vccnz .LBB183_1677
; %bb.1672:
	s_cmp_lg_u32 s15, 0
	s_mov_b32 s8, 0
	s_cbranch_scc0 .LBB183_1681
; %bb.1673:
	s_min_u32 s9, s28, 15
	v_dual_mov_b32 v6, 0 :: v_dual_mov_b32 v2, v0
	v_dual_mov_b32 v22, 0 :: v_dual_mov_b32 v20, 0
	s_add_co_i32 s4, s9, 1
	s_mov_b64 s[0:1], 0xffffffffffffffe0
	s_and_b32 s10, s4, 30
	s_add_nc_u64 s[0:1], s[2:3], s[0:1]
	s_mov_b64 s[4:5], s[2:3]
.LBB183_1674:                           ; =>This Inner Loop Header: Depth=1
	s_clause 0x1
	s_load_b128 s[16:19], s[4:5], 0x4
	s_load_b64 s[20:21], s[4:5], 0x14
	s_clause 0x1
	s_load_b32 s11, s[0:1], 0xe4
	s_load_b96 s[12:14], s[0:1], 0xec
	s_add_co_i32 s10, s10, -2
	s_wait_xcnt 0x0
	s_add_nc_u64 s[4:5], s[4:5], 24
	s_cmp_lg_u32 s10, 0
	s_wait_kmcnt 0x0
	v_mul_hi_u32 v3, s17, v2
	s_delay_alu instid0(VALU_DEP_1) | instskip(NEXT) | instid1(VALU_DEP_1)
	v_add_nc_u32_e32 v3, v2, v3
	v_lshrrev_b32_e32 v3, s18, v3
	s_delay_alu instid0(VALU_DEP_1) | instskip(SKIP_4) | instid1(VALU_DEP_1)
	v_mul_hi_u32 v4, s20, v3
	v_mul_lo_u32 v7, v3, s16
	s_load_b64 s[16:17], s[0:1], 0xfc
	s_wait_xcnt 0x0
	s_add_nc_u64 s[0:1], s[0:1], 32
	v_dual_add_nc_u32 v4, v3, v4 :: v_dual_sub_nc_u32 v7, v2, v7
	s_delay_alu instid0(VALU_DEP_1) | instskip(NEXT) | instid1(VALU_DEP_2)
	v_lshrrev_b32_e32 v2, s21, v4
	v_mad_u32 v6, v7, s11, v6
	v_mad_u32 v8, v7, s13, v20
	;; [unrolled: 1-line block ×3, first 2 shown]
	s_delay_alu instid0(VALU_DEP_4) | instskip(NEXT) | instid1(VALU_DEP_1)
	v_mul_lo_u32 v4, v2, s19
	v_sub_nc_u32_e32 v3, v3, v4
	s_delay_alu instid0(VALU_DEP_1)
	v_mad_u32 v6, v3, s14, v6
	s_wait_kmcnt 0x0
	v_mad_u32 v20, v3, s17, v8
	v_mad_u32 v22, v3, s16, v7
	s_cbranch_scc1 .LBB183_1674
; %bb.1675:
	s_bitcmp1_b32 s9, 0
	s_cselect_b32 s9, -1, 0
	s_delay_alu instid0(SALU_CYCLE_1)
	s_and_b32 vcc_lo, exec_lo, s9
	s_cbranch_vccnz .LBB183_1678
; %bb.1676:
	s_load_b96 s[12:14], s[4:5], 0x4
	s_load_b32 s9, s[0:1], 0xe4
	s_wait_xcnt 0x0
	s_load_b64 s[4:5], s[0:1], 0xec
	s_wait_kmcnt 0x0
	v_mul_hi_u32 v3, s13, v2
	s_delay_alu instid0(VALU_DEP_1) | instskip(NEXT) | instid1(VALU_DEP_1)
	v_add_nc_u32_e32 v3, v2, v3
	v_lshrrev_b32_e32 v3, s14, v3
	s_delay_alu instid0(VALU_DEP_1) | instskip(NEXT) | instid1(VALU_DEP_1)
	v_mul_lo_u32 v3, v3, s12
	v_sub_nc_u32_e32 v2, v2, v3
	s_delay_alu instid0(VALU_DEP_1)
	v_mad_u32 v6, v2, s9, v6
	v_mad_u32 v22, v2, s4, v22
	;; [unrolled: 1-line block ×3, first 2 shown]
	s_and_not1_b32 vcc_lo, exec_lo, s8
	s_cbranch_vccz .LBB183_1679
	s_branch .LBB183_1682
.LBB183_1677:
	s_mov_b32 s8, -1
                                        ; implicit-def: $vgpr20
                                        ; implicit-def: $vgpr22
                                        ; implicit-def: $vgpr6
.LBB183_1678:
	s_delay_alu instid0(SALU_CYCLE_1)
	s_and_not1_b32 vcc_lo, exec_lo, s8
	s_cbranch_vccnz .LBB183_1682
.LBB183_1679:
	s_clause 0x2
	s_load_b96 s[8:10], s[2:3], 0x4
	s_load_b32 s4, s[2:3], 0xc4
	s_load_b64 s[0:1], s[2:3], 0xcc
	s_cmp_lt_u32 s15, 2
	s_wait_kmcnt 0x0
	v_mul_hi_u32 v2, s9, v0
	s_delay_alu instid0(VALU_DEP_1) | instskip(NEXT) | instid1(VALU_DEP_1)
	v_add_nc_u32_e32 v2, v0, v2
	v_lshrrev_b32_e32 v2, s10, v2
	s_delay_alu instid0(VALU_DEP_1) | instskip(NEXT) | instid1(VALU_DEP_1)
	v_mul_lo_u32 v3, v2, s8
	v_sub_nc_u32_e32 v3, v0, v3
	s_delay_alu instid0(VALU_DEP_1)
	v_mul_lo_u32 v6, v3, s4
	v_mul_lo_u32 v20, v3, s1
	;; [unrolled: 1-line block ×3, first 2 shown]
	s_cbranch_scc1 .LBB183_1682
; %bb.1680:
	s_clause 0x2
	s_load_b96 s[8:10], s[2:3], 0x10
	s_load_b32 s4, s[2:3], 0xd4
	s_load_b64 s[0:1], s[2:3], 0xdc
	s_wait_kmcnt 0x0
	v_mul_hi_u32 v3, s9, v2
	s_delay_alu instid0(VALU_DEP_1) | instskip(NEXT) | instid1(VALU_DEP_1)
	v_add_nc_u32_e32 v3, v2, v3
	v_lshrrev_b32_e32 v3, s10, v3
	s_delay_alu instid0(VALU_DEP_1) | instskip(NEXT) | instid1(VALU_DEP_1)
	v_mul_lo_u32 v3, v3, s8
	v_sub_nc_u32_e32 v2, v2, v3
	s_delay_alu instid0(VALU_DEP_1)
	v_mad_u32 v6, v2, s4, v6
	v_mad_u32 v22, v2, s0, v22
	;; [unrolled: 1-line block ×3, first 2 shown]
	s_branch .LBB183_1682
.LBB183_1681:
	v_dual_mov_b32 v20, 0 :: v_dual_mov_b32 v22, 0
	v_mov_b32_e32 v6, 0
	s_and_not1_b32 vcc_lo, exec_lo, s8
	s_cbranch_vccz .LBB183_1679
.LBB183_1682:
	v_cmp_ne_u32_e32 vcc_lo, 1, v1
	v_add_nc_u32_e32 v2, 0x80, v0
	s_cbranch_vccnz .LBB183_1688
; %bb.1683:
	s_cmp_lg_u32 s15, 0
	s_mov_b32 s8, 0
	s_cbranch_scc0 .LBB183_1692
; %bb.1684:
	s_min_u32 s9, s28, 15
	v_dual_mov_b32 v4, 0 :: v_dual_mov_b32 v3, v2
	v_dual_mov_b32 v18, 0 :: v_dual_mov_b32 v16, 0
	s_add_co_i32 s4, s9, 1
	s_mov_b64 s[0:1], 0xffffffffffffffe0
	s_and_b32 s10, s4, 30
	s_add_nc_u64 s[0:1], s[2:3], s[0:1]
	s_mov_b64 s[4:5], s[2:3]
.LBB183_1685:                           ; =>This Inner Loop Header: Depth=1
	s_clause 0x1
	s_load_b128 s[16:19], s[4:5], 0x4
	s_load_b64 s[20:21], s[4:5], 0x14
	s_clause 0x1
	s_load_b32 s11, s[0:1], 0xe4
	s_load_b96 s[12:14], s[0:1], 0xec
	s_add_co_i32 s10, s10, -2
	s_wait_xcnt 0x0
	s_add_nc_u64 s[4:5], s[4:5], 24
	s_cmp_lg_u32 s10, 0
	s_wait_kmcnt 0x0
	v_mul_hi_u32 v7, s17, v3
	s_delay_alu instid0(VALU_DEP_1) | instskip(NEXT) | instid1(VALU_DEP_1)
	v_add_nc_u32_e32 v7, v3, v7
	v_lshrrev_b32_e32 v7, s18, v7
	s_delay_alu instid0(VALU_DEP_1) | instskip(SKIP_4) | instid1(VALU_DEP_2)
	v_mul_hi_u32 v8, s20, v7
	v_mul_lo_u32 v9, v7, s16
	s_load_b64 s[16:17], s[0:1], 0xfc
	s_wait_xcnt 0x0
	s_add_nc_u64 s[0:1], s[0:1], 32
	v_add_nc_u32_e32 v8, v7, v8
	s_delay_alu instid0(VALU_DEP_1) | instskip(NEXT) | instid1(VALU_DEP_1)
	v_dual_sub_nc_u32 v9, v3, v9 :: v_dual_lshrrev_b32 v3, s21, v8
	v_mad_u32 v4, v9, s11, v4
	v_mad_u32 v10, v9, s13, v16
	;; [unrolled: 1-line block ×3, first 2 shown]
	s_delay_alu instid0(VALU_DEP_4) | instskip(NEXT) | instid1(VALU_DEP_1)
	v_mul_lo_u32 v8, v3, s19
	v_sub_nc_u32_e32 v7, v7, v8
	s_delay_alu instid0(VALU_DEP_1)
	v_mad_u32 v4, v7, s14, v4
	s_wait_kmcnt 0x0
	v_mad_u32 v16, v7, s17, v10
	v_mad_u32 v18, v7, s16, v9
	s_cbranch_scc1 .LBB183_1685
; %bb.1686:
	s_bitcmp1_b32 s9, 0
	s_cselect_b32 s9, -1, 0
	s_delay_alu instid0(SALU_CYCLE_1)
	s_and_b32 vcc_lo, exec_lo, s9
	s_cbranch_vccnz .LBB183_1689
; %bb.1687:
	s_load_b96 s[12:14], s[4:5], 0x4
	s_load_b32 s9, s[0:1], 0xe4
	s_wait_xcnt 0x0
	s_load_b64 s[4:5], s[0:1], 0xec
	s_wait_kmcnt 0x0
	v_mul_hi_u32 v7, s13, v3
	s_delay_alu instid0(VALU_DEP_1) | instskip(NEXT) | instid1(VALU_DEP_1)
	v_add_nc_u32_e32 v7, v3, v7
	v_lshrrev_b32_e32 v7, s14, v7
	s_delay_alu instid0(VALU_DEP_1) | instskip(NEXT) | instid1(VALU_DEP_1)
	v_mul_lo_u32 v7, v7, s12
	v_sub_nc_u32_e32 v3, v3, v7
	s_delay_alu instid0(VALU_DEP_1)
	v_mad_u32 v4, v3, s9, v4
	v_mad_u32 v18, v3, s4, v18
	;; [unrolled: 1-line block ×3, first 2 shown]
	s_and_not1_b32 vcc_lo, exec_lo, s8
	s_cbranch_vccz .LBB183_1690
	s_branch .LBB183_1693
.LBB183_1688:
	s_mov_b32 s8, -1
                                        ; implicit-def: $vgpr16
                                        ; implicit-def: $vgpr18
                                        ; implicit-def: $vgpr4
.LBB183_1689:
	s_delay_alu instid0(SALU_CYCLE_1)
	s_and_not1_b32 vcc_lo, exec_lo, s8
	s_cbranch_vccnz .LBB183_1693
.LBB183_1690:
	s_clause 0x2
	s_load_b96 s[8:10], s[2:3], 0x4
	s_load_b32 s4, s[2:3], 0xc4
	s_load_b64 s[0:1], s[2:3], 0xcc
	s_cmp_lt_u32 s15, 2
	s_wait_kmcnt 0x0
	v_mul_hi_u32 v3, s9, v2
	s_delay_alu instid0(VALU_DEP_1) | instskip(NEXT) | instid1(VALU_DEP_1)
	v_add_nc_u32_e32 v3, v2, v3
	v_lshrrev_b32_e32 v3, s10, v3
	s_delay_alu instid0(VALU_DEP_1) | instskip(NEXT) | instid1(VALU_DEP_1)
	v_mul_lo_u32 v4, v3, s8
	v_sub_nc_u32_e32 v2, v2, v4
	s_delay_alu instid0(VALU_DEP_1)
	v_mul_lo_u32 v4, v2, s4
	v_mul_lo_u32 v16, v2, s1
	;; [unrolled: 1-line block ×3, first 2 shown]
	s_cbranch_scc1 .LBB183_1693
; %bb.1691:
	s_clause 0x2
	s_load_b96 s[8:10], s[2:3], 0x10
	s_load_b32 s4, s[2:3], 0xd4
	s_load_b64 s[0:1], s[2:3], 0xdc
	s_wait_kmcnt 0x0
	v_mul_hi_u32 v2, s9, v3
	s_delay_alu instid0(VALU_DEP_1) | instskip(NEXT) | instid1(VALU_DEP_1)
	v_add_nc_u32_e32 v2, v3, v2
	v_lshrrev_b32_e32 v2, s10, v2
	s_delay_alu instid0(VALU_DEP_1) | instskip(NEXT) | instid1(VALU_DEP_1)
	v_mul_lo_u32 v2, v2, s8
	v_sub_nc_u32_e32 v2, v3, v2
	s_delay_alu instid0(VALU_DEP_1)
	v_mad_u32 v4, v2, s4, v4
	v_mad_u32 v18, v2, s0, v18
	;; [unrolled: 1-line block ×3, first 2 shown]
	s_branch .LBB183_1693
.LBB183_1692:
	v_dual_mov_b32 v16, 0 :: v_dual_mov_b32 v18, 0
	v_mov_b32_e32 v4, 0
	s_and_not1_b32 vcc_lo, exec_lo, s8
	s_cbranch_vccz .LBB183_1690
.LBB183_1693:
	v_cmp_ne_u32_e32 vcc_lo, 1, v1
	v_add_nc_u32_e32 v0, 0x100, v0
	s_cbranch_vccnz .LBB183_1699
; %bb.1694:
	s_cmp_lg_u32 s15, 0
	s_mov_b32 s8, 0
	s_cbranch_scc0 .LBB183_1703
; %bb.1695:
	s_min_u32 s9, s28, 15
	v_dual_mov_b32 v2, 0 :: v_dual_mov_b32 v3, v0
	v_dual_mov_b32 v14, 0 :: v_dual_mov_b32 v12, 0
	s_add_co_i32 s4, s9, 1
	s_mov_b64 s[0:1], 0xffffffffffffffe0
	s_and_b32 s10, s4, 30
	s_add_nc_u64 s[0:1], s[2:3], s[0:1]
	s_mov_b64 s[4:5], s[2:3]
.LBB183_1696:                           ; =>This Inner Loop Header: Depth=1
	s_clause 0x1
	s_load_b128 s[16:19], s[4:5], 0x4
	s_load_b64 s[20:21], s[4:5], 0x14
	s_clause 0x1
	s_load_b32 s11, s[0:1], 0xe4
	s_load_b96 s[12:14], s[0:1], 0xec
	s_add_co_i32 s10, s10, -2
	s_wait_xcnt 0x0
	s_add_nc_u64 s[4:5], s[4:5], 24
	s_cmp_lg_u32 s10, 0
	s_wait_kmcnt 0x0
	v_mul_hi_u32 v7, s17, v3
	s_delay_alu instid0(VALU_DEP_1) | instskip(NEXT) | instid1(VALU_DEP_1)
	v_add_nc_u32_e32 v7, v3, v7
	v_lshrrev_b32_e32 v7, s18, v7
	s_delay_alu instid0(VALU_DEP_1) | instskip(SKIP_4) | instid1(VALU_DEP_2)
	v_mul_hi_u32 v8, s20, v7
	v_mul_lo_u32 v9, v7, s16
	s_load_b64 s[16:17], s[0:1], 0xfc
	s_wait_xcnt 0x0
	s_add_nc_u64 s[0:1], s[0:1], 32
	v_add_nc_u32_e32 v8, v7, v8
	s_delay_alu instid0(VALU_DEP_1) | instskip(NEXT) | instid1(VALU_DEP_1)
	v_dual_sub_nc_u32 v9, v3, v9 :: v_dual_lshrrev_b32 v3, s21, v8
	v_mad_u32 v2, v9, s11, v2
	v_mad_u32 v10, v9, s13, v12
	;; [unrolled: 1-line block ×3, first 2 shown]
	s_delay_alu instid0(VALU_DEP_4) | instskip(NEXT) | instid1(VALU_DEP_1)
	v_mul_lo_u32 v8, v3, s19
	v_sub_nc_u32_e32 v7, v7, v8
	s_delay_alu instid0(VALU_DEP_1)
	v_mad_u32 v2, v7, s14, v2
	s_wait_kmcnt 0x0
	v_mad_u32 v12, v7, s17, v10
	v_mad_u32 v14, v7, s16, v9
	s_cbranch_scc1 .LBB183_1696
; %bb.1697:
	s_bitcmp1_b32 s9, 0
	s_cselect_b32 s9, -1, 0
	s_delay_alu instid0(SALU_CYCLE_1)
	s_and_b32 vcc_lo, exec_lo, s9
	s_cbranch_vccnz .LBB183_1700
; %bb.1698:
	s_load_b96 s[12:14], s[4:5], 0x4
	s_load_b32 s9, s[0:1], 0xe4
	s_wait_xcnt 0x0
	s_load_b64 s[4:5], s[0:1], 0xec
	s_wait_kmcnt 0x0
	v_mul_hi_u32 v7, s13, v3
	s_delay_alu instid0(VALU_DEP_1) | instskip(NEXT) | instid1(VALU_DEP_1)
	v_add_nc_u32_e32 v7, v3, v7
	v_lshrrev_b32_e32 v7, s14, v7
	s_delay_alu instid0(VALU_DEP_1) | instskip(NEXT) | instid1(VALU_DEP_1)
	v_mul_lo_u32 v7, v7, s12
	v_sub_nc_u32_e32 v3, v3, v7
	s_delay_alu instid0(VALU_DEP_1)
	v_mad_u32 v2, v3, s9, v2
	v_mad_u32 v14, v3, s4, v14
	v_mad_u32 v12, v3, s5, v12
	s_and_not1_b32 vcc_lo, exec_lo, s8
	s_cbranch_vccz .LBB183_1701
	s_branch .LBB183_1704
.LBB183_1699:
	s_mov_b32 s8, -1
                                        ; implicit-def: $vgpr12
                                        ; implicit-def: $vgpr14
                                        ; implicit-def: $vgpr2
.LBB183_1700:
	s_delay_alu instid0(SALU_CYCLE_1)
	s_and_not1_b32 vcc_lo, exec_lo, s8
	s_cbranch_vccnz .LBB183_1704
.LBB183_1701:
	s_clause 0x2
	s_load_b96 s[8:10], s[2:3], 0x4
	s_load_b32 s4, s[2:3], 0xc4
	s_load_b64 s[0:1], s[2:3], 0xcc
	s_cmp_lt_u32 s15, 2
	s_wait_kmcnt 0x0
	v_mul_hi_u32 v2, s9, v0
	s_delay_alu instid0(VALU_DEP_1) | instskip(NEXT) | instid1(VALU_DEP_1)
	v_add_nc_u32_e32 v2, v0, v2
	v_lshrrev_b32_e32 v3, s10, v2
	s_delay_alu instid0(VALU_DEP_1) | instskip(NEXT) | instid1(VALU_DEP_1)
	v_mul_lo_u32 v2, v3, s8
	v_sub_nc_u32_e32 v0, v0, v2
	s_delay_alu instid0(VALU_DEP_1)
	v_mul_lo_u32 v2, v0, s4
	v_mul_lo_u32 v12, v0, s1
	;; [unrolled: 1-line block ×3, first 2 shown]
	s_cbranch_scc1 .LBB183_1704
; %bb.1702:
	s_clause 0x2
	s_load_b96 s[8:10], s[2:3], 0x10
	s_load_b32 s4, s[2:3], 0xd4
	s_load_b64 s[0:1], s[2:3], 0xdc
	s_wait_kmcnt 0x0
	v_mul_hi_u32 v0, s9, v3
	s_delay_alu instid0(VALU_DEP_1) | instskip(NEXT) | instid1(VALU_DEP_1)
	v_add_nc_u32_e32 v0, v3, v0
	v_lshrrev_b32_e32 v0, s10, v0
	s_delay_alu instid0(VALU_DEP_1) | instskip(NEXT) | instid1(VALU_DEP_1)
	v_mul_lo_u32 v0, v0, s8
	v_sub_nc_u32_e32 v0, v3, v0
	s_delay_alu instid0(VALU_DEP_1)
	v_mad_u32 v2, v0, s4, v2
	v_mad_u32 v14, v0, s0, v14
	;; [unrolled: 1-line block ×3, first 2 shown]
	s_branch .LBB183_1704
.LBB183_1703:
	v_dual_mov_b32 v12, 0 :: v_dual_mov_b32 v14, 0
	v_mov_b32_e32 v2, 0
	s_and_not1_b32 vcc_lo, exec_lo, s8
	s_cbranch_vccz .LBB183_1701
.LBB183_1704:
	v_cmp_ne_u32_e32 vcc_lo, 1, v1
	s_cbranch_vccnz .LBB183_1710
; %bb.1705:
	s_cmp_lg_u32 s15, 0
	s_mov_b32 s8, 0
	s_cbranch_scc0 .LBB183_1714
; %bb.1706:
	s_min_u32 s9, s28, 15
	v_dual_mov_b32 v0, 0 :: v_dual_mov_b32 v1, v5
	v_dual_mov_b32 v10, 0 :: v_dual_mov_b32 v8, 0
	s_add_co_i32 s4, s9, 1
	s_mov_b64 s[0:1], 0xffffffffffffffe0
	s_and_b32 s10, s4, 30
	s_add_nc_u64 s[0:1], s[2:3], s[0:1]
	s_mov_b64 s[4:5], s[2:3]
.LBB183_1707:                           ; =>This Inner Loop Header: Depth=1
	s_clause 0x1
	s_load_b128 s[16:19], s[4:5], 0x4
	s_load_b64 s[20:21], s[4:5], 0x14
	s_clause 0x1
	s_load_b32 s11, s[0:1], 0xe4
	s_load_b96 s[12:14], s[0:1], 0xec
	s_add_co_i32 s10, s10, -2
	s_wait_xcnt 0x0
	s_add_nc_u64 s[4:5], s[4:5], 24
	s_cmp_lg_u32 s10, 0
	s_wait_kmcnt 0x0
	v_mul_hi_u32 v3, s17, v1
	s_delay_alu instid0(VALU_DEP_1) | instskip(NEXT) | instid1(VALU_DEP_1)
	v_add_nc_u32_e32 v3, v1, v3
	v_lshrrev_b32_e32 v3, s18, v3
	s_delay_alu instid0(VALU_DEP_1) | instskip(SKIP_4) | instid1(VALU_DEP_1)
	v_mul_hi_u32 v7, s20, v3
	v_mul_lo_u32 v9, v3, s16
	s_load_b64 s[16:17], s[0:1], 0xfc
	s_wait_xcnt 0x0
	s_add_nc_u64 s[0:1], s[0:1], 32
	v_dual_add_nc_u32 v7, v3, v7 :: v_dual_sub_nc_u32 v9, v1, v9
	s_delay_alu instid0(VALU_DEP_1) | instskip(NEXT) | instid1(VALU_DEP_2)
	v_lshrrev_b32_e32 v1, s21, v7
	v_mad_u32 v0, v9, s11, v0
	v_mad_u32 v8, v9, s13, v8
	;; [unrolled: 1-line block ×3, first 2 shown]
	s_delay_alu instid0(VALU_DEP_4) | instskip(NEXT) | instid1(VALU_DEP_1)
	v_mul_lo_u32 v7, v1, s19
	v_sub_nc_u32_e32 v3, v3, v7
	s_delay_alu instid0(VALU_DEP_1)
	v_mad_u32 v0, v3, s14, v0
	s_wait_kmcnt 0x0
	v_mad_u32 v8, v3, s17, v8
	v_mad_u32 v10, v3, s16, v9
	s_cbranch_scc1 .LBB183_1707
; %bb.1708:
	s_bitcmp1_b32 s9, 0
	s_cselect_b32 s9, -1, 0
	s_delay_alu instid0(SALU_CYCLE_1)
	s_and_b32 vcc_lo, exec_lo, s9
	s_cbranch_vccnz .LBB183_1711
; %bb.1709:
	s_load_b96 s[12:14], s[4:5], 0x4
	s_load_b32 s9, s[0:1], 0xe4
	s_wait_xcnt 0x0
	s_load_b64 s[4:5], s[0:1], 0xec
	s_wait_kmcnt 0x0
	v_mul_hi_u32 v3, s13, v1
	s_delay_alu instid0(VALU_DEP_1) | instskip(NEXT) | instid1(VALU_DEP_1)
	v_add_nc_u32_e32 v3, v1, v3
	v_lshrrev_b32_e32 v3, s14, v3
	s_delay_alu instid0(VALU_DEP_1) | instskip(NEXT) | instid1(VALU_DEP_1)
	v_mul_lo_u32 v3, v3, s12
	v_sub_nc_u32_e32 v1, v1, v3
	s_delay_alu instid0(VALU_DEP_1)
	v_mad_u32 v0, v1, s9, v0
	v_mad_u32 v10, v1, s4, v10
	;; [unrolled: 1-line block ×3, first 2 shown]
	s_and_not1_b32 vcc_lo, exec_lo, s8
	s_cbranch_vccz .LBB183_1712
	s_branch .LBB183_1715
.LBB183_1710:
	s_mov_b32 s8, -1
                                        ; implicit-def: $vgpr8
                                        ; implicit-def: $vgpr10
                                        ; implicit-def: $vgpr0
.LBB183_1711:
	s_delay_alu instid0(SALU_CYCLE_1)
	s_and_not1_b32 vcc_lo, exec_lo, s8
	s_cbranch_vccnz .LBB183_1715
.LBB183_1712:
	s_clause 0x2
	s_load_b96 s[8:10], s[2:3], 0x4
	s_load_b32 s4, s[2:3], 0xc4
	s_load_b64 s[0:1], s[2:3], 0xcc
	s_cmp_lt_u32 s15, 2
	s_wait_kmcnt 0x0
	v_mul_hi_u32 v0, s9, v5
	s_delay_alu instid0(VALU_DEP_1) | instskip(NEXT) | instid1(VALU_DEP_1)
	v_add_nc_u32_e32 v0, v5, v0
	v_lshrrev_b32_e32 v1, s10, v0
	s_delay_alu instid0(VALU_DEP_1) | instskip(NEXT) | instid1(VALU_DEP_1)
	v_mul_lo_u32 v0, v1, s8
	v_sub_nc_u32_e32 v3, v5, v0
	s_delay_alu instid0(VALU_DEP_1)
	v_mul_lo_u32 v0, v3, s4
	v_mul_lo_u32 v8, v3, s1
	;; [unrolled: 1-line block ×3, first 2 shown]
	s_cbranch_scc1 .LBB183_1715
; %bb.1713:
	s_clause 0x2
	s_load_b96 s[8:10], s[2:3], 0x10
	s_load_b32 s4, s[2:3], 0xd4
	s_load_b64 s[0:1], s[2:3], 0xdc
	s_wait_kmcnt 0x0
	v_mul_hi_u32 v3, s9, v1
	s_delay_alu instid0(VALU_DEP_1) | instskip(NEXT) | instid1(VALU_DEP_1)
	v_add_nc_u32_e32 v3, v1, v3
	v_lshrrev_b32_e32 v3, s10, v3
	s_delay_alu instid0(VALU_DEP_1) | instskip(NEXT) | instid1(VALU_DEP_1)
	v_mul_lo_u32 v3, v3, s8
	v_sub_nc_u32_e32 v1, v1, v3
	s_delay_alu instid0(VALU_DEP_1)
	v_mad_u32 v0, v1, s4, v0
	v_mad_u32 v10, v1, s0, v10
	;; [unrolled: 1-line block ×3, first 2 shown]
	s_branch .LBB183_1715
.LBB183_1714:
	v_dual_mov_b32 v8, 0 :: v_dual_mov_b32 v10, 0
	v_mov_b32_e32 v0, 0
	s_and_not1_b32 vcc_lo, exec_lo, s8
	s_cbranch_vccz .LBB183_1712
.LBB183_1715:
	v_mov_b32_e32 v1, 0
	global_load_u8 v1, v1, s[2:3] offset:491
	s_wait_loadcnt 0x0
	v_and_b32_e32 v3, 0xffff, v1
	v_readfirstlane_b32 s9, v1
	s_delay_alu instid0(VALU_DEP_2)
	v_cmp_gt_i32_e32 vcc_lo, 23, v3
	s_cbranch_vccnz .LBB183_1719
; %bb.1716:
	s_and_b32 s4, 0xffff, s9
	s_delay_alu instid0(SALU_CYCLE_1)
	s_cmp_gt_i32 s4, 43
	s_cbranch_scc0 .LBB183_1720
; %bb.1717:
	s_cmp_gt_i32 s4, 45
	s_cbranch_scc0 .LBB183_1721
; %bb.1718:
	s_cmp_lg_u32 s4, 46
	s_mov_b32 s0, -1
	s_cselect_b32 s1, -1, 0
	s_cbranch_execz .LBB183_1722
	s_branch .LBB183_1723
.LBB183_1719:
	s_mov_b32 s0, 0
	s_mov_b32 s1, 0
	s_cbranch_execnz .LBB183_1726
	s_branch .LBB183_1730
.LBB183_1720:
	s_mov_b32 s0, 0
	s_mov_b32 s1, 0
	s_cbranch_execnz .LBB183_1724
	s_branch .LBB183_1725
.LBB183_1721:
	s_mov_b32 s0, 0
	s_mov_b32 s1, 0
.LBB183_1722:
	s_cmp_eq_u32 s4, 44
	s_cselect_b32 s0, -1, 0
	s_cmp_lg_u32 s4, 44
	s_cselect_b32 s1, -1, 0
.LBB183_1723:
	s_branch .LBB183_1725
.LBB183_1724:
	s_cmp_lt_i32 s4, 30
	s_cselect_b32 s0, -1, 0
	s_cmp_gt_i32 s4, 29
	s_cselect_b32 s1, -1, 0
.LBB183_1725:
	s_branch .LBB183_1730
.LBB183_1726:
	s_and_b32 s4, 0xffff, s9
	s_mov_b32 s5, -1
	s_cmp_gt_i32 s4, 14
	s_cbranch_scc0 .LBB183_1728
; %bb.1727:
	s_cmp_eq_u32 s4, 15
	s_mov_b32 s5, 0
	s_cselect_b32 s0, -1, 0
	s_cmp_lg_u32 s4, 15
	s_cselect_b32 s1, -1, 0
.LBB183_1728:
	s_and_not1_b32 vcc_lo, exec_lo, s5
	s_cbranch_vccnz .LBB183_1730
; %bb.1729:
	s_cmp_lt_i32 s4, 12
	s_cselect_b32 s0, -1, 0
	s_cmp_gt_i32 s4, 11
	s_cselect_b32 s1, -1, 0
.LBB183_1730:
	s_delay_alu instid0(SALU_CYCLE_1)
	s_and_b32 vcc_lo, exec_lo, s1
	s_mov_b32 s8, s6
	s_cbranch_vccnz .LBB183_1743
; %bb.1731:
	s_and_not1_b32 vcc_lo, exec_lo, s0
	s_cbranch_vccnz .LBB183_3280
.LBB183_1732:
	s_clause 0x1
	s_load_b64 s[0:1], s[2:3], 0x1d8
	s_load_b32 s4, s[2:3], 0x1ec
	v_mov_b32_e32 v23, 0
	s_wait_kmcnt 0x0
	s_delay_alu instid0(VALU_DEP_1) | instskip(SKIP_1) | instid1(SALU_CYCLE_1)
	v_add_nc_u64_e32 v[22:23], s[0:1], v[22:23]
	s_and_b32 s10, s4, 0xff
	s_cmp_lt_i32 s10, 11
	s_cbranch_scc1 .LBB183_1739
; %bb.1733:
	s_and_b32 s4, 0xffff, s10
	s_mov_b32 s11, 0
	s_cmp_gt_i32 s4, 25
	s_cbranch_scc0 .LBB183_1741
; %bb.1734:
	s_cmp_gt_i32 s4, 28
	s_cbranch_scc0 .LBB183_1742
; %bb.1735:
	;; [unrolled: 3-line block ×4, first 2 shown]
	s_cmp_eq_u32 s4, 46
	s_mov_b32 s13, 0
	s_cbranch_scc0 .LBB183_1750
; %bb.1738:
	global_load_b32 v1, v[22:23], off
	s_mov_b32 s5, 0
	s_mov_b32 s12, -1
	s_wait_loadcnt 0x0
	v_lshlrev_b32_e32 v1, 16, v1
	s_delay_alu instid0(VALU_DEP_1)
	v_cvt_f16_f32_e32 v1, v1
	s_branch .LBB183_1752
.LBB183_1739:
	s_mov_b32 s12, 0
                                        ; implicit-def: $vgpr1
	s_cbranch_execnz .LBB183_1817
.LBB183_1740:
	s_and_not1_b32 vcc_lo, exec_lo, s12
	s_cbranch_vccz .LBB183_1864
	s_branch .LBB183_3280
.LBB183_1741:
	s_mov_b32 s12, 0
	s_mov_b32 s5, 0
                                        ; implicit-def: $vgpr1
	s_cbranch_execnz .LBB183_1781
	s_branch .LBB183_1813
.LBB183_1742:
	s_mov_b32 s13, -1
	s_mov_b32 s12, 0
	s_mov_b32 s5, 0
                                        ; implicit-def: $vgpr1
	s_branch .LBB183_1762
.LBB183_1743:
	s_or_b32 s8, s6, exec_lo
	s_trap 2
	s_cbranch_execz .LBB183_1732
	s_branch .LBB183_3280
.LBB183_1744:
	s_mov_b32 s13, -1
	s_mov_b32 s12, 0
	s_mov_b32 s5, 0
                                        ; implicit-def: $vgpr1
	s_branch .LBB183_1757
.LBB183_1745:
	s_and_not1_saveexec_b32 s9, s9
	s_cbranch_execz .LBB183_1583
.LBB183_1746:
	v_add_f32_e64 v4, 0x46000000, |v2|
	s_and_not1_b32 s8, s8, exec_lo
	s_delay_alu instid0(VALU_DEP_1) | instskip(NEXT) | instid1(VALU_DEP_1)
	v_and_b32_e32 v4, 0xff, v4
	v_cmp_ne_u32_e32 vcc_lo, 0, v4
	s_and_b32 s10, vcc_lo, exec_lo
	s_delay_alu instid0(SALU_CYCLE_1)
	s_or_b32 s8, s8, s10
	s_or_b32 exec_lo, exec_lo, s9
	v_mov_b32_e32 v5, 0
	s_and_saveexec_b32 s9, s8
	s_cbranch_execnz .LBB183_1584
	s_branch .LBB183_1585
.LBB183_1747:
	s_mov_b32 s13, -1
	s_mov_b32 s12, 0
	s_mov_b32 s5, 0
	s_branch .LBB183_1751
.LBB183_1748:
	s_and_not1_saveexec_b32 s10, s10
	s_cbranch_execz .LBB183_1595
.LBB183_1749:
	v_add_f32_e64 v4, 0x42800000, |v2|
	s_and_not1_b32 s9, s9, exec_lo
	s_delay_alu instid0(VALU_DEP_1) | instskip(NEXT) | instid1(VALU_DEP_1)
	v_and_b32_e32 v4, 0xff, v4
	v_cmp_ne_u32_e32 vcc_lo, 0, v4
	s_and_b32 s11, vcc_lo, exec_lo
	s_delay_alu instid0(SALU_CYCLE_1)
	s_or_b32 s9, s9, s11
	s_or_b32 exec_lo, exec_lo, s10
	v_mov_b32_e32 v5, 0
	s_and_saveexec_b32 s10, s9
	s_cbranch_execnz .LBB183_1596
	s_branch .LBB183_1597
.LBB183_1750:
	s_mov_b32 s5, -1
	s_mov_b32 s12, 0
.LBB183_1751:
                                        ; implicit-def: $vgpr1
.LBB183_1752:
	s_and_b32 vcc_lo, exec_lo, s13
	s_cbranch_vccz .LBB183_1756
; %bb.1753:
	s_cmp_eq_u32 s4, 44
	s_cbranch_scc0 .LBB183_1755
; %bb.1754:
	global_load_u8 v1, v[22:23], off
	s_mov_b32 s5, 0
	s_mov_b32 s12, -1
	s_wait_loadcnt 0x0
	v_lshlrev_b32_e32 v3, 23, v1
	v_cmp_ne_u32_e32 vcc_lo, 0xff, v1
	s_delay_alu instid0(VALU_DEP_2) | instskip(NEXT) | instid1(VALU_DEP_1)
	v_cvt_f16_f32_e32 v3, v3
	v_cndmask_b32_e32 v3, 0x7e00, v3, vcc_lo
	v_cmp_ne_u32_e32 vcc_lo, 0, v1
	s_delay_alu instid0(VALU_DEP_2)
	v_cndmask_b32_e32 v1, 0, v3, vcc_lo
	s_branch .LBB183_1756
.LBB183_1755:
	s_mov_b32 s5, -1
                                        ; implicit-def: $vgpr1
.LBB183_1756:
	s_mov_b32 s13, 0
.LBB183_1757:
	s_delay_alu instid0(SALU_CYCLE_1)
	s_and_b32 vcc_lo, exec_lo, s13
	s_cbranch_vccz .LBB183_1761
; %bb.1758:
	s_cmp_eq_u32 s4, 29
	s_cbranch_scc0 .LBB183_1760
; %bb.1759:
	global_load_b64 v[24:25], v[22:23], off
	s_mov_b32 s5, 0
	s_mov_b32 s12, -1
	s_mov_b32 s13, 0
	s_wait_loadcnt 0x0
	v_clz_i32_u32_e32 v1, v25
	s_delay_alu instid0(VALU_DEP_1) | instskip(NEXT) | instid1(VALU_DEP_1)
	v_min_u32_e32 v1, 32, v1
	v_lshlrev_b64_e32 v[24:25], v1, v[24:25]
	v_sub_nc_u32_e32 v1, 32, v1
	s_delay_alu instid0(VALU_DEP_2) | instskip(NEXT) | instid1(VALU_DEP_1)
	v_min_u32_e32 v3, 1, v24
	v_or_b32_e32 v3, v25, v3
	s_delay_alu instid0(VALU_DEP_1) | instskip(NEXT) | instid1(VALU_DEP_1)
	v_cvt_f32_u32_e32 v3, v3
	v_ldexp_f32 v1, v3, v1
	s_delay_alu instid0(VALU_DEP_1)
	v_cvt_f16_f32_e32 v1, v1
	s_branch .LBB183_1762
.LBB183_1760:
	s_mov_b32 s5, -1
                                        ; implicit-def: $vgpr1
.LBB183_1761:
	s_mov_b32 s13, 0
.LBB183_1762:
	s_delay_alu instid0(SALU_CYCLE_1)
	s_and_b32 vcc_lo, exec_lo, s13
	s_cbranch_vccz .LBB183_1780
; %bb.1763:
	s_cmp_lt_i32 s4, 27
	s_cbranch_scc1 .LBB183_1766
; %bb.1764:
	s_cmp_gt_i32 s4, 27
	s_cbranch_scc0 .LBB183_1767
; %bb.1765:
	global_load_b32 v1, v[22:23], off
	s_mov_b32 s12, 0
	s_wait_loadcnt 0x0
	v_cvt_f32_u32_e32 v1, v1
	s_delay_alu instid0(VALU_DEP_1)
	v_cvt_f16_f32_e32 v1, v1
	s_branch .LBB183_1768
.LBB183_1766:
	s_mov_b32 s12, -1
                                        ; implicit-def: $vgpr1
	s_branch .LBB183_1771
.LBB183_1767:
	s_mov_b32 s12, -1
                                        ; implicit-def: $vgpr1
.LBB183_1768:
	s_delay_alu instid0(SALU_CYCLE_1)
	s_and_not1_b32 vcc_lo, exec_lo, s12
	s_cbranch_vccnz .LBB183_1770
; %bb.1769:
	global_load_u16 v1, v[22:23], off
	s_wait_loadcnt 0x0
	v_cvt_f16_u16_e32 v1, v1
.LBB183_1770:
	s_mov_b32 s12, 0
.LBB183_1771:
	s_delay_alu instid0(SALU_CYCLE_1)
	s_and_not1_b32 vcc_lo, exec_lo, s12
	s_cbranch_vccnz .LBB183_1779
; %bb.1772:
	global_load_u8 v3, v[22:23], off
	s_mov_b32 s12, 0
	s_mov_b32 s13, exec_lo
	s_wait_loadcnt 0x0
	v_cmpx_lt_i16_e32 0x7f, v3
	s_xor_b32 s13, exec_lo, s13
	s_cbranch_execz .LBB183_1792
; %bb.1773:
	s_mov_b32 s12, -1
	s_mov_b32 s14, exec_lo
	v_cmpx_eq_u16_e32 0x80, v3
; %bb.1774:
	s_xor_b32 s12, exec_lo, -1
; %bb.1775:
	s_or_b32 exec_lo, exec_lo, s14
	s_delay_alu instid0(SALU_CYCLE_1)
	s_and_b32 s12, s12, exec_lo
	s_or_saveexec_b32 s13, s13
	v_mov_b32_e32 v1, 0x7e00
	s_xor_b32 exec_lo, exec_lo, s13
	s_cbranch_execnz .LBB183_1793
.LBB183_1776:
	s_or_b32 exec_lo, exec_lo, s13
	s_and_saveexec_b32 s13, s12
	s_cbranch_execz .LBB183_1778
.LBB183_1777:
	v_and_b32_e32 v1, 0xffff, v3
	s_delay_alu instid0(VALU_DEP_1) | instskip(SKIP_1) | instid1(VALU_DEP_2)
	v_and_b32_e32 v5, 7, v1
	v_bfe_u32 v11, v1, 3, 4
	v_clz_i32_u32_e32 v7, v5
	s_delay_alu instid0(VALU_DEP_2) | instskip(NEXT) | instid1(VALU_DEP_2)
	v_cmp_eq_u32_e32 vcc_lo, 0, v11
	v_min_u32_e32 v7, 32, v7
	s_delay_alu instid0(VALU_DEP_1) | instskip(NEXT) | instid1(VALU_DEP_1)
	v_subrev_nc_u32_e32 v9, 28, v7
	v_dual_lshlrev_b32 v1, v9, v1 :: v_dual_sub_nc_u32 v7, 29, v7
	s_delay_alu instid0(VALU_DEP_1) | instskip(NEXT) | instid1(VALU_DEP_1)
	v_dual_lshlrev_b32 v3, 24, v3 :: v_dual_bitop2_b32 v1, 7, v1 bitop3:0x40
	v_dual_cndmask_b32 v1, v5, v1, vcc_lo :: v_dual_cndmask_b32 v7, v11, v7, vcc_lo
	s_delay_alu instid0(VALU_DEP_2) | instskip(NEXT) | instid1(VALU_DEP_2)
	v_and_b32_e32 v3, 0x80000000, v3
	v_lshlrev_b32_e32 v1, 20, v1
	s_delay_alu instid0(VALU_DEP_3) | instskip(NEXT) | instid1(VALU_DEP_1)
	v_lshl_add_u32 v5, v7, 23, 0x3b800000
	v_or3_b32 v1, v3, v5, v1
	s_delay_alu instid0(VALU_DEP_1)
	v_cvt_f16_f32_e32 v1, v1
.LBB183_1778:
	s_or_b32 exec_lo, exec_lo, s13
.LBB183_1779:
	s_mov_b32 s12, -1
.LBB183_1780:
	s_branch .LBB183_1813
.LBB183_1781:
	s_cmp_gt_i32 s4, 22
	s_cbranch_scc0 .LBB183_1791
; %bb.1782:
	s_cmp_lt_i32 s4, 24
	s_cbranch_scc1 .LBB183_1794
; %bb.1783:
	s_cmp_gt_i32 s4, 24
	s_cbranch_scc0 .LBB183_1795
; %bb.1784:
	global_load_u8 v3, v[22:23], off
	s_mov_b32 s12, exec_lo
	s_wait_loadcnt 0x0
	v_cmpx_lt_i16_e32 0x7f, v3
	s_xor_b32 s12, exec_lo, s12
	s_cbranch_execz .LBB183_1807
; %bb.1785:
	s_mov_b32 s11, -1
	s_mov_b32 s13, exec_lo
	v_cmpx_eq_u16_e32 0x80, v3
; %bb.1786:
	s_xor_b32 s11, exec_lo, -1
; %bb.1787:
	s_or_b32 exec_lo, exec_lo, s13
	s_delay_alu instid0(SALU_CYCLE_1)
	s_and_b32 s11, s11, exec_lo
	s_or_saveexec_b32 s12, s12
	v_mov_b32_e32 v1, 0x7e00
	s_xor_b32 exec_lo, exec_lo, s12
	s_cbranch_execnz .LBB183_1808
.LBB183_1788:
	s_or_b32 exec_lo, exec_lo, s12
	s_and_saveexec_b32 s12, s11
	s_cbranch_execz .LBB183_1790
.LBB183_1789:
	v_and_b32_e32 v1, 0xffff, v3
	s_delay_alu instid0(VALU_DEP_1) | instskip(SKIP_1) | instid1(VALU_DEP_2)
	v_and_b32_e32 v5, 3, v1
	v_bfe_u32 v11, v1, 2, 5
	v_clz_i32_u32_e32 v7, v5
	s_delay_alu instid0(VALU_DEP_2) | instskip(NEXT) | instid1(VALU_DEP_2)
	v_cmp_eq_u32_e32 vcc_lo, 0, v11
	v_min_u32_e32 v7, 32, v7
	s_delay_alu instid0(VALU_DEP_1) | instskip(NEXT) | instid1(VALU_DEP_1)
	v_subrev_nc_u32_e32 v9, 29, v7
	v_dual_lshlrev_b32 v1, v9, v1 :: v_dual_sub_nc_u32 v7, 30, v7
	s_delay_alu instid0(VALU_DEP_1) | instskip(NEXT) | instid1(VALU_DEP_1)
	v_dual_lshlrev_b32 v3, 24, v3 :: v_dual_bitop2_b32 v1, 3, v1 bitop3:0x40
	v_dual_cndmask_b32 v1, v5, v1, vcc_lo :: v_dual_cndmask_b32 v7, v11, v7, vcc_lo
	s_delay_alu instid0(VALU_DEP_2) | instskip(NEXT) | instid1(VALU_DEP_2)
	v_and_b32_e32 v3, 0x80000000, v3
	v_lshlrev_b32_e32 v1, 21, v1
	s_delay_alu instid0(VALU_DEP_3) | instskip(NEXT) | instid1(VALU_DEP_1)
	v_lshl_add_u32 v5, v7, 23, 0x37800000
	v_or3_b32 v1, v3, v5, v1
	s_delay_alu instid0(VALU_DEP_1)
	v_cvt_f16_f32_e32 v1, v1
.LBB183_1790:
	s_or_b32 exec_lo, exec_lo, s12
	s_mov_b32 s11, 0
	s_branch .LBB183_1796
.LBB183_1791:
	s_mov_b32 s11, -1
                                        ; implicit-def: $vgpr1
	s_branch .LBB183_1802
.LBB183_1792:
	s_or_saveexec_b32 s13, s13
	v_mov_b32_e32 v1, 0x7e00
	s_xor_b32 exec_lo, exec_lo, s13
	s_cbranch_execz .LBB183_1776
.LBB183_1793:
	v_cmp_ne_u16_e32 vcc_lo, 0, v3
	v_mov_b32_e32 v1, v3
	s_and_not1_b32 s12, s12, exec_lo
	s_and_b32 s14, vcc_lo, exec_lo
	s_delay_alu instid0(SALU_CYCLE_1)
	s_or_b32 s12, s12, s14
	s_or_b32 exec_lo, exec_lo, s13
	s_and_saveexec_b32 s13, s12
	s_cbranch_execnz .LBB183_1777
	s_branch .LBB183_1778
.LBB183_1794:
	s_mov_b32 s11, -1
                                        ; implicit-def: $vgpr1
	s_branch .LBB183_1799
.LBB183_1795:
	s_mov_b32 s11, -1
                                        ; implicit-def: $vgpr1
.LBB183_1796:
	s_delay_alu instid0(SALU_CYCLE_1)
	s_and_b32 vcc_lo, exec_lo, s11
	s_cbranch_vccz .LBB183_1798
; %bb.1797:
	global_load_u8 v1, v[22:23], off
	s_wait_loadcnt 0x0
	v_lshlrev_b32_e32 v1, 24, v1
	s_delay_alu instid0(VALU_DEP_1) | instskip(NEXT) | instid1(VALU_DEP_1)
	v_and_b32_e32 v3, 0x7f000000, v1
	v_clz_i32_u32_e32 v5, v3
	v_add_nc_u32_e32 v9, 0x1000000, v3
	v_cmp_ne_u32_e32 vcc_lo, 0, v3
	s_delay_alu instid0(VALU_DEP_3) | instskip(NEXT) | instid1(VALU_DEP_1)
	v_min_u32_e32 v5, 32, v5
	v_sub_nc_u32_e64 v5, v5, 4 clamp
	s_delay_alu instid0(VALU_DEP_1) | instskip(NEXT) | instid1(VALU_DEP_1)
	v_dual_lshlrev_b32 v7, v5, v3 :: v_dual_lshlrev_b32 v5, 23, v5
	v_lshrrev_b32_e32 v7, 4, v7
	s_delay_alu instid0(VALU_DEP_1) | instskip(SKIP_1) | instid1(VALU_DEP_2)
	v_sub_nc_u32_e32 v5, v7, v5
	v_ashrrev_i32_e32 v7, 8, v9
	v_add_nc_u32_e32 v5, 0x3c000000, v5
	s_delay_alu instid0(VALU_DEP_1) | instskip(NEXT) | instid1(VALU_DEP_1)
	v_and_or_b32 v5, 0x7f800000, v7, v5
	v_cndmask_b32_e32 v3, 0, v5, vcc_lo
	s_delay_alu instid0(VALU_DEP_1) | instskip(NEXT) | instid1(VALU_DEP_1)
	v_and_or_b32 v1, 0x80000000, v1, v3
	v_cvt_f16_f32_e32 v1, v1
.LBB183_1798:
	s_mov_b32 s11, 0
.LBB183_1799:
	s_delay_alu instid0(SALU_CYCLE_1)
	s_and_not1_b32 vcc_lo, exec_lo, s11
	s_cbranch_vccnz .LBB183_1801
; %bb.1800:
	global_load_u8 v1, v[22:23], off
	s_wait_loadcnt 0x0
	v_lshlrev_b32_e32 v3, 25, v1
	v_lshlrev_b16 v1, 8, v1
	s_delay_alu instid0(VALU_DEP_1) | instskip(SKIP_1) | instid1(VALU_DEP_2)
	v_and_or_b32 v7, 0x7f00, v1, 0.5
	v_bfe_i32 v1, v1, 0, 16
	v_add_f32_e32 v7, -0.5, v7
	v_lshrrev_b32_e32 v5, 4, v3
	v_cmp_gt_u32_e32 vcc_lo, 0x8000000, v3
	s_delay_alu instid0(VALU_DEP_2) | instskip(NEXT) | instid1(VALU_DEP_1)
	v_or_b32_e32 v5, 0x70000000, v5
	v_mul_f32_e32 v5, 0x7800000, v5
	s_delay_alu instid0(VALU_DEP_1) | instskip(NEXT) | instid1(VALU_DEP_1)
	v_cndmask_b32_e32 v3, v5, v7, vcc_lo
	v_and_or_b32 v1, 0x80000000, v1, v3
	s_delay_alu instid0(VALU_DEP_1)
	v_cvt_f16_f32_e32 v1, v1
.LBB183_1801:
	s_mov_b32 s11, 0
	s_mov_b32 s12, -1
.LBB183_1802:
	s_and_not1_b32 vcc_lo, exec_lo, s11
	s_mov_b32 s11, 0
	s_cbranch_vccnz .LBB183_1813
; %bb.1803:
	s_cmp_gt_i32 s4, 14
	s_cbranch_scc0 .LBB183_1806
; %bb.1804:
	s_cmp_eq_u32 s4, 15
	s_cbranch_scc0 .LBB183_1809
; %bb.1805:
	global_load_u16 v1, v[22:23], off
	s_mov_b32 s5, 0
	s_mov_b32 s12, -1
	s_wait_loadcnt 0x0
	v_lshlrev_b32_e32 v1, 16, v1
	s_delay_alu instid0(VALU_DEP_1)
	v_cvt_f16_f32_e32 v1, v1
	s_branch .LBB183_1811
.LBB183_1806:
	s_mov_b32 s11, -1
	s_branch .LBB183_1810
.LBB183_1807:
	s_or_saveexec_b32 s12, s12
	v_mov_b32_e32 v1, 0x7e00
	s_xor_b32 exec_lo, exec_lo, s12
	s_cbranch_execz .LBB183_1788
.LBB183_1808:
	v_cmp_ne_u16_e32 vcc_lo, 0, v3
	v_mov_b32_e32 v1, v3
	s_and_not1_b32 s11, s11, exec_lo
	s_and_b32 s13, vcc_lo, exec_lo
	s_delay_alu instid0(SALU_CYCLE_1)
	s_or_b32 s11, s11, s13
	s_or_b32 exec_lo, exec_lo, s12
	s_and_saveexec_b32 s12, s11
	s_cbranch_execnz .LBB183_1789
	s_branch .LBB183_1790
.LBB183_1809:
	s_mov_b32 s5, -1
.LBB183_1810:
                                        ; implicit-def: $vgpr1
.LBB183_1811:
	s_and_b32 vcc_lo, exec_lo, s11
	s_mov_b32 s11, 0
	s_cbranch_vccz .LBB183_1813
; %bb.1812:
	s_cmp_lg_u32 s4, 11
	s_mov_b32 s11, -1
	s_cselect_b32 s5, -1, 0
.LBB183_1813:
	s_delay_alu instid0(SALU_CYCLE_1)
	s_and_b32 vcc_lo, exec_lo, s5
	s_cbranch_vccnz .LBB183_1876
; %bb.1814:
	s_and_not1_b32 vcc_lo, exec_lo, s11
	s_cbranch_vccnz .LBB183_1816
.LBB183_1815:
	global_load_u8 v1, v[22:23], off
	s_mov_b32 s12, -1
	s_wait_loadcnt 0x0
	v_cmp_ne_u16_e32 vcc_lo, 0, v1
	v_cndmask_b32_e64 v1, 0, 0x3c00, vcc_lo
.LBB183_1816:
	s_branch .LBB183_1740
.LBB183_1817:
	s_and_b32 s4, 0xffff, s10
	s_delay_alu instid0(SALU_CYCLE_1)
	s_cmp_lt_i32 s4, 5
	s_cbranch_scc1 .LBB183_1822
; %bb.1818:
	s_cmp_lt_i32 s4, 8
	s_cbranch_scc1 .LBB183_1823
; %bb.1819:
	;; [unrolled: 3-line block ×3, first 2 shown]
	s_cmp_gt_i32 s4, 9
	s_cbranch_scc0 .LBB183_1825
; %bb.1821:
	global_load_b64 v[24:25], v[22:23], off
	s_mov_b32 s5, 0
	s_wait_loadcnt 0x0
	v_and_or_b32 v1, 0x1ff, v25, v24
	v_lshrrev_b32_e32 v3, 8, v25
	v_bfe_u32 v5, v25, 20, 11
	s_delay_alu instid0(VALU_DEP_3) | instskip(NEXT) | instid1(VALU_DEP_2)
	v_cmp_ne_u32_e32 vcc_lo, 0, v1
	v_sub_nc_u32_e32 v7, 0x3f1, v5
	v_add_nc_u32_e32 v5, 0xfffffc10, v5
	v_cndmask_b32_e64 v1, 0, 1, vcc_lo
	s_delay_alu instid0(VALU_DEP_1) | instskip(NEXT) | instid1(VALU_DEP_4)
	v_and_or_b32 v1, 0xffe, v3, v1
	v_med3_i32 v3, v7, 0, 13
	s_delay_alu instid0(VALU_DEP_2) | instskip(NEXT) | instid1(VALU_DEP_1)
	v_or_b32_e32 v7, 0x1000, v1
	v_lshrrev_b32_e32 v9, v3, v7
	s_delay_alu instid0(VALU_DEP_1) | instskip(NEXT) | instid1(VALU_DEP_1)
	v_lshlrev_b32_e32 v3, v3, v9
	v_cmp_ne_u32_e32 vcc_lo, v3, v7
	v_lshl_or_b32 v7, v5, 12, v1
	v_cndmask_b32_e64 v3, 0, 1, vcc_lo
	v_cmp_gt_i32_e32 vcc_lo, 1, v5
	s_delay_alu instid0(VALU_DEP_2) | instskip(NEXT) | instid1(VALU_DEP_1)
	v_or_b32_e32 v3, v9, v3
	v_cndmask_b32_e32 v3, v7, v3, vcc_lo
	s_delay_alu instid0(VALU_DEP_1) | instskip(NEXT) | instid1(VALU_DEP_1)
	v_and_b32_e32 v7, 7, v3
	v_cmp_lt_i32_e32 vcc_lo, 5, v7
	v_cndmask_b32_e64 v9, 0, 1, vcc_lo
	v_cmp_eq_u32_e32 vcc_lo, 3, v7
	v_cndmask_b32_e64 v7, 0, 1, vcc_lo
	v_cmp_ne_u32_e32 vcc_lo, 0, v1
	s_delay_alu instid0(VALU_DEP_2) | instskip(SKIP_1) | instid1(VALU_DEP_2)
	v_dual_lshrrev_b32 v3, 2, v3 :: v_dual_bitop2_b32 v7, v7, v9 bitop3:0x54
	v_mov_b32_e32 v9, 0x7e00
	v_add_nc_u32_e32 v3, v3, v7
	s_delay_alu instid0(VALU_DEP_2) | instskip(SKIP_1) | instid1(VALU_DEP_3)
	v_cndmask_b32_e32 v1, 0x7c00, v9, vcc_lo
	v_cmp_gt_i32_e32 vcc_lo, 31, v5
	v_cndmask_b32_e32 v3, 0x7c00, v3, vcc_lo
	v_cmp_eq_u32_e32 vcc_lo, 0x40f, v5
	s_delay_alu instid0(VALU_DEP_2) | instskip(SKIP_1) | instid1(VALU_DEP_1)
	v_cndmask_b32_e32 v1, v3, v1, vcc_lo
	v_lshrrev_b32_e32 v3, 16, v25
	v_and_or_b32 v1, 0x8000, v3, v1
	s_branch .LBB183_1826
.LBB183_1822:
                                        ; implicit-def: $vgpr1
	s_branch .LBB183_1844
.LBB183_1823:
	s_mov_b32 s5, -1
                                        ; implicit-def: $vgpr1
	s_branch .LBB183_1832
.LBB183_1824:
	s_mov_b32 s5, -1
                                        ; implicit-def: $vgpr1
	s_branch .LBB183_1829
.LBB183_1825:
	s_mov_b32 s5, -1
                                        ; implicit-def: $vgpr1
.LBB183_1826:
	s_delay_alu instid0(SALU_CYCLE_1)
	s_and_not1_b32 vcc_lo, exec_lo, s5
	s_cbranch_vccnz .LBB183_1828
; %bb.1827:
	global_load_b32 v1, v[22:23], off
	s_wait_loadcnt 0x0
	v_cvt_f16_f32_e32 v1, v1
.LBB183_1828:
	s_mov_b32 s5, 0
.LBB183_1829:
	s_delay_alu instid0(SALU_CYCLE_1)
	s_and_not1_b32 vcc_lo, exec_lo, s5
	s_cbranch_vccnz .LBB183_1831
; %bb.1830:
	global_load_b32 v1, v[22:23], off
.LBB183_1831:
	s_mov_b32 s5, 0
.LBB183_1832:
	s_delay_alu instid0(SALU_CYCLE_1)
	s_and_not1_b32 vcc_lo, exec_lo, s5
	s_cbranch_vccnz .LBB183_1843
; %bb.1833:
	s_cmp_lt_i32 s4, 6
	s_cbranch_scc1 .LBB183_1836
; %bb.1834:
	s_cmp_gt_i32 s4, 6
	s_cbranch_scc0 .LBB183_1837
; %bb.1835:
	global_load_b64 v[24:25], v[22:23], off
	s_mov_b32 s5, 0
	s_wait_loadcnt 0x0
	v_and_or_b32 v1, 0x1ff, v25, v24
	v_lshrrev_b32_e32 v3, 8, v25
	v_bfe_u32 v5, v25, 20, 11
	s_delay_alu instid0(VALU_DEP_3) | instskip(NEXT) | instid1(VALU_DEP_2)
	v_cmp_ne_u32_e32 vcc_lo, 0, v1
	v_sub_nc_u32_e32 v7, 0x3f1, v5
	v_add_nc_u32_e32 v5, 0xfffffc10, v5
	v_cndmask_b32_e64 v1, 0, 1, vcc_lo
	s_delay_alu instid0(VALU_DEP_1) | instskip(NEXT) | instid1(VALU_DEP_4)
	v_and_or_b32 v1, 0xffe, v3, v1
	v_med3_i32 v3, v7, 0, 13
	s_delay_alu instid0(VALU_DEP_2) | instskip(NEXT) | instid1(VALU_DEP_1)
	v_or_b32_e32 v7, 0x1000, v1
	v_lshrrev_b32_e32 v9, v3, v7
	s_delay_alu instid0(VALU_DEP_1) | instskip(NEXT) | instid1(VALU_DEP_1)
	v_lshlrev_b32_e32 v3, v3, v9
	v_cmp_ne_u32_e32 vcc_lo, v3, v7
	v_lshl_or_b32 v7, v5, 12, v1
	v_cndmask_b32_e64 v3, 0, 1, vcc_lo
	v_cmp_gt_i32_e32 vcc_lo, 1, v5
	s_delay_alu instid0(VALU_DEP_2) | instskip(NEXT) | instid1(VALU_DEP_1)
	v_or_b32_e32 v3, v9, v3
	v_cndmask_b32_e32 v3, v7, v3, vcc_lo
	s_delay_alu instid0(VALU_DEP_1) | instskip(NEXT) | instid1(VALU_DEP_1)
	v_and_b32_e32 v7, 7, v3
	v_cmp_lt_i32_e32 vcc_lo, 5, v7
	v_cndmask_b32_e64 v9, 0, 1, vcc_lo
	v_cmp_eq_u32_e32 vcc_lo, 3, v7
	v_cndmask_b32_e64 v7, 0, 1, vcc_lo
	v_cmp_ne_u32_e32 vcc_lo, 0, v1
	s_delay_alu instid0(VALU_DEP_2) | instskip(SKIP_1) | instid1(VALU_DEP_2)
	v_dual_lshrrev_b32 v3, 2, v3 :: v_dual_bitop2_b32 v7, v7, v9 bitop3:0x54
	v_mov_b32_e32 v9, 0x7e00
	v_add_nc_u32_e32 v3, v3, v7
	s_delay_alu instid0(VALU_DEP_2) | instskip(SKIP_1) | instid1(VALU_DEP_3)
	v_cndmask_b32_e32 v1, 0x7c00, v9, vcc_lo
	v_cmp_gt_i32_e32 vcc_lo, 31, v5
	v_cndmask_b32_e32 v3, 0x7c00, v3, vcc_lo
	v_cmp_eq_u32_e32 vcc_lo, 0x40f, v5
	s_delay_alu instid0(VALU_DEP_2) | instskip(SKIP_1) | instid1(VALU_DEP_1)
	v_cndmask_b32_e32 v1, v3, v1, vcc_lo
	v_lshrrev_b32_e32 v3, 16, v25
	v_and_or_b32 v1, 0x8000, v3, v1
	s_branch .LBB183_1838
.LBB183_1836:
	s_mov_b32 s5, -1
                                        ; implicit-def: $vgpr1
	s_branch .LBB183_1841
.LBB183_1837:
	s_mov_b32 s5, -1
                                        ; implicit-def: $vgpr1
.LBB183_1838:
	s_delay_alu instid0(SALU_CYCLE_1)
	s_and_not1_b32 vcc_lo, exec_lo, s5
	s_cbranch_vccnz .LBB183_1840
; %bb.1839:
	s_wait_loadcnt 0x0
	global_load_b32 v1, v[22:23], off
	s_wait_loadcnt 0x0
	v_cvt_f16_f32_e32 v1, v1
.LBB183_1840:
	s_mov_b32 s5, 0
.LBB183_1841:
	s_delay_alu instid0(SALU_CYCLE_1)
	s_and_not1_b32 vcc_lo, exec_lo, s5
	s_cbranch_vccnz .LBB183_1843
; %bb.1842:
	s_wait_loadcnt 0x0
	global_load_u16 v1, v[22:23], off
.LBB183_1843:
	s_cbranch_execnz .LBB183_1863
.LBB183_1844:
	s_cmp_lt_i32 s4, 2
	s_cbranch_scc1 .LBB183_1848
; %bb.1845:
	s_cmp_lt_i32 s4, 3
	s_cbranch_scc1 .LBB183_1849
; %bb.1846:
	s_cmp_gt_i32 s4, 3
	s_cbranch_scc0 .LBB183_1850
; %bb.1847:
	global_load_b64 v[24:25], v[22:23], off
	s_mov_b32 s5, 0
	s_wait_loadcnt 0x0
	v_xor_b32_e32 v1, v24, v25
	v_cls_i32_e32 v3, v25
	s_delay_alu instid0(VALU_DEP_2) | instskip(NEXT) | instid1(VALU_DEP_1)
	v_ashrrev_i32_e32 v1, 31, v1
	v_add_nc_u32_e32 v1, 32, v1
	s_delay_alu instid0(VALU_DEP_1) | instskip(NEXT) | instid1(VALU_DEP_1)
	v_add_min_u32_e64 v1, v3, -1, v1
	v_lshlrev_b64_e32 v[24:25], v1, v[24:25]
	v_sub_nc_u32_e32 v1, 32, v1
	s_delay_alu instid0(VALU_DEP_2) | instskip(NEXT) | instid1(VALU_DEP_1)
	v_min_u32_e32 v3, 1, v24
	v_or_b32_e32 v3, v25, v3
	s_delay_alu instid0(VALU_DEP_1) | instskip(NEXT) | instid1(VALU_DEP_1)
	v_cvt_f32_i32_e32 v3, v3
	v_ldexp_f32 v1, v3, v1
	s_delay_alu instid0(VALU_DEP_1)
	v_cvt_f16_f32_e32 v1, v1
	s_branch .LBB183_1851
.LBB183_1848:
	s_mov_b32 s5, -1
                                        ; implicit-def: $vgpr1
	s_branch .LBB183_1857
.LBB183_1849:
	s_mov_b32 s5, -1
                                        ; implicit-def: $vgpr1
	s_branch .LBB183_1854
.LBB183_1850:
	s_mov_b32 s5, -1
                                        ; implicit-def: $vgpr1
.LBB183_1851:
	s_delay_alu instid0(SALU_CYCLE_1)
	s_and_not1_b32 vcc_lo, exec_lo, s5
	s_cbranch_vccnz .LBB183_1853
; %bb.1852:
	s_wait_loadcnt 0x0
	global_load_b32 v1, v[22:23], off
	s_wait_loadcnt 0x0
	v_cvt_f32_i32_e32 v1, v1
	s_delay_alu instid0(VALU_DEP_1)
	v_cvt_f16_f32_e32 v1, v1
.LBB183_1853:
	s_mov_b32 s5, 0
.LBB183_1854:
	s_delay_alu instid0(SALU_CYCLE_1)
	s_and_not1_b32 vcc_lo, exec_lo, s5
	s_cbranch_vccnz .LBB183_1856
; %bb.1855:
	s_wait_loadcnt 0x0
	global_load_u16 v1, v[22:23], off
	s_wait_loadcnt 0x0
	v_cvt_f16_i16_e32 v1, v1
.LBB183_1856:
	s_mov_b32 s5, 0
.LBB183_1857:
	s_delay_alu instid0(SALU_CYCLE_1)
	s_and_not1_b32 vcc_lo, exec_lo, s5
	s_cbranch_vccnz .LBB183_1863
; %bb.1858:
	s_cmp_gt_i32 s4, 0
	s_mov_b32 s4, 0
	s_cbranch_scc0 .LBB183_1860
; %bb.1859:
	s_wait_loadcnt 0x0
	global_load_i8 v1, v[22:23], off
	s_wait_loadcnt 0x0
	v_cvt_f16_i16_e32 v1, v1
	s_branch .LBB183_1861
.LBB183_1860:
	s_mov_b32 s4, -1
                                        ; implicit-def: $vgpr1
.LBB183_1861:
	s_delay_alu instid0(SALU_CYCLE_1)
	s_and_not1_b32 vcc_lo, exec_lo, s4
	s_cbranch_vccnz .LBB183_1863
; %bb.1862:
	s_wait_loadcnt 0x0
	global_load_u8 v1, v[22:23], off
	s_wait_loadcnt 0x0
	v_cvt_f16_u16_e32 v1, v1
.LBB183_1863:
.LBB183_1864:
	v_mov_b32_e32 v21, 0
	s_load_b64 s[4:5], s[2:3], 0x1e0
	global_load_u8 v3, v21, s[2:3] offset:493
	s_wait_kmcnt 0x0
	v_add_nc_u64_e32 v[20:21], s[4:5], v[20:21]
	s_wait_loadcnt 0x0
	v_and_b32_e32 v5, 0xffff, v3
	v_readfirstlane_b32 s12, v3
	s_delay_alu instid0(VALU_DEP_2)
	v_cmp_gt_i32_e32 vcc_lo, 11, v5
	s_cbranch_vccnz .LBB183_1871
; %bb.1865:
	s_and_b32 s11, 0xffff, s12
	s_mov_b32 s14, 0
	s_cmp_gt_i32 s11, 25
	s_cbranch_scc0 .LBB183_1873
; %bb.1866:
	s_cmp_gt_i32 s11, 28
	s_cbranch_scc0 .LBB183_1874
; %bb.1867:
	;; [unrolled: 3-line block ×4, first 2 shown]
	s_cmp_eq_u32 s11, 46
	s_mov_b32 s16, 0
	s_cbranch_scc0 .LBB183_1878
; %bb.1870:
	global_load_b32 v3, v[20:21], off
	s_mov_b32 s13, 0
	s_mov_b32 s15, -1
	s_wait_loadcnt 0x0
	v_lshlrev_b32_e32 v3, 16, v3
	s_delay_alu instid0(VALU_DEP_1)
	v_cvt_f16_f32_e32 v3, v3
	s_branch .LBB183_1880
.LBB183_1871:
	s_mov_b32 s15, 0
                                        ; implicit-def: $vgpr3
	s_cbranch_execnz .LBB183_1946
.LBB183_1872:
	s_and_not1_b32 vcc_lo, exec_lo, s15
	s_cbranch_vccz .LBB183_1994
	s_branch .LBB183_3280
.LBB183_1873:
	s_mov_b32 s16, -1
	s_mov_b32 s15, 0
	s_mov_b32 s13, 0
                                        ; implicit-def: $vgpr3
	s_branch .LBB183_1909
.LBB183_1874:
	s_mov_b32 s16, -1
	s_mov_b32 s15, 0
	s_mov_b32 s13, 0
                                        ; implicit-def: $vgpr3
	s_branch .LBB183_1890
.LBB183_1875:
	s_mov_b32 s16, -1
	s_mov_b32 s15, 0
	s_mov_b32 s13, 0
                                        ; implicit-def: $vgpr3
	s_branch .LBB183_1885
.LBB183_1876:
	s_or_b32 s8, s8, exec_lo
	s_trap 2
	s_cbranch_execz .LBB183_1815
	s_branch .LBB183_1816
.LBB183_1877:
	s_mov_b32 s16, -1
	s_mov_b32 s15, 0
	s_mov_b32 s13, 0
	s_branch .LBB183_1879
.LBB183_1878:
	s_mov_b32 s13, -1
	s_mov_b32 s15, 0
.LBB183_1879:
                                        ; implicit-def: $vgpr3
.LBB183_1880:
	s_and_b32 vcc_lo, exec_lo, s16
	s_cbranch_vccz .LBB183_1884
; %bb.1881:
	s_cmp_eq_u32 s11, 44
	s_cbranch_scc0 .LBB183_1883
; %bb.1882:
	global_load_u8 v3, v[20:21], off
	s_mov_b32 s13, 0
	s_mov_b32 s15, -1
	s_wait_loadcnt 0x0
	v_lshlrev_b32_e32 v5, 23, v3
	v_cmp_ne_u32_e32 vcc_lo, 0xff, v3
	s_delay_alu instid0(VALU_DEP_2) | instskip(NEXT) | instid1(VALU_DEP_1)
	v_cvt_f16_f32_e32 v5, v5
	v_cndmask_b32_e32 v5, 0x7e00, v5, vcc_lo
	v_cmp_ne_u32_e32 vcc_lo, 0, v3
	s_delay_alu instid0(VALU_DEP_2)
	v_cndmask_b32_e32 v3, 0, v5, vcc_lo
	s_branch .LBB183_1884
.LBB183_1883:
	s_mov_b32 s13, -1
                                        ; implicit-def: $vgpr3
.LBB183_1884:
	s_mov_b32 s16, 0
.LBB183_1885:
	s_delay_alu instid0(SALU_CYCLE_1)
	s_and_b32 vcc_lo, exec_lo, s16
	s_cbranch_vccz .LBB183_1889
; %bb.1886:
	s_cmp_eq_u32 s11, 29
	s_cbranch_scc0 .LBB183_1888
; %bb.1887:
	global_load_b64 v[22:23], v[20:21], off
	s_mov_b32 s13, 0
	s_mov_b32 s15, -1
	s_mov_b32 s16, 0
	s_wait_loadcnt 0x0
	v_clz_i32_u32_e32 v3, v23
	s_delay_alu instid0(VALU_DEP_1) | instskip(NEXT) | instid1(VALU_DEP_1)
	v_min_u32_e32 v3, 32, v3
	v_lshlrev_b64_e32 v[22:23], v3, v[22:23]
	v_sub_nc_u32_e32 v3, 32, v3
	s_delay_alu instid0(VALU_DEP_2) | instskip(NEXT) | instid1(VALU_DEP_1)
	v_min_u32_e32 v5, 1, v22
	v_or_b32_e32 v5, v23, v5
	s_delay_alu instid0(VALU_DEP_1) | instskip(NEXT) | instid1(VALU_DEP_1)
	v_cvt_f32_u32_e32 v5, v5
	v_ldexp_f32 v3, v5, v3
	s_delay_alu instid0(VALU_DEP_1)
	v_cvt_f16_f32_e32 v3, v3
	s_branch .LBB183_1890
.LBB183_1888:
	s_mov_b32 s13, -1
                                        ; implicit-def: $vgpr3
.LBB183_1889:
	s_mov_b32 s16, 0
.LBB183_1890:
	s_delay_alu instid0(SALU_CYCLE_1)
	s_and_b32 vcc_lo, exec_lo, s16
	s_cbranch_vccz .LBB183_1908
; %bb.1891:
	s_cmp_lt_i32 s11, 27
	s_cbranch_scc1 .LBB183_1894
; %bb.1892:
	s_cmp_gt_i32 s11, 27
	s_cbranch_scc0 .LBB183_1895
; %bb.1893:
	global_load_b32 v3, v[20:21], off
	s_mov_b32 s15, 0
	s_wait_loadcnt 0x0
	v_cvt_f32_u32_e32 v3, v3
	s_delay_alu instid0(VALU_DEP_1)
	v_cvt_f16_f32_e32 v3, v3
	s_branch .LBB183_1896
.LBB183_1894:
	s_mov_b32 s15, -1
                                        ; implicit-def: $vgpr3
	s_branch .LBB183_1899
.LBB183_1895:
	s_mov_b32 s15, -1
                                        ; implicit-def: $vgpr3
.LBB183_1896:
	s_delay_alu instid0(SALU_CYCLE_1)
	s_and_not1_b32 vcc_lo, exec_lo, s15
	s_cbranch_vccnz .LBB183_1898
; %bb.1897:
	global_load_u16 v3, v[20:21], off
	s_wait_loadcnt 0x0
	v_cvt_f16_u16_e32 v3, v3
.LBB183_1898:
	s_mov_b32 s15, 0
.LBB183_1899:
	s_delay_alu instid0(SALU_CYCLE_1)
	s_and_not1_b32 vcc_lo, exec_lo, s15
	s_cbranch_vccnz .LBB183_1907
; %bb.1900:
	global_load_u8 v5, v[20:21], off
	s_mov_b32 s15, 0
	s_mov_b32 s16, exec_lo
	s_wait_loadcnt 0x0
	v_cmpx_lt_i16_e32 0x7f, v5
	s_xor_b32 s16, exec_lo, s16
	s_cbranch_execz .LBB183_1921
; %bb.1901:
	s_mov_b32 s15, -1
	s_mov_b32 s17, exec_lo
	v_cmpx_eq_u16_e32 0x80, v5
; %bb.1902:
	s_xor_b32 s15, exec_lo, -1
; %bb.1903:
	s_or_b32 exec_lo, exec_lo, s17
	s_delay_alu instid0(SALU_CYCLE_1)
	s_and_b32 s15, s15, exec_lo
	s_or_saveexec_b32 s16, s16
	v_mov_b32_e32 v3, 0x7e00
	s_xor_b32 exec_lo, exec_lo, s16
	s_cbranch_execnz .LBB183_1922
.LBB183_1904:
	s_or_b32 exec_lo, exec_lo, s16
	s_and_saveexec_b32 s16, s15
	s_cbranch_execz .LBB183_1906
.LBB183_1905:
	v_and_b32_e32 v3, 0xffff, v5
	s_delay_alu instid0(VALU_DEP_1) | instskip(SKIP_1) | instid1(VALU_DEP_2)
	v_and_b32_e32 v7, 7, v3
	v_bfe_u32 v13, v3, 3, 4
	v_clz_i32_u32_e32 v9, v7
	s_delay_alu instid0(VALU_DEP_2) | instskip(NEXT) | instid1(VALU_DEP_2)
	v_cmp_eq_u32_e32 vcc_lo, 0, v13
	v_min_u32_e32 v9, 32, v9
	s_delay_alu instid0(VALU_DEP_1) | instskip(NEXT) | instid1(VALU_DEP_1)
	v_subrev_nc_u32_e32 v11, 28, v9
	v_dual_lshlrev_b32 v3, v11, v3 :: v_dual_sub_nc_u32 v9, 29, v9
	s_delay_alu instid0(VALU_DEP_1) | instskip(NEXT) | instid1(VALU_DEP_1)
	v_dual_lshlrev_b32 v5, 24, v5 :: v_dual_bitop2_b32 v3, 7, v3 bitop3:0x40
	v_dual_cndmask_b32 v3, v7, v3, vcc_lo :: v_dual_cndmask_b32 v9, v13, v9, vcc_lo
	s_delay_alu instid0(VALU_DEP_2) | instskip(NEXT) | instid1(VALU_DEP_2)
	v_and_b32_e32 v5, 0x80000000, v5
	v_lshlrev_b32_e32 v3, 20, v3
	s_delay_alu instid0(VALU_DEP_3) | instskip(NEXT) | instid1(VALU_DEP_1)
	v_lshl_add_u32 v7, v9, 23, 0x3b800000
	v_or3_b32 v3, v5, v7, v3
	s_delay_alu instid0(VALU_DEP_1)
	v_cvt_f16_f32_e32 v3, v3
.LBB183_1906:
	s_or_b32 exec_lo, exec_lo, s16
.LBB183_1907:
	s_mov_b32 s15, -1
.LBB183_1908:
	s_mov_b32 s16, 0
.LBB183_1909:
	s_delay_alu instid0(SALU_CYCLE_1)
	s_and_b32 vcc_lo, exec_lo, s16
	s_cbranch_vccz .LBB183_1942
; %bb.1910:
	s_cmp_gt_i32 s11, 22
	s_cbranch_scc0 .LBB183_1920
; %bb.1911:
	s_cmp_lt_i32 s11, 24
	s_cbranch_scc1 .LBB183_1923
; %bb.1912:
	s_cmp_gt_i32 s11, 24
	s_cbranch_scc0 .LBB183_1924
; %bb.1913:
	global_load_u8 v5, v[20:21], off
	s_mov_b32 s15, exec_lo
	s_wait_loadcnt 0x0
	v_cmpx_lt_i16_e32 0x7f, v5
	s_xor_b32 s15, exec_lo, s15
	s_cbranch_execz .LBB183_1936
; %bb.1914:
	s_mov_b32 s14, -1
	s_mov_b32 s16, exec_lo
	v_cmpx_eq_u16_e32 0x80, v5
; %bb.1915:
	s_xor_b32 s14, exec_lo, -1
; %bb.1916:
	s_or_b32 exec_lo, exec_lo, s16
	s_delay_alu instid0(SALU_CYCLE_1)
	s_and_b32 s14, s14, exec_lo
	s_or_saveexec_b32 s15, s15
	v_mov_b32_e32 v3, 0x7e00
	s_xor_b32 exec_lo, exec_lo, s15
	s_cbranch_execnz .LBB183_1937
.LBB183_1917:
	s_or_b32 exec_lo, exec_lo, s15
	s_and_saveexec_b32 s15, s14
	s_cbranch_execz .LBB183_1919
.LBB183_1918:
	v_and_b32_e32 v3, 0xffff, v5
	s_delay_alu instid0(VALU_DEP_1) | instskip(SKIP_1) | instid1(VALU_DEP_2)
	v_and_b32_e32 v7, 3, v3
	v_bfe_u32 v13, v3, 2, 5
	v_clz_i32_u32_e32 v9, v7
	s_delay_alu instid0(VALU_DEP_2) | instskip(NEXT) | instid1(VALU_DEP_2)
	v_cmp_eq_u32_e32 vcc_lo, 0, v13
	v_min_u32_e32 v9, 32, v9
	s_delay_alu instid0(VALU_DEP_1) | instskip(NEXT) | instid1(VALU_DEP_1)
	v_subrev_nc_u32_e32 v11, 29, v9
	v_dual_lshlrev_b32 v3, v11, v3 :: v_dual_sub_nc_u32 v9, 30, v9
	s_delay_alu instid0(VALU_DEP_1) | instskip(NEXT) | instid1(VALU_DEP_1)
	v_dual_lshlrev_b32 v5, 24, v5 :: v_dual_bitop2_b32 v3, 3, v3 bitop3:0x40
	v_dual_cndmask_b32 v3, v7, v3, vcc_lo :: v_dual_cndmask_b32 v9, v13, v9, vcc_lo
	s_delay_alu instid0(VALU_DEP_2) | instskip(NEXT) | instid1(VALU_DEP_2)
	v_and_b32_e32 v5, 0x80000000, v5
	v_lshlrev_b32_e32 v3, 21, v3
	s_delay_alu instid0(VALU_DEP_3) | instskip(NEXT) | instid1(VALU_DEP_1)
	v_lshl_add_u32 v7, v9, 23, 0x37800000
	v_or3_b32 v3, v5, v7, v3
	s_delay_alu instid0(VALU_DEP_1)
	v_cvt_f16_f32_e32 v3, v3
.LBB183_1919:
	s_or_b32 exec_lo, exec_lo, s15
	s_mov_b32 s14, 0
	s_branch .LBB183_1925
.LBB183_1920:
	s_mov_b32 s14, -1
                                        ; implicit-def: $vgpr3
	s_branch .LBB183_1931
.LBB183_1921:
	s_or_saveexec_b32 s16, s16
	v_mov_b32_e32 v3, 0x7e00
	s_xor_b32 exec_lo, exec_lo, s16
	s_cbranch_execz .LBB183_1904
.LBB183_1922:
	v_cmp_ne_u16_e32 vcc_lo, 0, v5
	v_mov_b32_e32 v3, v5
	s_and_not1_b32 s15, s15, exec_lo
	s_and_b32 s17, vcc_lo, exec_lo
	s_delay_alu instid0(SALU_CYCLE_1)
	s_or_b32 s15, s15, s17
	s_or_b32 exec_lo, exec_lo, s16
	s_and_saveexec_b32 s16, s15
	s_cbranch_execnz .LBB183_1905
	s_branch .LBB183_1906
.LBB183_1923:
	s_mov_b32 s14, -1
                                        ; implicit-def: $vgpr3
	s_branch .LBB183_1928
.LBB183_1924:
	s_mov_b32 s14, -1
                                        ; implicit-def: $vgpr3
.LBB183_1925:
	s_delay_alu instid0(SALU_CYCLE_1)
	s_and_b32 vcc_lo, exec_lo, s14
	s_cbranch_vccz .LBB183_1927
; %bb.1926:
	global_load_u8 v3, v[20:21], off
	s_wait_loadcnt 0x0
	v_lshlrev_b32_e32 v3, 24, v3
	s_delay_alu instid0(VALU_DEP_1) | instskip(NEXT) | instid1(VALU_DEP_1)
	v_and_b32_e32 v5, 0x7f000000, v3
	v_clz_i32_u32_e32 v7, v5
	v_add_nc_u32_e32 v11, 0x1000000, v5
	v_cmp_ne_u32_e32 vcc_lo, 0, v5
	s_delay_alu instid0(VALU_DEP_3) | instskip(NEXT) | instid1(VALU_DEP_1)
	v_min_u32_e32 v7, 32, v7
	v_sub_nc_u32_e64 v7, v7, 4 clamp
	s_delay_alu instid0(VALU_DEP_1) | instskip(NEXT) | instid1(VALU_DEP_1)
	v_dual_lshlrev_b32 v9, v7, v5 :: v_dual_lshlrev_b32 v7, 23, v7
	v_lshrrev_b32_e32 v9, 4, v9
	s_delay_alu instid0(VALU_DEP_1) | instskip(SKIP_1) | instid1(VALU_DEP_2)
	v_sub_nc_u32_e32 v7, v9, v7
	v_ashrrev_i32_e32 v9, 8, v11
	v_add_nc_u32_e32 v7, 0x3c000000, v7
	s_delay_alu instid0(VALU_DEP_1) | instskip(NEXT) | instid1(VALU_DEP_1)
	v_and_or_b32 v7, 0x7f800000, v9, v7
	v_cndmask_b32_e32 v5, 0, v7, vcc_lo
	s_delay_alu instid0(VALU_DEP_1) | instskip(NEXT) | instid1(VALU_DEP_1)
	v_and_or_b32 v3, 0x80000000, v3, v5
	v_cvt_f16_f32_e32 v3, v3
.LBB183_1927:
	s_mov_b32 s14, 0
.LBB183_1928:
	s_delay_alu instid0(SALU_CYCLE_1)
	s_and_not1_b32 vcc_lo, exec_lo, s14
	s_cbranch_vccnz .LBB183_1930
; %bb.1929:
	global_load_u8 v3, v[20:21], off
	s_wait_loadcnt 0x0
	v_lshlrev_b32_e32 v5, 25, v3
	v_lshlrev_b16 v3, 8, v3
	s_delay_alu instid0(VALU_DEP_1) | instskip(SKIP_1) | instid1(VALU_DEP_2)
	v_and_or_b32 v9, 0x7f00, v3, 0.5
	v_bfe_i32 v3, v3, 0, 16
	v_add_f32_e32 v9, -0.5, v9
	v_lshrrev_b32_e32 v7, 4, v5
	v_cmp_gt_u32_e32 vcc_lo, 0x8000000, v5
	s_delay_alu instid0(VALU_DEP_2) | instskip(NEXT) | instid1(VALU_DEP_1)
	v_or_b32_e32 v7, 0x70000000, v7
	v_mul_f32_e32 v7, 0x7800000, v7
	s_delay_alu instid0(VALU_DEP_1) | instskip(NEXT) | instid1(VALU_DEP_1)
	v_cndmask_b32_e32 v5, v7, v9, vcc_lo
	v_and_or_b32 v3, 0x80000000, v3, v5
	s_delay_alu instid0(VALU_DEP_1)
	v_cvt_f16_f32_e32 v3, v3
.LBB183_1930:
	s_mov_b32 s14, 0
	s_mov_b32 s15, -1
.LBB183_1931:
	s_and_not1_b32 vcc_lo, exec_lo, s14
	s_mov_b32 s14, 0
	s_cbranch_vccnz .LBB183_1942
; %bb.1932:
	s_cmp_gt_i32 s11, 14
	s_cbranch_scc0 .LBB183_1935
; %bb.1933:
	s_cmp_eq_u32 s11, 15
	s_cbranch_scc0 .LBB183_1938
; %bb.1934:
	global_load_u16 v3, v[20:21], off
	s_mov_b32 s13, 0
	s_mov_b32 s15, -1
	s_wait_loadcnt 0x0
	v_lshlrev_b32_e32 v3, 16, v3
	s_delay_alu instid0(VALU_DEP_1)
	v_cvt_f16_f32_e32 v3, v3
	s_branch .LBB183_1940
.LBB183_1935:
	s_mov_b32 s14, -1
	s_branch .LBB183_1939
.LBB183_1936:
	s_or_saveexec_b32 s15, s15
	v_mov_b32_e32 v3, 0x7e00
	s_xor_b32 exec_lo, exec_lo, s15
	s_cbranch_execz .LBB183_1917
.LBB183_1937:
	v_cmp_ne_u16_e32 vcc_lo, 0, v5
	v_mov_b32_e32 v3, v5
	s_and_not1_b32 s14, s14, exec_lo
	s_and_b32 s16, vcc_lo, exec_lo
	s_delay_alu instid0(SALU_CYCLE_1)
	s_or_b32 s14, s14, s16
	s_or_b32 exec_lo, exec_lo, s15
	s_and_saveexec_b32 s15, s14
	s_cbranch_execnz .LBB183_1918
	s_branch .LBB183_1919
.LBB183_1938:
	s_mov_b32 s13, -1
.LBB183_1939:
                                        ; implicit-def: $vgpr3
.LBB183_1940:
	s_and_b32 vcc_lo, exec_lo, s14
	s_mov_b32 s14, 0
	s_cbranch_vccz .LBB183_1942
; %bb.1941:
	s_cmp_lg_u32 s11, 11
	s_mov_b32 s14, -1
	s_cselect_b32 s13, -1, 0
.LBB183_1942:
	s_delay_alu instid0(SALU_CYCLE_1)
	s_and_b32 vcc_lo, exec_lo, s13
	s_cbranch_vccnz .LBB183_2024
; %bb.1943:
	s_and_not1_b32 vcc_lo, exec_lo, s14
	s_cbranch_vccnz .LBB183_1945
.LBB183_1944:
	global_load_u8 v3, v[20:21], off
	s_mov_b32 s15, -1
	s_wait_loadcnt 0x0
	v_cmp_ne_u16_e32 vcc_lo, 0, v3
	v_cndmask_b32_e64 v3, 0, 0x3c00, vcc_lo
.LBB183_1945:
	s_branch .LBB183_1872
.LBB183_1946:
	s_and_b32 s11, 0xffff, s12
	s_delay_alu instid0(SALU_CYCLE_1)
	s_cmp_lt_i32 s11, 5
	s_cbranch_scc1 .LBB183_1951
; %bb.1947:
	s_cmp_lt_i32 s11, 8
	s_cbranch_scc1 .LBB183_1952
; %bb.1948:
	s_cmp_lt_i32 s11, 9
	s_cbranch_scc1 .LBB183_1953
; %bb.1949:
	s_cmp_gt_i32 s11, 9
	s_cbranch_scc0 .LBB183_1954
; %bb.1950:
	global_load_b64 v[22:23], v[20:21], off
	s_mov_b32 s13, 0
	s_wait_loadcnt 0x0
	v_and_or_b32 v3, 0x1ff, v23, v22
	v_lshrrev_b32_e32 v5, 8, v23
	v_bfe_u32 v7, v23, 20, 11
	s_delay_alu instid0(VALU_DEP_3) | instskip(NEXT) | instid1(VALU_DEP_2)
	v_cmp_ne_u32_e32 vcc_lo, 0, v3
	v_sub_nc_u32_e32 v9, 0x3f1, v7
	v_add_nc_u32_e32 v7, 0xfffffc10, v7
	v_cndmask_b32_e64 v3, 0, 1, vcc_lo
	s_delay_alu instid0(VALU_DEP_1) | instskip(NEXT) | instid1(VALU_DEP_4)
	v_and_or_b32 v3, 0xffe, v5, v3
	v_med3_i32 v5, v9, 0, 13
	s_delay_alu instid0(VALU_DEP_2) | instskip(NEXT) | instid1(VALU_DEP_1)
	v_or_b32_e32 v9, 0x1000, v3
	v_lshrrev_b32_e32 v11, v5, v9
	s_delay_alu instid0(VALU_DEP_1) | instskip(NEXT) | instid1(VALU_DEP_1)
	v_lshlrev_b32_e32 v5, v5, v11
	v_cmp_ne_u32_e32 vcc_lo, v5, v9
	v_lshl_or_b32 v9, v7, 12, v3
	v_cndmask_b32_e64 v5, 0, 1, vcc_lo
	v_cmp_gt_i32_e32 vcc_lo, 1, v7
	s_delay_alu instid0(VALU_DEP_2) | instskip(NEXT) | instid1(VALU_DEP_1)
	v_or_b32_e32 v5, v11, v5
	v_cndmask_b32_e32 v5, v9, v5, vcc_lo
	s_delay_alu instid0(VALU_DEP_1) | instskip(NEXT) | instid1(VALU_DEP_1)
	v_and_b32_e32 v9, 7, v5
	v_cmp_lt_i32_e32 vcc_lo, 5, v9
	v_cndmask_b32_e64 v11, 0, 1, vcc_lo
	v_cmp_eq_u32_e32 vcc_lo, 3, v9
	v_cndmask_b32_e64 v9, 0, 1, vcc_lo
	v_cmp_ne_u32_e32 vcc_lo, 0, v3
	s_delay_alu instid0(VALU_DEP_2) | instskip(SKIP_1) | instid1(VALU_DEP_2)
	v_dual_lshrrev_b32 v5, 2, v5 :: v_dual_bitop2_b32 v9, v9, v11 bitop3:0x54
	v_mov_b32_e32 v11, 0x7e00
	v_add_nc_u32_e32 v5, v5, v9
	s_delay_alu instid0(VALU_DEP_2) | instskip(SKIP_1) | instid1(VALU_DEP_3)
	v_cndmask_b32_e32 v3, 0x7c00, v11, vcc_lo
	v_cmp_gt_i32_e32 vcc_lo, 31, v7
	v_cndmask_b32_e32 v5, 0x7c00, v5, vcc_lo
	v_cmp_eq_u32_e32 vcc_lo, 0x40f, v7
	s_delay_alu instid0(VALU_DEP_2) | instskip(SKIP_1) | instid1(VALU_DEP_1)
	v_cndmask_b32_e32 v3, v5, v3, vcc_lo
	v_lshrrev_b32_e32 v5, 16, v23
	v_and_or_b32 v3, 0x8000, v5, v3
	s_branch .LBB183_1955
.LBB183_1951:
	s_mov_b32 s13, -1
                                        ; implicit-def: $vgpr3
	s_branch .LBB183_1973
.LBB183_1952:
	s_mov_b32 s13, -1
                                        ; implicit-def: $vgpr3
	s_branch .LBB183_1961
.LBB183_1953:
	s_mov_b32 s13, -1
                                        ; implicit-def: $vgpr3
	s_branch .LBB183_1958
.LBB183_1954:
	s_mov_b32 s13, -1
                                        ; implicit-def: $vgpr3
.LBB183_1955:
	s_delay_alu instid0(SALU_CYCLE_1)
	s_and_not1_b32 vcc_lo, exec_lo, s13
	s_cbranch_vccnz .LBB183_1957
; %bb.1956:
	global_load_b32 v3, v[20:21], off
	s_wait_loadcnt 0x0
	v_cvt_f16_f32_e32 v3, v3
.LBB183_1957:
	s_mov_b32 s13, 0
.LBB183_1958:
	s_delay_alu instid0(SALU_CYCLE_1)
	s_and_not1_b32 vcc_lo, exec_lo, s13
	s_cbranch_vccnz .LBB183_1960
; %bb.1959:
	global_load_b32 v3, v[20:21], off
.LBB183_1960:
	s_mov_b32 s13, 0
.LBB183_1961:
	s_delay_alu instid0(SALU_CYCLE_1)
	s_and_not1_b32 vcc_lo, exec_lo, s13
	s_cbranch_vccnz .LBB183_1972
; %bb.1962:
	s_cmp_lt_i32 s11, 6
	s_cbranch_scc1 .LBB183_1965
; %bb.1963:
	s_cmp_gt_i32 s11, 6
	s_cbranch_scc0 .LBB183_1966
; %bb.1964:
	global_load_b64 v[22:23], v[20:21], off
	s_mov_b32 s13, 0
	s_wait_loadcnt 0x0
	v_and_or_b32 v3, 0x1ff, v23, v22
	v_lshrrev_b32_e32 v5, 8, v23
	v_bfe_u32 v7, v23, 20, 11
	s_delay_alu instid0(VALU_DEP_3) | instskip(NEXT) | instid1(VALU_DEP_2)
	v_cmp_ne_u32_e32 vcc_lo, 0, v3
	v_sub_nc_u32_e32 v9, 0x3f1, v7
	v_add_nc_u32_e32 v7, 0xfffffc10, v7
	v_cndmask_b32_e64 v3, 0, 1, vcc_lo
	s_delay_alu instid0(VALU_DEP_1) | instskip(NEXT) | instid1(VALU_DEP_4)
	v_and_or_b32 v3, 0xffe, v5, v3
	v_med3_i32 v5, v9, 0, 13
	s_delay_alu instid0(VALU_DEP_2) | instskip(NEXT) | instid1(VALU_DEP_1)
	v_or_b32_e32 v9, 0x1000, v3
	v_lshrrev_b32_e32 v11, v5, v9
	s_delay_alu instid0(VALU_DEP_1) | instskip(NEXT) | instid1(VALU_DEP_1)
	v_lshlrev_b32_e32 v5, v5, v11
	v_cmp_ne_u32_e32 vcc_lo, v5, v9
	v_lshl_or_b32 v9, v7, 12, v3
	v_cndmask_b32_e64 v5, 0, 1, vcc_lo
	v_cmp_gt_i32_e32 vcc_lo, 1, v7
	s_delay_alu instid0(VALU_DEP_2) | instskip(NEXT) | instid1(VALU_DEP_1)
	v_or_b32_e32 v5, v11, v5
	v_cndmask_b32_e32 v5, v9, v5, vcc_lo
	s_delay_alu instid0(VALU_DEP_1) | instskip(NEXT) | instid1(VALU_DEP_1)
	v_and_b32_e32 v9, 7, v5
	v_cmp_lt_i32_e32 vcc_lo, 5, v9
	v_cndmask_b32_e64 v11, 0, 1, vcc_lo
	v_cmp_eq_u32_e32 vcc_lo, 3, v9
	v_cndmask_b32_e64 v9, 0, 1, vcc_lo
	v_cmp_ne_u32_e32 vcc_lo, 0, v3
	s_delay_alu instid0(VALU_DEP_2) | instskip(SKIP_1) | instid1(VALU_DEP_2)
	v_dual_lshrrev_b32 v5, 2, v5 :: v_dual_bitop2_b32 v9, v9, v11 bitop3:0x54
	v_mov_b32_e32 v11, 0x7e00
	v_add_nc_u32_e32 v5, v5, v9
	s_delay_alu instid0(VALU_DEP_2) | instskip(SKIP_1) | instid1(VALU_DEP_3)
	v_cndmask_b32_e32 v3, 0x7c00, v11, vcc_lo
	v_cmp_gt_i32_e32 vcc_lo, 31, v7
	v_cndmask_b32_e32 v5, 0x7c00, v5, vcc_lo
	v_cmp_eq_u32_e32 vcc_lo, 0x40f, v7
	s_delay_alu instid0(VALU_DEP_2) | instskip(SKIP_1) | instid1(VALU_DEP_1)
	v_cndmask_b32_e32 v3, v5, v3, vcc_lo
	v_lshrrev_b32_e32 v5, 16, v23
	v_and_or_b32 v3, 0x8000, v5, v3
	s_branch .LBB183_1967
.LBB183_1965:
	s_mov_b32 s13, -1
                                        ; implicit-def: $vgpr3
	s_branch .LBB183_1970
.LBB183_1966:
	s_mov_b32 s13, -1
                                        ; implicit-def: $vgpr3
.LBB183_1967:
	s_delay_alu instid0(SALU_CYCLE_1)
	s_and_not1_b32 vcc_lo, exec_lo, s13
	s_cbranch_vccnz .LBB183_1969
; %bb.1968:
	s_wait_loadcnt 0x0
	global_load_b32 v3, v[20:21], off
	s_wait_loadcnt 0x0
	v_cvt_f16_f32_e32 v3, v3
.LBB183_1969:
	s_mov_b32 s13, 0
.LBB183_1970:
	s_delay_alu instid0(SALU_CYCLE_1)
	s_and_not1_b32 vcc_lo, exec_lo, s13
	s_cbranch_vccnz .LBB183_1972
; %bb.1971:
	s_wait_loadcnt 0x0
	global_load_u16 v3, v[20:21], off
.LBB183_1972:
	s_mov_b32 s13, 0
.LBB183_1973:
	s_delay_alu instid0(SALU_CYCLE_1)
	s_and_not1_b32 vcc_lo, exec_lo, s13
	s_cbranch_vccnz .LBB183_1993
; %bb.1974:
	s_cmp_lt_i32 s11, 2
	s_cbranch_scc1 .LBB183_1978
; %bb.1975:
	s_cmp_lt_i32 s11, 3
	s_cbranch_scc1 .LBB183_1979
; %bb.1976:
	s_cmp_gt_i32 s11, 3
	s_cbranch_scc0 .LBB183_1980
; %bb.1977:
	global_load_b64 v[22:23], v[20:21], off
	s_mov_b32 s13, 0
	s_wait_loadcnt 0x0
	v_xor_b32_e32 v3, v22, v23
	v_cls_i32_e32 v5, v23
	s_delay_alu instid0(VALU_DEP_2) | instskip(NEXT) | instid1(VALU_DEP_1)
	v_ashrrev_i32_e32 v3, 31, v3
	v_add_nc_u32_e32 v3, 32, v3
	s_delay_alu instid0(VALU_DEP_1) | instskip(NEXT) | instid1(VALU_DEP_1)
	v_add_min_u32_e64 v3, v5, -1, v3
	v_lshlrev_b64_e32 v[22:23], v3, v[22:23]
	v_sub_nc_u32_e32 v3, 32, v3
	s_delay_alu instid0(VALU_DEP_2) | instskip(NEXT) | instid1(VALU_DEP_1)
	v_min_u32_e32 v5, 1, v22
	v_or_b32_e32 v5, v23, v5
	s_delay_alu instid0(VALU_DEP_1) | instskip(NEXT) | instid1(VALU_DEP_1)
	v_cvt_f32_i32_e32 v5, v5
	v_ldexp_f32 v3, v5, v3
	s_delay_alu instid0(VALU_DEP_1)
	v_cvt_f16_f32_e32 v3, v3
	s_branch .LBB183_1981
.LBB183_1978:
	s_mov_b32 s13, -1
                                        ; implicit-def: $vgpr3
	s_branch .LBB183_1987
.LBB183_1979:
	s_mov_b32 s13, -1
                                        ; implicit-def: $vgpr3
	s_branch .LBB183_1984
.LBB183_1980:
	s_mov_b32 s13, -1
                                        ; implicit-def: $vgpr3
.LBB183_1981:
	s_delay_alu instid0(SALU_CYCLE_1)
	s_and_not1_b32 vcc_lo, exec_lo, s13
	s_cbranch_vccnz .LBB183_1983
; %bb.1982:
	s_wait_loadcnt 0x0
	global_load_b32 v3, v[20:21], off
	s_wait_loadcnt 0x0
	v_cvt_f32_i32_e32 v3, v3
	s_delay_alu instid0(VALU_DEP_1)
	v_cvt_f16_f32_e32 v3, v3
.LBB183_1983:
	s_mov_b32 s13, 0
.LBB183_1984:
	s_delay_alu instid0(SALU_CYCLE_1)
	s_and_not1_b32 vcc_lo, exec_lo, s13
	s_cbranch_vccnz .LBB183_1986
; %bb.1985:
	s_wait_loadcnt 0x0
	global_load_u16 v3, v[20:21], off
	s_wait_loadcnt 0x0
	v_cvt_f16_i16_e32 v3, v3
.LBB183_1986:
	s_mov_b32 s13, 0
.LBB183_1987:
	s_delay_alu instid0(SALU_CYCLE_1)
	s_and_not1_b32 vcc_lo, exec_lo, s13
	s_cbranch_vccnz .LBB183_1993
; %bb.1988:
	s_cmp_gt_i32 s11, 0
	s_mov_b32 s11, 0
	s_cbranch_scc0 .LBB183_1990
; %bb.1989:
	s_wait_loadcnt 0x0
	global_load_i8 v3, v[20:21], off
	s_wait_loadcnt 0x0
	v_cvt_f16_i16_e32 v3, v3
	s_branch .LBB183_1991
.LBB183_1990:
	s_mov_b32 s11, -1
                                        ; implicit-def: $vgpr3
.LBB183_1991:
	s_delay_alu instid0(SALU_CYCLE_1)
	s_and_not1_b32 vcc_lo, exec_lo, s11
	s_cbranch_vccnz .LBB183_1993
; %bb.1992:
	s_wait_loadcnt 0x0
	global_load_u8 v3, v[20:21], off
	s_wait_loadcnt 0x0
	v_cvt_f16_u16_e32 v3, v3
.LBB183_1993:
.LBB183_1994:
	s_and_b32 s11, 0xffff, s9
	s_delay_alu instid0(SALU_CYCLE_1)
	s_cmp_lt_i32 s11, 23
	s_cbranch_scc1 .LBB183_1998
; %bb.1995:
	s_cmp_gt_i32 s11, 43
	s_cbranch_scc0 .LBB183_1999
; %bb.1996:
	s_cmp_gt_i32 s11, 45
	s_cbranch_scc0 .LBB183_2000
; %bb.1997:
	s_cmp_lg_u32 s11, 46
	s_mov_b32 s14, 0
	s_mov_b32 s9, -1
	s_cselect_b32 s13, -1, 0
	s_branch .LBB183_2001
.LBB183_1998:
	s_mov_b32 s14, -1
	s_mov_b32 s9, 0
	s_mov_b32 s13, 0
	s_branch .LBB183_2007
.LBB183_1999:
	s_mov_b32 s14, -1
	s_mov_b32 s9, 0
	s_mov_b32 s13, 0
	s_branch .LBB183_2004
.LBB183_2000:
	s_mov_b32 s14, -1
	s_mov_b32 s9, 0
	s_mov_b32 s13, 0
.LBB183_2001:
	s_and_not1_b32 vcc_lo, exec_lo, s14
	s_cbranch_vccnz .LBB183_2003
; %bb.2002:
	s_cmp_eq_u32 s11, 44
	s_cselect_b32 s9, -1, 0
	s_cmp_lg_u32 s11, 44
	s_cselect_b32 s13, -1, 0
.LBB183_2003:
	s_mov_b32 s14, 0
.LBB183_2004:
	s_delay_alu instid0(SALU_CYCLE_1)
	s_and_b32 vcc_lo, exec_lo, s14
	s_cbranch_vccz .LBB183_2006
; %bb.2005:
	s_cmp_lt_i32 s11, 30
	s_cselect_b32 s9, -1, 0
	s_cmp_gt_i32 s11, 29
	s_cselect_b32 s13, -1, 0
.LBB183_2006:
	s_mov_b32 s14, 0
.LBB183_2007:
	s_delay_alu instid0(SALU_CYCLE_1)
	s_and_b32 vcc_lo, exec_lo, s14
	s_cbranch_vccz .LBB183_2012
; %bb.2008:
	s_cmp_gt_i32 s11, 14
	s_mov_b32 s14, -1
	s_cbranch_scc0 .LBB183_2010
; %bb.2009:
	s_cmp_eq_u32 s11, 15
	s_mov_b32 s14, 0
	s_cselect_b32 s9, -1, 0
	s_cmp_lg_u32 s11, 15
	s_cselect_b32 s13, -1, 0
.LBB183_2010:
	s_and_not1_b32 vcc_lo, exec_lo, s14
	s_cbranch_vccnz .LBB183_2012
; %bb.2011:
	s_cmp_lt_i32 s11, 12
	s_cselect_b32 s9, -1, 0
	s_cmp_gt_i32 s11, 11
	s_cselect_b32 s13, -1, 0
.LBB183_2012:
	s_delay_alu instid0(SALU_CYCLE_1)
	s_and_b32 vcc_lo, exec_lo, s13
	s_cbranch_vccnz .LBB183_2025
; %bb.2013:
	s_and_not1_b32 vcc_lo, exec_lo, s9
	s_cbranch_vccnz .LBB183_3280
.LBB183_2014:
	v_mov_b32_e32 v19, 0
	s_and_b32 s9, 0xffff, s10
	s_delay_alu instid0(SALU_CYCLE_1) | instskip(NEXT) | instid1(VALU_DEP_1)
	s_cmp_lt_i32 s9, 11
	v_add_nc_u64_e32 v[18:19], s[0:1], v[18:19]
	s_cbranch_scc1 .LBB183_2021
; %bb.2015:
	s_cmp_gt_i32 s9, 25
	s_mov_b32 s13, 0
	s_cbranch_scc0 .LBB183_2022
; %bb.2016:
	s_cmp_gt_i32 s9, 28
	s_cbranch_scc0 .LBB183_2023
; %bb.2017:
	s_cmp_gt_i32 s9, 43
	;; [unrolled: 3-line block ×3, first 2 shown]
	s_cbranch_scc0 .LBB183_2027
; %bb.2019:
	s_cmp_eq_u32 s9, 46
	s_mov_b32 s15, 0
	s_cbranch_scc0 .LBB183_2028
; %bb.2020:
	global_load_b32 v5, v[18:19], off
	s_mov_b32 s10, 0
	s_mov_b32 s14, -1
	s_wait_loadcnt 0x0
	v_lshlrev_b32_e32 v5, 16, v5
	s_wait_xcnt 0x1
	s_delay_alu instid0(VALU_DEP_1)
	v_cvt_f16_f32_e32 v20, v5
	s_branch .LBB183_2030
.LBB183_2021:
	s_mov_b32 s10, -1
	s_mov_b32 s14, 0
                                        ; implicit-def: $vgpr20
	s_branch .LBB183_2096
.LBB183_2022:
	s_mov_b32 s15, -1
	s_mov_b32 s14, 0
	s_mov_b32 s10, 0
                                        ; implicit-def: $vgpr20
	s_branch .LBB183_2059
.LBB183_2023:
	s_mov_b32 s15, -1
	s_mov_b32 s14, 0
	s_mov_b32 s10, 0
                                        ; implicit-def: $vgpr20
	s_branch .LBB183_2040
.LBB183_2024:
	s_or_b32 s8, s8, exec_lo
	s_trap 2
	s_cbranch_execz .LBB183_1944
	s_branch .LBB183_1945
.LBB183_2025:
	s_or_b32 s8, s8, exec_lo
	s_trap 2
	s_cbranch_execz .LBB183_2014
	s_branch .LBB183_3280
.LBB183_2026:
	s_mov_b32 s15, -1
	s_mov_b32 s14, 0
	s_mov_b32 s10, 0
                                        ; implicit-def: $vgpr20
	s_branch .LBB183_2035
.LBB183_2027:
	s_mov_b32 s15, -1
	s_mov_b32 s14, 0
	s_mov_b32 s10, 0
	s_branch .LBB183_2029
.LBB183_2028:
	s_mov_b32 s10, -1
	s_mov_b32 s14, 0
.LBB183_2029:
                                        ; implicit-def: $vgpr20
.LBB183_2030:
	s_and_b32 vcc_lo, exec_lo, s15
	s_cbranch_vccz .LBB183_2034
; %bb.2031:
	s_cmp_eq_u32 s9, 44
	s_cbranch_scc0 .LBB183_2033
; %bb.2032:
	global_load_u8 v5, v[18:19], off
	s_mov_b32 s10, 0
	s_mov_b32 s14, -1
	s_wait_loadcnt 0x0
	v_lshlrev_b32_e32 v7, 23, v5
	v_cmp_ne_u32_e32 vcc_lo, 0xff, v5
	s_delay_alu instid0(VALU_DEP_2) | instskip(NEXT) | instid1(VALU_DEP_1)
	v_cvt_f16_f32_e32 v7, v7
	v_cndmask_b32_e32 v7, 0x7e00, v7, vcc_lo
	v_cmp_ne_u32_e32 vcc_lo, 0, v5
	s_wait_xcnt 0x1
	s_delay_alu instid0(VALU_DEP_2)
	v_cndmask_b32_e32 v20, 0, v7, vcc_lo
	s_branch .LBB183_2034
.LBB183_2033:
	s_mov_b32 s10, -1
                                        ; implicit-def: $vgpr20
.LBB183_2034:
	s_mov_b32 s15, 0
.LBB183_2035:
	s_delay_alu instid0(SALU_CYCLE_1)
	s_and_b32 vcc_lo, exec_lo, s15
	s_cbranch_vccz .LBB183_2039
; %bb.2036:
	s_cmp_eq_u32 s9, 29
	s_cbranch_scc0 .LBB183_2038
; %bb.2037:
	global_load_b64 v[20:21], v[18:19], off
	s_mov_b32 s10, 0
	s_mov_b32 s14, -1
	s_mov_b32 s15, 0
	s_wait_loadcnt 0x0
	v_clz_i32_u32_e32 v5, v21
	s_delay_alu instid0(VALU_DEP_1) | instskip(NEXT) | instid1(VALU_DEP_1)
	v_min_u32_e32 v5, 32, v5
	v_lshlrev_b64_e32 v[20:21], v5, v[20:21]
	v_sub_nc_u32_e32 v5, 32, v5
	s_delay_alu instid0(VALU_DEP_2) | instskip(NEXT) | instid1(VALU_DEP_1)
	v_min_u32_e32 v7, 1, v20
	v_or_b32_e32 v7, v21, v7
	s_delay_alu instid0(VALU_DEP_1) | instskip(NEXT) | instid1(VALU_DEP_1)
	v_cvt_f32_u32_e32 v7, v7
	v_ldexp_f32 v5, v7, v5
	s_delay_alu instid0(VALU_DEP_1)
	v_cvt_f16_f32_e32 v20, v5
	s_branch .LBB183_2040
.LBB183_2038:
	s_mov_b32 s10, -1
                                        ; implicit-def: $vgpr20
.LBB183_2039:
	s_mov_b32 s15, 0
.LBB183_2040:
	s_delay_alu instid0(SALU_CYCLE_1)
	s_and_b32 vcc_lo, exec_lo, s15
	s_cbranch_vccz .LBB183_2058
; %bb.2041:
	s_cmp_lt_i32 s9, 27
	s_cbranch_scc1 .LBB183_2044
; %bb.2042:
	s_cmp_gt_i32 s9, 27
	s_cbranch_scc0 .LBB183_2045
; %bb.2043:
	global_load_b32 v5, v[18:19], off
	s_mov_b32 s14, 0
	s_wait_loadcnt 0x0
	v_cvt_f32_u32_e32 v5, v5
	s_wait_xcnt 0x1
	s_delay_alu instid0(VALU_DEP_1)
	v_cvt_f16_f32_e32 v20, v5
	s_branch .LBB183_2046
.LBB183_2044:
	s_mov_b32 s14, -1
                                        ; implicit-def: $vgpr20
	s_branch .LBB183_2049
.LBB183_2045:
	s_mov_b32 s14, -1
                                        ; implicit-def: $vgpr20
.LBB183_2046:
	s_delay_alu instid0(SALU_CYCLE_1)
	s_and_not1_b32 vcc_lo, exec_lo, s14
	s_cbranch_vccnz .LBB183_2048
; %bb.2047:
	global_load_u16 v5, v[18:19], off
	s_wait_loadcnt 0x0
	s_wait_xcnt 0x1
	v_cvt_f16_u16_e32 v20, v5
.LBB183_2048:
	s_mov_b32 s14, 0
.LBB183_2049:
	s_delay_alu instid0(SALU_CYCLE_1)
	s_and_not1_b32 vcc_lo, exec_lo, s14
	s_cbranch_vccnz .LBB183_2057
; %bb.2050:
	global_load_u8 v5, v[18:19], off
	s_mov_b32 s14, 0
	s_mov_b32 s15, exec_lo
	s_wait_loadcnt 0x0
	v_cmpx_lt_i16_e32 0x7f, v5
	s_xor_b32 s15, exec_lo, s15
	s_cbranch_execz .LBB183_2071
; %bb.2051:
	s_mov_b32 s14, -1
	s_mov_b32 s16, exec_lo
	v_cmpx_eq_u16_e32 0x80, v5
; %bb.2052:
	s_xor_b32 s14, exec_lo, -1
; %bb.2053:
	s_or_b32 exec_lo, exec_lo, s16
	s_delay_alu instid0(SALU_CYCLE_1)
	s_and_b32 s14, s14, exec_lo
	s_or_saveexec_b32 s15, s15
	v_mov_b32_e32 v20, 0x7e00
	s_xor_b32 exec_lo, exec_lo, s15
	s_cbranch_execnz .LBB183_2072
.LBB183_2054:
	s_or_b32 exec_lo, exec_lo, s15
	s_and_saveexec_b32 s15, s14
	s_cbranch_execz .LBB183_2056
.LBB183_2055:
	v_and_b32_e32 v7, 0xffff, v5
	s_delay_alu instid0(VALU_DEP_1) | instskip(SKIP_1) | instid1(VALU_DEP_2)
	v_dual_lshlrev_b32 v5, 24, v5 :: v_dual_bitop2_b32 v9, 7, v7 bitop3:0x40
	v_bfe_u32 v15, v7, 3, 4
	v_and_b32_e32 v5, 0x80000000, v5
	s_delay_alu instid0(VALU_DEP_3) | instskip(NEXT) | instid1(VALU_DEP_3)
	v_clz_i32_u32_e32 v11, v9
	v_cmp_eq_u32_e32 vcc_lo, 0, v15
	s_delay_alu instid0(VALU_DEP_2) | instskip(NEXT) | instid1(VALU_DEP_1)
	v_min_u32_e32 v11, 32, v11
	v_subrev_nc_u32_e32 v13, 28, v11
	v_sub_nc_u32_e32 v11, 29, v11
	s_delay_alu instid0(VALU_DEP_2) | instskip(NEXT) | instid1(VALU_DEP_2)
	v_lshlrev_b32_e32 v7, v13, v7
	v_cndmask_b32_e32 v11, v15, v11, vcc_lo
	s_delay_alu instid0(VALU_DEP_2) | instskip(NEXT) | instid1(VALU_DEP_1)
	v_and_b32_e32 v7, 7, v7
	v_cndmask_b32_e32 v7, v9, v7, vcc_lo
	s_delay_alu instid0(VALU_DEP_3) | instskip(NEXT) | instid1(VALU_DEP_2)
	v_lshl_add_u32 v9, v11, 23, 0x3b800000
	v_lshlrev_b32_e32 v7, 20, v7
	s_delay_alu instid0(VALU_DEP_1) | instskip(NEXT) | instid1(VALU_DEP_1)
	v_or3_b32 v5, v5, v9, v7
	v_cvt_f16_f32_e32 v20, v5
.LBB183_2056:
	s_or_b32 exec_lo, exec_lo, s15
.LBB183_2057:
	s_mov_b32 s14, -1
.LBB183_2058:
	s_mov_b32 s15, 0
.LBB183_2059:
	s_delay_alu instid0(SALU_CYCLE_1)
	s_and_b32 vcc_lo, exec_lo, s15
	s_cbranch_vccz .LBB183_2092
; %bb.2060:
	s_cmp_gt_i32 s9, 22
	s_cbranch_scc0 .LBB183_2070
; %bb.2061:
	s_cmp_lt_i32 s9, 24
	s_cbranch_scc1 .LBB183_2073
; %bb.2062:
	s_cmp_gt_i32 s9, 24
	s_cbranch_scc0 .LBB183_2074
; %bb.2063:
	global_load_u8 v5, v[18:19], off
	s_mov_b32 s14, exec_lo
	s_wait_loadcnt 0x0
	v_cmpx_lt_i16_e32 0x7f, v5
	s_xor_b32 s14, exec_lo, s14
	s_cbranch_execz .LBB183_2086
; %bb.2064:
	s_mov_b32 s13, -1
	s_mov_b32 s15, exec_lo
	v_cmpx_eq_u16_e32 0x80, v5
; %bb.2065:
	s_xor_b32 s13, exec_lo, -1
; %bb.2066:
	s_or_b32 exec_lo, exec_lo, s15
	s_delay_alu instid0(SALU_CYCLE_1)
	s_and_b32 s13, s13, exec_lo
	s_or_saveexec_b32 s14, s14
	v_mov_b32_e32 v20, 0x7e00
	s_xor_b32 exec_lo, exec_lo, s14
	s_cbranch_execnz .LBB183_2087
.LBB183_2067:
	s_or_b32 exec_lo, exec_lo, s14
	s_and_saveexec_b32 s14, s13
	s_cbranch_execz .LBB183_2069
.LBB183_2068:
	v_and_b32_e32 v7, 0xffff, v5
	s_delay_alu instid0(VALU_DEP_1) | instskip(SKIP_1) | instid1(VALU_DEP_2)
	v_dual_lshlrev_b32 v5, 24, v5 :: v_dual_bitop2_b32 v9, 3, v7 bitop3:0x40
	v_bfe_u32 v15, v7, 2, 5
	v_and_b32_e32 v5, 0x80000000, v5
	s_delay_alu instid0(VALU_DEP_3) | instskip(NEXT) | instid1(VALU_DEP_3)
	v_clz_i32_u32_e32 v11, v9
	v_cmp_eq_u32_e32 vcc_lo, 0, v15
	s_delay_alu instid0(VALU_DEP_2) | instskip(NEXT) | instid1(VALU_DEP_1)
	v_min_u32_e32 v11, 32, v11
	v_subrev_nc_u32_e32 v13, 29, v11
	v_sub_nc_u32_e32 v11, 30, v11
	s_delay_alu instid0(VALU_DEP_2) | instskip(NEXT) | instid1(VALU_DEP_2)
	v_lshlrev_b32_e32 v7, v13, v7
	v_cndmask_b32_e32 v11, v15, v11, vcc_lo
	s_delay_alu instid0(VALU_DEP_2) | instskip(NEXT) | instid1(VALU_DEP_1)
	v_and_b32_e32 v7, 3, v7
	v_cndmask_b32_e32 v7, v9, v7, vcc_lo
	s_delay_alu instid0(VALU_DEP_3) | instskip(NEXT) | instid1(VALU_DEP_2)
	v_lshl_add_u32 v9, v11, 23, 0x37800000
	v_lshlrev_b32_e32 v7, 21, v7
	s_delay_alu instid0(VALU_DEP_1) | instskip(NEXT) | instid1(VALU_DEP_1)
	v_or3_b32 v5, v5, v9, v7
	v_cvt_f16_f32_e32 v20, v5
.LBB183_2069:
	s_or_b32 exec_lo, exec_lo, s14
	s_mov_b32 s13, 0
	s_branch .LBB183_2075
.LBB183_2070:
	s_mov_b32 s13, -1
                                        ; implicit-def: $vgpr20
	s_branch .LBB183_2081
.LBB183_2071:
	s_or_saveexec_b32 s15, s15
	v_mov_b32_e32 v20, 0x7e00
	s_xor_b32 exec_lo, exec_lo, s15
	s_cbranch_execz .LBB183_2054
.LBB183_2072:
	v_cmp_ne_u16_e32 vcc_lo, 0, v5
	v_mov_b32_e32 v20, v5
	s_and_not1_b32 s14, s14, exec_lo
	s_and_b32 s16, vcc_lo, exec_lo
	s_delay_alu instid0(SALU_CYCLE_1)
	s_or_b32 s14, s14, s16
	s_or_b32 exec_lo, exec_lo, s15
	s_and_saveexec_b32 s15, s14
	s_cbranch_execnz .LBB183_2055
	s_branch .LBB183_2056
.LBB183_2073:
	s_mov_b32 s13, -1
                                        ; implicit-def: $vgpr20
	s_branch .LBB183_2078
.LBB183_2074:
	s_mov_b32 s13, -1
                                        ; implicit-def: $vgpr20
.LBB183_2075:
	s_delay_alu instid0(SALU_CYCLE_1)
	s_and_b32 vcc_lo, exec_lo, s13
	s_cbranch_vccz .LBB183_2077
; %bb.2076:
	global_load_u8 v5, v[18:19], off
	s_wait_loadcnt 0x0
	v_lshlrev_b32_e32 v5, 24, v5
	s_delay_alu instid0(VALU_DEP_1) | instskip(NEXT) | instid1(VALU_DEP_1)
	v_and_b32_e32 v7, 0x7f000000, v5
	v_clz_i32_u32_e32 v9, v7
	v_add_nc_u32_e32 v13, 0x1000000, v7
	v_cmp_ne_u32_e32 vcc_lo, 0, v7
	s_delay_alu instid0(VALU_DEP_3) | instskip(NEXT) | instid1(VALU_DEP_1)
	v_min_u32_e32 v9, 32, v9
	v_sub_nc_u32_e64 v9, v9, 4 clamp
	s_delay_alu instid0(VALU_DEP_1) | instskip(NEXT) | instid1(VALU_DEP_1)
	v_dual_lshlrev_b32 v11, v9, v7 :: v_dual_lshlrev_b32 v9, 23, v9
	v_lshrrev_b32_e32 v11, 4, v11
	s_delay_alu instid0(VALU_DEP_1) | instskip(SKIP_1) | instid1(VALU_DEP_2)
	v_sub_nc_u32_e32 v9, v11, v9
	v_ashrrev_i32_e32 v11, 8, v13
	v_add_nc_u32_e32 v9, 0x3c000000, v9
	s_delay_alu instid0(VALU_DEP_1) | instskip(NEXT) | instid1(VALU_DEP_1)
	v_and_or_b32 v9, 0x7f800000, v11, v9
	v_cndmask_b32_e32 v7, 0, v9, vcc_lo
	s_delay_alu instid0(VALU_DEP_1) | instskip(SKIP_1) | instid1(VALU_DEP_1)
	v_and_or_b32 v5, 0x80000000, v5, v7
	s_wait_xcnt 0x1
	v_cvt_f16_f32_e32 v20, v5
.LBB183_2077:
	s_mov_b32 s13, 0
.LBB183_2078:
	s_delay_alu instid0(SALU_CYCLE_1)
	s_and_not1_b32 vcc_lo, exec_lo, s13
	s_cbranch_vccnz .LBB183_2080
; %bb.2079:
	global_load_u8 v5, v[18:19], off
	s_wait_loadcnt 0x0
	v_lshlrev_b32_e32 v7, 25, v5
	v_lshlrev_b16 v5, 8, v5
	s_delay_alu instid0(VALU_DEP_1) | instskip(SKIP_1) | instid1(VALU_DEP_2)
	v_and_or_b32 v11, 0x7f00, v5, 0.5
	v_bfe_i32 v5, v5, 0, 16
	v_add_f32_e32 v11, -0.5, v11
	v_lshrrev_b32_e32 v9, 4, v7
	v_cmp_gt_u32_e32 vcc_lo, 0x8000000, v7
	s_delay_alu instid0(VALU_DEP_2) | instskip(NEXT) | instid1(VALU_DEP_1)
	v_or_b32_e32 v9, 0x70000000, v9
	v_mul_f32_e32 v9, 0x7800000, v9
	s_delay_alu instid0(VALU_DEP_1) | instskip(NEXT) | instid1(VALU_DEP_1)
	v_cndmask_b32_e32 v7, v9, v11, vcc_lo
	v_and_or_b32 v5, 0x80000000, v5, v7
	s_wait_xcnt 0x1
	s_delay_alu instid0(VALU_DEP_1)
	v_cvt_f16_f32_e32 v20, v5
.LBB183_2080:
	s_mov_b32 s13, 0
	s_mov_b32 s14, -1
.LBB183_2081:
	s_and_not1_b32 vcc_lo, exec_lo, s13
	s_mov_b32 s13, 0
	s_cbranch_vccnz .LBB183_2092
; %bb.2082:
	s_cmp_gt_i32 s9, 14
	s_cbranch_scc0 .LBB183_2085
; %bb.2083:
	s_cmp_eq_u32 s9, 15
	s_cbranch_scc0 .LBB183_2088
; %bb.2084:
	global_load_u16 v5, v[18:19], off
	s_mov_b32 s10, 0
	s_mov_b32 s14, -1
	s_wait_loadcnt 0x0
	v_lshlrev_b32_e32 v5, 16, v5
	s_wait_xcnt 0x1
	s_delay_alu instid0(VALU_DEP_1)
	v_cvt_f16_f32_e32 v20, v5
	s_branch .LBB183_2090
.LBB183_2085:
	s_mov_b32 s13, -1
	s_branch .LBB183_2089
.LBB183_2086:
	s_or_saveexec_b32 s14, s14
	v_mov_b32_e32 v20, 0x7e00
	s_xor_b32 exec_lo, exec_lo, s14
	s_cbranch_execz .LBB183_2067
.LBB183_2087:
	v_cmp_ne_u16_e32 vcc_lo, 0, v5
	v_mov_b32_e32 v20, v5
	s_and_not1_b32 s13, s13, exec_lo
	s_and_b32 s15, vcc_lo, exec_lo
	s_delay_alu instid0(SALU_CYCLE_1)
	s_or_b32 s13, s13, s15
	s_or_b32 exec_lo, exec_lo, s14
	s_and_saveexec_b32 s14, s13
	s_cbranch_execnz .LBB183_2068
	s_branch .LBB183_2069
.LBB183_2088:
	s_mov_b32 s10, -1
.LBB183_2089:
                                        ; implicit-def: $vgpr20
.LBB183_2090:
	s_and_b32 vcc_lo, exec_lo, s13
	s_mov_b32 s13, 0
	s_cbranch_vccz .LBB183_2092
; %bb.2091:
	s_cmp_lg_u32 s9, 11
	s_mov_b32 s13, -1
	s_cselect_b32 s10, -1, 0
.LBB183_2092:
	s_delay_alu instid0(SALU_CYCLE_1)
	s_and_b32 vcc_lo, exec_lo, s10
	s_cbranch_vccnz .LBB183_2157
; %bb.2093:
	s_and_not1_b32 vcc_lo, exec_lo, s13
	s_cbranch_vccnz .LBB183_2095
.LBB183_2094:
	global_load_u8 v5, v[18:19], off
	s_mov_b32 s14, -1
	s_wait_loadcnt 0x0
	v_cmp_ne_u16_e32 vcc_lo, 0, v5
	s_wait_xcnt 0x1
	v_cndmask_b32_e64 v20, 0, 0x3c00, vcc_lo
.LBB183_2095:
	s_mov_b32 s10, 0
.LBB183_2096:
	s_delay_alu instid0(SALU_CYCLE_1)
	s_and_b32 vcc_lo, exec_lo, s10
	s_cbranch_vccz .LBB183_2145
; %bb.2097:
	s_cmp_lt_i32 s9, 5
	s_cbranch_scc1 .LBB183_2102
; %bb.2098:
	s_cmp_lt_i32 s9, 8
	s_cbranch_scc1 .LBB183_2103
	;; [unrolled: 3-line block ×3, first 2 shown]
; %bb.2100:
	s_cmp_gt_i32 s9, 9
	s_cbranch_scc0 .LBB183_2105
; %bb.2101:
	global_load_b64 v[20:21], v[18:19], off
	s_mov_b32 s10, 0
	s_wait_loadcnt 0x0
	v_and_or_b32 v5, 0x1ff, v21, v20
	v_lshrrev_b32_e32 v7, 8, v21
	v_bfe_u32 v9, v21, 20, 11
	s_delay_alu instid0(VALU_DEP_3) | instskip(NEXT) | instid1(VALU_DEP_2)
	v_cmp_ne_u32_e32 vcc_lo, 0, v5
	v_sub_nc_u32_e32 v11, 0x3f1, v9
	v_add_nc_u32_e32 v9, 0xfffffc10, v9
	v_cndmask_b32_e64 v5, 0, 1, vcc_lo
	s_delay_alu instid0(VALU_DEP_1) | instskip(NEXT) | instid1(VALU_DEP_4)
	v_and_or_b32 v5, 0xffe, v7, v5
	v_med3_i32 v7, v11, 0, 13
	s_delay_alu instid0(VALU_DEP_2) | instskip(NEXT) | instid1(VALU_DEP_1)
	v_or_b32_e32 v11, 0x1000, v5
	v_lshrrev_b32_e32 v13, v7, v11
	s_delay_alu instid0(VALU_DEP_1) | instskip(NEXT) | instid1(VALU_DEP_1)
	v_lshlrev_b32_e32 v7, v7, v13
	v_cmp_ne_u32_e32 vcc_lo, v7, v11
	v_lshl_or_b32 v11, v9, 12, v5
	v_cndmask_b32_e64 v7, 0, 1, vcc_lo
	v_cmp_gt_i32_e32 vcc_lo, 1, v9
	s_delay_alu instid0(VALU_DEP_2) | instskip(NEXT) | instid1(VALU_DEP_1)
	v_or_b32_e32 v7, v13, v7
	v_cndmask_b32_e32 v7, v11, v7, vcc_lo
	s_delay_alu instid0(VALU_DEP_1) | instskip(NEXT) | instid1(VALU_DEP_1)
	v_and_b32_e32 v11, 7, v7
	v_cmp_lt_i32_e32 vcc_lo, 5, v11
	v_cndmask_b32_e64 v13, 0, 1, vcc_lo
	v_cmp_eq_u32_e32 vcc_lo, 3, v11
	v_cndmask_b32_e64 v11, 0, 1, vcc_lo
	v_cmp_ne_u32_e32 vcc_lo, 0, v5
	s_delay_alu instid0(VALU_DEP_2) | instskip(SKIP_1) | instid1(VALU_DEP_2)
	v_dual_lshrrev_b32 v7, 2, v7 :: v_dual_bitop2_b32 v11, v11, v13 bitop3:0x54
	v_mov_b32_e32 v13, 0x7e00
	v_add_nc_u32_e32 v7, v7, v11
	s_delay_alu instid0(VALU_DEP_2) | instskip(SKIP_1) | instid1(VALU_DEP_3)
	v_cndmask_b32_e32 v5, 0x7c00, v13, vcc_lo
	v_cmp_gt_i32_e32 vcc_lo, 31, v9
	v_cndmask_b32_e32 v7, 0x7c00, v7, vcc_lo
	v_cmp_eq_u32_e32 vcc_lo, 0x40f, v9
	s_delay_alu instid0(VALU_DEP_2) | instskip(SKIP_1) | instid1(VALU_DEP_1)
	v_cndmask_b32_e32 v5, v7, v5, vcc_lo
	v_lshrrev_b32_e32 v7, 16, v21
	v_and_or_b32 v20, 0x8000, v7, v5
	s_branch .LBB183_2106
.LBB183_2102:
	s_mov_b32 s10, -1
                                        ; implicit-def: $vgpr20
	s_branch .LBB183_2124
.LBB183_2103:
	s_mov_b32 s10, -1
                                        ; implicit-def: $vgpr20
	s_branch .LBB183_2112
.LBB183_2104:
	s_mov_b32 s10, -1
                                        ; implicit-def: $vgpr20
	s_branch .LBB183_2109
.LBB183_2105:
	s_mov_b32 s10, -1
                                        ; implicit-def: $vgpr20
.LBB183_2106:
	s_delay_alu instid0(SALU_CYCLE_1)
	s_and_not1_b32 vcc_lo, exec_lo, s10
	s_cbranch_vccnz .LBB183_2108
; %bb.2107:
	global_load_b32 v5, v[18:19], off
	s_wait_loadcnt 0x0
	s_wait_xcnt 0x1
	v_cvt_f16_f32_e32 v20, v5
.LBB183_2108:
	s_mov_b32 s10, 0
.LBB183_2109:
	s_delay_alu instid0(SALU_CYCLE_1)
	s_and_not1_b32 vcc_lo, exec_lo, s10
	s_cbranch_vccnz .LBB183_2111
; %bb.2110:
	global_load_b32 v20, v[18:19], off
.LBB183_2111:
	s_mov_b32 s10, 0
.LBB183_2112:
	s_delay_alu instid0(SALU_CYCLE_1)
	s_and_not1_b32 vcc_lo, exec_lo, s10
	s_cbranch_vccnz .LBB183_2123
; %bb.2113:
	s_cmp_lt_i32 s9, 6
	s_cbranch_scc1 .LBB183_2116
; %bb.2114:
	s_cmp_gt_i32 s9, 6
	s_cbranch_scc0 .LBB183_2117
; %bb.2115:
	s_wait_loadcnt 0x0
	global_load_b64 v[20:21], v[18:19], off
	s_mov_b32 s10, 0
	s_wait_loadcnt 0x0
	v_and_or_b32 v5, 0x1ff, v21, v20
	v_lshrrev_b32_e32 v7, 8, v21
	v_bfe_u32 v9, v21, 20, 11
	s_delay_alu instid0(VALU_DEP_3) | instskip(NEXT) | instid1(VALU_DEP_2)
	v_cmp_ne_u32_e32 vcc_lo, 0, v5
	v_sub_nc_u32_e32 v11, 0x3f1, v9
	v_add_nc_u32_e32 v9, 0xfffffc10, v9
	v_cndmask_b32_e64 v5, 0, 1, vcc_lo
	s_delay_alu instid0(VALU_DEP_1) | instskip(NEXT) | instid1(VALU_DEP_4)
	v_and_or_b32 v5, 0xffe, v7, v5
	v_med3_i32 v7, v11, 0, 13
	s_delay_alu instid0(VALU_DEP_2) | instskip(NEXT) | instid1(VALU_DEP_1)
	v_or_b32_e32 v11, 0x1000, v5
	v_lshrrev_b32_e32 v13, v7, v11
	s_delay_alu instid0(VALU_DEP_1) | instskip(NEXT) | instid1(VALU_DEP_1)
	v_lshlrev_b32_e32 v7, v7, v13
	v_cmp_ne_u32_e32 vcc_lo, v7, v11
	v_lshl_or_b32 v11, v9, 12, v5
	v_cndmask_b32_e64 v7, 0, 1, vcc_lo
	v_cmp_gt_i32_e32 vcc_lo, 1, v9
	s_delay_alu instid0(VALU_DEP_2) | instskip(NEXT) | instid1(VALU_DEP_1)
	v_or_b32_e32 v7, v13, v7
	v_cndmask_b32_e32 v7, v11, v7, vcc_lo
	s_delay_alu instid0(VALU_DEP_1) | instskip(NEXT) | instid1(VALU_DEP_1)
	v_and_b32_e32 v11, 7, v7
	v_cmp_lt_i32_e32 vcc_lo, 5, v11
	v_cndmask_b32_e64 v13, 0, 1, vcc_lo
	v_cmp_eq_u32_e32 vcc_lo, 3, v11
	v_cndmask_b32_e64 v11, 0, 1, vcc_lo
	v_cmp_ne_u32_e32 vcc_lo, 0, v5
	s_delay_alu instid0(VALU_DEP_2) | instskip(SKIP_1) | instid1(VALU_DEP_2)
	v_dual_lshrrev_b32 v7, 2, v7 :: v_dual_bitop2_b32 v11, v11, v13 bitop3:0x54
	v_mov_b32_e32 v13, 0x7e00
	v_add_nc_u32_e32 v7, v7, v11
	s_delay_alu instid0(VALU_DEP_2) | instskip(SKIP_1) | instid1(VALU_DEP_3)
	v_cndmask_b32_e32 v5, 0x7c00, v13, vcc_lo
	v_cmp_gt_i32_e32 vcc_lo, 31, v9
	v_cndmask_b32_e32 v7, 0x7c00, v7, vcc_lo
	v_cmp_eq_u32_e32 vcc_lo, 0x40f, v9
	s_delay_alu instid0(VALU_DEP_2) | instskip(SKIP_1) | instid1(VALU_DEP_1)
	v_cndmask_b32_e32 v5, v7, v5, vcc_lo
	v_lshrrev_b32_e32 v7, 16, v21
	v_and_or_b32 v20, 0x8000, v7, v5
	s_branch .LBB183_2118
.LBB183_2116:
	s_mov_b32 s10, -1
                                        ; implicit-def: $vgpr20
	s_branch .LBB183_2121
.LBB183_2117:
	s_mov_b32 s10, -1
                                        ; implicit-def: $vgpr20
.LBB183_2118:
	s_delay_alu instid0(SALU_CYCLE_1)
	s_and_not1_b32 vcc_lo, exec_lo, s10
	s_cbranch_vccnz .LBB183_2120
; %bb.2119:
	global_load_b32 v5, v[18:19], off
	s_wait_loadcnt 0x0
	s_wait_xcnt 0x1
	v_cvt_f16_f32_e32 v20, v5
.LBB183_2120:
	s_mov_b32 s10, 0
.LBB183_2121:
	s_delay_alu instid0(SALU_CYCLE_1)
	s_and_not1_b32 vcc_lo, exec_lo, s10
	s_cbranch_vccnz .LBB183_2123
; %bb.2122:
	s_wait_loadcnt 0x0
	global_load_u16 v20, v[18:19], off
.LBB183_2123:
	s_mov_b32 s10, 0
.LBB183_2124:
	s_delay_alu instid0(SALU_CYCLE_1)
	s_and_not1_b32 vcc_lo, exec_lo, s10
	s_cbranch_vccnz .LBB183_2144
; %bb.2125:
	s_cmp_lt_i32 s9, 2
	s_cbranch_scc1 .LBB183_2129
; %bb.2126:
	s_cmp_lt_i32 s9, 3
	s_cbranch_scc1 .LBB183_2130
; %bb.2127:
	s_cmp_gt_i32 s9, 3
	s_cbranch_scc0 .LBB183_2131
; %bb.2128:
	s_wait_loadcnt 0x0
	global_load_b64 v[20:21], v[18:19], off
	s_mov_b32 s10, 0
	s_wait_loadcnt 0x0
	v_xor_b32_e32 v5, v20, v21
	v_cls_i32_e32 v7, v21
	s_delay_alu instid0(VALU_DEP_2) | instskip(NEXT) | instid1(VALU_DEP_1)
	v_ashrrev_i32_e32 v5, 31, v5
	v_add_nc_u32_e32 v5, 32, v5
	s_delay_alu instid0(VALU_DEP_1) | instskip(NEXT) | instid1(VALU_DEP_1)
	v_add_min_u32_e64 v5, v7, -1, v5
	v_lshlrev_b64_e32 v[20:21], v5, v[20:21]
	v_sub_nc_u32_e32 v5, 32, v5
	s_delay_alu instid0(VALU_DEP_2) | instskip(NEXT) | instid1(VALU_DEP_1)
	v_min_u32_e32 v7, 1, v20
	v_or_b32_e32 v7, v21, v7
	s_delay_alu instid0(VALU_DEP_1) | instskip(NEXT) | instid1(VALU_DEP_1)
	v_cvt_f32_i32_e32 v7, v7
	v_ldexp_f32 v5, v7, v5
	s_delay_alu instid0(VALU_DEP_1)
	v_cvt_f16_f32_e32 v20, v5
	s_branch .LBB183_2132
.LBB183_2129:
	s_mov_b32 s10, -1
                                        ; implicit-def: $vgpr20
	s_branch .LBB183_2138
.LBB183_2130:
	s_mov_b32 s10, -1
                                        ; implicit-def: $vgpr20
	s_branch .LBB183_2135
.LBB183_2131:
	s_mov_b32 s10, -1
                                        ; implicit-def: $vgpr20
.LBB183_2132:
	s_delay_alu instid0(SALU_CYCLE_1)
	s_and_not1_b32 vcc_lo, exec_lo, s10
	s_cbranch_vccnz .LBB183_2134
; %bb.2133:
	global_load_b32 v5, v[18:19], off
	s_wait_loadcnt 0x0
	v_cvt_f32_i32_e32 v5, v5
	s_wait_xcnt 0x1
	s_delay_alu instid0(VALU_DEP_1)
	v_cvt_f16_f32_e32 v20, v5
.LBB183_2134:
	s_mov_b32 s10, 0
.LBB183_2135:
	s_delay_alu instid0(SALU_CYCLE_1)
	s_and_not1_b32 vcc_lo, exec_lo, s10
	s_cbranch_vccnz .LBB183_2137
; %bb.2136:
	global_load_u16 v5, v[18:19], off
	s_wait_loadcnt 0x0
	s_wait_xcnt 0x1
	v_cvt_f16_i16_e32 v20, v5
.LBB183_2137:
	s_mov_b32 s10, 0
.LBB183_2138:
	s_delay_alu instid0(SALU_CYCLE_1)
	s_and_not1_b32 vcc_lo, exec_lo, s10
	s_cbranch_vccnz .LBB183_2144
; %bb.2139:
	s_cmp_gt_i32 s9, 0
	s_mov_b32 s10, 0
	s_cbranch_scc0 .LBB183_2141
; %bb.2140:
	global_load_i8 v5, v[18:19], off
	s_wait_loadcnt 0x0
	s_wait_xcnt 0x1
	v_cvt_f16_i16_e32 v20, v5
	s_branch .LBB183_2142
.LBB183_2141:
	s_mov_b32 s10, -1
                                        ; implicit-def: $vgpr20
.LBB183_2142:
	s_delay_alu instid0(SALU_CYCLE_1)
	s_and_not1_b32 vcc_lo, exec_lo, s10
	s_cbranch_vccnz .LBB183_2144
; %bb.2143:
	global_load_u8 v5, v[18:19], off
	s_wait_loadcnt 0x0
	s_wait_xcnt 0x1
	v_cvt_f16_u16_e32 v20, v5
.LBB183_2144:
	s_mov_b32 s14, -1
.LBB183_2145:
	s_delay_alu instid0(SALU_CYCLE_1)
	s_and_not1_b32 vcc_lo, exec_lo, s14
	s_cbranch_vccnz .LBB183_3280
; %bb.2146:
	v_mov_b32_e32 v17, 0
	s_and_b32 s10, 0xffff, s12
	s_delay_alu instid0(SALU_CYCLE_1) | instskip(NEXT) | instid1(VALU_DEP_1)
	s_cmp_lt_i32 s10, 11
	v_add_nc_u64_e32 v[16:17], s[4:5], v[16:17]
	s_cbranch_scc1 .LBB183_2153
; %bb.2147:
	s_cmp_gt_i32 s10, 25
	s_mov_b32 s13, 0
	s_cbranch_scc0 .LBB183_2154
; %bb.2148:
	s_cmp_gt_i32 s10, 28
	s_cbranch_scc0 .LBB183_2155
; %bb.2149:
	s_cmp_gt_i32 s10, 43
	;; [unrolled: 3-line block ×3, first 2 shown]
	s_cbranch_scc0 .LBB183_2158
; %bb.2151:
	s_cmp_eq_u32 s10, 46
	s_mov_b32 s15, 0
	s_cbranch_scc0 .LBB183_2161
; %bb.2152:
	global_load_b32 v5, v[16:17], off
	s_mov_b32 s12, 0
	s_mov_b32 s14, -1
	s_wait_loadcnt 0x0
	v_lshlrev_b32_e32 v5, 16, v5
	s_wait_xcnt 0x1
	s_delay_alu instid0(VALU_DEP_1)
	v_cvt_f16_f32_e32 v18, v5
	s_branch .LBB183_2163
.LBB183_2153:
	s_mov_b32 s12, -1
	s_mov_b32 s14, 0
                                        ; implicit-def: $vgpr18
	s_branch .LBB183_2229
.LBB183_2154:
	s_mov_b32 s15, -1
	s_mov_b32 s14, 0
	s_mov_b32 s12, 0
                                        ; implicit-def: $vgpr18
	s_branch .LBB183_2192
.LBB183_2155:
	s_mov_b32 s15, -1
	s_mov_b32 s14, 0
	s_mov_b32 s12, 0
                                        ; implicit-def: $vgpr18
	s_branch .LBB183_2173
.LBB183_2156:
	s_mov_b32 s15, -1
	s_mov_b32 s14, 0
	s_mov_b32 s12, 0
                                        ; implicit-def: $vgpr18
	s_branch .LBB183_2168
.LBB183_2157:
	s_or_b32 s8, s8, exec_lo
	s_trap 2
	s_cbranch_execz .LBB183_2094
	s_branch .LBB183_2095
.LBB183_2158:
	s_mov_b32 s15, -1
	s_mov_b32 s14, 0
	s_mov_b32 s12, 0
	s_branch .LBB183_2162
.LBB183_2159:
	s_and_not1_saveexec_b32 s56, s56
	s_cbranch_execz .LBB183_1164
.LBB183_2160:
	v_add_f32_e64 v5, 0x46000000, |v4|
	s_and_not1_b32 s55, s55, exec_lo
	s_delay_alu instid0(VALU_DEP_1) | instskip(NEXT) | instid1(VALU_DEP_1)
	v_and_b32_e32 v5, 0xff, v5
	v_cmp_ne_u32_e32 vcc_lo, 0, v5
	s_and_b32 s57, vcc_lo, exec_lo
	s_delay_alu instid0(SALU_CYCLE_1)
	s_or_b32 s55, s55, s57
	s_or_b32 exec_lo, exec_lo, s56
	v_mov_b32_e32 v6, 0
	s_and_saveexec_b32 s56, s55
	s_cbranch_execnz .LBB183_1165
	s_branch .LBB183_1166
.LBB183_2161:
	s_mov_b32 s12, -1
	s_mov_b32 s14, 0
.LBB183_2162:
                                        ; implicit-def: $vgpr18
.LBB183_2163:
	s_and_b32 vcc_lo, exec_lo, s15
	s_cbranch_vccz .LBB183_2167
; %bb.2164:
	s_cmp_eq_u32 s10, 44
	s_cbranch_scc0 .LBB183_2166
; %bb.2165:
	global_load_u8 v5, v[16:17], off
	s_mov_b32 s12, 0
	s_mov_b32 s14, -1
	s_wait_loadcnt 0x0
	v_lshlrev_b32_e32 v7, 23, v5
	v_cmp_ne_u32_e32 vcc_lo, 0xff, v5
	s_delay_alu instid0(VALU_DEP_2) | instskip(NEXT) | instid1(VALU_DEP_1)
	v_cvt_f16_f32_e32 v7, v7
	v_cndmask_b32_e32 v7, 0x7e00, v7, vcc_lo
	v_cmp_ne_u32_e32 vcc_lo, 0, v5
	s_wait_xcnt 0x1
	s_delay_alu instid0(VALU_DEP_2)
	v_cndmask_b32_e32 v18, 0, v7, vcc_lo
	s_branch .LBB183_2167
.LBB183_2166:
	s_mov_b32 s12, -1
                                        ; implicit-def: $vgpr18
.LBB183_2167:
	s_mov_b32 s15, 0
.LBB183_2168:
	s_delay_alu instid0(SALU_CYCLE_1)
	s_and_b32 vcc_lo, exec_lo, s15
	s_cbranch_vccz .LBB183_2172
; %bb.2169:
	s_cmp_eq_u32 s10, 29
	s_cbranch_scc0 .LBB183_2171
; %bb.2170:
	global_load_b64 v[18:19], v[16:17], off
	s_mov_b32 s12, 0
	s_mov_b32 s14, -1
	s_mov_b32 s15, 0
	s_wait_loadcnt 0x0
	v_clz_i32_u32_e32 v5, v19
	s_delay_alu instid0(VALU_DEP_1) | instskip(NEXT) | instid1(VALU_DEP_1)
	v_min_u32_e32 v5, 32, v5
	v_lshlrev_b64_e32 v[18:19], v5, v[18:19]
	v_sub_nc_u32_e32 v5, 32, v5
	s_delay_alu instid0(VALU_DEP_2) | instskip(NEXT) | instid1(VALU_DEP_1)
	v_min_u32_e32 v7, 1, v18
	v_or_b32_e32 v7, v19, v7
	s_delay_alu instid0(VALU_DEP_1) | instskip(NEXT) | instid1(VALU_DEP_1)
	v_cvt_f32_u32_e32 v7, v7
	v_ldexp_f32 v5, v7, v5
	s_delay_alu instid0(VALU_DEP_1)
	v_cvt_f16_f32_e32 v18, v5
	s_branch .LBB183_2173
.LBB183_2171:
	s_mov_b32 s12, -1
                                        ; implicit-def: $vgpr18
.LBB183_2172:
	s_mov_b32 s15, 0
.LBB183_2173:
	s_delay_alu instid0(SALU_CYCLE_1)
	s_and_b32 vcc_lo, exec_lo, s15
	s_cbranch_vccz .LBB183_2191
; %bb.2174:
	s_cmp_lt_i32 s10, 27
	s_cbranch_scc1 .LBB183_2177
; %bb.2175:
	s_cmp_gt_i32 s10, 27
	s_cbranch_scc0 .LBB183_2178
; %bb.2176:
	global_load_b32 v5, v[16:17], off
	s_mov_b32 s14, 0
	s_wait_loadcnt 0x0
	v_cvt_f32_u32_e32 v5, v5
	s_wait_xcnt 0x1
	s_delay_alu instid0(VALU_DEP_1)
	v_cvt_f16_f32_e32 v18, v5
	s_branch .LBB183_2179
.LBB183_2177:
	s_mov_b32 s14, -1
                                        ; implicit-def: $vgpr18
	s_branch .LBB183_2182
.LBB183_2178:
	s_mov_b32 s14, -1
                                        ; implicit-def: $vgpr18
.LBB183_2179:
	s_delay_alu instid0(SALU_CYCLE_1)
	s_and_not1_b32 vcc_lo, exec_lo, s14
	s_cbranch_vccnz .LBB183_2181
; %bb.2180:
	global_load_u16 v5, v[16:17], off
	s_wait_loadcnt 0x0
	s_wait_xcnt 0x1
	v_cvt_f16_u16_e32 v18, v5
.LBB183_2181:
	s_mov_b32 s14, 0
.LBB183_2182:
	s_delay_alu instid0(SALU_CYCLE_1)
	s_and_not1_b32 vcc_lo, exec_lo, s14
	s_cbranch_vccnz .LBB183_2190
; %bb.2183:
	global_load_u8 v5, v[16:17], off
	s_mov_b32 s14, 0
	s_mov_b32 s15, exec_lo
	s_wait_loadcnt 0x0
	v_cmpx_lt_i16_e32 0x7f, v5
	s_xor_b32 s15, exec_lo, s15
	s_cbranch_execz .LBB183_2204
; %bb.2184:
	s_mov_b32 s14, -1
	s_mov_b32 s16, exec_lo
	v_cmpx_eq_u16_e32 0x80, v5
; %bb.2185:
	s_xor_b32 s14, exec_lo, -1
; %bb.2186:
	s_or_b32 exec_lo, exec_lo, s16
	s_delay_alu instid0(SALU_CYCLE_1)
	s_and_b32 s14, s14, exec_lo
	s_or_saveexec_b32 s15, s15
	v_mov_b32_e32 v18, 0x7e00
	s_xor_b32 exec_lo, exec_lo, s15
	s_cbranch_execnz .LBB183_2205
.LBB183_2187:
	s_or_b32 exec_lo, exec_lo, s15
	s_and_saveexec_b32 s15, s14
	s_cbranch_execz .LBB183_2189
.LBB183_2188:
	v_and_b32_e32 v7, 0xffff, v5
	s_delay_alu instid0(VALU_DEP_1) | instskip(SKIP_1) | instid1(VALU_DEP_2)
	v_dual_lshlrev_b32 v5, 24, v5 :: v_dual_bitop2_b32 v9, 7, v7 bitop3:0x40
	v_bfe_u32 v15, v7, 3, 4
	v_and_b32_e32 v5, 0x80000000, v5
	s_delay_alu instid0(VALU_DEP_3) | instskip(NEXT) | instid1(VALU_DEP_3)
	v_clz_i32_u32_e32 v11, v9
	v_cmp_eq_u32_e32 vcc_lo, 0, v15
	s_delay_alu instid0(VALU_DEP_2) | instskip(NEXT) | instid1(VALU_DEP_1)
	v_min_u32_e32 v11, 32, v11
	v_subrev_nc_u32_e32 v13, 28, v11
	v_sub_nc_u32_e32 v11, 29, v11
	s_delay_alu instid0(VALU_DEP_2) | instskip(NEXT) | instid1(VALU_DEP_2)
	v_lshlrev_b32_e32 v7, v13, v7
	v_cndmask_b32_e32 v11, v15, v11, vcc_lo
	s_delay_alu instid0(VALU_DEP_2) | instskip(NEXT) | instid1(VALU_DEP_1)
	v_and_b32_e32 v7, 7, v7
	v_cndmask_b32_e32 v7, v9, v7, vcc_lo
	s_delay_alu instid0(VALU_DEP_3) | instskip(NEXT) | instid1(VALU_DEP_2)
	v_lshl_add_u32 v9, v11, 23, 0x3b800000
	v_lshlrev_b32_e32 v7, 20, v7
	s_delay_alu instid0(VALU_DEP_1) | instskip(NEXT) | instid1(VALU_DEP_1)
	v_or3_b32 v5, v5, v9, v7
	v_cvt_f16_f32_e32 v18, v5
.LBB183_2189:
	s_or_b32 exec_lo, exec_lo, s15
.LBB183_2190:
	s_mov_b32 s14, -1
.LBB183_2191:
	s_mov_b32 s15, 0
.LBB183_2192:
	s_delay_alu instid0(SALU_CYCLE_1)
	s_and_b32 vcc_lo, exec_lo, s15
	s_cbranch_vccz .LBB183_2225
; %bb.2193:
	s_cmp_gt_i32 s10, 22
	s_cbranch_scc0 .LBB183_2203
; %bb.2194:
	s_cmp_lt_i32 s10, 24
	s_cbranch_scc1 .LBB183_2206
; %bb.2195:
	s_cmp_gt_i32 s10, 24
	s_cbranch_scc0 .LBB183_2207
; %bb.2196:
	global_load_u8 v5, v[16:17], off
	s_mov_b32 s14, exec_lo
	s_wait_loadcnt 0x0
	v_cmpx_lt_i16_e32 0x7f, v5
	s_xor_b32 s14, exec_lo, s14
	s_cbranch_execz .LBB183_2219
; %bb.2197:
	s_mov_b32 s13, -1
	s_mov_b32 s15, exec_lo
	v_cmpx_eq_u16_e32 0x80, v5
; %bb.2198:
	s_xor_b32 s13, exec_lo, -1
; %bb.2199:
	s_or_b32 exec_lo, exec_lo, s15
	s_delay_alu instid0(SALU_CYCLE_1)
	s_and_b32 s13, s13, exec_lo
	s_or_saveexec_b32 s14, s14
	v_mov_b32_e32 v18, 0x7e00
	s_xor_b32 exec_lo, exec_lo, s14
	s_cbranch_execnz .LBB183_2220
.LBB183_2200:
	s_or_b32 exec_lo, exec_lo, s14
	s_and_saveexec_b32 s14, s13
	s_cbranch_execz .LBB183_2202
.LBB183_2201:
	v_and_b32_e32 v7, 0xffff, v5
	s_delay_alu instid0(VALU_DEP_1) | instskip(SKIP_1) | instid1(VALU_DEP_2)
	v_dual_lshlrev_b32 v5, 24, v5 :: v_dual_bitop2_b32 v9, 3, v7 bitop3:0x40
	v_bfe_u32 v15, v7, 2, 5
	v_and_b32_e32 v5, 0x80000000, v5
	s_delay_alu instid0(VALU_DEP_3) | instskip(NEXT) | instid1(VALU_DEP_3)
	v_clz_i32_u32_e32 v11, v9
	v_cmp_eq_u32_e32 vcc_lo, 0, v15
	s_delay_alu instid0(VALU_DEP_2) | instskip(NEXT) | instid1(VALU_DEP_1)
	v_min_u32_e32 v11, 32, v11
	v_subrev_nc_u32_e32 v13, 29, v11
	v_sub_nc_u32_e32 v11, 30, v11
	s_delay_alu instid0(VALU_DEP_2) | instskip(NEXT) | instid1(VALU_DEP_2)
	v_lshlrev_b32_e32 v7, v13, v7
	v_cndmask_b32_e32 v11, v15, v11, vcc_lo
	s_delay_alu instid0(VALU_DEP_2) | instskip(NEXT) | instid1(VALU_DEP_1)
	v_and_b32_e32 v7, 3, v7
	v_cndmask_b32_e32 v7, v9, v7, vcc_lo
	s_delay_alu instid0(VALU_DEP_3) | instskip(NEXT) | instid1(VALU_DEP_2)
	v_lshl_add_u32 v9, v11, 23, 0x37800000
	v_lshlrev_b32_e32 v7, 21, v7
	s_delay_alu instid0(VALU_DEP_1) | instskip(NEXT) | instid1(VALU_DEP_1)
	v_or3_b32 v5, v5, v9, v7
	v_cvt_f16_f32_e32 v18, v5
.LBB183_2202:
	s_or_b32 exec_lo, exec_lo, s14
	s_mov_b32 s13, 0
	s_branch .LBB183_2208
.LBB183_2203:
	s_mov_b32 s13, -1
                                        ; implicit-def: $vgpr18
	s_branch .LBB183_2214
.LBB183_2204:
	s_or_saveexec_b32 s15, s15
	v_mov_b32_e32 v18, 0x7e00
	s_xor_b32 exec_lo, exec_lo, s15
	s_cbranch_execz .LBB183_2187
.LBB183_2205:
	v_cmp_ne_u16_e32 vcc_lo, 0, v5
	v_mov_b32_e32 v18, v5
	s_and_not1_b32 s14, s14, exec_lo
	s_and_b32 s16, vcc_lo, exec_lo
	s_delay_alu instid0(SALU_CYCLE_1)
	s_or_b32 s14, s14, s16
	s_or_b32 exec_lo, exec_lo, s15
	s_and_saveexec_b32 s15, s14
	s_cbranch_execnz .LBB183_2188
	s_branch .LBB183_2189
.LBB183_2206:
	s_mov_b32 s13, -1
                                        ; implicit-def: $vgpr18
	s_branch .LBB183_2211
.LBB183_2207:
	s_mov_b32 s13, -1
                                        ; implicit-def: $vgpr18
.LBB183_2208:
	s_delay_alu instid0(SALU_CYCLE_1)
	s_and_b32 vcc_lo, exec_lo, s13
	s_cbranch_vccz .LBB183_2210
; %bb.2209:
	global_load_u8 v5, v[16:17], off
	s_wait_loadcnt 0x0
	v_lshlrev_b32_e32 v5, 24, v5
	s_delay_alu instid0(VALU_DEP_1) | instskip(NEXT) | instid1(VALU_DEP_1)
	v_and_b32_e32 v7, 0x7f000000, v5
	v_clz_i32_u32_e32 v9, v7
	v_add_nc_u32_e32 v13, 0x1000000, v7
	v_cmp_ne_u32_e32 vcc_lo, 0, v7
	s_delay_alu instid0(VALU_DEP_3) | instskip(NEXT) | instid1(VALU_DEP_1)
	v_min_u32_e32 v9, 32, v9
	v_sub_nc_u32_e64 v9, v9, 4 clamp
	s_delay_alu instid0(VALU_DEP_1) | instskip(NEXT) | instid1(VALU_DEP_1)
	v_dual_lshlrev_b32 v11, v9, v7 :: v_dual_lshlrev_b32 v9, 23, v9
	v_lshrrev_b32_e32 v11, 4, v11
	s_delay_alu instid0(VALU_DEP_1) | instskip(SKIP_1) | instid1(VALU_DEP_2)
	v_sub_nc_u32_e32 v9, v11, v9
	v_ashrrev_i32_e32 v11, 8, v13
	v_add_nc_u32_e32 v9, 0x3c000000, v9
	s_delay_alu instid0(VALU_DEP_1) | instskip(NEXT) | instid1(VALU_DEP_1)
	v_and_or_b32 v9, 0x7f800000, v11, v9
	v_cndmask_b32_e32 v7, 0, v9, vcc_lo
	s_delay_alu instid0(VALU_DEP_1) | instskip(SKIP_1) | instid1(VALU_DEP_1)
	v_and_or_b32 v5, 0x80000000, v5, v7
	s_wait_xcnt 0x1
	v_cvt_f16_f32_e32 v18, v5
.LBB183_2210:
	s_mov_b32 s13, 0
.LBB183_2211:
	s_delay_alu instid0(SALU_CYCLE_1)
	s_and_not1_b32 vcc_lo, exec_lo, s13
	s_cbranch_vccnz .LBB183_2213
; %bb.2212:
	global_load_u8 v5, v[16:17], off
	s_wait_loadcnt 0x0
	v_lshlrev_b32_e32 v7, 25, v5
	v_lshlrev_b16 v5, 8, v5
	s_delay_alu instid0(VALU_DEP_1) | instskip(SKIP_1) | instid1(VALU_DEP_2)
	v_and_or_b32 v11, 0x7f00, v5, 0.5
	v_bfe_i32 v5, v5, 0, 16
	v_add_f32_e32 v11, -0.5, v11
	v_lshrrev_b32_e32 v9, 4, v7
	v_cmp_gt_u32_e32 vcc_lo, 0x8000000, v7
	s_delay_alu instid0(VALU_DEP_2) | instskip(NEXT) | instid1(VALU_DEP_1)
	v_or_b32_e32 v9, 0x70000000, v9
	v_mul_f32_e32 v9, 0x7800000, v9
	s_delay_alu instid0(VALU_DEP_1) | instskip(NEXT) | instid1(VALU_DEP_1)
	v_cndmask_b32_e32 v7, v9, v11, vcc_lo
	v_and_or_b32 v5, 0x80000000, v5, v7
	s_wait_xcnt 0x1
	s_delay_alu instid0(VALU_DEP_1)
	v_cvt_f16_f32_e32 v18, v5
.LBB183_2213:
	s_mov_b32 s13, 0
	s_mov_b32 s14, -1
.LBB183_2214:
	s_and_not1_b32 vcc_lo, exec_lo, s13
	s_mov_b32 s13, 0
	s_cbranch_vccnz .LBB183_2225
; %bb.2215:
	s_cmp_gt_i32 s10, 14
	s_cbranch_scc0 .LBB183_2218
; %bb.2216:
	s_cmp_eq_u32 s10, 15
	s_cbranch_scc0 .LBB183_2221
; %bb.2217:
	global_load_u16 v5, v[16:17], off
	s_mov_b32 s12, 0
	s_mov_b32 s14, -1
	s_wait_loadcnt 0x0
	v_lshlrev_b32_e32 v5, 16, v5
	s_wait_xcnt 0x1
	s_delay_alu instid0(VALU_DEP_1)
	v_cvt_f16_f32_e32 v18, v5
	s_branch .LBB183_2223
.LBB183_2218:
	s_mov_b32 s13, -1
	s_branch .LBB183_2222
.LBB183_2219:
	s_or_saveexec_b32 s14, s14
	v_mov_b32_e32 v18, 0x7e00
	s_xor_b32 exec_lo, exec_lo, s14
	s_cbranch_execz .LBB183_2200
.LBB183_2220:
	v_cmp_ne_u16_e32 vcc_lo, 0, v5
	v_mov_b32_e32 v18, v5
	s_and_not1_b32 s13, s13, exec_lo
	s_and_b32 s15, vcc_lo, exec_lo
	s_delay_alu instid0(SALU_CYCLE_1)
	s_or_b32 s13, s13, s15
	s_or_b32 exec_lo, exec_lo, s14
	s_and_saveexec_b32 s14, s13
	s_cbranch_execnz .LBB183_2201
	s_branch .LBB183_2202
.LBB183_2221:
	s_mov_b32 s12, -1
.LBB183_2222:
                                        ; implicit-def: $vgpr18
.LBB183_2223:
	s_and_b32 vcc_lo, exec_lo, s13
	s_mov_b32 s13, 0
	s_cbranch_vccz .LBB183_2225
; %bb.2224:
	s_cmp_lg_u32 s10, 11
	s_mov_b32 s13, -1
	s_cselect_b32 s12, -1, 0
.LBB183_2225:
	s_delay_alu instid0(SALU_CYCLE_1)
	s_and_b32 vcc_lo, exec_lo, s12
	s_cbranch_vccnz .LBB183_2309
; %bb.2226:
	s_and_not1_b32 vcc_lo, exec_lo, s13
	s_cbranch_vccnz .LBB183_2228
.LBB183_2227:
	global_load_u8 v5, v[16:17], off
	s_mov_b32 s14, -1
	s_wait_loadcnt 0x0
	v_cmp_ne_u16_e32 vcc_lo, 0, v5
	s_wait_xcnt 0x1
	v_cndmask_b32_e64 v18, 0, 0x3c00, vcc_lo
.LBB183_2228:
	s_mov_b32 s12, 0
.LBB183_2229:
	s_delay_alu instid0(SALU_CYCLE_1)
	s_and_b32 vcc_lo, exec_lo, s12
	s_cbranch_vccz .LBB183_2278
; %bb.2230:
	s_cmp_lt_i32 s10, 5
	s_cbranch_scc1 .LBB183_2235
; %bb.2231:
	s_cmp_lt_i32 s10, 8
	s_cbranch_scc1 .LBB183_2236
	;; [unrolled: 3-line block ×3, first 2 shown]
; %bb.2233:
	s_cmp_gt_i32 s10, 9
	s_cbranch_scc0 .LBB183_2238
; %bb.2234:
	global_load_b64 v[18:19], v[16:17], off
	s_mov_b32 s12, 0
	s_wait_loadcnt 0x0
	v_and_or_b32 v5, 0x1ff, v19, v18
	v_lshrrev_b32_e32 v7, 8, v19
	v_bfe_u32 v9, v19, 20, 11
	s_delay_alu instid0(VALU_DEP_3) | instskip(NEXT) | instid1(VALU_DEP_2)
	v_cmp_ne_u32_e32 vcc_lo, 0, v5
	v_sub_nc_u32_e32 v11, 0x3f1, v9
	v_add_nc_u32_e32 v9, 0xfffffc10, v9
	v_cndmask_b32_e64 v5, 0, 1, vcc_lo
	s_delay_alu instid0(VALU_DEP_1) | instskip(NEXT) | instid1(VALU_DEP_4)
	v_and_or_b32 v5, 0xffe, v7, v5
	v_med3_i32 v7, v11, 0, 13
	s_delay_alu instid0(VALU_DEP_2) | instskip(NEXT) | instid1(VALU_DEP_1)
	v_or_b32_e32 v11, 0x1000, v5
	v_lshrrev_b32_e32 v13, v7, v11
	s_delay_alu instid0(VALU_DEP_1) | instskip(NEXT) | instid1(VALU_DEP_1)
	v_lshlrev_b32_e32 v7, v7, v13
	v_cmp_ne_u32_e32 vcc_lo, v7, v11
	v_lshl_or_b32 v11, v9, 12, v5
	v_cndmask_b32_e64 v7, 0, 1, vcc_lo
	v_cmp_gt_i32_e32 vcc_lo, 1, v9
	s_delay_alu instid0(VALU_DEP_2) | instskip(NEXT) | instid1(VALU_DEP_1)
	v_or_b32_e32 v7, v13, v7
	v_cndmask_b32_e32 v7, v11, v7, vcc_lo
	s_delay_alu instid0(VALU_DEP_1) | instskip(NEXT) | instid1(VALU_DEP_1)
	v_dual_lshrrev_b32 v7, 2, v7 :: v_dual_bitop2_b32 v11, 7, v7 bitop3:0x40
	v_cmp_lt_i32_e32 vcc_lo, 5, v11
	v_cndmask_b32_e64 v13, 0, 1, vcc_lo
	v_cmp_eq_u32_e32 vcc_lo, 3, v11
	v_cndmask_b32_e64 v11, 0, 1, vcc_lo
	v_cmp_ne_u32_e32 vcc_lo, 0, v5
	s_delay_alu instid0(VALU_DEP_2) | instskip(SKIP_1) | instid1(VALU_DEP_2)
	v_or_b32_e32 v11, v11, v13
	v_mov_b32_e32 v13, 0x7e00
	v_add_nc_u32_e32 v7, v7, v11
	s_delay_alu instid0(VALU_DEP_2) | instskip(SKIP_1) | instid1(VALU_DEP_3)
	v_cndmask_b32_e32 v5, 0x7c00, v13, vcc_lo
	v_cmp_gt_i32_e32 vcc_lo, 31, v9
	v_cndmask_b32_e32 v7, 0x7c00, v7, vcc_lo
	v_cmp_eq_u32_e32 vcc_lo, 0x40f, v9
	s_delay_alu instid0(VALU_DEP_2) | instskip(NEXT) | instid1(VALU_DEP_1)
	v_dual_cndmask_b32 v5, v7, v5, vcc_lo :: v_dual_lshrrev_b32 v7, 16, v19
	v_and_or_b32 v18, 0x8000, v7, v5
	s_branch .LBB183_2239
.LBB183_2235:
	s_mov_b32 s12, -1
                                        ; implicit-def: $vgpr18
	s_branch .LBB183_2257
.LBB183_2236:
	s_mov_b32 s12, -1
                                        ; implicit-def: $vgpr18
	s_branch .LBB183_2245
.LBB183_2237:
	s_mov_b32 s12, -1
                                        ; implicit-def: $vgpr18
	s_branch .LBB183_2242
.LBB183_2238:
	s_mov_b32 s12, -1
                                        ; implicit-def: $vgpr18
.LBB183_2239:
	s_delay_alu instid0(SALU_CYCLE_1)
	s_and_not1_b32 vcc_lo, exec_lo, s12
	s_cbranch_vccnz .LBB183_2241
; %bb.2240:
	global_load_b32 v5, v[16:17], off
	s_wait_loadcnt 0x0
	s_wait_xcnt 0x1
	v_cvt_f16_f32_e32 v18, v5
.LBB183_2241:
	s_mov_b32 s12, 0
.LBB183_2242:
	s_delay_alu instid0(SALU_CYCLE_1)
	s_and_not1_b32 vcc_lo, exec_lo, s12
	s_cbranch_vccnz .LBB183_2244
; %bb.2243:
	global_load_b32 v18, v[16:17], off
.LBB183_2244:
	s_mov_b32 s12, 0
.LBB183_2245:
	s_delay_alu instid0(SALU_CYCLE_1)
	s_and_not1_b32 vcc_lo, exec_lo, s12
	s_cbranch_vccnz .LBB183_2256
; %bb.2246:
	s_cmp_lt_i32 s10, 6
	s_cbranch_scc1 .LBB183_2249
; %bb.2247:
	s_cmp_gt_i32 s10, 6
	s_cbranch_scc0 .LBB183_2250
; %bb.2248:
	s_wait_loadcnt 0x0
	global_load_b64 v[18:19], v[16:17], off
	s_mov_b32 s12, 0
	s_wait_loadcnt 0x0
	v_and_or_b32 v5, 0x1ff, v19, v18
	v_lshrrev_b32_e32 v7, 8, v19
	v_bfe_u32 v9, v19, 20, 11
	s_delay_alu instid0(VALU_DEP_3) | instskip(NEXT) | instid1(VALU_DEP_2)
	v_cmp_ne_u32_e32 vcc_lo, 0, v5
	v_sub_nc_u32_e32 v11, 0x3f1, v9
	v_add_nc_u32_e32 v9, 0xfffffc10, v9
	v_cndmask_b32_e64 v5, 0, 1, vcc_lo
	s_delay_alu instid0(VALU_DEP_1) | instskip(NEXT) | instid1(VALU_DEP_4)
	v_and_or_b32 v5, 0xffe, v7, v5
	v_med3_i32 v7, v11, 0, 13
	s_delay_alu instid0(VALU_DEP_2) | instskip(NEXT) | instid1(VALU_DEP_1)
	v_or_b32_e32 v11, 0x1000, v5
	v_lshrrev_b32_e32 v13, v7, v11
	s_delay_alu instid0(VALU_DEP_1) | instskip(NEXT) | instid1(VALU_DEP_1)
	v_lshlrev_b32_e32 v7, v7, v13
	v_cmp_ne_u32_e32 vcc_lo, v7, v11
	v_lshl_or_b32 v11, v9, 12, v5
	v_cndmask_b32_e64 v7, 0, 1, vcc_lo
	v_cmp_gt_i32_e32 vcc_lo, 1, v9
	s_delay_alu instid0(VALU_DEP_2) | instskip(NEXT) | instid1(VALU_DEP_1)
	v_or_b32_e32 v7, v13, v7
	v_cndmask_b32_e32 v7, v11, v7, vcc_lo
	s_delay_alu instid0(VALU_DEP_1) | instskip(NEXT) | instid1(VALU_DEP_1)
	v_dual_lshrrev_b32 v7, 2, v7 :: v_dual_bitop2_b32 v11, 7, v7 bitop3:0x40
	v_cmp_lt_i32_e32 vcc_lo, 5, v11
	v_cndmask_b32_e64 v13, 0, 1, vcc_lo
	v_cmp_eq_u32_e32 vcc_lo, 3, v11
	v_cndmask_b32_e64 v11, 0, 1, vcc_lo
	v_cmp_ne_u32_e32 vcc_lo, 0, v5
	s_delay_alu instid0(VALU_DEP_2) | instskip(SKIP_1) | instid1(VALU_DEP_2)
	v_or_b32_e32 v11, v11, v13
	v_mov_b32_e32 v13, 0x7e00
	v_add_nc_u32_e32 v7, v7, v11
	s_delay_alu instid0(VALU_DEP_2) | instskip(SKIP_1) | instid1(VALU_DEP_3)
	v_cndmask_b32_e32 v5, 0x7c00, v13, vcc_lo
	v_cmp_gt_i32_e32 vcc_lo, 31, v9
	v_cndmask_b32_e32 v7, 0x7c00, v7, vcc_lo
	v_cmp_eq_u32_e32 vcc_lo, 0x40f, v9
	s_delay_alu instid0(VALU_DEP_2) | instskip(NEXT) | instid1(VALU_DEP_1)
	v_dual_cndmask_b32 v5, v7, v5, vcc_lo :: v_dual_lshrrev_b32 v7, 16, v19
	v_and_or_b32 v18, 0x8000, v7, v5
	s_branch .LBB183_2251
.LBB183_2249:
	s_mov_b32 s12, -1
                                        ; implicit-def: $vgpr18
	s_branch .LBB183_2254
.LBB183_2250:
	s_mov_b32 s12, -1
                                        ; implicit-def: $vgpr18
.LBB183_2251:
	s_delay_alu instid0(SALU_CYCLE_1)
	s_and_not1_b32 vcc_lo, exec_lo, s12
	s_cbranch_vccnz .LBB183_2253
; %bb.2252:
	global_load_b32 v5, v[16:17], off
	s_wait_loadcnt 0x0
	s_wait_xcnt 0x1
	v_cvt_f16_f32_e32 v18, v5
.LBB183_2253:
	s_mov_b32 s12, 0
.LBB183_2254:
	s_delay_alu instid0(SALU_CYCLE_1)
	s_and_not1_b32 vcc_lo, exec_lo, s12
	s_cbranch_vccnz .LBB183_2256
; %bb.2255:
	s_wait_loadcnt 0x0
	global_load_u16 v18, v[16:17], off
.LBB183_2256:
	s_mov_b32 s12, 0
.LBB183_2257:
	s_delay_alu instid0(SALU_CYCLE_1)
	s_and_not1_b32 vcc_lo, exec_lo, s12
	s_cbranch_vccnz .LBB183_2277
; %bb.2258:
	s_cmp_lt_i32 s10, 2
	s_cbranch_scc1 .LBB183_2262
; %bb.2259:
	s_cmp_lt_i32 s10, 3
	s_cbranch_scc1 .LBB183_2263
; %bb.2260:
	s_cmp_gt_i32 s10, 3
	s_cbranch_scc0 .LBB183_2264
; %bb.2261:
	s_wait_loadcnt 0x0
	global_load_b64 v[18:19], v[16:17], off
	s_mov_b32 s12, 0
	s_wait_loadcnt 0x0
	v_xor_b32_e32 v5, v18, v19
	v_cls_i32_e32 v7, v19
	s_delay_alu instid0(VALU_DEP_2) | instskip(NEXT) | instid1(VALU_DEP_1)
	v_ashrrev_i32_e32 v5, 31, v5
	v_add_nc_u32_e32 v5, 32, v5
	s_delay_alu instid0(VALU_DEP_1) | instskip(NEXT) | instid1(VALU_DEP_1)
	v_add_min_u32_e64 v5, v7, -1, v5
	v_lshlrev_b64_e32 v[18:19], v5, v[18:19]
	v_sub_nc_u32_e32 v5, 32, v5
	s_delay_alu instid0(VALU_DEP_2) | instskip(NEXT) | instid1(VALU_DEP_1)
	v_min_u32_e32 v7, 1, v18
	v_or_b32_e32 v7, v19, v7
	s_delay_alu instid0(VALU_DEP_1) | instskip(NEXT) | instid1(VALU_DEP_1)
	v_cvt_f32_i32_e32 v7, v7
	v_ldexp_f32 v5, v7, v5
	s_delay_alu instid0(VALU_DEP_1)
	v_cvt_f16_f32_e32 v18, v5
	s_branch .LBB183_2265
.LBB183_2262:
	s_mov_b32 s12, -1
                                        ; implicit-def: $vgpr18
	s_branch .LBB183_2271
.LBB183_2263:
	s_mov_b32 s12, -1
                                        ; implicit-def: $vgpr18
	s_branch .LBB183_2268
.LBB183_2264:
	s_mov_b32 s12, -1
                                        ; implicit-def: $vgpr18
.LBB183_2265:
	s_delay_alu instid0(SALU_CYCLE_1)
	s_and_not1_b32 vcc_lo, exec_lo, s12
	s_cbranch_vccnz .LBB183_2267
; %bb.2266:
	global_load_b32 v5, v[16:17], off
	s_wait_loadcnt 0x0
	v_cvt_f32_i32_e32 v5, v5
	s_wait_xcnt 0x1
	s_delay_alu instid0(VALU_DEP_1)
	v_cvt_f16_f32_e32 v18, v5
.LBB183_2267:
	s_mov_b32 s12, 0
.LBB183_2268:
	s_delay_alu instid0(SALU_CYCLE_1)
	s_and_not1_b32 vcc_lo, exec_lo, s12
	s_cbranch_vccnz .LBB183_2270
; %bb.2269:
	global_load_u16 v5, v[16:17], off
	s_wait_loadcnt 0x0
	s_wait_xcnt 0x1
	v_cvt_f16_i16_e32 v18, v5
.LBB183_2270:
	s_mov_b32 s12, 0
.LBB183_2271:
	s_delay_alu instid0(SALU_CYCLE_1)
	s_and_not1_b32 vcc_lo, exec_lo, s12
	s_cbranch_vccnz .LBB183_2277
; %bb.2272:
	s_cmp_gt_i32 s10, 0
	s_mov_b32 s12, 0
	s_cbranch_scc0 .LBB183_2274
; %bb.2273:
	global_load_i8 v5, v[16:17], off
	s_wait_loadcnt 0x0
	s_wait_xcnt 0x1
	v_cvt_f16_i16_e32 v18, v5
	s_branch .LBB183_2275
.LBB183_2274:
	s_mov_b32 s12, -1
                                        ; implicit-def: $vgpr18
.LBB183_2275:
	s_delay_alu instid0(SALU_CYCLE_1)
	s_and_not1_b32 vcc_lo, exec_lo, s12
	s_cbranch_vccnz .LBB183_2277
; %bb.2276:
	global_load_u8 v5, v[16:17], off
	s_wait_loadcnt 0x0
	s_wait_xcnt 0x1
	v_cvt_f16_u16_e32 v18, v5
.LBB183_2277:
	s_mov_b32 s14, -1
.LBB183_2278:
	s_delay_alu instid0(SALU_CYCLE_1)
	s_and_not1_b32 vcc_lo, exec_lo, s14
	s_cbranch_vccnz .LBB183_3280
; %bb.2279:
	s_cmp_lt_i32 s11, 23
	s_cbranch_scc1 .LBB183_2283
; %bb.2280:
	s_cmp_gt_i32 s11, 43
	s_cbranch_scc0 .LBB183_2284
; %bb.2281:
	s_cmp_gt_i32 s11, 45
	s_cbranch_scc0 .LBB183_2285
; %bb.2282:
	s_cmp_lg_u32 s11, 46
	s_mov_b32 s14, 0
	s_mov_b32 s12, -1
	s_cselect_b32 s13, -1, 0
	s_branch .LBB183_2286
.LBB183_2283:
	s_mov_b32 s14, -1
	s_mov_b32 s12, 0
	s_mov_b32 s13, 0
	s_branch .LBB183_2292
.LBB183_2284:
	s_mov_b32 s14, -1
	s_mov_b32 s12, 0
	s_mov_b32 s13, 0
	s_branch .LBB183_2289
.LBB183_2285:
	s_mov_b32 s14, -1
	s_mov_b32 s12, 0
	s_mov_b32 s13, 0
.LBB183_2286:
	s_and_not1_b32 vcc_lo, exec_lo, s14
	s_cbranch_vccnz .LBB183_2288
; %bb.2287:
	s_cmp_eq_u32 s11, 44
	s_cselect_b32 s12, -1, 0
	s_cmp_lg_u32 s11, 44
	s_cselect_b32 s13, -1, 0
.LBB183_2288:
	s_mov_b32 s14, 0
.LBB183_2289:
	s_delay_alu instid0(SALU_CYCLE_1)
	s_and_b32 vcc_lo, exec_lo, s14
	s_cbranch_vccz .LBB183_2291
; %bb.2290:
	s_cmp_lt_i32 s11, 30
	s_cselect_b32 s12, -1, 0
	s_cmp_gt_i32 s11, 29
	s_cselect_b32 s13, -1, 0
.LBB183_2291:
	s_mov_b32 s14, 0
.LBB183_2292:
	s_delay_alu instid0(SALU_CYCLE_1)
	s_and_b32 vcc_lo, exec_lo, s14
	s_cbranch_vccz .LBB183_2297
; %bb.2293:
	s_cmp_gt_i32 s11, 14
	s_mov_b32 s14, -1
	s_cbranch_scc0 .LBB183_2295
; %bb.2294:
	s_cmp_eq_u32 s11, 15
	s_mov_b32 s14, 0
	s_cselect_b32 s12, -1, 0
	s_cmp_lg_u32 s11, 15
	s_cselect_b32 s13, -1, 0
.LBB183_2295:
	s_and_not1_b32 vcc_lo, exec_lo, s14
	s_cbranch_vccnz .LBB183_2297
; %bb.2296:
	s_cmp_lt_i32 s11, 12
	s_cselect_b32 s12, -1, 0
	s_cmp_gt_i32 s11, 11
	s_cselect_b32 s13, -1, 0
.LBB183_2297:
	s_delay_alu instid0(SALU_CYCLE_1)
	s_and_b32 vcc_lo, exec_lo, s13
	s_cbranch_vccnz .LBB183_2310
; %bb.2298:
	s_and_not1_b32 vcc_lo, exec_lo, s12
	s_cbranch_vccnz .LBB183_3280
.LBB183_2299:
	v_mov_b32_e32 v15, 0
	s_cmp_lt_i32 s9, 11
	s_delay_alu instid0(VALU_DEP_1)
	v_add_nc_u64_e32 v[14:15], s[0:1], v[14:15]
	s_cbranch_scc1 .LBB183_2306
; %bb.2300:
	s_cmp_gt_i32 s9, 25
	s_mov_b32 s13, 0
	s_cbranch_scc0 .LBB183_2307
; %bb.2301:
	s_cmp_gt_i32 s9, 28
	s_cbranch_scc0 .LBB183_2308
; %bb.2302:
	s_cmp_gt_i32 s9, 43
	;; [unrolled: 3-line block ×3, first 2 shown]
	s_cbranch_scc0 .LBB183_2314
; %bb.2304:
	s_cmp_eq_u32 s9, 46
	s_mov_b32 s15, 0
	s_cbranch_scc0 .LBB183_2315
; %bb.2305:
	global_load_b32 v5, v[14:15], off
	s_mov_b32 s12, 0
	s_mov_b32 s14, -1
	s_wait_loadcnt 0x0
	v_lshlrev_b32_e32 v5, 16, v5
	s_wait_xcnt 0x1
	s_delay_alu instid0(VALU_DEP_1)
	v_cvt_f16_f32_e32 v16, v5
	s_branch .LBB183_2317
.LBB183_2306:
	s_mov_b32 s12, -1
	s_mov_b32 s14, 0
                                        ; implicit-def: $vgpr16
	s_branch .LBB183_2383
.LBB183_2307:
	s_mov_b32 s15, -1
	s_mov_b32 s14, 0
	s_mov_b32 s12, 0
                                        ; implicit-def: $vgpr16
	s_branch .LBB183_2346
.LBB183_2308:
	s_mov_b32 s15, -1
	s_mov_b32 s14, 0
	s_mov_b32 s12, 0
                                        ; implicit-def: $vgpr16
	s_branch .LBB183_2327
.LBB183_2309:
	s_or_b32 s8, s8, exec_lo
	s_trap 2
	s_cbranch_execz .LBB183_2227
	s_branch .LBB183_2228
.LBB183_2310:
	s_or_b32 s8, s8, exec_lo
	s_trap 2
	s_cbranch_execz .LBB183_2299
	s_branch .LBB183_3280
.LBB183_2311:
	s_mov_b32 s15, -1
	s_mov_b32 s14, 0
	s_mov_b32 s12, 0
                                        ; implicit-def: $vgpr16
	s_branch .LBB183_2322
.LBB183_2312:
	s_and_not1_saveexec_b32 s56, s56
	s_cbranch_execz .LBB183_1177
.LBB183_2313:
	v_add_f32_e64 v5, 0x42800000, |v4|
	s_and_not1_b32 s55, s55, exec_lo
	s_delay_alu instid0(VALU_DEP_1) | instskip(NEXT) | instid1(VALU_DEP_1)
	v_and_b32_e32 v5, 0xff, v5
	v_cmp_ne_u32_e32 vcc_lo, 0, v5
	s_and_b32 s57, vcc_lo, exec_lo
	s_delay_alu instid0(SALU_CYCLE_1)
	s_or_b32 s55, s55, s57
	s_or_b32 exec_lo, exec_lo, s56
	v_mov_b32_e32 v6, 0
	s_and_saveexec_b32 s56, s55
	s_cbranch_execnz .LBB183_1178
	s_branch .LBB183_1179
.LBB183_2314:
	s_mov_b32 s15, -1
	s_mov_b32 s14, 0
	s_mov_b32 s12, 0
	s_branch .LBB183_2316
.LBB183_2315:
	s_mov_b32 s12, -1
	s_mov_b32 s14, 0
.LBB183_2316:
                                        ; implicit-def: $vgpr16
.LBB183_2317:
	s_and_b32 vcc_lo, exec_lo, s15
	s_cbranch_vccz .LBB183_2321
; %bb.2318:
	s_cmp_eq_u32 s9, 44
	s_cbranch_scc0 .LBB183_2320
; %bb.2319:
	global_load_u8 v5, v[14:15], off
	s_mov_b32 s12, 0
	s_mov_b32 s14, -1
	s_wait_loadcnt 0x0
	v_lshlrev_b32_e32 v7, 23, v5
	v_cmp_ne_u32_e32 vcc_lo, 0xff, v5
	s_delay_alu instid0(VALU_DEP_2) | instskip(NEXT) | instid1(VALU_DEP_1)
	v_cvt_f16_f32_e32 v7, v7
	v_cndmask_b32_e32 v7, 0x7e00, v7, vcc_lo
	v_cmp_ne_u32_e32 vcc_lo, 0, v5
	s_wait_xcnt 0x1
	s_delay_alu instid0(VALU_DEP_2)
	v_cndmask_b32_e32 v16, 0, v7, vcc_lo
	s_branch .LBB183_2321
.LBB183_2320:
	s_mov_b32 s12, -1
                                        ; implicit-def: $vgpr16
.LBB183_2321:
	s_mov_b32 s15, 0
.LBB183_2322:
	s_delay_alu instid0(SALU_CYCLE_1)
	s_and_b32 vcc_lo, exec_lo, s15
	s_cbranch_vccz .LBB183_2326
; %bb.2323:
	s_cmp_eq_u32 s9, 29
	s_cbranch_scc0 .LBB183_2325
; %bb.2324:
	global_load_b64 v[16:17], v[14:15], off
	s_mov_b32 s12, 0
	s_mov_b32 s14, -1
	s_mov_b32 s15, 0
	s_wait_loadcnt 0x0
	v_clz_i32_u32_e32 v5, v17
	s_delay_alu instid0(VALU_DEP_1) | instskip(NEXT) | instid1(VALU_DEP_1)
	v_min_u32_e32 v5, 32, v5
	v_lshlrev_b64_e32 v[16:17], v5, v[16:17]
	v_sub_nc_u32_e32 v5, 32, v5
	s_delay_alu instid0(VALU_DEP_2) | instskip(NEXT) | instid1(VALU_DEP_1)
	v_min_u32_e32 v7, 1, v16
	v_or_b32_e32 v7, v17, v7
	s_delay_alu instid0(VALU_DEP_1) | instskip(NEXT) | instid1(VALU_DEP_1)
	v_cvt_f32_u32_e32 v7, v7
	v_ldexp_f32 v5, v7, v5
	s_delay_alu instid0(VALU_DEP_1)
	v_cvt_f16_f32_e32 v16, v5
	s_branch .LBB183_2327
.LBB183_2325:
	s_mov_b32 s12, -1
                                        ; implicit-def: $vgpr16
.LBB183_2326:
	s_mov_b32 s15, 0
.LBB183_2327:
	s_delay_alu instid0(SALU_CYCLE_1)
	s_and_b32 vcc_lo, exec_lo, s15
	s_cbranch_vccz .LBB183_2345
; %bb.2328:
	s_cmp_lt_i32 s9, 27
	s_cbranch_scc1 .LBB183_2331
; %bb.2329:
	s_cmp_gt_i32 s9, 27
	s_cbranch_scc0 .LBB183_2332
; %bb.2330:
	global_load_b32 v5, v[14:15], off
	s_mov_b32 s14, 0
	s_wait_loadcnt 0x0
	v_cvt_f32_u32_e32 v5, v5
	s_wait_xcnt 0x1
	s_delay_alu instid0(VALU_DEP_1)
	v_cvt_f16_f32_e32 v16, v5
	s_branch .LBB183_2333
.LBB183_2331:
	s_mov_b32 s14, -1
                                        ; implicit-def: $vgpr16
	s_branch .LBB183_2336
.LBB183_2332:
	s_mov_b32 s14, -1
                                        ; implicit-def: $vgpr16
.LBB183_2333:
	s_delay_alu instid0(SALU_CYCLE_1)
	s_and_not1_b32 vcc_lo, exec_lo, s14
	s_cbranch_vccnz .LBB183_2335
; %bb.2334:
	global_load_u16 v5, v[14:15], off
	s_wait_loadcnt 0x0
	s_wait_xcnt 0x1
	v_cvt_f16_u16_e32 v16, v5
.LBB183_2335:
	s_mov_b32 s14, 0
.LBB183_2336:
	s_delay_alu instid0(SALU_CYCLE_1)
	s_and_not1_b32 vcc_lo, exec_lo, s14
	s_cbranch_vccnz .LBB183_2344
; %bb.2337:
	global_load_u8 v5, v[14:15], off
	s_mov_b32 s14, 0
	s_mov_b32 s15, exec_lo
	s_wait_loadcnt 0x0
	v_cmpx_lt_i16_e32 0x7f, v5
	s_xor_b32 s15, exec_lo, s15
	s_cbranch_execz .LBB183_2358
; %bb.2338:
	s_mov_b32 s14, -1
	s_mov_b32 s16, exec_lo
	v_cmpx_eq_u16_e32 0x80, v5
; %bb.2339:
	s_xor_b32 s14, exec_lo, -1
; %bb.2340:
	s_or_b32 exec_lo, exec_lo, s16
	s_delay_alu instid0(SALU_CYCLE_1)
	s_and_b32 s14, s14, exec_lo
	s_or_saveexec_b32 s15, s15
	v_mov_b32_e32 v16, 0x7e00
	s_xor_b32 exec_lo, exec_lo, s15
	s_cbranch_execnz .LBB183_2359
.LBB183_2341:
	s_or_b32 exec_lo, exec_lo, s15
	s_and_saveexec_b32 s15, s14
	s_cbranch_execz .LBB183_2343
.LBB183_2342:
	v_and_b32_e32 v7, 0xffff, v5
	s_delay_alu instid0(VALU_DEP_1) | instskip(SKIP_1) | instid1(VALU_DEP_2)
	v_dual_lshlrev_b32 v5, 24, v5 :: v_dual_bitop2_b32 v9, 7, v7 bitop3:0x40
	v_bfe_u32 v16, v7, 3, 4
	v_and_b32_e32 v5, 0x80000000, v5
	s_delay_alu instid0(VALU_DEP_3) | instskip(NEXT) | instid1(VALU_DEP_3)
	v_clz_i32_u32_e32 v11, v9
	v_cmp_eq_u32_e32 vcc_lo, 0, v16
	s_delay_alu instid0(VALU_DEP_2) | instskip(NEXT) | instid1(VALU_DEP_1)
	v_min_u32_e32 v11, 32, v11
	v_subrev_nc_u32_e32 v13, 28, v11
	v_sub_nc_u32_e32 v11, 29, v11
	s_delay_alu instid0(VALU_DEP_2) | instskip(NEXT) | instid1(VALU_DEP_2)
	v_lshlrev_b32_e32 v7, v13, v7
	v_cndmask_b32_e32 v11, v16, v11, vcc_lo
	s_delay_alu instid0(VALU_DEP_2) | instskip(NEXT) | instid1(VALU_DEP_1)
	v_and_b32_e32 v7, 7, v7
	v_cndmask_b32_e32 v7, v9, v7, vcc_lo
	s_delay_alu instid0(VALU_DEP_3) | instskip(NEXT) | instid1(VALU_DEP_2)
	v_lshl_add_u32 v9, v11, 23, 0x3b800000
	v_lshlrev_b32_e32 v7, 20, v7
	s_delay_alu instid0(VALU_DEP_1) | instskip(NEXT) | instid1(VALU_DEP_1)
	v_or3_b32 v5, v5, v9, v7
	v_cvt_f16_f32_e32 v16, v5
.LBB183_2343:
	s_or_b32 exec_lo, exec_lo, s15
.LBB183_2344:
	s_mov_b32 s14, -1
.LBB183_2345:
	s_mov_b32 s15, 0
.LBB183_2346:
	s_delay_alu instid0(SALU_CYCLE_1)
	s_and_b32 vcc_lo, exec_lo, s15
	s_cbranch_vccz .LBB183_2379
; %bb.2347:
	s_cmp_gt_i32 s9, 22
	s_cbranch_scc0 .LBB183_2357
; %bb.2348:
	s_cmp_lt_i32 s9, 24
	s_cbranch_scc1 .LBB183_2360
; %bb.2349:
	s_cmp_gt_i32 s9, 24
	s_cbranch_scc0 .LBB183_2361
; %bb.2350:
	global_load_u8 v5, v[14:15], off
	s_mov_b32 s14, exec_lo
	s_wait_loadcnt 0x0
	v_cmpx_lt_i16_e32 0x7f, v5
	s_xor_b32 s14, exec_lo, s14
	s_cbranch_execz .LBB183_2373
; %bb.2351:
	s_mov_b32 s13, -1
	s_mov_b32 s15, exec_lo
	v_cmpx_eq_u16_e32 0x80, v5
; %bb.2352:
	s_xor_b32 s13, exec_lo, -1
; %bb.2353:
	s_or_b32 exec_lo, exec_lo, s15
	s_delay_alu instid0(SALU_CYCLE_1)
	s_and_b32 s13, s13, exec_lo
	s_or_saveexec_b32 s14, s14
	v_mov_b32_e32 v16, 0x7e00
	s_xor_b32 exec_lo, exec_lo, s14
	s_cbranch_execnz .LBB183_2374
.LBB183_2354:
	s_or_b32 exec_lo, exec_lo, s14
	s_and_saveexec_b32 s14, s13
	s_cbranch_execz .LBB183_2356
.LBB183_2355:
	v_and_b32_e32 v7, 0xffff, v5
	s_delay_alu instid0(VALU_DEP_1) | instskip(SKIP_1) | instid1(VALU_DEP_2)
	v_dual_lshlrev_b32 v5, 24, v5 :: v_dual_bitop2_b32 v9, 3, v7 bitop3:0x40
	v_bfe_u32 v16, v7, 2, 5
	v_and_b32_e32 v5, 0x80000000, v5
	s_delay_alu instid0(VALU_DEP_3) | instskip(NEXT) | instid1(VALU_DEP_3)
	v_clz_i32_u32_e32 v11, v9
	v_cmp_eq_u32_e32 vcc_lo, 0, v16
	s_delay_alu instid0(VALU_DEP_2) | instskip(NEXT) | instid1(VALU_DEP_1)
	v_min_u32_e32 v11, 32, v11
	v_subrev_nc_u32_e32 v13, 29, v11
	v_sub_nc_u32_e32 v11, 30, v11
	s_delay_alu instid0(VALU_DEP_2) | instskip(NEXT) | instid1(VALU_DEP_2)
	v_lshlrev_b32_e32 v7, v13, v7
	v_cndmask_b32_e32 v11, v16, v11, vcc_lo
	s_delay_alu instid0(VALU_DEP_2) | instskip(NEXT) | instid1(VALU_DEP_1)
	v_and_b32_e32 v7, 3, v7
	v_cndmask_b32_e32 v7, v9, v7, vcc_lo
	s_delay_alu instid0(VALU_DEP_3) | instskip(NEXT) | instid1(VALU_DEP_2)
	v_lshl_add_u32 v9, v11, 23, 0x37800000
	v_lshlrev_b32_e32 v7, 21, v7
	s_delay_alu instid0(VALU_DEP_1) | instskip(NEXT) | instid1(VALU_DEP_1)
	v_or3_b32 v5, v5, v9, v7
	v_cvt_f16_f32_e32 v16, v5
.LBB183_2356:
	s_or_b32 exec_lo, exec_lo, s14
	s_mov_b32 s13, 0
	s_branch .LBB183_2362
.LBB183_2357:
	s_mov_b32 s13, -1
                                        ; implicit-def: $vgpr16
	s_branch .LBB183_2368
.LBB183_2358:
	s_or_saveexec_b32 s15, s15
	v_mov_b32_e32 v16, 0x7e00
	s_xor_b32 exec_lo, exec_lo, s15
	s_cbranch_execz .LBB183_2341
.LBB183_2359:
	v_cmp_ne_u16_e32 vcc_lo, 0, v5
	v_mov_b32_e32 v16, v5
	s_and_not1_b32 s14, s14, exec_lo
	s_and_b32 s16, vcc_lo, exec_lo
	s_delay_alu instid0(SALU_CYCLE_1)
	s_or_b32 s14, s14, s16
	s_or_b32 exec_lo, exec_lo, s15
	s_and_saveexec_b32 s15, s14
	s_cbranch_execnz .LBB183_2342
	s_branch .LBB183_2343
.LBB183_2360:
	s_mov_b32 s13, -1
                                        ; implicit-def: $vgpr16
	s_branch .LBB183_2365
.LBB183_2361:
	s_mov_b32 s13, -1
                                        ; implicit-def: $vgpr16
.LBB183_2362:
	s_delay_alu instid0(SALU_CYCLE_1)
	s_and_b32 vcc_lo, exec_lo, s13
	s_cbranch_vccz .LBB183_2364
; %bb.2363:
	global_load_u8 v5, v[14:15], off
	s_wait_loadcnt 0x0
	v_lshlrev_b32_e32 v5, 24, v5
	s_delay_alu instid0(VALU_DEP_1) | instskip(NEXT) | instid1(VALU_DEP_1)
	v_and_b32_e32 v7, 0x7f000000, v5
	v_clz_i32_u32_e32 v9, v7
	v_add_nc_u32_e32 v13, 0x1000000, v7
	v_cmp_ne_u32_e32 vcc_lo, 0, v7
	s_delay_alu instid0(VALU_DEP_3) | instskip(NEXT) | instid1(VALU_DEP_1)
	v_min_u32_e32 v9, 32, v9
	v_sub_nc_u32_e64 v9, v9, 4 clamp
	s_delay_alu instid0(VALU_DEP_1) | instskip(NEXT) | instid1(VALU_DEP_1)
	v_dual_lshlrev_b32 v11, v9, v7 :: v_dual_lshlrev_b32 v9, 23, v9
	v_lshrrev_b32_e32 v11, 4, v11
	s_delay_alu instid0(VALU_DEP_1) | instskip(SKIP_1) | instid1(VALU_DEP_2)
	v_sub_nc_u32_e32 v9, v11, v9
	v_ashrrev_i32_e32 v11, 8, v13
	v_add_nc_u32_e32 v9, 0x3c000000, v9
	s_delay_alu instid0(VALU_DEP_1) | instskip(NEXT) | instid1(VALU_DEP_1)
	v_and_or_b32 v9, 0x7f800000, v11, v9
	v_cndmask_b32_e32 v7, 0, v9, vcc_lo
	s_delay_alu instid0(VALU_DEP_1) | instskip(SKIP_1) | instid1(VALU_DEP_1)
	v_and_or_b32 v5, 0x80000000, v5, v7
	s_wait_xcnt 0x1
	v_cvt_f16_f32_e32 v16, v5
.LBB183_2364:
	s_mov_b32 s13, 0
.LBB183_2365:
	s_delay_alu instid0(SALU_CYCLE_1)
	s_and_not1_b32 vcc_lo, exec_lo, s13
	s_cbranch_vccnz .LBB183_2367
; %bb.2366:
	global_load_u8 v5, v[14:15], off
	s_wait_loadcnt 0x0
	v_lshlrev_b32_e32 v7, 25, v5
	v_lshlrev_b16 v5, 8, v5
	s_delay_alu instid0(VALU_DEP_1) | instskip(SKIP_1) | instid1(VALU_DEP_2)
	v_and_or_b32 v11, 0x7f00, v5, 0.5
	v_bfe_i32 v5, v5, 0, 16
	v_add_f32_e32 v11, -0.5, v11
	v_lshrrev_b32_e32 v9, 4, v7
	v_cmp_gt_u32_e32 vcc_lo, 0x8000000, v7
	s_delay_alu instid0(VALU_DEP_2) | instskip(NEXT) | instid1(VALU_DEP_1)
	v_or_b32_e32 v9, 0x70000000, v9
	v_mul_f32_e32 v9, 0x7800000, v9
	s_delay_alu instid0(VALU_DEP_1) | instskip(NEXT) | instid1(VALU_DEP_1)
	v_cndmask_b32_e32 v7, v9, v11, vcc_lo
	v_and_or_b32 v5, 0x80000000, v5, v7
	s_wait_xcnt 0x1
	s_delay_alu instid0(VALU_DEP_1)
	v_cvt_f16_f32_e32 v16, v5
.LBB183_2367:
	s_mov_b32 s13, 0
	s_mov_b32 s14, -1
.LBB183_2368:
	s_and_not1_b32 vcc_lo, exec_lo, s13
	s_mov_b32 s13, 0
	s_cbranch_vccnz .LBB183_2379
; %bb.2369:
	s_cmp_gt_i32 s9, 14
	s_cbranch_scc0 .LBB183_2372
; %bb.2370:
	s_cmp_eq_u32 s9, 15
	s_cbranch_scc0 .LBB183_2375
; %bb.2371:
	global_load_u16 v5, v[14:15], off
	s_mov_b32 s12, 0
	s_mov_b32 s14, -1
	s_wait_loadcnt 0x0
	v_lshlrev_b32_e32 v5, 16, v5
	s_wait_xcnt 0x1
	s_delay_alu instid0(VALU_DEP_1)
	v_cvt_f16_f32_e32 v16, v5
	s_branch .LBB183_2377
.LBB183_2372:
	s_mov_b32 s13, -1
	s_branch .LBB183_2376
.LBB183_2373:
	s_or_saveexec_b32 s14, s14
	v_mov_b32_e32 v16, 0x7e00
	s_xor_b32 exec_lo, exec_lo, s14
	s_cbranch_execz .LBB183_2354
.LBB183_2374:
	v_cmp_ne_u16_e32 vcc_lo, 0, v5
	v_mov_b32_e32 v16, v5
	s_and_not1_b32 s13, s13, exec_lo
	s_and_b32 s15, vcc_lo, exec_lo
	s_delay_alu instid0(SALU_CYCLE_1)
	s_or_b32 s13, s13, s15
	s_or_b32 exec_lo, exec_lo, s14
	s_and_saveexec_b32 s14, s13
	s_cbranch_execnz .LBB183_2355
	s_branch .LBB183_2356
.LBB183_2375:
	s_mov_b32 s12, -1
.LBB183_2376:
                                        ; implicit-def: $vgpr16
.LBB183_2377:
	s_and_b32 vcc_lo, exec_lo, s13
	s_mov_b32 s13, 0
	s_cbranch_vccz .LBB183_2379
; %bb.2378:
	s_cmp_lg_u32 s9, 11
	s_mov_b32 s13, -1
	s_cselect_b32 s12, -1, 0
.LBB183_2379:
	s_delay_alu instid0(SALU_CYCLE_1)
	s_and_b32 vcc_lo, exec_lo, s12
	s_cbranch_vccnz .LBB183_2444
; %bb.2380:
	s_and_not1_b32 vcc_lo, exec_lo, s13
	s_cbranch_vccnz .LBB183_2382
.LBB183_2381:
	global_load_u8 v5, v[14:15], off
	s_mov_b32 s14, -1
	s_wait_loadcnt 0x0
	v_cmp_ne_u16_e32 vcc_lo, 0, v5
	s_wait_xcnt 0x1
	v_cndmask_b32_e64 v16, 0, 0x3c00, vcc_lo
.LBB183_2382:
	s_mov_b32 s12, 0
.LBB183_2383:
	s_delay_alu instid0(SALU_CYCLE_1)
	s_and_b32 vcc_lo, exec_lo, s12
	s_cbranch_vccz .LBB183_2432
; %bb.2384:
	s_cmp_lt_i32 s9, 5
	s_cbranch_scc1 .LBB183_2389
; %bb.2385:
	s_cmp_lt_i32 s9, 8
	s_cbranch_scc1 .LBB183_2390
	;; [unrolled: 3-line block ×3, first 2 shown]
; %bb.2387:
	s_cmp_gt_i32 s9, 9
	s_cbranch_scc0 .LBB183_2392
; %bb.2388:
	global_load_b64 v[16:17], v[14:15], off
	s_mov_b32 s12, 0
	s_wait_loadcnt 0x0
	v_and_or_b32 v5, 0x1ff, v17, v16
	v_lshrrev_b32_e32 v7, 8, v17
	v_bfe_u32 v9, v17, 20, 11
	s_delay_alu instid0(VALU_DEP_3) | instskip(NEXT) | instid1(VALU_DEP_2)
	v_cmp_ne_u32_e32 vcc_lo, 0, v5
	v_sub_nc_u32_e32 v11, 0x3f1, v9
	v_add_nc_u32_e32 v9, 0xfffffc10, v9
	v_cndmask_b32_e64 v5, 0, 1, vcc_lo
	s_delay_alu instid0(VALU_DEP_1) | instskip(NEXT) | instid1(VALU_DEP_4)
	v_and_or_b32 v5, 0xffe, v7, v5
	v_med3_i32 v7, v11, 0, 13
	s_delay_alu instid0(VALU_DEP_2) | instskip(NEXT) | instid1(VALU_DEP_1)
	v_or_b32_e32 v11, 0x1000, v5
	v_lshrrev_b32_e32 v13, v7, v11
	s_delay_alu instid0(VALU_DEP_1) | instskip(NEXT) | instid1(VALU_DEP_1)
	v_lshlrev_b32_e32 v7, v7, v13
	v_cmp_ne_u32_e32 vcc_lo, v7, v11
	v_lshl_or_b32 v11, v9, 12, v5
	v_cndmask_b32_e64 v7, 0, 1, vcc_lo
	v_cmp_gt_i32_e32 vcc_lo, 1, v9
	s_delay_alu instid0(VALU_DEP_2) | instskip(NEXT) | instid1(VALU_DEP_1)
	v_or_b32_e32 v7, v13, v7
	v_cndmask_b32_e32 v7, v11, v7, vcc_lo
	s_delay_alu instid0(VALU_DEP_1) | instskip(NEXT) | instid1(VALU_DEP_1)
	v_and_b32_e32 v11, 7, v7
	v_cmp_lt_i32_e32 vcc_lo, 5, v11
	v_cndmask_b32_e64 v13, 0, 1, vcc_lo
	v_cmp_eq_u32_e32 vcc_lo, 3, v11
	v_cndmask_b32_e64 v11, 0, 1, vcc_lo
	v_cmp_ne_u32_e32 vcc_lo, 0, v5
	s_delay_alu instid0(VALU_DEP_2) | instskip(SKIP_1) | instid1(VALU_DEP_2)
	v_dual_lshrrev_b32 v7, 2, v7 :: v_dual_bitop2_b32 v11, v11, v13 bitop3:0x54
	v_mov_b32_e32 v13, 0x7e00
	v_add_nc_u32_e32 v7, v7, v11
	s_delay_alu instid0(VALU_DEP_2) | instskip(SKIP_1) | instid1(VALU_DEP_3)
	v_cndmask_b32_e32 v5, 0x7c00, v13, vcc_lo
	v_cmp_gt_i32_e32 vcc_lo, 31, v9
	v_cndmask_b32_e32 v7, 0x7c00, v7, vcc_lo
	v_cmp_eq_u32_e32 vcc_lo, 0x40f, v9
	s_delay_alu instid0(VALU_DEP_2) | instskip(SKIP_1) | instid1(VALU_DEP_1)
	v_cndmask_b32_e32 v5, v7, v5, vcc_lo
	v_lshrrev_b32_e32 v7, 16, v17
	v_and_or_b32 v16, 0x8000, v7, v5
	s_branch .LBB183_2393
.LBB183_2389:
	s_mov_b32 s12, -1
                                        ; implicit-def: $vgpr16
	s_branch .LBB183_2411
.LBB183_2390:
	s_mov_b32 s12, -1
                                        ; implicit-def: $vgpr16
	s_branch .LBB183_2399
.LBB183_2391:
	s_mov_b32 s12, -1
                                        ; implicit-def: $vgpr16
	s_branch .LBB183_2396
.LBB183_2392:
	s_mov_b32 s12, -1
                                        ; implicit-def: $vgpr16
.LBB183_2393:
	s_delay_alu instid0(SALU_CYCLE_1)
	s_and_not1_b32 vcc_lo, exec_lo, s12
	s_cbranch_vccnz .LBB183_2395
; %bb.2394:
	global_load_b32 v5, v[14:15], off
	s_wait_loadcnt 0x0
	s_wait_xcnt 0x1
	v_cvt_f16_f32_e32 v16, v5
.LBB183_2395:
	s_mov_b32 s12, 0
.LBB183_2396:
	s_delay_alu instid0(SALU_CYCLE_1)
	s_and_not1_b32 vcc_lo, exec_lo, s12
	s_cbranch_vccnz .LBB183_2398
; %bb.2397:
	global_load_b32 v16, v[14:15], off
.LBB183_2398:
	s_mov_b32 s12, 0
.LBB183_2399:
	s_delay_alu instid0(SALU_CYCLE_1)
	s_and_not1_b32 vcc_lo, exec_lo, s12
	s_cbranch_vccnz .LBB183_2410
; %bb.2400:
	s_cmp_lt_i32 s9, 6
	s_cbranch_scc1 .LBB183_2403
; %bb.2401:
	s_cmp_gt_i32 s9, 6
	s_cbranch_scc0 .LBB183_2404
; %bb.2402:
	s_wait_loadcnt 0x0
	global_load_b64 v[16:17], v[14:15], off
	s_mov_b32 s12, 0
	s_wait_loadcnt 0x0
	v_and_or_b32 v5, 0x1ff, v17, v16
	v_lshrrev_b32_e32 v7, 8, v17
	v_bfe_u32 v9, v17, 20, 11
	s_delay_alu instid0(VALU_DEP_3) | instskip(NEXT) | instid1(VALU_DEP_2)
	v_cmp_ne_u32_e32 vcc_lo, 0, v5
	v_sub_nc_u32_e32 v11, 0x3f1, v9
	v_add_nc_u32_e32 v9, 0xfffffc10, v9
	v_cndmask_b32_e64 v5, 0, 1, vcc_lo
	s_delay_alu instid0(VALU_DEP_1) | instskip(NEXT) | instid1(VALU_DEP_4)
	v_and_or_b32 v5, 0xffe, v7, v5
	v_med3_i32 v7, v11, 0, 13
	s_delay_alu instid0(VALU_DEP_2) | instskip(NEXT) | instid1(VALU_DEP_1)
	v_or_b32_e32 v11, 0x1000, v5
	v_lshrrev_b32_e32 v13, v7, v11
	s_delay_alu instid0(VALU_DEP_1) | instskip(NEXT) | instid1(VALU_DEP_1)
	v_lshlrev_b32_e32 v7, v7, v13
	v_cmp_ne_u32_e32 vcc_lo, v7, v11
	v_lshl_or_b32 v11, v9, 12, v5
	v_cndmask_b32_e64 v7, 0, 1, vcc_lo
	v_cmp_gt_i32_e32 vcc_lo, 1, v9
	s_delay_alu instid0(VALU_DEP_2) | instskip(NEXT) | instid1(VALU_DEP_1)
	v_or_b32_e32 v7, v13, v7
	v_cndmask_b32_e32 v7, v11, v7, vcc_lo
	s_delay_alu instid0(VALU_DEP_1) | instskip(NEXT) | instid1(VALU_DEP_1)
	v_and_b32_e32 v11, 7, v7
	v_cmp_lt_i32_e32 vcc_lo, 5, v11
	v_cndmask_b32_e64 v13, 0, 1, vcc_lo
	v_cmp_eq_u32_e32 vcc_lo, 3, v11
	v_cndmask_b32_e64 v11, 0, 1, vcc_lo
	v_cmp_ne_u32_e32 vcc_lo, 0, v5
	s_delay_alu instid0(VALU_DEP_2) | instskip(SKIP_1) | instid1(VALU_DEP_2)
	v_dual_lshrrev_b32 v7, 2, v7 :: v_dual_bitop2_b32 v11, v11, v13 bitop3:0x54
	v_mov_b32_e32 v13, 0x7e00
	v_add_nc_u32_e32 v7, v7, v11
	s_delay_alu instid0(VALU_DEP_2) | instskip(SKIP_1) | instid1(VALU_DEP_3)
	v_cndmask_b32_e32 v5, 0x7c00, v13, vcc_lo
	v_cmp_gt_i32_e32 vcc_lo, 31, v9
	v_cndmask_b32_e32 v7, 0x7c00, v7, vcc_lo
	v_cmp_eq_u32_e32 vcc_lo, 0x40f, v9
	s_delay_alu instid0(VALU_DEP_2) | instskip(SKIP_1) | instid1(VALU_DEP_1)
	v_cndmask_b32_e32 v5, v7, v5, vcc_lo
	v_lshrrev_b32_e32 v7, 16, v17
	v_and_or_b32 v16, 0x8000, v7, v5
	s_branch .LBB183_2405
.LBB183_2403:
	s_mov_b32 s12, -1
                                        ; implicit-def: $vgpr16
	s_branch .LBB183_2408
.LBB183_2404:
	s_mov_b32 s12, -1
                                        ; implicit-def: $vgpr16
.LBB183_2405:
	s_delay_alu instid0(SALU_CYCLE_1)
	s_and_not1_b32 vcc_lo, exec_lo, s12
	s_cbranch_vccnz .LBB183_2407
; %bb.2406:
	global_load_b32 v5, v[14:15], off
	s_wait_loadcnt 0x0
	s_wait_xcnt 0x1
	v_cvt_f16_f32_e32 v16, v5
.LBB183_2407:
	s_mov_b32 s12, 0
.LBB183_2408:
	s_delay_alu instid0(SALU_CYCLE_1)
	s_and_not1_b32 vcc_lo, exec_lo, s12
	s_cbranch_vccnz .LBB183_2410
; %bb.2409:
	s_wait_loadcnt 0x0
	global_load_u16 v16, v[14:15], off
.LBB183_2410:
	s_mov_b32 s12, 0
.LBB183_2411:
	s_delay_alu instid0(SALU_CYCLE_1)
	s_and_not1_b32 vcc_lo, exec_lo, s12
	s_cbranch_vccnz .LBB183_2431
; %bb.2412:
	s_cmp_lt_i32 s9, 2
	s_cbranch_scc1 .LBB183_2416
; %bb.2413:
	s_cmp_lt_i32 s9, 3
	s_cbranch_scc1 .LBB183_2417
; %bb.2414:
	s_cmp_gt_i32 s9, 3
	s_cbranch_scc0 .LBB183_2418
; %bb.2415:
	s_wait_loadcnt 0x0
	global_load_b64 v[16:17], v[14:15], off
	s_mov_b32 s12, 0
	s_wait_loadcnt 0x0
	v_xor_b32_e32 v5, v16, v17
	v_cls_i32_e32 v7, v17
	s_delay_alu instid0(VALU_DEP_2) | instskip(NEXT) | instid1(VALU_DEP_1)
	v_ashrrev_i32_e32 v5, 31, v5
	v_add_nc_u32_e32 v5, 32, v5
	s_delay_alu instid0(VALU_DEP_1) | instskip(NEXT) | instid1(VALU_DEP_1)
	v_add_min_u32_e64 v5, v7, -1, v5
	v_lshlrev_b64_e32 v[16:17], v5, v[16:17]
	v_sub_nc_u32_e32 v5, 32, v5
	s_delay_alu instid0(VALU_DEP_2) | instskip(NEXT) | instid1(VALU_DEP_1)
	v_min_u32_e32 v7, 1, v16
	v_or_b32_e32 v7, v17, v7
	s_delay_alu instid0(VALU_DEP_1) | instskip(NEXT) | instid1(VALU_DEP_1)
	v_cvt_f32_i32_e32 v7, v7
	v_ldexp_f32 v5, v7, v5
	s_delay_alu instid0(VALU_DEP_1)
	v_cvt_f16_f32_e32 v16, v5
	s_branch .LBB183_2419
.LBB183_2416:
	s_mov_b32 s12, -1
                                        ; implicit-def: $vgpr16
	s_branch .LBB183_2425
.LBB183_2417:
	s_mov_b32 s12, -1
                                        ; implicit-def: $vgpr16
	s_branch .LBB183_2422
.LBB183_2418:
	s_mov_b32 s12, -1
                                        ; implicit-def: $vgpr16
.LBB183_2419:
	s_delay_alu instid0(SALU_CYCLE_1)
	s_and_not1_b32 vcc_lo, exec_lo, s12
	s_cbranch_vccnz .LBB183_2421
; %bb.2420:
	global_load_b32 v5, v[14:15], off
	s_wait_loadcnt 0x0
	v_cvt_f32_i32_e32 v5, v5
	s_wait_xcnt 0x1
	s_delay_alu instid0(VALU_DEP_1)
	v_cvt_f16_f32_e32 v16, v5
.LBB183_2421:
	s_mov_b32 s12, 0
.LBB183_2422:
	s_delay_alu instid0(SALU_CYCLE_1)
	s_and_not1_b32 vcc_lo, exec_lo, s12
	s_cbranch_vccnz .LBB183_2424
; %bb.2423:
	global_load_u16 v5, v[14:15], off
	s_wait_loadcnt 0x0
	s_wait_xcnt 0x1
	v_cvt_f16_i16_e32 v16, v5
.LBB183_2424:
	s_mov_b32 s12, 0
.LBB183_2425:
	s_delay_alu instid0(SALU_CYCLE_1)
	s_and_not1_b32 vcc_lo, exec_lo, s12
	s_cbranch_vccnz .LBB183_2431
; %bb.2426:
	s_cmp_gt_i32 s9, 0
	s_mov_b32 s12, 0
	s_cbranch_scc0 .LBB183_2428
; %bb.2427:
	global_load_i8 v5, v[14:15], off
	s_wait_loadcnt 0x0
	s_wait_xcnt 0x1
	v_cvt_f16_i16_e32 v16, v5
	s_branch .LBB183_2429
.LBB183_2428:
	s_mov_b32 s12, -1
                                        ; implicit-def: $vgpr16
.LBB183_2429:
	s_delay_alu instid0(SALU_CYCLE_1)
	s_and_not1_b32 vcc_lo, exec_lo, s12
	s_cbranch_vccnz .LBB183_2431
; %bb.2430:
	global_load_u8 v5, v[14:15], off
	s_wait_loadcnt 0x0
	s_wait_xcnt 0x1
	v_cvt_f16_u16_e32 v16, v5
.LBB183_2431:
	s_mov_b32 s14, -1
.LBB183_2432:
	s_delay_alu instid0(SALU_CYCLE_1)
	s_and_not1_b32 vcc_lo, exec_lo, s14
	s_cbranch_vccnz .LBB183_3280
; %bb.2433:
	v_mov_b32_e32 v13, 0
	s_cmp_lt_i32 s10, 11
	s_delay_alu instid0(VALU_DEP_1)
	v_add_nc_u64_e32 v[12:13], s[4:5], v[12:13]
	s_cbranch_scc1 .LBB183_2440
; %bb.2434:
	s_cmp_gt_i32 s10, 25
	s_mov_b32 s13, 0
	s_cbranch_scc0 .LBB183_2441
; %bb.2435:
	s_cmp_gt_i32 s10, 28
	s_cbranch_scc0 .LBB183_2442
; %bb.2436:
	s_cmp_gt_i32 s10, 43
	;; [unrolled: 3-line block ×3, first 2 shown]
	s_cbranch_scc0 .LBB183_2445
; %bb.2438:
	s_cmp_eq_u32 s10, 46
	s_mov_b32 s15, 0
	s_cbranch_scc0 .LBB183_2446
; %bb.2439:
	global_load_b32 v5, v[12:13], off
	s_mov_b32 s12, 0
	s_mov_b32 s14, -1
	s_wait_loadcnt 0x0
	v_lshlrev_b32_e32 v5, 16, v5
	s_wait_xcnt 0x1
	s_delay_alu instid0(VALU_DEP_1)
	v_cvt_f16_f32_e32 v14, v5
	s_branch .LBB183_2448
.LBB183_2440:
	s_mov_b32 s12, -1
	s_mov_b32 s14, 0
                                        ; implicit-def: $vgpr14
	s_branch .LBB183_2514
.LBB183_2441:
	s_mov_b32 s15, -1
	s_mov_b32 s14, 0
	s_mov_b32 s12, 0
                                        ; implicit-def: $vgpr14
	s_branch .LBB183_2477
.LBB183_2442:
	s_mov_b32 s15, -1
	s_mov_b32 s14, 0
	s_mov_b32 s12, 0
                                        ; implicit-def: $vgpr14
	s_branch .LBB183_2458
.LBB183_2443:
	s_mov_b32 s15, -1
	s_mov_b32 s14, 0
	s_mov_b32 s12, 0
                                        ; implicit-def: $vgpr14
	s_branch .LBB183_2453
.LBB183_2444:
	s_or_b32 s8, s8, exec_lo
	s_trap 2
	s_cbranch_execz .LBB183_2381
	s_branch .LBB183_2382
.LBB183_2445:
	s_mov_b32 s15, -1
	s_mov_b32 s14, 0
	s_mov_b32 s12, 0
	s_branch .LBB183_2447
.LBB183_2446:
	s_mov_b32 s12, -1
	s_mov_b32 s14, 0
.LBB183_2447:
                                        ; implicit-def: $vgpr14
.LBB183_2448:
	s_and_b32 vcc_lo, exec_lo, s15
	s_cbranch_vccz .LBB183_2452
; %bb.2449:
	s_cmp_eq_u32 s10, 44
	s_cbranch_scc0 .LBB183_2451
; %bb.2450:
	global_load_u8 v5, v[12:13], off
	s_mov_b32 s12, 0
	s_mov_b32 s14, -1
	s_wait_loadcnt 0x0
	v_lshlrev_b32_e32 v7, 23, v5
	v_cmp_ne_u32_e32 vcc_lo, 0xff, v5
	s_delay_alu instid0(VALU_DEP_2) | instskip(NEXT) | instid1(VALU_DEP_1)
	v_cvt_f16_f32_e32 v7, v7
	v_cndmask_b32_e32 v7, 0x7e00, v7, vcc_lo
	v_cmp_ne_u32_e32 vcc_lo, 0, v5
	s_wait_xcnt 0x1
	s_delay_alu instid0(VALU_DEP_2)
	v_cndmask_b32_e32 v14, 0, v7, vcc_lo
	s_branch .LBB183_2452
.LBB183_2451:
	s_mov_b32 s12, -1
                                        ; implicit-def: $vgpr14
.LBB183_2452:
	s_mov_b32 s15, 0
.LBB183_2453:
	s_delay_alu instid0(SALU_CYCLE_1)
	s_and_b32 vcc_lo, exec_lo, s15
	s_cbranch_vccz .LBB183_2457
; %bb.2454:
	s_cmp_eq_u32 s10, 29
	s_cbranch_scc0 .LBB183_2456
; %bb.2455:
	global_load_b64 v[14:15], v[12:13], off
	s_mov_b32 s12, 0
	s_mov_b32 s14, -1
	s_mov_b32 s15, 0
	s_wait_loadcnt 0x0
	v_clz_i32_u32_e32 v5, v15
	s_delay_alu instid0(VALU_DEP_1) | instskip(NEXT) | instid1(VALU_DEP_1)
	v_min_u32_e32 v5, 32, v5
	v_lshlrev_b64_e32 v[14:15], v5, v[14:15]
	v_sub_nc_u32_e32 v5, 32, v5
	s_delay_alu instid0(VALU_DEP_2) | instskip(NEXT) | instid1(VALU_DEP_1)
	v_min_u32_e32 v7, 1, v14
	v_or_b32_e32 v7, v15, v7
	s_delay_alu instid0(VALU_DEP_1) | instskip(NEXT) | instid1(VALU_DEP_1)
	v_cvt_f32_u32_e32 v7, v7
	v_ldexp_f32 v5, v7, v5
	s_delay_alu instid0(VALU_DEP_1)
	v_cvt_f16_f32_e32 v14, v5
	s_branch .LBB183_2458
.LBB183_2456:
	s_mov_b32 s12, -1
                                        ; implicit-def: $vgpr14
.LBB183_2457:
	s_mov_b32 s15, 0
.LBB183_2458:
	s_delay_alu instid0(SALU_CYCLE_1)
	s_and_b32 vcc_lo, exec_lo, s15
	s_cbranch_vccz .LBB183_2476
; %bb.2459:
	s_cmp_lt_i32 s10, 27
	s_cbranch_scc1 .LBB183_2462
; %bb.2460:
	s_cmp_gt_i32 s10, 27
	s_cbranch_scc0 .LBB183_2463
; %bb.2461:
	global_load_b32 v5, v[12:13], off
	s_mov_b32 s14, 0
	s_wait_loadcnt 0x0
	v_cvt_f32_u32_e32 v5, v5
	s_wait_xcnt 0x1
	s_delay_alu instid0(VALU_DEP_1)
	v_cvt_f16_f32_e32 v14, v5
	s_branch .LBB183_2464
.LBB183_2462:
	s_mov_b32 s14, -1
                                        ; implicit-def: $vgpr14
	s_branch .LBB183_2467
.LBB183_2463:
	s_mov_b32 s14, -1
                                        ; implicit-def: $vgpr14
.LBB183_2464:
	s_delay_alu instid0(SALU_CYCLE_1)
	s_and_not1_b32 vcc_lo, exec_lo, s14
	s_cbranch_vccnz .LBB183_2466
; %bb.2465:
	global_load_u16 v5, v[12:13], off
	s_wait_loadcnt 0x0
	s_wait_xcnt 0x1
	v_cvt_f16_u16_e32 v14, v5
.LBB183_2466:
	s_mov_b32 s14, 0
.LBB183_2467:
	s_delay_alu instid0(SALU_CYCLE_1)
	s_and_not1_b32 vcc_lo, exec_lo, s14
	s_cbranch_vccnz .LBB183_2475
; %bb.2468:
	global_load_u8 v5, v[12:13], off
	s_mov_b32 s14, 0
	s_mov_b32 s15, exec_lo
	s_wait_loadcnt 0x0
	v_cmpx_lt_i16_e32 0x7f, v5
	s_xor_b32 s15, exec_lo, s15
	s_cbranch_execz .LBB183_2489
; %bb.2469:
	s_mov_b32 s14, -1
	s_mov_b32 s16, exec_lo
	v_cmpx_eq_u16_e32 0x80, v5
; %bb.2470:
	s_xor_b32 s14, exec_lo, -1
; %bb.2471:
	s_or_b32 exec_lo, exec_lo, s16
	s_delay_alu instid0(SALU_CYCLE_1)
	s_and_b32 s14, s14, exec_lo
	s_or_saveexec_b32 s15, s15
	v_mov_b32_e32 v14, 0x7e00
	s_xor_b32 exec_lo, exec_lo, s15
	s_cbranch_execnz .LBB183_2490
.LBB183_2472:
	s_or_b32 exec_lo, exec_lo, s15
	s_and_saveexec_b32 s15, s14
	s_cbranch_execz .LBB183_2474
.LBB183_2473:
	v_and_b32_e32 v7, 0xffff, v5
	s_delay_alu instid0(VALU_DEP_1) | instskip(SKIP_1) | instid1(VALU_DEP_2)
	v_dual_lshlrev_b32 v5, 24, v5 :: v_dual_bitop2_b32 v9, 7, v7 bitop3:0x40
	v_bfe_u32 v15, v7, 3, 4
	v_and_b32_e32 v5, 0x80000000, v5
	s_delay_alu instid0(VALU_DEP_3) | instskip(NEXT) | instid1(VALU_DEP_3)
	v_clz_i32_u32_e32 v11, v9
	v_cmp_eq_u32_e32 vcc_lo, 0, v15
	s_delay_alu instid0(VALU_DEP_2) | instskip(NEXT) | instid1(VALU_DEP_1)
	v_min_u32_e32 v11, 32, v11
	v_subrev_nc_u32_e32 v14, 28, v11
	v_sub_nc_u32_e32 v11, 29, v11
	s_delay_alu instid0(VALU_DEP_2) | instskip(NEXT) | instid1(VALU_DEP_2)
	v_lshlrev_b32_e32 v7, v14, v7
	v_cndmask_b32_e32 v11, v15, v11, vcc_lo
	s_delay_alu instid0(VALU_DEP_2) | instskip(NEXT) | instid1(VALU_DEP_1)
	v_and_b32_e32 v7, 7, v7
	v_cndmask_b32_e32 v7, v9, v7, vcc_lo
	s_delay_alu instid0(VALU_DEP_3) | instskip(NEXT) | instid1(VALU_DEP_2)
	v_lshl_add_u32 v9, v11, 23, 0x3b800000
	v_lshlrev_b32_e32 v7, 20, v7
	s_delay_alu instid0(VALU_DEP_1) | instskip(NEXT) | instid1(VALU_DEP_1)
	v_or3_b32 v5, v5, v9, v7
	v_cvt_f16_f32_e32 v14, v5
.LBB183_2474:
	s_or_b32 exec_lo, exec_lo, s15
.LBB183_2475:
	s_mov_b32 s14, -1
.LBB183_2476:
	s_mov_b32 s15, 0
.LBB183_2477:
	s_delay_alu instid0(SALU_CYCLE_1)
	s_and_b32 vcc_lo, exec_lo, s15
	s_cbranch_vccz .LBB183_2510
; %bb.2478:
	s_cmp_gt_i32 s10, 22
	s_cbranch_scc0 .LBB183_2488
; %bb.2479:
	s_cmp_lt_i32 s10, 24
	s_cbranch_scc1 .LBB183_2491
; %bb.2480:
	s_cmp_gt_i32 s10, 24
	s_cbranch_scc0 .LBB183_2492
; %bb.2481:
	global_load_u8 v5, v[12:13], off
	s_mov_b32 s14, exec_lo
	s_wait_loadcnt 0x0
	v_cmpx_lt_i16_e32 0x7f, v5
	s_xor_b32 s14, exec_lo, s14
	s_cbranch_execz .LBB183_2504
; %bb.2482:
	s_mov_b32 s13, -1
	s_mov_b32 s15, exec_lo
	v_cmpx_eq_u16_e32 0x80, v5
; %bb.2483:
	s_xor_b32 s13, exec_lo, -1
; %bb.2484:
	s_or_b32 exec_lo, exec_lo, s15
	s_delay_alu instid0(SALU_CYCLE_1)
	s_and_b32 s13, s13, exec_lo
	s_or_saveexec_b32 s14, s14
	v_mov_b32_e32 v14, 0x7e00
	s_xor_b32 exec_lo, exec_lo, s14
	s_cbranch_execnz .LBB183_2505
.LBB183_2485:
	s_or_b32 exec_lo, exec_lo, s14
	s_and_saveexec_b32 s14, s13
	s_cbranch_execz .LBB183_2487
.LBB183_2486:
	v_and_b32_e32 v7, 0xffff, v5
	s_delay_alu instid0(VALU_DEP_1) | instskip(SKIP_1) | instid1(VALU_DEP_2)
	v_dual_lshlrev_b32 v5, 24, v5 :: v_dual_bitop2_b32 v9, 3, v7 bitop3:0x40
	v_bfe_u32 v15, v7, 2, 5
	v_and_b32_e32 v5, 0x80000000, v5
	s_delay_alu instid0(VALU_DEP_3) | instskip(NEXT) | instid1(VALU_DEP_3)
	v_clz_i32_u32_e32 v11, v9
	v_cmp_eq_u32_e32 vcc_lo, 0, v15
	s_delay_alu instid0(VALU_DEP_2) | instskip(NEXT) | instid1(VALU_DEP_1)
	v_min_u32_e32 v11, 32, v11
	v_subrev_nc_u32_e32 v14, 29, v11
	v_sub_nc_u32_e32 v11, 30, v11
	s_delay_alu instid0(VALU_DEP_2) | instskip(NEXT) | instid1(VALU_DEP_2)
	v_lshlrev_b32_e32 v7, v14, v7
	v_cndmask_b32_e32 v11, v15, v11, vcc_lo
	s_delay_alu instid0(VALU_DEP_2) | instskip(NEXT) | instid1(VALU_DEP_1)
	v_and_b32_e32 v7, 3, v7
	v_cndmask_b32_e32 v7, v9, v7, vcc_lo
	s_delay_alu instid0(VALU_DEP_3) | instskip(NEXT) | instid1(VALU_DEP_2)
	v_lshl_add_u32 v9, v11, 23, 0x37800000
	v_lshlrev_b32_e32 v7, 21, v7
	s_delay_alu instid0(VALU_DEP_1) | instskip(NEXT) | instid1(VALU_DEP_1)
	v_or3_b32 v5, v5, v9, v7
	v_cvt_f16_f32_e32 v14, v5
.LBB183_2487:
	s_or_b32 exec_lo, exec_lo, s14
	s_mov_b32 s13, 0
	s_branch .LBB183_2493
.LBB183_2488:
	s_mov_b32 s13, -1
                                        ; implicit-def: $vgpr14
	s_branch .LBB183_2499
.LBB183_2489:
	s_or_saveexec_b32 s15, s15
	v_mov_b32_e32 v14, 0x7e00
	s_xor_b32 exec_lo, exec_lo, s15
	s_cbranch_execz .LBB183_2472
.LBB183_2490:
	v_cmp_ne_u16_e32 vcc_lo, 0, v5
	v_mov_b32_e32 v14, v5
	s_and_not1_b32 s14, s14, exec_lo
	s_and_b32 s16, vcc_lo, exec_lo
	s_delay_alu instid0(SALU_CYCLE_1)
	s_or_b32 s14, s14, s16
	s_or_b32 exec_lo, exec_lo, s15
	s_and_saveexec_b32 s15, s14
	s_cbranch_execnz .LBB183_2473
	s_branch .LBB183_2474
.LBB183_2491:
	s_mov_b32 s13, -1
                                        ; implicit-def: $vgpr14
	s_branch .LBB183_2496
.LBB183_2492:
	s_mov_b32 s13, -1
                                        ; implicit-def: $vgpr14
.LBB183_2493:
	s_delay_alu instid0(SALU_CYCLE_1)
	s_and_b32 vcc_lo, exec_lo, s13
	s_cbranch_vccz .LBB183_2495
; %bb.2494:
	global_load_u8 v5, v[12:13], off
	s_wait_loadcnt 0x0
	v_lshlrev_b32_e32 v5, 24, v5
	s_delay_alu instid0(VALU_DEP_1) | instskip(NEXT) | instid1(VALU_DEP_1)
	v_and_b32_e32 v7, 0x7f000000, v5
	v_clz_i32_u32_e32 v9, v7
	v_cmp_ne_u32_e32 vcc_lo, 0, v7
	s_wait_xcnt 0x1
	v_add_nc_u32_e32 v14, 0x1000000, v7
	s_delay_alu instid0(VALU_DEP_3) | instskip(NEXT) | instid1(VALU_DEP_1)
	v_min_u32_e32 v9, 32, v9
	v_sub_nc_u32_e64 v9, v9, 4 clamp
	s_delay_alu instid0(VALU_DEP_1) | instskip(NEXT) | instid1(VALU_DEP_1)
	v_dual_lshlrev_b32 v11, v9, v7 :: v_dual_lshlrev_b32 v9, 23, v9
	v_lshrrev_b32_e32 v11, 4, v11
	s_delay_alu instid0(VALU_DEP_1) | instskip(NEXT) | instid1(VALU_DEP_1)
	v_dual_sub_nc_u32 v9, v11, v9 :: v_dual_ashrrev_i32 v11, 8, v14
	v_add_nc_u32_e32 v9, 0x3c000000, v9
	s_delay_alu instid0(VALU_DEP_1) | instskip(NEXT) | instid1(VALU_DEP_1)
	v_and_or_b32 v9, 0x7f800000, v11, v9
	v_cndmask_b32_e32 v7, 0, v9, vcc_lo
	s_delay_alu instid0(VALU_DEP_1) | instskip(NEXT) | instid1(VALU_DEP_1)
	v_and_or_b32 v5, 0x80000000, v5, v7
	v_cvt_f16_f32_e32 v14, v5
.LBB183_2495:
	s_mov_b32 s13, 0
.LBB183_2496:
	s_delay_alu instid0(SALU_CYCLE_1)
	s_and_not1_b32 vcc_lo, exec_lo, s13
	s_cbranch_vccnz .LBB183_2498
; %bb.2497:
	global_load_u8 v5, v[12:13], off
	s_wait_loadcnt 0x0
	v_lshlrev_b32_e32 v7, 25, v5
	v_lshlrev_b16 v5, 8, v5
	s_delay_alu instid0(VALU_DEP_1) | instskip(SKIP_1) | instid1(VALU_DEP_2)
	v_and_or_b32 v11, 0x7f00, v5, 0.5
	v_bfe_i32 v5, v5, 0, 16
	v_add_f32_e32 v11, -0.5, v11
	v_lshrrev_b32_e32 v9, 4, v7
	v_cmp_gt_u32_e32 vcc_lo, 0x8000000, v7
	s_delay_alu instid0(VALU_DEP_2) | instskip(NEXT) | instid1(VALU_DEP_1)
	v_or_b32_e32 v9, 0x70000000, v9
	v_mul_f32_e32 v9, 0x7800000, v9
	s_delay_alu instid0(VALU_DEP_1) | instskip(NEXT) | instid1(VALU_DEP_1)
	v_cndmask_b32_e32 v7, v9, v11, vcc_lo
	v_and_or_b32 v5, 0x80000000, v5, v7
	s_wait_xcnt 0x1
	s_delay_alu instid0(VALU_DEP_1)
	v_cvt_f16_f32_e32 v14, v5
.LBB183_2498:
	s_mov_b32 s13, 0
	s_mov_b32 s14, -1
.LBB183_2499:
	s_and_not1_b32 vcc_lo, exec_lo, s13
	s_mov_b32 s13, 0
	s_cbranch_vccnz .LBB183_2510
; %bb.2500:
	s_cmp_gt_i32 s10, 14
	s_cbranch_scc0 .LBB183_2503
; %bb.2501:
	s_cmp_eq_u32 s10, 15
	s_cbranch_scc0 .LBB183_2506
; %bb.2502:
	global_load_u16 v5, v[12:13], off
	s_mov_b32 s12, 0
	s_mov_b32 s14, -1
	s_wait_loadcnt 0x0
	v_lshlrev_b32_e32 v5, 16, v5
	s_wait_xcnt 0x1
	s_delay_alu instid0(VALU_DEP_1)
	v_cvt_f16_f32_e32 v14, v5
	s_branch .LBB183_2508
.LBB183_2503:
	s_mov_b32 s13, -1
	s_branch .LBB183_2507
.LBB183_2504:
	s_or_saveexec_b32 s14, s14
	v_mov_b32_e32 v14, 0x7e00
	s_xor_b32 exec_lo, exec_lo, s14
	s_cbranch_execz .LBB183_2485
.LBB183_2505:
	v_cmp_ne_u16_e32 vcc_lo, 0, v5
	v_mov_b32_e32 v14, v5
	s_and_not1_b32 s13, s13, exec_lo
	s_and_b32 s15, vcc_lo, exec_lo
	s_delay_alu instid0(SALU_CYCLE_1)
	s_or_b32 s13, s13, s15
	s_or_b32 exec_lo, exec_lo, s14
	s_and_saveexec_b32 s14, s13
	s_cbranch_execnz .LBB183_2486
	s_branch .LBB183_2487
.LBB183_2506:
	s_mov_b32 s12, -1
.LBB183_2507:
                                        ; implicit-def: $vgpr14
.LBB183_2508:
	s_and_b32 vcc_lo, exec_lo, s13
	s_mov_b32 s13, 0
	s_cbranch_vccz .LBB183_2510
; %bb.2509:
	s_cmp_lg_u32 s10, 11
	s_mov_b32 s13, -1
	s_cselect_b32 s12, -1, 0
.LBB183_2510:
	s_delay_alu instid0(SALU_CYCLE_1)
	s_and_b32 vcc_lo, exec_lo, s12
	s_cbranch_vccnz .LBB183_2594
; %bb.2511:
	s_and_not1_b32 vcc_lo, exec_lo, s13
	s_cbranch_vccnz .LBB183_2513
.LBB183_2512:
	global_load_u8 v5, v[12:13], off
	s_mov_b32 s14, -1
	s_wait_loadcnt 0x0
	v_cmp_ne_u16_e32 vcc_lo, 0, v5
	s_wait_xcnt 0x1
	v_cndmask_b32_e64 v14, 0, 0x3c00, vcc_lo
.LBB183_2513:
	s_mov_b32 s12, 0
.LBB183_2514:
	s_delay_alu instid0(SALU_CYCLE_1)
	s_and_b32 vcc_lo, exec_lo, s12
	s_cbranch_vccz .LBB183_2563
; %bb.2515:
	s_cmp_lt_i32 s10, 5
	s_cbranch_scc1 .LBB183_2520
; %bb.2516:
	s_cmp_lt_i32 s10, 8
	s_cbranch_scc1 .LBB183_2521
	;; [unrolled: 3-line block ×3, first 2 shown]
; %bb.2518:
	s_cmp_gt_i32 s10, 9
	s_cbranch_scc0 .LBB183_2523
; %bb.2519:
	global_load_b64 v[14:15], v[12:13], off
	s_mov_b32 s12, 0
	s_wait_loadcnt 0x0
	v_and_or_b32 v5, 0x1ff, v15, v14
	v_lshrrev_b32_e32 v7, 8, v15
	v_bfe_u32 v9, v15, 20, 11
	s_delay_alu instid0(VALU_DEP_3) | instskip(NEXT) | instid1(VALU_DEP_2)
	v_cmp_ne_u32_e32 vcc_lo, 0, v5
	v_sub_nc_u32_e32 v11, 0x3f1, v9
	v_add_nc_u32_e32 v9, 0xfffffc10, v9
	v_cndmask_b32_e64 v5, 0, 1, vcc_lo
	s_delay_alu instid0(VALU_DEP_1) | instskip(NEXT) | instid1(VALU_DEP_4)
	v_and_or_b32 v5, 0xffe, v7, v5
	v_med3_i32 v7, v11, 0, 13
	s_delay_alu instid0(VALU_DEP_2) | instskip(NEXT) | instid1(VALU_DEP_1)
	v_or_b32_e32 v11, 0x1000, v5
	v_lshrrev_b32_e32 v14, v7, v11
	s_delay_alu instid0(VALU_DEP_1) | instskip(NEXT) | instid1(VALU_DEP_1)
	v_lshlrev_b32_e32 v7, v7, v14
	v_cmp_ne_u32_e32 vcc_lo, v7, v11
	v_lshl_or_b32 v11, v9, 12, v5
	v_cndmask_b32_e64 v7, 0, 1, vcc_lo
	v_cmp_gt_i32_e32 vcc_lo, 1, v9
	s_delay_alu instid0(VALU_DEP_2) | instskip(NEXT) | instid1(VALU_DEP_1)
	v_or_b32_e32 v7, v14, v7
	v_cndmask_b32_e32 v7, v11, v7, vcc_lo
	s_delay_alu instid0(VALU_DEP_1) | instskip(NEXT) | instid1(VALU_DEP_1)
	v_dual_lshrrev_b32 v7, 2, v7 :: v_dual_bitop2_b32 v11, 7, v7 bitop3:0x40
	v_cmp_lt_i32_e32 vcc_lo, 5, v11
	v_cndmask_b32_e64 v14, 0, 1, vcc_lo
	v_cmp_eq_u32_e32 vcc_lo, 3, v11
	v_cndmask_b32_e64 v11, 0, 1, vcc_lo
	v_cmp_ne_u32_e32 vcc_lo, 0, v5
	s_delay_alu instid0(VALU_DEP_2) | instskip(NEXT) | instid1(VALU_DEP_1)
	v_or_b32_e32 v11, v11, v14
	v_dual_mov_b32 v14, 0x7e00 :: v_dual_add_nc_u32 v7, v7, v11
	s_delay_alu instid0(VALU_DEP_1) | instskip(SKIP_1) | instid1(VALU_DEP_3)
	v_cndmask_b32_e32 v5, 0x7c00, v14, vcc_lo
	v_cmp_gt_i32_e32 vcc_lo, 31, v9
	v_cndmask_b32_e32 v7, 0x7c00, v7, vcc_lo
	v_cmp_eq_u32_e32 vcc_lo, 0x40f, v9
	s_delay_alu instid0(VALU_DEP_2) | instskip(NEXT) | instid1(VALU_DEP_1)
	v_dual_cndmask_b32 v5, v7, v5, vcc_lo :: v_dual_lshrrev_b32 v7, 16, v15
	v_and_or_b32 v14, 0x8000, v7, v5
	s_branch .LBB183_2524
.LBB183_2520:
	s_mov_b32 s12, -1
                                        ; implicit-def: $vgpr14
	s_branch .LBB183_2542
.LBB183_2521:
	s_mov_b32 s12, -1
                                        ; implicit-def: $vgpr14
	s_branch .LBB183_2530
.LBB183_2522:
	s_mov_b32 s12, -1
                                        ; implicit-def: $vgpr14
	s_branch .LBB183_2527
.LBB183_2523:
	s_mov_b32 s12, -1
                                        ; implicit-def: $vgpr14
.LBB183_2524:
	s_delay_alu instid0(SALU_CYCLE_1)
	s_and_not1_b32 vcc_lo, exec_lo, s12
	s_cbranch_vccnz .LBB183_2526
; %bb.2525:
	global_load_b32 v5, v[12:13], off
	s_wait_loadcnt 0x0
	s_wait_xcnt 0x1
	v_cvt_f16_f32_e32 v14, v5
.LBB183_2526:
	s_mov_b32 s12, 0
.LBB183_2527:
	s_delay_alu instid0(SALU_CYCLE_1)
	s_and_not1_b32 vcc_lo, exec_lo, s12
	s_cbranch_vccnz .LBB183_2529
; %bb.2528:
	global_load_b32 v14, v[12:13], off
.LBB183_2529:
	s_mov_b32 s12, 0
.LBB183_2530:
	s_delay_alu instid0(SALU_CYCLE_1)
	s_and_not1_b32 vcc_lo, exec_lo, s12
	s_cbranch_vccnz .LBB183_2541
; %bb.2531:
	s_cmp_lt_i32 s10, 6
	s_cbranch_scc1 .LBB183_2534
; %bb.2532:
	s_cmp_gt_i32 s10, 6
	s_cbranch_scc0 .LBB183_2535
; %bb.2533:
	s_wait_loadcnt 0x0
	global_load_b64 v[14:15], v[12:13], off
	s_mov_b32 s12, 0
	s_wait_loadcnt 0x0
	v_and_or_b32 v5, 0x1ff, v15, v14
	v_lshrrev_b32_e32 v7, 8, v15
	v_bfe_u32 v9, v15, 20, 11
	s_delay_alu instid0(VALU_DEP_3) | instskip(NEXT) | instid1(VALU_DEP_2)
	v_cmp_ne_u32_e32 vcc_lo, 0, v5
	v_sub_nc_u32_e32 v11, 0x3f1, v9
	v_add_nc_u32_e32 v9, 0xfffffc10, v9
	v_cndmask_b32_e64 v5, 0, 1, vcc_lo
	s_delay_alu instid0(VALU_DEP_1) | instskip(NEXT) | instid1(VALU_DEP_4)
	v_and_or_b32 v5, 0xffe, v7, v5
	v_med3_i32 v7, v11, 0, 13
	s_delay_alu instid0(VALU_DEP_2) | instskip(NEXT) | instid1(VALU_DEP_1)
	v_or_b32_e32 v11, 0x1000, v5
	v_lshrrev_b32_e32 v14, v7, v11
	s_delay_alu instid0(VALU_DEP_1) | instskip(NEXT) | instid1(VALU_DEP_1)
	v_lshlrev_b32_e32 v7, v7, v14
	v_cmp_ne_u32_e32 vcc_lo, v7, v11
	v_lshl_or_b32 v11, v9, 12, v5
	v_cndmask_b32_e64 v7, 0, 1, vcc_lo
	v_cmp_gt_i32_e32 vcc_lo, 1, v9
	s_delay_alu instid0(VALU_DEP_2) | instskip(NEXT) | instid1(VALU_DEP_1)
	v_or_b32_e32 v7, v14, v7
	v_cndmask_b32_e32 v7, v11, v7, vcc_lo
	s_delay_alu instid0(VALU_DEP_1) | instskip(NEXT) | instid1(VALU_DEP_1)
	v_dual_lshrrev_b32 v7, 2, v7 :: v_dual_bitop2_b32 v11, 7, v7 bitop3:0x40
	v_cmp_lt_i32_e32 vcc_lo, 5, v11
	v_cndmask_b32_e64 v14, 0, 1, vcc_lo
	v_cmp_eq_u32_e32 vcc_lo, 3, v11
	v_cndmask_b32_e64 v11, 0, 1, vcc_lo
	v_cmp_ne_u32_e32 vcc_lo, 0, v5
	s_delay_alu instid0(VALU_DEP_2) | instskip(NEXT) | instid1(VALU_DEP_1)
	v_or_b32_e32 v11, v11, v14
	v_dual_mov_b32 v14, 0x7e00 :: v_dual_add_nc_u32 v7, v7, v11
	s_delay_alu instid0(VALU_DEP_1) | instskip(SKIP_1) | instid1(VALU_DEP_3)
	v_cndmask_b32_e32 v5, 0x7c00, v14, vcc_lo
	v_cmp_gt_i32_e32 vcc_lo, 31, v9
	v_cndmask_b32_e32 v7, 0x7c00, v7, vcc_lo
	v_cmp_eq_u32_e32 vcc_lo, 0x40f, v9
	s_delay_alu instid0(VALU_DEP_2) | instskip(NEXT) | instid1(VALU_DEP_1)
	v_dual_cndmask_b32 v5, v7, v5, vcc_lo :: v_dual_lshrrev_b32 v7, 16, v15
	v_and_or_b32 v14, 0x8000, v7, v5
	s_branch .LBB183_2536
.LBB183_2534:
	s_mov_b32 s12, -1
                                        ; implicit-def: $vgpr14
	s_branch .LBB183_2539
.LBB183_2535:
	s_mov_b32 s12, -1
                                        ; implicit-def: $vgpr14
.LBB183_2536:
	s_delay_alu instid0(SALU_CYCLE_1)
	s_and_not1_b32 vcc_lo, exec_lo, s12
	s_cbranch_vccnz .LBB183_2538
; %bb.2537:
	global_load_b32 v5, v[12:13], off
	s_wait_loadcnt 0x0
	s_wait_xcnt 0x1
	v_cvt_f16_f32_e32 v14, v5
.LBB183_2538:
	s_mov_b32 s12, 0
.LBB183_2539:
	s_delay_alu instid0(SALU_CYCLE_1)
	s_and_not1_b32 vcc_lo, exec_lo, s12
	s_cbranch_vccnz .LBB183_2541
; %bb.2540:
	s_wait_loadcnt 0x0
	global_load_u16 v14, v[12:13], off
.LBB183_2541:
	s_mov_b32 s12, 0
.LBB183_2542:
	s_delay_alu instid0(SALU_CYCLE_1)
	s_and_not1_b32 vcc_lo, exec_lo, s12
	s_cbranch_vccnz .LBB183_2562
; %bb.2543:
	s_cmp_lt_i32 s10, 2
	s_cbranch_scc1 .LBB183_2547
; %bb.2544:
	s_cmp_lt_i32 s10, 3
	s_cbranch_scc1 .LBB183_2548
; %bb.2545:
	s_cmp_gt_i32 s10, 3
	s_cbranch_scc0 .LBB183_2549
; %bb.2546:
	s_wait_loadcnt 0x0
	global_load_b64 v[14:15], v[12:13], off
	s_mov_b32 s12, 0
	s_wait_loadcnt 0x0
	v_xor_b32_e32 v5, v14, v15
	v_cls_i32_e32 v7, v15
	s_delay_alu instid0(VALU_DEP_2) | instskip(NEXT) | instid1(VALU_DEP_1)
	v_ashrrev_i32_e32 v5, 31, v5
	v_add_nc_u32_e32 v5, 32, v5
	s_delay_alu instid0(VALU_DEP_1) | instskip(NEXT) | instid1(VALU_DEP_1)
	v_add_min_u32_e64 v5, v7, -1, v5
	v_lshlrev_b64_e32 v[14:15], v5, v[14:15]
	v_sub_nc_u32_e32 v5, 32, v5
	s_delay_alu instid0(VALU_DEP_2) | instskip(NEXT) | instid1(VALU_DEP_1)
	v_min_u32_e32 v7, 1, v14
	v_or_b32_e32 v7, v15, v7
	s_delay_alu instid0(VALU_DEP_1) | instskip(NEXT) | instid1(VALU_DEP_1)
	v_cvt_f32_i32_e32 v7, v7
	v_ldexp_f32 v5, v7, v5
	s_delay_alu instid0(VALU_DEP_1)
	v_cvt_f16_f32_e32 v14, v5
	s_branch .LBB183_2550
.LBB183_2547:
	s_mov_b32 s12, -1
                                        ; implicit-def: $vgpr14
	s_branch .LBB183_2556
.LBB183_2548:
	s_mov_b32 s12, -1
                                        ; implicit-def: $vgpr14
	s_branch .LBB183_2553
.LBB183_2549:
	s_mov_b32 s12, -1
                                        ; implicit-def: $vgpr14
.LBB183_2550:
	s_delay_alu instid0(SALU_CYCLE_1)
	s_and_not1_b32 vcc_lo, exec_lo, s12
	s_cbranch_vccnz .LBB183_2552
; %bb.2551:
	global_load_b32 v5, v[12:13], off
	s_wait_loadcnt 0x0
	v_cvt_f32_i32_e32 v5, v5
	s_wait_xcnt 0x1
	s_delay_alu instid0(VALU_DEP_1)
	v_cvt_f16_f32_e32 v14, v5
.LBB183_2552:
	s_mov_b32 s12, 0
.LBB183_2553:
	s_delay_alu instid0(SALU_CYCLE_1)
	s_and_not1_b32 vcc_lo, exec_lo, s12
	s_cbranch_vccnz .LBB183_2555
; %bb.2554:
	global_load_u16 v5, v[12:13], off
	s_wait_loadcnt 0x0
	s_wait_xcnt 0x1
	v_cvt_f16_i16_e32 v14, v5
.LBB183_2555:
	s_mov_b32 s12, 0
.LBB183_2556:
	s_delay_alu instid0(SALU_CYCLE_1)
	s_and_not1_b32 vcc_lo, exec_lo, s12
	s_cbranch_vccnz .LBB183_2562
; %bb.2557:
	s_cmp_gt_i32 s10, 0
	s_mov_b32 s12, 0
	s_cbranch_scc0 .LBB183_2559
; %bb.2558:
	global_load_i8 v5, v[12:13], off
	s_wait_loadcnt 0x0
	s_wait_xcnt 0x1
	v_cvt_f16_i16_e32 v14, v5
	s_branch .LBB183_2560
.LBB183_2559:
	s_mov_b32 s12, -1
                                        ; implicit-def: $vgpr14
.LBB183_2560:
	s_delay_alu instid0(SALU_CYCLE_1)
	s_and_not1_b32 vcc_lo, exec_lo, s12
	s_cbranch_vccnz .LBB183_2562
; %bb.2561:
	global_load_u8 v5, v[12:13], off
	s_wait_loadcnt 0x0
	s_wait_xcnt 0x1
	v_cvt_f16_u16_e32 v14, v5
.LBB183_2562:
	s_mov_b32 s14, -1
.LBB183_2563:
	s_delay_alu instid0(SALU_CYCLE_1)
	s_and_not1_b32 vcc_lo, exec_lo, s14
	s_cbranch_vccnz .LBB183_3280
; %bb.2564:
	s_cmp_lt_i32 s11, 23
	s_cbranch_scc1 .LBB183_2568
; %bb.2565:
	s_cmp_gt_i32 s11, 43
	s_cbranch_scc0 .LBB183_2569
; %bb.2566:
	s_cmp_gt_i32 s11, 45
	s_cbranch_scc0 .LBB183_2570
; %bb.2567:
	s_cmp_lg_u32 s11, 46
	s_mov_b32 s14, 0
	s_mov_b32 s12, -1
	s_cselect_b32 s13, -1, 0
	s_branch .LBB183_2571
.LBB183_2568:
	s_mov_b32 s14, -1
	s_mov_b32 s12, 0
	s_mov_b32 s13, 0
	s_branch .LBB183_2577
.LBB183_2569:
	s_mov_b32 s14, -1
	s_mov_b32 s12, 0
	s_mov_b32 s13, 0
	s_branch .LBB183_2574
.LBB183_2570:
	s_mov_b32 s14, -1
	s_mov_b32 s12, 0
	s_mov_b32 s13, 0
.LBB183_2571:
	s_and_not1_b32 vcc_lo, exec_lo, s14
	s_cbranch_vccnz .LBB183_2573
; %bb.2572:
	s_cmp_eq_u32 s11, 44
	s_cselect_b32 s12, -1, 0
	s_cmp_lg_u32 s11, 44
	s_cselect_b32 s13, -1, 0
.LBB183_2573:
	s_mov_b32 s14, 0
.LBB183_2574:
	s_delay_alu instid0(SALU_CYCLE_1)
	s_and_b32 vcc_lo, exec_lo, s14
	s_cbranch_vccz .LBB183_2576
; %bb.2575:
	s_cmp_lt_i32 s11, 30
	s_cselect_b32 s12, -1, 0
	s_cmp_gt_i32 s11, 29
	s_cselect_b32 s13, -1, 0
.LBB183_2576:
	s_mov_b32 s14, 0
.LBB183_2577:
	s_delay_alu instid0(SALU_CYCLE_1)
	s_and_b32 vcc_lo, exec_lo, s14
	s_cbranch_vccz .LBB183_2582
; %bb.2578:
	s_cmp_gt_i32 s11, 14
	s_mov_b32 s14, -1
	s_cbranch_scc0 .LBB183_2580
; %bb.2579:
	s_cmp_eq_u32 s11, 15
	s_mov_b32 s14, 0
	s_cselect_b32 s12, -1, 0
	s_cmp_lg_u32 s11, 15
	s_cselect_b32 s13, -1, 0
.LBB183_2580:
	s_and_not1_b32 vcc_lo, exec_lo, s14
	s_cbranch_vccnz .LBB183_2582
; %bb.2581:
	s_cmp_lt_i32 s11, 12
	s_cselect_b32 s12, -1, 0
	s_cmp_gt_i32 s11, 11
	s_cselect_b32 s13, -1, 0
.LBB183_2582:
	s_delay_alu instid0(SALU_CYCLE_1)
	s_and_b32 vcc_lo, exec_lo, s13
	s_cbranch_vccnz .LBB183_2595
; %bb.2583:
	s_and_not1_b32 vcc_lo, exec_lo, s12
	s_cbranch_vccnz .LBB183_3280
.LBB183_2584:
	v_mov_b32_e32 v11, 0
	s_cmp_lt_i32 s9, 11
	s_delay_alu instid0(VALU_DEP_1)
	v_add_nc_u64_e32 v[10:11], s[0:1], v[10:11]
	s_cbranch_scc1 .LBB183_2591
; %bb.2585:
	s_cmp_gt_i32 s9, 25
	s_mov_b32 s1, 0
	s_cbranch_scc0 .LBB183_2592
; %bb.2586:
	s_cmp_gt_i32 s9, 28
	s_cbranch_scc0 .LBB183_2593
; %bb.2587:
	s_cmp_gt_i32 s9, 43
	;; [unrolled: 3-line block ×3, first 2 shown]
	s_cbranch_scc0 .LBB183_2597
; %bb.2589:
	s_cmp_eq_u32 s9, 46
	s_mov_b32 s12, 0
	s_cbranch_scc0 .LBB183_2598
; %bb.2590:
	global_load_b32 v5, v[10:11], off
	s_mov_b32 s0, 0
	s_mov_b32 s11, -1
	s_wait_loadcnt 0x0
	v_lshlrev_b32_e32 v5, 16, v5
	s_wait_xcnt 0x1
	s_delay_alu instid0(VALU_DEP_1)
	v_cvt_f16_f32_e32 v12, v5
	s_branch .LBB183_2600
.LBB183_2591:
	s_mov_b32 s0, -1
	s_mov_b32 s11, 0
                                        ; implicit-def: $vgpr12
	s_branch .LBB183_2666
.LBB183_2592:
	s_mov_b32 s12, -1
	s_mov_b32 s11, 0
	s_mov_b32 s0, 0
                                        ; implicit-def: $vgpr12
	s_branch .LBB183_2629
.LBB183_2593:
	s_mov_b32 s12, -1
	s_mov_b32 s11, 0
	s_mov_b32 s0, 0
                                        ; implicit-def: $vgpr12
	s_branch .LBB183_2610
.LBB183_2594:
	s_or_b32 s8, s8, exec_lo
	s_trap 2
	s_cbranch_execz .LBB183_2512
	s_branch .LBB183_2513
.LBB183_2595:
	s_or_b32 s8, s8, exec_lo
	s_trap 2
	s_cbranch_execz .LBB183_2584
	s_branch .LBB183_3280
.LBB183_2596:
	s_mov_b32 s12, -1
	s_mov_b32 s11, 0
	s_mov_b32 s0, 0
                                        ; implicit-def: $vgpr12
	s_branch .LBB183_2605
.LBB183_2597:
	s_mov_b32 s12, -1
	s_mov_b32 s11, 0
	s_mov_b32 s0, 0
	s_branch .LBB183_2599
.LBB183_2598:
	s_mov_b32 s0, -1
	s_mov_b32 s11, 0
.LBB183_2599:
                                        ; implicit-def: $vgpr12
.LBB183_2600:
	s_and_b32 vcc_lo, exec_lo, s12
	s_cbranch_vccz .LBB183_2604
; %bb.2601:
	s_cmp_eq_u32 s9, 44
	s_cbranch_scc0 .LBB183_2603
; %bb.2602:
	global_load_u8 v5, v[10:11], off
	s_mov_b32 s0, 0
	s_mov_b32 s11, -1
	s_wait_loadcnt 0x0
	v_lshlrev_b32_e32 v7, 23, v5
	v_cmp_ne_u32_e32 vcc_lo, 0xff, v5
	s_delay_alu instid0(VALU_DEP_2) | instskip(NEXT) | instid1(VALU_DEP_1)
	v_cvt_f16_f32_e32 v7, v7
	v_cndmask_b32_e32 v7, 0x7e00, v7, vcc_lo
	v_cmp_ne_u32_e32 vcc_lo, 0, v5
	s_wait_xcnt 0x1
	s_delay_alu instid0(VALU_DEP_2)
	v_cndmask_b32_e32 v12, 0, v7, vcc_lo
	s_branch .LBB183_2604
.LBB183_2603:
	s_mov_b32 s0, -1
                                        ; implicit-def: $vgpr12
.LBB183_2604:
	s_mov_b32 s12, 0
.LBB183_2605:
	s_delay_alu instid0(SALU_CYCLE_1)
	s_and_b32 vcc_lo, exec_lo, s12
	s_cbranch_vccz .LBB183_2609
; %bb.2606:
	s_cmp_eq_u32 s9, 29
	s_cbranch_scc0 .LBB183_2608
; %bb.2607:
	global_load_b64 v[12:13], v[10:11], off
	s_mov_b32 s0, 0
	s_mov_b32 s11, -1
	s_mov_b32 s12, 0
	s_wait_loadcnt 0x0
	v_clz_i32_u32_e32 v5, v13
	s_delay_alu instid0(VALU_DEP_1) | instskip(NEXT) | instid1(VALU_DEP_1)
	v_min_u32_e32 v5, 32, v5
	v_lshlrev_b64_e32 v[12:13], v5, v[12:13]
	v_sub_nc_u32_e32 v5, 32, v5
	s_delay_alu instid0(VALU_DEP_2) | instskip(NEXT) | instid1(VALU_DEP_1)
	v_min_u32_e32 v7, 1, v12
	v_or_b32_e32 v7, v13, v7
	s_delay_alu instid0(VALU_DEP_1) | instskip(NEXT) | instid1(VALU_DEP_1)
	v_cvt_f32_u32_e32 v7, v7
	v_ldexp_f32 v5, v7, v5
	s_delay_alu instid0(VALU_DEP_1)
	v_cvt_f16_f32_e32 v12, v5
	s_branch .LBB183_2610
.LBB183_2608:
	s_mov_b32 s0, -1
                                        ; implicit-def: $vgpr12
.LBB183_2609:
	s_mov_b32 s12, 0
.LBB183_2610:
	s_delay_alu instid0(SALU_CYCLE_1)
	s_and_b32 vcc_lo, exec_lo, s12
	s_cbranch_vccz .LBB183_2628
; %bb.2611:
	s_cmp_lt_i32 s9, 27
	s_cbranch_scc1 .LBB183_2614
; %bb.2612:
	s_cmp_gt_i32 s9, 27
	s_cbranch_scc0 .LBB183_2615
; %bb.2613:
	global_load_b32 v5, v[10:11], off
	s_mov_b32 s11, 0
	s_wait_loadcnt 0x0
	v_cvt_f32_u32_e32 v5, v5
	s_wait_xcnt 0x1
	s_delay_alu instid0(VALU_DEP_1)
	v_cvt_f16_f32_e32 v12, v5
	s_branch .LBB183_2616
.LBB183_2614:
	s_mov_b32 s11, -1
                                        ; implicit-def: $vgpr12
	s_branch .LBB183_2619
.LBB183_2615:
	s_mov_b32 s11, -1
                                        ; implicit-def: $vgpr12
.LBB183_2616:
	s_delay_alu instid0(SALU_CYCLE_1)
	s_and_not1_b32 vcc_lo, exec_lo, s11
	s_cbranch_vccnz .LBB183_2618
; %bb.2617:
	global_load_u16 v5, v[10:11], off
	s_wait_loadcnt 0x0
	s_wait_xcnt 0x1
	v_cvt_f16_u16_e32 v12, v5
.LBB183_2618:
	s_mov_b32 s11, 0
.LBB183_2619:
	s_delay_alu instid0(SALU_CYCLE_1)
	s_and_not1_b32 vcc_lo, exec_lo, s11
	s_cbranch_vccnz .LBB183_2627
; %bb.2620:
	global_load_u8 v5, v[10:11], off
	s_mov_b32 s11, 0
	s_mov_b32 s12, exec_lo
	s_wait_loadcnt 0x0
	v_cmpx_lt_i16_e32 0x7f, v5
	s_xor_b32 s12, exec_lo, s12
	s_cbranch_execz .LBB183_2641
; %bb.2621:
	s_mov_b32 s11, -1
	s_mov_b32 s13, exec_lo
	v_cmpx_eq_u16_e32 0x80, v5
; %bb.2622:
	s_xor_b32 s11, exec_lo, -1
; %bb.2623:
	s_or_b32 exec_lo, exec_lo, s13
	s_delay_alu instid0(SALU_CYCLE_1)
	s_and_b32 s11, s11, exec_lo
	s_or_saveexec_b32 s12, s12
	v_mov_b32_e32 v12, 0x7e00
	s_xor_b32 exec_lo, exec_lo, s12
	s_cbranch_execnz .LBB183_2642
.LBB183_2624:
	s_or_b32 exec_lo, exec_lo, s12
	s_and_saveexec_b32 s12, s11
	s_cbranch_execz .LBB183_2626
.LBB183_2625:
	v_and_b32_e32 v7, 0xffff, v5
	s_delay_alu instid0(VALU_DEP_1) | instskip(SKIP_1) | instid1(VALU_DEP_2)
	v_and_b32_e32 v9, 7, v7
	v_bfe_u32 v15, v7, 3, 4
	v_clz_i32_u32_e32 v12, v9
	s_delay_alu instid0(VALU_DEP_2) | instskip(NEXT) | instid1(VALU_DEP_2)
	v_cmp_eq_u32_e32 vcc_lo, 0, v15
	v_min_u32_e32 v12, 32, v12
	s_delay_alu instid0(VALU_DEP_1) | instskip(NEXT) | instid1(VALU_DEP_1)
	v_subrev_nc_u32_e32 v13, 28, v12
	v_dual_lshlrev_b32 v7, v13, v7 :: v_dual_sub_nc_u32 v12, 29, v12
	s_delay_alu instid0(VALU_DEP_1) | instskip(NEXT) | instid1(VALU_DEP_1)
	v_dual_lshlrev_b32 v5, 24, v5 :: v_dual_bitop2_b32 v7, 7, v7 bitop3:0x40
	v_dual_cndmask_b32 v12, v15, v12 :: v_dual_cndmask_b32 v7, v9, v7
	s_delay_alu instid0(VALU_DEP_2) | instskip(NEXT) | instid1(VALU_DEP_2)
	v_and_b32_e32 v5, 0x80000000, v5
	v_lshl_add_u32 v9, v12, 23, 0x3b800000
	s_delay_alu instid0(VALU_DEP_3) | instskip(NEXT) | instid1(VALU_DEP_1)
	v_lshlrev_b32_e32 v7, 20, v7
	v_or3_b32 v5, v5, v9, v7
	s_delay_alu instid0(VALU_DEP_1)
	v_cvt_f16_f32_e32 v12, v5
.LBB183_2626:
	s_or_b32 exec_lo, exec_lo, s12
.LBB183_2627:
	s_mov_b32 s11, -1
.LBB183_2628:
	s_mov_b32 s12, 0
.LBB183_2629:
	s_delay_alu instid0(SALU_CYCLE_1)
	s_and_b32 vcc_lo, exec_lo, s12
	s_cbranch_vccz .LBB183_2662
; %bb.2630:
	s_cmp_gt_i32 s9, 22
	s_cbranch_scc0 .LBB183_2640
; %bb.2631:
	s_cmp_lt_i32 s9, 24
	s_cbranch_scc1 .LBB183_2643
; %bb.2632:
	s_cmp_gt_i32 s9, 24
	s_cbranch_scc0 .LBB183_2644
; %bb.2633:
	global_load_u8 v5, v[10:11], off
	s_mov_b32 s11, exec_lo
	s_wait_loadcnt 0x0
	v_cmpx_lt_i16_e32 0x7f, v5
	s_xor_b32 s11, exec_lo, s11
	s_cbranch_execz .LBB183_2656
; %bb.2634:
	s_mov_b32 s1, -1
	s_mov_b32 s12, exec_lo
	v_cmpx_eq_u16_e32 0x80, v5
; %bb.2635:
	s_xor_b32 s1, exec_lo, -1
; %bb.2636:
	s_or_b32 exec_lo, exec_lo, s12
	s_delay_alu instid0(SALU_CYCLE_1)
	s_and_b32 s1, s1, exec_lo
	s_or_saveexec_b32 s11, s11
	v_mov_b32_e32 v12, 0x7e00
	s_xor_b32 exec_lo, exec_lo, s11
	s_cbranch_execnz .LBB183_2657
.LBB183_2637:
	s_or_b32 exec_lo, exec_lo, s11
	s_and_saveexec_b32 s11, s1
	s_cbranch_execz .LBB183_2639
.LBB183_2638:
	v_and_b32_e32 v7, 0xffff, v5
	s_delay_alu instid0(VALU_DEP_1) | instskip(SKIP_1) | instid1(VALU_DEP_2)
	v_and_b32_e32 v9, 3, v7
	v_bfe_u32 v15, v7, 2, 5
	v_clz_i32_u32_e32 v12, v9
	s_delay_alu instid0(VALU_DEP_2) | instskip(NEXT) | instid1(VALU_DEP_2)
	v_cmp_eq_u32_e32 vcc_lo, 0, v15
	v_min_u32_e32 v12, 32, v12
	s_delay_alu instid0(VALU_DEP_1) | instskip(NEXT) | instid1(VALU_DEP_1)
	v_subrev_nc_u32_e32 v13, 29, v12
	v_dual_lshlrev_b32 v7, v13, v7 :: v_dual_sub_nc_u32 v12, 30, v12
	s_delay_alu instid0(VALU_DEP_1) | instskip(NEXT) | instid1(VALU_DEP_1)
	v_dual_lshlrev_b32 v5, 24, v5 :: v_dual_bitop2_b32 v7, 3, v7 bitop3:0x40
	v_dual_cndmask_b32 v12, v15, v12 :: v_dual_cndmask_b32 v7, v9, v7
	s_delay_alu instid0(VALU_DEP_2) | instskip(NEXT) | instid1(VALU_DEP_2)
	v_and_b32_e32 v5, 0x80000000, v5
	v_lshl_add_u32 v9, v12, 23, 0x37800000
	s_delay_alu instid0(VALU_DEP_3) | instskip(NEXT) | instid1(VALU_DEP_1)
	v_lshlrev_b32_e32 v7, 21, v7
	v_or3_b32 v5, v5, v9, v7
	s_delay_alu instid0(VALU_DEP_1)
	v_cvt_f16_f32_e32 v12, v5
.LBB183_2639:
	s_or_b32 exec_lo, exec_lo, s11
	s_mov_b32 s1, 0
	s_branch .LBB183_2645
.LBB183_2640:
	s_mov_b32 s1, -1
                                        ; implicit-def: $vgpr12
	s_branch .LBB183_2651
.LBB183_2641:
	s_or_saveexec_b32 s12, s12
	v_mov_b32_e32 v12, 0x7e00
	s_xor_b32 exec_lo, exec_lo, s12
	s_cbranch_execz .LBB183_2624
.LBB183_2642:
	v_cmp_ne_u16_e32 vcc_lo, 0, v5
	v_mov_b32_e32 v12, v5
	s_and_not1_b32 s11, s11, exec_lo
	s_and_b32 s13, vcc_lo, exec_lo
	s_delay_alu instid0(SALU_CYCLE_1)
	s_or_b32 s11, s11, s13
	s_or_b32 exec_lo, exec_lo, s12
	s_and_saveexec_b32 s12, s11
	s_cbranch_execnz .LBB183_2625
	s_branch .LBB183_2626
.LBB183_2643:
	s_mov_b32 s1, -1
                                        ; implicit-def: $vgpr12
	s_branch .LBB183_2648
.LBB183_2644:
	s_mov_b32 s1, -1
                                        ; implicit-def: $vgpr12
.LBB183_2645:
	s_delay_alu instid0(SALU_CYCLE_1)
	s_and_b32 vcc_lo, exec_lo, s1
	s_cbranch_vccz .LBB183_2647
; %bb.2646:
	global_load_u8 v5, v[10:11], off
	s_wait_loadcnt 0x0
	v_lshlrev_b32_e32 v5, 24, v5
	s_delay_alu instid0(VALU_DEP_1) | instskip(NEXT) | instid1(VALU_DEP_1)
	v_and_b32_e32 v7, 0x7f000000, v5
	v_clz_i32_u32_e32 v9, v7
	s_wait_xcnt 0x1
	v_add_nc_u32_e32 v13, 0x1000000, v7
	v_cmp_ne_u32_e32 vcc_lo, 0, v7
	s_delay_alu instid0(VALU_DEP_3) | instskip(NEXT) | instid1(VALU_DEP_1)
	v_min_u32_e32 v9, 32, v9
	v_sub_nc_u32_e64 v9, v9, 4 clamp
	s_delay_alu instid0(VALU_DEP_1) | instskip(NEXT) | instid1(VALU_DEP_1)
	v_dual_lshlrev_b32 v12, v9, v7 :: v_dual_lshlrev_b32 v9, 23, v9
	v_lshrrev_b32_e32 v12, 4, v12
	s_delay_alu instid0(VALU_DEP_1) | instskip(SKIP_1) | instid1(VALU_DEP_2)
	v_sub_nc_u32_e32 v9, v12, v9
	v_ashrrev_i32_e32 v12, 8, v13
	v_add_nc_u32_e32 v9, 0x3c000000, v9
	s_delay_alu instid0(VALU_DEP_1) | instskip(NEXT) | instid1(VALU_DEP_1)
	v_and_or_b32 v9, 0x7f800000, v12, v9
	v_cndmask_b32_e32 v7, 0, v9, vcc_lo
	s_delay_alu instid0(VALU_DEP_1) | instskip(NEXT) | instid1(VALU_DEP_1)
	v_and_or_b32 v5, 0x80000000, v5, v7
	v_cvt_f16_f32_e32 v12, v5
.LBB183_2647:
	s_mov_b32 s1, 0
.LBB183_2648:
	s_delay_alu instid0(SALU_CYCLE_1)
	s_and_not1_b32 vcc_lo, exec_lo, s1
	s_cbranch_vccnz .LBB183_2650
; %bb.2649:
	global_load_u8 v5, v[10:11], off
	s_wait_loadcnt 0x0
	v_lshlrev_b32_e32 v7, 25, v5
	v_lshlrev_b16 v5, 8, v5
	s_wait_xcnt 0x1
	s_delay_alu instid0(VALU_DEP_1) | instskip(SKIP_1) | instid1(VALU_DEP_2)
	v_and_or_b32 v12, 0x7f00, v5, 0.5
	v_bfe_i32 v5, v5, 0, 16
	v_dual_add_f32 v12, -0.5, v12 :: v_dual_lshrrev_b32 v9, 4, v7
	v_cmp_gt_u32_e32 vcc_lo, 0x8000000, v7
	s_delay_alu instid0(VALU_DEP_2) | instskip(NEXT) | instid1(VALU_DEP_1)
	v_or_b32_e32 v9, 0x70000000, v9
	v_mul_f32_e32 v9, 0x7800000, v9
	s_delay_alu instid0(VALU_DEP_1) | instskip(NEXT) | instid1(VALU_DEP_1)
	v_cndmask_b32_e32 v7, v9, v12, vcc_lo
	v_and_or_b32 v5, 0x80000000, v5, v7
	s_delay_alu instid0(VALU_DEP_1)
	v_cvt_f16_f32_e32 v12, v5
.LBB183_2650:
	s_mov_b32 s1, 0
	s_mov_b32 s11, -1
.LBB183_2651:
	s_and_not1_b32 vcc_lo, exec_lo, s1
	s_mov_b32 s1, 0
	s_cbranch_vccnz .LBB183_2662
; %bb.2652:
	s_cmp_gt_i32 s9, 14
	s_cbranch_scc0 .LBB183_2655
; %bb.2653:
	s_cmp_eq_u32 s9, 15
	s_cbranch_scc0 .LBB183_2658
; %bb.2654:
	global_load_u16 v5, v[10:11], off
	s_mov_b32 s0, 0
	s_mov_b32 s11, -1
	s_wait_loadcnt 0x0
	v_lshlrev_b32_e32 v5, 16, v5
	s_wait_xcnt 0x1
	s_delay_alu instid0(VALU_DEP_1)
	v_cvt_f16_f32_e32 v12, v5
	s_branch .LBB183_2660
.LBB183_2655:
	s_mov_b32 s1, -1
	s_branch .LBB183_2659
.LBB183_2656:
	s_or_saveexec_b32 s11, s11
	v_mov_b32_e32 v12, 0x7e00
	s_xor_b32 exec_lo, exec_lo, s11
	s_cbranch_execz .LBB183_2637
.LBB183_2657:
	v_cmp_ne_u16_e32 vcc_lo, 0, v5
	v_mov_b32_e32 v12, v5
	s_and_not1_b32 s1, s1, exec_lo
	s_and_b32 s12, vcc_lo, exec_lo
	s_delay_alu instid0(SALU_CYCLE_1)
	s_or_b32 s1, s1, s12
	s_or_b32 exec_lo, exec_lo, s11
	s_and_saveexec_b32 s11, s1
	s_cbranch_execnz .LBB183_2638
	s_branch .LBB183_2639
.LBB183_2658:
	s_mov_b32 s0, -1
.LBB183_2659:
                                        ; implicit-def: $vgpr12
.LBB183_2660:
	s_and_b32 vcc_lo, exec_lo, s1
	s_mov_b32 s1, 0
	s_cbranch_vccz .LBB183_2662
; %bb.2661:
	s_cmp_lg_u32 s9, 11
	s_mov_b32 s1, -1
	s_cselect_b32 s0, -1, 0
.LBB183_2662:
	s_delay_alu instid0(SALU_CYCLE_1)
	s_and_b32 vcc_lo, exec_lo, s0
	s_cbranch_vccnz .LBB183_2727
; %bb.2663:
	s_and_not1_b32 vcc_lo, exec_lo, s1
	s_cbranch_vccnz .LBB183_2665
.LBB183_2664:
	global_load_u8 v5, v[10:11], off
	s_mov_b32 s11, -1
	s_wait_loadcnt 0x0
	v_cmp_ne_u16_e32 vcc_lo, 0, v5
	s_wait_xcnt 0x1
	v_cndmask_b32_e64 v12, 0, 0x3c00, vcc_lo
.LBB183_2665:
	s_mov_b32 s0, 0
.LBB183_2666:
	s_delay_alu instid0(SALU_CYCLE_1)
	s_and_b32 vcc_lo, exec_lo, s0
	s_cbranch_vccz .LBB183_2715
; %bb.2667:
	s_cmp_lt_i32 s9, 5
	s_cbranch_scc1 .LBB183_2672
; %bb.2668:
	s_cmp_lt_i32 s9, 8
	s_cbranch_scc1 .LBB183_2673
	;; [unrolled: 3-line block ×3, first 2 shown]
; %bb.2670:
	s_cmp_gt_i32 s9, 9
	s_cbranch_scc0 .LBB183_2675
; %bb.2671:
	global_load_b64 v[12:13], v[10:11], off
	s_mov_b32 s0, 0
	s_wait_loadcnt 0x0
	v_and_or_b32 v5, 0x1ff, v13, v12
	v_lshrrev_b32_e32 v7, 8, v13
	v_bfe_u32 v9, v13, 20, 11
	s_delay_alu instid0(VALU_DEP_3) | instskip(NEXT) | instid1(VALU_DEP_2)
	v_cmp_ne_u32_e32 vcc_lo, 0, v5
	v_sub_nc_u32_e32 v12, 0x3f1, v9
	v_add_nc_u32_e32 v9, 0xfffffc10, v9
	v_cndmask_b32_e64 v5, 0, 1, vcc_lo
	s_delay_alu instid0(VALU_DEP_1) | instskip(NEXT) | instid1(VALU_DEP_4)
	v_and_or_b32 v5, 0xffe, v7, v5
	v_med3_i32 v7, v12, 0, 13
	s_delay_alu instid0(VALU_DEP_2) | instskip(NEXT) | instid1(VALU_DEP_1)
	v_or_b32_e32 v12, 0x1000, v5
	v_lshrrev_b32_e32 v15, v7, v12
	s_delay_alu instid0(VALU_DEP_1) | instskip(NEXT) | instid1(VALU_DEP_1)
	v_lshlrev_b32_e32 v7, v7, v15
	v_cmp_ne_u32_e32 vcc_lo, v7, v12
	v_lshl_or_b32 v12, v9, 12, v5
	v_cndmask_b32_e64 v7, 0, 1, vcc_lo
	v_cmp_gt_i32_e32 vcc_lo, 1, v9
	s_delay_alu instid0(VALU_DEP_2) | instskip(NEXT) | instid1(VALU_DEP_1)
	v_or_b32_e32 v7, v15, v7
	v_cndmask_b32_e32 v7, v12, v7, vcc_lo
	s_delay_alu instid0(VALU_DEP_1) | instskip(NEXT) | instid1(VALU_DEP_1)
	v_dual_lshrrev_b32 v7, 2, v7 :: v_dual_bitop2_b32 v12, 7, v7 bitop3:0x40
	v_cmp_lt_i32_e32 vcc_lo, 5, v12
	v_cndmask_b32_e64 v15, 0, 1, vcc_lo
	v_cmp_eq_u32_e32 vcc_lo, 3, v12
	v_cndmask_b32_e64 v12, 0, 1, vcc_lo
	v_cmp_ne_u32_e32 vcc_lo, 0, v5
	s_delay_alu instid0(VALU_DEP_2) | instskip(SKIP_1) | instid1(VALU_DEP_2)
	v_or_b32_e32 v12, v12, v15
	v_mov_b32_e32 v15, 0x7e00
	v_add_nc_u32_e32 v7, v7, v12
	s_delay_alu instid0(VALU_DEP_2) | instskip(SKIP_1) | instid1(VALU_DEP_3)
	v_cndmask_b32_e32 v5, 0x7c00, v15, vcc_lo
	v_cmp_gt_i32_e32 vcc_lo, 31, v9
	v_cndmask_b32_e32 v7, 0x7c00, v7, vcc_lo
	v_cmp_eq_u32_e32 vcc_lo, 0x40f, v9
	s_delay_alu instid0(VALU_DEP_2) | instskip(SKIP_1) | instid1(VALU_DEP_1)
	v_cndmask_b32_e32 v5, v7, v5, vcc_lo
	v_lshrrev_b32_e32 v7, 16, v13
	v_and_or_b32 v12, 0x8000, v7, v5
	s_branch .LBB183_2676
.LBB183_2672:
	s_mov_b32 s0, -1
                                        ; implicit-def: $vgpr12
	s_branch .LBB183_2694
.LBB183_2673:
	s_mov_b32 s0, -1
                                        ; implicit-def: $vgpr12
	s_branch .LBB183_2682
.LBB183_2674:
	s_mov_b32 s0, -1
                                        ; implicit-def: $vgpr12
	s_branch .LBB183_2679
.LBB183_2675:
	s_mov_b32 s0, -1
                                        ; implicit-def: $vgpr12
.LBB183_2676:
	s_delay_alu instid0(SALU_CYCLE_1)
	s_and_not1_b32 vcc_lo, exec_lo, s0
	s_cbranch_vccnz .LBB183_2678
; %bb.2677:
	global_load_b32 v5, v[10:11], off
	s_wait_loadcnt 0x0
	s_wait_xcnt 0x1
	v_cvt_f16_f32_e32 v12, v5
.LBB183_2678:
	s_mov_b32 s0, 0
.LBB183_2679:
	s_delay_alu instid0(SALU_CYCLE_1)
	s_and_not1_b32 vcc_lo, exec_lo, s0
	s_cbranch_vccnz .LBB183_2681
; %bb.2680:
	global_load_b32 v12, v[10:11], off
.LBB183_2681:
	s_mov_b32 s0, 0
.LBB183_2682:
	s_delay_alu instid0(SALU_CYCLE_1)
	s_and_not1_b32 vcc_lo, exec_lo, s0
	s_cbranch_vccnz .LBB183_2693
; %bb.2683:
	s_cmp_lt_i32 s9, 6
	s_cbranch_scc1 .LBB183_2686
; %bb.2684:
	s_cmp_gt_i32 s9, 6
	s_cbranch_scc0 .LBB183_2687
; %bb.2685:
	s_wait_loadcnt 0x0
	global_load_b64 v[12:13], v[10:11], off
	s_mov_b32 s0, 0
	s_wait_loadcnt 0x0
	v_and_or_b32 v5, 0x1ff, v13, v12
	v_lshrrev_b32_e32 v7, 8, v13
	v_bfe_u32 v9, v13, 20, 11
	s_delay_alu instid0(VALU_DEP_3) | instskip(NEXT) | instid1(VALU_DEP_2)
	v_cmp_ne_u32_e32 vcc_lo, 0, v5
	v_sub_nc_u32_e32 v12, 0x3f1, v9
	v_add_nc_u32_e32 v9, 0xfffffc10, v9
	v_cndmask_b32_e64 v5, 0, 1, vcc_lo
	s_delay_alu instid0(VALU_DEP_1) | instskip(NEXT) | instid1(VALU_DEP_4)
	v_and_or_b32 v5, 0xffe, v7, v5
	v_med3_i32 v7, v12, 0, 13
	s_delay_alu instid0(VALU_DEP_2) | instskip(NEXT) | instid1(VALU_DEP_1)
	v_or_b32_e32 v12, 0x1000, v5
	v_lshrrev_b32_e32 v15, v7, v12
	s_delay_alu instid0(VALU_DEP_1) | instskip(NEXT) | instid1(VALU_DEP_1)
	v_lshlrev_b32_e32 v7, v7, v15
	v_cmp_ne_u32_e32 vcc_lo, v7, v12
	v_lshl_or_b32 v12, v9, 12, v5
	v_cndmask_b32_e64 v7, 0, 1, vcc_lo
	v_cmp_gt_i32_e32 vcc_lo, 1, v9
	s_delay_alu instid0(VALU_DEP_2) | instskip(NEXT) | instid1(VALU_DEP_1)
	v_or_b32_e32 v7, v15, v7
	v_cndmask_b32_e32 v7, v12, v7, vcc_lo
	s_delay_alu instid0(VALU_DEP_1) | instskip(NEXT) | instid1(VALU_DEP_1)
	v_dual_lshrrev_b32 v7, 2, v7 :: v_dual_bitop2_b32 v12, 7, v7 bitop3:0x40
	v_cmp_lt_i32_e32 vcc_lo, 5, v12
	v_cndmask_b32_e64 v15, 0, 1, vcc_lo
	v_cmp_eq_u32_e32 vcc_lo, 3, v12
	v_cndmask_b32_e64 v12, 0, 1, vcc_lo
	v_cmp_ne_u32_e32 vcc_lo, 0, v5
	s_delay_alu instid0(VALU_DEP_2) | instskip(SKIP_1) | instid1(VALU_DEP_2)
	v_or_b32_e32 v12, v12, v15
	v_mov_b32_e32 v15, 0x7e00
	v_add_nc_u32_e32 v7, v7, v12
	s_delay_alu instid0(VALU_DEP_2) | instskip(SKIP_1) | instid1(VALU_DEP_3)
	v_cndmask_b32_e32 v5, 0x7c00, v15, vcc_lo
	v_cmp_gt_i32_e32 vcc_lo, 31, v9
	v_cndmask_b32_e32 v7, 0x7c00, v7, vcc_lo
	v_cmp_eq_u32_e32 vcc_lo, 0x40f, v9
	s_delay_alu instid0(VALU_DEP_2) | instskip(SKIP_1) | instid1(VALU_DEP_1)
	v_cndmask_b32_e32 v5, v7, v5, vcc_lo
	v_lshrrev_b32_e32 v7, 16, v13
	v_and_or_b32 v12, 0x8000, v7, v5
	s_branch .LBB183_2688
.LBB183_2686:
	s_mov_b32 s0, -1
                                        ; implicit-def: $vgpr12
	s_branch .LBB183_2691
.LBB183_2687:
	s_mov_b32 s0, -1
                                        ; implicit-def: $vgpr12
.LBB183_2688:
	s_delay_alu instid0(SALU_CYCLE_1)
	s_and_not1_b32 vcc_lo, exec_lo, s0
	s_cbranch_vccnz .LBB183_2690
; %bb.2689:
	global_load_b32 v5, v[10:11], off
	s_wait_loadcnt 0x0
	s_wait_xcnt 0x1
	v_cvt_f16_f32_e32 v12, v5
.LBB183_2690:
	s_mov_b32 s0, 0
.LBB183_2691:
	s_delay_alu instid0(SALU_CYCLE_1)
	s_and_not1_b32 vcc_lo, exec_lo, s0
	s_cbranch_vccnz .LBB183_2693
; %bb.2692:
	s_wait_loadcnt 0x0
	global_load_u16 v12, v[10:11], off
.LBB183_2693:
	s_mov_b32 s0, 0
.LBB183_2694:
	s_delay_alu instid0(SALU_CYCLE_1)
	s_and_not1_b32 vcc_lo, exec_lo, s0
	s_cbranch_vccnz .LBB183_2714
; %bb.2695:
	s_cmp_lt_i32 s9, 2
	s_cbranch_scc1 .LBB183_2699
; %bb.2696:
	s_cmp_lt_i32 s9, 3
	s_cbranch_scc1 .LBB183_2700
; %bb.2697:
	s_cmp_gt_i32 s9, 3
	s_cbranch_scc0 .LBB183_2701
; %bb.2698:
	s_wait_loadcnt 0x0
	global_load_b64 v[12:13], v[10:11], off
	s_mov_b32 s0, 0
	s_wait_loadcnt 0x0
	v_xor_b32_e32 v5, v12, v13
	v_cls_i32_e32 v7, v13
	s_delay_alu instid0(VALU_DEP_2) | instskip(NEXT) | instid1(VALU_DEP_1)
	v_ashrrev_i32_e32 v5, 31, v5
	v_add_nc_u32_e32 v5, 32, v5
	s_delay_alu instid0(VALU_DEP_1) | instskip(NEXT) | instid1(VALU_DEP_1)
	v_add_min_u32_e64 v5, v7, -1, v5
	v_lshlrev_b64_e32 v[12:13], v5, v[12:13]
	v_sub_nc_u32_e32 v5, 32, v5
	s_delay_alu instid0(VALU_DEP_2) | instskip(NEXT) | instid1(VALU_DEP_1)
	v_min_u32_e32 v7, 1, v12
	v_or_b32_e32 v7, v13, v7
	s_delay_alu instid0(VALU_DEP_1) | instskip(NEXT) | instid1(VALU_DEP_1)
	v_cvt_f32_i32_e32 v7, v7
	v_ldexp_f32 v5, v7, v5
	s_delay_alu instid0(VALU_DEP_1)
	v_cvt_f16_f32_e32 v12, v5
	s_branch .LBB183_2702
.LBB183_2699:
	s_mov_b32 s0, -1
                                        ; implicit-def: $vgpr12
	s_branch .LBB183_2708
.LBB183_2700:
	s_mov_b32 s0, -1
                                        ; implicit-def: $vgpr12
	s_branch .LBB183_2705
.LBB183_2701:
	s_mov_b32 s0, -1
                                        ; implicit-def: $vgpr12
.LBB183_2702:
	s_delay_alu instid0(SALU_CYCLE_1)
	s_and_not1_b32 vcc_lo, exec_lo, s0
	s_cbranch_vccnz .LBB183_2704
; %bb.2703:
	global_load_b32 v5, v[10:11], off
	s_wait_loadcnt 0x0
	v_cvt_f32_i32_e32 v5, v5
	s_wait_xcnt 0x1
	s_delay_alu instid0(VALU_DEP_1)
	v_cvt_f16_f32_e32 v12, v5
.LBB183_2704:
	s_mov_b32 s0, 0
.LBB183_2705:
	s_delay_alu instid0(SALU_CYCLE_1)
	s_and_not1_b32 vcc_lo, exec_lo, s0
	s_cbranch_vccnz .LBB183_2707
; %bb.2706:
	global_load_u16 v5, v[10:11], off
	s_wait_loadcnt 0x0
	s_wait_xcnt 0x1
	v_cvt_f16_i16_e32 v12, v5
.LBB183_2707:
	s_mov_b32 s0, 0
.LBB183_2708:
	s_delay_alu instid0(SALU_CYCLE_1)
	s_and_not1_b32 vcc_lo, exec_lo, s0
	s_cbranch_vccnz .LBB183_2714
; %bb.2709:
	s_cmp_gt_i32 s9, 0
	s_mov_b32 s0, 0
	s_cbranch_scc0 .LBB183_2711
; %bb.2710:
	global_load_i8 v5, v[10:11], off
	s_wait_loadcnt 0x0
	s_wait_xcnt 0x1
	v_cvt_f16_i16_e32 v12, v5
	s_branch .LBB183_2712
.LBB183_2711:
	s_mov_b32 s0, -1
                                        ; implicit-def: $vgpr12
.LBB183_2712:
	s_delay_alu instid0(SALU_CYCLE_1)
	s_and_not1_b32 vcc_lo, exec_lo, s0
	s_cbranch_vccnz .LBB183_2714
; %bb.2713:
	global_load_u8 v5, v[10:11], off
	s_wait_loadcnt 0x0
	s_wait_xcnt 0x1
	v_cvt_f16_u16_e32 v12, v5
.LBB183_2714:
	s_mov_b32 s11, -1
.LBB183_2715:
	s_delay_alu instid0(SALU_CYCLE_1)
	s_and_not1_b32 vcc_lo, exec_lo, s11
	s_cbranch_vccnz .LBB183_3280
; %bb.2716:
	v_mov_b32_e32 v9, 0
	s_cmp_lt_i32 s10, 11
	s_delay_alu instid0(VALU_DEP_1)
	v_add_nc_u64_e32 v[8:9], s[4:5], v[8:9]
	s_cbranch_scc1 .LBB183_2723
; %bb.2717:
	s_cmp_gt_i32 s10, 25
	s_mov_b32 s1, 0
	s_cbranch_scc0 .LBB183_2724
; %bb.2718:
	s_cmp_gt_i32 s10, 28
	s_cbranch_scc0 .LBB183_2725
; %bb.2719:
	s_cmp_gt_i32 s10, 43
	s_cbranch_scc0 .LBB183_2726
; %bb.2720:
	s_cmp_gt_i32 s10, 45
	s_cbranch_scc0 .LBB183_2728
; %bb.2721:
	s_cmp_eq_u32 s10, 46
	s_mov_b32 s5, 0
	s_cbranch_scc0 .LBB183_2729
; %bb.2722:
	global_load_b32 v5, v[8:9], off
	s_mov_b32 s0, 0
	s_mov_b32 s4, -1
	s_wait_loadcnt 0x0
	v_lshlrev_b32_e32 v5, 16, v5
	s_wait_xcnt 0x1
	s_delay_alu instid0(VALU_DEP_1)
	v_cvt_f16_f32_e32 v10, v5
	s_branch .LBB183_2731
.LBB183_2723:
	s_mov_b32 s0, -1
	s_mov_b32 s4, 0
                                        ; implicit-def: $vgpr10
	s_branch .LBB183_2797
.LBB183_2724:
	s_mov_b32 s5, -1
	s_mov_b32 s4, 0
	s_mov_b32 s0, 0
                                        ; implicit-def: $vgpr10
	s_branch .LBB183_2760
.LBB183_2725:
	s_mov_b32 s5, -1
	s_mov_b32 s4, 0
	s_mov_b32 s0, 0
                                        ; implicit-def: $vgpr10
	s_branch .LBB183_2741
.LBB183_2726:
	s_mov_b32 s5, -1
	s_mov_b32 s4, 0
	s_mov_b32 s0, 0
                                        ; implicit-def: $vgpr10
	s_branch .LBB183_2736
.LBB183_2727:
	s_or_b32 s8, s8, exec_lo
	s_trap 2
	s_cbranch_execz .LBB183_2664
	s_branch .LBB183_2665
.LBB183_2728:
	s_mov_b32 s5, -1
	s_mov_b32 s4, 0
	s_mov_b32 s0, 0
	s_branch .LBB183_2730
.LBB183_2729:
	s_mov_b32 s0, -1
	s_mov_b32 s4, 0
.LBB183_2730:
                                        ; implicit-def: $vgpr10
.LBB183_2731:
	s_and_b32 vcc_lo, exec_lo, s5
	s_cbranch_vccz .LBB183_2735
; %bb.2732:
	s_cmp_eq_u32 s10, 44
	s_cbranch_scc0 .LBB183_2734
; %bb.2733:
	global_load_u8 v5, v[8:9], off
	s_mov_b32 s0, 0
	s_mov_b32 s4, -1
	s_wait_loadcnt 0x0
	v_lshlrev_b32_e32 v7, 23, v5
	v_cmp_ne_u32_e32 vcc_lo, 0xff, v5
	s_delay_alu instid0(VALU_DEP_2) | instskip(NEXT) | instid1(VALU_DEP_1)
	v_cvt_f16_f32_e32 v7, v7
	v_cndmask_b32_e32 v7, 0x7e00, v7, vcc_lo
	v_cmp_ne_u32_e32 vcc_lo, 0, v5
	s_wait_xcnt 0x1
	s_delay_alu instid0(VALU_DEP_2)
	v_cndmask_b32_e32 v10, 0, v7, vcc_lo
	s_branch .LBB183_2735
.LBB183_2734:
	s_mov_b32 s0, -1
                                        ; implicit-def: $vgpr10
.LBB183_2735:
	s_mov_b32 s5, 0
.LBB183_2736:
	s_delay_alu instid0(SALU_CYCLE_1)
	s_and_b32 vcc_lo, exec_lo, s5
	s_cbranch_vccz .LBB183_2740
; %bb.2737:
	s_cmp_eq_u32 s10, 29
	s_cbranch_scc0 .LBB183_2739
; %bb.2738:
	global_load_b64 v[10:11], v[8:9], off
	s_mov_b32 s0, 0
	s_mov_b32 s4, -1
	s_mov_b32 s5, 0
	s_wait_loadcnt 0x0
	v_clz_i32_u32_e32 v5, v11
	s_delay_alu instid0(VALU_DEP_1) | instskip(NEXT) | instid1(VALU_DEP_1)
	v_min_u32_e32 v5, 32, v5
	v_lshlrev_b64_e32 v[10:11], v5, v[10:11]
	v_sub_nc_u32_e32 v5, 32, v5
	s_delay_alu instid0(VALU_DEP_2) | instskip(NEXT) | instid1(VALU_DEP_1)
	v_min_u32_e32 v7, 1, v10
	v_or_b32_e32 v7, v11, v7
	s_delay_alu instid0(VALU_DEP_1) | instskip(NEXT) | instid1(VALU_DEP_1)
	v_cvt_f32_u32_e32 v7, v7
	v_ldexp_f32 v5, v7, v5
	s_delay_alu instid0(VALU_DEP_1)
	v_cvt_f16_f32_e32 v10, v5
	s_branch .LBB183_2741
.LBB183_2739:
	s_mov_b32 s0, -1
                                        ; implicit-def: $vgpr10
.LBB183_2740:
	s_mov_b32 s5, 0
.LBB183_2741:
	s_delay_alu instid0(SALU_CYCLE_1)
	s_and_b32 vcc_lo, exec_lo, s5
	s_cbranch_vccz .LBB183_2759
; %bb.2742:
	s_cmp_lt_i32 s10, 27
	s_cbranch_scc1 .LBB183_2745
; %bb.2743:
	s_cmp_gt_i32 s10, 27
	s_cbranch_scc0 .LBB183_2746
; %bb.2744:
	global_load_b32 v5, v[8:9], off
	s_mov_b32 s4, 0
	s_wait_loadcnt 0x0
	v_cvt_f32_u32_e32 v5, v5
	s_wait_xcnt 0x1
	s_delay_alu instid0(VALU_DEP_1)
	v_cvt_f16_f32_e32 v10, v5
	s_branch .LBB183_2747
.LBB183_2745:
	s_mov_b32 s4, -1
                                        ; implicit-def: $vgpr10
	s_branch .LBB183_2750
.LBB183_2746:
	s_mov_b32 s4, -1
                                        ; implicit-def: $vgpr10
.LBB183_2747:
	s_delay_alu instid0(SALU_CYCLE_1)
	s_and_not1_b32 vcc_lo, exec_lo, s4
	s_cbranch_vccnz .LBB183_2749
; %bb.2748:
	global_load_u16 v5, v[8:9], off
	s_wait_loadcnt 0x0
	s_wait_xcnt 0x1
	v_cvt_f16_u16_e32 v10, v5
.LBB183_2749:
	s_mov_b32 s4, 0
.LBB183_2750:
	s_delay_alu instid0(SALU_CYCLE_1)
	s_and_not1_b32 vcc_lo, exec_lo, s4
	s_cbranch_vccnz .LBB183_2758
; %bb.2751:
	global_load_u8 v5, v[8:9], off
	s_mov_b32 s4, 0
	s_mov_b32 s5, exec_lo
	s_wait_loadcnt 0x0
	v_cmpx_lt_i16_e32 0x7f, v5
	s_xor_b32 s5, exec_lo, s5
	s_cbranch_execz .LBB183_2772
; %bb.2752:
	s_mov_b32 s4, -1
	s_mov_b32 s9, exec_lo
	v_cmpx_eq_u16_e32 0x80, v5
; %bb.2753:
	s_xor_b32 s4, exec_lo, -1
; %bb.2754:
	s_or_b32 exec_lo, exec_lo, s9
	s_delay_alu instid0(SALU_CYCLE_1)
	s_and_b32 s4, s4, exec_lo
	s_or_saveexec_b32 s5, s5
	v_mov_b32_e32 v10, 0x7e00
	s_xor_b32 exec_lo, exec_lo, s5
	s_cbranch_execnz .LBB183_2773
.LBB183_2755:
	s_or_b32 exec_lo, exec_lo, s5
	s_and_saveexec_b32 s5, s4
	s_cbranch_execz .LBB183_2757
.LBB183_2756:
	v_and_b32_e32 v7, 0xffff, v5
	s_delay_alu instid0(VALU_DEP_1) | instskip(SKIP_1) | instid1(VALU_DEP_2)
	v_dual_lshlrev_b32 v5, 24, v5 :: v_dual_bitop2_b32 v10, 7, v7 bitop3:0x40
	v_bfe_u32 v15, v7, 3, 4
	v_and_b32_e32 v5, 0x80000000, v5
	s_delay_alu instid0(VALU_DEP_3) | instskip(NEXT) | instid1(VALU_DEP_3)
	v_clz_i32_u32_e32 v11, v10
	v_cmp_eq_u32_e32 vcc_lo, 0, v15
	s_delay_alu instid0(VALU_DEP_2) | instskip(NEXT) | instid1(VALU_DEP_1)
	v_min_u32_e32 v11, 32, v11
	v_subrev_nc_u32_e32 v13, 28, v11
	v_sub_nc_u32_e32 v11, 29, v11
	s_delay_alu instid0(VALU_DEP_2) | instskip(NEXT) | instid1(VALU_DEP_2)
	v_lshlrev_b32_e32 v7, v13, v7
	v_cndmask_b32_e32 v11, v15, v11, vcc_lo
	s_delay_alu instid0(VALU_DEP_2) | instskip(NEXT) | instid1(VALU_DEP_1)
	v_and_b32_e32 v7, 7, v7
	v_cndmask_b32_e32 v7, v10, v7, vcc_lo
	s_delay_alu instid0(VALU_DEP_3) | instskip(NEXT) | instid1(VALU_DEP_2)
	v_lshl_add_u32 v10, v11, 23, 0x3b800000
	v_lshlrev_b32_e32 v7, 20, v7
	s_delay_alu instid0(VALU_DEP_1) | instskip(NEXT) | instid1(VALU_DEP_1)
	v_or3_b32 v5, v5, v10, v7
	v_cvt_f16_f32_e32 v10, v5
.LBB183_2757:
	s_or_b32 exec_lo, exec_lo, s5
.LBB183_2758:
	s_mov_b32 s4, -1
.LBB183_2759:
	s_mov_b32 s5, 0
.LBB183_2760:
	s_delay_alu instid0(SALU_CYCLE_1)
	s_and_b32 vcc_lo, exec_lo, s5
	s_cbranch_vccz .LBB183_2793
; %bb.2761:
	s_cmp_gt_i32 s10, 22
	s_cbranch_scc0 .LBB183_2771
; %bb.2762:
	s_cmp_lt_i32 s10, 24
	s_cbranch_scc1 .LBB183_2774
; %bb.2763:
	s_cmp_gt_i32 s10, 24
	s_cbranch_scc0 .LBB183_2775
; %bb.2764:
	global_load_u8 v5, v[8:9], off
	s_mov_b32 s4, exec_lo
	s_wait_loadcnt 0x0
	v_cmpx_lt_i16_e32 0x7f, v5
	s_xor_b32 s4, exec_lo, s4
	s_cbranch_execz .LBB183_2787
; %bb.2765:
	s_mov_b32 s1, -1
	s_mov_b32 s5, exec_lo
	v_cmpx_eq_u16_e32 0x80, v5
; %bb.2766:
	s_xor_b32 s1, exec_lo, -1
; %bb.2767:
	s_or_b32 exec_lo, exec_lo, s5
	s_delay_alu instid0(SALU_CYCLE_1)
	s_and_b32 s1, s1, exec_lo
	s_or_saveexec_b32 s4, s4
	v_mov_b32_e32 v10, 0x7e00
	s_xor_b32 exec_lo, exec_lo, s4
	s_cbranch_execnz .LBB183_2788
.LBB183_2768:
	s_or_b32 exec_lo, exec_lo, s4
	s_and_saveexec_b32 s4, s1
	s_cbranch_execz .LBB183_2770
.LBB183_2769:
	v_and_b32_e32 v7, 0xffff, v5
	s_delay_alu instid0(VALU_DEP_1) | instskip(SKIP_1) | instid1(VALU_DEP_2)
	v_dual_lshlrev_b32 v5, 24, v5 :: v_dual_bitop2_b32 v10, 3, v7 bitop3:0x40
	v_bfe_u32 v15, v7, 2, 5
	v_and_b32_e32 v5, 0x80000000, v5
	s_delay_alu instid0(VALU_DEP_3) | instskip(NEXT) | instid1(VALU_DEP_3)
	v_clz_i32_u32_e32 v11, v10
	v_cmp_eq_u32_e32 vcc_lo, 0, v15
	s_delay_alu instid0(VALU_DEP_2) | instskip(NEXT) | instid1(VALU_DEP_1)
	v_min_u32_e32 v11, 32, v11
	v_subrev_nc_u32_e32 v13, 29, v11
	v_sub_nc_u32_e32 v11, 30, v11
	s_delay_alu instid0(VALU_DEP_2) | instskip(NEXT) | instid1(VALU_DEP_2)
	v_lshlrev_b32_e32 v7, v13, v7
	v_cndmask_b32_e32 v11, v15, v11, vcc_lo
	s_delay_alu instid0(VALU_DEP_2) | instskip(NEXT) | instid1(VALU_DEP_1)
	v_and_b32_e32 v7, 3, v7
	v_cndmask_b32_e32 v7, v10, v7, vcc_lo
	s_delay_alu instid0(VALU_DEP_3) | instskip(NEXT) | instid1(VALU_DEP_2)
	v_lshl_add_u32 v10, v11, 23, 0x37800000
	v_lshlrev_b32_e32 v7, 21, v7
	s_delay_alu instid0(VALU_DEP_1) | instskip(NEXT) | instid1(VALU_DEP_1)
	v_or3_b32 v5, v5, v10, v7
	v_cvt_f16_f32_e32 v10, v5
.LBB183_2770:
	s_or_b32 exec_lo, exec_lo, s4
	s_mov_b32 s1, 0
	s_branch .LBB183_2776
.LBB183_2771:
	s_mov_b32 s1, -1
                                        ; implicit-def: $vgpr10
	s_branch .LBB183_2782
.LBB183_2772:
	s_or_saveexec_b32 s5, s5
	v_mov_b32_e32 v10, 0x7e00
	s_xor_b32 exec_lo, exec_lo, s5
	s_cbranch_execz .LBB183_2755
.LBB183_2773:
	v_cmp_ne_u16_e32 vcc_lo, 0, v5
	v_mov_b32_e32 v10, v5
	s_and_not1_b32 s4, s4, exec_lo
	s_and_b32 s9, vcc_lo, exec_lo
	s_delay_alu instid0(SALU_CYCLE_1)
	s_or_b32 s4, s4, s9
	s_or_b32 exec_lo, exec_lo, s5
	s_and_saveexec_b32 s5, s4
	s_cbranch_execnz .LBB183_2756
	s_branch .LBB183_2757
.LBB183_2774:
	s_mov_b32 s1, -1
                                        ; implicit-def: $vgpr10
	s_branch .LBB183_2779
.LBB183_2775:
	s_mov_b32 s1, -1
                                        ; implicit-def: $vgpr10
.LBB183_2776:
	s_delay_alu instid0(SALU_CYCLE_1)
	s_and_b32 vcc_lo, exec_lo, s1
	s_cbranch_vccz .LBB183_2778
; %bb.2777:
	global_load_u8 v5, v[8:9], off
	s_wait_loadcnt 0x0
	v_lshlrev_b32_e32 v5, 24, v5
	s_delay_alu instid0(VALU_DEP_1) | instskip(SKIP_1) | instid1(VALU_DEP_1)
	v_and_b32_e32 v7, 0x7f000000, v5
	s_wait_xcnt 0x1
	v_clz_i32_u32_e32 v10, v7
	v_add_nc_u32_e32 v13, 0x1000000, v7
	v_cmp_ne_u32_e32 vcc_lo, 0, v7
	s_delay_alu instid0(VALU_DEP_3) | instskip(NEXT) | instid1(VALU_DEP_1)
	v_min_u32_e32 v10, 32, v10
	v_sub_nc_u32_e64 v10, v10, 4 clamp
	s_delay_alu instid0(VALU_DEP_1) | instskip(NEXT) | instid1(VALU_DEP_1)
	v_dual_lshlrev_b32 v11, v10, v7 :: v_dual_lshlrev_b32 v10, 23, v10
	v_lshrrev_b32_e32 v11, 4, v11
	s_delay_alu instid0(VALU_DEP_1) | instskip(NEXT) | instid1(VALU_DEP_1)
	v_dual_sub_nc_u32 v10, v11, v10 :: v_dual_ashrrev_i32 v11, 8, v13
	v_add_nc_u32_e32 v10, 0x3c000000, v10
	s_delay_alu instid0(VALU_DEP_1) | instskip(NEXT) | instid1(VALU_DEP_1)
	v_and_or_b32 v10, 0x7f800000, v11, v10
	v_cndmask_b32_e32 v7, 0, v10, vcc_lo
	s_delay_alu instid0(VALU_DEP_1) | instskip(NEXT) | instid1(VALU_DEP_1)
	v_and_or_b32 v5, 0x80000000, v5, v7
	v_cvt_f16_f32_e32 v10, v5
.LBB183_2778:
	s_mov_b32 s1, 0
.LBB183_2779:
	s_delay_alu instid0(SALU_CYCLE_1)
	s_and_not1_b32 vcc_lo, exec_lo, s1
	s_cbranch_vccnz .LBB183_2781
; %bb.2780:
	global_load_u8 v5, v[8:9], off
	s_wait_loadcnt 0x0
	v_lshlrev_b32_e32 v7, 25, v5
	v_lshlrev_b16 v5, 8, v5
	s_wait_xcnt 0x1
	s_delay_alu instid0(VALU_DEP_1) | instskip(SKIP_1) | instid1(VALU_DEP_2)
	v_and_or_b32 v11, 0x7f00, v5, 0.5
	v_bfe_i32 v5, v5, 0, 16
	v_add_f32_e32 v11, -0.5, v11
	v_lshrrev_b32_e32 v10, 4, v7
	v_cmp_gt_u32_e32 vcc_lo, 0x8000000, v7
	s_delay_alu instid0(VALU_DEP_2) | instskip(NEXT) | instid1(VALU_DEP_1)
	v_or_b32_e32 v10, 0x70000000, v10
	v_mul_f32_e32 v10, 0x7800000, v10
	s_delay_alu instid0(VALU_DEP_1) | instskip(NEXT) | instid1(VALU_DEP_1)
	v_cndmask_b32_e32 v7, v10, v11, vcc_lo
	v_and_or_b32 v5, 0x80000000, v5, v7
	s_delay_alu instid0(VALU_DEP_1)
	v_cvt_f16_f32_e32 v10, v5
.LBB183_2781:
	s_mov_b32 s1, 0
	s_mov_b32 s4, -1
.LBB183_2782:
	s_and_not1_b32 vcc_lo, exec_lo, s1
	s_mov_b32 s1, 0
	s_cbranch_vccnz .LBB183_2793
; %bb.2783:
	s_cmp_gt_i32 s10, 14
	s_cbranch_scc0 .LBB183_2786
; %bb.2784:
	s_cmp_eq_u32 s10, 15
	s_cbranch_scc0 .LBB183_2789
; %bb.2785:
	global_load_u16 v5, v[8:9], off
	s_mov_b32 s0, 0
	s_mov_b32 s4, -1
	s_wait_loadcnt 0x0
	v_lshlrev_b32_e32 v5, 16, v5
	s_wait_xcnt 0x1
	s_delay_alu instid0(VALU_DEP_1)
	v_cvt_f16_f32_e32 v10, v5
	s_branch .LBB183_2791
.LBB183_2786:
	s_mov_b32 s1, -1
	s_branch .LBB183_2790
.LBB183_2787:
	s_or_saveexec_b32 s4, s4
	v_mov_b32_e32 v10, 0x7e00
	s_xor_b32 exec_lo, exec_lo, s4
	s_cbranch_execz .LBB183_2768
.LBB183_2788:
	v_cmp_ne_u16_e32 vcc_lo, 0, v5
	v_mov_b32_e32 v10, v5
	s_and_not1_b32 s1, s1, exec_lo
	s_and_b32 s5, vcc_lo, exec_lo
	s_delay_alu instid0(SALU_CYCLE_1)
	s_or_b32 s1, s1, s5
	s_or_b32 exec_lo, exec_lo, s4
	s_and_saveexec_b32 s4, s1
	s_cbranch_execnz .LBB183_2769
	s_branch .LBB183_2770
.LBB183_2789:
	s_mov_b32 s0, -1
.LBB183_2790:
                                        ; implicit-def: $vgpr10
.LBB183_2791:
	s_and_b32 vcc_lo, exec_lo, s1
	s_mov_b32 s1, 0
	s_cbranch_vccz .LBB183_2793
; %bb.2792:
	s_cmp_lg_u32 s10, 11
	s_mov_b32 s1, -1
	s_cselect_b32 s0, -1, 0
.LBB183_2793:
	s_delay_alu instid0(SALU_CYCLE_1)
	s_and_b32 vcc_lo, exec_lo, s0
	s_cbranch_vccnz .LBB183_3326
; %bb.2794:
	s_and_not1_b32 vcc_lo, exec_lo, s1
	s_cbranch_vccnz .LBB183_2796
.LBB183_2795:
	global_load_u8 v5, v[8:9], off
	s_mov_b32 s4, -1
	s_wait_loadcnt 0x0
	v_cmp_ne_u16_e32 vcc_lo, 0, v5
	s_wait_xcnt 0x1
	v_cndmask_b32_e64 v10, 0, 0x3c00, vcc_lo
.LBB183_2796:
	s_mov_b32 s0, 0
.LBB183_2797:
	s_delay_alu instid0(SALU_CYCLE_1)
	s_and_b32 vcc_lo, exec_lo, s0
	s_cbranch_vccz .LBB183_2846
; %bb.2798:
	s_cmp_lt_i32 s10, 5
	s_cbranch_scc1 .LBB183_2803
; %bb.2799:
	s_cmp_lt_i32 s10, 8
	s_cbranch_scc1 .LBB183_2804
; %bb.2800:
	s_cmp_lt_i32 s10, 9
	s_cbranch_scc1 .LBB183_2805
; %bb.2801:
	s_cmp_gt_i32 s10, 9
	s_cbranch_scc0 .LBB183_2806
; %bb.2802:
	global_load_b64 v[10:11], v[8:9], off
	s_mov_b32 s0, 0
	s_wait_loadcnt 0x0
	v_and_or_b32 v5, 0x1ff, v11, v10
	v_lshrrev_b32_e32 v7, 8, v11
	v_bfe_u32 v10, v11, 20, 11
	s_delay_alu instid0(VALU_DEP_3) | instskip(NEXT) | instid1(VALU_DEP_2)
	v_cmp_ne_u32_e32 vcc_lo, 0, v5
	v_sub_nc_u32_e32 v13, 0x3f1, v10
	v_add_nc_u32_e32 v10, 0xfffffc10, v10
	v_cndmask_b32_e64 v5, 0, 1, vcc_lo
	s_delay_alu instid0(VALU_DEP_1) | instskip(NEXT) | instid1(VALU_DEP_4)
	v_and_or_b32 v5, 0xffe, v7, v5
	v_med3_i32 v7, v13, 0, 13
	s_delay_alu instid0(VALU_DEP_2) | instskip(NEXT) | instid1(VALU_DEP_1)
	v_or_b32_e32 v13, 0x1000, v5
	v_lshrrev_b32_e32 v15, v7, v13
	s_delay_alu instid0(VALU_DEP_1) | instskip(NEXT) | instid1(VALU_DEP_1)
	v_lshlrev_b32_e32 v7, v7, v15
	v_cmp_ne_u32_e32 vcc_lo, v7, v13
	v_lshl_or_b32 v13, v10, 12, v5
	v_cndmask_b32_e64 v7, 0, 1, vcc_lo
	v_cmp_gt_i32_e32 vcc_lo, 1, v10
	s_delay_alu instid0(VALU_DEP_2) | instskip(NEXT) | instid1(VALU_DEP_1)
	v_or_b32_e32 v7, v15, v7
	v_cndmask_b32_e32 v7, v13, v7, vcc_lo
	s_delay_alu instid0(VALU_DEP_1) | instskip(NEXT) | instid1(VALU_DEP_1)
	v_dual_lshrrev_b32 v7, 2, v7 :: v_dual_bitop2_b32 v13, 7, v7 bitop3:0x40
	v_cmp_lt_i32_e32 vcc_lo, 5, v13
	v_cndmask_b32_e64 v15, 0, 1, vcc_lo
	v_cmp_eq_u32_e32 vcc_lo, 3, v13
	v_cndmask_b32_e64 v13, 0, 1, vcc_lo
	v_cmp_ne_u32_e32 vcc_lo, 0, v5
	s_delay_alu instid0(VALU_DEP_2) | instskip(SKIP_1) | instid1(VALU_DEP_2)
	v_or_b32_e32 v13, v13, v15
	v_mov_b32_e32 v15, 0x7e00
	v_add_nc_u32_e32 v7, v7, v13
	s_delay_alu instid0(VALU_DEP_2) | instskip(SKIP_1) | instid1(VALU_DEP_3)
	v_cndmask_b32_e32 v5, 0x7c00, v15, vcc_lo
	v_cmp_gt_i32_e32 vcc_lo, 31, v10
	v_cndmask_b32_e32 v7, 0x7c00, v7, vcc_lo
	v_cmp_eq_u32_e32 vcc_lo, 0x40f, v10
	s_delay_alu instid0(VALU_DEP_2) | instskip(NEXT) | instid1(VALU_DEP_1)
	v_dual_cndmask_b32 v5, v7, v5, vcc_lo :: v_dual_lshrrev_b32 v7, 16, v11
	v_and_or_b32 v10, 0x8000, v7, v5
	s_branch .LBB183_2807
.LBB183_2803:
	s_mov_b32 s0, -1
                                        ; implicit-def: $vgpr10
	s_branch .LBB183_2825
.LBB183_2804:
	s_mov_b32 s0, -1
                                        ; implicit-def: $vgpr10
	s_branch .LBB183_2813
.LBB183_2805:
	s_mov_b32 s0, -1
                                        ; implicit-def: $vgpr10
	s_branch .LBB183_2810
.LBB183_2806:
	s_mov_b32 s0, -1
                                        ; implicit-def: $vgpr10
.LBB183_2807:
	s_delay_alu instid0(SALU_CYCLE_1)
	s_and_not1_b32 vcc_lo, exec_lo, s0
	s_cbranch_vccnz .LBB183_2809
; %bb.2808:
	global_load_b32 v5, v[8:9], off
	s_wait_loadcnt 0x0
	s_wait_xcnt 0x1
	v_cvt_f16_f32_e32 v10, v5
.LBB183_2809:
	s_mov_b32 s0, 0
.LBB183_2810:
	s_delay_alu instid0(SALU_CYCLE_1)
	s_and_not1_b32 vcc_lo, exec_lo, s0
	s_cbranch_vccnz .LBB183_2812
; %bb.2811:
	global_load_b32 v10, v[8:9], off
.LBB183_2812:
	s_mov_b32 s0, 0
.LBB183_2813:
	s_delay_alu instid0(SALU_CYCLE_1)
	s_and_not1_b32 vcc_lo, exec_lo, s0
	s_cbranch_vccnz .LBB183_2824
; %bb.2814:
	s_cmp_lt_i32 s10, 6
	s_cbranch_scc1 .LBB183_2817
; %bb.2815:
	s_cmp_gt_i32 s10, 6
	s_cbranch_scc0 .LBB183_2818
; %bb.2816:
	s_wait_loadcnt 0x0
	global_load_b64 v[10:11], v[8:9], off
	s_mov_b32 s0, 0
	s_wait_loadcnt 0x0
	v_and_or_b32 v5, 0x1ff, v11, v10
	v_lshrrev_b32_e32 v7, 8, v11
	v_bfe_u32 v10, v11, 20, 11
	s_delay_alu instid0(VALU_DEP_3) | instskip(NEXT) | instid1(VALU_DEP_2)
	v_cmp_ne_u32_e32 vcc_lo, 0, v5
	v_sub_nc_u32_e32 v13, 0x3f1, v10
	v_add_nc_u32_e32 v10, 0xfffffc10, v10
	v_cndmask_b32_e64 v5, 0, 1, vcc_lo
	s_delay_alu instid0(VALU_DEP_1) | instskip(NEXT) | instid1(VALU_DEP_4)
	v_and_or_b32 v5, 0xffe, v7, v5
	v_med3_i32 v7, v13, 0, 13
	s_delay_alu instid0(VALU_DEP_2) | instskip(NEXT) | instid1(VALU_DEP_1)
	v_or_b32_e32 v13, 0x1000, v5
	v_lshrrev_b32_e32 v15, v7, v13
	s_delay_alu instid0(VALU_DEP_1) | instskip(NEXT) | instid1(VALU_DEP_1)
	v_lshlrev_b32_e32 v7, v7, v15
	v_cmp_ne_u32_e32 vcc_lo, v7, v13
	v_lshl_or_b32 v13, v10, 12, v5
	v_cndmask_b32_e64 v7, 0, 1, vcc_lo
	v_cmp_gt_i32_e32 vcc_lo, 1, v10
	s_delay_alu instid0(VALU_DEP_2) | instskip(NEXT) | instid1(VALU_DEP_1)
	v_or_b32_e32 v7, v15, v7
	v_cndmask_b32_e32 v7, v13, v7, vcc_lo
	s_delay_alu instid0(VALU_DEP_1) | instskip(NEXT) | instid1(VALU_DEP_1)
	v_dual_lshrrev_b32 v7, 2, v7 :: v_dual_bitop2_b32 v13, 7, v7 bitop3:0x40
	v_cmp_lt_i32_e32 vcc_lo, 5, v13
	v_cndmask_b32_e64 v15, 0, 1, vcc_lo
	v_cmp_eq_u32_e32 vcc_lo, 3, v13
	v_cndmask_b32_e64 v13, 0, 1, vcc_lo
	v_cmp_ne_u32_e32 vcc_lo, 0, v5
	s_delay_alu instid0(VALU_DEP_2) | instskip(SKIP_1) | instid1(VALU_DEP_2)
	v_or_b32_e32 v13, v13, v15
	v_mov_b32_e32 v15, 0x7e00
	v_add_nc_u32_e32 v7, v7, v13
	s_delay_alu instid0(VALU_DEP_2) | instskip(SKIP_1) | instid1(VALU_DEP_3)
	v_cndmask_b32_e32 v5, 0x7c00, v15, vcc_lo
	v_cmp_gt_i32_e32 vcc_lo, 31, v10
	v_cndmask_b32_e32 v7, 0x7c00, v7, vcc_lo
	v_cmp_eq_u32_e32 vcc_lo, 0x40f, v10
	s_delay_alu instid0(VALU_DEP_2) | instskip(NEXT) | instid1(VALU_DEP_1)
	v_dual_cndmask_b32 v5, v7, v5, vcc_lo :: v_dual_lshrrev_b32 v7, 16, v11
	v_and_or_b32 v10, 0x8000, v7, v5
	s_branch .LBB183_2819
.LBB183_2817:
	s_mov_b32 s0, -1
                                        ; implicit-def: $vgpr10
	s_branch .LBB183_2822
.LBB183_2818:
	s_mov_b32 s0, -1
                                        ; implicit-def: $vgpr10
.LBB183_2819:
	s_delay_alu instid0(SALU_CYCLE_1)
	s_and_not1_b32 vcc_lo, exec_lo, s0
	s_cbranch_vccnz .LBB183_2821
; %bb.2820:
	global_load_b32 v5, v[8:9], off
	s_wait_loadcnt 0x0
	s_wait_xcnt 0x1
	v_cvt_f16_f32_e32 v10, v5
.LBB183_2821:
	s_mov_b32 s0, 0
.LBB183_2822:
	s_delay_alu instid0(SALU_CYCLE_1)
	s_and_not1_b32 vcc_lo, exec_lo, s0
	s_cbranch_vccnz .LBB183_2824
; %bb.2823:
	s_wait_loadcnt 0x0
	global_load_u16 v10, v[8:9], off
.LBB183_2824:
	s_mov_b32 s0, 0
.LBB183_2825:
	s_delay_alu instid0(SALU_CYCLE_1)
	s_and_not1_b32 vcc_lo, exec_lo, s0
	s_cbranch_vccnz .LBB183_2845
; %bb.2826:
	s_cmp_lt_i32 s10, 2
	s_cbranch_scc1 .LBB183_2830
; %bb.2827:
	s_cmp_lt_i32 s10, 3
	s_cbranch_scc1 .LBB183_2831
; %bb.2828:
	s_cmp_gt_i32 s10, 3
	s_cbranch_scc0 .LBB183_2832
; %bb.2829:
	s_wait_loadcnt 0x0
	global_load_b64 v[10:11], v[8:9], off
	s_mov_b32 s0, 0
	s_wait_loadcnt 0x0
	v_xor_b32_e32 v5, v10, v11
	v_cls_i32_e32 v7, v11
	s_delay_alu instid0(VALU_DEP_2) | instskip(NEXT) | instid1(VALU_DEP_1)
	v_ashrrev_i32_e32 v5, 31, v5
	v_add_nc_u32_e32 v5, 32, v5
	s_delay_alu instid0(VALU_DEP_1) | instskip(NEXT) | instid1(VALU_DEP_1)
	v_add_min_u32_e64 v5, v7, -1, v5
	v_lshlrev_b64_e32 v[10:11], v5, v[10:11]
	v_sub_nc_u32_e32 v5, 32, v5
	s_delay_alu instid0(VALU_DEP_2) | instskip(NEXT) | instid1(VALU_DEP_1)
	v_min_u32_e32 v7, 1, v10
	v_or_b32_e32 v7, v11, v7
	s_delay_alu instid0(VALU_DEP_1) | instskip(NEXT) | instid1(VALU_DEP_1)
	v_cvt_f32_i32_e32 v7, v7
	v_ldexp_f32 v5, v7, v5
	s_delay_alu instid0(VALU_DEP_1)
	v_cvt_f16_f32_e32 v10, v5
	s_branch .LBB183_2833
.LBB183_2830:
	s_mov_b32 s0, -1
                                        ; implicit-def: $vgpr10
	s_branch .LBB183_2839
.LBB183_2831:
	s_mov_b32 s0, -1
                                        ; implicit-def: $vgpr10
	s_branch .LBB183_2836
.LBB183_2832:
	s_mov_b32 s0, -1
                                        ; implicit-def: $vgpr10
.LBB183_2833:
	s_delay_alu instid0(SALU_CYCLE_1)
	s_and_not1_b32 vcc_lo, exec_lo, s0
	s_cbranch_vccnz .LBB183_2835
; %bb.2834:
	global_load_b32 v5, v[8:9], off
	s_wait_loadcnt 0x0
	v_cvt_f32_i32_e32 v5, v5
	s_wait_xcnt 0x1
	s_delay_alu instid0(VALU_DEP_1)
	v_cvt_f16_f32_e32 v10, v5
.LBB183_2835:
	s_mov_b32 s0, 0
.LBB183_2836:
	s_delay_alu instid0(SALU_CYCLE_1)
	s_and_not1_b32 vcc_lo, exec_lo, s0
	s_cbranch_vccnz .LBB183_2838
; %bb.2837:
	global_load_u16 v5, v[8:9], off
	s_wait_loadcnt 0x0
	s_wait_xcnt 0x1
	v_cvt_f16_i16_e32 v10, v5
.LBB183_2838:
	s_mov_b32 s0, 0
.LBB183_2839:
	s_delay_alu instid0(SALU_CYCLE_1)
	s_and_not1_b32 vcc_lo, exec_lo, s0
	s_cbranch_vccnz .LBB183_2845
; %bb.2840:
	s_cmp_gt_i32 s10, 0
	s_mov_b32 s0, 0
	s_cbranch_scc0 .LBB183_2842
; %bb.2841:
	global_load_i8 v5, v[8:9], off
	s_wait_loadcnt 0x0
	s_wait_xcnt 0x1
	v_cvt_f16_i16_e32 v10, v5
	s_branch .LBB183_2843
.LBB183_2842:
	s_mov_b32 s0, -1
                                        ; implicit-def: $vgpr10
.LBB183_2843:
	s_delay_alu instid0(SALU_CYCLE_1)
	s_and_not1_b32 vcc_lo, exec_lo, s0
	s_cbranch_vccnz .LBB183_2845
; %bb.2844:
	global_load_u8 v5, v[8:9], off
	s_wait_loadcnt 0x0
	s_wait_xcnt 0x1
	v_cvt_f16_u16_e32 v10, v5
.LBB183_2845:
	s_mov_b32 s4, -1
.LBB183_2846:
	s_delay_alu instid0(SALU_CYCLE_1)
	s_and_not1_b32 vcc_lo, exec_lo, s4
	s_cbranch_vccnz .LBB183_3280
; %bb.2847:
	v_mov_b32_e32 v7, 0
	s_clause 0x1
	s_load_b32 s9, s[2:3], 0x1e8
	s_load_b64 s[4:5], s[2:3], 0x1c8
	global_load_u8 v5, v7, s[2:3] offset:490
	s_wait_kmcnt 0x0
	v_mul_f16_e32 v1, s9, v1
	s_wait_xcnt 0x0
	v_add_nc_u64_e32 v[6:7], s[4:5], v[6:7]
	s_wait_loadcnt 0x1
	s_delay_alu instid0(VALU_DEP_2) | instskip(SKIP_3) | instid1(VALU_DEP_2)
	v_mul_f16_e32 v1, v1, v3
	s_wait_loadcnt 0x0
	v_and_b32_e32 v8, 0xffff, v5
	v_readfirstlane_b32 s1, v5
	v_cmp_gt_i32_e32 vcc_lo, 11, v8
	s_cbranch_vccnz .LBB183_2925
; %bb.2848:
	s_and_b32 s2, 0xffff, s1
	s_mov_b32 s11, -1
	s_mov_b32 s3, 0
	s_cmp_gt_i32 s2, 25
	s_mov_b32 s10, 0
	s_mov_b32 s0, 0
	s_cbranch_scc0 .LBB183_2881
; %bb.2849:
	s_cmp_gt_i32 s2, 28
	s_cbranch_scc0 .LBB183_2864
; %bb.2850:
	s_cmp_gt_i32 s2, 43
	;; [unrolled: 3-line block ×3, first 2 shown]
	s_cbranch_scc0 .LBB183_2854
; %bb.2852:
	s_mov_b32 s0, -1
	s_mov_b32 s11, 0
	s_cmp_eq_u32 s2, 46
	s_cbranch_scc0 .LBB183_2854
; %bb.2853:
	v_cvt_f32_f16_e32 v3, v1
	v_cmp_o_f16_e32 vcc_lo, v1, v1
	s_mov_b32 s0, 0
	s_mov_b32 s10, -1
	s_delay_alu instid0(VALU_DEP_2) | instskip(NEXT) | instid1(VALU_DEP_1)
	v_bfe_u32 v5, v3, 16, 1
	v_add3_u32 v3, v3, v5, 0x7fff
	s_delay_alu instid0(VALU_DEP_1) | instskip(NEXT) | instid1(VALU_DEP_1)
	v_lshrrev_b32_e32 v3, 16, v3
	v_cndmask_b32_e32 v3, 0x7fc0, v3, vcc_lo
	global_store_b32 v[6:7], v3, off
.LBB183_2854:
	s_and_b32 vcc_lo, exec_lo, s11
	s_cbranch_vccz .LBB183_2859
; %bb.2855:
	s_cmp_eq_u32 s2, 44
	s_mov_b32 s0, -1
	s_cbranch_scc0 .LBB183_2859
; %bb.2856:
	s_wait_xcnt 0x0
	v_cvt_f32_f16_e32 v3, v1
	v_mov_b32_e32 v5, 0xff
	s_mov_b32 s10, exec_lo
	s_delay_alu instid0(VALU_DEP_2) | instskip(NEXT) | instid1(VALU_DEP_1)
	v_bfe_u32 v8, v3, 23, 8
	v_cmpx_ne_u32_e32 0xff, v8
	s_cbranch_execz .LBB183_2858
; %bb.2857:
	v_and_b32_e32 v5, 0x400000, v3
	v_and_or_b32 v8, 0x3fffff, v3, v8
	v_lshrrev_b32_e32 v3, 23, v3
	s_delay_alu instid0(VALU_DEP_3) | instskip(NEXT) | instid1(VALU_DEP_3)
	v_cmp_ne_u32_e32 vcc_lo, 0, v5
	v_cmp_ne_u32_e64 s0, 0, v8
	s_and_b32 s0, vcc_lo, s0
	s_delay_alu instid0(SALU_CYCLE_1) | instskip(NEXT) | instid1(VALU_DEP_1)
	v_cndmask_b32_e64 v5, 0, 1, s0
	v_add_nc_u32_e32 v5, v3, v5
.LBB183_2858:
	s_or_b32 exec_lo, exec_lo, s10
	s_mov_b32 s0, 0
	s_mov_b32 s10, -1
	global_store_b8 v[6:7], v5, off
.LBB183_2859:
	s_mov_b32 s11, 0
.LBB183_2860:
	s_delay_alu instid0(SALU_CYCLE_1)
	s_and_b32 vcc_lo, exec_lo, s11
	s_cbranch_vccz .LBB183_2863
; %bb.2861:
	s_cmp_eq_u32 s2, 29
	s_mov_b32 s0, -1
	s_cbranch_scc0 .LBB183_2863
; %bb.2862:
	s_wait_xcnt 0x0
	v_cvt_f32_f16_e32 v3, v1
	v_mov_b32_e32 v9, 0
	s_mov_b32 s0, 0
	s_mov_b32 s10, -1
	s_delay_alu instid0(VALU_DEP_2)
	v_cvt_u32_f32_e32 v8, v3
	global_store_b64 v[6:7], v[8:9], off
.LBB183_2863:
	s_mov_b32 s11, 0
.LBB183_2864:
	s_delay_alu instid0(SALU_CYCLE_1)
	s_and_b32 vcc_lo, exec_lo, s11
	s_cbranch_vccz .LBB183_2880
; %bb.2865:
	s_cmp_lt_i32 s2, 27
	s_mov_b32 s10, -1
	s_cbranch_scc1 .LBB183_2871
; %bb.2866:
	s_cmp_gt_i32 s2, 27
	s_cbranch_scc0 .LBB183_2868
; %bb.2867:
	s_wait_xcnt 0x0
	v_cvt_f32_f16_e32 v3, v1
	s_mov_b32 s10, 0
	s_delay_alu instid0(VALU_DEP_1)
	v_cvt_u32_f32_e32 v3, v3
	global_store_b32 v[6:7], v3, off
.LBB183_2868:
	s_and_not1_b32 vcc_lo, exec_lo, s10
	s_cbranch_vccnz .LBB183_2870
; %bb.2869:
	s_wait_xcnt 0x0
	v_cvt_u16_f16_e32 v3, v1
	global_store_b16 v[6:7], v3, off
.LBB183_2870:
	s_mov_b32 s10, 0
.LBB183_2871:
	s_delay_alu instid0(SALU_CYCLE_1)
	s_and_not1_b32 vcc_lo, exec_lo, s10
	s_cbranch_vccnz .LBB183_2879
; %bb.2872:
	s_wait_xcnt 0x0
	v_cvt_f32_f16_e32 v3, v1
	v_mov_b32_e32 v8, 0x80
	s_mov_b32 s10, exec_lo
	s_delay_alu instid0(VALU_DEP_2) | instskip(NEXT) | instid1(VALU_DEP_1)
	v_and_b32_e32 v5, 0x7fffffff, v3
	v_cmpx_gt_u32_e32 0x43800000, v5
	s_cbranch_execz .LBB183_2878
; %bb.2873:
	v_cmp_lt_u32_e32 vcc_lo, 0x3bffffff, v5
	s_mov_b32 s11, 0
                                        ; implicit-def: $vgpr5
	s_and_saveexec_b32 s12, vcc_lo
	s_delay_alu instid0(SALU_CYCLE_1)
	s_xor_b32 s12, exec_lo, s12
	s_cbranch_execz .LBB183_3327
; %bb.2874:
	v_bfe_u32 v5, v3, 20, 1
	s_mov_b32 s11, exec_lo
	s_delay_alu instid0(VALU_DEP_1) | instskip(NEXT) | instid1(VALU_DEP_1)
	v_add3_u32 v5, v3, v5, 0x487ffff
	v_lshrrev_b32_e32 v5, 20, v5
	s_and_not1_saveexec_b32 s12, s12
	s_cbranch_execnz .LBB183_3328
.LBB183_2875:
	s_or_b32 exec_lo, exec_lo, s12
	v_mov_b32_e32 v8, 0
	s_and_saveexec_b32 s12, s11
.LBB183_2876:
	v_lshrrev_b32_e32 v3, 24, v3
	s_delay_alu instid0(VALU_DEP_1)
	v_and_or_b32 v8, 0x80, v3, v5
.LBB183_2877:
	s_or_b32 exec_lo, exec_lo, s12
.LBB183_2878:
	s_delay_alu instid0(SALU_CYCLE_1)
	s_or_b32 exec_lo, exec_lo, s10
	global_store_b8 v[6:7], v8, off
.LBB183_2879:
	s_mov_b32 s10, -1
.LBB183_2880:
	s_mov_b32 s11, 0
.LBB183_2881:
	s_delay_alu instid0(SALU_CYCLE_1)
	s_and_b32 vcc_lo, exec_lo, s11
	s_cbranch_vccz .LBB183_2921
; %bb.2882:
	s_cmp_gt_i32 s2, 22
	s_mov_b32 s3, -1
	s_cbranch_scc0 .LBB183_2914
; %bb.2883:
	s_cmp_lt_i32 s2, 24
	s_cbranch_scc1 .LBB183_2903
; %bb.2884:
	s_cmp_gt_i32 s2, 24
	s_cbranch_scc0 .LBB183_2892
; %bb.2885:
	s_wait_xcnt 0x0
	v_cvt_f32_f16_e32 v3, v1
	v_mov_b32_e32 v8, 0x80
	s_mov_b32 s3, exec_lo
	s_delay_alu instid0(VALU_DEP_2) | instskip(NEXT) | instid1(VALU_DEP_1)
	v_and_b32_e32 v5, 0x7fffffff, v3
	v_cmpx_gt_u32_e32 0x47800000, v5
	s_cbranch_execz .LBB183_2891
; %bb.2886:
	v_cmp_lt_u32_e32 vcc_lo, 0x37ffffff, v5
	s_mov_b32 s10, 0
                                        ; implicit-def: $vgpr5
	s_and_saveexec_b32 s11, vcc_lo
	s_delay_alu instid0(SALU_CYCLE_1)
	s_xor_b32 s11, exec_lo, s11
	s_cbranch_execz .LBB183_3330
; %bb.2887:
	v_bfe_u32 v5, v3, 21, 1
	s_mov_b32 s10, exec_lo
	s_delay_alu instid0(VALU_DEP_1) | instskip(NEXT) | instid1(VALU_DEP_1)
	v_add3_u32 v5, v3, v5, 0x88fffff
	v_lshrrev_b32_e32 v5, 21, v5
	s_and_not1_saveexec_b32 s11, s11
	s_cbranch_execnz .LBB183_3331
.LBB183_2888:
	s_or_b32 exec_lo, exec_lo, s11
	v_mov_b32_e32 v8, 0
	s_and_saveexec_b32 s11, s10
.LBB183_2889:
	v_lshrrev_b32_e32 v3, 24, v3
	s_delay_alu instid0(VALU_DEP_1)
	v_and_or_b32 v8, 0x80, v3, v5
.LBB183_2890:
	s_or_b32 exec_lo, exec_lo, s11
.LBB183_2891:
	s_delay_alu instid0(SALU_CYCLE_1)
	s_or_b32 exec_lo, exec_lo, s3
	s_mov_b32 s3, 0
	global_store_b8 v[6:7], v8, off
.LBB183_2892:
	s_and_b32 vcc_lo, exec_lo, s3
	s_cbranch_vccz .LBB183_2902
; %bb.2893:
	s_wait_xcnt 0x0
	v_cvt_f32_f16_e32 v3, v1
	s_mov_b32 s3, exec_lo
                                        ; implicit-def: $vgpr5
	s_delay_alu instid0(VALU_DEP_1) | instskip(NEXT) | instid1(VALU_DEP_1)
	v_and_b32_e32 v8, 0x7fffffff, v3
	v_cmpx_gt_u32_e32 0x43f00000, v8
	s_xor_b32 s3, exec_lo, s3
	s_cbranch_execz .LBB183_2899
; %bb.2894:
	s_mov_b32 s10, exec_lo
                                        ; implicit-def: $vgpr5
	v_cmpx_lt_u32_e32 0x3c7fffff, v8
	s_xor_b32 s10, exec_lo, s10
; %bb.2895:
	v_bfe_u32 v5, v3, 20, 1
	s_delay_alu instid0(VALU_DEP_1) | instskip(NEXT) | instid1(VALU_DEP_1)
	v_add3_u32 v5, v3, v5, 0x407ffff
	v_and_b32_e32 v8, 0xff00000, v5
	v_lshrrev_b32_e32 v5, 20, v5
	s_delay_alu instid0(VALU_DEP_2) | instskip(NEXT) | instid1(VALU_DEP_2)
	v_cmp_ne_u32_e32 vcc_lo, 0x7f00000, v8
	v_cndmask_b32_e32 v5, 0x7e, v5, vcc_lo
; %bb.2896:
	s_and_not1_saveexec_b32 s10, s10
; %bb.2897:
	v_add_f32_e64 v5, 0x46800000, |v3|
; %bb.2898:
	s_or_b32 exec_lo, exec_lo, s10
                                        ; implicit-def: $vgpr8
.LBB183_2899:
	s_and_not1_saveexec_b32 s3, s3
; %bb.2900:
	v_mov_b32_e32 v5, 0x7f
	v_cmp_lt_u32_e32 vcc_lo, 0x7f800000, v8
	s_delay_alu instid0(VALU_DEP_2)
	v_cndmask_b32_e32 v5, 0x7e, v5, vcc_lo
; %bb.2901:
	s_or_b32 exec_lo, exec_lo, s3
	v_lshrrev_b32_e32 v3, 24, v3
	s_delay_alu instid0(VALU_DEP_1)
	v_and_or_b32 v3, 0x80, v3, v5
	global_store_b8 v[6:7], v3, off
.LBB183_2902:
	s_mov_b32 s3, 0
.LBB183_2903:
	s_delay_alu instid0(SALU_CYCLE_1)
	s_and_not1_b32 vcc_lo, exec_lo, s3
	s_cbranch_vccnz .LBB183_2913
; %bb.2904:
	s_wait_xcnt 0x0
	v_cvt_f32_f16_e32 v3, v1
	s_mov_b32 s3, exec_lo
                                        ; implicit-def: $vgpr5
	s_delay_alu instid0(VALU_DEP_1) | instskip(NEXT) | instid1(VALU_DEP_1)
	v_and_b32_e32 v8, 0x7fffffff, v3
	v_cmpx_gt_u32_e32 0x47800000, v8
	s_xor_b32 s3, exec_lo, s3
	s_cbranch_execz .LBB183_2910
; %bb.2905:
	s_mov_b32 s10, exec_lo
                                        ; implicit-def: $vgpr5
	v_cmpx_lt_u32_e32 0x387fffff, v8
	s_xor_b32 s10, exec_lo, s10
; %bb.2906:
	v_bfe_u32 v5, v3, 21, 1
	s_delay_alu instid0(VALU_DEP_1) | instskip(NEXT) | instid1(VALU_DEP_1)
	v_add3_u32 v5, v3, v5, 0x80fffff
	v_lshrrev_b32_e32 v5, 21, v5
; %bb.2907:
	s_and_not1_saveexec_b32 s10, s10
; %bb.2908:
	v_add_f32_e64 v5, 0x43000000, |v3|
; %bb.2909:
	s_or_b32 exec_lo, exec_lo, s10
                                        ; implicit-def: $vgpr8
.LBB183_2910:
	s_and_not1_saveexec_b32 s3, s3
; %bb.2911:
	v_mov_b32_e32 v5, 0x7f
	v_cmp_lt_u32_e32 vcc_lo, 0x7f800000, v8
	s_delay_alu instid0(VALU_DEP_2)
	v_cndmask_b32_e32 v5, 0x7c, v5, vcc_lo
; %bb.2912:
	s_or_b32 exec_lo, exec_lo, s3
	v_lshrrev_b32_e32 v3, 24, v3
	s_delay_alu instid0(VALU_DEP_1)
	v_and_or_b32 v3, 0x80, v3, v5
	global_store_b8 v[6:7], v3, off
.LBB183_2913:
	s_mov_b32 s3, 0
	s_mov_b32 s10, -1
.LBB183_2914:
	s_and_not1_b32 vcc_lo, exec_lo, s3
	s_mov_b32 s3, 0
	s_cbranch_vccnz .LBB183_2921
; %bb.2915:
	s_cmp_gt_i32 s2, 14
	s_mov_b32 s3, -1
	s_cbranch_scc0 .LBB183_2919
; %bb.2916:
	s_cmp_eq_u32 s2, 15
	s_mov_b32 s0, -1
	s_cbranch_scc0 .LBB183_2918
; %bb.2917:
	s_wait_xcnt 0x0
	v_cvt_f32_f16_e32 v3, v1
	v_cmp_o_f16_e32 vcc_lo, v1, v1
	s_mov_b32 s0, 0
	s_mov_b32 s10, -1
	s_delay_alu instid0(VALU_DEP_2) | instskip(NEXT) | instid1(VALU_DEP_1)
	v_bfe_u32 v5, v3, 16, 1
	v_add3_u32 v3, v3, v5, 0x7fff
	s_delay_alu instid0(VALU_DEP_1) | instskip(NEXT) | instid1(VALU_DEP_1)
	v_lshrrev_b32_e32 v3, 16, v3
	v_cndmask_b32_e32 v3, 0x7fc0, v3, vcc_lo
	global_store_b16 v[6:7], v3, off
.LBB183_2918:
	s_mov_b32 s3, 0
.LBB183_2919:
	s_delay_alu instid0(SALU_CYCLE_1)
	s_and_b32 vcc_lo, exec_lo, s3
	s_mov_b32 s3, 0
	s_cbranch_vccz .LBB183_2921
; %bb.2920:
	s_cmp_lg_u32 s2, 11
	s_mov_b32 s3, -1
	s_cselect_b32 s0, -1, 0
.LBB183_2921:
	s_delay_alu instid0(SALU_CYCLE_1)
	s_and_b32 vcc_lo, exec_lo, s0
	s_cbranch_vccnz .LBB183_3329
; %bb.2922:
	s_and_not1_b32 vcc_lo, exec_lo, s3
	s_cbranch_vccnz .LBB183_2924
.LBB183_2923:
	v_cmp_neq_f16_e32 vcc_lo, 0, v1
	s_mov_b32 s10, -1
	s_wait_xcnt 0x0
	v_cndmask_b32_e64 v3, 0, 1, vcc_lo
	global_store_b8 v[6:7], v3, off
.LBB183_2924:
	s_mov_b32 s0, 0
	s_branch .LBB183_2926
.LBB183_2925:
	s_mov_b32 s0, -1
	s_mov_b32 s10, 0
.LBB183_2926:
	s_and_b32 vcc_lo, exec_lo, s0
	s_cbranch_vccz .LBB183_2965
; %bb.2927:
	s_and_b32 s0, 0xffff, s1
	s_mov_b32 s2, -1
	s_cmp_lt_i32 s0, 5
	s_cbranch_scc1 .LBB183_2948
; %bb.2928:
	s_cmp_lt_i32 s0, 8
	s_cbranch_scc1 .LBB183_2938
; %bb.2929:
	s_cmp_lt_i32 s0, 9
	s_cbranch_scc1 .LBB183_2935
; %bb.2930:
	s_cmp_gt_i32 s0, 9
	s_cbranch_scc0 .LBB183_2932
; %bb.2931:
	s_wait_xcnt 0x0
	v_cvt_f32_f16_e32 v3, v1
	v_mov_b32_e32 v24, 0
	s_mov_b32 s2, 0
	s_delay_alu instid0(VALU_DEP_2) | instskip(NEXT) | instid1(VALU_DEP_2)
	v_cvt_f64_f32_e32 v[22:23], v3
	v_mov_b32_e32 v25, v24
	global_store_b128 v[6:7], v[22:25], off
.LBB183_2932:
	s_and_not1_b32 vcc_lo, exec_lo, s2
	s_cbranch_vccnz .LBB183_2934
; %bb.2933:
	s_wait_xcnt 0x0
	v_cvt_f32_f16_e32 v8, v1
	v_mov_b32_e32 v9, 0
	global_store_b64 v[6:7], v[8:9], off
.LBB183_2934:
	s_mov_b32 s2, 0
.LBB183_2935:
	s_delay_alu instid0(SALU_CYCLE_1)
	s_and_not1_b32 vcc_lo, exec_lo, s2
	s_cbranch_vccnz .LBB183_2937
; %bb.2936:
	s_wait_xcnt 0x0
	v_and_b32_e32 v3, 0xffff, v1
	global_store_b32 v[6:7], v3, off
.LBB183_2937:
	s_mov_b32 s2, 0
.LBB183_2938:
	s_delay_alu instid0(SALU_CYCLE_1)
	s_and_not1_b32 vcc_lo, exec_lo, s2
	s_cbranch_vccnz .LBB183_2947
; %bb.2939:
	s_cmp_lt_i32 s0, 6
	s_mov_b32 s2, -1
	s_cbranch_scc1 .LBB183_2945
; %bb.2940:
	s_cmp_gt_i32 s0, 6
	s_cbranch_scc0 .LBB183_2942
; %bb.2941:
	s_wait_xcnt 0x0
	v_cvt_f32_f16_e32 v3, v1
	s_mov_b32 s2, 0
	s_delay_alu instid0(VALU_DEP_1)
	v_cvt_f64_f32_e32 v[8:9], v3
	global_store_b64 v[6:7], v[8:9], off
.LBB183_2942:
	s_and_not1_b32 vcc_lo, exec_lo, s2
	s_cbranch_vccnz .LBB183_2944
; %bb.2943:
	s_wait_xcnt 0x0
	v_cvt_f32_f16_e32 v3, v1
	global_store_b32 v[6:7], v3, off
.LBB183_2944:
	s_mov_b32 s2, 0
.LBB183_2945:
	s_delay_alu instid0(SALU_CYCLE_1)
	s_and_not1_b32 vcc_lo, exec_lo, s2
	s_cbranch_vccnz .LBB183_2947
; %bb.2946:
	global_store_b16 v[6:7], v1, off
.LBB183_2947:
	s_mov_b32 s2, 0
.LBB183_2948:
	s_delay_alu instid0(SALU_CYCLE_1)
	s_and_not1_b32 vcc_lo, exec_lo, s2
	s_cbranch_vccnz .LBB183_2964
; %bb.2949:
	s_cmp_lt_i32 s0, 2
	s_mov_b32 s2, -1
	s_cbranch_scc1 .LBB183_2959
; %bb.2950:
	s_cmp_lt_i32 s0, 3
	s_cbranch_scc1 .LBB183_2956
; %bb.2951:
	s_cmp_gt_i32 s0, 3
	s_cbranch_scc0 .LBB183_2953
; %bb.2952:
	s_wait_xcnt 0x0
	v_cvt_f32_f16_e32 v3, v1
	s_mov_b32 s2, 0
	s_delay_alu instid0(VALU_DEP_1) | instskip(NEXT) | instid1(VALU_DEP_1)
	v_cvt_i32_f32_e32 v8, v3
	v_ashrrev_i32_e32 v9, 31, v8
	global_store_b64 v[6:7], v[8:9], off
.LBB183_2953:
	s_and_not1_b32 vcc_lo, exec_lo, s2
	s_cbranch_vccnz .LBB183_2955
; %bb.2954:
	s_wait_xcnt 0x0
	v_cvt_f32_f16_e32 v3, v1
	s_delay_alu instid0(VALU_DEP_1)
	v_cvt_i32_f32_e32 v3, v3
	global_store_b32 v[6:7], v3, off
.LBB183_2955:
	s_mov_b32 s2, 0
.LBB183_2956:
	s_delay_alu instid0(SALU_CYCLE_1)
	s_and_not1_b32 vcc_lo, exec_lo, s2
	s_cbranch_vccnz .LBB183_2958
; %bb.2957:
	s_wait_xcnt 0x0
	v_cvt_i16_f16_e32 v3, v1
	global_store_b16 v[6:7], v3, off
.LBB183_2958:
	s_mov_b32 s2, 0
.LBB183_2959:
	s_delay_alu instid0(SALU_CYCLE_1)
	s_and_not1_b32 vcc_lo, exec_lo, s2
	s_cbranch_vccnz .LBB183_2964
; %bb.2960:
	s_cmp_gt_i32 s0, 0
	s_mov_b32 s0, -1
	s_cbranch_scc0 .LBB183_2962
; %bb.2961:
	s_wait_xcnt 0x0
	v_cvt_i16_f16_e32 v3, v1
	s_mov_b32 s0, 0
	global_store_b8 v[6:7], v3, off
.LBB183_2962:
	s_and_not1_b32 vcc_lo, exec_lo, s0
	s_cbranch_vccnz .LBB183_2964
; %bb.2963:
	s_wait_xcnt 0x0
	v_cvt_f32_f16_e32 v1, v1
	s_delay_alu instid0(VALU_DEP_1)
	v_cvt_i32_f32_e32 v1, v1
	global_store_b8 v[6:7], v1, off
.LBB183_2964:
	s_mov_b32 s10, -1
.LBB183_2965:
	s_delay_alu instid0(SALU_CYCLE_1)
	s_and_not1_b32 vcc_lo, exec_lo, s10
	s_cbranch_vccnz .LBB183_3280
; %bb.2966:
	s_wait_xcnt 0x0
	v_mov_b32_e32 v5, 0
	v_mul_f16_e32 v1, s9, v20
	s_and_b32 s2, 0xffff, s1
	s_delay_alu instid0(SALU_CYCLE_1) | instskip(NEXT) | instid1(VALU_DEP_2)
	s_cmp_lt_i32 s2, 11
	v_add_nc_u64_e32 v[4:5], s[4:5], v[4:5]
	s_delay_alu instid0(VALU_DEP_2)
	v_mul_f16_e32 v1, v1, v18
	s_cbranch_scc1 .LBB183_3044
; %bb.2967:
	s_mov_b32 s11, -1
	s_mov_b32 s3, 0
	s_cmp_gt_i32 s2, 25
	s_mov_b32 s10, 0
	s_mov_b32 s0, 0
	s_cbranch_scc0 .LBB183_3000
; %bb.2968:
	s_cmp_gt_i32 s2, 28
	s_cbranch_scc0 .LBB183_2983
; %bb.2969:
	s_cmp_gt_i32 s2, 43
	;; [unrolled: 3-line block ×3, first 2 shown]
	s_cbranch_scc0 .LBB183_2973
; %bb.2971:
	s_mov_b32 s0, -1
	s_mov_b32 s11, 0
	s_cmp_eq_u32 s2, 46
	s_cbranch_scc0 .LBB183_2973
; %bb.2972:
	v_cvt_f32_f16_e32 v3, v1
	v_cmp_o_f16_e32 vcc_lo, v1, v1
	s_mov_b32 s0, 0
	s_mov_b32 s10, -1
	s_delay_alu instid0(VALU_DEP_2) | instskip(NEXT) | instid1(VALU_DEP_1)
	v_bfe_u32 v6, v3, 16, 1
	v_add3_u32 v3, v3, v6, 0x7fff
	s_delay_alu instid0(VALU_DEP_1) | instskip(NEXT) | instid1(VALU_DEP_1)
	v_lshrrev_b32_e32 v3, 16, v3
	v_cndmask_b32_e32 v3, 0x7fc0, v3, vcc_lo
	global_store_b32 v[4:5], v3, off
.LBB183_2973:
	s_and_b32 vcc_lo, exec_lo, s11
	s_cbranch_vccz .LBB183_2978
; %bb.2974:
	s_cmp_eq_u32 s2, 44
	s_mov_b32 s0, -1
	s_cbranch_scc0 .LBB183_2978
; %bb.2975:
	s_wait_xcnt 0x0
	v_cvt_f32_f16_e32 v3, v1
	v_mov_b32_e32 v6, 0xff
	s_mov_b32 s10, exec_lo
	s_delay_alu instid0(VALU_DEP_2) | instskip(NEXT) | instid1(VALU_DEP_1)
	v_bfe_u32 v7, v3, 23, 8
	v_cmpx_ne_u32_e32 0xff, v7
	s_cbranch_execz .LBB183_2977
; %bb.2976:
	v_and_b32_e32 v6, 0x400000, v3
	v_and_or_b32 v7, 0x3fffff, v3, v7
	v_lshrrev_b32_e32 v3, 23, v3
	s_delay_alu instid0(VALU_DEP_3) | instskip(NEXT) | instid1(VALU_DEP_3)
	v_cmp_ne_u32_e32 vcc_lo, 0, v6
	v_cmp_ne_u32_e64 s0, 0, v7
	s_and_b32 s0, vcc_lo, s0
	s_delay_alu instid0(SALU_CYCLE_1) | instskip(NEXT) | instid1(VALU_DEP_1)
	v_cndmask_b32_e64 v6, 0, 1, s0
	v_add_nc_u32_e32 v6, v3, v6
.LBB183_2977:
	s_or_b32 exec_lo, exec_lo, s10
	s_mov_b32 s0, 0
	s_mov_b32 s10, -1
	global_store_b8 v[4:5], v6, off
.LBB183_2978:
	s_mov_b32 s11, 0
.LBB183_2979:
	s_delay_alu instid0(SALU_CYCLE_1)
	s_and_b32 vcc_lo, exec_lo, s11
	s_cbranch_vccz .LBB183_2982
; %bb.2980:
	s_cmp_eq_u32 s2, 29
	s_mov_b32 s0, -1
	s_cbranch_scc0 .LBB183_2982
; %bb.2981:
	s_wait_xcnt 0x0
	v_cvt_f32_f16_e32 v3, v1
	v_mov_b32_e32 v7, 0
	s_mov_b32 s0, 0
	s_mov_b32 s10, -1
	s_delay_alu instid0(VALU_DEP_2)
	v_cvt_u32_f32_e32 v6, v3
	global_store_b64 v[4:5], v[6:7], off
.LBB183_2982:
	s_mov_b32 s11, 0
.LBB183_2983:
	s_delay_alu instid0(SALU_CYCLE_1)
	s_and_b32 vcc_lo, exec_lo, s11
	s_cbranch_vccz .LBB183_2999
; %bb.2984:
	s_cmp_lt_i32 s2, 27
	s_mov_b32 s10, -1
	s_cbranch_scc1 .LBB183_2990
; %bb.2985:
	s_cmp_gt_i32 s2, 27
	s_cbranch_scc0 .LBB183_2987
; %bb.2986:
	s_wait_xcnt 0x0
	v_cvt_f32_f16_e32 v3, v1
	s_mov_b32 s10, 0
	s_delay_alu instid0(VALU_DEP_1)
	v_cvt_u32_f32_e32 v3, v3
	global_store_b32 v[4:5], v3, off
.LBB183_2987:
	s_and_not1_b32 vcc_lo, exec_lo, s10
	s_cbranch_vccnz .LBB183_2989
; %bb.2988:
	s_wait_xcnt 0x0
	v_cvt_u16_f16_e32 v3, v1
	global_store_b16 v[4:5], v3, off
.LBB183_2989:
	s_mov_b32 s10, 0
.LBB183_2990:
	s_delay_alu instid0(SALU_CYCLE_1)
	s_and_not1_b32 vcc_lo, exec_lo, s10
	s_cbranch_vccnz .LBB183_2998
; %bb.2991:
	s_wait_xcnt 0x0
	v_cvt_f32_f16_e32 v3, v1
	v_mov_b32_e32 v7, 0x80
	s_mov_b32 s10, exec_lo
	s_delay_alu instid0(VALU_DEP_2) | instskip(NEXT) | instid1(VALU_DEP_1)
	v_and_b32_e32 v6, 0x7fffffff, v3
	v_cmpx_gt_u32_e32 0x43800000, v6
	s_cbranch_execz .LBB183_2997
; %bb.2992:
	v_cmp_lt_u32_e32 vcc_lo, 0x3bffffff, v6
	s_mov_b32 s11, 0
                                        ; implicit-def: $vgpr6
	s_and_saveexec_b32 s12, vcc_lo
	s_delay_alu instid0(SALU_CYCLE_1)
	s_xor_b32 s12, exec_lo, s12
	s_cbranch_execz .LBB183_3332
; %bb.2993:
	v_bfe_u32 v6, v3, 20, 1
	s_mov_b32 s11, exec_lo
	s_delay_alu instid0(VALU_DEP_1) | instskip(NEXT) | instid1(VALU_DEP_1)
	v_add3_u32 v6, v3, v6, 0x487ffff
	v_lshrrev_b32_e32 v6, 20, v6
	s_and_not1_saveexec_b32 s12, s12
	s_cbranch_execnz .LBB183_3333
.LBB183_2994:
	s_or_b32 exec_lo, exec_lo, s12
	v_mov_b32_e32 v7, 0
	s_and_saveexec_b32 s12, s11
.LBB183_2995:
	v_lshrrev_b32_e32 v3, 24, v3
	s_delay_alu instid0(VALU_DEP_1)
	v_and_or_b32 v7, 0x80, v3, v6
.LBB183_2996:
	s_or_b32 exec_lo, exec_lo, s12
.LBB183_2997:
	s_delay_alu instid0(SALU_CYCLE_1)
	s_or_b32 exec_lo, exec_lo, s10
	global_store_b8 v[4:5], v7, off
.LBB183_2998:
	s_mov_b32 s10, -1
.LBB183_2999:
	s_mov_b32 s11, 0
.LBB183_3000:
	s_delay_alu instid0(SALU_CYCLE_1)
	s_and_b32 vcc_lo, exec_lo, s11
	s_cbranch_vccz .LBB183_3040
; %bb.3001:
	s_cmp_gt_i32 s2, 22
	s_mov_b32 s3, -1
	s_cbranch_scc0 .LBB183_3033
; %bb.3002:
	s_cmp_lt_i32 s2, 24
	s_cbranch_scc1 .LBB183_3022
; %bb.3003:
	s_cmp_gt_i32 s2, 24
	s_cbranch_scc0 .LBB183_3011
; %bb.3004:
	s_wait_xcnt 0x0
	v_cvt_f32_f16_e32 v3, v1
	v_mov_b32_e32 v7, 0x80
	s_mov_b32 s3, exec_lo
	s_delay_alu instid0(VALU_DEP_2) | instskip(NEXT) | instid1(VALU_DEP_1)
	v_and_b32_e32 v6, 0x7fffffff, v3
	v_cmpx_gt_u32_e32 0x47800000, v6
	s_cbranch_execz .LBB183_3010
; %bb.3005:
	v_cmp_lt_u32_e32 vcc_lo, 0x37ffffff, v6
	s_mov_b32 s10, 0
                                        ; implicit-def: $vgpr6
	s_and_saveexec_b32 s11, vcc_lo
	s_delay_alu instid0(SALU_CYCLE_1)
	s_xor_b32 s11, exec_lo, s11
	s_cbranch_execz .LBB183_3335
; %bb.3006:
	v_bfe_u32 v6, v3, 21, 1
	s_mov_b32 s10, exec_lo
	s_delay_alu instid0(VALU_DEP_1) | instskip(NEXT) | instid1(VALU_DEP_1)
	v_add3_u32 v6, v3, v6, 0x88fffff
	v_lshrrev_b32_e32 v6, 21, v6
	s_and_not1_saveexec_b32 s11, s11
	s_cbranch_execnz .LBB183_3336
.LBB183_3007:
	s_or_b32 exec_lo, exec_lo, s11
	v_mov_b32_e32 v7, 0
	s_and_saveexec_b32 s11, s10
.LBB183_3008:
	v_lshrrev_b32_e32 v3, 24, v3
	s_delay_alu instid0(VALU_DEP_1)
	v_and_or_b32 v7, 0x80, v3, v6
.LBB183_3009:
	s_or_b32 exec_lo, exec_lo, s11
.LBB183_3010:
	s_delay_alu instid0(SALU_CYCLE_1)
	s_or_b32 exec_lo, exec_lo, s3
	s_mov_b32 s3, 0
	global_store_b8 v[4:5], v7, off
.LBB183_3011:
	s_and_b32 vcc_lo, exec_lo, s3
	s_cbranch_vccz .LBB183_3021
; %bb.3012:
	s_wait_xcnt 0x0
	v_cvt_f32_f16_e32 v3, v1
	s_mov_b32 s3, exec_lo
                                        ; implicit-def: $vgpr6
	s_delay_alu instid0(VALU_DEP_1) | instskip(NEXT) | instid1(VALU_DEP_1)
	v_and_b32_e32 v7, 0x7fffffff, v3
	v_cmpx_gt_u32_e32 0x43f00000, v7
	s_xor_b32 s3, exec_lo, s3
	s_cbranch_execz .LBB183_3018
; %bb.3013:
	s_mov_b32 s10, exec_lo
                                        ; implicit-def: $vgpr6
	v_cmpx_lt_u32_e32 0x3c7fffff, v7
	s_xor_b32 s10, exec_lo, s10
; %bb.3014:
	v_bfe_u32 v6, v3, 20, 1
	s_delay_alu instid0(VALU_DEP_1) | instskip(NEXT) | instid1(VALU_DEP_1)
	v_add3_u32 v6, v3, v6, 0x407ffff
	v_and_b32_e32 v7, 0xff00000, v6
	v_lshrrev_b32_e32 v6, 20, v6
	s_delay_alu instid0(VALU_DEP_2) | instskip(NEXT) | instid1(VALU_DEP_2)
	v_cmp_ne_u32_e32 vcc_lo, 0x7f00000, v7
	v_cndmask_b32_e32 v6, 0x7e, v6, vcc_lo
; %bb.3015:
	s_and_not1_saveexec_b32 s10, s10
; %bb.3016:
	v_add_f32_e64 v6, 0x46800000, |v3|
; %bb.3017:
	s_or_b32 exec_lo, exec_lo, s10
                                        ; implicit-def: $vgpr7
.LBB183_3018:
	s_and_not1_saveexec_b32 s3, s3
; %bb.3019:
	v_mov_b32_e32 v6, 0x7f
	v_cmp_lt_u32_e32 vcc_lo, 0x7f800000, v7
	s_delay_alu instid0(VALU_DEP_2)
	v_cndmask_b32_e32 v6, 0x7e, v6, vcc_lo
; %bb.3020:
	s_or_b32 exec_lo, exec_lo, s3
	v_lshrrev_b32_e32 v3, 24, v3
	s_delay_alu instid0(VALU_DEP_1)
	v_and_or_b32 v3, 0x80, v3, v6
	global_store_b8 v[4:5], v3, off
.LBB183_3021:
	s_mov_b32 s3, 0
.LBB183_3022:
	s_delay_alu instid0(SALU_CYCLE_1)
	s_and_not1_b32 vcc_lo, exec_lo, s3
	s_cbranch_vccnz .LBB183_3032
; %bb.3023:
	s_wait_xcnt 0x0
	v_cvt_f32_f16_e32 v3, v1
	s_mov_b32 s3, exec_lo
                                        ; implicit-def: $vgpr6
	s_delay_alu instid0(VALU_DEP_1) | instskip(NEXT) | instid1(VALU_DEP_1)
	v_and_b32_e32 v7, 0x7fffffff, v3
	v_cmpx_gt_u32_e32 0x47800000, v7
	s_xor_b32 s3, exec_lo, s3
	s_cbranch_execz .LBB183_3029
; %bb.3024:
	s_mov_b32 s10, exec_lo
                                        ; implicit-def: $vgpr6
	v_cmpx_lt_u32_e32 0x387fffff, v7
	s_xor_b32 s10, exec_lo, s10
; %bb.3025:
	v_bfe_u32 v6, v3, 21, 1
	s_delay_alu instid0(VALU_DEP_1) | instskip(NEXT) | instid1(VALU_DEP_1)
	v_add3_u32 v6, v3, v6, 0x80fffff
	v_lshrrev_b32_e32 v6, 21, v6
; %bb.3026:
	s_and_not1_saveexec_b32 s10, s10
; %bb.3027:
	v_add_f32_e64 v6, 0x43000000, |v3|
; %bb.3028:
	s_or_b32 exec_lo, exec_lo, s10
                                        ; implicit-def: $vgpr7
.LBB183_3029:
	s_and_not1_saveexec_b32 s3, s3
; %bb.3030:
	v_mov_b32_e32 v6, 0x7f
	v_cmp_lt_u32_e32 vcc_lo, 0x7f800000, v7
	s_delay_alu instid0(VALU_DEP_2)
	v_cndmask_b32_e32 v6, 0x7c, v6, vcc_lo
; %bb.3031:
	s_or_b32 exec_lo, exec_lo, s3
	v_lshrrev_b32_e32 v3, 24, v3
	s_delay_alu instid0(VALU_DEP_1)
	v_and_or_b32 v3, 0x80, v3, v6
	global_store_b8 v[4:5], v3, off
.LBB183_3032:
	s_mov_b32 s3, 0
	s_mov_b32 s10, -1
.LBB183_3033:
	s_and_not1_b32 vcc_lo, exec_lo, s3
	s_mov_b32 s3, 0
	s_cbranch_vccnz .LBB183_3040
; %bb.3034:
	s_cmp_gt_i32 s2, 14
	s_mov_b32 s3, -1
	s_cbranch_scc0 .LBB183_3038
; %bb.3035:
	s_cmp_eq_u32 s2, 15
	s_mov_b32 s0, -1
	s_cbranch_scc0 .LBB183_3037
; %bb.3036:
	s_wait_xcnt 0x0
	v_cvt_f32_f16_e32 v3, v1
	v_cmp_o_f16_e32 vcc_lo, v1, v1
	s_mov_b32 s0, 0
	s_mov_b32 s10, -1
	s_delay_alu instid0(VALU_DEP_2) | instskip(NEXT) | instid1(VALU_DEP_1)
	v_bfe_u32 v6, v3, 16, 1
	v_add3_u32 v3, v3, v6, 0x7fff
	s_delay_alu instid0(VALU_DEP_1) | instskip(NEXT) | instid1(VALU_DEP_1)
	v_lshrrev_b32_e32 v3, 16, v3
	v_cndmask_b32_e32 v3, 0x7fc0, v3, vcc_lo
	global_store_b16 v[4:5], v3, off
.LBB183_3037:
	s_mov_b32 s3, 0
.LBB183_3038:
	s_delay_alu instid0(SALU_CYCLE_1)
	s_and_b32 vcc_lo, exec_lo, s3
	s_mov_b32 s3, 0
	s_cbranch_vccz .LBB183_3040
; %bb.3039:
	s_cmp_lg_u32 s2, 11
	s_mov_b32 s3, -1
	s_cselect_b32 s0, -1, 0
.LBB183_3040:
	s_delay_alu instid0(SALU_CYCLE_1)
	s_and_b32 vcc_lo, exec_lo, s0
	s_cbranch_vccnz .LBB183_3334
; %bb.3041:
	s_and_not1_b32 vcc_lo, exec_lo, s3
	s_cbranch_vccnz .LBB183_3043
.LBB183_3042:
	v_cmp_neq_f16_e32 vcc_lo, 0, v1
	s_mov_b32 s10, -1
	s_wait_xcnt 0x0
	v_cndmask_b32_e64 v3, 0, 1, vcc_lo
	global_store_b8 v[4:5], v3, off
.LBB183_3043:
	s_mov_b32 s0, 0
	s_branch .LBB183_3045
.LBB183_3044:
	s_mov_b32 s0, -1
	s_mov_b32 s10, 0
.LBB183_3045:
	s_and_b32 vcc_lo, exec_lo, s0
	s_cbranch_vccz .LBB183_3084
; %bb.3046:
	s_cmp_lt_i32 s2, 5
	s_mov_b32 s0, -1
	s_cbranch_scc1 .LBB183_3067
; %bb.3047:
	s_cmp_lt_i32 s2, 8
	s_cbranch_scc1 .LBB183_3057
; %bb.3048:
	s_cmp_lt_i32 s2, 9
	s_cbranch_scc1 .LBB183_3054
; %bb.3049:
	s_cmp_gt_i32 s2, 9
	s_cbranch_scc0 .LBB183_3051
; %bb.3050:
	s_wait_xcnt 0x0
	v_cvt_f32_f16_e32 v3, v1
	v_mov_b32_e32 v8, 0
	s_mov_b32 s0, 0
	s_delay_alu instid0(VALU_DEP_2) | instskip(NEXT) | instid1(VALU_DEP_2)
	v_cvt_f64_f32_e32 v[6:7], v3
	v_mov_b32_e32 v9, v8
	global_store_b128 v[4:5], v[6:9], off
.LBB183_3051:
	s_and_not1_b32 vcc_lo, exec_lo, s0
	s_cbranch_vccnz .LBB183_3053
; %bb.3052:
	s_wait_xcnt 0x0
	v_cvt_f32_f16_e32 v6, v1
	v_mov_b32_e32 v7, 0
	global_store_b64 v[4:5], v[6:7], off
.LBB183_3053:
	s_mov_b32 s0, 0
.LBB183_3054:
	s_delay_alu instid0(SALU_CYCLE_1)
	s_and_not1_b32 vcc_lo, exec_lo, s0
	s_cbranch_vccnz .LBB183_3056
; %bb.3055:
	s_wait_xcnt 0x0
	v_and_b32_e32 v3, 0xffff, v1
	global_store_b32 v[4:5], v3, off
.LBB183_3056:
	s_mov_b32 s0, 0
.LBB183_3057:
	s_delay_alu instid0(SALU_CYCLE_1)
	s_and_not1_b32 vcc_lo, exec_lo, s0
	s_cbranch_vccnz .LBB183_3066
; %bb.3058:
	s_cmp_lt_i32 s2, 6
	s_mov_b32 s0, -1
	s_cbranch_scc1 .LBB183_3064
; %bb.3059:
	s_cmp_gt_i32 s2, 6
	s_cbranch_scc0 .LBB183_3061
; %bb.3060:
	s_wait_xcnt 0x0
	v_cvt_f32_f16_e32 v3, v1
	s_mov_b32 s0, 0
	s_delay_alu instid0(VALU_DEP_1)
	v_cvt_f64_f32_e32 v[6:7], v3
	global_store_b64 v[4:5], v[6:7], off
.LBB183_3061:
	s_and_not1_b32 vcc_lo, exec_lo, s0
	s_cbranch_vccnz .LBB183_3063
; %bb.3062:
	s_wait_xcnt 0x0
	v_cvt_f32_f16_e32 v3, v1
	global_store_b32 v[4:5], v3, off
.LBB183_3063:
	s_mov_b32 s0, 0
.LBB183_3064:
	s_delay_alu instid0(SALU_CYCLE_1)
	s_and_not1_b32 vcc_lo, exec_lo, s0
	s_cbranch_vccnz .LBB183_3066
; %bb.3065:
	global_store_b16 v[4:5], v1, off
.LBB183_3066:
	s_mov_b32 s0, 0
.LBB183_3067:
	s_delay_alu instid0(SALU_CYCLE_1)
	s_and_not1_b32 vcc_lo, exec_lo, s0
	s_cbranch_vccnz .LBB183_3083
; %bb.3068:
	s_cmp_lt_i32 s2, 2
	s_mov_b32 s0, -1
	s_cbranch_scc1 .LBB183_3078
; %bb.3069:
	s_cmp_lt_i32 s2, 3
	s_cbranch_scc1 .LBB183_3075
; %bb.3070:
	s_cmp_gt_i32 s2, 3
	s_cbranch_scc0 .LBB183_3072
; %bb.3071:
	s_wait_xcnt 0x0
	v_cvt_f32_f16_e32 v3, v1
	s_mov_b32 s0, 0
	s_delay_alu instid0(VALU_DEP_1) | instskip(NEXT) | instid1(VALU_DEP_1)
	v_cvt_i32_f32_e32 v6, v3
	v_ashrrev_i32_e32 v7, 31, v6
	global_store_b64 v[4:5], v[6:7], off
.LBB183_3072:
	s_and_not1_b32 vcc_lo, exec_lo, s0
	s_cbranch_vccnz .LBB183_3074
; %bb.3073:
	s_wait_xcnt 0x0
	v_cvt_f32_f16_e32 v3, v1
	s_delay_alu instid0(VALU_DEP_1)
	v_cvt_i32_f32_e32 v3, v3
	global_store_b32 v[4:5], v3, off
.LBB183_3074:
	s_mov_b32 s0, 0
.LBB183_3075:
	s_delay_alu instid0(SALU_CYCLE_1)
	s_and_not1_b32 vcc_lo, exec_lo, s0
	s_cbranch_vccnz .LBB183_3077
; %bb.3076:
	s_wait_xcnt 0x0
	v_cvt_i16_f16_e32 v3, v1
	global_store_b16 v[4:5], v3, off
.LBB183_3077:
	s_mov_b32 s0, 0
.LBB183_3078:
	s_delay_alu instid0(SALU_CYCLE_1)
	s_and_not1_b32 vcc_lo, exec_lo, s0
	s_cbranch_vccnz .LBB183_3083
; %bb.3079:
	s_cmp_gt_i32 s2, 0
	s_mov_b32 s0, -1
	s_cbranch_scc0 .LBB183_3081
; %bb.3080:
	s_wait_xcnt 0x0
	v_cvt_i16_f16_e32 v3, v1
	s_mov_b32 s0, 0
	global_store_b8 v[4:5], v3, off
.LBB183_3081:
	s_and_not1_b32 vcc_lo, exec_lo, s0
	s_cbranch_vccnz .LBB183_3083
; %bb.3082:
	s_wait_xcnt 0x0
	v_cvt_f32_f16_e32 v1, v1
	s_delay_alu instid0(VALU_DEP_1)
	v_cvt_i32_f32_e32 v1, v1
	global_store_b8 v[4:5], v1, off
.LBB183_3083:
	s_mov_b32 s10, -1
.LBB183_3084:
	s_delay_alu instid0(SALU_CYCLE_1)
	s_and_not1_b32 vcc_lo, exec_lo, s10
	s_cbranch_vccnz .LBB183_3280
; %bb.3085:
	s_wait_xcnt 0x0
	v_mov_b32_e32 v3, 0
	v_mul_f16_e32 v1, s9, v16
	s_cmp_lt_i32 s2, 11
	s_delay_alu instid0(VALU_DEP_2) | instskip(NEXT) | instid1(VALU_DEP_2)
	v_add_nc_u64_e32 v[2:3], s[4:5], v[2:3]
	v_mul_f16_e32 v1, v1, v14
	s_cbranch_scc1 .LBB183_3163
; %bb.3086:
	s_mov_b32 s11, -1
	s_mov_b32 s3, 0
	s_cmp_gt_i32 s2, 25
	s_mov_b32 s10, 0
	s_mov_b32 s0, 0
	s_cbranch_scc0 .LBB183_3119
; %bb.3087:
	s_cmp_gt_i32 s2, 28
	s_cbranch_scc0 .LBB183_3102
; %bb.3088:
	s_cmp_gt_i32 s2, 43
	s_cbranch_scc0 .LBB183_3098
; %bb.3089:
	s_cmp_gt_i32 s2, 45
	s_cbranch_scc0 .LBB183_3092
; %bb.3090:
	s_mov_b32 s0, -1
	s_mov_b32 s11, 0
	s_cmp_eq_u32 s2, 46
	s_cbranch_scc0 .LBB183_3092
; %bb.3091:
	v_cvt_f32_f16_e32 v4, v1
	v_cmp_o_f16_e32 vcc_lo, v1, v1
	s_mov_b32 s0, 0
	s_mov_b32 s10, -1
	s_delay_alu instid0(VALU_DEP_2) | instskip(NEXT) | instid1(VALU_DEP_1)
	v_bfe_u32 v5, v4, 16, 1
	v_add3_u32 v4, v4, v5, 0x7fff
	s_delay_alu instid0(VALU_DEP_1) | instskip(NEXT) | instid1(VALU_DEP_1)
	v_lshrrev_b32_e32 v4, 16, v4
	v_cndmask_b32_e32 v4, 0x7fc0, v4, vcc_lo
	global_store_b32 v[2:3], v4, off
.LBB183_3092:
	s_and_b32 vcc_lo, exec_lo, s11
	s_cbranch_vccz .LBB183_3097
; %bb.3093:
	s_cmp_eq_u32 s2, 44
	s_mov_b32 s0, -1
	s_cbranch_scc0 .LBB183_3097
; %bb.3094:
	s_wait_xcnt 0x0
	v_cvt_f32_f16_e32 v4, v1
	v_mov_b32_e32 v5, 0xff
	s_mov_b32 s10, exec_lo
	s_delay_alu instid0(VALU_DEP_2) | instskip(NEXT) | instid1(VALU_DEP_1)
	v_bfe_u32 v6, v4, 23, 8
	v_cmpx_ne_u32_e32 0xff, v6
	s_cbranch_execz .LBB183_3096
; %bb.3095:
	v_and_b32_e32 v5, 0x400000, v4
	v_and_or_b32 v6, 0x3fffff, v4, v6
	v_lshrrev_b32_e32 v4, 23, v4
	s_delay_alu instid0(VALU_DEP_3) | instskip(NEXT) | instid1(VALU_DEP_3)
	v_cmp_ne_u32_e32 vcc_lo, 0, v5
	v_cmp_ne_u32_e64 s0, 0, v6
	s_and_b32 s0, vcc_lo, s0
	s_delay_alu instid0(SALU_CYCLE_1) | instskip(NEXT) | instid1(VALU_DEP_1)
	v_cndmask_b32_e64 v5, 0, 1, s0
	v_add_nc_u32_e32 v5, v4, v5
.LBB183_3096:
	s_or_b32 exec_lo, exec_lo, s10
	s_mov_b32 s0, 0
	s_mov_b32 s10, -1
	global_store_b8 v[2:3], v5, off
.LBB183_3097:
	s_mov_b32 s11, 0
.LBB183_3098:
	s_delay_alu instid0(SALU_CYCLE_1)
	s_and_b32 vcc_lo, exec_lo, s11
	s_cbranch_vccz .LBB183_3101
; %bb.3099:
	s_cmp_eq_u32 s2, 29
	s_mov_b32 s0, -1
	s_cbranch_scc0 .LBB183_3101
; %bb.3100:
	s_wait_xcnt 0x0
	v_cvt_f32_f16_e32 v4, v1
	v_mov_b32_e32 v5, 0
	s_mov_b32 s0, 0
	s_mov_b32 s10, -1
	s_delay_alu instid0(VALU_DEP_2)
	v_cvt_u32_f32_e32 v4, v4
	global_store_b64 v[2:3], v[4:5], off
.LBB183_3101:
	s_mov_b32 s11, 0
.LBB183_3102:
	s_delay_alu instid0(SALU_CYCLE_1)
	s_and_b32 vcc_lo, exec_lo, s11
	s_cbranch_vccz .LBB183_3118
; %bb.3103:
	s_cmp_lt_i32 s2, 27
	s_mov_b32 s10, -1
	s_cbranch_scc1 .LBB183_3109
; %bb.3104:
	s_cmp_gt_i32 s2, 27
	s_cbranch_scc0 .LBB183_3106
; %bb.3105:
	s_wait_xcnt 0x0
	v_cvt_f32_f16_e32 v4, v1
	s_mov_b32 s10, 0
	s_delay_alu instid0(VALU_DEP_1)
	v_cvt_u32_f32_e32 v4, v4
	global_store_b32 v[2:3], v4, off
.LBB183_3106:
	s_and_not1_b32 vcc_lo, exec_lo, s10
	s_cbranch_vccnz .LBB183_3108
; %bb.3107:
	s_wait_xcnt 0x0
	v_cvt_u16_f16_e32 v4, v1
	global_store_b16 v[2:3], v4, off
.LBB183_3108:
	s_mov_b32 s10, 0
.LBB183_3109:
	s_delay_alu instid0(SALU_CYCLE_1)
	s_and_not1_b32 vcc_lo, exec_lo, s10
	s_cbranch_vccnz .LBB183_3117
; %bb.3110:
	s_wait_xcnt 0x0
	v_cvt_f32_f16_e32 v4, v1
	v_mov_b32_e32 v6, 0x80
	s_mov_b32 s10, exec_lo
	s_delay_alu instid0(VALU_DEP_2) | instskip(NEXT) | instid1(VALU_DEP_1)
	v_and_b32_e32 v5, 0x7fffffff, v4
	v_cmpx_gt_u32_e32 0x43800000, v5
	s_cbranch_execz .LBB183_3116
; %bb.3111:
	v_cmp_lt_u32_e32 vcc_lo, 0x3bffffff, v5
	s_mov_b32 s11, 0
                                        ; implicit-def: $vgpr5
	s_and_saveexec_b32 s12, vcc_lo
	s_delay_alu instid0(SALU_CYCLE_1)
	s_xor_b32 s12, exec_lo, s12
	s_cbranch_execz .LBB183_3337
; %bb.3112:
	v_bfe_u32 v5, v4, 20, 1
	s_mov_b32 s11, exec_lo
	s_delay_alu instid0(VALU_DEP_1) | instskip(NEXT) | instid1(VALU_DEP_1)
	v_add3_u32 v5, v4, v5, 0x487ffff
	v_lshrrev_b32_e32 v5, 20, v5
	s_and_not1_saveexec_b32 s12, s12
	s_cbranch_execnz .LBB183_3338
.LBB183_3113:
	s_or_b32 exec_lo, exec_lo, s12
	v_mov_b32_e32 v6, 0
	s_and_saveexec_b32 s12, s11
.LBB183_3114:
	v_lshrrev_b32_e32 v4, 24, v4
	s_delay_alu instid0(VALU_DEP_1)
	v_and_or_b32 v6, 0x80, v4, v5
.LBB183_3115:
	s_or_b32 exec_lo, exec_lo, s12
.LBB183_3116:
	s_delay_alu instid0(SALU_CYCLE_1)
	s_or_b32 exec_lo, exec_lo, s10
	global_store_b8 v[2:3], v6, off
.LBB183_3117:
	s_mov_b32 s10, -1
.LBB183_3118:
	s_mov_b32 s11, 0
.LBB183_3119:
	s_delay_alu instid0(SALU_CYCLE_1)
	s_and_b32 vcc_lo, exec_lo, s11
	s_cbranch_vccz .LBB183_3159
; %bb.3120:
	s_cmp_gt_i32 s2, 22
	s_mov_b32 s3, -1
	s_cbranch_scc0 .LBB183_3152
; %bb.3121:
	s_cmp_lt_i32 s2, 24
	s_cbranch_scc1 .LBB183_3141
; %bb.3122:
	s_cmp_gt_i32 s2, 24
	s_cbranch_scc0 .LBB183_3130
; %bb.3123:
	s_wait_xcnt 0x0
	v_cvt_f32_f16_e32 v4, v1
	v_mov_b32_e32 v6, 0x80
	s_mov_b32 s3, exec_lo
	s_delay_alu instid0(VALU_DEP_2) | instskip(NEXT) | instid1(VALU_DEP_1)
	v_and_b32_e32 v5, 0x7fffffff, v4
	v_cmpx_gt_u32_e32 0x47800000, v5
	s_cbranch_execz .LBB183_3129
; %bb.3124:
	v_cmp_lt_u32_e32 vcc_lo, 0x37ffffff, v5
	s_mov_b32 s10, 0
                                        ; implicit-def: $vgpr5
	s_and_saveexec_b32 s11, vcc_lo
	s_delay_alu instid0(SALU_CYCLE_1)
	s_xor_b32 s11, exec_lo, s11
	s_cbranch_execz .LBB183_3340
; %bb.3125:
	v_bfe_u32 v5, v4, 21, 1
	s_mov_b32 s10, exec_lo
	s_delay_alu instid0(VALU_DEP_1) | instskip(NEXT) | instid1(VALU_DEP_1)
	v_add3_u32 v5, v4, v5, 0x88fffff
	v_lshrrev_b32_e32 v5, 21, v5
	s_and_not1_saveexec_b32 s11, s11
	s_cbranch_execnz .LBB183_3341
.LBB183_3126:
	s_or_b32 exec_lo, exec_lo, s11
	v_mov_b32_e32 v6, 0
	s_and_saveexec_b32 s11, s10
.LBB183_3127:
	v_lshrrev_b32_e32 v4, 24, v4
	s_delay_alu instid0(VALU_DEP_1)
	v_and_or_b32 v6, 0x80, v4, v5
.LBB183_3128:
	s_or_b32 exec_lo, exec_lo, s11
.LBB183_3129:
	s_delay_alu instid0(SALU_CYCLE_1)
	s_or_b32 exec_lo, exec_lo, s3
	s_mov_b32 s3, 0
	global_store_b8 v[2:3], v6, off
.LBB183_3130:
	s_and_b32 vcc_lo, exec_lo, s3
	s_cbranch_vccz .LBB183_3140
; %bb.3131:
	s_wait_xcnt 0x0
	v_cvt_f32_f16_e32 v4, v1
	s_mov_b32 s3, exec_lo
                                        ; implicit-def: $vgpr5
	s_delay_alu instid0(VALU_DEP_1) | instskip(NEXT) | instid1(VALU_DEP_1)
	v_and_b32_e32 v6, 0x7fffffff, v4
	v_cmpx_gt_u32_e32 0x43f00000, v6
	s_xor_b32 s3, exec_lo, s3
	s_cbranch_execz .LBB183_3137
; %bb.3132:
	s_mov_b32 s10, exec_lo
                                        ; implicit-def: $vgpr5
	v_cmpx_lt_u32_e32 0x3c7fffff, v6
	s_xor_b32 s10, exec_lo, s10
; %bb.3133:
	v_bfe_u32 v5, v4, 20, 1
	s_delay_alu instid0(VALU_DEP_1) | instskip(NEXT) | instid1(VALU_DEP_1)
	v_add3_u32 v5, v4, v5, 0x407ffff
	v_and_b32_e32 v6, 0xff00000, v5
	v_lshrrev_b32_e32 v5, 20, v5
	s_delay_alu instid0(VALU_DEP_2) | instskip(NEXT) | instid1(VALU_DEP_2)
	v_cmp_ne_u32_e32 vcc_lo, 0x7f00000, v6
	v_cndmask_b32_e32 v5, 0x7e, v5, vcc_lo
; %bb.3134:
	s_and_not1_saveexec_b32 s10, s10
; %bb.3135:
	v_add_f32_e64 v5, 0x46800000, |v4|
; %bb.3136:
	s_or_b32 exec_lo, exec_lo, s10
                                        ; implicit-def: $vgpr6
.LBB183_3137:
	s_and_not1_saveexec_b32 s3, s3
; %bb.3138:
	v_mov_b32_e32 v5, 0x7f
	v_cmp_lt_u32_e32 vcc_lo, 0x7f800000, v6
	s_delay_alu instid0(VALU_DEP_2)
	v_cndmask_b32_e32 v5, 0x7e, v5, vcc_lo
; %bb.3139:
	s_or_b32 exec_lo, exec_lo, s3
	v_lshrrev_b32_e32 v4, 24, v4
	s_delay_alu instid0(VALU_DEP_1)
	v_and_or_b32 v4, 0x80, v4, v5
	global_store_b8 v[2:3], v4, off
.LBB183_3140:
	s_mov_b32 s3, 0
.LBB183_3141:
	s_delay_alu instid0(SALU_CYCLE_1)
	s_and_not1_b32 vcc_lo, exec_lo, s3
	s_cbranch_vccnz .LBB183_3151
; %bb.3142:
	s_wait_xcnt 0x0
	v_cvt_f32_f16_e32 v4, v1
	s_mov_b32 s3, exec_lo
                                        ; implicit-def: $vgpr5
	s_delay_alu instid0(VALU_DEP_1) | instskip(NEXT) | instid1(VALU_DEP_1)
	v_and_b32_e32 v6, 0x7fffffff, v4
	v_cmpx_gt_u32_e32 0x47800000, v6
	s_xor_b32 s3, exec_lo, s3
	s_cbranch_execz .LBB183_3148
; %bb.3143:
	s_mov_b32 s10, exec_lo
                                        ; implicit-def: $vgpr5
	v_cmpx_lt_u32_e32 0x387fffff, v6
	s_xor_b32 s10, exec_lo, s10
; %bb.3144:
	v_bfe_u32 v5, v4, 21, 1
	s_delay_alu instid0(VALU_DEP_1) | instskip(NEXT) | instid1(VALU_DEP_1)
	v_add3_u32 v5, v4, v5, 0x80fffff
	v_lshrrev_b32_e32 v5, 21, v5
; %bb.3145:
	s_and_not1_saveexec_b32 s10, s10
; %bb.3146:
	v_add_f32_e64 v5, 0x43000000, |v4|
; %bb.3147:
	s_or_b32 exec_lo, exec_lo, s10
                                        ; implicit-def: $vgpr6
.LBB183_3148:
	s_and_not1_saveexec_b32 s3, s3
; %bb.3149:
	v_mov_b32_e32 v5, 0x7f
	v_cmp_lt_u32_e32 vcc_lo, 0x7f800000, v6
	s_delay_alu instid0(VALU_DEP_2)
	v_cndmask_b32_e32 v5, 0x7c, v5, vcc_lo
; %bb.3150:
	s_or_b32 exec_lo, exec_lo, s3
	v_lshrrev_b32_e32 v4, 24, v4
	s_delay_alu instid0(VALU_DEP_1)
	v_and_or_b32 v4, 0x80, v4, v5
	global_store_b8 v[2:3], v4, off
.LBB183_3151:
	s_mov_b32 s3, 0
	s_mov_b32 s10, -1
.LBB183_3152:
	s_and_not1_b32 vcc_lo, exec_lo, s3
	s_mov_b32 s3, 0
	s_cbranch_vccnz .LBB183_3159
; %bb.3153:
	s_cmp_gt_i32 s2, 14
	s_mov_b32 s3, -1
	s_cbranch_scc0 .LBB183_3157
; %bb.3154:
	s_cmp_eq_u32 s2, 15
	s_mov_b32 s0, -1
	s_cbranch_scc0 .LBB183_3156
; %bb.3155:
	s_wait_xcnt 0x0
	v_cvt_f32_f16_e32 v4, v1
	v_cmp_o_f16_e32 vcc_lo, v1, v1
	s_mov_b32 s0, 0
	s_mov_b32 s10, -1
	s_delay_alu instid0(VALU_DEP_2) | instskip(NEXT) | instid1(VALU_DEP_1)
	v_bfe_u32 v5, v4, 16, 1
	v_add3_u32 v4, v4, v5, 0x7fff
	s_delay_alu instid0(VALU_DEP_1) | instskip(NEXT) | instid1(VALU_DEP_1)
	v_lshrrev_b32_e32 v4, 16, v4
	v_cndmask_b32_e32 v4, 0x7fc0, v4, vcc_lo
	global_store_b16 v[2:3], v4, off
.LBB183_3156:
	s_mov_b32 s3, 0
.LBB183_3157:
	s_delay_alu instid0(SALU_CYCLE_1)
	s_and_b32 vcc_lo, exec_lo, s3
	s_mov_b32 s3, 0
	s_cbranch_vccz .LBB183_3159
; %bb.3158:
	s_cmp_lg_u32 s2, 11
	s_mov_b32 s3, -1
	s_cselect_b32 s0, -1, 0
.LBB183_3159:
	s_delay_alu instid0(SALU_CYCLE_1)
	s_and_b32 vcc_lo, exec_lo, s0
	s_cbranch_vccnz .LBB183_3339
; %bb.3160:
	s_and_not1_b32 vcc_lo, exec_lo, s3
	s_cbranch_vccnz .LBB183_3162
.LBB183_3161:
	v_cmp_neq_f16_e32 vcc_lo, 0, v1
	s_mov_b32 s10, -1
	s_wait_xcnt 0x0
	v_cndmask_b32_e64 v4, 0, 1, vcc_lo
	global_store_b8 v[2:3], v4, off
.LBB183_3162:
	s_mov_b32 s0, 0
	s_branch .LBB183_3164
.LBB183_3163:
	s_mov_b32 s0, -1
	s_mov_b32 s10, 0
.LBB183_3164:
	s_and_b32 vcc_lo, exec_lo, s0
	s_cbranch_vccz .LBB183_3203
; %bb.3165:
	s_cmp_lt_i32 s2, 5
	s_mov_b32 s0, -1
	s_cbranch_scc1 .LBB183_3186
; %bb.3166:
	s_cmp_lt_i32 s2, 8
	s_cbranch_scc1 .LBB183_3176
; %bb.3167:
	s_cmp_lt_i32 s2, 9
	s_cbranch_scc1 .LBB183_3173
; %bb.3168:
	s_cmp_gt_i32 s2, 9
	s_cbranch_scc0 .LBB183_3170
; %bb.3169:
	s_wait_xcnt 0x0
	v_cvt_f32_f16_e32 v4, v1
	v_mov_b32_e32 v6, 0
	s_mov_b32 s0, 0
	s_delay_alu instid0(VALU_DEP_2) | instskip(NEXT) | instid1(VALU_DEP_2)
	v_cvt_f64_f32_e32 v[4:5], v4
	v_mov_b32_e32 v7, v6
	global_store_b128 v[2:3], v[4:7], off
.LBB183_3170:
	s_and_not1_b32 vcc_lo, exec_lo, s0
	s_cbranch_vccnz .LBB183_3172
; %bb.3171:
	s_wait_xcnt 0x0
	v_cvt_f32_f16_e32 v4, v1
	v_mov_b32_e32 v5, 0
	global_store_b64 v[2:3], v[4:5], off
.LBB183_3172:
	s_mov_b32 s0, 0
.LBB183_3173:
	s_delay_alu instid0(SALU_CYCLE_1)
	s_and_not1_b32 vcc_lo, exec_lo, s0
	s_cbranch_vccnz .LBB183_3175
; %bb.3174:
	s_wait_xcnt 0x0
	v_and_b32_e32 v4, 0xffff, v1
	global_store_b32 v[2:3], v4, off
.LBB183_3175:
	s_mov_b32 s0, 0
.LBB183_3176:
	s_delay_alu instid0(SALU_CYCLE_1)
	s_and_not1_b32 vcc_lo, exec_lo, s0
	s_cbranch_vccnz .LBB183_3185
; %bb.3177:
	s_cmp_lt_i32 s2, 6
	s_mov_b32 s0, -1
	s_cbranch_scc1 .LBB183_3183
; %bb.3178:
	s_cmp_gt_i32 s2, 6
	s_cbranch_scc0 .LBB183_3180
; %bb.3179:
	s_wait_xcnt 0x0
	v_cvt_f32_f16_e32 v4, v1
	s_mov_b32 s0, 0
	s_delay_alu instid0(VALU_DEP_1)
	v_cvt_f64_f32_e32 v[4:5], v4
	global_store_b64 v[2:3], v[4:5], off
.LBB183_3180:
	s_and_not1_b32 vcc_lo, exec_lo, s0
	s_cbranch_vccnz .LBB183_3182
; %bb.3181:
	s_wait_xcnt 0x0
	v_cvt_f32_f16_e32 v4, v1
	global_store_b32 v[2:3], v4, off
.LBB183_3182:
	s_mov_b32 s0, 0
.LBB183_3183:
	s_delay_alu instid0(SALU_CYCLE_1)
	s_and_not1_b32 vcc_lo, exec_lo, s0
	s_cbranch_vccnz .LBB183_3185
; %bb.3184:
	global_store_b16 v[2:3], v1, off
.LBB183_3185:
	s_mov_b32 s0, 0
.LBB183_3186:
	s_delay_alu instid0(SALU_CYCLE_1)
	s_and_not1_b32 vcc_lo, exec_lo, s0
	s_cbranch_vccnz .LBB183_3202
; %bb.3187:
	s_cmp_lt_i32 s2, 2
	s_mov_b32 s0, -1
	s_cbranch_scc1 .LBB183_3197
; %bb.3188:
	s_cmp_lt_i32 s2, 3
	s_cbranch_scc1 .LBB183_3194
; %bb.3189:
	s_cmp_gt_i32 s2, 3
	s_cbranch_scc0 .LBB183_3191
; %bb.3190:
	s_wait_xcnt 0x0
	v_cvt_f32_f16_e32 v4, v1
	s_mov_b32 s0, 0
	s_delay_alu instid0(VALU_DEP_1) | instskip(NEXT) | instid1(VALU_DEP_1)
	v_cvt_i32_f32_e32 v4, v4
	v_ashrrev_i32_e32 v5, 31, v4
	global_store_b64 v[2:3], v[4:5], off
.LBB183_3191:
	s_and_not1_b32 vcc_lo, exec_lo, s0
	s_cbranch_vccnz .LBB183_3193
; %bb.3192:
	s_wait_xcnt 0x0
	v_cvt_f32_f16_e32 v4, v1
	s_delay_alu instid0(VALU_DEP_1)
	v_cvt_i32_f32_e32 v4, v4
	global_store_b32 v[2:3], v4, off
.LBB183_3193:
	s_mov_b32 s0, 0
.LBB183_3194:
	s_delay_alu instid0(SALU_CYCLE_1)
	s_and_not1_b32 vcc_lo, exec_lo, s0
	s_cbranch_vccnz .LBB183_3196
; %bb.3195:
	s_wait_xcnt 0x0
	v_cvt_i16_f16_e32 v4, v1
	global_store_b16 v[2:3], v4, off
.LBB183_3196:
	s_mov_b32 s0, 0
.LBB183_3197:
	s_delay_alu instid0(SALU_CYCLE_1)
	s_and_not1_b32 vcc_lo, exec_lo, s0
	s_cbranch_vccnz .LBB183_3202
; %bb.3198:
	s_cmp_gt_i32 s2, 0
	s_mov_b32 s0, -1
	s_cbranch_scc0 .LBB183_3200
; %bb.3199:
	s_wait_xcnt 0x0
	v_cvt_i16_f16_e32 v4, v1
	s_mov_b32 s0, 0
	global_store_b8 v[2:3], v4, off
.LBB183_3200:
	s_and_not1_b32 vcc_lo, exec_lo, s0
	s_cbranch_vccnz .LBB183_3202
; %bb.3201:
	s_wait_xcnt 0x0
	v_cvt_f32_f16_e32 v1, v1
	s_delay_alu instid0(VALU_DEP_1)
	v_cvt_i32_f32_e32 v1, v1
	global_store_b8 v[2:3], v1, off
.LBB183_3202:
	s_mov_b32 s10, -1
.LBB183_3203:
	s_delay_alu instid0(SALU_CYCLE_1)
	s_and_not1_b32 vcc_lo, exec_lo, s10
	s_cbranch_vccnz .LBB183_3280
; %bb.3204:
	s_wait_xcnt 0x0
	v_mov_b32_e32 v1, 0
	v_mul_f16_e32 v4, s9, v12
	s_cmp_lt_i32 s2, 11
	s_delay_alu instid0(VALU_DEP_2) | instskip(NEXT) | instid1(VALU_DEP_2)
	v_add_nc_u64_e32 v[2:3], s[4:5], v[0:1]
	v_mul_f16_e32 v1, v4, v10
	s_cbranch_scc1 .LBB183_3325
; %bb.3205:
	s_mov_b32 s4, -1
	s_mov_b32 s3, 0
	s_cmp_gt_i32 s2, 25
	s_mov_b32 s0, 0
	s_cbranch_scc0 .LBB183_3238
; %bb.3206:
	s_cmp_gt_i32 s2, 28
	s_cbranch_scc0 .LBB183_3222
; %bb.3207:
	s_cmp_gt_i32 s2, 43
	;; [unrolled: 3-line block ×3, first 2 shown]
	s_cbranch_scc0 .LBB183_3212
; %bb.3209:
	s_cmp_eq_u32 s2, 46
	s_mov_b32 s0, -1
	s_cbranch_scc0 .LBB183_3211
; %bb.3210:
	v_cvt_f32_f16_e32 v0, v1
	v_cmp_o_f16_e32 vcc_lo, v1, v1
	s_mov_b32 s0, 0
	s_delay_alu instid0(VALU_DEP_2) | instskip(NEXT) | instid1(VALU_DEP_1)
	v_bfe_u32 v4, v0, 16, 1
	v_add3_u32 v0, v0, v4, 0x7fff
	s_delay_alu instid0(VALU_DEP_1) | instskip(NEXT) | instid1(VALU_DEP_1)
	v_lshrrev_b32_e32 v0, 16, v0
	v_cndmask_b32_e32 v0, 0x7fc0, v0, vcc_lo
	global_store_b32 v[2:3], v0, off
.LBB183_3211:
	s_mov_b32 s4, 0
.LBB183_3212:
	s_delay_alu instid0(SALU_CYCLE_1)
	s_and_b32 vcc_lo, exec_lo, s4
	s_cbranch_vccz .LBB183_3217
; %bb.3213:
	s_cmp_eq_u32 s2, 44
	s_mov_b32 s0, -1
	s_cbranch_scc0 .LBB183_3217
; %bb.3214:
	s_wait_xcnt 0x0
	v_cvt_f32_f16_e32 v0, v1
	v_mov_b32_e32 v4, 0xff
	s_mov_b32 s4, exec_lo
	s_delay_alu instid0(VALU_DEP_2) | instskip(NEXT) | instid1(VALU_DEP_1)
	v_bfe_u32 v5, v0, 23, 8
	v_cmpx_ne_u32_e32 0xff, v5
	s_cbranch_execz .LBB183_3216
; %bb.3215:
	v_and_b32_e32 v4, 0x400000, v0
	v_and_or_b32 v5, 0x3fffff, v0, v5
	v_lshrrev_b32_e32 v0, 23, v0
	s_delay_alu instid0(VALU_DEP_3) | instskip(NEXT) | instid1(VALU_DEP_3)
	v_cmp_ne_u32_e32 vcc_lo, 0, v4
	v_cmp_ne_u32_e64 s0, 0, v5
	s_and_b32 s0, vcc_lo, s0
	s_delay_alu instid0(SALU_CYCLE_1) | instskip(NEXT) | instid1(VALU_DEP_1)
	v_cndmask_b32_e64 v4, 0, 1, s0
	v_add_nc_u32_e32 v4, v0, v4
.LBB183_3216:
	s_or_b32 exec_lo, exec_lo, s4
	s_mov_b32 s0, 0
	global_store_b8 v[2:3], v4, off
.LBB183_3217:
	s_mov_b32 s4, 0
.LBB183_3218:
	s_delay_alu instid0(SALU_CYCLE_1)
	s_and_b32 vcc_lo, exec_lo, s4
	s_cbranch_vccz .LBB183_3221
; %bb.3219:
	s_cmp_eq_u32 s2, 29
	s_mov_b32 s0, -1
	s_cbranch_scc0 .LBB183_3221
; %bb.3220:
	s_wait_xcnt 0x0
	v_cvt_f32_f16_e32 v0, v1
	v_mov_b32_e32 v5, 0
	s_mov_b32 s0, 0
	s_delay_alu instid0(VALU_DEP_2)
	v_cvt_u32_f32_e32 v4, v0
	global_store_b64 v[2:3], v[4:5], off
.LBB183_3221:
	s_mov_b32 s4, 0
.LBB183_3222:
	s_delay_alu instid0(SALU_CYCLE_1)
	s_and_b32 vcc_lo, exec_lo, s4
	s_cbranch_vccz .LBB183_3237
; %bb.3223:
	s_cmp_lt_i32 s2, 27
	s_mov_b32 s4, -1
	s_cbranch_scc1 .LBB183_3229
; %bb.3224:
	s_cmp_gt_i32 s2, 27
	s_cbranch_scc0 .LBB183_3226
; %bb.3225:
	s_wait_xcnt 0x0
	v_cvt_f32_f16_e32 v0, v1
	s_mov_b32 s4, 0
	s_delay_alu instid0(VALU_DEP_1)
	v_cvt_u32_f32_e32 v0, v0
	global_store_b32 v[2:3], v0, off
.LBB183_3226:
	s_and_not1_b32 vcc_lo, exec_lo, s4
	s_cbranch_vccnz .LBB183_3228
; %bb.3227:
	s_wait_xcnt 0x0
	v_cvt_u16_f16_e32 v0, v1
	global_store_b16 v[2:3], v0, off
.LBB183_3228:
	s_mov_b32 s4, 0
.LBB183_3229:
	s_delay_alu instid0(SALU_CYCLE_1)
	s_and_not1_b32 vcc_lo, exec_lo, s4
	s_cbranch_vccnz .LBB183_3237
; %bb.3230:
	s_wait_xcnt 0x0
	v_cvt_f32_f16_e32 v0, v1
	v_mov_b32_e32 v5, 0x80
	s_mov_b32 s4, exec_lo
	s_delay_alu instid0(VALU_DEP_2) | instskip(NEXT) | instid1(VALU_DEP_1)
	v_and_b32_e32 v4, 0x7fffffff, v0
	v_cmpx_gt_u32_e32 0x43800000, v4
	s_cbranch_execz .LBB183_3236
; %bb.3231:
	v_cmp_lt_u32_e32 vcc_lo, 0x3bffffff, v4
	s_mov_b32 s5, 0
                                        ; implicit-def: $vgpr4
	s_and_saveexec_b32 s9, vcc_lo
	s_delay_alu instid0(SALU_CYCLE_1)
	s_xor_b32 s9, exec_lo, s9
	s_cbranch_execz .LBB183_3342
; %bb.3232:
	v_bfe_u32 v4, v0, 20, 1
	s_mov_b32 s5, exec_lo
	s_delay_alu instid0(VALU_DEP_1) | instskip(NEXT) | instid1(VALU_DEP_1)
	v_add3_u32 v4, v0, v4, 0x487ffff
	v_lshrrev_b32_e32 v4, 20, v4
	s_and_not1_saveexec_b32 s9, s9
	s_cbranch_execnz .LBB183_3343
.LBB183_3233:
	s_or_b32 exec_lo, exec_lo, s9
	v_mov_b32_e32 v5, 0
	s_and_saveexec_b32 s9, s5
.LBB183_3234:
	v_lshrrev_b32_e32 v0, 24, v0
	s_delay_alu instid0(VALU_DEP_1)
	v_and_or_b32 v5, 0x80, v0, v4
.LBB183_3235:
	s_or_b32 exec_lo, exec_lo, s9
.LBB183_3236:
	s_delay_alu instid0(SALU_CYCLE_1)
	s_or_b32 exec_lo, exec_lo, s4
	global_store_b8 v[2:3], v5, off
.LBB183_3237:
	s_mov_b32 s4, 0
.LBB183_3238:
	s_delay_alu instid0(SALU_CYCLE_1)
	s_and_b32 vcc_lo, exec_lo, s4
	s_cbranch_vccz .LBB183_3278
; %bb.3239:
	s_cmp_gt_i32 s2, 22
	s_mov_b32 s3, -1
	s_cbranch_scc0 .LBB183_3271
; %bb.3240:
	s_cmp_lt_i32 s2, 24
	s_cbranch_scc1 .LBB183_3260
; %bb.3241:
	s_cmp_gt_i32 s2, 24
	s_cbranch_scc0 .LBB183_3249
; %bb.3242:
	s_wait_xcnt 0x0
	v_cvt_f32_f16_e32 v0, v1
	v_mov_b32_e32 v5, 0x80
	s_mov_b32 s3, exec_lo
	s_delay_alu instid0(VALU_DEP_2) | instskip(NEXT) | instid1(VALU_DEP_1)
	v_and_b32_e32 v4, 0x7fffffff, v0
	v_cmpx_gt_u32_e32 0x47800000, v4
	s_cbranch_execz .LBB183_3248
; %bb.3243:
	v_cmp_lt_u32_e32 vcc_lo, 0x37ffffff, v4
	s_mov_b32 s4, 0
                                        ; implicit-def: $vgpr4
	s_and_saveexec_b32 s5, vcc_lo
	s_delay_alu instid0(SALU_CYCLE_1)
	s_xor_b32 s5, exec_lo, s5
	s_cbranch_execz .LBB183_3345
; %bb.3244:
	v_bfe_u32 v4, v0, 21, 1
	s_mov_b32 s4, exec_lo
	s_delay_alu instid0(VALU_DEP_1) | instskip(NEXT) | instid1(VALU_DEP_1)
	v_add3_u32 v4, v0, v4, 0x88fffff
	v_lshrrev_b32_e32 v4, 21, v4
	s_and_not1_saveexec_b32 s5, s5
	s_cbranch_execnz .LBB183_3346
.LBB183_3245:
	s_or_b32 exec_lo, exec_lo, s5
	v_mov_b32_e32 v5, 0
	s_and_saveexec_b32 s5, s4
.LBB183_3246:
	v_lshrrev_b32_e32 v0, 24, v0
	s_delay_alu instid0(VALU_DEP_1)
	v_and_or_b32 v5, 0x80, v0, v4
.LBB183_3247:
	s_or_b32 exec_lo, exec_lo, s5
.LBB183_3248:
	s_delay_alu instid0(SALU_CYCLE_1)
	s_or_b32 exec_lo, exec_lo, s3
	s_mov_b32 s3, 0
	global_store_b8 v[2:3], v5, off
.LBB183_3249:
	s_and_b32 vcc_lo, exec_lo, s3
	s_cbranch_vccz .LBB183_3259
; %bb.3250:
	s_wait_xcnt 0x0
	v_cvt_f32_f16_e32 v0, v1
	s_mov_b32 s3, exec_lo
                                        ; implicit-def: $vgpr4
	s_delay_alu instid0(VALU_DEP_1) | instskip(NEXT) | instid1(VALU_DEP_1)
	v_and_b32_e32 v5, 0x7fffffff, v0
	v_cmpx_gt_u32_e32 0x43f00000, v5
	s_xor_b32 s3, exec_lo, s3
	s_cbranch_execz .LBB183_3256
; %bb.3251:
	s_mov_b32 s4, exec_lo
                                        ; implicit-def: $vgpr4
	v_cmpx_lt_u32_e32 0x3c7fffff, v5
	s_xor_b32 s4, exec_lo, s4
; %bb.3252:
	v_bfe_u32 v4, v0, 20, 1
	s_delay_alu instid0(VALU_DEP_1) | instskip(NEXT) | instid1(VALU_DEP_1)
	v_add3_u32 v4, v0, v4, 0x407ffff
	v_and_b32_e32 v5, 0xff00000, v4
	v_lshrrev_b32_e32 v4, 20, v4
	s_delay_alu instid0(VALU_DEP_2) | instskip(NEXT) | instid1(VALU_DEP_2)
	v_cmp_ne_u32_e32 vcc_lo, 0x7f00000, v5
	v_cndmask_b32_e32 v4, 0x7e, v4, vcc_lo
; %bb.3253:
	s_and_not1_saveexec_b32 s4, s4
; %bb.3254:
	v_add_f32_e64 v4, 0x46800000, |v0|
; %bb.3255:
	s_or_b32 exec_lo, exec_lo, s4
                                        ; implicit-def: $vgpr5
.LBB183_3256:
	s_and_not1_saveexec_b32 s3, s3
; %bb.3257:
	v_mov_b32_e32 v4, 0x7f
	v_cmp_lt_u32_e32 vcc_lo, 0x7f800000, v5
	s_delay_alu instid0(VALU_DEP_2)
	v_cndmask_b32_e32 v4, 0x7e, v4, vcc_lo
; %bb.3258:
	s_or_b32 exec_lo, exec_lo, s3
	v_lshrrev_b32_e32 v0, 24, v0
	s_delay_alu instid0(VALU_DEP_1)
	v_and_or_b32 v0, 0x80, v0, v4
	global_store_b8 v[2:3], v0, off
.LBB183_3259:
	s_mov_b32 s3, 0
.LBB183_3260:
	s_delay_alu instid0(SALU_CYCLE_1)
	s_and_not1_b32 vcc_lo, exec_lo, s3
	s_cbranch_vccnz .LBB183_3270
; %bb.3261:
	s_wait_xcnt 0x0
	v_cvt_f32_f16_e32 v0, v1
	s_mov_b32 s3, exec_lo
                                        ; implicit-def: $vgpr4
	s_delay_alu instid0(VALU_DEP_1) | instskip(NEXT) | instid1(VALU_DEP_1)
	v_and_b32_e32 v5, 0x7fffffff, v0
	v_cmpx_gt_u32_e32 0x47800000, v5
	s_xor_b32 s3, exec_lo, s3
	s_cbranch_execz .LBB183_3267
; %bb.3262:
	s_mov_b32 s4, exec_lo
                                        ; implicit-def: $vgpr4
	v_cmpx_lt_u32_e32 0x387fffff, v5
	s_xor_b32 s4, exec_lo, s4
; %bb.3263:
	v_bfe_u32 v4, v0, 21, 1
	s_delay_alu instid0(VALU_DEP_1) | instskip(NEXT) | instid1(VALU_DEP_1)
	v_add3_u32 v4, v0, v4, 0x80fffff
	v_lshrrev_b32_e32 v4, 21, v4
; %bb.3264:
	s_and_not1_saveexec_b32 s4, s4
; %bb.3265:
	v_add_f32_e64 v4, 0x43000000, |v0|
; %bb.3266:
	s_or_b32 exec_lo, exec_lo, s4
                                        ; implicit-def: $vgpr5
.LBB183_3267:
	s_and_not1_saveexec_b32 s3, s3
; %bb.3268:
	v_mov_b32_e32 v4, 0x7f
	v_cmp_lt_u32_e32 vcc_lo, 0x7f800000, v5
	s_delay_alu instid0(VALU_DEP_2)
	v_cndmask_b32_e32 v4, 0x7c, v4, vcc_lo
; %bb.3269:
	s_or_b32 exec_lo, exec_lo, s3
	v_lshrrev_b32_e32 v0, 24, v0
	s_delay_alu instid0(VALU_DEP_1)
	v_and_or_b32 v0, 0x80, v0, v4
	global_store_b8 v[2:3], v0, off
.LBB183_3270:
	s_mov_b32 s3, 0
.LBB183_3271:
	s_delay_alu instid0(SALU_CYCLE_1)
	s_and_not1_b32 vcc_lo, exec_lo, s3
	s_mov_b32 s3, 0
	s_cbranch_vccnz .LBB183_3278
; %bb.3272:
	s_cmp_gt_i32 s2, 14
	s_mov_b32 s3, -1
	s_cbranch_scc0 .LBB183_3276
; %bb.3273:
	s_cmp_eq_u32 s2, 15
	s_mov_b32 s0, -1
	s_cbranch_scc0 .LBB183_3275
; %bb.3274:
	s_wait_xcnt 0x0
	v_cvt_f32_f16_e32 v0, v1
	v_cmp_o_f16_e32 vcc_lo, v1, v1
	s_mov_b32 s0, 0
	s_delay_alu instid0(VALU_DEP_2) | instskip(NEXT) | instid1(VALU_DEP_1)
	v_bfe_u32 v4, v0, 16, 1
	v_add3_u32 v0, v0, v4, 0x7fff
	s_delay_alu instid0(VALU_DEP_1) | instskip(NEXT) | instid1(VALU_DEP_1)
	v_lshrrev_b32_e32 v0, 16, v0
	v_cndmask_b32_e32 v0, 0x7fc0, v0, vcc_lo
	global_store_b16 v[2:3], v0, off
.LBB183_3275:
	s_mov_b32 s3, 0
.LBB183_3276:
	s_delay_alu instid0(SALU_CYCLE_1)
	s_and_b32 vcc_lo, exec_lo, s3
	s_mov_b32 s3, 0
	s_cbranch_vccz .LBB183_3278
; %bb.3277:
	s_cmp_lg_u32 s2, 11
	s_mov_b32 s3, -1
	s_cselect_b32 s0, -1, 0
.LBB183_3278:
	s_delay_alu instid0(SALU_CYCLE_1)
	s_and_b32 vcc_lo, exec_lo, s0
	s_cbranch_vccnz .LBB183_3344
.LBB183_3279:
	s_mov_b32 s0, 0
	s_branch .LBB183_3281
.LBB183_3280:
	s_mov_b32 s0, 0
	s_wait_xcnt 0x0
	s_mov_b32 s3, 0
                                        ; implicit-def: $vgpr2_vgpr3
                                        ; implicit-def: $sgpr1
                                        ; implicit-def: $vgpr1
.LBB183_3281:
	s_and_not1_b32 s2, s6, exec_lo
	s_and_b32 s4, s8, exec_lo
	s_and_b32 s0, s0, exec_lo
	;; [unrolled: 1-line block ×3, first 2 shown]
	s_or_b32 s6, s2, s4
.LBB183_3282:
	s_wait_xcnt 0x0
	s_or_b32 exec_lo, exec_lo, s7
	s_and_saveexec_b32 s2, s6
	s_cbranch_execz .LBB183_3285
; %bb.3283:
	; divergent unreachable
	s_or_b32 exec_lo, exec_lo, s2
	s_and_saveexec_b32 s2, s29
	s_delay_alu instid0(SALU_CYCLE_1)
	s_xor_b32 s2, exec_lo, s2
	s_cbranch_execnz .LBB183_3286
.LBB183_3284:
	s_or_b32 exec_lo, exec_lo, s2
	s_and_saveexec_b32 s2, s0
	s_cbranch_execnz .LBB183_3287
	s_branch .LBB183_3324
.LBB183_3285:
	s_or_b32 exec_lo, exec_lo, s2
	s_and_saveexec_b32 s2, s29
	s_delay_alu instid0(SALU_CYCLE_1)
	s_xor_b32 s2, exec_lo, s2
	s_cbranch_execz .LBB183_3284
.LBB183_3286:
	s_wait_loadcnt 0x0
	v_cmp_neq_f16_e32 vcc_lo, 0, v1
	v_cndmask_b32_e64 v0, 0, 1, vcc_lo
	global_store_b8 v[2:3], v0, off
	s_wait_xcnt 0x0
	s_or_b32 exec_lo, exec_lo, s2
	s_and_saveexec_b32 s2, s0
	s_cbranch_execz .LBB183_3324
.LBB183_3287:
	s_sext_i32_i16 s2, s1
	s_mov_b32 s0, -1
	s_cmp_lt_i32 s2, 5
	s_cbranch_scc1 .LBB183_3308
; %bb.3288:
	s_cmp_lt_i32 s2, 8
	s_cbranch_scc1 .LBB183_3298
; %bb.3289:
	;; [unrolled: 3-line block ×3, first 2 shown]
	s_cmp_gt_i32 s2, 9
	s_cbranch_scc0 .LBB183_3292
; %bb.3291:
	s_wait_loadcnt 0x0
	v_cvt_f32_f16_e32 v0, v1
	v_mov_b32_e32 v6, 0
	s_mov_b32 s0, 0
	s_delay_alu instid0(VALU_DEP_2) | instskip(NEXT) | instid1(VALU_DEP_2)
	v_cvt_f64_f32_e32 v[4:5], v0
	v_mov_b32_e32 v7, v6
	global_store_b128 v[2:3], v[4:7], off
.LBB183_3292:
	s_and_not1_b32 vcc_lo, exec_lo, s0
	s_cbranch_vccnz .LBB183_3294
; %bb.3293:
	s_wait_loadcnt 0x0
	v_cvt_f32_f16_e32 v4, v1
	v_mov_b32_e32 v5, 0
	global_store_b64 v[2:3], v[4:5], off
.LBB183_3294:
	s_mov_b32 s0, 0
.LBB183_3295:
	s_delay_alu instid0(SALU_CYCLE_1)
	s_and_not1_b32 vcc_lo, exec_lo, s0
	s_cbranch_vccnz .LBB183_3297
; %bb.3296:
	s_wait_loadcnt 0x0
	v_and_b32_e32 v0, 0xffff, v1
	global_store_b32 v[2:3], v0, off
.LBB183_3297:
	s_mov_b32 s0, 0
.LBB183_3298:
	s_delay_alu instid0(SALU_CYCLE_1)
	s_and_not1_b32 vcc_lo, exec_lo, s0
	s_cbranch_vccnz .LBB183_3307
; %bb.3299:
	s_sext_i32_i16 s2, s1
	s_mov_b32 s0, -1
	s_cmp_lt_i32 s2, 6
	s_cbranch_scc1 .LBB183_3305
; %bb.3300:
	s_cmp_gt_i32 s2, 6
	s_cbranch_scc0 .LBB183_3302
; %bb.3301:
	s_wait_loadcnt 0x0
	v_cvt_f32_f16_e32 v0, v1
	s_mov_b32 s0, 0
	s_delay_alu instid0(VALU_DEP_1)
	v_cvt_f64_f32_e32 v[4:5], v0
	global_store_b64 v[2:3], v[4:5], off
.LBB183_3302:
	s_and_not1_b32 vcc_lo, exec_lo, s0
	s_cbranch_vccnz .LBB183_3304
; %bb.3303:
	s_wait_loadcnt 0x0
	v_cvt_f32_f16_e32 v0, v1
	global_store_b32 v[2:3], v0, off
.LBB183_3304:
	s_mov_b32 s0, 0
.LBB183_3305:
	s_delay_alu instid0(SALU_CYCLE_1)
	s_and_not1_b32 vcc_lo, exec_lo, s0
	s_cbranch_vccnz .LBB183_3307
; %bb.3306:
	s_wait_loadcnt 0x0
	global_store_b16 v[2:3], v1, off
.LBB183_3307:
	s_mov_b32 s0, 0
.LBB183_3308:
	s_delay_alu instid0(SALU_CYCLE_1)
	s_and_not1_b32 vcc_lo, exec_lo, s0
	s_cbranch_vccnz .LBB183_3324
; %bb.3309:
	s_sext_i32_i16 s2, s1
	s_mov_b32 s0, -1
	s_cmp_lt_i32 s2, 2
	s_cbranch_scc1 .LBB183_3319
; %bb.3310:
	s_cmp_lt_i32 s2, 3
	s_cbranch_scc1 .LBB183_3316
; %bb.3311:
	s_cmp_gt_i32 s2, 3
	s_cbranch_scc0 .LBB183_3313
; %bb.3312:
	s_wait_loadcnt 0x0
	v_cvt_f32_f16_e32 v0, v1
	s_mov_b32 s0, 0
	s_delay_alu instid0(VALU_DEP_1) | instskip(NEXT) | instid1(VALU_DEP_1)
	v_cvt_i32_f32_e32 v4, v0
	v_ashrrev_i32_e32 v5, 31, v4
	global_store_b64 v[2:3], v[4:5], off
.LBB183_3313:
	s_and_not1_b32 vcc_lo, exec_lo, s0
	s_cbranch_vccnz .LBB183_3315
; %bb.3314:
	s_wait_loadcnt 0x0
	v_cvt_f32_f16_e32 v0, v1
	s_delay_alu instid0(VALU_DEP_1)
	v_cvt_i32_f32_e32 v0, v0
	global_store_b32 v[2:3], v0, off
.LBB183_3315:
	s_mov_b32 s0, 0
.LBB183_3316:
	s_delay_alu instid0(SALU_CYCLE_1)
	s_and_not1_b32 vcc_lo, exec_lo, s0
	s_cbranch_vccnz .LBB183_3318
; %bb.3317:
	s_wait_loadcnt 0x0
	v_cvt_i16_f16_e32 v0, v1
	global_store_b16 v[2:3], v0, off
.LBB183_3318:
	s_mov_b32 s0, 0
.LBB183_3319:
	s_delay_alu instid0(SALU_CYCLE_1)
	s_and_not1_b32 vcc_lo, exec_lo, s0
	s_cbranch_vccnz .LBB183_3324
; %bb.3320:
	s_sext_i32_i16 s0, s1
	s_delay_alu instid0(SALU_CYCLE_1)
	s_cmp_gt_i32 s0, 0
	s_mov_b32 s0, -1
	s_cbranch_scc0 .LBB183_3322
; %bb.3321:
	s_wait_loadcnt 0x0
	v_cvt_i16_f16_e32 v0, v1
	s_mov_b32 s0, 0
	global_store_b8 v[2:3], v0, off
.LBB183_3322:
	s_and_not1_b32 vcc_lo, exec_lo, s0
	s_cbranch_vccnz .LBB183_3324
; %bb.3323:
	s_wait_loadcnt 0x0
	v_cvt_f32_f16_e32 v0, v1
	s_delay_alu instid0(VALU_DEP_1)
	v_cvt_i32_f32_e32 v0, v0
	global_store_b8 v[2:3], v0, off
	s_endpgm
.LBB183_3324:
	s_endpgm
.LBB183_3325:
	s_mov_b32 s3, 0
	s_mov_b32 s0, -1
	s_branch .LBB183_3281
.LBB183_3326:
	s_or_b32 s8, s8, exec_lo
	s_trap 2
	s_cbranch_execz .LBB183_2795
	s_branch .LBB183_2796
.LBB183_3327:
	s_and_not1_saveexec_b32 s12, s12
	s_cbranch_execz .LBB183_2875
.LBB183_3328:
	v_add_f32_e64 v5, 0x46000000, |v3|
	s_and_not1_b32 s11, s11, exec_lo
	s_delay_alu instid0(VALU_DEP_1) | instskip(NEXT) | instid1(VALU_DEP_1)
	v_and_b32_e32 v5, 0xff, v5
	v_cmp_ne_u32_e32 vcc_lo, 0, v5
	s_and_b32 s13, vcc_lo, exec_lo
	s_delay_alu instid0(SALU_CYCLE_1)
	s_or_b32 s11, s11, s13
	s_or_b32 exec_lo, exec_lo, s12
	v_mov_b32_e32 v8, 0
	s_and_saveexec_b32 s12, s11
	s_cbranch_execnz .LBB183_2876
	s_branch .LBB183_2877
.LBB183_3329:
	s_or_b32 s8, s8, exec_lo
	s_trap 2
	s_cbranch_execz .LBB183_2923
	s_branch .LBB183_2924
.LBB183_3330:
	s_and_not1_saveexec_b32 s11, s11
	s_cbranch_execz .LBB183_2888
.LBB183_3331:
	v_add_f32_e64 v5, 0x42800000, |v3|
	s_and_not1_b32 s10, s10, exec_lo
	s_delay_alu instid0(VALU_DEP_1) | instskip(NEXT) | instid1(VALU_DEP_1)
	v_and_b32_e32 v5, 0xff, v5
	v_cmp_ne_u32_e32 vcc_lo, 0, v5
	s_and_b32 s12, vcc_lo, exec_lo
	s_delay_alu instid0(SALU_CYCLE_1)
	s_or_b32 s10, s10, s12
	s_or_b32 exec_lo, exec_lo, s11
	v_mov_b32_e32 v8, 0
	s_and_saveexec_b32 s11, s10
	s_cbranch_execnz .LBB183_2889
	s_branch .LBB183_2890
.LBB183_3332:
	s_and_not1_saveexec_b32 s12, s12
	s_cbranch_execz .LBB183_2994
.LBB183_3333:
	v_add_f32_e64 v6, 0x46000000, |v3|
	s_and_not1_b32 s11, s11, exec_lo
	s_delay_alu instid0(VALU_DEP_1) | instskip(NEXT) | instid1(VALU_DEP_1)
	v_and_b32_e32 v6, 0xff, v6
	v_cmp_ne_u32_e32 vcc_lo, 0, v6
	s_and_b32 s13, vcc_lo, exec_lo
	s_delay_alu instid0(SALU_CYCLE_1)
	s_or_b32 s11, s11, s13
	s_or_b32 exec_lo, exec_lo, s12
	v_mov_b32_e32 v7, 0
	s_and_saveexec_b32 s12, s11
	s_cbranch_execnz .LBB183_2995
	s_branch .LBB183_2996
.LBB183_3334:
	s_or_b32 s8, s8, exec_lo
	s_trap 2
	s_cbranch_execz .LBB183_3042
	s_branch .LBB183_3043
.LBB183_3335:
	s_and_not1_saveexec_b32 s11, s11
	s_cbranch_execz .LBB183_3007
.LBB183_3336:
	v_add_f32_e64 v6, 0x42800000, |v3|
	s_and_not1_b32 s10, s10, exec_lo
	s_delay_alu instid0(VALU_DEP_1) | instskip(NEXT) | instid1(VALU_DEP_1)
	v_and_b32_e32 v6, 0xff, v6
	v_cmp_ne_u32_e32 vcc_lo, 0, v6
	s_and_b32 s12, vcc_lo, exec_lo
	s_delay_alu instid0(SALU_CYCLE_1)
	s_or_b32 s10, s10, s12
	s_or_b32 exec_lo, exec_lo, s11
	v_mov_b32_e32 v7, 0
	s_and_saveexec_b32 s11, s10
	s_cbranch_execnz .LBB183_3008
	s_branch .LBB183_3009
.LBB183_3337:
	s_and_not1_saveexec_b32 s12, s12
	s_cbranch_execz .LBB183_3113
.LBB183_3338:
	v_add_f32_e64 v5, 0x46000000, |v4|
	s_and_not1_b32 s11, s11, exec_lo
	s_delay_alu instid0(VALU_DEP_1) | instskip(NEXT) | instid1(VALU_DEP_1)
	v_and_b32_e32 v5, 0xff, v5
	v_cmp_ne_u32_e32 vcc_lo, 0, v5
	s_and_b32 s13, vcc_lo, exec_lo
	s_delay_alu instid0(SALU_CYCLE_1)
	s_or_b32 s11, s11, s13
	s_or_b32 exec_lo, exec_lo, s12
	v_mov_b32_e32 v6, 0
	s_and_saveexec_b32 s12, s11
	s_cbranch_execnz .LBB183_3114
	s_branch .LBB183_3115
.LBB183_3339:
	s_or_b32 s8, s8, exec_lo
	s_trap 2
	s_cbranch_execz .LBB183_3161
	s_branch .LBB183_3162
.LBB183_3340:
	s_and_not1_saveexec_b32 s11, s11
	s_cbranch_execz .LBB183_3126
.LBB183_3341:
	v_add_f32_e64 v5, 0x42800000, |v4|
	s_and_not1_b32 s10, s10, exec_lo
	s_delay_alu instid0(VALU_DEP_1) | instskip(NEXT) | instid1(VALU_DEP_1)
	v_and_b32_e32 v5, 0xff, v5
	v_cmp_ne_u32_e32 vcc_lo, 0, v5
	s_and_b32 s12, vcc_lo, exec_lo
	s_delay_alu instid0(SALU_CYCLE_1)
	s_or_b32 s10, s10, s12
	s_or_b32 exec_lo, exec_lo, s11
	v_mov_b32_e32 v6, 0
	s_and_saveexec_b32 s11, s10
	s_cbranch_execnz .LBB183_3127
	s_branch .LBB183_3128
.LBB183_3342:
	s_and_not1_saveexec_b32 s9, s9
	s_cbranch_execz .LBB183_3233
.LBB183_3343:
	v_add_f32_e64 v4, 0x46000000, |v0|
	s_and_not1_b32 s5, s5, exec_lo
	s_delay_alu instid0(VALU_DEP_1) | instskip(NEXT) | instid1(VALU_DEP_1)
	v_and_b32_e32 v4, 0xff, v4
	v_cmp_ne_u32_e32 vcc_lo, 0, v4
	s_and_b32 s10, vcc_lo, exec_lo
	s_delay_alu instid0(SALU_CYCLE_1)
	s_or_b32 s5, s5, s10
	s_or_b32 exec_lo, exec_lo, s9
	v_mov_b32_e32 v5, 0
	s_and_saveexec_b32 s9, s5
	s_cbranch_execnz .LBB183_3234
	s_branch .LBB183_3235
.LBB183_3344:
	s_mov_b32 s3, 0
	s_or_b32 s8, s8, exec_lo
	s_trap 2
	s_branch .LBB183_3279
.LBB183_3345:
	s_and_not1_saveexec_b32 s5, s5
	s_cbranch_execz .LBB183_3245
.LBB183_3346:
	v_add_f32_e64 v4, 0x42800000, |v0|
	s_and_not1_b32 s4, s4, exec_lo
	s_delay_alu instid0(VALU_DEP_1) | instskip(NEXT) | instid1(VALU_DEP_1)
	v_and_b32_e32 v4, 0xff, v4
	v_cmp_ne_u32_e32 vcc_lo, 0, v4
	s_and_b32 s9, vcc_lo, exec_lo
	s_delay_alu instid0(SALU_CYCLE_1)
	s_or_b32 s4, s4, s9
	s_or_b32 exec_lo, exec_lo, s5
	v_mov_b32_e32 v5, 0
	s_and_saveexec_b32 s5, s4
	s_cbranch_execnz .LBB183_3246
	s_branch .LBB183_3247
	.section	.rodata,"a",@progbits
	.p2align	6, 0x0
	.amdhsa_kernel _ZN2at6native32elementwise_kernel_manual_unrollILi128ELi4EZNS0_15gpu_kernel_implIZZZNS0_12_GLOBAL__N_116addr_kernel_cudaERNS_14TensorIteratorERKN3c106ScalarES9_ENKUlvE_clEvENKUlvE9_clEvEUlNS6_4HalfESC_SC_E_EEvRNS_18TensorIteratorBaseERKT_EUlibE0_EEviT1_
		.amdhsa_group_segment_fixed_size 0
		.amdhsa_private_segment_fixed_size 0
		.amdhsa_kernarg_size 504
		.amdhsa_user_sgpr_count 2
		.amdhsa_user_sgpr_dispatch_ptr 0
		.amdhsa_user_sgpr_queue_ptr 0
		.amdhsa_user_sgpr_kernarg_segment_ptr 1
		.amdhsa_user_sgpr_dispatch_id 0
		.amdhsa_user_sgpr_kernarg_preload_length 0
		.amdhsa_user_sgpr_kernarg_preload_offset 0
		.amdhsa_user_sgpr_private_segment_size 0
		.amdhsa_wavefront_size32 1
		.amdhsa_uses_dynamic_stack 0
		.amdhsa_enable_private_segment 0
		.amdhsa_system_sgpr_workgroup_id_x 1
		.amdhsa_system_sgpr_workgroup_id_y 0
		.amdhsa_system_sgpr_workgroup_id_z 0
		.amdhsa_system_sgpr_workgroup_info 0
		.amdhsa_system_vgpr_workitem_id 0
		.amdhsa_next_free_vgpr 26
		.amdhsa_next_free_sgpr 63
		.amdhsa_named_barrier_count 0
		.amdhsa_reserve_vcc 1
		.amdhsa_float_round_mode_32 0
		.amdhsa_float_round_mode_16_64 0
		.amdhsa_float_denorm_mode_32 3
		.amdhsa_float_denorm_mode_16_64 3
		.amdhsa_fp16_overflow 0
		.amdhsa_memory_ordered 1
		.amdhsa_forward_progress 1
		.amdhsa_inst_pref_size 255
		.amdhsa_round_robin_scheduling 0
		.amdhsa_exception_fp_ieee_invalid_op 0
		.amdhsa_exception_fp_denorm_src 0
		.amdhsa_exception_fp_ieee_div_zero 0
		.amdhsa_exception_fp_ieee_overflow 0
		.amdhsa_exception_fp_ieee_underflow 0
		.amdhsa_exception_fp_ieee_inexact 0
		.amdhsa_exception_int_div_zero 0
	.end_amdhsa_kernel
	.section	.text._ZN2at6native32elementwise_kernel_manual_unrollILi128ELi4EZNS0_15gpu_kernel_implIZZZNS0_12_GLOBAL__N_116addr_kernel_cudaERNS_14TensorIteratorERKN3c106ScalarES9_ENKUlvE_clEvENKUlvE9_clEvEUlNS6_4HalfESC_SC_E_EEvRNS_18TensorIteratorBaseERKT_EUlibE0_EEviT1_,"axG",@progbits,_ZN2at6native32elementwise_kernel_manual_unrollILi128ELi4EZNS0_15gpu_kernel_implIZZZNS0_12_GLOBAL__N_116addr_kernel_cudaERNS_14TensorIteratorERKN3c106ScalarES9_ENKUlvE_clEvENKUlvE9_clEvEUlNS6_4HalfESC_SC_E_EEvRNS_18TensorIteratorBaseERKT_EUlibE0_EEviT1_,comdat
.Lfunc_end183:
	.size	_ZN2at6native32elementwise_kernel_manual_unrollILi128ELi4EZNS0_15gpu_kernel_implIZZZNS0_12_GLOBAL__N_116addr_kernel_cudaERNS_14TensorIteratorERKN3c106ScalarES9_ENKUlvE_clEvENKUlvE9_clEvEUlNS6_4HalfESC_SC_E_EEvRNS_18TensorIteratorBaseERKT_EUlibE0_EEviT1_, .Lfunc_end183-_ZN2at6native32elementwise_kernel_manual_unrollILi128ELi4EZNS0_15gpu_kernel_implIZZZNS0_12_GLOBAL__N_116addr_kernel_cudaERNS_14TensorIteratorERKN3c106ScalarES9_ENKUlvE_clEvENKUlvE9_clEvEUlNS6_4HalfESC_SC_E_EEvRNS_18TensorIteratorBaseERKT_EUlibE0_EEviT1_
                                        ; -- End function
	.set _ZN2at6native32elementwise_kernel_manual_unrollILi128ELi4EZNS0_15gpu_kernel_implIZZZNS0_12_GLOBAL__N_116addr_kernel_cudaERNS_14TensorIteratorERKN3c106ScalarES9_ENKUlvE_clEvENKUlvE9_clEvEUlNS6_4HalfESC_SC_E_EEvRNS_18TensorIteratorBaseERKT_EUlibE0_EEviT1_.num_vgpr, 26
	.set _ZN2at6native32elementwise_kernel_manual_unrollILi128ELi4EZNS0_15gpu_kernel_implIZZZNS0_12_GLOBAL__N_116addr_kernel_cudaERNS_14TensorIteratorERKN3c106ScalarES9_ENKUlvE_clEvENKUlvE9_clEvEUlNS6_4HalfESC_SC_E_EEvRNS_18TensorIteratorBaseERKT_EUlibE0_EEviT1_.num_agpr, 0
	.set _ZN2at6native32elementwise_kernel_manual_unrollILi128ELi4EZNS0_15gpu_kernel_implIZZZNS0_12_GLOBAL__N_116addr_kernel_cudaERNS_14TensorIteratorERKN3c106ScalarES9_ENKUlvE_clEvENKUlvE9_clEvEUlNS6_4HalfESC_SC_E_EEvRNS_18TensorIteratorBaseERKT_EUlibE0_EEviT1_.numbered_sgpr, 63
	.set _ZN2at6native32elementwise_kernel_manual_unrollILi128ELi4EZNS0_15gpu_kernel_implIZZZNS0_12_GLOBAL__N_116addr_kernel_cudaERNS_14TensorIteratorERKN3c106ScalarES9_ENKUlvE_clEvENKUlvE9_clEvEUlNS6_4HalfESC_SC_E_EEvRNS_18TensorIteratorBaseERKT_EUlibE0_EEviT1_.num_named_barrier, 0
	.set _ZN2at6native32elementwise_kernel_manual_unrollILi128ELi4EZNS0_15gpu_kernel_implIZZZNS0_12_GLOBAL__N_116addr_kernel_cudaERNS_14TensorIteratorERKN3c106ScalarES9_ENKUlvE_clEvENKUlvE9_clEvEUlNS6_4HalfESC_SC_E_EEvRNS_18TensorIteratorBaseERKT_EUlibE0_EEviT1_.private_seg_size, 0
	.set _ZN2at6native32elementwise_kernel_manual_unrollILi128ELi4EZNS0_15gpu_kernel_implIZZZNS0_12_GLOBAL__N_116addr_kernel_cudaERNS_14TensorIteratorERKN3c106ScalarES9_ENKUlvE_clEvENKUlvE9_clEvEUlNS6_4HalfESC_SC_E_EEvRNS_18TensorIteratorBaseERKT_EUlibE0_EEviT1_.uses_vcc, 1
	.set _ZN2at6native32elementwise_kernel_manual_unrollILi128ELi4EZNS0_15gpu_kernel_implIZZZNS0_12_GLOBAL__N_116addr_kernel_cudaERNS_14TensorIteratorERKN3c106ScalarES9_ENKUlvE_clEvENKUlvE9_clEvEUlNS6_4HalfESC_SC_E_EEvRNS_18TensorIteratorBaseERKT_EUlibE0_EEviT1_.uses_flat_scratch, 0
	.set _ZN2at6native32elementwise_kernel_manual_unrollILi128ELi4EZNS0_15gpu_kernel_implIZZZNS0_12_GLOBAL__N_116addr_kernel_cudaERNS_14TensorIteratorERKN3c106ScalarES9_ENKUlvE_clEvENKUlvE9_clEvEUlNS6_4HalfESC_SC_E_EEvRNS_18TensorIteratorBaseERKT_EUlibE0_EEviT1_.has_dyn_sized_stack, 0
	.set _ZN2at6native32elementwise_kernel_manual_unrollILi128ELi4EZNS0_15gpu_kernel_implIZZZNS0_12_GLOBAL__N_116addr_kernel_cudaERNS_14TensorIteratorERKN3c106ScalarES9_ENKUlvE_clEvENKUlvE9_clEvEUlNS6_4HalfESC_SC_E_EEvRNS_18TensorIteratorBaseERKT_EUlibE0_EEviT1_.has_recursion, 0
	.set _ZN2at6native32elementwise_kernel_manual_unrollILi128ELi4EZNS0_15gpu_kernel_implIZZZNS0_12_GLOBAL__N_116addr_kernel_cudaERNS_14TensorIteratorERKN3c106ScalarES9_ENKUlvE_clEvENKUlvE9_clEvEUlNS6_4HalfESC_SC_E_EEvRNS_18TensorIteratorBaseERKT_EUlibE0_EEviT1_.has_indirect_call, 0
	.section	.AMDGPU.csdata,"",@progbits
; Kernel info:
; codeLenInByte = 72132
; TotalNumSgprs: 65
; NumVgprs: 26
; ScratchSize: 0
; MemoryBound: 0
; FloatMode: 240
; IeeeMode: 1
; LDSByteSize: 0 bytes/workgroup (compile time only)
; SGPRBlocks: 0
; VGPRBlocks: 1
; NumSGPRsForWavesPerEU: 65
; NumVGPRsForWavesPerEU: 26
; NamedBarCnt: 0
; Occupancy: 16
; WaveLimiterHint : 1
; COMPUTE_PGM_RSRC2:SCRATCH_EN: 0
; COMPUTE_PGM_RSRC2:USER_SGPR: 2
; COMPUTE_PGM_RSRC2:TRAP_HANDLER: 0
; COMPUTE_PGM_RSRC2:TGID_X_EN: 1
; COMPUTE_PGM_RSRC2:TGID_Y_EN: 0
; COMPUTE_PGM_RSRC2:TGID_Z_EN: 0
; COMPUTE_PGM_RSRC2:TIDIG_COMP_CNT: 0
	.section	.text._ZN2at6native29vectorized_elementwise_kernelILi16EZZZNS0_12_GLOBAL__N_116addr_kernel_cudaERNS_14TensorIteratorERKN3c106ScalarES8_ENKUlvE_clEvENKUlvE9_clEvEUlNS5_4HalfESB_SB_E0_St5arrayIPcLm4EEEEviT0_T1_,"axG",@progbits,_ZN2at6native29vectorized_elementwise_kernelILi16EZZZNS0_12_GLOBAL__N_116addr_kernel_cudaERNS_14TensorIteratorERKN3c106ScalarES8_ENKUlvE_clEvENKUlvE9_clEvEUlNS5_4HalfESB_SB_E0_St5arrayIPcLm4EEEEviT0_T1_,comdat
	.globl	_ZN2at6native29vectorized_elementwise_kernelILi16EZZZNS0_12_GLOBAL__N_116addr_kernel_cudaERNS_14TensorIteratorERKN3c106ScalarES8_ENKUlvE_clEvENKUlvE9_clEvEUlNS5_4HalfESB_SB_E0_St5arrayIPcLm4EEEEviT0_T1_ ; -- Begin function _ZN2at6native29vectorized_elementwise_kernelILi16EZZZNS0_12_GLOBAL__N_116addr_kernel_cudaERNS_14TensorIteratorERKN3c106ScalarES8_ENKUlvE_clEvENKUlvE9_clEvEUlNS5_4HalfESB_SB_E0_St5arrayIPcLm4EEEEviT0_T1_
	.p2align	8
	.type	_ZN2at6native29vectorized_elementwise_kernelILi16EZZZNS0_12_GLOBAL__N_116addr_kernel_cudaERNS_14TensorIteratorERKN3c106ScalarES8_ENKUlvE_clEvENKUlvE9_clEvEUlNS5_4HalfESB_SB_E0_St5arrayIPcLm4EEEEviT0_T1_,@function
_ZN2at6native29vectorized_elementwise_kernelILi16EZZZNS0_12_GLOBAL__N_116addr_kernel_cudaERNS_14TensorIteratorERKN3c106ScalarES8_ENKUlvE_clEvENKUlvE9_clEvEUlNS5_4HalfESB_SB_E0_St5arrayIPcLm4EEEEviT0_T1_: ; @_ZN2at6native29vectorized_elementwise_kernelILi16EZZZNS0_12_GLOBAL__N_116addr_kernel_cudaERNS_14TensorIteratorERKN3c106ScalarES8_ENKUlvE_clEvENKUlvE9_clEvEUlNS5_4HalfESB_SB_E0_St5arrayIPcLm4EEEEviT0_T1_
; %bb.0:
	s_clause 0x1
	s_load_b64 s[2:3], s[0:1], 0x0
	s_load_b256 s[4:11], s[0:1], 0x8
	s_wait_xcnt 0x0
	s_bfe_u32 s0, ttmp6, 0x4000c
	s_and_b32 s1, ttmp6, 15
	s_add_co_i32 s0, s0, 1
	s_getreg_b32 s12, hwreg(HW_REG_IB_STS2, 6, 4)
	s_mul_i32 s0, ttmp9, s0
	s_delay_alu instid0(SALU_CYCLE_1) | instskip(SKIP_2) | instid1(SALU_CYCLE_1)
	s_add_co_i32 s1, s1, s0
	s_cmp_eq_u32 s12, 0
	s_cselect_b32 s0, ttmp9, s1
	s_lshl_b32 s12, s0, 11
	s_mov_b32 s0, -1
	s_wait_kmcnt 0x0
	s_sub_co_i32 s1, s2, s12
	s_delay_alu instid0(SALU_CYCLE_1)
	s_cmp_gt_i32 s1, 0x7ff
	s_cbranch_scc0 .LBB184_2
; %bb.1:
	s_ashr_i32 s13, s12, 31
	s_mov_b32 s0, 0
	s_lshl_b64 s[14:15], s[12:13], 1
	s_delay_alu instid0(SALU_CYCLE_1)
	s_add_nc_u64 s[16:17], s[8:9], s[14:15]
	global_load_b128 v[2:5], v0, s[16:17] scale_offset
	s_wait_xcnt 0x0
	s_add_nc_u64 s[16:17], s[10:11], s[14:15]
	global_load_b128 v[6:9], v0, s[16:17] scale_offset
	s_wait_xcnt 0x0
	s_add_nc_u64 s[16:17], s[6:7], s[14:15]
	s_add_nc_u64 s[14:15], s[4:5], s[14:15]
	global_load_b128 v[10:13], v0, s[16:17] scale_offset
	s_wait_loadcnt 0x2
	v_pk_mul_f16 v1, v3, s3 op_sel:[0,1]
	v_pk_mul_f16 v2, v2, s3 op_sel:[0,1]
	;; [unrolled: 1-line block ×4, first 2 shown]
	s_wait_loadcnt 0x1
	v_pk_mul_f16 v1, v1, v7
	v_pk_mul_f16 v2, v2, v6
	;; [unrolled: 1-line block ×4, first 2 shown]
	s_wait_loadcnt 0x0
	v_pk_fma_f16 v3, v11, s3, v1 op_sel_hi:[1,0,1]
	v_pk_fma_f16 v2, v10, s3, v2 op_sel_hi:[1,0,1]
	;; [unrolled: 1-line block ×4, first 2 shown]
	global_store_b128 v0, v[2:5], s[14:15] scale_offset
.LBB184_2:
	s_and_not1_b32 vcc_lo, exec_lo, s0
	s_cbranch_vccnz .LBB184_27
; %bb.3:
	v_cmp_gt_i32_e32 vcc_lo, s1, v0
	s_wait_xcnt 0x0
	v_dual_mov_b32 v1, 0 :: v_dual_bitop2_b32 v2, s12, v0 bitop3:0x54
	v_or_b32_e32 v3, 0x100, v0
	v_dual_mov_b32 v4, 0 :: v_dual_mov_b32 v6, 0
	v_dual_mov_b32 v7, 0 :: v_dual_mov_b32 v14, v0
	s_and_saveexec_b32 s0, vcc_lo
	s_cbranch_execz .LBB184_5
; %bb.4:
	s_clause 0x2
	global_load_u16 v4, v2, s[6:7] scale_offset
	global_load_u16 v6, v2, s[8:9] scale_offset
	;; [unrolled: 1-line block ×3, first 2 shown]
	v_or_b32_e32 v14, 0x100, v0
.LBB184_5:
	s_wait_xcnt 0x0
	s_or_b32 exec_lo, exec_lo, s0
	v_dual_mov_b32 v8, 0 :: v_dual_mov_b32 v9, 0
	s_mov_b32 s2, exec_lo
	v_cmpx_gt_i32_e64 s1, v14
	s_cbranch_execz .LBB184_7
; %bb.6:
	v_add_nc_u32_e32 v5, s12, v14
	v_add_nc_u32_e32 v14, 0x100, v14
	s_clause 0x2
	global_load_u16 v1, v5, s[6:7] scale_offset
	global_load_u16 v8, v5, s[8:9] scale_offset
	global_load_u16 v9, v5, s[10:11] scale_offset
.LBB184_7:
	s_wait_xcnt 0x0
	s_or_b32 exec_lo, exec_lo, s2
	v_dual_mov_b32 v5, 0 :: v_dual_mov_b32 v11, 0
	v_dual_mov_b32 v12, 0 :: v_dual_mov_b32 v13, 0
	s_mov_b32 s2, exec_lo
	v_cmpx_gt_i32_e64 s1, v14
	s_cbranch_execz .LBB184_9
; %bb.8:
	v_add_nc_u32_e32 v10, s12, v14
	v_add_nc_u32_e32 v14, 0x100, v14
	s_clause 0x2
	global_load_u16 v11, v10, s[6:7] scale_offset
	global_load_u16 v12, v10, s[8:9] scale_offset
	global_load_u16 v13, v10, s[10:11] scale_offset
.LBB184_9:
	s_wait_xcnt 0x0
	s_or_b32 exec_lo, exec_lo, s2
	v_dual_mov_b32 v15, 0 :: v_dual_mov_b32 v16, 0
	s_mov_b32 s2, exec_lo
	v_cmpx_gt_i32_e64 s1, v14
	s_cbranch_execz .LBB184_11
; %bb.10:
	v_add_nc_u32_e32 v10, s12, v14
	v_add_nc_u32_e32 v14, 0x100, v14
	s_clause 0x2
	global_load_u16 v5, v10, s[6:7] scale_offset
	global_load_u16 v15, v10, s[8:9] scale_offset
	global_load_u16 v16, v10, s[10:11] scale_offset
.LBB184_11:
	s_wait_xcnt 0x0
	s_or_b32 exec_lo, exec_lo, s2
	v_dual_mov_b32 v10, 0 :: v_dual_mov_b32 v18, 0
	v_dual_mov_b32 v19, 0 :: v_dual_mov_b32 v20, 0
	s_mov_b32 s2, exec_lo
	v_cmpx_gt_i32_e64 s1, v14
	s_cbranch_execz .LBB184_13
; %bb.12:
	v_add_nc_u32_e32 v17, s12, v14
	v_add_nc_u32_e32 v14, 0x100, v14
	s_clause 0x2
	global_load_u16 v18, v17, s[6:7] scale_offset
	global_load_u16 v19, v17, s[8:9] scale_offset
	global_load_u16 v20, v17, s[10:11] scale_offset
.LBB184_13:
	;; [unrolled: 29-line block ×3, first 2 shown]
	s_wait_xcnt 0x0
	s_or_b32 exec_lo, exec_lo, s2
	v_dual_mov_b32 v26, 0 :: v_dual_mov_b32 v27, 0
	s_mov_b32 s2, exec_lo
	v_cmpx_gt_i32_e64 s1, v14
	s_cbranch_execnz .LBB184_28
; %bb.18:
	s_or_b32 exec_lo, exec_lo, s2
	s_lshr_b32 s0, s3, 16
	s_and_saveexec_b32 s2, vcc_lo
	s_cbranch_execnz .LBB184_29
.LBB184_19:
	s_or_b32 exec_lo, exec_lo, s2
	s_delay_alu instid0(SALU_CYCLE_1)
	s_mov_b32 s2, exec_lo
	v_cmpx_gt_i32_e64 s1, v0
	s_cbranch_execnz .LBB184_30
.LBB184_20:
	s_or_b32 exec_lo, exec_lo, s2
	s_delay_alu instid0(SALU_CYCLE_1)
	s_mov_b32 s2, exec_lo
	v_cmpx_gt_i32_e64 s1, v0
	s_cbranch_execnz .LBB184_31
.LBB184_21:
	s_or_b32 exec_lo, exec_lo, s2
	s_delay_alu instid0(SALU_CYCLE_1)
	s_mov_b32 s2, exec_lo
	v_cmpx_gt_i32_e64 s1, v0
	s_cbranch_execnz .LBB184_32
.LBB184_22:
	s_or_b32 exec_lo, exec_lo, s2
	s_delay_alu instid0(SALU_CYCLE_1)
	s_mov_b32 s2, exec_lo
	v_cmpx_gt_i32_e64 s1, v0
	s_cbranch_execnz .LBB184_33
.LBB184_23:
	s_or_b32 exec_lo, exec_lo, s2
	s_delay_alu instid0(SALU_CYCLE_1)
	s_mov_b32 s2, exec_lo
	v_cmpx_gt_i32_e64 s1, v0
	s_cbranch_execnz .LBB184_34
.LBB184_24:
	s_or_b32 exec_lo, exec_lo, s2
	s_delay_alu instid0(SALU_CYCLE_1)
	s_mov_b32 s2, exec_lo
	v_cmpx_gt_i32_e64 s1, v0
	s_cbranch_execnz .LBB184_35
.LBB184_25:
	s_or_b32 exec_lo, exec_lo, s2
	v_cmp_gt_i32_e32 vcc_lo, s1, v0
	s_and_saveexec_b32 s1, vcc_lo
	s_cbranch_execz .LBB184_27
.LBB184_26:
	s_wait_loadcnt 0x1
	v_mul_f16_e32 v1, s0, v26
	v_add_nc_u32_e32 v0, s12, v0
	s_wait_loadcnt 0x0
	s_delay_alu instid0(VALU_DEP_2) | instskip(NEXT) | instid1(VALU_DEP_1)
	v_mul_f16_e32 v1, v1, v27
	v_fmac_f16_e32 v1, s3, v17
	global_store_b16 v0, v1, s[4:5] scale_offset
.LBB184_27:
	s_endpgm
.LBB184_28:
	v_add_nc_u32_e32 v14, s12, v14
	s_clause 0x2
	global_load_u16 v17, v14, s[6:7] scale_offset
	global_load_u16 v26, v14, s[8:9] scale_offset
	;; [unrolled: 1-line block ×3, first 2 shown]
	s_wait_xcnt 0x0
	s_or_b32 exec_lo, exec_lo, s2
	s_lshr_b32 s0, s3, 16
	s_and_saveexec_b32 s2, vcc_lo
	s_cbranch_execz .LBB184_19
.LBB184_29:
	s_wait_loadcnt 0x1
	v_mul_f16_e32 v0, s0, v6
	s_wait_loadcnt 0x0
	s_delay_alu instid0(VALU_DEP_1) | instskip(SKIP_1) | instid1(VALU_DEP_2)
	v_mul_f16_e32 v6, v0, v7
	v_mov_b32_e32 v0, v3
	v_fmac_f16_e32 v6, s3, v4
	global_store_b16 v2, v6, s[4:5] scale_offset
	s_wait_xcnt 0x0
	s_or_b32 exec_lo, exec_lo, s2
	s_delay_alu instid0(SALU_CYCLE_1)
	s_mov_b32 s2, exec_lo
	v_cmpx_gt_i32_e64 s1, v0
	s_cbranch_execz .LBB184_20
.LBB184_30:
	s_wait_loadcnt 0x1
	v_mul_f16_e32 v2, s0, v8
	s_wait_loadcnt 0x0
	s_delay_alu instid0(VALU_DEP_1) | instskip(NEXT) | instid1(VALU_DEP_1)
	v_mul_f16_e32 v2, v2, v9
	v_fmac_f16_e32 v2, s3, v1
	v_add_nc_u32_e32 v1, s12, v0
	v_add_nc_u32_e32 v0, 0x100, v0
	global_store_b16 v1, v2, s[4:5] scale_offset
	s_wait_xcnt 0x0
	s_or_b32 exec_lo, exec_lo, s2
	s_delay_alu instid0(SALU_CYCLE_1)
	s_mov_b32 s2, exec_lo
	v_cmpx_gt_i32_e64 s1, v0
	s_cbranch_execz .LBB184_21
.LBB184_31:
	s_wait_loadcnt 0x1
	v_mul_f16_e32 v1, s0, v12
	v_add_nc_u32_e32 v2, s12, v0
	v_add_nc_u32_e32 v0, 0x100, v0
	s_wait_loadcnt 0x0
	s_delay_alu instid0(VALU_DEP_3) | instskip(NEXT) | instid1(VALU_DEP_1)
	v_mul_f16_e32 v1, v1, v13
	v_fmac_f16_e32 v1, s3, v11
	global_store_b16 v2, v1, s[4:5] scale_offset
	s_wait_xcnt 0x0
	s_or_b32 exec_lo, exec_lo, s2
	s_delay_alu instid0(SALU_CYCLE_1)
	s_mov_b32 s2, exec_lo
	v_cmpx_gt_i32_e64 s1, v0
	s_cbranch_execz .LBB184_22
.LBB184_32:
	s_wait_loadcnt 0x1
	v_mul_f16_e32 v1, s0, v15
	v_add_nc_u32_e32 v2, s12, v0
	v_add_nc_u32_e32 v0, 0x100, v0
	s_wait_loadcnt 0x0
	s_delay_alu instid0(VALU_DEP_3) | instskip(NEXT) | instid1(VALU_DEP_1)
	v_mul_f16_e32 v1, v1, v16
	v_fmac_f16_e32 v1, s3, v5
	global_store_b16 v2, v1, s[4:5] scale_offset
	s_wait_xcnt 0x0
	s_or_b32 exec_lo, exec_lo, s2
	s_delay_alu instid0(SALU_CYCLE_1)
	s_mov_b32 s2, exec_lo
	v_cmpx_gt_i32_e64 s1, v0
	s_cbranch_execz .LBB184_23
.LBB184_33:
	s_wait_loadcnt 0x1
	v_mul_f16_e32 v1, s0, v19
	v_add_nc_u32_e32 v2, s12, v0
	v_add_nc_u32_e32 v0, 0x100, v0
	s_wait_loadcnt 0x0
	s_delay_alu instid0(VALU_DEP_3) | instskip(NEXT) | instid1(VALU_DEP_1)
	v_mul_f16_e32 v1, v1, v20
	v_fmac_f16_e32 v1, s3, v18
	global_store_b16 v2, v1, s[4:5] scale_offset
	s_wait_xcnt 0x0
	s_or_b32 exec_lo, exec_lo, s2
	s_delay_alu instid0(SALU_CYCLE_1)
	s_mov_b32 s2, exec_lo
	v_cmpx_gt_i32_e64 s1, v0
	s_cbranch_execz .LBB184_24
.LBB184_34:
	s_wait_loadcnt 0x1
	v_mul_f16_e32 v1, s0, v21
	v_add_nc_u32_e32 v2, s12, v0
	v_add_nc_u32_e32 v0, 0x100, v0
	s_wait_loadcnt 0x0
	s_delay_alu instid0(VALU_DEP_3) | instskip(NEXT) | instid1(VALU_DEP_1)
	v_mul_f16_e32 v1, v1, v22
	v_fmac_f16_e32 v1, s3, v10
	global_store_b16 v2, v1, s[4:5] scale_offset
	s_wait_xcnt 0x0
	s_or_b32 exec_lo, exec_lo, s2
	s_delay_alu instid0(SALU_CYCLE_1)
	s_mov_b32 s2, exec_lo
	v_cmpx_gt_i32_e64 s1, v0
	s_cbranch_execz .LBB184_25
.LBB184_35:
	s_wait_loadcnt 0x1
	v_mul_f16_e32 v1, s0, v24
	v_add_nc_u32_e32 v2, s12, v0
	v_add_nc_u32_e32 v0, 0x100, v0
	s_wait_loadcnt 0x0
	s_delay_alu instid0(VALU_DEP_3) | instskip(NEXT) | instid1(VALU_DEP_1)
	v_mul_f16_e32 v1, v1, v25
	v_fmac_f16_e32 v1, s3, v23
	global_store_b16 v2, v1, s[4:5] scale_offset
	s_wait_xcnt 0x0
	s_or_b32 exec_lo, exec_lo, s2
	v_cmp_gt_i32_e32 vcc_lo, s1, v0
	s_and_saveexec_b32 s1, vcc_lo
	s_cbranch_execnz .LBB184_26
	s_branch .LBB184_27
	.section	.rodata,"a",@progbits
	.p2align	6, 0x0
	.amdhsa_kernel _ZN2at6native29vectorized_elementwise_kernelILi16EZZZNS0_12_GLOBAL__N_116addr_kernel_cudaERNS_14TensorIteratorERKN3c106ScalarES8_ENKUlvE_clEvENKUlvE9_clEvEUlNS5_4HalfESB_SB_E0_St5arrayIPcLm4EEEEviT0_T1_
		.amdhsa_group_segment_fixed_size 0
		.amdhsa_private_segment_fixed_size 0
		.amdhsa_kernarg_size 40
		.amdhsa_user_sgpr_count 2
		.amdhsa_user_sgpr_dispatch_ptr 0
		.amdhsa_user_sgpr_queue_ptr 0
		.amdhsa_user_sgpr_kernarg_segment_ptr 1
		.amdhsa_user_sgpr_dispatch_id 0
		.amdhsa_user_sgpr_kernarg_preload_length 0
		.amdhsa_user_sgpr_kernarg_preload_offset 0
		.amdhsa_user_sgpr_private_segment_size 0
		.amdhsa_wavefront_size32 1
		.amdhsa_uses_dynamic_stack 0
		.amdhsa_enable_private_segment 0
		.amdhsa_system_sgpr_workgroup_id_x 1
		.amdhsa_system_sgpr_workgroup_id_y 0
		.amdhsa_system_sgpr_workgroup_id_z 0
		.amdhsa_system_sgpr_workgroup_info 0
		.amdhsa_system_vgpr_workitem_id 0
		.amdhsa_next_free_vgpr 28
		.amdhsa_next_free_sgpr 18
		.amdhsa_named_barrier_count 0
		.amdhsa_reserve_vcc 1
		.amdhsa_float_round_mode_32 0
		.amdhsa_float_round_mode_16_64 0
		.amdhsa_float_denorm_mode_32 3
		.amdhsa_float_denorm_mode_16_64 3
		.amdhsa_fp16_overflow 0
		.amdhsa_memory_ordered 1
		.amdhsa_forward_progress 1
		.amdhsa_inst_pref_size 14
		.amdhsa_round_robin_scheduling 0
		.amdhsa_exception_fp_ieee_invalid_op 0
		.amdhsa_exception_fp_denorm_src 0
		.amdhsa_exception_fp_ieee_div_zero 0
		.amdhsa_exception_fp_ieee_overflow 0
		.amdhsa_exception_fp_ieee_underflow 0
		.amdhsa_exception_fp_ieee_inexact 0
		.amdhsa_exception_int_div_zero 0
	.end_amdhsa_kernel
	.section	.text._ZN2at6native29vectorized_elementwise_kernelILi16EZZZNS0_12_GLOBAL__N_116addr_kernel_cudaERNS_14TensorIteratorERKN3c106ScalarES8_ENKUlvE_clEvENKUlvE9_clEvEUlNS5_4HalfESB_SB_E0_St5arrayIPcLm4EEEEviT0_T1_,"axG",@progbits,_ZN2at6native29vectorized_elementwise_kernelILi16EZZZNS0_12_GLOBAL__N_116addr_kernel_cudaERNS_14TensorIteratorERKN3c106ScalarES8_ENKUlvE_clEvENKUlvE9_clEvEUlNS5_4HalfESB_SB_E0_St5arrayIPcLm4EEEEviT0_T1_,comdat
.Lfunc_end184:
	.size	_ZN2at6native29vectorized_elementwise_kernelILi16EZZZNS0_12_GLOBAL__N_116addr_kernel_cudaERNS_14TensorIteratorERKN3c106ScalarES8_ENKUlvE_clEvENKUlvE9_clEvEUlNS5_4HalfESB_SB_E0_St5arrayIPcLm4EEEEviT0_T1_, .Lfunc_end184-_ZN2at6native29vectorized_elementwise_kernelILi16EZZZNS0_12_GLOBAL__N_116addr_kernel_cudaERNS_14TensorIteratorERKN3c106ScalarES8_ENKUlvE_clEvENKUlvE9_clEvEUlNS5_4HalfESB_SB_E0_St5arrayIPcLm4EEEEviT0_T1_
                                        ; -- End function
	.set _ZN2at6native29vectorized_elementwise_kernelILi16EZZZNS0_12_GLOBAL__N_116addr_kernel_cudaERNS_14TensorIteratorERKN3c106ScalarES8_ENKUlvE_clEvENKUlvE9_clEvEUlNS5_4HalfESB_SB_E0_St5arrayIPcLm4EEEEviT0_T1_.num_vgpr, 28
	.set _ZN2at6native29vectorized_elementwise_kernelILi16EZZZNS0_12_GLOBAL__N_116addr_kernel_cudaERNS_14TensorIteratorERKN3c106ScalarES8_ENKUlvE_clEvENKUlvE9_clEvEUlNS5_4HalfESB_SB_E0_St5arrayIPcLm4EEEEviT0_T1_.num_agpr, 0
	.set _ZN2at6native29vectorized_elementwise_kernelILi16EZZZNS0_12_GLOBAL__N_116addr_kernel_cudaERNS_14TensorIteratorERKN3c106ScalarES8_ENKUlvE_clEvENKUlvE9_clEvEUlNS5_4HalfESB_SB_E0_St5arrayIPcLm4EEEEviT0_T1_.numbered_sgpr, 18
	.set _ZN2at6native29vectorized_elementwise_kernelILi16EZZZNS0_12_GLOBAL__N_116addr_kernel_cudaERNS_14TensorIteratorERKN3c106ScalarES8_ENKUlvE_clEvENKUlvE9_clEvEUlNS5_4HalfESB_SB_E0_St5arrayIPcLm4EEEEviT0_T1_.num_named_barrier, 0
	.set _ZN2at6native29vectorized_elementwise_kernelILi16EZZZNS0_12_GLOBAL__N_116addr_kernel_cudaERNS_14TensorIteratorERKN3c106ScalarES8_ENKUlvE_clEvENKUlvE9_clEvEUlNS5_4HalfESB_SB_E0_St5arrayIPcLm4EEEEviT0_T1_.private_seg_size, 0
	.set _ZN2at6native29vectorized_elementwise_kernelILi16EZZZNS0_12_GLOBAL__N_116addr_kernel_cudaERNS_14TensorIteratorERKN3c106ScalarES8_ENKUlvE_clEvENKUlvE9_clEvEUlNS5_4HalfESB_SB_E0_St5arrayIPcLm4EEEEviT0_T1_.uses_vcc, 1
	.set _ZN2at6native29vectorized_elementwise_kernelILi16EZZZNS0_12_GLOBAL__N_116addr_kernel_cudaERNS_14TensorIteratorERKN3c106ScalarES8_ENKUlvE_clEvENKUlvE9_clEvEUlNS5_4HalfESB_SB_E0_St5arrayIPcLm4EEEEviT0_T1_.uses_flat_scratch, 0
	.set _ZN2at6native29vectorized_elementwise_kernelILi16EZZZNS0_12_GLOBAL__N_116addr_kernel_cudaERNS_14TensorIteratorERKN3c106ScalarES8_ENKUlvE_clEvENKUlvE9_clEvEUlNS5_4HalfESB_SB_E0_St5arrayIPcLm4EEEEviT0_T1_.has_dyn_sized_stack, 0
	.set _ZN2at6native29vectorized_elementwise_kernelILi16EZZZNS0_12_GLOBAL__N_116addr_kernel_cudaERNS_14TensorIteratorERKN3c106ScalarES8_ENKUlvE_clEvENKUlvE9_clEvEUlNS5_4HalfESB_SB_E0_St5arrayIPcLm4EEEEviT0_T1_.has_recursion, 0
	.set _ZN2at6native29vectorized_elementwise_kernelILi16EZZZNS0_12_GLOBAL__N_116addr_kernel_cudaERNS_14TensorIteratorERKN3c106ScalarES8_ENKUlvE_clEvENKUlvE9_clEvEUlNS5_4HalfESB_SB_E0_St5arrayIPcLm4EEEEviT0_T1_.has_indirect_call, 0
	.section	.AMDGPU.csdata,"",@progbits
; Kernel info:
; codeLenInByte = 1780
; TotalNumSgprs: 20
; NumVgprs: 28
; ScratchSize: 0
; MemoryBound: 0
; FloatMode: 240
; IeeeMode: 1
; LDSByteSize: 0 bytes/workgroup (compile time only)
; SGPRBlocks: 0
; VGPRBlocks: 1
; NumSGPRsForWavesPerEU: 20
; NumVGPRsForWavesPerEU: 28
; NamedBarCnt: 0
; Occupancy: 16
; WaveLimiterHint : 0
; COMPUTE_PGM_RSRC2:SCRATCH_EN: 0
; COMPUTE_PGM_RSRC2:USER_SGPR: 2
; COMPUTE_PGM_RSRC2:TRAP_HANDLER: 0
; COMPUTE_PGM_RSRC2:TGID_X_EN: 1
; COMPUTE_PGM_RSRC2:TGID_Y_EN: 0
; COMPUTE_PGM_RSRC2:TGID_Z_EN: 0
; COMPUTE_PGM_RSRC2:TIDIG_COMP_CNT: 0
	.section	.text._ZN2at6native29vectorized_elementwise_kernelILi8EZZZNS0_12_GLOBAL__N_116addr_kernel_cudaERNS_14TensorIteratorERKN3c106ScalarES8_ENKUlvE_clEvENKUlvE9_clEvEUlNS5_4HalfESB_SB_E0_St5arrayIPcLm4EEEEviT0_T1_,"axG",@progbits,_ZN2at6native29vectorized_elementwise_kernelILi8EZZZNS0_12_GLOBAL__N_116addr_kernel_cudaERNS_14TensorIteratorERKN3c106ScalarES8_ENKUlvE_clEvENKUlvE9_clEvEUlNS5_4HalfESB_SB_E0_St5arrayIPcLm4EEEEviT0_T1_,comdat
	.globl	_ZN2at6native29vectorized_elementwise_kernelILi8EZZZNS0_12_GLOBAL__N_116addr_kernel_cudaERNS_14TensorIteratorERKN3c106ScalarES8_ENKUlvE_clEvENKUlvE9_clEvEUlNS5_4HalfESB_SB_E0_St5arrayIPcLm4EEEEviT0_T1_ ; -- Begin function _ZN2at6native29vectorized_elementwise_kernelILi8EZZZNS0_12_GLOBAL__N_116addr_kernel_cudaERNS_14TensorIteratorERKN3c106ScalarES8_ENKUlvE_clEvENKUlvE9_clEvEUlNS5_4HalfESB_SB_E0_St5arrayIPcLm4EEEEviT0_T1_
	.p2align	8
	.type	_ZN2at6native29vectorized_elementwise_kernelILi8EZZZNS0_12_GLOBAL__N_116addr_kernel_cudaERNS_14TensorIteratorERKN3c106ScalarES8_ENKUlvE_clEvENKUlvE9_clEvEUlNS5_4HalfESB_SB_E0_St5arrayIPcLm4EEEEviT0_T1_,@function
_ZN2at6native29vectorized_elementwise_kernelILi8EZZZNS0_12_GLOBAL__N_116addr_kernel_cudaERNS_14TensorIteratorERKN3c106ScalarES8_ENKUlvE_clEvENKUlvE9_clEvEUlNS5_4HalfESB_SB_E0_St5arrayIPcLm4EEEEviT0_T1_: ; @_ZN2at6native29vectorized_elementwise_kernelILi8EZZZNS0_12_GLOBAL__N_116addr_kernel_cudaERNS_14TensorIteratorERKN3c106ScalarES8_ENKUlvE_clEvENKUlvE9_clEvEUlNS5_4HalfESB_SB_E0_St5arrayIPcLm4EEEEviT0_T1_
; %bb.0:
	s_clause 0x1
	s_load_b64 s[2:3], s[0:1], 0x0
	s_load_b256 s[4:11], s[0:1], 0x8
	s_wait_xcnt 0x0
	s_bfe_u32 s0, ttmp6, 0x4000c
	s_and_b32 s1, ttmp6, 15
	s_add_co_i32 s0, s0, 1
	s_getreg_b32 s12, hwreg(HW_REG_IB_STS2, 6, 4)
	s_mul_i32 s0, ttmp9, s0
	s_delay_alu instid0(SALU_CYCLE_1) | instskip(SKIP_2) | instid1(SALU_CYCLE_1)
	s_add_co_i32 s1, s1, s0
	s_cmp_eq_u32 s12, 0
	s_cselect_b32 s0, ttmp9, s1
	s_lshl_b32 s12, s0, 11
	s_mov_b32 s0, -1
	s_wait_kmcnt 0x0
	s_sub_co_i32 s1, s2, s12
	s_delay_alu instid0(SALU_CYCLE_1)
	s_cmp_gt_i32 s1, 0x7ff
	s_cbranch_scc0 .LBB185_2
; %bb.1:
	s_ashr_i32 s13, s12, 31
	s_mov_b32 s0, 0
	s_lshl_b64 s[14:15], s[12:13], 1
	s_delay_alu instid0(SALU_CYCLE_1)
	s_add_nc_u64 s[16:17], s[8:9], s[14:15]
	global_load_b128 v[2:5], v0, s[16:17] scale_offset
	s_wait_xcnt 0x0
	s_add_nc_u64 s[16:17], s[10:11], s[14:15]
	global_load_b128 v[6:9], v0, s[16:17] scale_offset
	s_wait_xcnt 0x0
	s_add_nc_u64 s[16:17], s[6:7], s[14:15]
	s_add_nc_u64 s[14:15], s[4:5], s[14:15]
	global_load_b128 v[10:13], v0, s[16:17] scale_offset
	s_wait_loadcnt 0x2
	v_pk_mul_f16 v1, v3, s3 op_sel:[0,1]
	v_pk_mul_f16 v2, v2, s3 op_sel:[0,1]
	;; [unrolled: 1-line block ×4, first 2 shown]
	s_wait_loadcnt 0x1
	v_pk_mul_f16 v1, v1, v7
	v_pk_mul_f16 v2, v2, v6
	v_pk_mul_f16 v5, v3, v9
	v_pk_mul_f16 v4, v4, v8
	s_wait_loadcnt 0x0
	v_pk_fma_f16 v3, v11, s3, v1 op_sel_hi:[1,0,1]
	v_pk_fma_f16 v2, v10, s3, v2 op_sel_hi:[1,0,1]
	;; [unrolled: 1-line block ×4, first 2 shown]
	global_store_b128 v0, v[2:5], s[14:15] scale_offset
.LBB185_2:
	s_and_not1_b32 vcc_lo, exec_lo, s0
	s_cbranch_vccnz .LBB185_27
; %bb.3:
	v_cmp_gt_i32_e32 vcc_lo, s1, v0
	s_wait_xcnt 0x0
	v_dual_mov_b32 v1, 0 :: v_dual_bitop2_b32 v2, s12, v0 bitop3:0x54
	v_or_b32_e32 v3, 0x100, v0
	v_dual_mov_b32 v4, 0 :: v_dual_mov_b32 v6, 0
	v_dual_mov_b32 v7, 0 :: v_dual_mov_b32 v14, v0
	s_and_saveexec_b32 s0, vcc_lo
	s_cbranch_execz .LBB185_5
; %bb.4:
	s_clause 0x2
	global_load_u16 v4, v2, s[6:7] scale_offset
	global_load_u16 v6, v2, s[8:9] scale_offset
	;; [unrolled: 1-line block ×3, first 2 shown]
	v_or_b32_e32 v14, 0x100, v0
.LBB185_5:
	s_wait_xcnt 0x0
	s_or_b32 exec_lo, exec_lo, s0
	v_dual_mov_b32 v8, 0 :: v_dual_mov_b32 v9, 0
	s_mov_b32 s2, exec_lo
	v_cmpx_gt_i32_e64 s1, v14
	s_cbranch_execz .LBB185_7
; %bb.6:
	v_add_nc_u32_e32 v5, s12, v14
	v_add_nc_u32_e32 v14, 0x100, v14
	s_clause 0x2
	global_load_u16 v1, v5, s[6:7] scale_offset
	global_load_u16 v8, v5, s[8:9] scale_offset
	global_load_u16 v9, v5, s[10:11] scale_offset
.LBB185_7:
	s_wait_xcnt 0x0
	s_or_b32 exec_lo, exec_lo, s2
	v_dual_mov_b32 v5, 0 :: v_dual_mov_b32 v11, 0
	v_dual_mov_b32 v12, 0 :: v_dual_mov_b32 v13, 0
	s_mov_b32 s2, exec_lo
	v_cmpx_gt_i32_e64 s1, v14
	s_cbranch_execz .LBB185_9
; %bb.8:
	v_add_nc_u32_e32 v10, s12, v14
	v_add_nc_u32_e32 v14, 0x100, v14
	s_clause 0x2
	global_load_u16 v11, v10, s[6:7] scale_offset
	global_load_u16 v12, v10, s[8:9] scale_offset
	global_load_u16 v13, v10, s[10:11] scale_offset
.LBB185_9:
	s_wait_xcnt 0x0
	s_or_b32 exec_lo, exec_lo, s2
	v_dual_mov_b32 v15, 0 :: v_dual_mov_b32 v16, 0
	s_mov_b32 s2, exec_lo
	v_cmpx_gt_i32_e64 s1, v14
	s_cbranch_execz .LBB185_11
; %bb.10:
	v_add_nc_u32_e32 v10, s12, v14
	v_add_nc_u32_e32 v14, 0x100, v14
	s_clause 0x2
	global_load_u16 v5, v10, s[6:7] scale_offset
	global_load_u16 v15, v10, s[8:9] scale_offset
	global_load_u16 v16, v10, s[10:11] scale_offset
.LBB185_11:
	s_wait_xcnt 0x0
	s_or_b32 exec_lo, exec_lo, s2
	v_dual_mov_b32 v10, 0 :: v_dual_mov_b32 v18, 0
	v_dual_mov_b32 v19, 0 :: v_dual_mov_b32 v20, 0
	s_mov_b32 s2, exec_lo
	v_cmpx_gt_i32_e64 s1, v14
	s_cbranch_execz .LBB185_13
; %bb.12:
	v_add_nc_u32_e32 v17, s12, v14
	v_add_nc_u32_e32 v14, 0x100, v14
	s_clause 0x2
	global_load_u16 v18, v17, s[6:7] scale_offset
	global_load_u16 v19, v17, s[8:9] scale_offset
	global_load_u16 v20, v17, s[10:11] scale_offset
.LBB185_13:
	;; [unrolled: 29-line block ×3, first 2 shown]
	s_wait_xcnt 0x0
	s_or_b32 exec_lo, exec_lo, s2
	v_dual_mov_b32 v26, 0 :: v_dual_mov_b32 v27, 0
	s_mov_b32 s2, exec_lo
	v_cmpx_gt_i32_e64 s1, v14
	s_cbranch_execnz .LBB185_28
; %bb.18:
	s_or_b32 exec_lo, exec_lo, s2
	s_lshr_b32 s0, s3, 16
	s_and_saveexec_b32 s2, vcc_lo
	s_cbranch_execnz .LBB185_29
.LBB185_19:
	s_or_b32 exec_lo, exec_lo, s2
	s_delay_alu instid0(SALU_CYCLE_1)
	s_mov_b32 s2, exec_lo
	v_cmpx_gt_i32_e64 s1, v0
	s_cbranch_execnz .LBB185_30
.LBB185_20:
	s_or_b32 exec_lo, exec_lo, s2
	s_delay_alu instid0(SALU_CYCLE_1)
	s_mov_b32 s2, exec_lo
	v_cmpx_gt_i32_e64 s1, v0
	s_cbranch_execnz .LBB185_31
.LBB185_21:
	s_or_b32 exec_lo, exec_lo, s2
	s_delay_alu instid0(SALU_CYCLE_1)
	s_mov_b32 s2, exec_lo
	v_cmpx_gt_i32_e64 s1, v0
	s_cbranch_execnz .LBB185_32
.LBB185_22:
	s_or_b32 exec_lo, exec_lo, s2
	s_delay_alu instid0(SALU_CYCLE_1)
	s_mov_b32 s2, exec_lo
	v_cmpx_gt_i32_e64 s1, v0
	s_cbranch_execnz .LBB185_33
.LBB185_23:
	s_or_b32 exec_lo, exec_lo, s2
	s_delay_alu instid0(SALU_CYCLE_1)
	s_mov_b32 s2, exec_lo
	v_cmpx_gt_i32_e64 s1, v0
	s_cbranch_execnz .LBB185_34
.LBB185_24:
	s_or_b32 exec_lo, exec_lo, s2
	s_delay_alu instid0(SALU_CYCLE_1)
	s_mov_b32 s2, exec_lo
	v_cmpx_gt_i32_e64 s1, v0
	s_cbranch_execnz .LBB185_35
.LBB185_25:
	s_or_b32 exec_lo, exec_lo, s2
	v_cmp_gt_i32_e32 vcc_lo, s1, v0
	s_and_saveexec_b32 s1, vcc_lo
	s_cbranch_execz .LBB185_27
.LBB185_26:
	s_wait_loadcnt 0x1
	v_mul_f16_e32 v1, s0, v26
	v_add_nc_u32_e32 v0, s12, v0
	s_wait_loadcnt 0x0
	s_delay_alu instid0(VALU_DEP_2) | instskip(NEXT) | instid1(VALU_DEP_1)
	v_mul_f16_e32 v1, v1, v27
	v_fmac_f16_e32 v1, s3, v17
	global_store_b16 v0, v1, s[4:5] scale_offset
.LBB185_27:
	s_endpgm
.LBB185_28:
	v_add_nc_u32_e32 v14, s12, v14
	s_clause 0x2
	global_load_u16 v17, v14, s[6:7] scale_offset
	global_load_u16 v26, v14, s[8:9] scale_offset
	;; [unrolled: 1-line block ×3, first 2 shown]
	s_wait_xcnt 0x0
	s_or_b32 exec_lo, exec_lo, s2
	s_lshr_b32 s0, s3, 16
	s_and_saveexec_b32 s2, vcc_lo
	s_cbranch_execz .LBB185_19
.LBB185_29:
	s_wait_loadcnt 0x1
	v_mul_f16_e32 v0, s0, v6
	s_wait_loadcnt 0x0
	s_delay_alu instid0(VALU_DEP_1) | instskip(SKIP_1) | instid1(VALU_DEP_2)
	v_mul_f16_e32 v6, v0, v7
	v_mov_b32_e32 v0, v3
	v_fmac_f16_e32 v6, s3, v4
	global_store_b16 v2, v6, s[4:5] scale_offset
	s_wait_xcnt 0x0
	s_or_b32 exec_lo, exec_lo, s2
	s_delay_alu instid0(SALU_CYCLE_1)
	s_mov_b32 s2, exec_lo
	v_cmpx_gt_i32_e64 s1, v0
	s_cbranch_execz .LBB185_20
.LBB185_30:
	s_wait_loadcnt 0x1
	v_mul_f16_e32 v2, s0, v8
	s_wait_loadcnt 0x0
	s_delay_alu instid0(VALU_DEP_1) | instskip(NEXT) | instid1(VALU_DEP_1)
	v_mul_f16_e32 v2, v2, v9
	v_fmac_f16_e32 v2, s3, v1
	v_add_nc_u32_e32 v1, s12, v0
	v_add_nc_u32_e32 v0, 0x100, v0
	global_store_b16 v1, v2, s[4:5] scale_offset
	s_wait_xcnt 0x0
	s_or_b32 exec_lo, exec_lo, s2
	s_delay_alu instid0(SALU_CYCLE_1)
	s_mov_b32 s2, exec_lo
	v_cmpx_gt_i32_e64 s1, v0
	s_cbranch_execz .LBB185_21
.LBB185_31:
	s_wait_loadcnt 0x1
	v_mul_f16_e32 v1, s0, v12
	v_add_nc_u32_e32 v2, s12, v0
	v_add_nc_u32_e32 v0, 0x100, v0
	s_wait_loadcnt 0x0
	s_delay_alu instid0(VALU_DEP_3) | instskip(NEXT) | instid1(VALU_DEP_1)
	v_mul_f16_e32 v1, v1, v13
	v_fmac_f16_e32 v1, s3, v11
	global_store_b16 v2, v1, s[4:5] scale_offset
	s_wait_xcnt 0x0
	s_or_b32 exec_lo, exec_lo, s2
	s_delay_alu instid0(SALU_CYCLE_1)
	s_mov_b32 s2, exec_lo
	v_cmpx_gt_i32_e64 s1, v0
	s_cbranch_execz .LBB185_22
.LBB185_32:
	s_wait_loadcnt 0x1
	v_mul_f16_e32 v1, s0, v15
	v_add_nc_u32_e32 v2, s12, v0
	v_add_nc_u32_e32 v0, 0x100, v0
	s_wait_loadcnt 0x0
	s_delay_alu instid0(VALU_DEP_3) | instskip(NEXT) | instid1(VALU_DEP_1)
	v_mul_f16_e32 v1, v1, v16
	v_fmac_f16_e32 v1, s3, v5
	global_store_b16 v2, v1, s[4:5] scale_offset
	s_wait_xcnt 0x0
	s_or_b32 exec_lo, exec_lo, s2
	s_delay_alu instid0(SALU_CYCLE_1)
	s_mov_b32 s2, exec_lo
	v_cmpx_gt_i32_e64 s1, v0
	s_cbranch_execz .LBB185_23
.LBB185_33:
	s_wait_loadcnt 0x1
	v_mul_f16_e32 v1, s0, v19
	v_add_nc_u32_e32 v2, s12, v0
	v_add_nc_u32_e32 v0, 0x100, v0
	s_wait_loadcnt 0x0
	s_delay_alu instid0(VALU_DEP_3) | instskip(NEXT) | instid1(VALU_DEP_1)
	v_mul_f16_e32 v1, v1, v20
	v_fmac_f16_e32 v1, s3, v18
	global_store_b16 v2, v1, s[4:5] scale_offset
	s_wait_xcnt 0x0
	s_or_b32 exec_lo, exec_lo, s2
	s_delay_alu instid0(SALU_CYCLE_1)
	s_mov_b32 s2, exec_lo
	v_cmpx_gt_i32_e64 s1, v0
	s_cbranch_execz .LBB185_24
.LBB185_34:
	s_wait_loadcnt 0x1
	v_mul_f16_e32 v1, s0, v21
	v_add_nc_u32_e32 v2, s12, v0
	v_add_nc_u32_e32 v0, 0x100, v0
	s_wait_loadcnt 0x0
	s_delay_alu instid0(VALU_DEP_3) | instskip(NEXT) | instid1(VALU_DEP_1)
	v_mul_f16_e32 v1, v1, v22
	v_fmac_f16_e32 v1, s3, v10
	global_store_b16 v2, v1, s[4:5] scale_offset
	s_wait_xcnt 0x0
	s_or_b32 exec_lo, exec_lo, s2
	s_delay_alu instid0(SALU_CYCLE_1)
	s_mov_b32 s2, exec_lo
	v_cmpx_gt_i32_e64 s1, v0
	s_cbranch_execz .LBB185_25
.LBB185_35:
	s_wait_loadcnt 0x1
	v_mul_f16_e32 v1, s0, v24
	v_add_nc_u32_e32 v2, s12, v0
	v_add_nc_u32_e32 v0, 0x100, v0
	s_wait_loadcnt 0x0
	s_delay_alu instid0(VALU_DEP_3) | instskip(NEXT) | instid1(VALU_DEP_1)
	v_mul_f16_e32 v1, v1, v25
	v_fmac_f16_e32 v1, s3, v23
	global_store_b16 v2, v1, s[4:5] scale_offset
	s_wait_xcnt 0x0
	s_or_b32 exec_lo, exec_lo, s2
	v_cmp_gt_i32_e32 vcc_lo, s1, v0
	s_and_saveexec_b32 s1, vcc_lo
	s_cbranch_execnz .LBB185_26
	s_branch .LBB185_27
	.section	.rodata,"a",@progbits
	.p2align	6, 0x0
	.amdhsa_kernel _ZN2at6native29vectorized_elementwise_kernelILi8EZZZNS0_12_GLOBAL__N_116addr_kernel_cudaERNS_14TensorIteratorERKN3c106ScalarES8_ENKUlvE_clEvENKUlvE9_clEvEUlNS5_4HalfESB_SB_E0_St5arrayIPcLm4EEEEviT0_T1_
		.amdhsa_group_segment_fixed_size 0
		.amdhsa_private_segment_fixed_size 0
		.amdhsa_kernarg_size 40
		.amdhsa_user_sgpr_count 2
		.amdhsa_user_sgpr_dispatch_ptr 0
		.amdhsa_user_sgpr_queue_ptr 0
		.amdhsa_user_sgpr_kernarg_segment_ptr 1
		.amdhsa_user_sgpr_dispatch_id 0
		.amdhsa_user_sgpr_kernarg_preload_length 0
		.amdhsa_user_sgpr_kernarg_preload_offset 0
		.amdhsa_user_sgpr_private_segment_size 0
		.amdhsa_wavefront_size32 1
		.amdhsa_uses_dynamic_stack 0
		.amdhsa_enable_private_segment 0
		.amdhsa_system_sgpr_workgroup_id_x 1
		.amdhsa_system_sgpr_workgroup_id_y 0
		.amdhsa_system_sgpr_workgroup_id_z 0
		.amdhsa_system_sgpr_workgroup_info 0
		.amdhsa_system_vgpr_workitem_id 0
		.amdhsa_next_free_vgpr 28
		.amdhsa_next_free_sgpr 18
		.amdhsa_named_barrier_count 0
		.amdhsa_reserve_vcc 1
		.amdhsa_float_round_mode_32 0
		.amdhsa_float_round_mode_16_64 0
		.amdhsa_float_denorm_mode_32 3
		.amdhsa_float_denorm_mode_16_64 3
		.amdhsa_fp16_overflow 0
		.amdhsa_memory_ordered 1
		.amdhsa_forward_progress 1
		.amdhsa_inst_pref_size 14
		.amdhsa_round_robin_scheduling 0
		.amdhsa_exception_fp_ieee_invalid_op 0
		.amdhsa_exception_fp_denorm_src 0
		.amdhsa_exception_fp_ieee_div_zero 0
		.amdhsa_exception_fp_ieee_overflow 0
		.amdhsa_exception_fp_ieee_underflow 0
		.amdhsa_exception_fp_ieee_inexact 0
		.amdhsa_exception_int_div_zero 0
	.end_amdhsa_kernel
	.section	.text._ZN2at6native29vectorized_elementwise_kernelILi8EZZZNS0_12_GLOBAL__N_116addr_kernel_cudaERNS_14TensorIteratorERKN3c106ScalarES8_ENKUlvE_clEvENKUlvE9_clEvEUlNS5_4HalfESB_SB_E0_St5arrayIPcLm4EEEEviT0_T1_,"axG",@progbits,_ZN2at6native29vectorized_elementwise_kernelILi8EZZZNS0_12_GLOBAL__N_116addr_kernel_cudaERNS_14TensorIteratorERKN3c106ScalarES8_ENKUlvE_clEvENKUlvE9_clEvEUlNS5_4HalfESB_SB_E0_St5arrayIPcLm4EEEEviT0_T1_,comdat
.Lfunc_end185:
	.size	_ZN2at6native29vectorized_elementwise_kernelILi8EZZZNS0_12_GLOBAL__N_116addr_kernel_cudaERNS_14TensorIteratorERKN3c106ScalarES8_ENKUlvE_clEvENKUlvE9_clEvEUlNS5_4HalfESB_SB_E0_St5arrayIPcLm4EEEEviT0_T1_, .Lfunc_end185-_ZN2at6native29vectorized_elementwise_kernelILi8EZZZNS0_12_GLOBAL__N_116addr_kernel_cudaERNS_14TensorIteratorERKN3c106ScalarES8_ENKUlvE_clEvENKUlvE9_clEvEUlNS5_4HalfESB_SB_E0_St5arrayIPcLm4EEEEviT0_T1_
                                        ; -- End function
	.set _ZN2at6native29vectorized_elementwise_kernelILi8EZZZNS0_12_GLOBAL__N_116addr_kernel_cudaERNS_14TensorIteratorERKN3c106ScalarES8_ENKUlvE_clEvENKUlvE9_clEvEUlNS5_4HalfESB_SB_E0_St5arrayIPcLm4EEEEviT0_T1_.num_vgpr, 28
	.set _ZN2at6native29vectorized_elementwise_kernelILi8EZZZNS0_12_GLOBAL__N_116addr_kernel_cudaERNS_14TensorIteratorERKN3c106ScalarES8_ENKUlvE_clEvENKUlvE9_clEvEUlNS5_4HalfESB_SB_E0_St5arrayIPcLm4EEEEviT0_T1_.num_agpr, 0
	.set _ZN2at6native29vectorized_elementwise_kernelILi8EZZZNS0_12_GLOBAL__N_116addr_kernel_cudaERNS_14TensorIteratorERKN3c106ScalarES8_ENKUlvE_clEvENKUlvE9_clEvEUlNS5_4HalfESB_SB_E0_St5arrayIPcLm4EEEEviT0_T1_.numbered_sgpr, 18
	.set _ZN2at6native29vectorized_elementwise_kernelILi8EZZZNS0_12_GLOBAL__N_116addr_kernel_cudaERNS_14TensorIteratorERKN3c106ScalarES8_ENKUlvE_clEvENKUlvE9_clEvEUlNS5_4HalfESB_SB_E0_St5arrayIPcLm4EEEEviT0_T1_.num_named_barrier, 0
	.set _ZN2at6native29vectorized_elementwise_kernelILi8EZZZNS0_12_GLOBAL__N_116addr_kernel_cudaERNS_14TensorIteratorERKN3c106ScalarES8_ENKUlvE_clEvENKUlvE9_clEvEUlNS5_4HalfESB_SB_E0_St5arrayIPcLm4EEEEviT0_T1_.private_seg_size, 0
	.set _ZN2at6native29vectorized_elementwise_kernelILi8EZZZNS0_12_GLOBAL__N_116addr_kernel_cudaERNS_14TensorIteratorERKN3c106ScalarES8_ENKUlvE_clEvENKUlvE9_clEvEUlNS5_4HalfESB_SB_E0_St5arrayIPcLm4EEEEviT0_T1_.uses_vcc, 1
	.set _ZN2at6native29vectorized_elementwise_kernelILi8EZZZNS0_12_GLOBAL__N_116addr_kernel_cudaERNS_14TensorIteratorERKN3c106ScalarES8_ENKUlvE_clEvENKUlvE9_clEvEUlNS5_4HalfESB_SB_E0_St5arrayIPcLm4EEEEviT0_T1_.uses_flat_scratch, 0
	.set _ZN2at6native29vectorized_elementwise_kernelILi8EZZZNS0_12_GLOBAL__N_116addr_kernel_cudaERNS_14TensorIteratorERKN3c106ScalarES8_ENKUlvE_clEvENKUlvE9_clEvEUlNS5_4HalfESB_SB_E0_St5arrayIPcLm4EEEEviT0_T1_.has_dyn_sized_stack, 0
	.set _ZN2at6native29vectorized_elementwise_kernelILi8EZZZNS0_12_GLOBAL__N_116addr_kernel_cudaERNS_14TensorIteratorERKN3c106ScalarES8_ENKUlvE_clEvENKUlvE9_clEvEUlNS5_4HalfESB_SB_E0_St5arrayIPcLm4EEEEviT0_T1_.has_recursion, 0
	.set _ZN2at6native29vectorized_elementwise_kernelILi8EZZZNS0_12_GLOBAL__N_116addr_kernel_cudaERNS_14TensorIteratorERKN3c106ScalarES8_ENKUlvE_clEvENKUlvE9_clEvEUlNS5_4HalfESB_SB_E0_St5arrayIPcLm4EEEEviT0_T1_.has_indirect_call, 0
	.section	.AMDGPU.csdata,"",@progbits
; Kernel info:
; codeLenInByte = 1780
; TotalNumSgprs: 20
; NumVgprs: 28
; ScratchSize: 0
; MemoryBound: 0
; FloatMode: 240
; IeeeMode: 1
; LDSByteSize: 0 bytes/workgroup (compile time only)
; SGPRBlocks: 0
; VGPRBlocks: 1
; NumSGPRsForWavesPerEU: 20
; NumVGPRsForWavesPerEU: 28
; NamedBarCnt: 0
; Occupancy: 16
; WaveLimiterHint : 0
; COMPUTE_PGM_RSRC2:SCRATCH_EN: 0
; COMPUTE_PGM_RSRC2:USER_SGPR: 2
; COMPUTE_PGM_RSRC2:TRAP_HANDLER: 0
; COMPUTE_PGM_RSRC2:TGID_X_EN: 1
; COMPUTE_PGM_RSRC2:TGID_Y_EN: 0
; COMPUTE_PGM_RSRC2:TGID_Z_EN: 0
; COMPUTE_PGM_RSRC2:TIDIG_COMP_CNT: 0
	.section	.text._ZN2at6native29vectorized_elementwise_kernelILi4EZZZNS0_12_GLOBAL__N_116addr_kernel_cudaERNS_14TensorIteratorERKN3c106ScalarES8_ENKUlvE_clEvENKUlvE9_clEvEUlNS5_4HalfESB_SB_E0_St5arrayIPcLm4EEEEviT0_T1_,"axG",@progbits,_ZN2at6native29vectorized_elementwise_kernelILi4EZZZNS0_12_GLOBAL__N_116addr_kernel_cudaERNS_14TensorIteratorERKN3c106ScalarES8_ENKUlvE_clEvENKUlvE9_clEvEUlNS5_4HalfESB_SB_E0_St5arrayIPcLm4EEEEviT0_T1_,comdat
	.globl	_ZN2at6native29vectorized_elementwise_kernelILi4EZZZNS0_12_GLOBAL__N_116addr_kernel_cudaERNS_14TensorIteratorERKN3c106ScalarES8_ENKUlvE_clEvENKUlvE9_clEvEUlNS5_4HalfESB_SB_E0_St5arrayIPcLm4EEEEviT0_T1_ ; -- Begin function _ZN2at6native29vectorized_elementwise_kernelILi4EZZZNS0_12_GLOBAL__N_116addr_kernel_cudaERNS_14TensorIteratorERKN3c106ScalarES8_ENKUlvE_clEvENKUlvE9_clEvEUlNS5_4HalfESB_SB_E0_St5arrayIPcLm4EEEEviT0_T1_
	.p2align	8
	.type	_ZN2at6native29vectorized_elementwise_kernelILi4EZZZNS0_12_GLOBAL__N_116addr_kernel_cudaERNS_14TensorIteratorERKN3c106ScalarES8_ENKUlvE_clEvENKUlvE9_clEvEUlNS5_4HalfESB_SB_E0_St5arrayIPcLm4EEEEviT0_T1_,@function
_ZN2at6native29vectorized_elementwise_kernelILi4EZZZNS0_12_GLOBAL__N_116addr_kernel_cudaERNS_14TensorIteratorERKN3c106ScalarES8_ENKUlvE_clEvENKUlvE9_clEvEUlNS5_4HalfESB_SB_E0_St5arrayIPcLm4EEEEviT0_T1_: ; @_ZN2at6native29vectorized_elementwise_kernelILi4EZZZNS0_12_GLOBAL__N_116addr_kernel_cudaERNS_14TensorIteratorERKN3c106ScalarES8_ENKUlvE_clEvENKUlvE9_clEvEUlNS5_4HalfESB_SB_E0_St5arrayIPcLm4EEEEviT0_T1_
; %bb.0:
	s_clause 0x1
	s_load_b64 s[2:3], s[0:1], 0x0
	s_load_b256 s[4:11], s[0:1], 0x8
	s_wait_xcnt 0x0
	s_bfe_u32 s0, ttmp6, 0x4000c
	s_and_b32 s1, ttmp6, 15
	s_add_co_i32 s0, s0, 1
	s_getreg_b32 s12, hwreg(HW_REG_IB_STS2, 6, 4)
	s_mul_i32 s0, ttmp9, s0
	s_delay_alu instid0(SALU_CYCLE_1) | instskip(SKIP_2) | instid1(SALU_CYCLE_1)
	s_add_co_i32 s1, s1, s0
	s_cmp_eq_u32 s12, 0
	s_cselect_b32 s0, ttmp9, s1
	s_lshl_b32 s12, s0, 11
	s_mov_b32 s0, -1
	s_wait_kmcnt 0x0
	s_sub_co_i32 s1, s2, s12
	s_delay_alu instid0(SALU_CYCLE_1)
	s_cmp_gt_i32 s1, 0x7ff
	s_cbranch_scc0 .LBB186_2
; %bb.1:
	s_ashr_i32 s13, s12, 31
	s_mov_b32 s0, 0
	s_lshl_b64 s[14:15], s[12:13], 1
	s_delay_alu instid0(SALU_CYCLE_1)
	s_add_nc_u64 s[16:17], s[8:9], s[14:15]
	s_clause 0x1
	global_load_b64 v[2:3], v0, s[16:17] scale_offset
	global_load_b64 v[4:5], v0, s[16:17] offset:2048 scale_offset
	s_wait_xcnt 0x0
	s_add_nc_u64 s[16:17], s[10:11], s[14:15]
	s_clause 0x1
	global_load_b64 v[6:7], v0, s[16:17] scale_offset
	global_load_b64 v[8:9], v0, s[16:17] offset:2048 scale_offset
	s_wait_xcnt 0x0
	s_add_nc_u64 s[16:17], s[6:7], s[14:15]
	s_clause 0x1
	global_load_b64 v[10:11], v0, s[16:17] scale_offset
	global_load_b64 v[12:13], v0, s[16:17] offset:2048 scale_offset
	s_add_nc_u64 s[14:15], s[4:5], s[14:15]
	s_wait_loadcnt 0x5
	v_pk_mul_f16 v1, s3, v3 op_sel:[1,0]
	v_pk_mul_f16 v2, s3, v2 op_sel:[1,0]
	s_wait_loadcnt 0x4
	v_pk_mul_f16 v3, s3, v5 op_sel:[1,0]
	v_pk_mul_f16 v4, s3, v4 op_sel:[1,0]
	s_wait_loadcnt 0x3
	v_pk_mul_f16 v1, v1, v7
	v_pk_mul_f16 v2, v2, v6
	s_wait_loadcnt 0x2
	v_pk_mul_f16 v5, v3, v9
	v_pk_mul_f16 v4, v4, v8
	s_wait_loadcnt 0x1
	v_pk_fma_f16 v3, s3, v11, v1 op_sel_hi:[0,1,1]
	v_pk_fma_f16 v2, s3, v10, v2 op_sel_hi:[0,1,1]
	s_wait_loadcnt 0x0
	v_pk_fma_f16 v5, s3, v13, v5 op_sel_hi:[0,1,1]
	v_pk_fma_f16 v4, s3, v12, v4 op_sel_hi:[0,1,1]
	s_clause 0x1
	global_store_b64 v0, v[2:3], s[14:15] scale_offset
	global_store_b64 v0, v[4:5], s[14:15] offset:2048 scale_offset
.LBB186_2:
	s_and_not1_b32 vcc_lo, exec_lo, s0
	s_cbranch_vccnz .LBB186_27
; %bb.3:
	v_cmp_gt_i32_e32 vcc_lo, s1, v0
	s_wait_xcnt 0x1
	v_dual_mov_b32 v1, 0 :: v_dual_bitop2_b32 v2, s12, v0 bitop3:0x54
	v_or_b32_e32 v3, 0x100, v0
	s_wait_xcnt 0x0
	v_dual_mov_b32 v4, 0 :: v_dual_mov_b32 v6, 0
	v_dual_mov_b32 v7, 0 :: v_dual_mov_b32 v14, v0
	s_and_saveexec_b32 s0, vcc_lo
	s_cbranch_execz .LBB186_5
; %bb.4:
	s_clause 0x2
	global_load_u16 v4, v2, s[6:7] scale_offset
	global_load_u16 v6, v2, s[8:9] scale_offset
	;; [unrolled: 1-line block ×3, first 2 shown]
	v_or_b32_e32 v14, 0x100, v0
.LBB186_5:
	s_wait_xcnt 0x0
	s_or_b32 exec_lo, exec_lo, s0
	v_dual_mov_b32 v8, 0 :: v_dual_mov_b32 v9, 0
	s_mov_b32 s2, exec_lo
	v_cmpx_gt_i32_e64 s1, v14
	s_cbranch_execz .LBB186_7
; %bb.6:
	v_add_nc_u32_e32 v5, s12, v14
	v_add_nc_u32_e32 v14, 0x100, v14
	s_clause 0x2
	global_load_u16 v1, v5, s[6:7] scale_offset
	global_load_u16 v8, v5, s[8:9] scale_offset
	global_load_u16 v9, v5, s[10:11] scale_offset
.LBB186_7:
	s_wait_xcnt 0x0
	s_or_b32 exec_lo, exec_lo, s2
	v_dual_mov_b32 v5, 0 :: v_dual_mov_b32 v11, 0
	v_dual_mov_b32 v12, 0 :: v_dual_mov_b32 v13, 0
	s_mov_b32 s2, exec_lo
	v_cmpx_gt_i32_e64 s1, v14
	s_cbranch_execz .LBB186_9
; %bb.8:
	v_add_nc_u32_e32 v10, s12, v14
	v_add_nc_u32_e32 v14, 0x100, v14
	s_clause 0x2
	global_load_u16 v11, v10, s[6:7] scale_offset
	global_load_u16 v12, v10, s[8:9] scale_offset
	global_load_u16 v13, v10, s[10:11] scale_offset
.LBB186_9:
	s_wait_xcnt 0x0
	s_or_b32 exec_lo, exec_lo, s2
	v_dual_mov_b32 v15, 0 :: v_dual_mov_b32 v16, 0
	s_mov_b32 s2, exec_lo
	v_cmpx_gt_i32_e64 s1, v14
	s_cbranch_execz .LBB186_11
; %bb.10:
	v_add_nc_u32_e32 v10, s12, v14
	v_add_nc_u32_e32 v14, 0x100, v14
	s_clause 0x2
	global_load_u16 v5, v10, s[6:7] scale_offset
	global_load_u16 v15, v10, s[8:9] scale_offset
	global_load_u16 v16, v10, s[10:11] scale_offset
.LBB186_11:
	s_wait_xcnt 0x0
	s_or_b32 exec_lo, exec_lo, s2
	v_dual_mov_b32 v10, 0 :: v_dual_mov_b32 v18, 0
	v_dual_mov_b32 v19, 0 :: v_dual_mov_b32 v20, 0
	s_mov_b32 s2, exec_lo
	v_cmpx_gt_i32_e64 s1, v14
	s_cbranch_execz .LBB186_13
; %bb.12:
	v_add_nc_u32_e32 v17, s12, v14
	v_add_nc_u32_e32 v14, 0x100, v14
	s_clause 0x2
	global_load_u16 v18, v17, s[6:7] scale_offset
	global_load_u16 v19, v17, s[8:9] scale_offset
	global_load_u16 v20, v17, s[10:11] scale_offset
.LBB186_13:
	;; [unrolled: 29-line block ×3, first 2 shown]
	s_wait_xcnt 0x0
	s_or_b32 exec_lo, exec_lo, s2
	v_dual_mov_b32 v26, 0 :: v_dual_mov_b32 v27, 0
	s_mov_b32 s2, exec_lo
	v_cmpx_gt_i32_e64 s1, v14
	s_cbranch_execnz .LBB186_28
; %bb.18:
	s_or_b32 exec_lo, exec_lo, s2
	s_lshr_b32 s0, s3, 16
	s_and_saveexec_b32 s2, vcc_lo
	s_cbranch_execnz .LBB186_29
.LBB186_19:
	s_or_b32 exec_lo, exec_lo, s2
	s_delay_alu instid0(SALU_CYCLE_1)
	s_mov_b32 s2, exec_lo
	v_cmpx_gt_i32_e64 s1, v0
	s_cbranch_execnz .LBB186_30
.LBB186_20:
	s_or_b32 exec_lo, exec_lo, s2
	s_delay_alu instid0(SALU_CYCLE_1)
	s_mov_b32 s2, exec_lo
	v_cmpx_gt_i32_e64 s1, v0
	s_cbranch_execnz .LBB186_31
.LBB186_21:
	s_or_b32 exec_lo, exec_lo, s2
	s_delay_alu instid0(SALU_CYCLE_1)
	s_mov_b32 s2, exec_lo
	v_cmpx_gt_i32_e64 s1, v0
	s_cbranch_execnz .LBB186_32
.LBB186_22:
	s_or_b32 exec_lo, exec_lo, s2
	s_delay_alu instid0(SALU_CYCLE_1)
	s_mov_b32 s2, exec_lo
	v_cmpx_gt_i32_e64 s1, v0
	s_cbranch_execnz .LBB186_33
.LBB186_23:
	s_or_b32 exec_lo, exec_lo, s2
	s_delay_alu instid0(SALU_CYCLE_1)
	s_mov_b32 s2, exec_lo
	v_cmpx_gt_i32_e64 s1, v0
	s_cbranch_execnz .LBB186_34
.LBB186_24:
	s_or_b32 exec_lo, exec_lo, s2
	s_delay_alu instid0(SALU_CYCLE_1)
	s_mov_b32 s2, exec_lo
	v_cmpx_gt_i32_e64 s1, v0
	s_cbranch_execnz .LBB186_35
.LBB186_25:
	s_or_b32 exec_lo, exec_lo, s2
	v_cmp_gt_i32_e32 vcc_lo, s1, v0
	s_and_saveexec_b32 s1, vcc_lo
	s_cbranch_execz .LBB186_27
.LBB186_26:
	s_wait_loadcnt 0x1
	v_mul_f16_e32 v1, s0, v26
	v_add_nc_u32_e32 v0, s12, v0
	s_wait_loadcnt 0x0
	s_delay_alu instid0(VALU_DEP_2) | instskip(NEXT) | instid1(VALU_DEP_1)
	v_mul_f16_e32 v1, v1, v27
	v_fmac_f16_e32 v1, s3, v17
	global_store_b16 v0, v1, s[4:5] scale_offset
.LBB186_27:
	s_endpgm
.LBB186_28:
	v_add_nc_u32_e32 v14, s12, v14
	s_clause 0x2
	global_load_u16 v17, v14, s[6:7] scale_offset
	global_load_u16 v26, v14, s[8:9] scale_offset
	;; [unrolled: 1-line block ×3, first 2 shown]
	s_wait_xcnt 0x0
	s_or_b32 exec_lo, exec_lo, s2
	s_lshr_b32 s0, s3, 16
	s_and_saveexec_b32 s2, vcc_lo
	s_cbranch_execz .LBB186_19
.LBB186_29:
	s_wait_loadcnt 0x1
	v_mul_f16_e32 v0, s0, v6
	s_wait_loadcnt 0x0
	s_delay_alu instid0(VALU_DEP_1) | instskip(SKIP_1) | instid1(VALU_DEP_2)
	v_mul_f16_e32 v6, v0, v7
	v_mov_b32_e32 v0, v3
	v_fmac_f16_e32 v6, s3, v4
	global_store_b16 v2, v6, s[4:5] scale_offset
	s_wait_xcnt 0x0
	s_or_b32 exec_lo, exec_lo, s2
	s_delay_alu instid0(SALU_CYCLE_1)
	s_mov_b32 s2, exec_lo
	v_cmpx_gt_i32_e64 s1, v0
	s_cbranch_execz .LBB186_20
.LBB186_30:
	s_wait_loadcnt 0x1
	v_mul_f16_e32 v2, s0, v8
	s_wait_loadcnt 0x0
	s_delay_alu instid0(VALU_DEP_1) | instskip(NEXT) | instid1(VALU_DEP_1)
	v_mul_f16_e32 v2, v2, v9
	v_fmac_f16_e32 v2, s3, v1
	v_add_nc_u32_e32 v1, s12, v0
	v_add_nc_u32_e32 v0, 0x100, v0
	global_store_b16 v1, v2, s[4:5] scale_offset
	s_wait_xcnt 0x0
	s_or_b32 exec_lo, exec_lo, s2
	s_delay_alu instid0(SALU_CYCLE_1)
	s_mov_b32 s2, exec_lo
	v_cmpx_gt_i32_e64 s1, v0
	s_cbranch_execz .LBB186_21
.LBB186_31:
	s_wait_loadcnt 0x1
	v_mul_f16_e32 v1, s0, v12
	v_add_nc_u32_e32 v2, s12, v0
	v_add_nc_u32_e32 v0, 0x100, v0
	s_wait_loadcnt 0x0
	s_delay_alu instid0(VALU_DEP_3) | instskip(NEXT) | instid1(VALU_DEP_1)
	v_mul_f16_e32 v1, v1, v13
	v_fmac_f16_e32 v1, s3, v11
	global_store_b16 v2, v1, s[4:5] scale_offset
	s_wait_xcnt 0x0
	s_or_b32 exec_lo, exec_lo, s2
	s_delay_alu instid0(SALU_CYCLE_1)
	s_mov_b32 s2, exec_lo
	v_cmpx_gt_i32_e64 s1, v0
	s_cbranch_execz .LBB186_22
.LBB186_32:
	s_wait_loadcnt 0x1
	v_mul_f16_e32 v1, s0, v15
	v_add_nc_u32_e32 v2, s12, v0
	v_add_nc_u32_e32 v0, 0x100, v0
	s_wait_loadcnt 0x0
	s_delay_alu instid0(VALU_DEP_3) | instskip(NEXT) | instid1(VALU_DEP_1)
	v_mul_f16_e32 v1, v1, v16
	v_fmac_f16_e32 v1, s3, v5
	global_store_b16 v2, v1, s[4:5] scale_offset
	s_wait_xcnt 0x0
	s_or_b32 exec_lo, exec_lo, s2
	s_delay_alu instid0(SALU_CYCLE_1)
	s_mov_b32 s2, exec_lo
	v_cmpx_gt_i32_e64 s1, v0
	s_cbranch_execz .LBB186_23
.LBB186_33:
	s_wait_loadcnt 0x1
	v_mul_f16_e32 v1, s0, v19
	v_add_nc_u32_e32 v2, s12, v0
	v_add_nc_u32_e32 v0, 0x100, v0
	s_wait_loadcnt 0x0
	s_delay_alu instid0(VALU_DEP_3) | instskip(NEXT) | instid1(VALU_DEP_1)
	v_mul_f16_e32 v1, v1, v20
	v_fmac_f16_e32 v1, s3, v18
	global_store_b16 v2, v1, s[4:5] scale_offset
	s_wait_xcnt 0x0
	s_or_b32 exec_lo, exec_lo, s2
	s_delay_alu instid0(SALU_CYCLE_1)
	s_mov_b32 s2, exec_lo
	v_cmpx_gt_i32_e64 s1, v0
	s_cbranch_execz .LBB186_24
.LBB186_34:
	s_wait_loadcnt 0x1
	v_mul_f16_e32 v1, s0, v21
	v_add_nc_u32_e32 v2, s12, v0
	v_add_nc_u32_e32 v0, 0x100, v0
	s_wait_loadcnt 0x0
	s_delay_alu instid0(VALU_DEP_3) | instskip(NEXT) | instid1(VALU_DEP_1)
	v_mul_f16_e32 v1, v1, v22
	v_fmac_f16_e32 v1, s3, v10
	global_store_b16 v2, v1, s[4:5] scale_offset
	s_wait_xcnt 0x0
	s_or_b32 exec_lo, exec_lo, s2
	s_delay_alu instid0(SALU_CYCLE_1)
	s_mov_b32 s2, exec_lo
	v_cmpx_gt_i32_e64 s1, v0
	s_cbranch_execz .LBB186_25
.LBB186_35:
	s_wait_loadcnt 0x1
	v_mul_f16_e32 v1, s0, v24
	v_add_nc_u32_e32 v2, s12, v0
	v_add_nc_u32_e32 v0, 0x100, v0
	s_wait_loadcnt 0x0
	s_delay_alu instid0(VALU_DEP_3) | instskip(NEXT) | instid1(VALU_DEP_1)
	v_mul_f16_e32 v1, v1, v25
	v_fmac_f16_e32 v1, s3, v23
	global_store_b16 v2, v1, s[4:5] scale_offset
	s_wait_xcnt 0x0
	s_or_b32 exec_lo, exec_lo, s2
	v_cmp_gt_i32_e32 vcc_lo, s1, v0
	s_and_saveexec_b32 s1, vcc_lo
	s_cbranch_execnz .LBB186_26
	s_branch .LBB186_27
	.section	.rodata,"a",@progbits
	.p2align	6, 0x0
	.amdhsa_kernel _ZN2at6native29vectorized_elementwise_kernelILi4EZZZNS0_12_GLOBAL__N_116addr_kernel_cudaERNS_14TensorIteratorERKN3c106ScalarES8_ENKUlvE_clEvENKUlvE9_clEvEUlNS5_4HalfESB_SB_E0_St5arrayIPcLm4EEEEviT0_T1_
		.amdhsa_group_segment_fixed_size 0
		.amdhsa_private_segment_fixed_size 0
		.amdhsa_kernarg_size 40
		.amdhsa_user_sgpr_count 2
		.amdhsa_user_sgpr_dispatch_ptr 0
		.amdhsa_user_sgpr_queue_ptr 0
		.amdhsa_user_sgpr_kernarg_segment_ptr 1
		.amdhsa_user_sgpr_dispatch_id 0
		.amdhsa_user_sgpr_kernarg_preload_length 0
		.amdhsa_user_sgpr_kernarg_preload_offset 0
		.amdhsa_user_sgpr_private_segment_size 0
		.amdhsa_wavefront_size32 1
		.amdhsa_uses_dynamic_stack 0
		.amdhsa_enable_private_segment 0
		.amdhsa_system_sgpr_workgroup_id_x 1
		.amdhsa_system_sgpr_workgroup_id_y 0
		.amdhsa_system_sgpr_workgroup_id_z 0
		.amdhsa_system_sgpr_workgroup_info 0
		.amdhsa_system_vgpr_workitem_id 0
		.amdhsa_next_free_vgpr 28
		.amdhsa_next_free_sgpr 18
		.amdhsa_named_barrier_count 0
		.amdhsa_reserve_vcc 1
		.amdhsa_float_round_mode_32 0
		.amdhsa_float_round_mode_16_64 0
		.amdhsa_float_denorm_mode_32 3
		.amdhsa_float_denorm_mode_16_64 3
		.amdhsa_fp16_overflow 0
		.amdhsa_memory_ordered 1
		.amdhsa_forward_progress 1
		.amdhsa_inst_pref_size 15
		.amdhsa_round_robin_scheduling 0
		.amdhsa_exception_fp_ieee_invalid_op 0
		.amdhsa_exception_fp_denorm_src 0
		.amdhsa_exception_fp_ieee_div_zero 0
		.amdhsa_exception_fp_ieee_overflow 0
		.amdhsa_exception_fp_ieee_underflow 0
		.amdhsa_exception_fp_ieee_inexact 0
		.amdhsa_exception_int_div_zero 0
	.end_amdhsa_kernel
	.section	.text._ZN2at6native29vectorized_elementwise_kernelILi4EZZZNS0_12_GLOBAL__N_116addr_kernel_cudaERNS_14TensorIteratorERKN3c106ScalarES8_ENKUlvE_clEvENKUlvE9_clEvEUlNS5_4HalfESB_SB_E0_St5arrayIPcLm4EEEEviT0_T1_,"axG",@progbits,_ZN2at6native29vectorized_elementwise_kernelILi4EZZZNS0_12_GLOBAL__N_116addr_kernel_cudaERNS_14TensorIteratorERKN3c106ScalarES8_ENKUlvE_clEvENKUlvE9_clEvEUlNS5_4HalfESB_SB_E0_St5arrayIPcLm4EEEEviT0_T1_,comdat
.Lfunc_end186:
	.size	_ZN2at6native29vectorized_elementwise_kernelILi4EZZZNS0_12_GLOBAL__N_116addr_kernel_cudaERNS_14TensorIteratorERKN3c106ScalarES8_ENKUlvE_clEvENKUlvE9_clEvEUlNS5_4HalfESB_SB_E0_St5arrayIPcLm4EEEEviT0_T1_, .Lfunc_end186-_ZN2at6native29vectorized_elementwise_kernelILi4EZZZNS0_12_GLOBAL__N_116addr_kernel_cudaERNS_14TensorIteratorERKN3c106ScalarES8_ENKUlvE_clEvENKUlvE9_clEvEUlNS5_4HalfESB_SB_E0_St5arrayIPcLm4EEEEviT0_T1_
                                        ; -- End function
	.set _ZN2at6native29vectorized_elementwise_kernelILi4EZZZNS0_12_GLOBAL__N_116addr_kernel_cudaERNS_14TensorIteratorERKN3c106ScalarES8_ENKUlvE_clEvENKUlvE9_clEvEUlNS5_4HalfESB_SB_E0_St5arrayIPcLm4EEEEviT0_T1_.num_vgpr, 28
	.set _ZN2at6native29vectorized_elementwise_kernelILi4EZZZNS0_12_GLOBAL__N_116addr_kernel_cudaERNS_14TensorIteratorERKN3c106ScalarES8_ENKUlvE_clEvENKUlvE9_clEvEUlNS5_4HalfESB_SB_E0_St5arrayIPcLm4EEEEviT0_T1_.num_agpr, 0
	.set _ZN2at6native29vectorized_elementwise_kernelILi4EZZZNS0_12_GLOBAL__N_116addr_kernel_cudaERNS_14TensorIteratorERKN3c106ScalarES8_ENKUlvE_clEvENKUlvE9_clEvEUlNS5_4HalfESB_SB_E0_St5arrayIPcLm4EEEEviT0_T1_.numbered_sgpr, 18
	.set _ZN2at6native29vectorized_elementwise_kernelILi4EZZZNS0_12_GLOBAL__N_116addr_kernel_cudaERNS_14TensorIteratorERKN3c106ScalarES8_ENKUlvE_clEvENKUlvE9_clEvEUlNS5_4HalfESB_SB_E0_St5arrayIPcLm4EEEEviT0_T1_.num_named_barrier, 0
	.set _ZN2at6native29vectorized_elementwise_kernelILi4EZZZNS0_12_GLOBAL__N_116addr_kernel_cudaERNS_14TensorIteratorERKN3c106ScalarES8_ENKUlvE_clEvENKUlvE9_clEvEUlNS5_4HalfESB_SB_E0_St5arrayIPcLm4EEEEviT0_T1_.private_seg_size, 0
	.set _ZN2at6native29vectorized_elementwise_kernelILi4EZZZNS0_12_GLOBAL__N_116addr_kernel_cudaERNS_14TensorIteratorERKN3c106ScalarES8_ENKUlvE_clEvENKUlvE9_clEvEUlNS5_4HalfESB_SB_E0_St5arrayIPcLm4EEEEviT0_T1_.uses_vcc, 1
	.set _ZN2at6native29vectorized_elementwise_kernelILi4EZZZNS0_12_GLOBAL__N_116addr_kernel_cudaERNS_14TensorIteratorERKN3c106ScalarES8_ENKUlvE_clEvENKUlvE9_clEvEUlNS5_4HalfESB_SB_E0_St5arrayIPcLm4EEEEviT0_T1_.uses_flat_scratch, 0
	.set _ZN2at6native29vectorized_elementwise_kernelILi4EZZZNS0_12_GLOBAL__N_116addr_kernel_cudaERNS_14TensorIteratorERKN3c106ScalarES8_ENKUlvE_clEvENKUlvE9_clEvEUlNS5_4HalfESB_SB_E0_St5arrayIPcLm4EEEEviT0_T1_.has_dyn_sized_stack, 0
	.set _ZN2at6native29vectorized_elementwise_kernelILi4EZZZNS0_12_GLOBAL__N_116addr_kernel_cudaERNS_14TensorIteratorERKN3c106ScalarES8_ENKUlvE_clEvENKUlvE9_clEvEUlNS5_4HalfESB_SB_E0_St5arrayIPcLm4EEEEviT0_T1_.has_recursion, 0
	.set _ZN2at6native29vectorized_elementwise_kernelILi4EZZZNS0_12_GLOBAL__N_116addr_kernel_cudaERNS_14TensorIteratorERKN3c106ScalarES8_ENKUlvE_clEvENKUlvE9_clEvEUlNS5_4HalfESB_SB_E0_St5arrayIPcLm4EEEEviT0_T1_.has_indirect_call, 0
	.section	.AMDGPU.csdata,"",@progbits
; Kernel info:
; codeLenInByte = 1860
; TotalNumSgprs: 20
; NumVgprs: 28
; ScratchSize: 0
; MemoryBound: 0
; FloatMode: 240
; IeeeMode: 1
; LDSByteSize: 0 bytes/workgroup (compile time only)
; SGPRBlocks: 0
; VGPRBlocks: 1
; NumSGPRsForWavesPerEU: 20
; NumVGPRsForWavesPerEU: 28
; NamedBarCnt: 0
; Occupancy: 16
; WaveLimiterHint : 1
; COMPUTE_PGM_RSRC2:SCRATCH_EN: 0
; COMPUTE_PGM_RSRC2:USER_SGPR: 2
; COMPUTE_PGM_RSRC2:TRAP_HANDLER: 0
; COMPUTE_PGM_RSRC2:TGID_X_EN: 1
; COMPUTE_PGM_RSRC2:TGID_Y_EN: 0
; COMPUTE_PGM_RSRC2:TGID_Z_EN: 0
; COMPUTE_PGM_RSRC2:TIDIG_COMP_CNT: 0
	.section	.text._ZN2at6native29vectorized_elementwise_kernelILi2EZZZNS0_12_GLOBAL__N_116addr_kernel_cudaERNS_14TensorIteratorERKN3c106ScalarES8_ENKUlvE_clEvENKUlvE9_clEvEUlNS5_4HalfESB_SB_E0_St5arrayIPcLm4EEEEviT0_T1_,"axG",@progbits,_ZN2at6native29vectorized_elementwise_kernelILi2EZZZNS0_12_GLOBAL__N_116addr_kernel_cudaERNS_14TensorIteratorERKN3c106ScalarES8_ENKUlvE_clEvENKUlvE9_clEvEUlNS5_4HalfESB_SB_E0_St5arrayIPcLm4EEEEviT0_T1_,comdat
	.globl	_ZN2at6native29vectorized_elementwise_kernelILi2EZZZNS0_12_GLOBAL__N_116addr_kernel_cudaERNS_14TensorIteratorERKN3c106ScalarES8_ENKUlvE_clEvENKUlvE9_clEvEUlNS5_4HalfESB_SB_E0_St5arrayIPcLm4EEEEviT0_T1_ ; -- Begin function _ZN2at6native29vectorized_elementwise_kernelILi2EZZZNS0_12_GLOBAL__N_116addr_kernel_cudaERNS_14TensorIteratorERKN3c106ScalarES8_ENKUlvE_clEvENKUlvE9_clEvEUlNS5_4HalfESB_SB_E0_St5arrayIPcLm4EEEEviT0_T1_
	.p2align	8
	.type	_ZN2at6native29vectorized_elementwise_kernelILi2EZZZNS0_12_GLOBAL__N_116addr_kernel_cudaERNS_14TensorIteratorERKN3c106ScalarES8_ENKUlvE_clEvENKUlvE9_clEvEUlNS5_4HalfESB_SB_E0_St5arrayIPcLm4EEEEviT0_T1_,@function
_ZN2at6native29vectorized_elementwise_kernelILi2EZZZNS0_12_GLOBAL__N_116addr_kernel_cudaERNS_14TensorIteratorERKN3c106ScalarES8_ENKUlvE_clEvENKUlvE9_clEvEUlNS5_4HalfESB_SB_E0_St5arrayIPcLm4EEEEviT0_T1_: ; @_ZN2at6native29vectorized_elementwise_kernelILi2EZZZNS0_12_GLOBAL__N_116addr_kernel_cudaERNS_14TensorIteratorERKN3c106ScalarES8_ENKUlvE_clEvENKUlvE9_clEvEUlNS5_4HalfESB_SB_E0_St5arrayIPcLm4EEEEviT0_T1_
; %bb.0:
	s_clause 0x1
	s_load_b64 s[2:3], s[0:1], 0x0
	s_load_b256 s[4:11], s[0:1], 0x8
	s_wait_xcnt 0x0
	s_bfe_u32 s0, ttmp6, 0x4000c
	s_and_b32 s1, ttmp6, 15
	s_add_co_i32 s0, s0, 1
	s_getreg_b32 s12, hwreg(HW_REG_IB_STS2, 6, 4)
	s_mul_i32 s0, ttmp9, s0
	s_delay_alu instid0(SALU_CYCLE_1) | instskip(SKIP_2) | instid1(SALU_CYCLE_1)
	s_add_co_i32 s1, s1, s0
	s_cmp_eq_u32 s12, 0
	s_cselect_b32 s0, ttmp9, s1
	s_lshl_b32 s12, s0, 11
	s_mov_b32 s0, -1
	s_wait_kmcnt 0x0
	s_sub_co_i32 s1, s2, s12
	s_delay_alu instid0(SALU_CYCLE_1)
	s_cmp_gt_i32 s1, 0x7ff
	s_cbranch_scc0 .LBB187_2
; %bb.1:
	s_ashr_i32 s13, s12, 31
	s_mov_b32 s0, 0
	s_lshl_b64 s[14:15], s[12:13], 1
	s_delay_alu instid0(SALU_CYCLE_1)
	s_add_nc_u64 s[16:17], s[8:9], s[14:15]
	s_add_nc_u64 s[18:19], s[10:11], s[14:15]
	s_clause 0x3
	global_load_b32 v1, v0, s[16:17] scale_offset
	global_load_b32 v2, v0, s[16:17] offset:1024 scale_offset
	global_load_b32 v3, v0, s[16:17] offset:2048 scale_offset
	;; [unrolled: 1-line block ×3, first 2 shown]
	s_wait_xcnt 0x0
	s_add_nc_u64 s[16:17], s[6:7], s[14:15]
	s_clause 0x7
	global_load_b32 v5, v0, s[18:19] scale_offset
	global_load_b32 v6, v0, s[18:19] offset:1024 scale_offset
	global_load_b32 v7, v0, s[18:19] offset:2048 scale_offset
	;; [unrolled: 1-line block ×3, first 2 shown]
	global_load_b32 v9, v0, s[16:17] scale_offset
	global_load_b32 v10, v0, s[16:17] offset:1024 scale_offset
	global_load_b32 v11, v0, s[16:17] offset:2048 scale_offset
	;; [unrolled: 1-line block ×3, first 2 shown]
	s_add_nc_u64 s[14:15], s[4:5], s[14:15]
	s_wait_loadcnt 0xb
	v_pk_mul_f16 v1, s3, v1 op_sel:[1,0]
	s_wait_loadcnt 0xa
	v_pk_mul_f16 v2, s3, v2 op_sel:[1,0]
	;; [unrolled: 2-line block ×4, first 2 shown]
	s_wait_loadcnt 0x7
	v_pk_mul_f16 v1, v1, v5
	s_wait_loadcnt 0x6
	v_pk_mul_f16 v2, v2, v6
	;; [unrolled: 2-line block ×4, first 2 shown]
	s_wait_loadcnt 0x3
	v_pk_fma_f16 v1, s3, v9, v1 op_sel_hi:[0,1,1]
	s_wait_loadcnt 0x2
	v_pk_fma_f16 v2, s3, v10, v2 op_sel_hi:[0,1,1]
	;; [unrolled: 2-line block ×4, first 2 shown]
	s_clause 0x3
	global_store_b32 v0, v1, s[14:15] scale_offset
	global_store_b32 v0, v2, s[14:15] offset:1024 scale_offset
	global_store_b32 v0, v3, s[14:15] offset:2048 scale_offset
	;; [unrolled: 1-line block ×3, first 2 shown]
.LBB187_2:
	s_and_not1_b32 vcc_lo, exec_lo, s0
	s_cbranch_vccnz .LBB187_27
; %bb.3:
	v_cmp_gt_i32_e32 vcc_lo, s1, v0
	s_wait_xcnt 0x2
	v_dual_mov_b32 v1, 0 :: v_dual_bitop2_b32 v2, s12, v0 bitop3:0x54
	s_wait_xcnt 0x1
	v_or_b32_e32 v3, 0x100, v0
	s_wait_xcnt 0x0
	v_dual_mov_b32 v4, 0 :: v_dual_mov_b32 v6, 0
	v_dual_mov_b32 v7, 0 :: v_dual_mov_b32 v14, v0
	s_and_saveexec_b32 s0, vcc_lo
	s_cbranch_execz .LBB187_5
; %bb.4:
	s_clause 0x2
	global_load_u16 v4, v2, s[6:7] scale_offset
	global_load_u16 v6, v2, s[8:9] scale_offset
	;; [unrolled: 1-line block ×3, first 2 shown]
	v_or_b32_e32 v14, 0x100, v0
.LBB187_5:
	s_wait_xcnt 0x0
	s_or_b32 exec_lo, exec_lo, s0
	v_dual_mov_b32 v8, 0 :: v_dual_mov_b32 v9, 0
	s_mov_b32 s2, exec_lo
	v_cmpx_gt_i32_e64 s1, v14
	s_cbranch_execz .LBB187_7
; %bb.6:
	v_add_nc_u32_e32 v5, s12, v14
	v_add_nc_u32_e32 v14, 0x100, v14
	s_clause 0x2
	global_load_u16 v1, v5, s[6:7] scale_offset
	global_load_u16 v8, v5, s[8:9] scale_offset
	global_load_u16 v9, v5, s[10:11] scale_offset
.LBB187_7:
	s_wait_xcnt 0x0
	s_or_b32 exec_lo, exec_lo, s2
	v_dual_mov_b32 v5, 0 :: v_dual_mov_b32 v11, 0
	v_dual_mov_b32 v12, 0 :: v_dual_mov_b32 v13, 0
	s_mov_b32 s2, exec_lo
	v_cmpx_gt_i32_e64 s1, v14
	s_cbranch_execz .LBB187_9
; %bb.8:
	v_add_nc_u32_e32 v10, s12, v14
	v_add_nc_u32_e32 v14, 0x100, v14
	s_clause 0x2
	global_load_u16 v11, v10, s[6:7] scale_offset
	global_load_u16 v12, v10, s[8:9] scale_offset
	global_load_u16 v13, v10, s[10:11] scale_offset
.LBB187_9:
	s_wait_xcnt 0x0
	s_or_b32 exec_lo, exec_lo, s2
	v_dual_mov_b32 v15, 0 :: v_dual_mov_b32 v16, 0
	s_mov_b32 s2, exec_lo
	v_cmpx_gt_i32_e64 s1, v14
	s_cbranch_execz .LBB187_11
; %bb.10:
	v_add_nc_u32_e32 v10, s12, v14
	v_add_nc_u32_e32 v14, 0x100, v14
	s_clause 0x2
	global_load_u16 v5, v10, s[6:7] scale_offset
	global_load_u16 v15, v10, s[8:9] scale_offset
	global_load_u16 v16, v10, s[10:11] scale_offset
.LBB187_11:
	s_wait_xcnt 0x0
	s_or_b32 exec_lo, exec_lo, s2
	v_dual_mov_b32 v10, 0 :: v_dual_mov_b32 v18, 0
	v_dual_mov_b32 v19, 0 :: v_dual_mov_b32 v20, 0
	s_mov_b32 s2, exec_lo
	v_cmpx_gt_i32_e64 s1, v14
	s_cbranch_execz .LBB187_13
; %bb.12:
	v_add_nc_u32_e32 v17, s12, v14
	v_add_nc_u32_e32 v14, 0x100, v14
	s_clause 0x2
	global_load_u16 v18, v17, s[6:7] scale_offset
	global_load_u16 v19, v17, s[8:9] scale_offset
	global_load_u16 v20, v17, s[10:11] scale_offset
.LBB187_13:
	;; [unrolled: 29-line block ×3, first 2 shown]
	s_wait_xcnt 0x0
	s_or_b32 exec_lo, exec_lo, s2
	v_dual_mov_b32 v26, 0 :: v_dual_mov_b32 v27, 0
	s_mov_b32 s2, exec_lo
	v_cmpx_gt_i32_e64 s1, v14
	s_cbranch_execnz .LBB187_28
; %bb.18:
	s_or_b32 exec_lo, exec_lo, s2
	s_lshr_b32 s0, s3, 16
	s_and_saveexec_b32 s2, vcc_lo
	s_cbranch_execnz .LBB187_29
.LBB187_19:
	s_or_b32 exec_lo, exec_lo, s2
	s_delay_alu instid0(SALU_CYCLE_1)
	s_mov_b32 s2, exec_lo
	v_cmpx_gt_i32_e64 s1, v0
	s_cbranch_execnz .LBB187_30
.LBB187_20:
	s_or_b32 exec_lo, exec_lo, s2
	s_delay_alu instid0(SALU_CYCLE_1)
	s_mov_b32 s2, exec_lo
	v_cmpx_gt_i32_e64 s1, v0
	s_cbranch_execnz .LBB187_31
.LBB187_21:
	s_or_b32 exec_lo, exec_lo, s2
	s_delay_alu instid0(SALU_CYCLE_1)
	s_mov_b32 s2, exec_lo
	v_cmpx_gt_i32_e64 s1, v0
	s_cbranch_execnz .LBB187_32
.LBB187_22:
	s_or_b32 exec_lo, exec_lo, s2
	s_delay_alu instid0(SALU_CYCLE_1)
	s_mov_b32 s2, exec_lo
	v_cmpx_gt_i32_e64 s1, v0
	s_cbranch_execnz .LBB187_33
.LBB187_23:
	s_or_b32 exec_lo, exec_lo, s2
	s_delay_alu instid0(SALU_CYCLE_1)
	s_mov_b32 s2, exec_lo
	v_cmpx_gt_i32_e64 s1, v0
	s_cbranch_execnz .LBB187_34
.LBB187_24:
	s_or_b32 exec_lo, exec_lo, s2
	s_delay_alu instid0(SALU_CYCLE_1)
	s_mov_b32 s2, exec_lo
	v_cmpx_gt_i32_e64 s1, v0
	s_cbranch_execnz .LBB187_35
.LBB187_25:
	s_or_b32 exec_lo, exec_lo, s2
	v_cmp_gt_i32_e32 vcc_lo, s1, v0
	s_and_saveexec_b32 s1, vcc_lo
	s_cbranch_execz .LBB187_27
.LBB187_26:
	s_wait_loadcnt 0x1
	v_mul_f16_e32 v1, s0, v26
	v_add_nc_u32_e32 v0, s12, v0
	s_wait_loadcnt 0x0
	s_delay_alu instid0(VALU_DEP_2) | instskip(NEXT) | instid1(VALU_DEP_1)
	v_mul_f16_e32 v1, v1, v27
	v_fmac_f16_e32 v1, s3, v17
	global_store_b16 v0, v1, s[4:5] scale_offset
.LBB187_27:
	s_endpgm
.LBB187_28:
	v_add_nc_u32_e32 v14, s12, v14
	s_clause 0x2
	global_load_u16 v17, v14, s[6:7] scale_offset
	global_load_u16 v26, v14, s[8:9] scale_offset
	;; [unrolled: 1-line block ×3, first 2 shown]
	s_wait_xcnt 0x0
	s_or_b32 exec_lo, exec_lo, s2
	s_lshr_b32 s0, s3, 16
	s_and_saveexec_b32 s2, vcc_lo
	s_cbranch_execz .LBB187_19
.LBB187_29:
	s_wait_loadcnt 0x1
	v_mul_f16_e32 v0, s0, v6
	s_wait_loadcnt 0x0
	s_delay_alu instid0(VALU_DEP_1) | instskip(SKIP_1) | instid1(VALU_DEP_2)
	v_mul_f16_e32 v6, v0, v7
	v_mov_b32_e32 v0, v3
	v_fmac_f16_e32 v6, s3, v4
	global_store_b16 v2, v6, s[4:5] scale_offset
	s_wait_xcnt 0x0
	s_or_b32 exec_lo, exec_lo, s2
	s_delay_alu instid0(SALU_CYCLE_1)
	s_mov_b32 s2, exec_lo
	v_cmpx_gt_i32_e64 s1, v0
	s_cbranch_execz .LBB187_20
.LBB187_30:
	s_wait_loadcnt 0x1
	v_mul_f16_e32 v2, s0, v8
	s_wait_loadcnt 0x0
	s_delay_alu instid0(VALU_DEP_1) | instskip(NEXT) | instid1(VALU_DEP_1)
	v_mul_f16_e32 v2, v2, v9
	v_fmac_f16_e32 v2, s3, v1
	v_add_nc_u32_e32 v1, s12, v0
	v_add_nc_u32_e32 v0, 0x100, v0
	global_store_b16 v1, v2, s[4:5] scale_offset
	s_wait_xcnt 0x0
	s_or_b32 exec_lo, exec_lo, s2
	s_delay_alu instid0(SALU_CYCLE_1)
	s_mov_b32 s2, exec_lo
	v_cmpx_gt_i32_e64 s1, v0
	s_cbranch_execz .LBB187_21
.LBB187_31:
	s_wait_loadcnt 0x1
	v_mul_f16_e32 v1, s0, v12
	v_add_nc_u32_e32 v2, s12, v0
	v_add_nc_u32_e32 v0, 0x100, v0
	s_wait_loadcnt 0x0
	s_delay_alu instid0(VALU_DEP_3) | instskip(NEXT) | instid1(VALU_DEP_1)
	v_mul_f16_e32 v1, v1, v13
	v_fmac_f16_e32 v1, s3, v11
	global_store_b16 v2, v1, s[4:5] scale_offset
	s_wait_xcnt 0x0
	s_or_b32 exec_lo, exec_lo, s2
	s_delay_alu instid0(SALU_CYCLE_1)
	s_mov_b32 s2, exec_lo
	v_cmpx_gt_i32_e64 s1, v0
	s_cbranch_execz .LBB187_22
.LBB187_32:
	s_wait_loadcnt 0x1
	v_mul_f16_e32 v1, s0, v15
	v_add_nc_u32_e32 v2, s12, v0
	v_add_nc_u32_e32 v0, 0x100, v0
	s_wait_loadcnt 0x0
	s_delay_alu instid0(VALU_DEP_3) | instskip(NEXT) | instid1(VALU_DEP_1)
	v_mul_f16_e32 v1, v1, v16
	v_fmac_f16_e32 v1, s3, v5
	global_store_b16 v2, v1, s[4:5] scale_offset
	s_wait_xcnt 0x0
	s_or_b32 exec_lo, exec_lo, s2
	s_delay_alu instid0(SALU_CYCLE_1)
	s_mov_b32 s2, exec_lo
	v_cmpx_gt_i32_e64 s1, v0
	s_cbranch_execz .LBB187_23
.LBB187_33:
	s_wait_loadcnt 0x1
	v_mul_f16_e32 v1, s0, v19
	v_add_nc_u32_e32 v2, s12, v0
	v_add_nc_u32_e32 v0, 0x100, v0
	s_wait_loadcnt 0x0
	s_delay_alu instid0(VALU_DEP_3) | instskip(NEXT) | instid1(VALU_DEP_1)
	v_mul_f16_e32 v1, v1, v20
	v_fmac_f16_e32 v1, s3, v18
	global_store_b16 v2, v1, s[4:5] scale_offset
	s_wait_xcnt 0x0
	s_or_b32 exec_lo, exec_lo, s2
	s_delay_alu instid0(SALU_CYCLE_1)
	s_mov_b32 s2, exec_lo
	v_cmpx_gt_i32_e64 s1, v0
	s_cbranch_execz .LBB187_24
.LBB187_34:
	s_wait_loadcnt 0x1
	v_mul_f16_e32 v1, s0, v21
	v_add_nc_u32_e32 v2, s12, v0
	v_add_nc_u32_e32 v0, 0x100, v0
	s_wait_loadcnt 0x0
	s_delay_alu instid0(VALU_DEP_3) | instskip(NEXT) | instid1(VALU_DEP_1)
	v_mul_f16_e32 v1, v1, v22
	v_fmac_f16_e32 v1, s3, v10
	global_store_b16 v2, v1, s[4:5] scale_offset
	s_wait_xcnt 0x0
	s_or_b32 exec_lo, exec_lo, s2
	s_delay_alu instid0(SALU_CYCLE_1)
	s_mov_b32 s2, exec_lo
	v_cmpx_gt_i32_e64 s1, v0
	s_cbranch_execz .LBB187_25
.LBB187_35:
	s_wait_loadcnt 0x1
	v_mul_f16_e32 v1, s0, v24
	v_add_nc_u32_e32 v2, s12, v0
	v_add_nc_u32_e32 v0, 0x100, v0
	s_wait_loadcnt 0x0
	s_delay_alu instid0(VALU_DEP_3) | instskip(NEXT) | instid1(VALU_DEP_1)
	v_mul_f16_e32 v1, v1, v25
	v_fmac_f16_e32 v1, s3, v23
	global_store_b16 v2, v1, s[4:5] scale_offset
	s_wait_xcnt 0x0
	s_or_b32 exec_lo, exec_lo, s2
	v_cmp_gt_i32_e32 vcc_lo, s1, v0
	s_and_saveexec_b32 s1, vcc_lo
	s_cbranch_execnz .LBB187_26
	s_branch .LBB187_27
	.section	.rodata,"a",@progbits
	.p2align	6, 0x0
	.amdhsa_kernel _ZN2at6native29vectorized_elementwise_kernelILi2EZZZNS0_12_GLOBAL__N_116addr_kernel_cudaERNS_14TensorIteratorERKN3c106ScalarES8_ENKUlvE_clEvENKUlvE9_clEvEUlNS5_4HalfESB_SB_E0_St5arrayIPcLm4EEEEviT0_T1_
		.amdhsa_group_segment_fixed_size 0
		.amdhsa_private_segment_fixed_size 0
		.amdhsa_kernarg_size 40
		.amdhsa_user_sgpr_count 2
		.amdhsa_user_sgpr_dispatch_ptr 0
		.amdhsa_user_sgpr_queue_ptr 0
		.amdhsa_user_sgpr_kernarg_segment_ptr 1
		.amdhsa_user_sgpr_dispatch_id 0
		.amdhsa_user_sgpr_kernarg_preload_length 0
		.amdhsa_user_sgpr_kernarg_preload_offset 0
		.amdhsa_user_sgpr_private_segment_size 0
		.amdhsa_wavefront_size32 1
		.amdhsa_uses_dynamic_stack 0
		.amdhsa_enable_private_segment 0
		.amdhsa_system_sgpr_workgroup_id_x 1
		.amdhsa_system_sgpr_workgroup_id_y 0
		.amdhsa_system_sgpr_workgroup_id_z 0
		.amdhsa_system_sgpr_workgroup_info 0
		.amdhsa_system_vgpr_workitem_id 0
		.amdhsa_next_free_vgpr 28
		.amdhsa_next_free_sgpr 20
		.amdhsa_named_barrier_count 0
		.amdhsa_reserve_vcc 1
		.amdhsa_float_round_mode_32 0
		.amdhsa_float_round_mode_16_64 0
		.amdhsa_float_denorm_mode_32 3
		.amdhsa_float_denorm_mode_16_64 3
		.amdhsa_fp16_overflow 0
		.amdhsa_memory_ordered 1
		.amdhsa_forward_progress 1
		.amdhsa_inst_pref_size 16
		.amdhsa_round_robin_scheduling 0
		.amdhsa_exception_fp_ieee_invalid_op 0
		.amdhsa_exception_fp_denorm_src 0
		.amdhsa_exception_fp_ieee_div_zero 0
		.amdhsa_exception_fp_ieee_overflow 0
		.amdhsa_exception_fp_ieee_underflow 0
		.amdhsa_exception_fp_ieee_inexact 0
		.amdhsa_exception_int_div_zero 0
	.end_amdhsa_kernel
	.section	.text._ZN2at6native29vectorized_elementwise_kernelILi2EZZZNS0_12_GLOBAL__N_116addr_kernel_cudaERNS_14TensorIteratorERKN3c106ScalarES8_ENKUlvE_clEvENKUlvE9_clEvEUlNS5_4HalfESB_SB_E0_St5arrayIPcLm4EEEEviT0_T1_,"axG",@progbits,_ZN2at6native29vectorized_elementwise_kernelILi2EZZZNS0_12_GLOBAL__N_116addr_kernel_cudaERNS_14TensorIteratorERKN3c106ScalarES8_ENKUlvE_clEvENKUlvE9_clEvEUlNS5_4HalfESB_SB_E0_St5arrayIPcLm4EEEEviT0_T1_,comdat
.Lfunc_end187:
	.size	_ZN2at6native29vectorized_elementwise_kernelILi2EZZZNS0_12_GLOBAL__N_116addr_kernel_cudaERNS_14TensorIteratorERKN3c106ScalarES8_ENKUlvE_clEvENKUlvE9_clEvEUlNS5_4HalfESB_SB_E0_St5arrayIPcLm4EEEEviT0_T1_, .Lfunc_end187-_ZN2at6native29vectorized_elementwise_kernelILi2EZZZNS0_12_GLOBAL__N_116addr_kernel_cudaERNS_14TensorIteratorERKN3c106ScalarES8_ENKUlvE_clEvENKUlvE9_clEvEUlNS5_4HalfESB_SB_E0_St5arrayIPcLm4EEEEviT0_T1_
                                        ; -- End function
	.set _ZN2at6native29vectorized_elementwise_kernelILi2EZZZNS0_12_GLOBAL__N_116addr_kernel_cudaERNS_14TensorIteratorERKN3c106ScalarES8_ENKUlvE_clEvENKUlvE9_clEvEUlNS5_4HalfESB_SB_E0_St5arrayIPcLm4EEEEviT0_T1_.num_vgpr, 28
	.set _ZN2at6native29vectorized_elementwise_kernelILi2EZZZNS0_12_GLOBAL__N_116addr_kernel_cudaERNS_14TensorIteratorERKN3c106ScalarES8_ENKUlvE_clEvENKUlvE9_clEvEUlNS5_4HalfESB_SB_E0_St5arrayIPcLm4EEEEviT0_T1_.num_agpr, 0
	.set _ZN2at6native29vectorized_elementwise_kernelILi2EZZZNS0_12_GLOBAL__N_116addr_kernel_cudaERNS_14TensorIteratorERKN3c106ScalarES8_ENKUlvE_clEvENKUlvE9_clEvEUlNS5_4HalfESB_SB_E0_St5arrayIPcLm4EEEEviT0_T1_.numbered_sgpr, 20
	.set _ZN2at6native29vectorized_elementwise_kernelILi2EZZZNS0_12_GLOBAL__N_116addr_kernel_cudaERNS_14TensorIteratorERKN3c106ScalarES8_ENKUlvE_clEvENKUlvE9_clEvEUlNS5_4HalfESB_SB_E0_St5arrayIPcLm4EEEEviT0_T1_.num_named_barrier, 0
	.set _ZN2at6native29vectorized_elementwise_kernelILi2EZZZNS0_12_GLOBAL__N_116addr_kernel_cudaERNS_14TensorIteratorERKN3c106ScalarES8_ENKUlvE_clEvENKUlvE9_clEvEUlNS5_4HalfESB_SB_E0_St5arrayIPcLm4EEEEviT0_T1_.private_seg_size, 0
	.set _ZN2at6native29vectorized_elementwise_kernelILi2EZZZNS0_12_GLOBAL__N_116addr_kernel_cudaERNS_14TensorIteratorERKN3c106ScalarES8_ENKUlvE_clEvENKUlvE9_clEvEUlNS5_4HalfESB_SB_E0_St5arrayIPcLm4EEEEviT0_T1_.uses_vcc, 1
	.set _ZN2at6native29vectorized_elementwise_kernelILi2EZZZNS0_12_GLOBAL__N_116addr_kernel_cudaERNS_14TensorIteratorERKN3c106ScalarES8_ENKUlvE_clEvENKUlvE9_clEvEUlNS5_4HalfESB_SB_E0_St5arrayIPcLm4EEEEviT0_T1_.uses_flat_scratch, 0
	.set _ZN2at6native29vectorized_elementwise_kernelILi2EZZZNS0_12_GLOBAL__N_116addr_kernel_cudaERNS_14TensorIteratorERKN3c106ScalarES8_ENKUlvE_clEvENKUlvE9_clEvEUlNS5_4HalfESB_SB_E0_St5arrayIPcLm4EEEEviT0_T1_.has_dyn_sized_stack, 0
	.set _ZN2at6native29vectorized_elementwise_kernelILi2EZZZNS0_12_GLOBAL__N_116addr_kernel_cudaERNS_14TensorIteratorERKN3c106ScalarES8_ENKUlvE_clEvENKUlvE9_clEvEUlNS5_4HalfESB_SB_E0_St5arrayIPcLm4EEEEviT0_T1_.has_recursion, 0
	.set _ZN2at6native29vectorized_elementwise_kernelILi2EZZZNS0_12_GLOBAL__N_116addr_kernel_cudaERNS_14TensorIteratorERKN3c106ScalarES8_ENKUlvE_clEvENKUlvE9_clEvEUlNS5_4HalfESB_SB_E0_St5arrayIPcLm4EEEEviT0_T1_.has_indirect_call, 0
	.section	.AMDGPU.csdata,"",@progbits
; Kernel info:
; codeLenInByte = 1976
; TotalNumSgprs: 22
; NumVgprs: 28
; ScratchSize: 0
; MemoryBound: 0
; FloatMode: 240
; IeeeMode: 1
; LDSByteSize: 0 bytes/workgroup (compile time only)
; SGPRBlocks: 0
; VGPRBlocks: 1
; NumSGPRsForWavesPerEU: 22
; NumVGPRsForWavesPerEU: 28
; NamedBarCnt: 0
; Occupancy: 16
; WaveLimiterHint : 1
; COMPUTE_PGM_RSRC2:SCRATCH_EN: 0
; COMPUTE_PGM_RSRC2:USER_SGPR: 2
; COMPUTE_PGM_RSRC2:TRAP_HANDLER: 0
; COMPUTE_PGM_RSRC2:TGID_X_EN: 1
; COMPUTE_PGM_RSRC2:TGID_Y_EN: 0
; COMPUTE_PGM_RSRC2:TGID_Z_EN: 0
; COMPUTE_PGM_RSRC2:TIDIG_COMP_CNT: 0
	.section	.text._ZN2at6native27unrolled_elementwise_kernelIZZZNS0_12_GLOBAL__N_116addr_kernel_cudaERNS_14TensorIteratorERKN3c106ScalarES8_ENKUlvE_clEvENKUlvE9_clEvEUlNS5_4HalfESB_SB_E0_St5arrayIPcLm4EELi4E23TrivialOffsetCalculatorILi3EjESG_ILi1EjENS0_6memory15LoadWithoutCastENSJ_16StoreWithoutCastEEEviT_T0_T2_T3_T4_T5_,"axG",@progbits,_ZN2at6native27unrolled_elementwise_kernelIZZZNS0_12_GLOBAL__N_116addr_kernel_cudaERNS_14TensorIteratorERKN3c106ScalarES8_ENKUlvE_clEvENKUlvE9_clEvEUlNS5_4HalfESB_SB_E0_St5arrayIPcLm4EELi4E23TrivialOffsetCalculatorILi3EjESG_ILi1EjENS0_6memory15LoadWithoutCastENSJ_16StoreWithoutCastEEEviT_T0_T2_T3_T4_T5_,comdat
	.globl	_ZN2at6native27unrolled_elementwise_kernelIZZZNS0_12_GLOBAL__N_116addr_kernel_cudaERNS_14TensorIteratorERKN3c106ScalarES8_ENKUlvE_clEvENKUlvE9_clEvEUlNS5_4HalfESB_SB_E0_St5arrayIPcLm4EELi4E23TrivialOffsetCalculatorILi3EjESG_ILi1EjENS0_6memory15LoadWithoutCastENSJ_16StoreWithoutCastEEEviT_T0_T2_T3_T4_T5_ ; -- Begin function _ZN2at6native27unrolled_elementwise_kernelIZZZNS0_12_GLOBAL__N_116addr_kernel_cudaERNS_14TensorIteratorERKN3c106ScalarES8_ENKUlvE_clEvENKUlvE9_clEvEUlNS5_4HalfESB_SB_E0_St5arrayIPcLm4EELi4E23TrivialOffsetCalculatorILi3EjESG_ILi1EjENS0_6memory15LoadWithoutCastENSJ_16StoreWithoutCastEEEviT_T0_T2_T3_T4_T5_
	.p2align	8
	.type	_ZN2at6native27unrolled_elementwise_kernelIZZZNS0_12_GLOBAL__N_116addr_kernel_cudaERNS_14TensorIteratorERKN3c106ScalarES8_ENKUlvE_clEvENKUlvE9_clEvEUlNS5_4HalfESB_SB_E0_St5arrayIPcLm4EELi4E23TrivialOffsetCalculatorILi3EjESG_ILi1EjENS0_6memory15LoadWithoutCastENSJ_16StoreWithoutCastEEEviT_T0_T2_T3_T4_T5_,@function
_ZN2at6native27unrolled_elementwise_kernelIZZZNS0_12_GLOBAL__N_116addr_kernel_cudaERNS_14TensorIteratorERKN3c106ScalarES8_ENKUlvE_clEvENKUlvE9_clEvEUlNS5_4HalfESB_SB_E0_St5arrayIPcLm4EELi4E23TrivialOffsetCalculatorILi3EjESG_ILi1EjENS0_6memory15LoadWithoutCastENSJ_16StoreWithoutCastEEEviT_T0_T2_T3_T4_T5_: ; @_ZN2at6native27unrolled_elementwise_kernelIZZZNS0_12_GLOBAL__N_116addr_kernel_cudaERNS_14TensorIteratorERKN3c106ScalarES8_ENKUlvE_clEvENKUlvE9_clEvEUlNS5_4HalfESB_SB_E0_St5arrayIPcLm4EELi4E23TrivialOffsetCalculatorILi3EjESG_ILi1EjENS0_6memory15LoadWithoutCastENSJ_16StoreWithoutCastEEEviT_T0_T2_T3_T4_T5_
; %bb.0:
	s_load_b64 s[2:3], s[0:1], 0x0
	s_bfe_u32 s13, ttmp6, 0x4000c
	s_load_b256 s[4:11], s[0:1], 0x8
	s_add_co_i32 s13, s13, 1
	s_and_b32 s12, ttmp6, 15
	s_wait_xcnt 0x0
	s_mul_i32 s0, ttmp9, s13
	s_getreg_b32 s14, hwreg(HW_REG_IB_STS2, 6, 4)
	s_add_co_i32 s12, s12, s0
	s_cmp_eq_u32 s14, 0
	v_dual_mov_b32 v1, 0 :: v_dual_mov_b32 v2, 0
	s_cselect_b32 s0, ttmp9, s12
	v_dual_mov_b32 v6, 0 :: v_dual_mov_b32 v7, 0
	s_lshl_b32 s1, s0, 10
	v_or_b32_e32 v3, 0x100, v0
	v_dual_mov_b32 v15, v0 :: v_dual_bitop2_b32 v5, s1, v0 bitop3:0x54
	s_wait_kmcnt 0x0
	s_sub_co_i32 s2, s2, s1
	s_delay_alu instid0(SALU_CYCLE_1)
	v_cmp_gt_i32_e32 vcc_lo, s2, v0
	s_and_saveexec_b32 s0, vcc_lo
	s_cbranch_execz .LBB188_2
; %bb.1:
	s_clause 0x2
	global_load_u16 v2, v5, s[6:7] scale_offset
	global_load_u16 v6, v5, s[8:9] scale_offset
	;; [unrolled: 1-line block ×3, first 2 shown]
	v_or_b32_e32 v15, 0x100, v0
.LBB188_2:
	s_wait_xcnt 0x0
	s_or_b32 exec_lo, exec_lo, s0
	v_dual_mov_b32 v8, 0 :: v_dual_mov_b32 v9, 0
	s_mov_b32 s12, exec_lo
	v_cmpx_gt_i32_e64 s2, v15
	s_cbranch_execz .LBB188_4
; %bb.3:
	v_add_nc_u32_e32 v4, s1, v15
	v_add_nc_u32_e32 v15, 0x100, v15
	s_clause 0x2
	global_load_u16 v1, v4, s[6:7] scale_offset
	global_load_u16 v8, v4, s[8:9] scale_offset
	;; [unrolled: 1-line block ×3, first 2 shown]
.LBB188_4:
	s_wait_xcnt 0x0
	s_or_b32 exec_lo, exec_lo, s12
	v_dual_mov_b32 v4, 0 :: v_dual_mov_b32 v10, 0
	v_dual_mov_b32 v11, 0 :: v_dual_mov_b32 v12, 0
	s_mov_b32 s12, exec_lo
	v_cmpx_gt_i32_e64 s2, v15
	s_cbranch_execz .LBB188_6
; %bb.5:
	v_add_nc_u32_e32 v13, s1, v15
	v_add_nc_u32_e32 v15, 0x100, v15
	s_clause 0x2
	global_load_u16 v10, v13, s[6:7] scale_offset
	global_load_u16 v11, v13, s[8:9] scale_offset
	;; [unrolled: 1-line block ×3, first 2 shown]
.LBB188_6:
	s_wait_xcnt 0x0
	s_or_b32 exec_lo, exec_lo, s12
	v_dual_mov_b32 v13, 0 :: v_dual_mov_b32 v14, 0
	s_mov_b32 s12, exec_lo
	v_cmpx_gt_i32_e64 s2, v15
	s_cbranch_execnz .LBB188_12
; %bb.7:
	s_or_b32 exec_lo, exec_lo, s12
	s_lshr_b32 s0, s3, 16
	s_and_saveexec_b32 s6, vcc_lo
	s_cbranch_execnz .LBB188_13
.LBB188_8:
	s_or_b32 exec_lo, exec_lo, s6
	s_delay_alu instid0(SALU_CYCLE_1)
	s_mov_b32 s6, exec_lo
	v_cmpx_gt_i32_e64 s2, v0
	s_cbranch_execnz .LBB188_14
.LBB188_9:
	s_or_b32 exec_lo, exec_lo, s6
	s_delay_alu instid0(SALU_CYCLE_1)
	s_mov_b32 s6, exec_lo
	v_cmpx_gt_i32_e64 s2, v0
	s_cbranch_execnz .LBB188_15
.LBB188_10:
	s_or_b32 exec_lo, exec_lo, s6
	v_cmp_gt_i32_e32 vcc_lo, s2, v0
	s_and_saveexec_b32 s2, vcc_lo
	s_cbranch_execnz .LBB188_16
.LBB188_11:
	s_endpgm
.LBB188_12:
	v_add_nc_u32_e32 v15, s1, v15
	s_clause 0x2
	global_load_u16 v4, v15, s[6:7] scale_offset
	global_load_u16 v13, v15, s[8:9] scale_offset
	;; [unrolled: 1-line block ×3, first 2 shown]
	s_wait_xcnt 0x0
	s_or_b32 exec_lo, exec_lo, s12
	s_lshr_b32 s0, s3, 16
	s_and_saveexec_b32 s6, vcc_lo
	s_cbranch_execz .LBB188_8
.LBB188_13:
	s_wait_loadcnt 0x1
	v_mul_f16_e32 v0, s0, v6
	s_wait_loadcnt 0x0
	s_delay_alu instid0(VALU_DEP_1) | instskip(SKIP_1) | instid1(VALU_DEP_2)
	v_mul_f16_e32 v6, v0, v7
	v_mov_b32_e32 v0, v3
	v_fmac_f16_e32 v6, s3, v2
	global_store_b16 v5, v6, s[4:5] scale_offset
	s_wait_xcnt 0x0
	s_or_b32 exec_lo, exec_lo, s6
	s_delay_alu instid0(SALU_CYCLE_1)
	s_mov_b32 s6, exec_lo
	v_cmpx_gt_i32_e64 s2, v0
	s_cbranch_execz .LBB188_9
.LBB188_14:
	s_wait_loadcnt 0x1
	v_mul_f16_e32 v2, s0, v8
	v_add_nc_u32_e32 v3, 0x100, v0
	s_wait_loadcnt 0x0
	s_delay_alu instid0(VALU_DEP_2) | instskip(NEXT) | instid1(VALU_DEP_1)
	v_mul_f16_e32 v2, v2, v9
	v_fmac_f16_e32 v2, s3, v1
	s_delay_alu instid0(VALU_DEP_3) | instskip(SKIP_3) | instid1(SALU_CYCLE_1)
	v_dual_mov_b32 v0, v3 :: v_dual_add_nc_u32 v1, s1, v0
	global_store_b16 v1, v2, s[4:5] scale_offset
	s_wait_xcnt 0x0
	s_or_b32 exec_lo, exec_lo, s6
	s_mov_b32 s6, exec_lo
	v_cmpx_gt_i32_e64 s2, v0
	s_cbranch_execz .LBB188_10
.LBB188_15:
	s_wait_loadcnt 0x1
	v_mul_f16_e32 v1, s0, v11
	v_add_nc_u32_e32 v2, 0x100, v0
	v_add_nc_u32_e32 v3, s1, v0
	s_wait_loadcnt 0x0
	s_delay_alu instid0(VALU_DEP_3) | instskip(NEXT) | instid1(VALU_DEP_3)
	v_mul_f16_e32 v1, v1, v12
	v_mov_b32_e32 v0, v2
	s_delay_alu instid0(VALU_DEP_2)
	v_fmac_f16_e32 v1, s3, v10
	global_store_b16 v3, v1, s[4:5] scale_offset
	s_wait_xcnt 0x0
	s_or_b32 exec_lo, exec_lo, s6
	v_cmp_gt_i32_e32 vcc_lo, s2, v0
	s_and_saveexec_b32 s2, vcc_lo
	s_cbranch_execz .LBB188_11
.LBB188_16:
	s_wait_loadcnt 0x1
	v_mul_f16_e32 v1, s0, v13
	v_add_nc_u32_e32 v0, s1, v0
	s_wait_loadcnt 0x0
	s_delay_alu instid0(VALU_DEP_2) | instskip(NEXT) | instid1(VALU_DEP_1)
	v_mul_f16_e32 v1, v1, v14
	v_fmac_f16_e32 v1, s3, v4
	global_store_b16 v0, v1, s[4:5] scale_offset
	s_endpgm
	.section	.rodata,"a",@progbits
	.p2align	6, 0x0
	.amdhsa_kernel _ZN2at6native27unrolled_elementwise_kernelIZZZNS0_12_GLOBAL__N_116addr_kernel_cudaERNS_14TensorIteratorERKN3c106ScalarES8_ENKUlvE_clEvENKUlvE9_clEvEUlNS5_4HalfESB_SB_E0_St5arrayIPcLm4EELi4E23TrivialOffsetCalculatorILi3EjESG_ILi1EjENS0_6memory15LoadWithoutCastENSJ_16StoreWithoutCastEEEviT_T0_T2_T3_T4_T5_
		.amdhsa_group_segment_fixed_size 0
		.amdhsa_private_segment_fixed_size 0
		.amdhsa_kernarg_size 44
		.amdhsa_user_sgpr_count 2
		.amdhsa_user_sgpr_dispatch_ptr 0
		.amdhsa_user_sgpr_queue_ptr 0
		.amdhsa_user_sgpr_kernarg_segment_ptr 1
		.amdhsa_user_sgpr_dispatch_id 0
		.amdhsa_user_sgpr_kernarg_preload_length 0
		.amdhsa_user_sgpr_kernarg_preload_offset 0
		.amdhsa_user_sgpr_private_segment_size 0
		.amdhsa_wavefront_size32 1
		.amdhsa_uses_dynamic_stack 0
		.amdhsa_enable_private_segment 0
		.amdhsa_system_sgpr_workgroup_id_x 1
		.amdhsa_system_sgpr_workgroup_id_y 0
		.amdhsa_system_sgpr_workgroup_id_z 0
		.amdhsa_system_sgpr_workgroup_info 0
		.amdhsa_system_vgpr_workitem_id 0
		.amdhsa_next_free_vgpr 16
		.amdhsa_next_free_sgpr 15
		.amdhsa_named_barrier_count 0
		.amdhsa_reserve_vcc 1
		.amdhsa_float_round_mode_32 0
		.amdhsa_float_round_mode_16_64 0
		.amdhsa_float_denorm_mode_32 3
		.amdhsa_float_denorm_mode_16_64 3
		.amdhsa_fp16_overflow 0
		.amdhsa_memory_ordered 1
		.amdhsa_forward_progress 1
		.amdhsa_inst_pref_size 7
		.amdhsa_round_robin_scheduling 0
		.amdhsa_exception_fp_ieee_invalid_op 0
		.amdhsa_exception_fp_denorm_src 0
		.amdhsa_exception_fp_ieee_div_zero 0
		.amdhsa_exception_fp_ieee_overflow 0
		.amdhsa_exception_fp_ieee_underflow 0
		.amdhsa_exception_fp_ieee_inexact 0
		.amdhsa_exception_int_div_zero 0
	.end_amdhsa_kernel
	.section	.text._ZN2at6native27unrolled_elementwise_kernelIZZZNS0_12_GLOBAL__N_116addr_kernel_cudaERNS_14TensorIteratorERKN3c106ScalarES8_ENKUlvE_clEvENKUlvE9_clEvEUlNS5_4HalfESB_SB_E0_St5arrayIPcLm4EELi4E23TrivialOffsetCalculatorILi3EjESG_ILi1EjENS0_6memory15LoadWithoutCastENSJ_16StoreWithoutCastEEEviT_T0_T2_T3_T4_T5_,"axG",@progbits,_ZN2at6native27unrolled_elementwise_kernelIZZZNS0_12_GLOBAL__N_116addr_kernel_cudaERNS_14TensorIteratorERKN3c106ScalarES8_ENKUlvE_clEvENKUlvE9_clEvEUlNS5_4HalfESB_SB_E0_St5arrayIPcLm4EELi4E23TrivialOffsetCalculatorILi3EjESG_ILi1EjENS0_6memory15LoadWithoutCastENSJ_16StoreWithoutCastEEEviT_T0_T2_T3_T4_T5_,comdat
.Lfunc_end188:
	.size	_ZN2at6native27unrolled_elementwise_kernelIZZZNS0_12_GLOBAL__N_116addr_kernel_cudaERNS_14TensorIteratorERKN3c106ScalarES8_ENKUlvE_clEvENKUlvE9_clEvEUlNS5_4HalfESB_SB_E0_St5arrayIPcLm4EELi4E23TrivialOffsetCalculatorILi3EjESG_ILi1EjENS0_6memory15LoadWithoutCastENSJ_16StoreWithoutCastEEEviT_T0_T2_T3_T4_T5_, .Lfunc_end188-_ZN2at6native27unrolled_elementwise_kernelIZZZNS0_12_GLOBAL__N_116addr_kernel_cudaERNS_14TensorIteratorERKN3c106ScalarES8_ENKUlvE_clEvENKUlvE9_clEvEUlNS5_4HalfESB_SB_E0_St5arrayIPcLm4EELi4E23TrivialOffsetCalculatorILi3EjESG_ILi1EjENS0_6memory15LoadWithoutCastENSJ_16StoreWithoutCastEEEviT_T0_T2_T3_T4_T5_
                                        ; -- End function
	.set _ZN2at6native27unrolled_elementwise_kernelIZZZNS0_12_GLOBAL__N_116addr_kernel_cudaERNS_14TensorIteratorERKN3c106ScalarES8_ENKUlvE_clEvENKUlvE9_clEvEUlNS5_4HalfESB_SB_E0_St5arrayIPcLm4EELi4E23TrivialOffsetCalculatorILi3EjESG_ILi1EjENS0_6memory15LoadWithoutCastENSJ_16StoreWithoutCastEEEviT_T0_T2_T3_T4_T5_.num_vgpr, 16
	.set _ZN2at6native27unrolled_elementwise_kernelIZZZNS0_12_GLOBAL__N_116addr_kernel_cudaERNS_14TensorIteratorERKN3c106ScalarES8_ENKUlvE_clEvENKUlvE9_clEvEUlNS5_4HalfESB_SB_E0_St5arrayIPcLm4EELi4E23TrivialOffsetCalculatorILi3EjESG_ILi1EjENS0_6memory15LoadWithoutCastENSJ_16StoreWithoutCastEEEviT_T0_T2_T3_T4_T5_.num_agpr, 0
	.set _ZN2at6native27unrolled_elementwise_kernelIZZZNS0_12_GLOBAL__N_116addr_kernel_cudaERNS_14TensorIteratorERKN3c106ScalarES8_ENKUlvE_clEvENKUlvE9_clEvEUlNS5_4HalfESB_SB_E0_St5arrayIPcLm4EELi4E23TrivialOffsetCalculatorILi3EjESG_ILi1EjENS0_6memory15LoadWithoutCastENSJ_16StoreWithoutCastEEEviT_T0_T2_T3_T4_T5_.numbered_sgpr, 15
	.set _ZN2at6native27unrolled_elementwise_kernelIZZZNS0_12_GLOBAL__N_116addr_kernel_cudaERNS_14TensorIteratorERKN3c106ScalarES8_ENKUlvE_clEvENKUlvE9_clEvEUlNS5_4HalfESB_SB_E0_St5arrayIPcLm4EELi4E23TrivialOffsetCalculatorILi3EjESG_ILi1EjENS0_6memory15LoadWithoutCastENSJ_16StoreWithoutCastEEEviT_T0_T2_T3_T4_T5_.num_named_barrier, 0
	.set _ZN2at6native27unrolled_elementwise_kernelIZZZNS0_12_GLOBAL__N_116addr_kernel_cudaERNS_14TensorIteratorERKN3c106ScalarES8_ENKUlvE_clEvENKUlvE9_clEvEUlNS5_4HalfESB_SB_E0_St5arrayIPcLm4EELi4E23TrivialOffsetCalculatorILi3EjESG_ILi1EjENS0_6memory15LoadWithoutCastENSJ_16StoreWithoutCastEEEviT_T0_T2_T3_T4_T5_.private_seg_size, 0
	.set _ZN2at6native27unrolled_elementwise_kernelIZZZNS0_12_GLOBAL__N_116addr_kernel_cudaERNS_14TensorIteratorERKN3c106ScalarES8_ENKUlvE_clEvENKUlvE9_clEvEUlNS5_4HalfESB_SB_E0_St5arrayIPcLm4EELi4E23TrivialOffsetCalculatorILi3EjESG_ILi1EjENS0_6memory15LoadWithoutCastENSJ_16StoreWithoutCastEEEviT_T0_T2_T3_T4_T5_.uses_vcc, 1
	.set _ZN2at6native27unrolled_elementwise_kernelIZZZNS0_12_GLOBAL__N_116addr_kernel_cudaERNS_14TensorIteratorERKN3c106ScalarES8_ENKUlvE_clEvENKUlvE9_clEvEUlNS5_4HalfESB_SB_E0_St5arrayIPcLm4EELi4E23TrivialOffsetCalculatorILi3EjESG_ILi1EjENS0_6memory15LoadWithoutCastENSJ_16StoreWithoutCastEEEviT_T0_T2_T3_T4_T5_.uses_flat_scratch, 0
	.set _ZN2at6native27unrolled_elementwise_kernelIZZZNS0_12_GLOBAL__N_116addr_kernel_cudaERNS_14TensorIteratorERKN3c106ScalarES8_ENKUlvE_clEvENKUlvE9_clEvEUlNS5_4HalfESB_SB_E0_St5arrayIPcLm4EELi4E23TrivialOffsetCalculatorILi3EjESG_ILi1EjENS0_6memory15LoadWithoutCastENSJ_16StoreWithoutCastEEEviT_T0_T2_T3_T4_T5_.has_dyn_sized_stack, 0
	.set _ZN2at6native27unrolled_elementwise_kernelIZZZNS0_12_GLOBAL__N_116addr_kernel_cudaERNS_14TensorIteratorERKN3c106ScalarES8_ENKUlvE_clEvENKUlvE9_clEvEUlNS5_4HalfESB_SB_E0_St5arrayIPcLm4EELi4E23TrivialOffsetCalculatorILi3EjESG_ILi1EjENS0_6memory15LoadWithoutCastENSJ_16StoreWithoutCastEEEviT_T0_T2_T3_T4_T5_.has_recursion, 0
	.set _ZN2at6native27unrolled_elementwise_kernelIZZZNS0_12_GLOBAL__N_116addr_kernel_cudaERNS_14TensorIteratorERKN3c106ScalarES8_ENKUlvE_clEvENKUlvE9_clEvEUlNS5_4HalfESB_SB_E0_St5arrayIPcLm4EELi4E23TrivialOffsetCalculatorILi3EjESG_ILi1EjENS0_6memory15LoadWithoutCastENSJ_16StoreWithoutCastEEEviT_T0_T2_T3_T4_T5_.has_indirect_call, 0
	.section	.AMDGPU.csdata,"",@progbits
; Kernel info:
; codeLenInByte = 796
; TotalNumSgprs: 17
; NumVgprs: 16
; ScratchSize: 0
; MemoryBound: 0
; FloatMode: 240
; IeeeMode: 1
; LDSByteSize: 0 bytes/workgroup (compile time only)
; SGPRBlocks: 0
; VGPRBlocks: 0
; NumSGPRsForWavesPerEU: 17
; NumVGPRsForWavesPerEU: 16
; NamedBarCnt: 0
; Occupancy: 16
; WaveLimiterHint : 0
; COMPUTE_PGM_RSRC2:SCRATCH_EN: 0
; COMPUTE_PGM_RSRC2:USER_SGPR: 2
; COMPUTE_PGM_RSRC2:TRAP_HANDLER: 0
; COMPUTE_PGM_RSRC2:TGID_X_EN: 1
; COMPUTE_PGM_RSRC2:TGID_Y_EN: 0
; COMPUTE_PGM_RSRC2:TGID_Z_EN: 0
; COMPUTE_PGM_RSRC2:TIDIG_COMP_CNT: 0
	.section	.text._ZN2at6native32elementwise_kernel_manual_unrollILi128ELi8EZNS0_22gpu_kernel_impl_nocastIZZZNS0_12_GLOBAL__N_116addr_kernel_cudaERNS_14TensorIteratorERKN3c106ScalarES9_ENKUlvE_clEvENKUlvE9_clEvEUlNS6_4HalfESC_SC_E0_EEvRNS_18TensorIteratorBaseERKT_EUlibE_EEviT1_,"axG",@progbits,_ZN2at6native32elementwise_kernel_manual_unrollILi128ELi8EZNS0_22gpu_kernel_impl_nocastIZZZNS0_12_GLOBAL__N_116addr_kernel_cudaERNS_14TensorIteratorERKN3c106ScalarES9_ENKUlvE_clEvENKUlvE9_clEvEUlNS6_4HalfESC_SC_E0_EEvRNS_18TensorIteratorBaseERKT_EUlibE_EEviT1_,comdat
	.globl	_ZN2at6native32elementwise_kernel_manual_unrollILi128ELi8EZNS0_22gpu_kernel_impl_nocastIZZZNS0_12_GLOBAL__N_116addr_kernel_cudaERNS_14TensorIteratorERKN3c106ScalarES9_ENKUlvE_clEvENKUlvE9_clEvEUlNS6_4HalfESC_SC_E0_EEvRNS_18TensorIteratorBaseERKT_EUlibE_EEviT1_ ; -- Begin function _ZN2at6native32elementwise_kernel_manual_unrollILi128ELi8EZNS0_22gpu_kernel_impl_nocastIZZZNS0_12_GLOBAL__N_116addr_kernel_cudaERNS_14TensorIteratorERKN3c106ScalarES9_ENKUlvE_clEvENKUlvE9_clEvEUlNS6_4HalfESC_SC_E0_EEvRNS_18TensorIteratorBaseERKT_EUlibE_EEviT1_
	.p2align	8
	.type	_ZN2at6native32elementwise_kernel_manual_unrollILi128ELi8EZNS0_22gpu_kernel_impl_nocastIZZZNS0_12_GLOBAL__N_116addr_kernel_cudaERNS_14TensorIteratorERKN3c106ScalarES9_ENKUlvE_clEvENKUlvE9_clEvEUlNS6_4HalfESC_SC_E0_EEvRNS_18TensorIteratorBaseERKT_EUlibE_EEviT1_,@function
_ZN2at6native32elementwise_kernel_manual_unrollILi128ELi8EZNS0_22gpu_kernel_impl_nocastIZZZNS0_12_GLOBAL__N_116addr_kernel_cudaERNS_14TensorIteratorERKN3c106ScalarES9_ENKUlvE_clEvENKUlvE9_clEvEUlNS6_4HalfESC_SC_E0_EEvRNS_18TensorIteratorBaseERKT_EUlibE_EEviT1_: ; @_ZN2at6native32elementwise_kernel_manual_unrollILi128ELi8EZNS0_22gpu_kernel_impl_nocastIZZZNS0_12_GLOBAL__N_116addr_kernel_cudaERNS_14TensorIteratorERKN3c106ScalarES9_ENKUlvE_clEvENKUlvE9_clEvEUlNS6_4HalfESC_SC_E0_EEvRNS_18TensorIteratorBaseERKT_EUlibE_EEviT1_
; %bb.0:
	s_clause 0x1
	s_load_b32 s33, s[0:1], 0x8
	s_load_b32 s40, s[0:1], 0x0
	s_bfe_u32 s2, ttmp6, 0x4000c
	s_and_b32 s3, ttmp6, 15
	s_add_co_i32 s2, s2, 1
	s_getreg_b32 s4, hwreg(HW_REG_IB_STS2, 6, 4)
	s_mul_i32 s2, ttmp9, s2
	s_add_nc_u64 s[20:21], s[0:1], 8
	s_add_co_i32 s3, s3, s2
	s_cmp_eq_u32 s4, 0
	s_mov_b32 s25, 0
	s_cselect_b32 s2, ttmp9, s3
	s_wait_xcnt 0x0
	s_mov_b32 s0, exec_lo
	v_lshl_or_b32 v0, s2, 10, v0
	s_delay_alu instid0(VALU_DEP_1) | instskip(SKIP_2) | instid1(SALU_CYCLE_1)
	v_or_b32_e32 v5, 0x380, v0
	s_wait_kmcnt 0x0
	s_add_co_i32 s34, s33, -1
	s_cmp_gt_u32 s34, 1
	s_cselect_b32 s35, -1, 0
	v_cmpx_le_i32_e64 s40, v5
	s_xor_b32 s36, exec_lo, s0
	s_cbranch_execz .LBB189_106
; %bb.1:
	s_clause 0x4
	s_load_b128 s[16:19], s[20:21], 0x4
	s_load_b64 s[22:23], s[20:21], 0x14
	s_load_b32 s37, s[20:21], 0x1e8
	s_load_b256 s[8:15], s[20:21], 0xc4
	s_load_b256 s[0:7], s[20:21], 0x1c8
	s_cmp_lg_u32 s33, 0
	s_mov_b32 s27, s25
	s_cselect_b32 s41, -1, 0
	s_min_u32 s39, s34, 15
	s_cmp_gt_u32 s33, 1
	s_cselect_b32 s38, -1, 0
	s_wait_kmcnt 0x0
	s_mov_b32 s24, s17
	s_mov_b32 s26, s22
	s_lshr_b32 s17, s37, 16
	s_mov_b32 s22, exec_lo
	v_cmpx_gt_i32_e64 s40, v0
	s_cbranch_execnz .LBB189_9
; %bb.2:
	s_or_b32 exec_lo, exec_lo, s22
	s_delay_alu instid0(SALU_CYCLE_1)
	s_mov_b32 s22, exec_lo
	v_cmpx_gt_i32_e64 s40, v0
	s_cbranch_execnz .LBB189_21
.LBB189_3:
	s_or_b32 exec_lo, exec_lo, s22
	s_delay_alu instid0(SALU_CYCLE_1)
	s_mov_b32 s22, exec_lo
	v_cmpx_gt_i32_e64 s40, v0
	s_cbranch_execnz .LBB189_33
.LBB189_4:
	s_or_b32 exec_lo, exec_lo, s22
	s_delay_alu instid0(SALU_CYCLE_1)
	s_mov_b32 s22, exec_lo
	v_cmpx_gt_i32_e64 s40, v0
	s_cbranch_execnz .LBB189_45
.LBB189_5:
	s_or_b32 exec_lo, exec_lo, s22
	s_delay_alu instid0(SALU_CYCLE_1)
	s_mov_b32 s22, exec_lo
	v_cmpx_gt_i32_e64 s40, v0
	s_cbranch_execnz .LBB189_57
.LBB189_6:
	s_or_b32 exec_lo, exec_lo, s22
	s_delay_alu instid0(SALU_CYCLE_1)
	s_mov_b32 s22, exec_lo
	v_cmpx_gt_i32_e64 s40, v0
	s_cbranch_execnz .LBB189_69
.LBB189_7:
	s_or_b32 exec_lo, exec_lo, s22
	s_delay_alu instid0(SALU_CYCLE_1)
	s_mov_b32 s22, exec_lo
	v_cmpx_gt_i32_e64 s40, v0
	s_cbranch_execnz .LBB189_81
.LBB189_8:
	s_or_b32 exec_lo, exec_lo, s22
	s_delay_alu instid0(SALU_CYCLE_1)
	s_mov_b32 s22, exec_lo
	v_cmpx_gt_i32_e64 s40, v0
	s_cbranch_execnz .LBB189_93
	s_branch .LBB189_105
.LBB189_9:
	s_and_not1_b32 vcc_lo, exec_lo, s35
	s_cbranch_vccnz .LBB189_15
; %bb.10:
	s_and_not1_b32 vcc_lo, exec_lo, s41
	s_cbranch_vccnz .LBB189_16
; %bb.11:
	v_dual_mov_b32 v5, 0 :: v_dual_mov_b32 v1, v0
	v_dual_mov_b32 v7, 0 :: v_dual_mov_b32 v4, 0
	v_mov_b32_e32 v6, 0
	s_add_co_i32 s30, s39, 1
	s_mov_b64 s[28:29], 0xffffffffffffffe0
	s_and_b32 s42, s30, 30
	s_add_nc_u64 s[28:29], s[20:21], s[28:29]
	s_mov_b64 s[30:31], s[20:21]
.LBB189_12:                             ; =>This Inner Loop Header: Depth=1
	s_clause 0x1
	s_load_b128 s[52:55], s[30:31], 0x4
	s_load_b64 s[56:57], s[30:31], 0x14
	s_load_b256 s[44:51], s[28:29], 0xe4
	s_add_co_i32 s42, s42, -2
	s_wait_xcnt 0x0
	s_add_nc_u64 s[30:31], s[30:31], 24
	s_cmp_lg_u32 s42, 0
	s_add_nc_u64 s[28:29], s[28:29], 32
	s_wait_kmcnt 0x0
	v_mul_hi_u32 v2, s53, v1
	s_delay_alu instid0(VALU_DEP_1) | instskip(NEXT) | instid1(VALU_DEP_1)
	v_add_nc_u32_e32 v2, v1, v2
	v_lshrrev_b32_e32 v2, s54, v2
	s_delay_alu instid0(VALU_DEP_1) | instskip(SKIP_1) | instid1(VALU_DEP_1)
	v_mul_hi_u32 v3, s56, v2
	v_mul_lo_u32 v8, v2, s52
	v_dual_add_nc_u32 v3, v2, v3 :: v_dual_sub_nc_u32 v8, v1, v8
	s_delay_alu instid0(VALU_DEP_1) | instskip(NEXT) | instid1(VALU_DEP_2)
	v_lshrrev_b32_e32 v1, s57, v3
	v_mad_u32 v6, v8, s45, v6
	v_mad_u32 v4, v8, s44, v4
	;; [unrolled: 1-line block ×4, first 2 shown]
	v_mul_lo_u32 v3, v1, s55
	s_delay_alu instid0(VALU_DEP_1) | instskip(NEXT) | instid1(VALU_DEP_1)
	v_sub_nc_u32_e32 v2, v2, v3
	v_mad_u32 v6, v2, s49, v6
	v_mad_u32 v4, v2, s48, v4
	;; [unrolled: 1-line block ×4, first 2 shown]
	s_cbranch_scc1 .LBB189_12
; %bb.13:
	s_bitcmp1_b32 s39, 0
	s_cselect_b32 s42, -1, 0
	s_delay_alu instid0(SALU_CYCLE_1)
	s_and_b32 vcc_lo, exec_lo, s42
	s_cbranch_vccnz .LBB189_17
; %bb.14:
	s_load_b96 s[48:50], s[30:31], 0x4
	s_load_b128 s[44:47], s[28:29], 0xe4
	s_wait_xcnt 0x0
	s_wait_kmcnt 0x0
	v_mul_hi_u32 v2, s49, v1
	s_delay_alu instid0(VALU_DEP_1) | instskip(NEXT) | instid1(VALU_DEP_1)
	v_add_nc_u32_e32 v2, v1, v2
	v_lshrrev_b32_e32 v2, s50, v2
	s_delay_alu instid0(VALU_DEP_1) | instskip(NEXT) | instid1(VALU_DEP_1)
	v_mul_lo_u32 v2, v2, s48
	v_sub_nc_u32_e32 v1, v1, v2
	s_delay_alu instid0(VALU_DEP_1)
	v_mad_u32 v4, v1, s44, v4
	v_mad_u32 v6, v1, s45, v6
	;; [unrolled: 1-line block ×4, first 2 shown]
	s_cbranch_execz .LBB189_18
	s_branch .LBB189_20
.LBB189_15:
                                        ; implicit-def: $vgpr6
                                        ; implicit-def: $vgpr4
                                        ; implicit-def: $vgpr7
                                        ; implicit-def: $vgpr5
	s_branch .LBB189_18
.LBB189_16:
	v_dual_mov_b32 v6, 0 :: v_dual_mov_b32 v4, 0
	v_dual_mov_b32 v7, 0 :: v_dual_mov_b32 v5, 0
.LBB189_17:
	s_cbranch_execnz .LBB189_20
.LBB189_18:
	v_mov_b32_e32 v1, 0
	s_and_not1_b32 vcc_lo, exec_lo, s38
	s_delay_alu instid0(VALU_DEP_1) | instskip(NEXT) | instid1(VALU_DEP_1)
	v_mul_u64_e32 v[2:3], s[24:25], v[0:1]
	v_add_nc_u32_e32 v2, v0, v3
	s_delay_alu instid0(VALU_DEP_1) | instskip(NEXT) | instid1(VALU_DEP_1)
	v_lshrrev_b32_e32 v2, s18, v2
	v_mul_lo_u32 v3, v2, s16
	s_delay_alu instid0(VALU_DEP_1) | instskip(NEXT) | instid1(VALU_DEP_1)
	v_sub_nc_u32_e32 v3, v0, v3
	v_mul_lo_u32 v6, v3, s9
	v_mul_lo_u32 v4, v3, s8
	;; [unrolled: 1-line block ×4, first 2 shown]
	s_cbranch_vccnz .LBB189_20
; %bb.19:
	v_mov_b32_e32 v3, v1
	s_delay_alu instid0(VALU_DEP_1) | instskip(NEXT) | instid1(VALU_DEP_1)
	v_mul_u64_e32 v[8:9], s[26:27], v[2:3]
	v_add_nc_u32_e32 v1, v2, v9
	s_delay_alu instid0(VALU_DEP_1) | instskip(NEXT) | instid1(VALU_DEP_1)
	v_lshrrev_b32_e32 v1, s23, v1
	v_mul_lo_u32 v1, v1, s19
	s_delay_alu instid0(VALU_DEP_1) | instskip(NEXT) | instid1(VALU_DEP_1)
	v_sub_nc_u32_e32 v1, v2, v1
	v_mad_u32 v4, v1, s12, v4
	v_mad_u32 v6, v1, s13, v6
	;; [unrolled: 1-line block ×4, first 2 shown]
.LBB189_20:
	global_load_u16 v1, v5, s[4:5]
	global_load_u16 v2, v7, s[6:7]
	;; [unrolled: 1-line block ×3, first 2 shown]
	v_add_nc_u32_e32 v0, 0x80, v0
	s_wait_loadcnt 0x2
	v_mul_f16_e32 v1, s17, v1
	s_wait_loadcnt 0x1
	s_delay_alu instid0(VALU_DEP_1) | instskip(SKIP_1) | instid1(VALU_DEP_1)
	v_mul_f16_e32 v1, v1, v2
	s_wait_loadcnt 0x0
	v_fmac_f16_e32 v1, s37, v3
	global_store_b16 v4, v1, s[0:1]
	s_wait_xcnt 0x0
	s_or_b32 exec_lo, exec_lo, s22
	s_delay_alu instid0(SALU_CYCLE_1)
	s_mov_b32 s22, exec_lo
	v_cmpx_gt_i32_e64 s40, v0
	s_cbranch_execz .LBB189_3
.LBB189_21:
	s_and_not1_b32 vcc_lo, exec_lo, s35
	s_cbranch_vccnz .LBB189_27
; %bb.22:
	s_and_not1_b32 vcc_lo, exec_lo, s41
	s_cbranch_vccnz .LBB189_28
; %bb.23:
	v_dual_mov_b32 v6, 0 :: v_dual_mov_b32 v1, v0
	v_dual_mov_b32 v7, 0 :: v_dual_mov_b32 v4, 0
	v_mov_b32_e32 v5, 0
	s_add_co_i32 s30, s39, 1
	s_mov_b64 s[28:29], 0xffffffffffffffe0
	s_and_b32 s42, s30, 30
	s_add_nc_u64 s[28:29], s[20:21], s[28:29]
	s_mov_b64 s[30:31], s[20:21]
.LBB189_24:                             ; =>This Inner Loop Header: Depth=1
	s_clause 0x1
	s_load_b128 s[52:55], s[30:31], 0x4
	s_load_b64 s[56:57], s[30:31], 0x14
	s_load_b256 s[44:51], s[28:29], 0xe4
	s_add_co_i32 s42, s42, -2
	s_wait_xcnt 0x0
	s_add_nc_u64 s[30:31], s[30:31], 24
	s_cmp_eq_u32 s42, 0
	s_add_nc_u64 s[28:29], s[28:29], 32
	s_wait_kmcnt 0x0
	v_mul_hi_u32 v2, s53, v1
	s_delay_alu instid0(VALU_DEP_1) | instskip(NEXT) | instid1(VALU_DEP_1)
	v_add_nc_u32_e32 v2, v1, v2
	v_lshrrev_b32_e32 v2, s54, v2
	s_delay_alu instid0(VALU_DEP_1) | instskip(SKIP_1) | instid1(VALU_DEP_1)
	v_mul_hi_u32 v3, s56, v2
	v_mul_lo_u32 v8, v2, s52
	v_dual_add_nc_u32 v3, v2, v3 :: v_dual_sub_nc_u32 v8, v1, v8
	s_delay_alu instid0(VALU_DEP_1) | instskip(NEXT) | instid1(VALU_DEP_2)
	v_lshrrev_b32_e32 v1, s57, v3
	v_mad_u32 v5, v8, s45, v5
	v_mad_u32 v4, v8, s44, v4
	;; [unrolled: 1-line block ×4, first 2 shown]
	v_mul_lo_u32 v3, v1, s55
	s_delay_alu instid0(VALU_DEP_1) | instskip(NEXT) | instid1(VALU_DEP_1)
	v_sub_nc_u32_e32 v2, v2, v3
	v_mad_u32 v5, v2, s49, v5
	v_mad_u32 v4, v2, s48, v4
	;; [unrolled: 1-line block ×4, first 2 shown]
	s_cbranch_scc0 .LBB189_24
; %bb.25:
	s_bitcmp1_b32 s39, 0
	s_cselect_b32 s42, -1, 0
	s_delay_alu instid0(SALU_CYCLE_1)
	s_and_b32 vcc_lo, exec_lo, s42
	s_cbranch_vccnz .LBB189_29
; %bb.26:
	s_load_b96 s[48:50], s[30:31], 0x4
	s_load_b128 s[44:47], s[28:29], 0xe4
	s_wait_kmcnt 0x0
	v_mul_hi_u32 v2, s49, v1
	s_delay_alu instid0(VALU_DEP_1) | instskip(NEXT) | instid1(VALU_DEP_1)
	v_add_nc_u32_e32 v2, v1, v2
	v_lshrrev_b32_e32 v2, s50, v2
	s_delay_alu instid0(VALU_DEP_1) | instskip(NEXT) | instid1(VALU_DEP_1)
	v_mul_lo_u32 v2, v2, s48
	v_sub_nc_u32_e32 v1, v1, v2
	s_delay_alu instid0(VALU_DEP_1)
	v_mad_u32 v4, v1, s44, v4
	v_mad_u32 v5, v1, s45, v5
	;; [unrolled: 1-line block ×4, first 2 shown]
	s_branch .LBB189_29
.LBB189_27:
                                        ; implicit-def: $vgpr5
                                        ; implicit-def: $vgpr4
                                        ; implicit-def: $vgpr7
                                        ; implicit-def: $vgpr6
	s_branch .LBB189_30
.LBB189_28:
	v_dual_mov_b32 v5, 0 :: v_dual_mov_b32 v4, 0
	v_dual_mov_b32 v7, 0 :: v_dual_mov_b32 v6, 0
.LBB189_29:
	s_cbranch_execnz .LBB189_32
.LBB189_30:
	v_mov_b32_e32 v1, 0
	s_and_not1_b32 vcc_lo, exec_lo, s38
	s_delay_alu instid0(VALU_DEP_1) | instskip(NEXT) | instid1(VALU_DEP_1)
	v_mul_u64_e32 v[2:3], s[24:25], v[0:1]
	v_add_nc_u32_e32 v2, v0, v3
	s_delay_alu instid0(VALU_DEP_1) | instskip(NEXT) | instid1(VALU_DEP_1)
	v_lshrrev_b32_e32 v2, s18, v2
	v_mul_lo_u32 v3, v2, s16
	s_delay_alu instid0(VALU_DEP_1) | instskip(NEXT) | instid1(VALU_DEP_1)
	v_sub_nc_u32_e32 v3, v0, v3
	v_mul_lo_u32 v5, v3, s9
	v_mul_lo_u32 v4, v3, s8
	v_mul_lo_u32 v7, v3, s11
	v_mul_lo_u32 v6, v3, s10
	s_cbranch_vccnz .LBB189_32
; %bb.31:
	v_mov_b32_e32 v3, v1
	s_delay_alu instid0(VALU_DEP_1) | instskip(NEXT) | instid1(VALU_DEP_1)
	v_mul_u64_e32 v[8:9], s[26:27], v[2:3]
	v_add_nc_u32_e32 v1, v2, v9
	s_delay_alu instid0(VALU_DEP_1) | instskip(NEXT) | instid1(VALU_DEP_1)
	v_lshrrev_b32_e32 v1, s23, v1
	v_mul_lo_u32 v1, v1, s19
	s_delay_alu instid0(VALU_DEP_1) | instskip(NEXT) | instid1(VALU_DEP_1)
	v_sub_nc_u32_e32 v1, v2, v1
	v_mad_u32 v4, v1, s12, v4
	v_mad_u32 v5, v1, s13, v5
	;; [unrolled: 1-line block ×4, first 2 shown]
.LBB189_32:
	global_load_u16 v1, v6, s[4:5]
	global_load_u16 v2, v7, s[6:7]
	;; [unrolled: 1-line block ×3, first 2 shown]
	v_add_nc_u32_e32 v0, 0x80, v0
	s_wait_loadcnt 0x2
	v_mul_f16_e32 v1, s17, v1
	s_wait_loadcnt 0x1
	s_delay_alu instid0(VALU_DEP_1) | instskip(SKIP_1) | instid1(VALU_DEP_1)
	v_mul_f16_e32 v1, v1, v2
	s_wait_loadcnt 0x0
	v_fmac_f16_e32 v1, s37, v3
	global_store_b16 v4, v1, s[0:1]
	s_wait_xcnt 0x0
	s_or_b32 exec_lo, exec_lo, s22
	s_delay_alu instid0(SALU_CYCLE_1)
	s_mov_b32 s22, exec_lo
	v_cmpx_gt_i32_e64 s40, v0
	s_cbranch_execz .LBB189_4
.LBB189_33:
	s_and_not1_b32 vcc_lo, exec_lo, s35
	s_cbranch_vccnz .LBB189_39
; %bb.34:
	s_and_not1_b32 vcc_lo, exec_lo, s41
	s_cbranch_vccnz .LBB189_40
; %bb.35:
	v_dual_mov_b32 v6, 0 :: v_dual_mov_b32 v1, v0
	v_dual_mov_b32 v7, 0 :: v_dual_mov_b32 v4, 0
	v_mov_b32_e32 v5, 0
	s_add_co_i32 s30, s39, 1
	s_mov_b64 s[28:29], 0xffffffffffffffe0
	s_and_b32 s42, s30, 30
	s_add_nc_u64 s[28:29], s[20:21], s[28:29]
	s_mov_b64 s[30:31], s[20:21]
.LBB189_36:                             ; =>This Inner Loop Header: Depth=1
	s_clause 0x1
	s_load_b128 s[52:55], s[30:31], 0x4
	s_load_b64 s[56:57], s[30:31], 0x14
	s_load_b256 s[44:51], s[28:29], 0xe4
	s_add_co_i32 s42, s42, -2
	s_wait_xcnt 0x0
	s_add_nc_u64 s[30:31], s[30:31], 24
	s_cmp_eq_u32 s42, 0
	s_add_nc_u64 s[28:29], s[28:29], 32
	s_wait_kmcnt 0x0
	v_mul_hi_u32 v2, s53, v1
	s_delay_alu instid0(VALU_DEP_1) | instskip(NEXT) | instid1(VALU_DEP_1)
	v_add_nc_u32_e32 v2, v1, v2
	v_lshrrev_b32_e32 v2, s54, v2
	s_delay_alu instid0(VALU_DEP_1) | instskip(SKIP_1) | instid1(VALU_DEP_1)
	v_mul_hi_u32 v3, s56, v2
	v_mul_lo_u32 v8, v2, s52
	v_dual_add_nc_u32 v3, v2, v3 :: v_dual_sub_nc_u32 v8, v1, v8
	s_delay_alu instid0(VALU_DEP_1) | instskip(NEXT) | instid1(VALU_DEP_2)
	v_lshrrev_b32_e32 v1, s57, v3
	v_mad_u32 v5, v8, s45, v5
	v_mad_u32 v4, v8, s44, v4
	;; [unrolled: 1-line block ×4, first 2 shown]
	v_mul_lo_u32 v3, v1, s55
	s_delay_alu instid0(VALU_DEP_1) | instskip(NEXT) | instid1(VALU_DEP_1)
	v_sub_nc_u32_e32 v2, v2, v3
	v_mad_u32 v5, v2, s49, v5
	v_mad_u32 v4, v2, s48, v4
	;; [unrolled: 1-line block ×4, first 2 shown]
	s_cbranch_scc0 .LBB189_36
; %bb.37:
	s_bitcmp1_b32 s39, 0
	s_cselect_b32 s42, -1, 0
	s_delay_alu instid0(SALU_CYCLE_1)
	s_and_b32 vcc_lo, exec_lo, s42
	s_cbranch_vccnz .LBB189_41
; %bb.38:
	s_load_b96 s[48:50], s[30:31], 0x4
	s_load_b128 s[44:47], s[28:29], 0xe4
	s_wait_kmcnt 0x0
	v_mul_hi_u32 v2, s49, v1
	s_delay_alu instid0(VALU_DEP_1) | instskip(NEXT) | instid1(VALU_DEP_1)
	v_add_nc_u32_e32 v2, v1, v2
	v_lshrrev_b32_e32 v2, s50, v2
	s_delay_alu instid0(VALU_DEP_1) | instskip(NEXT) | instid1(VALU_DEP_1)
	v_mul_lo_u32 v2, v2, s48
	v_sub_nc_u32_e32 v1, v1, v2
	s_delay_alu instid0(VALU_DEP_1)
	v_mad_u32 v4, v1, s44, v4
	v_mad_u32 v5, v1, s45, v5
	v_mad_u32 v6, v1, s46, v6
	v_mad_u32 v7, v1, s47, v7
	s_branch .LBB189_41
.LBB189_39:
                                        ; implicit-def: $vgpr5
                                        ; implicit-def: $vgpr4
                                        ; implicit-def: $vgpr7
                                        ; implicit-def: $vgpr6
	s_branch .LBB189_42
.LBB189_40:
	v_dual_mov_b32 v5, 0 :: v_dual_mov_b32 v4, 0
	v_dual_mov_b32 v7, 0 :: v_dual_mov_b32 v6, 0
.LBB189_41:
	s_cbranch_execnz .LBB189_44
.LBB189_42:
	v_mov_b32_e32 v1, 0
	s_and_not1_b32 vcc_lo, exec_lo, s38
	s_delay_alu instid0(VALU_DEP_1) | instskip(NEXT) | instid1(VALU_DEP_1)
	v_mul_u64_e32 v[2:3], s[24:25], v[0:1]
	v_add_nc_u32_e32 v2, v0, v3
	s_delay_alu instid0(VALU_DEP_1) | instskip(NEXT) | instid1(VALU_DEP_1)
	v_lshrrev_b32_e32 v2, s18, v2
	v_mul_lo_u32 v3, v2, s16
	s_delay_alu instid0(VALU_DEP_1) | instskip(NEXT) | instid1(VALU_DEP_1)
	v_sub_nc_u32_e32 v3, v0, v3
	v_mul_lo_u32 v5, v3, s9
	v_mul_lo_u32 v4, v3, s8
	;; [unrolled: 1-line block ×4, first 2 shown]
	s_cbranch_vccnz .LBB189_44
; %bb.43:
	v_mov_b32_e32 v3, v1
	s_delay_alu instid0(VALU_DEP_1) | instskip(NEXT) | instid1(VALU_DEP_1)
	v_mul_u64_e32 v[8:9], s[26:27], v[2:3]
	v_add_nc_u32_e32 v1, v2, v9
	s_delay_alu instid0(VALU_DEP_1) | instskip(NEXT) | instid1(VALU_DEP_1)
	v_lshrrev_b32_e32 v1, s23, v1
	v_mul_lo_u32 v1, v1, s19
	s_delay_alu instid0(VALU_DEP_1) | instskip(NEXT) | instid1(VALU_DEP_1)
	v_sub_nc_u32_e32 v1, v2, v1
	v_mad_u32 v4, v1, s12, v4
	v_mad_u32 v5, v1, s13, v5
	;; [unrolled: 1-line block ×4, first 2 shown]
.LBB189_44:
	global_load_u16 v1, v6, s[4:5]
	global_load_u16 v2, v7, s[6:7]
	;; [unrolled: 1-line block ×3, first 2 shown]
	v_add_nc_u32_e32 v0, 0x80, v0
	s_wait_loadcnt 0x2
	v_mul_f16_e32 v1, s17, v1
	s_wait_loadcnt 0x1
	s_delay_alu instid0(VALU_DEP_1) | instskip(SKIP_1) | instid1(VALU_DEP_1)
	v_mul_f16_e32 v1, v1, v2
	s_wait_loadcnt 0x0
	v_fmac_f16_e32 v1, s37, v3
	global_store_b16 v4, v1, s[0:1]
	s_wait_xcnt 0x0
	s_or_b32 exec_lo, exec_lo, s22
	s_delay_alu instid0(SALU_CYCLE_1)
	s_mov_b32 s22, exec_lo
	v_cmpx_gt_i32_e64 s40, v0
	s_cbranch_execz .LBB189_5
.LBB189_45:
	s_and_not1_b32 vcc_lo, exec_lo, s35
	s_cbranch_vccnz .LBB189_51
; %bb.46:
	s_and_not1_b32 vcc_lo, exec_lo, s41
	s_cbranch_vccnz .LBB189_52
; %bb.47:
	v_dual_mov_b32 v5, 0 :: v_dual_mov_b32 v1, v0
	v_dual_mov_b32 v7, 0 :: v_dual_mov_b32 v4, 0
	v_mov_b32_e32 v6, 0
	s_add_co_i32 s30, s39, 1
	s_mov_b64 s[28:29], 0xffffffffffffffe0
	s_and_b32 s42, s30, 30
	s_add_nc_u64 s[28:29], s[20:21], s[28:29]
	s_mov_b64 s[30:31], s[20:21]
.LBB189_48:                             ; =>This Inner Loop Header: Depth=1
	s_clause 0x1
	s_load_b128 s[52:55], s[30:31], 0x4
	s_load_b64 s[56:57], s[30:31], 0x14
	s_load_b256 s[44:51], s[28:29], 0xe4
	s_add_co_i32 s42, s42, -2
	s_wait_xcnt 0x0
	s_add_nc_u64 s[30:31], s[30:31], 24
	s_cmp_eq_u32 s42, 0
	s_add_nc_u64 s[28:29], s[28:29], 32
	s_wait_kmcnt 0x0
	v_mul_hi_u32 v2, s53, v1
	s_delay_alu instid0(VALU_DEP_1) | instskip(NEXT) | instid1(VALU_DEP_1)
	v_add_nc_u32_e32 v2, v1, v2
	v_lshrrev_b32_e32 v2, s54, v2
	s_delay_alu instid0(VALU_DEP_1) | instskip(SKIP_1) | instid1(VALU_DEP_1)
	v_mul_hi_u32 v3, s56, v2
	v_mul_lo_u32 v8, v2, s52
	v_dual_add_nc_u32 v3, v2, v3 :: v_dual_sub_nc_u32 v8, v1, v8
	s_delay_alu instid0(VALU_DEP_1) | instskip(NEXT) | instid1(VALU_DEP_2)
	v_lshrrev_b32_e32 v1, s57, v3
	v_mad_u32 v6, v8, s45, v6
	v_mad_u32 v4, v8, s44, v4
	;; [unrolled: 1-line block ×4, first 2 shown]
	v_mul_lo_u32 v3, v1, s55
	s_delay_alu instid0(VALU_DEP_1) | instskip(NEXT) | instid1(VALU_DEP_1)
	v_sub_nc_u32_e32 v2, v2, v3
	v_mad_u32 v6, v2, s49, v6
	v_mad_u32 v4, v2, s48, v4
	;; [unrolled: 1-line block ×4, first 2 shown]
	s_cbranch_scc0 .LBB189_48
; %bb.49:
	s_bitcmp1_b32 s39, 0
	s_cselect_b32 s42, -1, 0
	s_delay_alu instid0(SALU_CYCLE_1)
	s_and_b32 vcc_lo, exec_lo, s42
	s_cbranch_vccnz .LBB189_53
; %bb.50:
	s_load_b96 s[48:50], s[30:31], 0x4
	s_load_b128 s[44:47], s[28:29], 0xe4
	s_wait_kmcnt 0x0
	v_mul_hi_u32 v2, s49, v1
	s_delay_alu instid0(VALU_DEP_1) | instskip(NEXT) | instid1(VALU_DEP_1)
	v_add_nc_u32_e32 v2, v1, v2
	v_lshrrev_b32_e32 v2, s50, v2
	s_delay_alu instid0(VALU_DEP_1) | instskip(NEXT) | instid1(VALU_DEP_1)
	v_mul_lo_u32 v2, v2, s48
	v_sub_nc_u32_e32 v1, v1, v2
	s_delay_alu instid0(VALU_DEP_1)
	v_mad_u32 v4, v1, s44, v4
	v_mad_u32 v6, v1, s45, v6
	v_mad_u32 v5, v1, s46, v5
	v_mad_u32 v7, v1, s47, v7
	s_branch .LBB189_53
.LBB189_51:
                                        ; implicit-def: $vgpr6
                                        ; implicit-def: $vgpr4
                                        ; implicit-def: $vgpr7
                                        ; implicit-def: $vgpr5
	s_branch .LBB189_54
.LBB189_52:
	v_dual_mov_b32 v6, 0 :: v_dual_mov_b32 v4, 0
	v_dual_mov_b32 v7, 0 :: v_dual_mov_b32 v5, 0
.LBB189_53:
	s_cbranch_execnz .LBB189_56
.LBB189_54:
	v_mov_b32_e32 v1, 0
	s_and_not1_b32 vcc_lo, exec_lo, s38
	s_delay_alu instid0(VALU_DEP_1) | instskip(NEXT) | instid1(VALU_DEP_1)
	v_mul_u64_e32 v[2:3], s[24:25], v[0:1]
	v_add_nc_u32_e32 v2, v0, v3
	s_delay_alu instid0(VALU_DEP_1) | instskip(NEXT) | instid1(VALU_DEP_1)
	v_lshrrev_b32_e32 v2, s18, v2
	v_mul_lo_u32 v3, v2, s16
	s_delay_alu instid0(VALU_DEP_1) | instskip(NEXT) | instid1(VALU_DEP_1)
	v_sub_nc_u32_e32 v3, v0, v3
	v_mul_lo_u32 v6, v3, s9
	v_mul_lo_u32 v4, v3, s8
	;; [unrolled: 1-line block ×4, first 2 shown]
	s_cbranch_vccnz .LBB189_56
; %bb.55:
	v_mov_b32_e32 v3, v1
	s_delay_alu instid0(VALU_DEP_1) | instskip(NEXT) | instid1(VALU_DEP_1)
	v_mul_u64_e32 v[8:9], s[26:27], v[2:3]
	v_add_nc_u32_e32 v1, v2, v9
	s_delay_alu instid0(VALU_DEP_1) | instskip(NEXT) | instid1(VALU_DEP_1)
	v_lshrrev_b32_e32 v1, s23, v1
	v_mul_lo_u32 v1, v1, s19
	s_delay_alu instid0(VALU_DEP_1) | instskip(NEXT) | instid1(VALU_DEP_1)
	v_sub_nc_u32_e32 v1, v2, v1
	v_mad_u32 v4, v1, s12, v4
	v_mad_u32 v6, v1, s13, v6
	;; [unrolled: 1-line block ×4, first 2 shown]
.LBB189_56:
	global_load_u16 v1, v5, s[4:5]
	global_load_u16 v2, v7, s[6:7]
	;; [unrolled: 1-line block ×3, first 2 shown]
	v_add_nc_u32_e32 v0, 0x80, v0
	s_wait_loadcnt 0x2
	v_mul_f16_e32 v1, s17, v1
	s_wait_loadcnt 0x1
	s_delay_alu instid0(VALU_DEP_1) | instskip(SKIP_1) | instid1(VALU_DEP_1)
	v_mul_f16_e32 v1, v1, v2
	s_wait_loadcnt 0x0
	v_fmac_f16_e32 v1, s37, v3
	global_store_b16 v4, v1, s[0:1]
	s_wait_xcnt 0x0
	s_or_b32 exec_lo, exec_lo, s22
	s_delay_alu instid0(SALU_CYCLE_1)
	s_mov_b32 s22, exec_lo
	v_cmpx_gt_i32_e64 s40, v0
	s_cbranch_execz .LBB189_6
.LBB189_57:
	s_and_not1_b32 vcc_lo, exec_lo, s35
	s_cbranch_vccnz .LBB189_63
; %bb.58:
	s_and_not1_b32 vcc_lo, exec_lo, s41
	s_cbranch_vccnz .LBB189_64
; %bb.59:
	v_dual_mov_b32 v6, 0 :: v_dual_mov_b32 v1, v0
	v_dual_mov_b32 v7, 0 :: v_dual_mov_b32 v4, 0
	v_mov_b32_e32 v5, 0
	s_add_co_i32 s30, s39, 1
	s_mov_b64 s[28:29], 0xffffffffffffffe0
	s_and_b32 s42, s30, 30
	s_add_nc_u64 s[28:29], s[20:21], s[28:29]
	s_mov_b64 s[30:31], s[20:21]
.LBB189_60:                             ; =>This Inner Loop Header: Depth=1
	s_clause 0x1
	s_load_b128 s[52:55], s[30:31], 0x4
	s_load_b64 s[56:57], s[30:31], 0x14
	s_load_b256 s[44:51], s[28:29], 0xe4
	s_add_co_i32 s42, s42, -2
	s_wait_xcnt 0x0
	s_add_nc_u64 s[30:31], s[30:31], 24
	s_cmp_eq_u32 s42, 0
	s_add_nc_u64 s[28:29], s[28:29], 32
	s_wait_kmcnt 0x0
	v_mul_hi_u32 v2, s53, v1
	s_delay_alu instid0(VALU_DEP_1) | instskip(NEXT) | instid1(VALU_DEP_1)
	v_add_nc_u32_e32 v2, v1, v2
	v_lshrrev_b32_e32 v2, s54, v2
	s_delay_alu instid0(VALU_DEP_1) | instskip(SKIP_1) | instid1(VALU_DEP_1)
	v_mul_hi_u32 v3, s56, v2
	v_mul_lo_u32 v8, v2, s52
	v_dual_add_nc_u32 v3, v2, v3 :: v_dual_sub_nc_u32 v8, v1, v8
	s_delay_alu instid0(VALU_DEP_1) | instskip(NEXT) | instid1(VALU_DEP_2)
	v_lshrrev_b32_e32 v1, s57, v3
	v_mad_u32 v5, v8, s45, v5
	v_mad_u32 v4, v8, s44, v4
	;; [unrolled: 1-line block ×4, first 2 shown]
	v_mul_lo_u32 v3, v1, s55
	s_delay_alu instid0(VALU_DEP_1) | instskip(NEXT) | instid1(VALU_DEP_1)
	v_sub_nc_u32_e32 v2, v2, v3
	v_mad_u32 v5, v2, s49, v5
	v_mad_u32 v4, v2, s48, v4
	v_mad_u32 v7, v2, s51, v7
	v_mad_u32 v6, v2, s50, v6
	s_cbranch_scc0 .LBB189_60
; %bb.61:
	s_bitcmp1_b32 s39, 0
	s_cselect_b32 s42, -1, 0
	s_delay_alu instid0(SALU_CYCLE_1)
	s_and_b32 vcc_lo, exec_lo, s42
	s_cbranch_vccnz .LBB189_65
; %bb.62:
	s_load_b96 s[48:50], s[30:31], 0x4
	s_load_b128 s[44:47], s[28:29], 0xe4
	s_wait_kmcnt 0x0
	v_mul_hi_u32 v2, s49, v1
	s_delay_alu instid0(VALU_DEP_1) | instskip(NEXT) | instid1(VALU_DEP_1)
	v_add_nc_u32_e32 v2, v1, v2
	v_lshrrev_b32_e32 v2, s50, v2
	s_delay_alu instid0(VALU_DEP_1) | instskip(NEXT) | instid1(VALU_DEP_1)
	v_mul_lo_u32 v2, v2, s48
	v_sub_nc_u32_e32 v1, v1, v2
	s_delay_alu instid0(VALU_DEP_1)
	v_mad_u32 v4, v1, s44, v4
	v_mad_u32 v5, v1, s45, v5
	v_mad_u32 v6, v1, s46, v6
	v_mad_u32 v7, v1, s47, v7
	s_branch .LBB189_65
.LBB189_63:
                                        ; implicit-def: $vgpr5
                                        ; implicit-def: $vgpr4
                                        ; implicit-def: $vgpr7
                                        ; implicit-def: $vgpr6
	s_branch .LBB189_66
.LBB189_64:
	v_dual_mov_b32 v5, 0 :: v_dual_mov_b32 v4, 0
	v_dual_mov_b32 v7, 0 :: v_dual_mov_b32 v6, 0
.LBB189_65:
	s_cbranch_execnz .LBB189_68
.LBB189_66:
	v_mov_b32_e32 v1, 0
	s_and_not1_b32 vcc_lo, exec_lo, s38
	s_delay_alu instid0(VALU_DEP_1) | instskip(NEXT) | instid1(VALU_DEP_1)
	v_mul_u64_e32 v[2:3], s[24:25], v[0:1]
	v_add_nc_u32_e32 v2, v0, v3
	s_delay_alu instid0(VALU_DEP_1) | instskip(NEXT) | instid1(VALU_DEP_1)
	v_lshrrev_b32_e32 v2, s18, v2
	v_mul_lo_u32 v3, v2, s16
	s_delay_alu instid0(VALU_DEP_1) | instskip(NEXT) | instid1(VALU_DEP_1)
	v_sub_nc_u32_e32 v3, v0, v3
	v_mul_lo_u32 v5, v3, s9
	v_mul_lo_u32 v4, v3, s8
	;; [unrolled: 1-line block ×4, first 2 shown]
	s_cbranch_vccnz .LBB189_68
; %bb.67:
	v_mov_b32_e32 v3, v1
	s_delay_alu instid0(VALU_DEP_1) | instskip(NEXT) | instid1(VALU_DEP_1)
	v_mul_u64_e32 v[8:9], s[26:27], v[2:3]
	v_add_nc_u32_e32 v1, v2, v9
	s_delay_alu instid0(VALU_DEP_1) | instskip(NEXT) | instid1(VALU_DEP_1)
	v_lshrrev_b32_e32 v1, s23, v1
	v_mul_lo_u32 v1, v1, s19
	s_delay_alu instid0(VALU_DEP_1) | instskip(NEXT) | instid1(VALU_DEP_1)
	v_sub_nc_u32_e32 v1, v2, v1
	v_mad_u32 v4, v1, s12, v4
	v_mad_u32 v5, v1, s13, v5
	;; [unrolled: 1-line block ×4, first 2 shown]
.LBB189_68:
	global_load_u16 v1, v6, s[4:5]
	global_load_u16 v2, v7, s[6:7]
	;; [unrolled: 1-line block ×3, first 2 shown]
	v_add_nc_u32_e32 v0, 0x80, v0
	s_wait_loadcnt 0x2
	v_mul_f16_e32 v1, s17, v1
	s_wait_loadcnt 0x1
	s_delay_alu instid0(VALU_DEP_1) | instskip(SKIP_1) | instid1(VALU_DEP_1)
	v_mul_f16_e32 v1, v1, v2
	s_wait_loadcnt 0x0
	v_fmac_f16_e32 v1, s37, v3
	global_store_b16 v4, v1, s[0:1]
	s_wait_xcnt 0x0
	s_or_b32 exec_lo, exec_lo, s22
	s_delay_alu instid0(SALU_CYCLE_1)
	s_mov_b32 s22, exec_lo
	v_cmpx_gt_i32_e64 s40, v0
	s_cbranch_execz .LBB189_7
.LBB189_69:
	s_and_not1_b32 vcc_lo, exec_lo, s35
	s_cbranch_vccnz .LBB189_75
; %bb.70:
	s_and_not1_b32 vcc_lo, exec_lo, s41
	s_cbranch_vccnz .LBB189_76
; %bb.71:
	v_dual_mov_b32 v6, 0 :: v_dual_mov_b32 v1, v0
	v_dual_mov_b32 v7, 0 :: v_dual_mov_b32 v4, 0
	v_mov_b32_e32 v5, 0
	s_add_co_i32 s30, s39, 1
	s_mov_b64 s[28:29], 0xffffffffffffffe0
	s_and_b32 s42, s30, 30
	s_add_nc_u64 s[28:29], s[20:21], s[28:29]
	s_mov_b64 s[30:31], s[20:21]
.LBB189_72:                             ; =>This Inner Loop Header: Depth=1
	s_clause 0x1
	s_load_b128 s[52:55], s[30:31], 0x4
	s_load_b64 s[56:57], s[30:31], 0x14
	s_load_b256 s[44:51], s[28:29], 0xe4
	s_add_co_i32 s42, s42, -2
	s_wait_xcnt 0x0
	s_add_nc_u64 s[30:31], s[30:31], 24
	s_cmp_eq_u32 s42, 0
	s_add_nc_u64 s[28:29], s[28:29], 32
	s_wait_kmcnt 0x0
	v_mul_hi_u32 v2, s53, v1
	s_delay_alu instid0(VALU_DEP_1) | instskip(NEXT) | instid1(VALU_DEP_1)
	v_add_nc_u32_e32 v2, v1, v2
	v_lshrrev_b32_e32 v2, s54, v2
	s_delay_alu instid0(VALU_DEP_1) | instskip(SKIP_1) | instid1(VALU_DEP_1)
	v_mul_hi_u32 v3, s56, v2
	v_mul_lo_u32 v8, v2, s52
	v_dual_add_nc_u32 v3, v2, v3 :: v_dual_sub_nc_u32 v8, v1, v8
	s_delay_alu instid0(VALU_DEP_1) | instskip(NEXT) | instid1(VALU_DEP_2)
	v_lshrrev_b32_e32 v1, s57, v3
	v_mad_u32 v5, v8, s45, v5
	v_mad_u32 v4, v8, s44, v4
	;; [unrolled: 1-line block ×4, first 2 shown]
	v_mul_lo_u32 v3, v1, s55
	s_delay_alu instid0(VALU_DEP_1) | instskip(NEXT) | instid1(VALU_DEP_1)
	v_sub_nc_u32_e32 v2, v2, v3
	v_mad_u32 v5, v2, s49, v5
	v_mad_u32 v4, v2, s48, v4
	;; [unrolled: 1-line block ×4, first 2 shown]
	s_cbranch_scc0 .LBB189_72
; %bb.73:
	s_bitcmp1_b32 s39, 0
	s_cselect_b32 s42, -1, 0
	s_delay_alu instid0(SALU_CYCLE_1)
	s_and_b32 vcc_lo, exec_lo, s42
	s_cbranch_vccnz .LBB189_77
; %bb.74:
	s_load_b96 s[48:50], s[30:31], 0x4
	s_load_b128 s[44:47], s[28:29], 0xe4
	s_wait_kmcnt 0x0
	v_mul_hi_u32 v2, s49, v1
	s_delay_alu instid0(VALU_DEP_1) | instskip(NEXT) | instid1(VALU_DEP_1)
	v_add_nc_u32_e32 v2, v1, v2
	v_lshrrev_b32_e32 v2, s50, v2
	s_delay_alu instid0(VALU_DEP_1) | instskip(NEXT) | instid1(VALU_DEP_1)
	v_mul_lo_u32 v2, v2, s48
	v_sub_nc_u32_e32 v1, v1, v2
	s_delay_alu instid0(VALU_DEP_1)
	v_mad_u32 v4, v1, s44, v4
	v_mad_u32 v5, v1, s45, v5
	;; [unrolled: 1-line block ×4, first 2 shown]
	s_branch .LBB189_77
.LBB189_75:
                                        ; implicit-def: $vgpr5
                                        ; implicit-def: $vgpr4
                                        ; implicit-def: $vgpr7
                                        ; implicit-def: $vgpr6
	s_branch .LBB189_78
.LBB189_76:
	v_dual_mov_b32 v5, 0 :: v_dual_mov_b32 v4, 0
	v_dual_mov_b32 v7, 0 :: v_dual_mov_b32 v6, 0
.LBB189_77:
	s_cbranch_execnz .LBB189_80
.LBB189_78:
	v_mov_b32_e32 v1, 0
	s_and_not1_b32 vcc_lo, exec_lo, s38
	s_delay_alu instid0(VALU_DEP_1) | instskip(NEXT) | instid1(VALU_DEP_1)
	v_mul_u64_e32 v[2:3], s[24:25], v[0:1]
	v_add_nc_u32_e32 v2, v0, v3
	s_delay_alu instid0(VALU_DEP_1) | instskip(NEXT) | instid1(VALU_DEP_1)
	v_lshrrev_b32_e32 v2, s18, v2
	v_mul_lo_u32 v3, v2, s16
	s_delay_alu instid0(VALU_DEP_1) | instskip(NEXT) | instid1(VALU_DEP_1)
	v_sub_nc_u32_e32 v3, v0, v3
	v_mul_lo_u32 v5, v3, s9
	v_mul_lo_u32 v4, v3, s8
	v_mul_lo_u32 v7, v3, s11
	v_mul_lo_u32 v6, v3, s10
	s_cbranch_vccnz .LBB189_80
; %bb.79:
	v_mov_b32_e32 v3, v1
	s_delay_alu instid0(VALU_DEP_1) | instskip(NEXT) | instid1(VALU_DEP_1)
	v_mul_u64_e32 v[8:9], s[26:27], v[2:3]
	v_add_nc_u32_e32 v1, v2, v9
	s_delay_alu instid0(VALU_DEP_1) | instskip(NEXT) | instid1(VALU_DEP_1)
	v_lshrrev_b32_e32 v1, s23, v1
	v_mul_lo_u32 v1, v1, s19
	s_delay_alu instid0(VALU_DEP_1) | instskip(NEXT) | instid1(VALU_DEP_1)
	v_sub_nc_u32_e32 v1, v2, v1
	v_mad_u32 v4, v1, s12, v4
	v_mad_u32 v5, v1, s13, v5
	;; [unrolled: 1-line block ×4, first 2 shown]
.LBB189_80:
	global_load_u16 v1, v6, s[4:5]
	global_load_u16 v2, v7, s[6:7]
	;; [unrolled: 1-line block ×3, first 2 shown]
	v_add_nc_u32_e32 v0, 0x80, v0
	s_wait_loadcnt 0x2
	v_mul_f16_e32 v1, s17, v1
	s_wait_loadcnt 0x1
	s_delay_alu instid0(VALU_DEP_1) | instskip(SKIP_1) | instid1(VALU_DEP_1)
	v_mul_f16_e32 v1, v1, v2
	s_wait_loadcnt 0x0
	v_fmac_f16_e32 v1, s37, v3
	global_store_b16 v4, v1, s[0:1]
	s_wait_xcnt 0x0
	s_or_b32 exec_lo, exec_lo, s22
	s_delay_alu instid0(SALU_CYCLE_1)
	s_mov_b32 s22, exec_lo
	v_cmpx_gt_i32_e64 s40, v0
	s_cbranch_execz .LBB189_8
.LBB189_81:
	s_and_not1_b32 vcc_lo, exec_lo, s35
	s_cbranch_vccnz .LBB189_87
; %bb.82:
	s_and_not1_b32 vcc_lo, exec_lo, s41
	s_cbranch_vccnz .LBB189_88
; %bb.83:
	v_dual_mov_b32 v6, 0 :: v_dual_mov_b32 v1, v0
	v_dual_mov_b32 v7, 0 :: v_dual_mov_b32 v4, 0
	v_mov_b32_e32 v5, 0
	s_add_co_i32 s30, s39, 1
	s_mov_b64 s[28:29], 0xffffffffffffffe0
	s_and_b32 s42, s30, 30
	s_add_nc_u64 s[28:29], s[20:21], s[28:29]
	s_mov_b64 s[30:31], s[20:21]
.LBB189_84:                             ; =>This Inner Loop Header: Depth=1
	s_clause 0x1
	s_load_b128 s[52:55], s[30:31], 0x4
	s_load_b64 s[56:57], s[30:31], 0x14
	s_load_b256 s[44:51], s[28:29], 0xe4
	s_add_co_i32 s42, s42, -2
	s_wait_xcnt 0x0
	s_add_nc_u64 s[30:31], s[30:31], 24
	s_cmp_eq_u32 s42, 0
	s_add_nc_u64 s[28:29], s[28:29], 32
	s_wait_kmcnt 0x0
	v_mul_hi_u32 v2, s53, v1
	s_delay_alu instid0(VALU_DEP_1) | instskip(NEXT) | instid1(VALU_DEP_1)
	v_add_nc_u32_e32 v2, v1, v2
	v_lshrrev_b32_e32 v2, s54, v2
	s_delay_alu instid0(VALU_DEP_1) | instskip(SKIP_1) | instid1(VALU_DEP_1)
	v_mul_hi_u32 v3, s56, v2
	v_mul_lo_u32 v8, v2, s52
	v_dual_add_nc_u32 v3, v2, v3 :: v_dual_sub_nc_u32 v8, v1, v8
	s_delay_alu instid0(VALU_DEP_1) | instskip(NEXT) | instid1(VALU_DEP_2)
	v_lshrrev_b32_e32 v1, s57, v3
	v_mad_u32 v5, v8, s45, v5
	v_mad_u32 v4, v8, s44, v4
	;; [unrolled: 1-line block ×4, first 2 shown]
	v_mul_lo_u32 v3, v1, s55
	s_delay_alu instid0(VALU_DEP_1) | instskip(NEXT) | instid1(VALU_DEP_1)
	v_sub_nc_u32_e32 v2, v2, v3
	v_mad_u32 v5, v2, s49, v5
	v_mad_u32 v4, v2, s48, v4
	v_mad_u32 v7, v2, s51, v7
	v_mad_u32 v6, v2, s50, v6
	s_cbranch_scc0 .LBB189_84
; %bb.85:
	s_bitcmp1_b32 s39, 0
	s_cselect_b32 s42, -1, 0
	s_delay_alu instid0(SALU_CYCLE_1)
	s_and_b32 vcc_lo, exec_lo, s42
	s_cbranch_vccnz .LBB189_89
; %bb.86:
	s_load_b96 s[48:50], s[30:31], 0x4
	s_load_b128 s[44:47], s[28:29], 0xe4
	s_wait_kmcnt 0x0
	v_mul_hi_u32 v2, s49, v1
	s_delay_alu instid0(VALU_DEP_1) | instskip(NEXT) | instid1(VALU_DEP_1)
	v_add_nc_u32_e32 v2, v1, v2
	v_lshrrev_b32_e32 v2, s50, v2
	s_delay_alu instid0(VALU_DEP_1) | instskip(NEXT) | instid1(VALU_DEP_1)
	v_mul_lo_u32 v2, v2, s48
	v_sub_nc_u32_e32 v1, v1, v2
	s_delay_alu instid0(VALU_DEP_1)
	v_mad_u32 v4, v1, s44, v4
	v_mad_u32 v5, v1, s45, v5
	;; [unrolled: 1-line block ×4, first 2 shown]
	s_branch .LBB189_89
.LBB189_87:
                                        ; implicit-def: $vgpr5
                                        ; implicit-def: $vgpr4
                                        ; implicit-def: $vgpr7
                                        ; implicit-def: $vgpr6
	s_branch .LBB189_90
.LBB189_88:
	v_dual_mov_b32 v5, 0 :: v_dual_mov_b32 v4, 0
	v_dual_mov_b32 v7, 0 :: v_dual_mov_b32 v6, 0
.LBB189_89:
	s_cbranch_execnz .LBB189_92
.LBB189_90:
	v_mov_b32_e32 v1, 0
	s_and_not1_b32 vcc_lo, exec_lo, s38
	s_delay_alu instid0(VALU_DEP_1) | instskip(NEXT) | instid1(VALU_DEP_1)
	v_mul_u64_e32 v[2:3], s[24:25], v[0:1]
	v_add_nc_u32_e32 v2, v0, v3
	s_delay_alu instid0(VALU_DEP_1) | instskip(NEXT) | instid1(VALU_DEP_1)
	v_lshrrev_b32_e32 v2, s18, v2
	v_mul_lo_u32 v3, v2, s16
	s_delay_alu instid0(VALU_DEP_1) | instskip(NEXT) | instid1(VALU_DEP_1)
	v_sub_nc_u32_e32 v3, v0, v3
	v_mul_lo_u32 v5, v3, s9
	v_mul_lo_u32 v4, v3, s8
	;; [unrolled: 1-line block ×4, first 2 shown]
	s_cbranch_vccnz .LBB189_92
; %bb.91:
	v_mov_b32_e32 v3, v1
	s_delay_alu instid0(VALU_DEP_1) | instskip(NEXT) | instid1(VALU_DEP_1)
	v_mul_u64_e32 v[8:9], s[26:27], v[2:3]
	v_add_nc_u32_e32 v1, v2, v9
	s_delay_alu instid0(VALU_DEP_1) | instskip(NEXT) | instid1(VALU_DEP_1)
	v_lshrrev_b32_e32 v1, s23, v1
	v_mul_lo_u32 v1, v1, s19
	s_delay_alu instid0(VALU_DEP_1) | instskip(NEXT) | instid1(VALU_DEP_1)
	v_sub_nc_u32_e32 v1, v2, v1
	v_mad_u32 v4, v1, s12, v4
	v_mad_u32 v5, v1, s13, v5
	;; [unrolled: 1-line block ×4, first 2 shown]
.LBB189_92:
	global_load_u16 v1, v6, s[4:5]
	global_load_u16 v2, v7, s[6:7]
	;; [unrolled: 1-line block ×3, first 2 shown]
	v_add_nc_u32_e32 v0, 0x80, v0
	s_wait_loadcnt 0x2
	v_mul_f16_e32 v1, s17, v1
	s_wait_loadcnt 0x1
	s_delay_alu instid0(VALU_DEP_1) | instskip(SKIP_1) | instid1(VALU_DEP_1)
	v_mul_f16_e32 v1, v1, v2
	s_wait_loadcnt 0x0
	v_fmac_f16_e32 v1, s37, v3
	global_store_b16 v4, v1, s[0:1]
	s_wait_xcnt 0x0
	s_or_b32 exec_lo, exec_lo, s22
	s_delay_alu instid0(SALU_CYCLE_1)
	s_mov_b32 s22, exec_lo
	v_cmpx_gt_i32_e64 s40, v0
	s_cbranch_execz .LBB189_105
.LBB189_93:
	s_and_not1_b32 vcc_lo, exec_lo, s35
	s_cbranch_vccnz .LBB189_99
; %bb.94:
	s_and_not1_b32 vcc_lo, exec_lo, s41
	s_cbranch_vccnz .LBB189_100
; %bb.95:
	v_dual_mov_b32 v5, 0 :: v_dual_mov_b32 v1, v0
	v_dual_mov_b32 v7, 0 :: v_dual_mov_b32 v4, 0
	v_mov_b32_e32 v6, 0
	s_add_co_i32 s30, s39, 1
	s_mov_b64 s[28:29], 0xffffffffffffffe0
	s_and_b32 s40, s30, 30
	s_add_nc_u64 s[28:29], s[20:21], s[28:29]
	s_mov_b64 s[30:31], s[20:21]
.LBB189_96:                             ; =>This Inner Loop Header: Depth=1
	s_clause 0x1
	s_load_b128 s[52:55], s[30:31], 0x4
	s_load_b64 s[42:43], s[30:31], 0x14
	s_load_b256 s[44:51], s[28:29], 0xe4
	s_add_co_i32 s40, s40, -2
	s_wait_xcnt 0x0
	s_add_nc_u64 s[30:31], s[30:31], 24
	s_cmp_eq_u32 s40, 0
	s_add_nc_u64 s[28:29], s[28:29], 32
	s_wait_kmcnt 0x0
	v_mul_hi_u32 v2, s53, v1
	s_delay_alu instid0(VALU_DEP_1) | instskip(NEXT) | instid1(VALU_DEP_1)
	v_add_nc_u32_e32 v2, v1, v2
	v_lshrrev_b32_e32 v2, s54, v2
	s_delay_alu instid0(VALU_DEP_1) | instskip(SKIP_1) | instid1(VALU_DEP_1)
	v_mul_hi_u32 v3, s42, v2
	v_mul_lo_u32 v8, v2, s52
	v_dual_add_nc_u32 v3, v2, v3 :: v_dual_sub_nc_u32 v8, v1, v8
	s_delay_alu instid0(VALU_DEP_1) | instskip(NEXT) | instid1(VALU_DEP_2)
	v_lshrrev_b32_e32 v1, s43, v3
	v_mad_u32 v6, v8, s45, v6
	v_mad_u32 v4, v8, s44, v4
	;; [unrolled: 1-line block ×4, first 2 shown]
	v_mul_lo_u32 v3, v1, s55
	s_delay_alu instid0(VALU_DEP_1) | instskip(NEXT) | instid1(VALU_DEP_1)
	v_sub_nc_u32_e32 v2, v2, v3
	v_mad_u32 v6, v2, s49, v6
	v_mad_u32 v4, v2, s48, v4
	;; [unrolled: 1-line block ×4, first 2 shown]
	s_cbranch_scc0 .LBB189_96
; %bb.97:
	s_bitcmp1_b32 s39, 0
	s_cselect_b32 s39, -1, 0
	s_delay_alu instid0(SALU_CYCLE_1)
	s_and_b32 vcc_lo, exec_lo, s39
	s_cbranch_vccnz .LBB189_101
; %bb.98:
	s_load_b96 s[44:46], s[30:31], 0x4
	s_load_b128 s[40:43], s[28:29], 0xe4
	s_wait_kmcnt 0x0
	v_mul_hi_u32 v2, s45, v1
	s_delay_alu instid0(VALU_DEP_1) | instskip(NEXT) | instid1(VALU_DEP_1)
	v_add_nc_u32_e32 v2, v1, v2
	v_lshrrev_b32_e32 v2, s46, v2
	s_delay_alu instid0(VALU_DEP_1) | instskip(NEXT) | instid1(VALU_DEP_1)
	v_mul_lo_u32 v2, v2, s44
	v_sub_nc_u32_e32 v1, v1, v2
	s_delay_alu instid0(VALU_DEP_1)
	v_mad_u32 v4, v1, s40, v4
	v_mad_u32 v6, v1, s41, v6
	;; [unrolled: 1-line block ×4, first 2 shown]
	s_branch .LBB189_101
.LBB189_99:
                                        ; implicit-def: $vgpr6
                                        ; implicit-def: $vgpr4
                                        ; implicit-def: $vgpr7
                                        ; implicit-def: $vgpr5
	s_branch .LBB189_102
.LBB189_100:
	v_dual_mov_b32 v6, 0 :: v_dual_mov_b32 v4, 0
	v_dual_mov_b32 v7, 0 :: v_dual_mov_b32 v5, 0
.LBB189_101:
	s_cbranch_execnz .LBB189_104
.LBB189_102:
	v_mov_b32_e32 v1, 0
	s_and_not1_b32 vcc_lo, exec_lo, s38
	s_delay_alu instid0(VALU_DEP_1) | instskip(NEXT) | instid1(VALU_DEP_1)
	v_mul_u64_e32 v[2:3], s[24:25], v[0:1]
	v_add_nc_u32_e32 v2, v0, v3
	s_delay_alu instid0(VALU_DEP_1) | instskip(NEXT) | instid1(VALU_DEP_1)
	v_lshrrev_b32_e32 v2, s18, v2
	v_mul_lo_u32 v3, v2, s16
	s_delay_alu instid0(VALU_DEP_1) | instskip(NEXT) | instid1(VALU_DEP_1)
	v_sub_nc_u32_e32 v0, v0, v3
	v_mul_lo_u32 v6, v0, s9
	v_mul_lo_u32 v4, v0, s8
	;; [unrolled: 1-line block ×4, first 2 shown]
	s_cbranch_vccnz .LBB189_104
; %bb.103:
	v_mov_b32_e32 v3, v1
	s_delay_alu instid0(VALU_DEP_1) | instskip(NEXT) | instid1(VALU_DEP_1)
	v_mul_u64_e32 v[0:1], s[26:27], v[2:3]
	v_add_nc_u32_e32 v0, v2, v1
	s_delay_alu instid0(VALU_DEP_1) | instskip(NEXT) | instid1(VALU_DEP_1)
	v_lshrrev_b32_e32 v0, s23, v0
	v_mul_lo_u32 v0, v0, s19
	s_delay_alu instid0(VALU_DEP_1) | instskip(NEXT) | instid1(VALU_DEP_1)
	v_sub_nc_u32_e32 v0, v2, v0
	v_mad_u32 v4, v0, s12, v4
	v_mad_u32 v6, v0, s13, v6
	;; [unrolled: 1-line block ×4, first 2 shown]
.LBB189_104:
	global_load_u16 v0, v5, s[4:5]
	global_load_u16 v1, v7, s[6:7]
	;; [unrolled: 1-line block ×3, first 2 shown]
	s_wait_loadcnt 0x2
	v_mul_f16_e32 v0, s17, v0
	s_wait_loadcnt 0x1
	s_delay_alu instid0(VALU_DEP_1) | instskip(SKIP_1) | instid1(VALU_DEP_1)
	v_mul_f16_e32 v0, v0, v1
	s_wait_loadcnt 0x0
	v_fmac_f16_e32 v0, s37, v2
	global_store_b16 v4, v0, s[0:1]
.LBB189_105:
	s_wait_xcnt 0x0
	s_or_b32 exec_lo, exec_lo, s22
                                        ; implicit-def: $vgpr5
                                        ; implicit-def: $vgpr0
.LBB189_106:
	s_and_not1_saveexec_b32 s0, s36
	s_cbranch_execz .LBB189_113
; %bb.107:
	v_cndmask_b32_e64 v10, 0, 1, s35
	s_and_not1_b32 vcc_lo, exec_lo, s35
	s_cbranch_vccnz .LBB189_114
; %bb.108:
	s_cmp_lg_u32 s33, 0
	s_mov_b32 s4, 0
	s_cbranch_scc0 .LBB189_118
; %bb.109:
	s_min_u32 s5, s34, 15
	v_dual_mov_b32 v3, 0 :: v_dual_mov_b32 v6, v0
	v_dual_mov_b32 v4, 0 :: v_dual_mov_b32 v1, 0
	v_mov_b32_e32 v2, 0
	s_add_co_i32 s2, s5, 1
	s_mov_b64 s[0:1], 0xffffffffffffffe0
	s_and_b32 s6, s2, 30
	s_add_nc_u64 s[0:1], s[20:21], s[0:1]
	s_mov_b64 s[2:3], s[20:21]
.LBB189_110:                            ; =>This Inner Loop Header: Depth=1
	s_clause 0x1
	s_load_b128 s[16:19], s[2:3], 0x4
	s_load_b64 s[22:23], s[2:3], 0x14
	s_load_b256 s[8:15], s[0:1], 0xe4
	s_add_co_i32 s6, s6, -2
	s_wait_xcnt 0x0
	s_add_nc_u64 s[2:3], s[2:3], 24
	s_cmp_lg_u32 s6, 0
	s_add_nc_u64 s[0:1], s[0:1], 32
	s_wait_kmcnt 0x0
	v_mul_hi_u32 v7, s17, v6
	s_delay_alu instid0(VALU_DEP_1) | instskip(NEXT) | instid1(VALU_DEP_1)
	v_add_nc_u32_e32 v7, v6, v7
	v_lshrrev_b32_e32 v7, s18, v7
	s_delay_alu instid0(VALU_DEP_1) | instskip(SKIP_1) | instid1(VALU_DEP_1)
	v_mul_hi_u32 v8, s22, v7
	v_mul_lo_u32 v9, v7, s16
	v_dual_add_nc_u32 v8, v7, v8 :: v_dual_sub_nc_u32 v9, v6, v9
	s_delay_alu instid0(VALU_DEP_1) | instskip(NEXT) | instid1(VALU_DEP_2)
	v_lshrrev_b32_e32 v6, s23, v8
	v_mad_u32 v2, v9, s9, v2
	v_mad_u32 v1, v9, s8, v1
	;; [unrolled: 1-line block ×4, first 2 shown]
	v_mul_lo_u32 v8, v6, s19
	s_delay_alu instid0(VALU_DEP_1) | instskip(NEXT) | instid1(VALU_DEP_1)
	v_sub_nc_u32_e32 v7, v7, v8
	v_mad_u32 v2, v7, s13, v2
	v_mad_u32 v1, v7, s12, v1
	;; [unrolled: 1-line block ×4, first 2 shown]
	s_cbranch_scc1 .LBB189_110
; %bb.111:
	s_bitcmp1_b32 s5, 0
	s_cselect_b32 s5, -1, 0
	s_delay_alu instid0(SALU_CYCLE_1)
	s_and_b32 vcc_lo, exec_lo, s5
	s_cbranch_vccnz .LBB189_115
; %bb.112:
	s_load_b96 s[12:14], s[2:3], 0x4
	s_load_b128 s[8:11], s[0:1], 0xe4
	s_wait_kmcnt 0x0
	v_mul_hi_u32 v7, s13, v6
	s_delay_alu instid0(VALU_DEP_1) | instskip(NEXT) | instid1(VALU_DEP_1)
	v_add_nc_u32_e32 v7, v6, v7
	v_lshrrev_b32_e32 v7, s14, v7
	s_delay_alu instid0(VALU_DEP_1) | instskip(NEXT) | instid1(VALU_DEP_1)
	v_mul_lo_u32 v7, v7, s12
	v_sub_nc_u32_e32 v6, v6, v7
	s_delay_alu instid0(VALU_DEP_1)
	v_mad_u32 v1, v6, s8, v1
	v_mad_u32 v2, v6, s9, v2
	;; [unrolled: 1-line block ×4, first 2 shown]
	s_and_not1_b32 vcc_lo, exec_lo, s4
	s_cbranch_vccz .LBB189_116
	s_branch .LBB189_119
.LBB189_113:
	s_endpgm
.LBB189_114:
	s_mov_b32 s4, -1
                                        ; implicit-def: $vgpr2
                                        ; implicit-def: $vgpr1
                                        ; implicit-def: $vgpr4
                                        ; implicit-def: $vgpr3
.LBB189_115:
	s_delay_alu instid0(SALU_CYCLE_1)
	s_and_not1_b32 vcc_lo, exec_lo, s4
	s_cbranch_vccnz .LBB189_119
.LBB189_116:
	s_clause 0x1
	s_load_b96 s[4:6], s[20:21], 0x4
	s_load_b128 s[0:3], s[20:21], 0xc4
	s_cmp_lt_u32 s33, 2
	s_wait_kmcnt 0x0
	v_mul_hi_u32 v1, s5, v0
	s_delay_alu instid0(VALU_DEP_1) | instskip(NEXT) | instid1(VALU_DEP_1)
	v_add_nc_u32_e32 v1, v0, v1
	v_lshrrev_b32_e32 v6, s6, v1
	s_delay_alu instid0(VALU_DEP_1) | instskip(NEXT) | instid1(VALU_DEP_1)
	v_mul_lo_u32 v1, v6, s4
	v_sub_nc_u32_e32 v3, v0, v1
	s_delay_alu instid0(VALU_DEP_1)
	v_mul_lo_u32 v2, v3, s1
	v_mul_lo_u32 v1, v3, s0
	;; [unrolled: 1-line block ×4, first 2 shown]
	s_cbranch_scc1 .LBB189_119
; %bb.117:
	s_clause 0x1
	s_load_b96 s[4:6], s[20:21], 0x10
	s_load_b128 s[0:3], s[20:21], 0xd4
	s_wait_kmcnt 0x0
	v_mul_hi_u32 v7, s5, v6
	s_delay_alu instid0(VALU_DEP_1) | instskip(NEXT) | instid1(VALU_DEP_1)
	v_add_nc_u32_e32 v7, v6, v7
	v_lshrrev_b32_e32 v7, s6, v7
	s_delay_alu instid0(VALU_DEP_1) | instskip(NEXT) | instid1(VALU_DEP_1)
	v_mul_lo_u32 v7, v7, s4
	v_sub_nc_u32_e32 v6, v6, v7
	s_delay_alu instid0(VALU_DEP_1)
	v_mad_u32 v1, v6, s0, v1
	v_mad_u32 v2, v6, s1, v2
	;; [unrolled: 1-line block ×4, first 2 shown]
	s_branch .LBB189_119
.LBB189_118:
	v_dual_mov_b32 v2, 0 :: v_dual_mov_b32 v1, 0
	v_dual_mov_b32 v4, 0 :: v_dual_mov_b32 v3, 0
	s_and_not1_b32 vcc_lo, exec_lo, s4
	s_cbranch_vccz .LBB189_116
.LBB189_119:
	v_cmp_ne_u32_e32 vcc_lo, 1, v10
	v_add_nc_u32_e32 v11, 0x80, v0
	s_cbranch_vccnz .LBB189_125
; %bb.120:
	s_cmp_lg_u32 s33, 0
	s_mov_b32 s4, 0
	s_cbranch_scc0 .LBB189_129
; %bb.121:
	s_min_u32 s5, s34, 15
	v_dual_mov_b32 v8, 0 :: v_dual_mov_b32 v12, v11
	v_dual_mov_b32 v9, 0 :: v_dual_mov_b32 v6, 0
	v_mov_b32_e32 v7, 0
	s_add_co_i32 s2, s5, 1
	s_mov_b64 s[0:1], 0xffffffffffffffe0
	s_and_b32 s6, s2, 30
	s_add_nc_u64 s[0:1], s[20:21], s[0:1]
	s_mov_b64 s[2:3], s[20:21]
.LBB189_122:                            ; =>This Inner Loop Header: Depth=1
	s_clause 0x1
	s_load_b128 s[16:19], s[2:3], 0x4
	s_load_b64 s[22:23], s[2:3], 0x14
	s_load_b256 s[8:15], s[0:1], 0xe4
	s_add_co_i32 s6, s6, -2
	s_wait_xcnt 0x0
	s_add_nc_u64 s[2:3], s[2:3], 24
	s_cmp_lg_u32 s6, 0
	s_add_nc_u64 s[0:1], s[0:1], 32
	s_wait_kmcnt 0x0
	v_mul_hi_u32 v13, s17, v12
	s_delay_alu instid0(VALU_DEP_1) | instskip(NEXT) | instid1(VALU_DEP_1)
	v_add_nc_u32_e32 v13, v12, v13
	v_lshrrev_b32_e32 v13, s18, v13
	s_delay_alu instid0(VALU_DEP_1) | instskip(SKIP_1) | instid1(VALU_DEP_1)
	v_mul_hi_u32 v14, s22, v13
	v_mul_lo_u32 v15, v13, s16
	v_dual_add_nc_u32 v14, v13, v14 :: v_dual_sub_nc_u32 v15, v12, v15
	s_delay_alu instid0(VALU_DEP_1) | instskip(NEXT) | instid1(VALU_DEP_2)
	v_lshrrev_b32_e32 v12, s23, v14
	v_mad_u32 v7, v15, s9, v7
	v_mad_u32 v6, v15, s8, v6
	;; [unrolled: 1-line block ×4, first 2 shown]
	v_mul_lo_u32 v14, v12, s19
	s_delay_alu instid0(VALU_DEP_1) | instskip(NEXT) | instid1(VALU_DEP_1)
	v_sub_nc_u32_e32 v13, v13, v14
	v_mad_u32 v7, v13, s13, v7
	v_mad_u32 v6, v13, s12, v6
	;; [unrolled: 1-line block ×4, first 2 shown]
	s_cbranch_scc1 .LBB189_122
; %bb.123:
	s_bitcmp1_b32 s5, 0
	s_cselect_b32 s5, -1, 0
	s_delay_alu instid0(SALU_CYCLE_1)
	s_and_b32 vcc_lo, exec_lo, s5
	s_cbranch_vccnz .LBB189_126
; %bb.124:
	s_load_b96 s[12:14], s[2:3], 0x4
	s_load_b128 s[8:11], s[0:1], 0xe4
	s_wait_kmcnt 0x0
	v_mul_hi_u32 v13, s13, v12
	s_delay_alu instid0(VALU_DEP_1) | instskip(NEXT) | instid1(VALU_DEP_1)
	v_add_nc_u32_e32 v13, v12, v13
	v_lshrrev_b32_e32 v13, s14, v13
	s_delay_alu instid0(VALU_DEP_1) | instskip(NEXT) | instid1(VALU_DEP_1)
	v_mul_lo_u32 v13, v13, s12
	v_sub_nc_u32_e32 v12, v12, v13
	s_delay_alu instid0(VALU_DEP_1)
	v_mad_u32 v6, v12, s8, v6
	v_mad_u32 v7, v12, s9, v7
	;; [unrolled: 1-line block ×4, first 2 shown]
	s_and_not1_b32 vcc_lo, exec_lo, s4
	s_cbranch_vccz .LBB189_127
	s_branch .LBB189_130
.LBB189_125:
	s_mov_b32 s4, -1
                                        ; implicit-def: $vgpr7
                                        ; implicit-def: $vgpr6
                                        ; implicit-def: $vgpr9
                                        ; implicit-def: $vgpr8
.LBB189_126:
	s_delay_alu instid0(SALU_CYCLE_1)
	s_and_not1_b32 vcc_lo, exec_lo, s4
	s_cbranch_vccnz .LBB189_130
.LBB189_127:
	s_clause 0x1
	s_load_b96 s[4:6], s[20:21], 0x4
	s_load_b128 s[0:3], s[20:21], 0xc4
	s_cmp_lt_u32 s33, 2
	s_wait_kmcnt 0x0
	v_mul_hi_u32 v6, s5, v11
	s_delay_alu instid0(VALU_DEP_1) | instskip(NEXT) | instid1(VALU_DEP_1)
	v_add_nc_u32_e32 v6, v11, v6
	v_lshrrev_b32_e32 v12, s6, v6
	s_delay_alu instid0(VALU_DEP_1) | instskip(NEXT) | instid1(VALU_DEP_1)
	v_mul_lo_u32 v6, v12, s4
	v_sub_nc_u32_e32 v8, v11, v6
	s_delay_alu instid0(VALU_DEP_1)
	v_mul_lo_u32 v7, v8, s1
	v_mul_lo_u32 v6, v8, s0
	v_mul_lo_u32 v9, v8, s3
	v_mul_lo_u32 v8, v8, s2
	s_cbranch_scc1 .LBB189_130
; %bb.128:
	s_clause 0x1
	s_load_b96 s[4:6], s[20:21], 0x10
	s_load_b128 s[0:3], s[20:21], 0xd4
	s_wait_kmcnt 0x0
	v_mul_hi_u32 v11, s5, v12
	s_delay_alu instid0(VALU_DEP_1) | instskip(NEXT) | instid1(VALU_DEP_1)
	v_add_nc_u32_e32 v11, v12, v11
	v_lshrrev_b32_e32 v11, s6, v11
	s_delay_alu instid0(VALU_DEP_1) | instskip(NEXT) | instid1(VALU_DEP_1)
	v_mul_lo_u32 v11, v11, s4
	v_sub_nc_u32_e32 v11, v12, v11
	s_delay_alu instid0(VALU_DEP_1)
	v_mad_u32 v6, v11, s0, v6
	v_mad_u32 v7, v11, s1, v7
	;; [unrolled: 1-line block ×4, first 2 shown]
	s_branch .LBB189_130
.LBB189_129:
	v_dual_mov_b32 v7, 0 :: v_dual_mov_b32 v6, 0
	v_dual_mov_b32 v9, 0 :: v_dual_mov_b32 v8, 0
	s_and_not1_b32 vcc_lo, exec_lo, s4
	s_cbranch_vccz .LBB189_127
.LBB189_130:
	v_cmp_ne_u32_e32 vcc_lo, 1, v10
	v_add_nc_u32_e32 v15, 0x100, v0
	s_cbranch_vccnz .LBB189_136
; %bb.131:
	s_cmp_lg_u32 s33, 0
	s_mov_b32 s4, 0
	s_cbranch_scc0 .LBB189_140
; %bb.132:
	s_min_u32 s5, s34, 15
	v_dual_mov_b32 v14, 0 :: v_dual_mov_b32 v16, v15
	v_dual_mov_b32 v13, 0 :: v_dual_mov_b32 v11, 0
	v_mov_b32_e32 v12, 0
	s_add_co_i32 s2, s5, 1
	s_mov_b64 s[0:1], 0xffffffffffffffe0
	s_and_b32 s6, s2, 30
	s_add_nc_u64 s[0:1], s[20:21], s[0:1]
	s_mov_b64 s[2:3], s[20:21]
.LBB189_133:                            ; =>This Inner Loop Header: Depth=1
	s_clause 0x1
	s_load_b128 s[16:19], s[2:3], 0x4
	s_load_b64 s[22:23], s[2:3], 0x14
	s_load_b256 s[8:15], s[0:1], 0xe4
	s_add_co_i32 s6, s6, -2
	s_wait_xcnt 0x0
	s_add_nc_u64 s[2:3], s[2:3], 24
	s_cmp_lg_u32 s6, 0
	s_add_nc_u64 s[0:1], s[0:1], 32
	s_wait_kmcnt 0x0
	v_mul_hi_u32 v17, s17, v16
	s_delay_alu instid0(VALU_DEP_1) | instskip(NEXT) | instid1(VALU_DEP_1)
	v_add_nc_u32_e32 v17, v16, v17
	v_lshrrev_b32_e32 v17, s18, v17
	s_delay_alu instid0(VALU_DEP_1) | instskip(SKIP_1) | instid1(VALU_DEP_1)
	v_mul_hi_u32 v18, s22, v17
	v_mul_lo_u32 v19, v17, s16
	v_dual_add_nc_u32 v18, v17, v18 :: v_dual_sub_nc_u32 v19, v16, v19
	s_delay_alu instid0(VALU_DEP_1) | instskip(NEXT) | instid1(VALU_DEP_2)
	v_lshrrev_b32_e32 v16, s23, v18
	v_mad_u32 v12, v19, s9, v12
	v_mad_u32 v11, v19, s8, v11
	;; [unrolled: 1-line block ×4, first 2 shown]
	v_mul_lo_u32 v18, v16, s19
	s_delay_alu instid0(VALU_DEP_1) | instskip(NEXT) | instid1(VALU_DEP_1)
	v_sub_nc_u32_e32 v17, v17, v18
	v_mad_u32 v12, v17, s13, v12
	v_mad_u32 v11, v17, s12, v11
	;; [unrolled: 1-line block ×4, first 2 shown]
	s_cbranch_scc1 .LBB189_133
; %bb.134:
	s_bitcmp1_b32 s5, 0
	s_cselect_b32 s5, -1, 0
	s_delay_alu instid0(SALU_CYCLE_1)
	s_and_b32 vcc_lo, exec_lo, s5
	s_cbranch_vccnz .LBB189_137
; %bb.135:
	s_load_b96 s[12:14], s[2:3], 0x4
	s_load_b128 s[8:11], s[0:1], 0xe4
	s_wait_kmcnt 0x0
	v_mul_hi_u32 v17, s13, v16
	s_delay_alu instid0(VALU_DEP_1) | instskip(NEXT) | instid1(VALU_DEP_1)
	v_add_nc_u32_e32 v17, v16, v17
	v_lshrrev_b32_e32 v17, s14, v17
	s_delay_alu instid0(VALU_DEP_1) | instskip(NEXT) | instid1(VALU_DEP_1)
	v_mul_lo_u32 v17, v17, s12
	v_sub_nc_u32_e32 v16, v16, v17
	s_delay_alu instid0(VALU_DEP_1)
	v_mad_u32 v11, v16, s8, v11
	v_mad_u32 v12, v16, s9, v12
	;; [unrolled: 1-line block ×4, first 2 shown]
	s_and_not1_b32 vcc_lo, exec_lo, s4
	s_cbranch_vccz .LBB189_138
	s_branch .LBB189_141
.LBB189_136:
	s_mov_b32 s4, -1
                                        ; implicit-def: $vgpr12
                                        ; implicit-def: $vgpr11
                                        ; implicit-def: $vgpr13
                                        ; implicit-def: $vgpr14
.LBB189_137:
	s_delay_alu instid0(SALU_CYCLE_1)
	s_and_not1_b32 vcc_lo, exec_lo, s4
	s_cbranch_vccnz .LBB189_141
.LBB189_138:
	s_clause 0x1
	s_load_b96 s[4:6], s[20:21], 0x4
	s_load_b128 s[0:3], s[20:21], 0xc4
	s_cmp_lt_u32 s33, 2
	s_wait_kmcnt 0x0
	v_mul_hi_u32 v11, s5, v15
	s_delay_alu instid0(VALU_DEP_1) | instskip(NEXT) | instid1(VALU_DEP_1)
	v_add_nc_u32_e32 v11, v15, v11
	v_lshrrev_b32_e32 v16, s6, v11
	s_delay_alu instid0(VALU_DEP_1) | instskip(NEXT) | instid1(VALU_DEP_1)
	v_mul_lo_u32 v11, v16, s4
	v_sub_nc_u32_e32 v14, v15, v11
	s_delay_alu instid0(VALU_DEP_1)
	v_mul_lo_u32 v12, v14, s1
	v_mul_lo_u32 v11, v14, s0
	;; [unrolled: 1-line block ×4, first 2 shown]
	s_cbranch_scc1 .LBB189_141
; %bb.139:
	s_clause 0x1
	s_load_b96 s[4:6], s[20:21], 0x10
	s_load_b128 s[0:3], s[20:21], 0xd4
	s_wait_kmcnt 0x0
	v_mul_hi_u32 v15, s5, v16
	s_delay_alu instid0(VALU_DEP_1) | instskip(NEXT) | instid1(VALU_DEP_1)
	v_add_nc_u32_e32 v15, v16, v15
	v_lshrrev_b32_e32 v15, s6, v15
	s_delay_alu instid0(VALU_DEP_1) | instskip(NEXT) | instid1(VALU_DEP_1)
	v_mul_lo_u32 v15, v15, s4
	v_sub_nc_u32_e32 v15, v16, v15
	s_delay_alu instid0(VALU_DEP_1)
	v_mad_u32 v11, v15, s0, v11
	v_mad_u32 v12, v15, s1, v12
	v_mad_u32 v14, v15, s2, v14
	v_mad_u32 v13, v15, s3, v13
	s_branch .LBB189_141
.LBB189_140:
	v_dual_mov_b32 v12, 0 :: v_dual_mov_b32 v11, 0
	v_dual_mov_b32 v13, 0 :: v_dual_mov_b32 v14, 0
	s_and_not1_b32 vcc_lo, exec_lo, s4
	s_cbranch_vccz .LBB189_138
.LBB189_141:
	v_cmp_ne_u32_e32 vcc_lo, 1, v10
	v_add_nc_u32_e32 v19, 0x180, v0
	s_cbranch_vccnz .LBB189_147
; %bb.142:
	s_cmp_lg_u32 s33, 0
	s_mov_b32 s4, 0
	s_cbranch_scc0 .LBB189_151
; %bb.143:
	s_min_u32 s5, s34, 15
	v_dual_mov_b32 v18, 0 :: v_dual_mov_b32 v20, v19
	v_dual_mov_b32 v17, 0 :: v_dual_mov_b32 v15, 0
	v_mov_b32_e32 v16, 0
	s_add_co_i32 s2, s5, 1
	s_mov_b64 s[0:1], 0xffffffffffffffe0
	s_and_b32 s6, s2, 30
	s_add_nc_u64 s[0:1], s[20:21], s[0:1]
	s_mov_b64 s[2:3], s[20:21]
.LBB189_144:                            ; =>This Inner Loop Header: Depth=1
	s_clause 0x1
	s_load_b128 s[16:19], s[2:3], 0x4
	s_load_b64 s[22:23], s[2:3], 0x14
	s_load_b256 s[8:15], s[0:1], 0xe4
	s_add_co_i32 s6, s6, -2
	s_wait_xcnt 0x0
	s_add_nc_u64 s[2:3], s[2:3], 24
	s_cmp_lg_u32 s6, 0
	s_add_nc_u64 s[0:1], s[0:1], 32
	s_wait_kmcnt 0x0
	v_mul_hi_u32 v21, s17, v20
	s_delay_alu instid0(VALU_DEP_1) | instskip(NEXT) | instid1(VALU_DEP_1)
	v_add_nc_u32_e32 v21, v20, v21
	v_lshrrev_b32_e32 v21, s18, v21
	s_delay_alu instid0(VALU_DEP_1) | instskip(SKIP_1) | instid1(VALU_DEP_1)
	v_mul_hi_u32 v22, s22, v21
	v_mul_lo_u32 v23, v21, s16
	v_dual_add_nc_u32 v22, v21, v22 :: v_dual_sub_nc_u32 v23, v20, v23
	s_delay_alu instid0(VALU_DEP_1) | instskip(NEXT) | instid1(VALU_DEP_2)
	v_lshrrev_b32_e32 v20, s23, v22
	v_mad_u32 v16, v23, s9, v16
	v_mad_u32 v15, v23, s8, v15
	;; [unrolled: 1-line block ×4, first 2 shown]
	v_mul_lo_u32 v22, v20, s19
	s_delay_alu instid0(VALU_DEP_1) | instskip(NEXT) | instid1(VALU_DEP_1)
	v_sub_nc_u32_e32 v21, v21, v22
	v_mad_u32 v16, v21, s13, v16
	v_mad_u32 v15, v21, s12, v15
	;; [unrolled: 1-line block ×4, first 2 shown]
	s_cbranch_scc1 .LBB189_144
; %bb.145:
	s_bitcmp1_b32 s5, 0
	s_cselect_b32 s5, -1, 0
	s_delay_alu instid0(SALU_CYCLE_1)
	s_and_b32 vcc_lo, exec_lo, s5
	s_cbranch_vccnz .LBB189_148
; %bb.146:
	s_load_b96 s[12:14], s[2:3], 0x4
	s_load_b128 s[8:11], s[0:1], 0xe4
	s_wait_kmcnt 0x0
	v_mul_hi_u32 v21, s13, v20
	s_delay_alu instid0(VALU_DEP_1) | instskip(NEXT) | instid1(VALU_DEP_1)
	v_add_nc_u32_e32 v21, v20, v21
	v_lshrrev_b32_e32 v21, s14, v21
	s_delay_alu instid0(VALU_DEP_1) | instskip(NEXT) | instid1(VALU_DEP_1)
	v_mul_lo_u32 v21, v21, s12
	v_sub_nc_u32_e32 v20, v20, v21
	s_delay_alu instid0(VALU_DEP_1)
	v_mad_u32 v15, v20, s8, v15
	v_mad_u32 v16, v20, s9, v16
	;; [unrolled: 1-line block ×4, first 2 shown]
	s_and_not1_b32 vcc_lo, exec_lo, s4
	s_cbranch_vccz .LBB189_149
	s_branch .LBB189_152
.LBB189_147:
	s_mov_b32 s4, -1
                                        ; implicit-def: $vgpr16
                                        ; implicit-def: $vgpr15
                                        ; implicit-def: $vgpr17
                                        ; implicit-def: $vgpr18
.LBB189_148:
	s_delay_alu instid0(SALU_CYCLE_1)
	s_and_not1_b32 vcc_lo, exec_lo, s4
	s_cbranch_vccnz .LBB189_152
.LBB189_149:
	s_clause 0x1
	s_load_b96 s[4:6], s[20:21], 0x4
	s_load_b128 s[0:3], s[20:21], 0xc4
	s_cmp_lt_u32 s33, 2
	s_wait_kmcnt 0x0
	v_mul_hi_u32 v15, s5, v19
	s_delay_alu instid0(VALU_DEP_1) | instskip(NEXT) | instid1(VALU_DEP_1)
	v_add_nc_u32_e32 v15, v19, v15
	v_lshrrev_b32_e32 v20, s6, v15
	s_delay_alu instid0(VALU_DEP_1) | instskip(NEXT) | instid1(VALU_DEP_1)
	v_mul_lo_u32 v15, v20, s4
	v_sub_nc_u32_e32 v18, v19, v15
	s_delay_alu instid0(VALU_DEP_1)
	v_mul_lo_u32 v16, v18, s1
	v_mul_lo_u32 v15, v18, s0
	;; [unrolled: 1-line block ×4, first 2 shown]
	s_cbranch_scc1 .LBB189_152
; %bb.150:
	s_clause 0x1
	s_load_b96 s[4:6], s[20:21], 0x10
	s_load_b128 s[0:3], s[20:21], 0xd4
	s_wait_kmcnt 0x0
	v_mul_hi_u32 v19, s5, v20
	s_delay_alu instid0(VALU_DEP_1) | instskip(NEXT) | instid1(VALU_DEP_1)
	v_add_nc_u32_e32 v19, v20, v19
	v_lshrrev_b32_e32 v19, s6, v19
	s_delay_alu instid0(VALU_DEP_1) | instskip(NEXT) | instid1(VALU_DEP_1)
	v_mul_lo_u32 v19, v19, s4
	v_sub_nc_u32_e32 v19, v20, v19
	s_delay_alu instid0(VALU_DEP_1)
	v_mad_u32 v15, v19, s0, v15
	v_mad_u32 v16, v19, s1, v16
	;; [unrolled: 1-line block ×4, first 2 shown]
	s_branch .LBB189_152
.LBB189_151:
	v_dual_mov_b32 v16, 0 :: v_dual_mov_b32 v15, 0
	v_dual_mov_b32 v17, 0 :: v_dual_mov_b32 v18, 0
	s_and_not1_b32 vcc_lo, exec_lo, s4
	s_cbranch_vccz .LBB189_149
.LBB189_152:
	v_cmp_ne_u32_e32 vcc_lo, 1, v10
	v_add_nc_u32_e32 v23, 0x200, v0
	s_cbranch_vccnz .LBB189_158
; %bb.153:
	s_cmp_lg_u32 s33, 0
	s_mov_b32 s4, 0
	s_cbranch_scc0 .LBB189_162
; %bb.154:
	s_min_u32 s5, s34, 15
	v_dual_mov_b32 v21, 0 :: v_dual_mov_b32 v24, v23
	v_dual_mov_b32 v22, 0 :: v_dual_mov_b32 v19, 0
	v_mov_b32_e32 v20, 0
	s_add_co_i32 s2, s5, 1
	s_mov_b64 s[0:1], 0xffffffffffffffe0
	s_and_b32 s6, s2, 30
	s_add_nc_u64 s[0:1], s[20:21], s[0:1]
	s_mov_b64 s[2:3], s[20:21]
.LBB189_155:                            ; =>This Inner Loop Header: Depth=1
	s_clause 0x1
	s_load_b128 s[16:19], s[2:3], 0x4
	s_load_b64 s[22:23], s[2:3], 0x14
	s_load_b256 s[8:15], s[0:1], 0xe4
	s_add_co_i32 s6, s6, -2
	s_wait_xcnt 0x0
	s_add_nc_u64 s[2:3], s[2:3], 24
	s_cmp_lg_u32 s6, 0
	s_add_nc_u64 s[0:1], s[0:1], 32
	s_wait_kmcnt 0x0
	v_mul_hi_u32 v25, s17, v24
	s_delay_alu instid0(VALU_DEP_1) | instskip(NEXT) | instid1(VALU_DEP_1)
	v_add_nc_u32_e32 v25, v24, v25
	v_lshrrev_b32_e32 v25, s18, v25
	s_delay_alu instid0(VALU_DEP_1) | instskip(SKIP_1) | instid1(VALU_DEP_1)
	v_mul_hi_u32 v26, s22, v25
	v_mul_lo_u32 v27, v25, s16
	v_dual_add_nc_u32 v26, v25, v26 :: v_dual_sub_nc_u32 v27, v24, v27
	s_delay_alu instid0(VALU_DEP_1) | instskip(NEXT) | instid1(VALU_DEP_2)
	v_lshrrev_b32_e32 v24, s23, v26
	v_mad_u32 v20, v27, s9, v20
	v_mad_u32 v19, v27, s8, v19
	;; [unrolled: 1-line block ×4, first 2 shown]
	v_mul_lo_u32 v26, v24, s19
	s_delay_alu instid0(VALU_DEP_1) | instskip(NEXT) | instid1(VALU_DEP_1)
	v_sub_nc_u32_e32 v25, v25, v26
	v_mad_u32 v20, v25, s13, v20
	v_mad_u32 v19, v25, s12, v19
	;; [unrolled: 1-line block ×4, first 2 shown]
	s_cbranch_scc1 .LBB189_155
; %bb.156:
	s_bitcmp1_b32 s5, 0
	s_cselect_b32 s5, -1, 0
	s_delay_alu instid0(SALU_CYCLE_1)
	s_and_b32 vcc_lo, exec_lo, s5
	s_cbranch_vccnz .LBB189_159
; %bb.157:
	s_load_b96 s[12:14], s[2:3], 0x4
	s_load_b128 s[8:11], s[0:1], 0xe4
	s_wait_kmcnt 0x0
	v_mul_hi_u32 v25, s13, v24
	s_delay_alu instid0(VALU_DEP_1) | instskip(NEXT) | instid1(VALU_DEP_1)
	v_add_nc_u32_e32 v25, v24, v25
	v_lshrrev_b32_e32 v25, s14, v25
	s_delay_alu instid0(VALU_DEP_1) | instskip(NEXT) | instid1(VALU_DEP_1)
	v_mul_lo_u32 v25, v25, s12
	v_sub_nc_u32_e32 v24, v24, v25
	s_delay_alu instid0(VALU_DEP_1)
	v_mad_u32 v19, v24, s8, v19
	v_mad_u32 v20, v24, s9, v20
	;; [unrolled: 1-line block ×4, first 2 shown]
	s_and_not1_b32 vcc_lo, exec_lo, s4
	s_cbranch_vccz .LBB189_160
	s_branch .LBB189_163
.LBB189_158:
	s_mov_b32 s4, -1
                                        ; implicit-def: $vgpr20
                                        ; implicit-def: $vgpr19
                                        ; implicit-def: $vgpr22
                                        ; implicit-def: $vgpr21
.LBB189_159:
	s_delay_alu instid0(SALU_CYCLE_1)
	s_and_not1_b32 vcc_lo, exec_lo, s4
	s_cbranch_vccnz .LBB189_163
.LBB189_160:
	s_clause 0x1
	s_load_b96 s[4:6], s[20:21], 0x4
	s_load_b128 s[0:3], s[20:21], 0xc4
	s_cmp_lt_u32 s33, 2
	s_wait_kmcnt 0x0
	v_mul_hi_u32 v19, s5, v23
	s_delay_alu instid0(VALU_DEP_1) | instskip(NEXT) | instid1(VALU_DEP_1)
	v_add_nc_u32_e32 v19, v23, v19
	v_lshrrev_b32_e32 v24, s6, v19
	s_delay_alu instid0(VALU_DEP_1) | instskip(NEXT) | instid1(VALU_DEP_1)
	v_mul_lo_u32 v19, v24, s4
	v_sub_nc_u32_e32 v21, v23, v19
	s_delay_alu instid0(VALU_DEP_1)
	v_mul_lo_u32 v20, v21, s1
	v_mul_lo_u32 v19, v21, s0
	v_mul_lo_u32 v22, v21, s3
	v_mul_lo_u32 v21, v21, s2
	s_cbranch_scc1 .LBB189_163
; %bb.161:
	s_clause 0x1
	s_load_b96 s[4:6], s[20:21], 0x10
	s_load_b128 s[0:3], s[20:21], 0xd4
	s_wait_kmcnt 0x0
	v_mul_hi_u32 v23, s5, v24
	s_delay_alu instid0(VALU_DEP_1) | instskip(NEXT) | instid1(VALU_DEP_1)
	v_add_nc_u32_e32 v23, v24, v23
	v_lshrrev_b32_e32 v23, s6, v23
	s_delay_alu instid0(VALU_DEP_1) | instskip(NEXT) | instid1(VALU_DEP_1)
	v_mul_lo_u32 v23, v23, s4
	v_sub_nc_u32_e32 v23, v24, v23
	s_delay_alu instid0(VALU_DEP_1)
	v_mad_u32 v19, v23, s0, v19
	v_mad_u32 v20, v23, s1, v20
	;; [unrolled: 1-line block ×4, first 2 shown]
	s_branch .LBB189_163
.LBB189_162:
	v_dual_mov_b32 v20, 0 :: v_dual_mov_b32 v19, 0
	v_dual_mov_b32 v22, 0 :: v_dual_mov_b32 v21, 0
	s_and_not1_b32 vcc_lo, exec_lo, s4
	s_cbranch_vccz .LBB189_160
.LBB189_163:
	v_cmp_ne_u32_e32 vcc_lo, 1, v10
	v_add_nc_u32_e32 v27, 0x280, v0
	s_cbranch_vccnz .LBB189_169
; %bb.164:
	s_cmp_lg_u32 s33, 0
	s_mov_b32 s4, 0
	s_cbranch_scc0 .LBB189_173
; %bb.165:
	s_min_u32 s5, s34, 15
	v_dual_mov_b32 v25, 0 :: v_dual_mov_b32 v28, v27
	v_dual_mov_b32 v26, 0 :: v_dual_mov_b32 v23, 0
	v_mov_b32_e32 v24, 0
	s_add_co_i32 s2, s5, 1
	s_mov_b64 s[0:1], 0xffffffffffffffe0
	s_and_b32 s6, s2, 30
	s_add_nc_u64 s[0:1], s[20:21], s[0:1]
	s_mov_b64 s[2:3], s[20:21]
.LBB189_166:                            ; =>This Inner Loop Header: Depth=1
	s_clause 0x1
	s_load_b128 s[16:19], s[2:3], 0x4
	s_load_b64 s[22:23], s[2:3], 0x14
	s_load_b256 s[8:15], s[0:1], 0xe4
	s_add_co_i32 s6, s6, -2
	s_wait_xcnt 0x0
	s_add_nc_u64 s[2:3], s[2:3], 24
	s_cmp_lg_u32 s6, 0
	s_add_nc_u64 s[0:1], s[0:1], 32
	s_wait_kmcnt 0x0
	v_mul_hi_u32 v29, s17, v28
	s_delay_alu instid0(VALU_DEP_1) | instskip(NEXT) | instid1(VALU_DEP_1)
	v_add_nc_u32_e32 v29, v28, v29
	v_lshrrev_b32_e32 v29, s18, v29
	s_delay_alu instid0(VALU_DEP_1) | instskip(SKIP_1) | instid1(VALU_DEP_1)
	v_mul_hi_u32 v30, s22, v29
	v_mul_lo_u32 v31, v29, s16
	v_dual_add_nc_u32 v30, v29, v30 :: v_dual_sub_nc_u32 v31, v28, v31
	s_delay_alu instid0(VALU_DEP_1) | instskip(NEXT) | instid1(VALU_DEP_2)
	v_lshrrev_b32_e32 v28, s23, v30
	v_mad_u32 v24, v31, s9, v24
	v_mad_u32 v23, v31, s8, v23
	;; [unrolled: 1-line block ×4, first 2 shown]
	v_mul_lo_u32 v30, v28, s19
	s_delay_alu instid0(VALU_DEP_1) | instskip(NEXT) | instid1(VALU_DEP_1)
	v_sub_nc_u32_e32 v29, v29, v30
	v_mad_u32 v24, v29, s13, v24
	v_mad_u32 v23, v29, s12, v23
	;; [unrolled: 1-line block ×4, first 2 shown]
	s_cbranch_scc1 .LBB189_166
; %bb.167:
	s_bitcmp1_b32 s5, 0
	s_cselect_b32 s5, -1, 0
	s_delay_alu instid0(SALU_CYCLE_1)
	s_and_b32 vcc_lo, exec_lo, s5
	s_cbranch_vccnz .LBB189_170
; %bb.168:
	s_load_b96 s[12:14], s[2:3], 0x4
	s_load_b128 s[8:11], s[0:1], 0xe4
	s_wait_kmcnt 0x0
	v_mul_hi_u32 v29, s13, v28
	s_delay_alu instid0(VALU_DEP_1) | instskip(NEXT) | instid1(VALU_DEP_1)
	v_add_nc_u32_e32 v29, v28, v29
	v_lshrrev_b32_e32 v29, s14, v29
	s_delay_alu instid0(VALU_DEP_1) | instskip(NEXT) | instid1(VALU_DEP_1)
	v_mul_lo_u32 v29, v29, s12
	v_sub_nc_u32_e32 v28, v28, v29
	s_delay_alu instid0(VALU_DEP_1)
	v_mad_u32 v23, v28, s8, v23
	v_mad_u32 v24, v28, s9, v24
	;; [unrolled: 1-line block ×4, first 2 shown]
	s_and_not1_b32 vcc_lo, exec_lo, s4
	s_cbranch_vccz .LBB189_171
	s_branch .LBB189_174
.LBB189_169:
	s_mov_b32 s4, -1
                                        ; implicit-def: $vgpr24
                                        ; implicit-def: $vgpr23
                                        ; implicit-def: $vgpr26
                                        ; implicit-def: $vgpr25
.LBB189_170:
	s_delay_alu instid0(SALU_CYCLE_1)
	s_and_not1_b32 vcc_lo, exec_lo, s4
	s_cbranch_vccnz .LBB189_174
.LBB189_171:
	s_clause 0x1
	s_load_b96 s[4:6], s[20:21], 0x4
	s_load_b128 s[0:3], s[20:21], 0xc4
	s_cmp_lt_u32 s33, 2
	s_wait_kmcnt 0x0
	v_mul_hi_u32 v23, s5, v27
	s_delay_alu instid0(VALU_DEP_1) | instskip(NEXT) | instid1(VALU_DEP_1)
	v_add_nc_u32_e32 v23, v27, v23
	v_lshrrev_b32_e32 v28, s6, v23
	s_delay_alu instid0(VALU_DEP_1) | instskip(NEXT) | instid1(VALU_DEP_1)
	v_mul_lo_u32 v23, v28, s4
	v_sub_nc_u32_e32 v25, v27, v23
	s_delay_alu instid0(VALU_DEP_1)
	v_mul_lo_u32 v24, v25, s1
	v_mul_lo_u32 v23, v25, s0
	;; [unrolled: 1-line block ×4, first 2 shown]
	s_cbranch_scc1 .LBB189_174
; %bb.172:
	s_clause 0x1
	s_load_b96 s[4:6], s[20:21], 0x10
	s_load_b128 s[0:3], s[20:21], 0xd4
	s_wait_kmcnt 0x0
	v_mul_hi_u32 v27, s5, v28
	s_delay_alu instid0(VALU_DEP_1) | instskip(NEXT) | instid1(VALU_DEP_1)
	v_add_nc_u32_e32 v27, v28, v27
	v_lshrrev_b32_e32 v27, s6, v27
	s_delay_alu instid0(VALU_DEP_1) | instskip(NEXT) | instid1(VALU_DEP_1)
	v_mul_lo_u32 v27, v27, s4
	v_sub_nc_u32_e32 v27, v28, v27
	s_delay_alu instid0(VALU_DEP_1)
	v_mad_u32 v23, v27, s0, v23
	v_mad_u32 v24, v27, s1, v24
	;; [unrolled: 1-line block ×4, first 2 shown]
	s_branch .LBB189_174
.LBB189_173:
	v_dual_mov_b32 v24, 0 :: v_dual_mov_b32 v23, 0
	v_dual_mov_b32 v26, 0 :: v_dual_mov_b32 v25, 0
	s_and_not1_b32 vcc_lo, exec_lo, s4
	s_cbranch_vccz .LBB189_171
.LBB189_174:
	v_cmp_ne_u32_e32 vcc_lo, 1, v10
	v_add_nc_u32_e32 v30, 0x300, v0
	s_cbranch_vccnz .LBB189_180
; %bb.175:
	s_cmp_lg_u32 s33, 0
	s_mov_b32 s4, 0
	s_cbranch_scc0 .LBB189_184
; %bb.176:
	s_min_u32 s5, s34, 15
	v_dual_mov_b32 v29, 0 :: v_dual_mov_b32 v31, v30
	v_dual_mov_b32 v28, 0 :: v_dual_mov_b32 v0, 0
	v_mov_b32_e32 v27, 0
	s_add_co_i32 s2, s5, 1
	s_mov_b64 s[0:1], 0xffffffffffffffe0
	s_and_b32 s6, s2, 30
	s_add_nc_u64 s[0:1], s[20:21], s[0:1]
	s_mov_b64 s[2:3], s[20:21]
.LBB189_177:                            ; =>This Inner Loop Header: Depth=1
	s_clause 0x1
	s_load_b128 s[16:19], s[2:3], 0x4
	s_load_b64 s[22:23], s[2:3], 0x14
	s_load_b256 s[8:15], s[0:1], 0xe4
	s_add_co_i32 s6, s6, -2
	s_wait_xcnt 0x0
	s_add_nc_u64 s[2:3], s[2:3], 24
	s_cmp_lg_u32 s6, 0
	s_add_nc_u64 s[0:1], s[0:1], 32
	s_wait_kmcnt 0x0
	v_mul_hi_u32 v32, s17, v31
	s_delay_alu instid0(VALU_DEP_1) | instskip(NEXT) | instid1(VALU_DEP_1)
	v_add_nc_u32_e32 v32, v31, v32
	v_lshrrev_b32_e32 v32, s18, v32
	s_delay_alu instid0(VALU_DEP_1) | instskip(SKIP_1) | instid1(VALU_DEP_1)
	v_mul_hi_u32 v33, s22, v32
	v_mul_lo_u32 v34, v32, s16
	v_dual_add_nc_u32 v33, v32, v33 :: v_dual_sub_nc_u32 v34, v31, v34
	s_delay_alu instid0(VALU_DEP_1) | instskip(NEXT) | instid1(VALU_DEP_2)
	v_lshrrev_b32_e32 v31, s23, v33
	v_mad_u32 v27, v34, s9, v27
	v_mad_u32 v0, v34, s8, v0
	v_mad_u32 v28, v34, s11, v28
	v_mad_u32 v29, v34, s10, v29
	v_mul_lo_u32 v33, v31, s19
	s_delay_alu instid0(VALU_DEP_1) | instskip(NEXT) | instid1(VALU_DEP_1)
	v_sub_nc_u32_e32 v32, v32, v33
	v_mad_u32 v27, v32, s13, v27
	v_mad_u32 v0, v32, s12, v0
	;; [unrolled: 1-line block ×4, first 2 shown]
	s_cbranch_scc1 .LBB189_177
; %bb.178:
	s_bitcmp1_b32 s5, 0
	s_cselect_b32 s5, -1, 0
	s_delay_alu instid0(SALU_CYCLE_1)
	s_and_b32 vcc_lo, exec_lo, s5
	s_cbranch_vccnz .LBB189_181
; %bb.179:
	s_load_b96 s[12:14], s[2:3], 0x4
	s_load_b128 s[8:11], s[0:1], 0xe4
	s_wait_kmcnt 0x0
	v_mul_hi_u32 v32, s13, v31
	s_delay_alu instid0(VALU_DEP_1) | instskip(NEXT) | instid1(VALU_DEP_1)
	v_add_nc_u32_e32 v32, v31, v32
	v_lshrrev_b32_e32 v32, s14, v32
	s_delay_alu instid0(VALU_DEP_1) | instskip(NEXT) | instid1(VALU_DEP_1)
	v_mul_lo_u32 v32, v32, s12
	v_sub_nc_u32_e32 v31, v31, v32
	s_delay_alu instid0(VALU_DEP_1)
	v_mad_u32 v0, v31, s8, v0
	v_mad_u32 v27, v31, s9, v27
	;; [unrolled: 1-line block ×4, first 2 shown]
	s_and_not1_b32 vcc_lo, exec_lo, s4
	s_cbranch_vccz .LBB189_182
	s_branch .LBB189_185
.LBB189_180:
	s_mov_b32 s4, -1
                                        ; implicit-def: $vgpr27
                                        ; implicit-def: $vgpr0
                                        ; implicit-def: $vgpr28
                                        ; implicit-def: $vgpr29
.LBB189_181:
	s_delay_alu instid0(SALU_CYCLE_1)
	s_and_not1_b32 vcc_lo, exec_lo, s4
	s_cbranch_vccnz .LBB189_185
.LBB189_182:
	s_clause 0x1
	s_load_b96 s[4:6], s[20:21], 0x4
	s_load_b128 s[0:3], s[20:21], 0xc4
	s_cmp_lt_u32 s33, 2
	s_wait_kmcnt 0x0
	v_mul_hi_u32 v0, s5, v30
	s_delay_alu instid0(VALU_DEP_1) | instskip(NEXT) | instid1(VALU_DEP_1)
	v_add_nc_u32_e32 v0, v30, v0
	v_lshrrev_b32_e32 v31, s6, v0
	s_delay_alu instid0(VALU_DEP_1) | instskip(NEXT) | instid1(VALU_DEP_1)
	v_mul_lo_u32 v0, v31, s4
	v_sub_nc_u32_e32 v29, v30, v0
	s_delay_alu instid0(VALU_DEP_1)
	v_mul_lo_u32 v27, v29, s1
	v_mul_lo_u32 v0, v29, s0
	;; [unrolled: 1-line block ×4, first 2 shown]
	s_cbranch_scc1 .LBB189_185
; %bb.183:
	s_clause 0x1
	s_load_b96 s[4:6], s[20:21], 0x10
	s_load_b128 s[0:3], s[20:21], 0xd4
	s_wait_kmcnt 0x0
	v_mul_hi_u32 v30, s5, v31
	s_delay_alu instid0(VALU_DEP_1) | instskip(NEXT) | instid1(VALU_DEP_1)
	v_add_nc_u32_e32 v30, v31, v30
	v_lshrrev_b32_e32 v30, s6, v30
	s_delay_alu instid0(VALU_DEP_1) | instskip(NEXT) | instid1(VALU_DEP_1)
	v_mul_lo_u32 v30, v30, s4
	v_sub_nc_u32_e32 v30, v31, v30
	s_delay_alu instid0(VALU_DEP_1)
	v_mad_u32 v0, v30, s0, v0
	v_mad_u32 v27, v30, s1, v27
	v_mad_u32 v29, v30, s2, v29
	v_mad_u32 v28, v30, s3, v28
	s_branch .LBB189_185
.LBB189_184:
	v_dual_mov_b32 v27, 0 :: v_dual_mov_b32 v0, 0
	v_dual_mov_b32 v28, 0 :: v_dual_mov_b32 v29, 0
	s_and_not1_b32 vcc_lo, exec_lo, s4
	s_cbranch_vccz .LBB189_182
.LBB189_185:
	v_cmp_ne_u32_e32 vcc_lo, 1, v10
	s_cbranch_vccnz .LBB189_191
; %bb.186:
	s_cmp_lg_u32 s33, 0
	s_mov_b32 s4, 0
	s_cbranch_scc0 .LBB189_195
; %bb.187:
	s_min_u32 s5, s34, 15
	v_dual_mov_b32 v32, 0 :: v_dual_mov_b32 v33, v5
	v_dual_mov_b32 v31, 0 :: v_dual_mov_b32 v10, 0
	v_mov_b32_e32 v30, 0
	s_add_co_i32 s2, s5, 1
	s_mov_b64 s[0:1], 0xffffffffffffffe0
	s_and_b32 s6, s2, 30
	s_add_nc_u64 s[0:1], s[20:21], s[0:1]
	s_mov_b64 s[2:3], s[20:21]
.LBB189_188:                            ; =>This Inner Loop Header: Depth=1
	s_clause 0x1
	s_load_b128 s[16:19], s[2:3], 0x4
	s_load_b64 s[22:23], s[2:3], 0x14
	s_load_b256 s[8:15], s[0:1], 0xe4
	s_add_co_i32 s6, s6, -2
	s_wait_xcnt 0x0
	s_add_nc_u64 s[2:3], s[2:3], 24
	s_cmp_lg_u32 s6, 0
	s_add_nc_u64 s[0:1], s[0:1], 32
	s_wait_kmcnt 0x0
	v_mul_hi_u32 v34, s17, v33
	s_delay_alu instid0(VALU_DEP_1) | instskip(NEXT) | instid1(VALU_DEP_1)
	v_add_nc_u32_e32 v34, v33, v34
	v_lshrrev_b32_e32 v34, s18, v34
	s_delay_alu instid0(VALU_DEP_1) | instskip(SKIP_1) | instid1(VALU_DEP_1)
	v_mul_hi_u32 v35, s22, v34
	v_mul_lo_u32 v36, v34, s16
	v_dual_add_nc_u32 v35, v34, v35 :: v_dual_sub_nc_u32 v36, v33, v36
	s_delay_alu instid0(VALU_DEP_1) | instskip(NEXT) | instid1(VALU_DEP_2)
	v_lshrrev_b32_e32 v33, s23, v35
	v_mad_u32 v30, v36, s9, v30
	v_mad_u32 v10, v36, s8, v10
	v_mad_u32 v31, v36, s11, v31
	v_mad_u32 v32, v36, s10, v32
	v_mul_lo_u32 v35, v33, s19
	s_delay_alu instid0(VALU_DEP_1) | instskip(NEXT) | instid1(VALU_DEP_1)
	v_sub_nc_u32_e32 v34, v34, v35
	v_mad_u32 v30, v34, s13, v30
	v_mad_u32 v10, v34, s12, v10
	;; [unrolled: 1-line block ×4, first 2 shown]
	s_cbranch_scc1 .LBB189_188
; %bb.189:
	s_bitcmp1_b32 s5, 0
	s_cselect_b32 s5, -1, 0
	s_delay_alu instid0(SALU_CYCLE_1)
	s_and_b32 vcc_lo, exec_lo, s5
	s_cbranch_vccnz .LBB189_192
; %bb.190:
	s_load_b96 s[12:14], s[2:3], 0x4
	s_load_b128 s[8:11], s[0:1], 0xe4
	s_wait_kmcnt 0x0
	v_mul_hi_u32 v34, s13, v33
	s_delay_alu instid0(VALU_DEP_1) | instskip(NEXT) | instid1(VALU_DEP_1)
	v_add_nc_u32_e32 v34, v33, v34
	v_lshrrev_b32_e32 v34, s14, v34
	s_delay_alu instid0(VALU_DEP_1) | instskip(NEXT) | instid1(VALU_DEP_1)
	v_mul_lo_u32 v34, v34, s12
	v_sub_nc_u32_e32 v33, v33, v34
	s_delay_alu instid0(VALU_DEP_1)
	v_mad_u32 v10, v33, s8, v10
	v_mad_u32 v30, v33, s9, v30
	;; [unrolled: 1-line block ×4, first 2 shown]
	s_and_not1_b32 vcc_lo, exec_lo, s4
	s_cbranch_vccz .LBB189_193
	s_branch .LBB189_196
.LBB189_191:
	s_mov_b32 s4, -1
                                        ; implicit-def: $vgpr30
                                        ; implicit-def: $vgpr10
                                        ; implicit-def: $vgpr31
                                        ; implicit-def: $vgpr32
.LBB189_192:
	s_delay_alu instid0(SALU_CYCLE_1)
	s_and_not1_b32 vcc_lo, exec_lo, s4
	s_cbranch_vccnz .LBB189_196
.LBB189_193:
	s_clause 0x1
	s_load_b96 s[4:6], s[20:21], 0x4
	s_load_b128 s[0:3], s[20:21], 0xc4
	s_cmp_lt_u32 s33, 2
	s_wait_kmcnt 0x0
	v_mul_hi_u32 v10, s5, v5
	s_delay_alu instid0(VALU_DEP_1) | instskip(NEXT) | instid1(VALU_DEP_1)
	v_add_nc_u32_e32 v10, v5, v10
	v_lshrrev_b32_e32 v33, s6, v10
	s_delay_alu instid0(VALU_DEP_1) | instskip(NEXT) | instid1(VALU_DEP_1)
	v_mul_lo_u32 v10, v33, s4
	v_sub_nc_u32_e32 v5, v5, v10
	s_delay_alu instid0(VALU_DEP_1)
	v_mul_lo_u32 v30, v5, s1
	v_mul_lo_u32 v10, v5, s0
	;; [unrolled: 1-line block ×4, first 2 shown]
	s_cbranch_scc1 .LBB189_196
; %bb.194:
	s_clause 0x1
	s_load_b96 s[4:6], s[20:21], 0x10
	s_load_b128 s[0:3], s[20:21], 0xd4
	s_wait_kmcnt 0x0
	v_mul_hi_u32 v5, s5, v33
	s_delay_alu instid0(VALU_DEP_1) | instskip(NEXT) | instid1(VALU_DEP_1)
	v_add_nc_u32_e32 v5, v33, v5
	v_lshrrev_b32_e32 v5, s6, v5
	s_delay_alu instid0(VALU_DEP_1) | instskip(NEXT) | instid1(VALU_DEP_1)
	v_mul_lo_u32 v5, v5, s4
	v_sub_nc_u32_e32 v5, v33, v5
	s_delay_alu instid0(VALU_DEP_1)
	v_mad_u32 v10, v5, s0, v10
	v_mad_u32 v30, v5, s1, v30
	;; [unrolled: 1-line block ×4, first 2 shown]
	s_branch .LBB189_196
.LBB189_195:
	v_dual_mov_b32 v30, 0 :: v_dual_mov_b32 v10, 0
	v_dual_mov_b32 v31, 0 :: v_dual_mov_b32 v32, 0
	s_and_not1_b32 vcc_lo, exec_lo, s4
	s_cbranch_vccz .LBB189_193
.LBB189_196:
	s_load_b256 s[0:7], s[20:21], 0x1c8
	s_wait_kmcnt 0x0
	s_clause 0x7
	global_load_u16 v5, v3, s[4:5]
	global_load_u16 v33, v8, s[4:5]
	;; [unrolled: 1-line block ×8, first 2 shown]
	s_clause 0x7
	global_load_u16 v40, v4, s[6:7]
	global_load_u16 v41, v9, s[6:7]
	;; [unrolled: 1-line block ×7, first 2 shown]
	; meta instruction
	; meta instruction
	;; [unrolled: 1-line block ×16, first 2 shown]
	global_load_u16 v3, v31, s[6:7]
	s_clause 0x7
	global_load_u16 v4, v2, s[2:3]
	global_load_u16 v8, v7, s[2:3]
	;; [unrolled: 1-line block ×8, first 2 shown]
	s_wait_xcnt 0x0
	s_load_b32 s2, s[20:21], 0x1e8
	s_wait_kmcnt 0x0
	s_lshr_b32 s3, s2, 16
	s_wait_loadcnt 0x17
	v_mul_f16_e32 v2, s3, v5
	s_wait_loadcnt 0x16
	v_mul_f16_e32 v5, s3, v33
	s_wait_loadcnt 0x15
	v_mul_f16_e32 v7, s3, v34
	s_wait_loadcnt 0x14
	v_mul_f16_e32 v12, s3, v35
	s_wait_loadcnt 0x13
	v_mul_f16_e32 v16, s3, v36
	s_wait_loadcnt 0x12
	v_mul_f16_e32 v20, s3, v37
	s_wait_loadcnt 0x11
	v_mul_f16_e32 v22, s3, v38
	s_wait_loadcnt 0x10
	v_mul_f16_e32 v24, s3, v39
	s_wait_loadcnt 0xf
	v_mul_f16_e32 v2, v2, v40
	s_wait_loadcnt 0xe
	v_mul_f16_e32 v5, v5, v41
	s_wait_loadcnt 0xd
	v_mul_f16_e32 v7, v7, v42
	s_wait_loadcnt 0xc
	v_mul_f16_e32 v12, v12, v43
	s_wait_loadcnt 0xb
	v_mul_f16_e32 v16, v16, v44
	s_wait_loadcnt 0xa
	v_mul_f16_e32 v20, v20, v45
	s_wait_loadcnt 0x9
	v_mul_f16_e32 v22, v22, v46
	s_wait_loadcnt 0x8
	v_mul_f16_e32 v3, v24, v3
	s_wait_loadcnt 0x7
	v_fmac_f16_e32 v2, s2, v4
	s_wait_loadcnt 0x6
	v_fmac_f16_e32 v5, s2, v8
	;; [unrolled: 2-line block ×8, first 2 shown]
	s_clause 0x7
	global_store_b16 v1, v2, s[0:1]
	global_store_b16 v6, v5, s[0:1]
	;; [unrolled: 1-line block ×8, first 2 shown]
	s_endpgm
	.section	.rodata,"a",@progbits
	.p2align	6, 0x0
	.amdhsa_kernel _ZN2at6native32elementwise_kernel_manual_unrollILi128ELi8EZNS0_22gpu_kernel_impl_nocastIZZZNS0_12_GLOBAL__N_116addr_kernel_cudaERNS_14TensorIteratorERKN3c106ScalarES9_ENKUlvE_clEvENKUlvE9_clEvEUlNS6_4HalfESC_SC_E0_EEvRNS_18TensorIteratorBaseERKT_EUlibE_EEviT1_
		.amdhsa_group_segment_fixed_size 0
		.amdhsa_private_segment_fixed_size 0
		.amdhsa_kernarg_size 504
		.amdhsa_user_sgpr_count 2
		.amdhsa_user_sgpr_dispatch_ptr 0
		.amdhsa_user_sgpr_queue_ptr 0
		.amdhsa_user_sgpr_kernarg_segment_ptr 1
		.amdhsa_user_sgpr_dispatch_id 0
		.amdhsa_user_sgpr_kernarg_preload_length 0
		.amdhsa_user_sgpr_kernarg_preload_offset 0
		.amdhsa_user_sgpr_private_segment_size 0
		.amdhsa_wavefront_size32 1
		.amdhsa_uses_dynamic_stack 0
		.amdhsa_enable_private_segment 0
		.amdhsa_system_sgpr_workgroup_id_x 1
		.amdhsa_system_sgpr_workgroup_id_y 0
		.amdhsa_system_sgpr_workgroup_id_z 0
		.amdhsa_system_sgpr_workgroup_info 0
		.amdhsa_system_vgpr_workitem_id 0
		.amdhsa_next_free_vgpr 47
		.amdhsa_next_free_sgpr 58
		.amdhsa_named_barrier_count 0
		.amdhsa_reserve_vcc 1
		.amdhsa_float_round_mode_32 0
		.amdhsa_float_round_mode_16_64 0
		.amdhsa_float_denorm_mode_32 3
		.amdhsa_float_denorm_mode_16_64 3
		.amdhsa_fp16_overflow 0
		.amdhsa_memory_ordered 1
		.amdhsa_forward_progress 1
		.amdhsa_inst_pref_size 90
		.amdhsa_round_robin_scheduling 0
		.amdhsa_exception_fp_ieee_invalid_op 0
		.amdhsa_exception_fp_denorm_src 0
		.amdhsa_exception_fp_ieee_div_zero 0
		.amdhsa_exception_fp_ieee_overflow 0
		.amdhsa_exception_fp_ieee_underflow 0
		.amdhsa_exception_fp_ieee_inexact 0
		.amdhsa_exception_int_div_zero 0
	.end_amdhsa_kernel
	.section	.text._ZN2at6native32elementwise_kernel_manual_unrollILi128ELi8EZNS0_22gpu_kernel_impl_nocastIZZZNS0_12_GLOBAL__N_116addr_kernel_cudaERNS_14TensorIteratorERKN3c106ScalarES9_ENKUlvE_clEvENKUlvE9_clEvEUlNS6_4HalfESC_SC_E0_EEvRNS_18TensorIteratorBaseERKT_EUlibE_EEviT1_,"axG",@progbits,_ZN2at6native32elementwise_kernel_manual_unrollILi128ELi8EZNS0_22gpu_kernel_impl_nocastIZZZNS0_12_GLOBAL__N_116addr_kernel_cudaERNS_14TensorIteratorERKN3c106ScalarES9_ENKUlvE_clEvENKUlvE9_clEvEUlNS6_4HalfESC_SC_E0_EEvRNS_18TensorIteratorBaseERKT_EUlibE_EEviT1_,comdat
.Lfunc_end189:
	.size	_ZN2at6native32elementwise_kernel_manual_unrollILi128ELi8EZNS0_22gpu_kernel_impl_nocastIZZZNS0_12_GLOBAL__N_116addr_kernel_cudaERNS_14TensorIteratorERKN3c106ScalarES9_ENKUlvE_clEvENKUlvE9_clEvEUlNS6_4HalfESC_SC_E0_EEvRNS_18TensorIteratorBaseERKT_EUlibE_EEviT1_, .Lfunc_end189-_ZN2at6native32elementwise_kernel_manual_unrollILi128ELi8EZNS0_22gpu_kernel_impl_nocastIZZZNS0_12_GLOBAL__N_116addr_kernel_cudaERNS_14TensorIteratorERKN3c106ScalarES9_ENKUlvE_clEvENKUlvE9_clEvEUlNS6_4HalfESC_SC_E0_EEvRNS_18TensorIteratorBaseERKT_EUlibE_EEviT1_
                                        ; -- End function
	.set _ZN2at6native32elementwise_kernel_manual_unrollILi128ELi8EZNS0_22gpu_kernel_impl_nocastIZZZNS0_12_GLOBAL__N_116addr_kernel_cudaERNS_14TensorIteratorERKN3c106ScalarES9_ENKUlvE_clEvENKUlvE9_clEvEUlNS6_4HalfESC_SC_E0_EEvRNS_18TensorIteratorBaseERKT_EUlibE_EEviT1_.num_vgpr, 47
	.set _ZN2at6native32elementwise_kernel_manual_unrollILi128ELi8EZNS0_22gpu_kernel_impl_nocastIZZZNS0_12_GLOBAL__N_116addr_kernel_cudaERNS_14TensorIteratorERKN3c106ScalarES9_ENKUlvE_clEvENKUlvE9_clEvEUlNS6_4HalfESC_SC_E0_EEvRNS_18TensorIteratorBaseERKT_EUlibE_EEviT1_.num_agpr, 0
	.set _ZN2at6native32elementwise_kernel_manual_unrollILi128ELi8EZNS0_22gpu_kernel_impl_nocastIZZZNS0_12_GLOBAL__N_116addr_kernel_cudaERNS_14TensorIteratorERKN3c106ScalarES9_ENKUlvE_clEvENKUlvE9_clEvEUlNS6_4HalfESC_SC_E0_EEvRNS_18TensorIteratorBaseERKT_EUlibE_EEviT1_.numbered_sgpr, 58
	.set _ZN2at6native32elementwise_kernel_manual_unrollILi128ELi8EZNS0_22gpu_kernel_impl_nocastIZZZNS0_12_GLOBAL__N_116addr_kernel_cudaERNS_14TensorIteratorERKN3c106ScalarES9_ENKUlvE_clEvENKUlvE9_clEvEUlNS6_4HalfESC_SC_E0_EEvRNS_18TensorIteratorBaseERKT_EUlibE_EEviT1_.num_named_barrier, 0
	.set _ZN2at6native32elementwise_kernel_manual_unrollILi128ELi8EZNS0_22gpu_kernel_impl_nocastIZZZNS0_12_GLOBAL__N_116addr_kernel_cudaERNS_14TensorIteratorERKN3c106ScalarES9_ENKUlvE_clEvENKUlvE9_clEvEUlNS6_4HalfESC_SC_E0_EEvRNS_18TensorIteratorBaseERKT_EUlibE_EEviT1_.private_seg_size, 0
	.set _ZN2at6native32elementwise_kernel_manual_unrollILi128ELi8EZNS0_22gpu_kernel_impl_nocastIZZZNS0_12_GLOBAL__N_116addr_kernel_cudaERNS_14TensorIteratorERKN3c106ScalarES9_ENKUlvE_clEvENKUlvE9_clEvEUlNS6_4HalfESC_SC_E0_EEvRNS_18TensorIteratorBaseERKT_EUlibE_EEviT1_.uses_vcc, 1
	.set _ZN2at6native32elementwise_kernel_manual_unrollILi128ELi8EZNS0_22gpu_kernel_impl_nocastIZZZNS0_12_GLOBAL__N_116addr_kernel_cudaERNS_14TensorIteratorERKN3c106ScalarES9_ENKUlvE_clEvENKUlvE9_clEvEUlNS6_4HalfESC_SC_E0_EEvRNS_18TensorIteratorBaseERKT_EUlibE_EEviT1_.uses_flat_scratch, 0
	.set _ZN2at6native32elementwise_kernel_manual_unrollILi128ELi8EZNS0_22gpu_kernel_impl_nocastIZZZNS0_12_GLOBAL__N_116addr_kernel_cudaERNS_14TensorIteratorERKN3c106ScalarES9_ENKUlvE_clEvENKUlvE9_clEvEUlNS6_4HalfESC_SC_E0_EEvRNS_18TensorIteratorBaseERKT_EUlibE_EEviT1_.has_dyn_sized_stack, 0
	.set _ZN2at6native32elementwise_kernel_manual_unrollILi128ELi8EZNS0_22gpu_kernel_impl_nocastIZZZNS0_12_GLOBAL__N_116addr_kernel_cudaERNS_14TensorIteratorERKN3c106ScalarES9_ENKUlvE_clEvENKUlvE9_clEvEUlNS6_4HalfESC_SC_E0_EEvRNS_18TensorIteratorBaseERKT_EUlibE_EEviT1_.has_recursion, 0
	.set _ZN2at6native32elementwise_kernel_manual_unrollILi128ELi8EZNS0_22gpu_kernel_impl_nocastIZZZNS0_12_GLOBAL__N_116addr_kernel_cudaERNS_14TensorIteratorERKN3c106ScalarES9_ENKUlvE_clEvENKUlvE9_clEvEUlNS6_4HalfESC_SC_E0_EEvRNS_18TensorIteratorBaseERKT_EUlibE_EEviT1_.has_indirect_call, 0
	.section	.AMDGPU.csdata,"",@progbits
; Kernel info:
; codeLenInByte = 11476
; TotalNumSgprs: 60
; NumVgprs: 47
; ScratchSize: 0
; MemoryBound: 0
; FloatMode: 240
; IeeeMode: 1
; LDSByteSize: 0 bytes/workgroup (compile time only)
; SGPRBlocks: 0
; VGPRBlocks: 2
; NumSGPRsForWavesPerEU: 60
; NumVGPRsForWavesPerEU: 47
; NamedBarCnt: 0
; Occupancy: 16
; WaveLimiterHint : 1
; COMPUTE_PGM_RSRC2:SCRATCH_EN: 0
; COMPUTE_PGM_RSRC2:USER_SGPR: 2
; COMPUTE_PGM_RSRC2:TRAP_HANDLER: 0
; COMPUTE_PGM_RSRC2:TGID_X_EN: 1
; COMPUTE_PGM_RSRC2:TGID_Y_EN: 0
; COMPUTE_PGM_RSRC2:TGID_Z_EN: 0
; COMPUTE_PGM_RSRC2:TIDIG_COMP_CNT: 0
	.section	.text._ZN2at6native32elementwise_kernel_manual_unrollILi128ELi4EZNS0_15gpu_kernel_implIZZZNS0_12_GLOBAL__N_116addr_kernel_cudaERNS_14TensorIteratorERKN3c106ScalarES9_ENKUlvE_clEvENKUlvE9_clEvEUlNS6_4HalfESC_SC_E0_EEvRNS_18TensorIteratorBaseERKT_EUlibE_EEviT1_,"axG",@progbits,_ZN2at6native32elementwise_kernel_manual_unrollILi128ELi4EZNS0_15gpu_kernel_implIZZZNS0_12_GLOBAL__N_116addr_kernel_cudaERNS_14TensorIteratorERKN3c106ScalarES9_ENKUlvE_clEvENKUlvE9_clEvEUlNS6_4HalfESC_SC_E0_EEvRNS_18TensorIteratorBaseERKT_EUlibE_EEviT1_,comdat
	.globl	_ZN2at6native32elementwise_kernel_manual_unrollILi128ELi4EZNS0_15gpu_kernel_implIZZZNS0_12_GLOBAL__N_116addr_kernel_cudaERNS_14TensorIteratorERKN3c106ScalarES9_ENKUlvE_clEvENKUlvE9_clEvEUlNS6_4HalfESC_SC_E0_EEvRNS_18TensorIteratorBaseERKT_EUlibE_EEviT1_ ; -- Begin function _ZN2at6native32elementwise_kernel_manual_unrollILi128ELi4EZNS0_15gpu_kernel_implIZZZNS0_12_GLOBAL__N_116addr_kernel_cudaERNS_14TensorIteratorERKN3c106ScalarES9_ENKUlvE_clEvENKUlvE9_clEvEUlNS6_4HalfESC_SC_E0_EEvRNS_18TensorIteratorBaseERKT_EUlibE_EEviT1_
	.p2align	8
	.type	_ZN2at6native32elementwise_kernel_manual_unrollILi128ELi4EZNS0_15gpu_kernel_implIZZZNS0_12_GLOBAL__N_116addr_kernel_cudaERNS_14TensorIteratorERKN3c106ScalarES9_ENKUlvE_clEvENKUlvE9_clEvEUlNS6_4HalfESC_SC_E0_EEvRNS_18TensorIteratorBaseERKT_EUlibE_EEviT1_,@function
_ZN2at6native32elementwise_kernel_manual_unrollILi128ELi4EZNS0_15gpu_kernel_implIZZZNS0_12_GLOBAL__N_116addr_kernel_cudaERNS_14TensorIteratorERKN3c106ScalarES9_ENKUlvE_clEvENKUlvE9_clEvEUlNS6_4HalfESC_SC_E0_EEvRNS_18TensorIteratorBaseERKT_EUlibE_EEviT1_: ; @_ZN2at6native32elementwise_kernel_manual_unrollILi128ELi4EZNS0_15gpu_kernel_implIZZZNS0_12_GLOBAL__N_116addr_kernel_cudaERNS_14TensorIteratorERKN3c106ScalarES9_ENKUlvE_clEvENKUlvE9_clEvEUlNS6_4HalfESC_SC_E0_EEvRNS_18TensorIteratorBaseERKT_EUlibE_EEviT1_
; %bb.0:
	s_clause 0x1
	s_load_b64 s[2:3], s[0:1], 0x38
	s_load_b128 s[12:15], s[0:1], 0x28
	s_bfe_u32 s4, ttmp6, 0x4000c
	s_load_b32 s22, s[0:1], 0x0
	s_add_co_i32 s16, s4, 1
	s_load_b256 s[4:11], s[0:1], 0x8
	s_and_b32 s18, ttmp6, 15
	s_wait_xcnt 0x0
	s_mul_i32 s0, ttmp9, s16
	s_getreg_b32 s20, hwreg(HW_REG_IB_STS2, 6, 4)
	s_add_co_i32 s18, s18, s0
	s_mov_b32 s21, 0
	s_wait_kmcnt 0x0
	s_lshr_b32 s1, s2, 16
	s_lshr_b32 s17, s3, 16
	;; [unrolled: 1-line block ×4, first 2 shown]
	s_cmp_eq_u32 s20, 0
	s_cselect_b32 s0, ttmp9, s18
	s_mov_b32 s18, 0
	v_lshl_or_b32 v8, s0, 9, v0
	s_mov_b32 s0, exec_lo
	s_delay_alu instid0(VALU_DEP_1) | instskip(NEXT) | instid1(VALU_DEP_1)
	v_or_b32_e32 v0, 0x180, v8
	v_cmpx_le_i32_e64 s22, v0
	s_xor_b32 s20, exec_lo, s0
	s_cbranch_execz .LBB190_2063
; %bb.1:
	s_mov_b32 s30, -1
	s_mov_b32 s27, 0
	s_mov_b32 s25, 0
	;; [unrolled: 1-line block ×4, first 2 shown]
	s_mov_b32 s26, exec_lo
	v_cmpx_gt_i32_e64 s22, v8
	s_cbranch_execz .LBB190_512
; %bb.2:
	v_mul_lo_u32 v0, v8, s13
	s_and_b32 s0, s19, 0xff
	s_delay_alu instid0(SALU_CYCLE_1) | instskip(NEXT) | instid1(VALU_DEP_1)
	s_cmp_lt_i32 s0, 11
	v_ashrrev_i32_e32 v1, 31, v0
	s_delay_alu instid0(VALU_DEP_1)
	v_add_nc_u64_e32 v[0:1], s[6:7], v[0:1]
	s_cbranch_scc1 .LBB190_9
; %bb.3:
	s_and_b32 s21, 0xffff, s0
	s_delay_alu instid0(SALU_CYCLE_1)
	s_cmp_gt_i32 s21, 25
	s_cbranch_scc0 .LBB190_18
; %bb.4:
	s_cmp_gt_i32 s21, 28
	s_cbranch_scc0 .LBB190_28
; %bb.5:
	;; [unrolled: 3-line block ×4, first 2 shown]
	s_cmp_eq_u32 s21, 46
	s_cbranch_scc0 .LBB190_37
; %bb.8:
	global_load_b32 v2, v[0:1], off
	s_mov_b32 s23, -1
	s_wait_loadcnt 0x0
	v_lshlrev_b32_e32 v2, 16, v2
	s_delay_alu instid0(VALU_DEP_1)
	v_cvt_f16_f32_e32 v2, v2
	s_branch .LBB190_39
.LBB190_9:
                                        ; implicit-def: $vgpr2
	s_cbranch_execnz .LBB190_105
.LBB190_10:
	s_and_not1_b32 vcc_lo, exec_lo, s23
	s_cbranch_vccnz .LBB190_152
.LBB190_11:
	s_wait_xcnt 0x0
	v_mul_lo_u32 v0, v8, s14
	s_and_b32 s0, s17, 0xff
	s_delay_alu instid0(SALU_CYCLE_1) | instskip(NEXT) | instid1(VALU_DEP_1)
	s_cmp_lt_i32 s0, 11
	v_ashrrev_i32_e32 v1, 31, v0
	s_delay_alu instid0(VALU_DEP_1)
	v_add_nc_u64_e32 v[0:1], s[8:9], v[0:1]
	s_cbranch_scc1 .LBB190_19
; %bb.12:
	s_and_b32 s21, 0xffff, s0
	s_delay_alu instid0(SALU_CYCLE_1)
	s_cmp_gt_i32 s21, 25
	s_cbranch_scc0 .LBB190_29
; %bb.13:
	s_cmp_gt_i32 s21, 28
	s_cbranch_scc0 .LBB190_32
; %bb.14:
	;; [unrolled: 3-line block ×4, first 2 shown]
	s_cmp_eq_u32 s21, 46
	s_mov_b32 s28, 0
	s_cbranch_scc0 .LBB190_153
; %bb.17:
	global_load_b32 v3, v[0:1], off
	s_mov_b32 s23, -1
	s_mov_b32 s24, 0
	s_wait_loadcnt 0x0
	v_lshlrev_b32_e32 v3, 16, v3
	s_delay_alu instid0(VALU_DEP_1)
	v_cvt_f16_f32_e32 v3, v3
	s_branch .LBB190_155
.LBB190_18:
                                        ; implicit-def: $vgpr2
	s_cbranch_execnz .LBB190_70
	s_branch .LBB190_104
.LBB190_19:
	s_mov_b32 s24, 0
	s_mov_b32 s23, 0
                                        ; implicit-def: $vgpr3
	s_cbranch_execnz .LBB190_221
.LBB190_20:
	s_and_not1_b32 vcc_lo, exec_lo, s23
	s_cbranch_vccnz .LBB190_269
.LBB190_21:
	s_wait_xcnt 0x0
	v_mul_lo_u32 v0, v8, s15
	s_and_b32 s0, 0xffff, s16
	s_delay_alu instid0(SALU_CYCLE_1) | instskip(NEXT) | instid1(VALU_DEP_1)
	s_cmp_lt_i32 s0, 11
	v_ashrrev_i32_e32 v1, 31, v0
	s_delay_alu instid0(VALU_DEP_1)
	v_add_nc_u64_e32 v[0:1], s[10:11], v[0:1]
	s_cbranch_scc1 .LBB190_30
; %bb.22:
	s_cmp_gt_i32 s0, 25
	s_cbranch_scc0 .LBB190_33
; %bb.23:
	s_cmp_gt_i32 s0, 28
	s_cbranch_scc0 .LBB190_36
	;; [unrolled: 3-line block ×4, first 2 shown]
; %bb.26:
	s_cmp_eq_u32 s0, 46
	s_mov_b32 s28, 0
	s_cbranch_scc0 .LBB190_270
; %bb.27:
	global_load_b32 v4, v[0:1], off
	s_mov_b32 s21, -1
	s_mov_b32 s23, 0
	s_wait_loadcnt 0x0
	v_lshlrev_b32_e32 v4, 16, v4
	s_delay_alu instid0(VALU_DEP_1)
	v_cvt_f16_f32_e32 v4, v4
	s_branch .LBB190_272
.LBB190_28:
	s_mov_b32 s24, -1
                                        ; implicit-def: $vgpr2
	s_branch .LBB190_51
.LBB190_29:
	s_mov_b32 s28, -1
	s_mov_b32 s24, 0
	s_mov_b32 s23, 0
                                        ; implicit-def: $vgpr3
	s_branch .LBB190_185
.LBB190_30:
	s_mov_b32 s28, -1
	s_mov_b32 s23, 0
	s_mov_b32 s21, 0
                                        ; implicit-def: $vgpr4
	s_branch .LBB190_337
.LBB190_31:
	s_mov_b32 s24, -1
                                        ; implicit-def: $vgpr2
	s_branch .LBB190_46
.LBB190_32:
	s_mov_b32 s28, -1
	s_mov_b32 s24, 0
	s_mov_b32 s23, 0
                                        ; implicit-def: $vgpr3
	s_branch .LBB190_166
.LBB190_33:
	s_mov_b32 s28, -1
	s_mov_b32 s23, 0
	s_mov_b32 s21, 0
                                        ; implicit-def: $vgpr4
	s_branch .LBB190_301
.LBB190_34:
	s_mov_b32 s24, -1
	s_branch .LBB190_38
.LBB190_35:
	s_mov_b32 s28, -1
	s_mov_b32 s24, 0
	s_mov_b32 s23, 0
                                        ; implicit-def: $vgpr3
	s_branch .LBB190_161
.LBB190_36:
	s_mov_b32 s28, -1
	s_mov_b32 s23, 0
	s_mov_b32 s21, 0
                                        ; implicit-def: $vgpr4
	s_branch .LBB190_282
.LBB190_37:
	s_mov_b32 s25, -1
.LBB190_38:
                                        ; implicit-def: $vgpr2
.LBB190_39:
	s_and_b32 vcc_lo, exec_lo, s24
	s_cbranch_vccz .LBB190_45
; %bb.40:
	s_cmp_eq_u32 s21, 44
	s_cbranch_scc0 .LBB190_44
; %bb.41:
	global_load_u8 v2, v[0:1], off
	s_mov_b32 s25, 0
	s_mov_b32 s23, -1
	s_wait_loadcnt 0x0
	v_lshlrev_b32_e32 v3, 23, v2
	v_cmp_ne_u32_e32 vcc_lo, 0xff, v2
	s_delay_alu instid0(VALU_DEP_2) | instskip(NEXT) | instid1(VALU_DEP_1)
	v_cvt_f16_f32_e32 v3, v3
	v_cndmask_b32_e32 v3, 0x7e00, v3, vcc_lo
	v_cmp_ne_u32_e32 vcc_lo, 0, v2
	s_delay_alu instid0(VALU_DEP_2)
	v_cndmask_b32_e32 v2, 0, v3, vcc_lo
	s_branch .LBB190_45
.LBB190_42:
	s_mov_b32 s28, -1
	s_mov_b32 s24, 0
	s_branch .LBB190_154
.LBB190_43:
	s_mov_b32 s28, -1
	s_mov_b32 s23, 0
	s_mov_b32 s21, 0
                                        ; implicit-def: $vgpr4
	s_branch .LBB190_277
.LBB190_44:
	s_mov_b32 s25, -1
                                        ; implicit-def: $vgpr2
.LBB190_45:
	s_mov_b32 s24, 0
.LBB190_46:
	s_delay_alu instid0(SALU_CYCLE_1)
	s_and_b32 vcc_lo, exec_lo, s24
	s_cbranch_vccz .LBB190_50
; %bb.47:
	s_cmp_eq_u32 s21, 29
	s_cbranch_scc0 .LBB190_49
; %bb.48:
	global_load_b64 v[2:3], v[0:1], off
	s_mov_b32 s23, -1
	s_mov_b32 s25, 0
	s_mov_b32 s24, 0
	s_wait_loadcnt 0x0
	v_clz_i32_u32_e32 v4, v3
	s_delay_alu instid0(VALU_DEP_1) | instskip(NEXT) | instid1(VALU_DEP_1)
	v_min_u32_e32 v4, 32, v4
	v_lshlrev_b64_e32 v[2:3], v4, v[2:3]
	s_delay_alu instid0(VALU_DEP_1) | instskip(NEXT) | instid1(VALU_DEP_1)
	v_min_u32_e32 v2, 1, v2
	v_dual_sub_nc_u32 v3, 32, v4 :: v_dual_bitop2_b32 v2, v3, v2 bitop3:0x54
	s_delay_alu instid0(VALU_DEP_1) | instskip(NEXT) | instid1(VALU_DEP_1)
	v_cvt_f32_u32_e32 v2, v2
	v_ldexp_f32 v2, v2, v3
	s_delay_alu instid0(VALU_DEP_1)
	v_cvt_f16_f32_e32 v2, v2
	s_branch .LBB190_51
.LBB190_49:
	s_mov_b32 s25, -1
                                        ; implicit-def: $vgpr2
.LBB190_50:
	s_mov_b32 s24, 0
.LBB190_51:
	s_delay_alu instid0(SALU_CYCLE_1)
	s_and_b32 vcc_lo, exec_lo, s24
	s_cbranch_vccz .LBB190_69
; %bb.52:
	s_cmp_lt_i32 s21, 27
	s_cbranch_scc1 .LBB190_55
; %bb.53:
	s_cmp_gt_i32 s21, 27
	s_cbranch_scc0 .LBB190_56
; %bb.54:
	global_load_b32 v2, v[0:1], off
	s_mov_b32 s23, 0
	s_wait_loadcnt 0x0
	v_cvt_f32_u32_e32 v2, v2
	s_delay_alu instid0(VALU_DEP_1)
	v_cvt_f16_f32_e32 v2, v2
	s_branch .LBB190_57
.LBB190_55:
	s_mov_b32 s23, -1
                                        ; implicit-def: $vgpr2
	s_branch .LBB190_60
.LBB190_56:
	s_mov_b32 s23, -1
                                        ; implicit-def: $vgpr2
.LBB190_57:
	s_delay_alu instid0(SALU_CYCLE_1)
	s_and_not1_b32 vcc_lo, exec_lo, s23
	s_cbranch_vccnz .LBB190_59
; %bb.58:
	global_load_u16 v2, v[0:1], off
	s_wait_loadcnt 0x0
	v_cvt_f16_u16_e32 v2, v2
.LBB190_59:
	s_mov_b32 s23, 0
.LBB190_60:
	s_delay_alu instid0(SALU_CYCLE_1)
	s_and_not1_b32 vcc_lo, exec_lo, s23
	s_cbranch_vccnz .LBB190_68
; %bb.61:
	global_load_u8 v3, v[0:1], off
	s_mov_b32 s23, 0
	s_mov_b32 s24, exec_lo
	s_wait_loadcnt 0x0
	v_cmpx_lt_i16_e32 0x7f, v3
	s_xor_b32 s24, exec_lo, s24
	s_cbranch_execz .LBB190_81
; %bb.62:
	s_mov_b32 s23, -1
	s_mov_b32 s28, exec_lo
	v_cmpx_eq_u16_e32 0x80, v3
; %bb.63:
	s_xor_b32 s23, exec_lo, -1
; %bb.64:
	s_or_b32 exec_lo, exec_lo, s28
	s_delay_alu instid0(SALU_CYCLE_1)
	s_and_b32 s23, s23, exec_lo
	s_or_saveexec_b32 s24, s24
	v_mov_b32_e32 v2, 0x7e00
	s_xor_b32 exec_lo, exec_lo, s24
	s_cbranch_execnz .LBB190_82
.LBB190_65:
	s_or_b32 exec_lo, exec_lo, s24
	s_and_saveexec_b32 s24, s23
	s_cbranch_execz .LBB190_67
.LBB190_66:
	v_and_b32_e32 v2, 0xffff, v3
	s_delay_alu instid0(VALU_DEP_1) | instskip(SKIP_1) | instid1(VALU_DEP_2)
	v_and_b32_e32 v4, 7, v2
	v_bfe_u32 v7, v2, 3, 4
	v_clz_i32_u32_e32 v5, v4
	s_delay_alu instid0(VALU_DEP_2) | instskip(NEXT) | instid1(VALU_DEP_2)
	v_cmp_eq_u32_e32 vcc_lo, 0, v7
	v_min_u32_e32 v5, 32, v5
	s_delay_alu instid0(VALU_DEP_1) | instskip(NEXT) | instid1(VALU_DEP_1)
	v_subrev_nc_u32_e32 v6, 28, v5
	v_dual_lshlrev_b32 v2, v6, v2 :: v_dual_sub_nc_u32 v5, 29, v5
	s_delay_alu instid0(VALU_DEP_1) | instskip(NEXT) | instid1(VALU_DEP_1)
	v_dual_lshlrev_b32 v3, 24, v3 :: v_dual_bitop2_b32 v2, 7, v2 bitop3:0x40
	v_dual_cndmask_b32 v5, v7, v5 :: v_dual_cndmask_b32 v2, v4, v2
	s_delay_alu instid0(VALU_DEP_2) | instskip(NEXT) | instid1(VALU_DEP_2)
	v_and_b32_e32 v3, 0x80000000, v3
	v_lshl_add_u32 v4, v5, 23, 0x3b800000
	s_delay_alu instid0(VALU_DEP_3) | instskip(NEXT) | instid1(VALU_DEP_1)
	v_lshlrev_b32_e32 v2, 20, v2
	v_or3_b32 v2, v3, v4, v2
	s_delay_alu instid0(VALU_DEP_1)
	v_cvt_f16_f32_e32 v2, v2
.LBB190_67:
	s_or_b32 exec_lo, exec_lo, s24
.LBB190_68:
	s_mov_b32 s23, -1
.LBB190_69:
	s_branch .LBB190_104
.LBB190_70:
	s_cmp_gt_i32 s21, 22
	s_cbranch_scc0 .LBB190_80
; %bb.71:
	s_cmp_lt_i32 s21, 24
	s_cbranch_scc1 .LBB190_83
; %bb.72:
	s_cmp_gt_i32 s21, 24
	s_cbranch_scc0 .LBB190_84
; %bb.73:
	global_load_u8 v3, v[0:1], off
	s_mov_b32 s23, 0
	s_mov_b32 s24, exec_lo
	s_wait_loadcnt 0x0
	v_cmpx_lt_i16_e32 0x7f, v3
	s_xor_b32 s24, exec_lo, s24
	s_cbranch_execz .LBB190_96
; %bb.74:
	s_mov_b32 s23, -1
	s_mov_b32 s28, exec_lo
	v_cmpx_eq_u16_e32 0x80, v3
; %bb.75:
	s_xor_b32 s23, exec_lo, -1
; %bb.76:
	s_or_b32 exec_lo, exec_lo, s28
	s_delay_alu instid0(SALU_CYCLE_1)
	s_and_b32 s23, s23, exec_lo
	s_or_saveexec_b32 s24, s24
	v_mov_b32_e32 v2, 0x7e00
	s_xor_b32 exec_lo, exec_lo, s24
	s_cbranch_execnz .LBB190_97
.LBB190_77:
	s_or_b32 exec_lo, exec_lo, s24
	s_and_saveexec_b32 s24, s23
	s_cbranch_execz .LBB190_79
.LBB190_78:
	v_and_b32_e32 v2, 0xffff, v3
	s_delay_alu instid0(VALU_DEP_1) | instskip(SKIP_1) | instid1(VALU_DEP_2)
	v_and_b32_e32 v4, 3, v2
	v_bfe_u32 v7, v2, 2, 5
	v_clz_i32_u32_e32 v5, v4
	s_delay_alu instid0(VALU_DEP_2) | instskip(NEXT) | instid1(VALU_DEP_2)
	v_cmp_eq_u32_e32 vcc_lo, 0, v7
	v_min_u32_e32 v5, 32, v5
	s_delay_alu instid0(VALU_DEP_1) | instskip(NEXT) | instid1(VALU_DEP_1)
	v_subrev_nc_u32_e32 v6, 29, v5
	v_dual_lshlrev_b32 v2, v6, v2 :: v_dual_sub_nc_u32 v5, 30, v5
	s_delay_alu instid0(VALU_DEP_1) | instskip(NEXT) | instid1(VALU_DEP_1)
	v_dual_lshlrev_b32 v3, 24, v3 :: v_dual_bitop2_b32 v2, 3, v2 bitop3:0x40
	v_dual_cndmask_b32 v5, v7, v5 :: v_dual_cndmask_b32 v2, v4, v2
	s_delay_alu instid0(VALU_DEP_2) | instskip(NEXT) | instid1(VALU_DEP_2)
	v_and_b32_e32 v3, 0x80000000, v3
	v_lshl_add_u32 v4, v5, 23, 0x37800000
	s_delay_alu instid0(VALU_DEP_3) | instskip(NEXT) | instid1(VALU_DEP_1)
	v_lshlrev_b32_e32 v2, 21, v2
	v_or3_b32 v2, v3, v4, v2
	s_delay_alu instid0(VALU_DEP_1)
	v_cvt_f16_f32_e32 v2, v2
.LBB190_79:
	s_or_b32 exec_lo, exec_lo, s24
	s_mov_b32 s23, 0
	s_branch .LBB190_85
.LBB190_80:
	s_mov_b32 s24, -1
                                        ; implicit-def: $vgpr2
	s_branch .LBB190_91
.LBB190_81:
	s_or_saveexec_b32 s24, s24
	v_mov_b32_e32 v2, 0x7e00
	s_xor_b32 exec_lo, exec_lo, s24
	s_cbranch_execz .LBB190_65
.LBB190_82:
	v_cmp_ne_u16_e32 vcc_lo, 0, v3
	v_mov_b32_e32 v2, v3
	s_and_not1_b32 s23, s23, exec_lo
	s_and_b32 s28, vcc_lo, exec_lo
	s_delay_alu instid0(SALU_CYCLE_1)
	s_or_b32 s23, s23, s28
	s_or_b32 exec_lo, exec_lo, s24
	s_and_saveexec_b32 s24, s23
	s_cbranch_execnz .LBB190_66
	s_branch .LBB190_67
.LBB190_83:
	s_mov_b32 s23, -1
                                        ; implicit-def: $vgpr2
	s_branch .LBB190_88
.LBB190_84:
	s_mov_b32 s23, -1
                                        ; implicit-def: $vgpr2
.LBB190_85:
	s_delay_alu instid0(SALU_CYCLE_1)
	s_and_b32 vcc_lo, exec_lo, s23
	s_cbranch_vccz .LBB190_87
; %bb.86:
	global_load_u8 v2, v[0:1], off
	s_wait_loadcnt 0x0
	v_lshlrev_b32_e32 v2, 24, v2
	s_delay_alu instid0(VALU_DEP_1) | instskip(NEXT) | instid1(VALU_DEP_1)
	v_and_b32_e32 v3, 0x7f000000, v2
	v_clz_i32_u32_e32 v4, v3
	v_cmp_ne_u32_e32 vcc_lo, 0, v3
	v_add_nc_u32_e32 v6, 0x1000000, v3
	s_delay_alu instid0(VALU_DEP_3) | instskip(NEXT) | instid1(VALU_DEP_1)
	v_min_u32_e32 v4, 32, v4
	v_sub_nc_u32_e64 v4, v4, 4 clamp
	s_delay_alu instid0(VALU_DEP_1) | instskip(NEXT) | instid1(VALU_DEP_1)
	v_dual_lshlrev_b32 v5, v4, v3 :: v_dual_lshlrev_b32 v4, 23, v4
	v_lshrrev_b32_e32 v5, 4, v5
	s_delay_alu instid0(VALU_DEP_1) | instskip(NEXT) | instid1(VALU_DEP_1)
	v_dual_sub_nc_u32 v4, v5, v4 :: v_dual_ashrrev_i32 v5, 8, v6
	v_add_nc_u32_e32 v4, 0x3c000000, v4
	s_delay_alu instid0(VALU_DEP_1) | instskip(NEXT) | instid1(VALU_DEP_1)
	v_and_or_b32 v4, 0x7f800000, v5, v4
	v_cndmask_b32_e32 v3, 0, v4, vcc_lo
	s_delay_alu instid0(VALU_DEP_1) | instskip(NEXT) | instid1(VALU_DEP_1)
	v_and_or_b32 v2, 0x80000000, v2, v3
	v_cvt_f16_f32_e32 v2, v2
.LBB190_87:
	s_mov_b32 s23, 0
.LBB190_88:
	s_delay_alu instid0(SALU_CYCLE_1)
	s_and_not1_b32 vcc_lo, exec_lo, s23
	s_cbranch_vccnz .LBB190_90
; %bb.89:
	global_load_u8 v2, v[0:1], off
	s_wait_loadcnt 0x0
	v_lshlrev_b32_e32 v3, 25, v2
	v_lshlrev_b16 v2, 8, v2
	s_delay_alu instid0(VALU_DEP_1) | instskip(SKIP_1) | instid1(VALU_DEP_2)
	v_and_or_b32 v5, 0x7f00, v2, 0.5
	v_bfe_i32 v2, v2, 0, 16
	v_dual_add_f32 v5, -0.5, v5 :: v_dual_lshrrev_b32 v4, 4, v3
	v_cmp_gt_u32_e32 vcc_lo, 0x8000000, v3
	s_delay_alu instid0(VALU_DEP_2) | instskip(NEXT) | instid1(VALU_DEP_1)
	v_or_b32_e32 v4, 0x70000000, v4
	v_mul_f32_e32 v4, 0x7800000, v4
	s_delay_alu instid0(VALU_DEP_1) | instskip(NEXT) | instid1(VALU_DEP_1)
	v_cndmask_b32_e32 v3, v4, v5, vcc_lo
	v_and_or_b32 v2, 0x80000000, v2, v3
	s_delay_alu instid0(VALU_DEP_1)
	v_cvt_f16_f32_e32 v2, v2
.LBB190_90:
	s_mov_b32 s24, 0
	s_mov_b32 s23, -1
.LBB190_91:
	s_and_not1_b32 vcc_lo, exec_lo, s24
	s_cbranch_vccnz .LBB190_104
; %bb.92:
	s_cmp_gt_i32 s21, 14
	s_cbranch_scc0 .LBB190_95
; %bb.93:
	s_cmp_eq_u32 s21, 15
	s_cbranch_scc0 .LBB190_98
; %bb.94:
	global_load_u16 v2, v[0:1], off
	s_mov_b32 s23, -1
	s_mov_b32 s25, 0
	s_wait_loadcnt 0x0
	v_lshlrev_b32_e32 v2, 16, v2
	s_delay_alu instid0(VALU_DEP_1)
	v_cvt_f16_f32_e32 v2, v2
	s_branch .LBB190_99
.LBB190_95:
	s_mov_b32 s24, -1
                                        ; implicit-def: $vgpr2
	s_branch .LBB190_100
.LBB190_96:
	s_or_saveexec_b32 s24, s24
	v_mov_b32_e32 v2, 0x7e00
	s_xor_b32 exec_lo, exec_lo, s24
	s_cbranch_execz .LBB190_77
.LBB190_97:
	v_cmp_ne_u16_e32 vcc_lo, 0, v3
	v_mov_b32_e32 v2, v3
	s_and_not1_b32 s23, s23, exec_lo
	s_and_b32 s28, vcc_lo, exec_lo
	s_delay_alu instid0(SALU_CYCLE_1)
	s_or_b32 s23, s23, s28
	s_or_b32 exec_lo, exec_lo, s24
	s_and_saveexec_b32 s24, s23
	s_cbranch_execnz .LBB190_78
	s_branch .LBB190_79
.LBB190_98:
	s_mov_b32 s25, -1
                                        ; implicit-def: $vgpr2
.LBB190_99:
	s_mov_b32 s24, 0
.LBB190_100:
	s_delay_alu instid0(SALU_CYCLE_1)
	s_and_b32 vcc_lo, exec_lo, s24
	s_cbranch_vccz .LBB190_104
; %bb.101:
	s_cmp_eq_u32 s21, 11
	s_cbranch_scc0 .LBB190_103
; %bb.102:
	global_load_u8 v2, v[0:1], off
	s_mov_b32 s25, 0
	s_mov_b32 s23, -1
	s_wait_loadcnt 0x0
	v_cmp_ne_u16_e32 vcc_lo, 0, v2
	v_cndmask_b32_e64 v2, 0, 0x3c00, vcc_lo
	s_branch .LBB190_104
.LBB190_103:
	s_mov_b32 s25, -1
                                        ; implicit-def: $vgpr2
.LBB190_104:
	s_branch .LBB190_10
.LBB190_105:
	s_and_b32 s0, 0xffff, s0
	s_delay_alu instid0(SALU_CYCLE_1)
	s_cmp_lt_i32 s0, 5
	s_cbranch_scc1 .LBB190_110
; %bb.106:
	s_cmp_lt_i32 s0, 8
	s_cbranch_scc1 .LBB190_111
; %bb.107:
	;; [unrolled: 3-line block ×3, first 2 shown]
	s_cmp_gt_i32 s0, 9
	s_cbranch_scc0 .LBB190_113
; %bb.109:
	global_load_b64 v[2:3], v[0:1], off
	s_mov_b32 s21, 0
	s_wait_loadcnt 0x0
	v_and_or_b32 v2, 0x1ff, v3, v2
	v_lshrrev_b32_e32 v4, 8, v3
	v_bfe_u32 v5, v3, 20, 11
	v_lshrrev_b32_e32 v3, 16, v3
	s_delay_alu instid0(VALU_DEP_4) | instskip(NEXT) | instid1(VALU_DEP_3)
	v_cmp_ne_u32_e32 vcc_lo, 0, v2
	v_sub_nc_u32_e32 v6, 0x3f1, v5
	v_add_nc_u32_e32 v5, 0xfffffc10, v5
	v_cndmask_b32_e64 v2, 0, 1, vcc_lo
	s_delay_alu instid0(VALU_DEP_1) | instskip(NEXT) | instid1(VALU_DEP_4)
	v_and_or_b32 v2, 0xffe, v4, v2
	v_med3_i32 v4, v6, 0, 13
	s_delay_alu instid0(VALU_DEP_2) | instskip(NEXT) | instid1(VALU_DEP_1)
	v_or_b32_e32 v6, 0x1000, v2
	v_lshrrev_b32_e32 v7, v4, v6
	s_delay_alu instid0(VALU_DEP_1) | instskip(NEXT) | instid1(VALU_DEP_1)
	v_lshlrev_b32_e32 v4, v4, v7
	v_cmp_ne_u32_e32 vcc_lo, v4, v6
	v_lshl_or_b32 v6, v5, 12, v2
	v_cndmask_b32_e64 v4, 0, 1, vcc_lo
	v_cmp_gt_i32_e32 vcc_lo, 1, v5
	s_delay_alu instid0(VALU_DEP_2) | instskip(NEXT) | instid1(VALU_DEP_1)
	v_or_b32_e32 v4, v7, v4
	v_cndmask_b32_e32 v4, v6, v4, vcc_lo
	s_delay_alu instid0(VALU_DEP_1) | instskip(NEXT) | instid1(VALU_DEP_1)
	v_dual_lshrrev_b32 v4, 2, v4 :: v_dual_bitop2_b32 v6, 7, v4 bitop3:0x40
	v_cmp_lt_i32_e32 vcc_lo, 5, v6
	v_cndmask_b32_e64 v7, 0, 1, vcc_lo
	v_cmp_eq_u32_e32 vcc_lo, 3, v6
	v_cndmask_b32_e64 v6, 0, 1, vcc_lo
	v_cmp_ne_u32_e32 vcc_lo, 0, v2
	s_delay_alu instid0(VALU_DEP_2) | instskip(NEXT) | instid1(VALU_DEP_1)
	v_or_b32_e32 v6, v6, v7
	v_dual_mov_b32 v7, 0x7e00 :: v_dual_add_nc_u32 v4, v4, v6
	s_delay_alu instid0(VALU_DEP_1) | instskip(SKIP_1) | instid1(VALU_DEP_3)
	v_cndmask_b32_e32 v2, 0x7c00, v7, vcc_lo
	v_cmp_gt_i32_e32 vcc_lo, 31, v5
	v_cndmask_b32_e32 v4, 0x7c00, v4, vcc_lo
	v_cmp_eq_u32_e32 vcc_lo, 0x40f, v5
	s_delay_alu instid0(VALU_DEP_2) | instskip(NEXT) | instid1(VALU_DEP_1)
	v_cndmask_b32_e32 v2, v4, v2, vcc_lo
	v_and_or_b32 v2, 0x8000, v3, v2
	s_branch .LBB190_114
.LBB190_110:
                                        ; implicit-def: $vgpr2
	s_branch .LBB190_132
.LBB190_111:
	s_mov_b32 s21, -1
                                        ; implicit-def: $vgpr2
	s_branch .LBB190_120
.LBB190_112:
	s_mov_b32 s21, -1
                                        ; implicit-def: $vgpr2
	s_branch .LBB190_117
.LBB190_113:
	s_mov_b32 s21, -1
                                        ; implicit-def: $vgpr2
.LBB190_114:
	s_delay_alu instid0(SALU_CYCLE_1)
	s_and_not1_b32 vcc_lo, exec_lo, s21
	s_cbranch_vccnz .LBB190_116
; %bb.115:
	global_load_b32 v2, v[0:1], off
	s_wait_loadcnt 0x0
	v_cvt_f16_f32_e32 v2, v2
.LBB190_116:
	s_mov_b32 s21, 0
.LBB190_117:
	s_delay_alu instid0(SALU_CYCLE_1)
	s_and_not1_b32 vcc_lo, exec_lo, s21
	s_cbranch_vccnz .LBB190_119
; %bb.118:
	global_load_b32 v2, v[0:1], off
.LBB190_119:
	s_mov_b32 s21, 0
.LBB190_120:
	s_delay_alu instid0(SALU_CYCLE_1)
	s_and_not1_b32 vcc_lo, exec_lo, s21
	s_cbranch_vccnz .LBB190_131
; %bb.121:
	s_cmp_lt_i32 s0, 6
	s_cbranch_scc1 .LBB190_124
; %bb.122:
	s_cmp_gt_i32 s0, 6
	s_cbranch_scc0 .LBB190_125
; %bb.123:
	s_wait_loadcnt 0x0
	global_load_b64 v[2:3], v[0:1], off
	s_mov_b32 s21, 0
	s_wait_loadcnt 0x0
	v_and_or_b32 v2, 0x1ff, v3, v2
	v_lshrrev_b32_e32 v4, 8, v3
	v_bfe_u32 v5, v3, 20, 11
	v_lshrrev_b32_e32 v3, 16, v3
	s_delay_alu instid0(VALU_DEP_4) | instskip(NEXT) | instid1(VALU_DEP_3)
	v_cmp_ne_u32_e32 vcc_lo, 0, v2
	v_sub_nc_u32_e32 v6, 0x3f1, v5
	v_add_nc_u32_e32 v5, 0xfffffc10, v5
	v_cndmask_b32_e64 v2, 0, 1, vcc_lo
	s_delay_alu instid0(VALU_DEP_1) | instskip(NEXT) | instid1(VALU_DEP_4)
	v_and_or_b32 v2, 0xffe, v4, v2
	v_med3_i32 v4, v6, 0, 13
	s_delay_alu instid0(VALU_DEP_2) | instskip(NEXT) | instid1(VALU_DEP_1)
	v_or_b32_e32 v6, 0x1000, v2
	v_lshrrev_b32_e32 v7, v4, v6
	s_delay_alu instid0(VALU_DEP_1) | instskip(NEXT) | instid1(VALU_DEP_1)
	v_lshlrev_b32_e32 v4, v4, v7
	v_cmp_ne_u32_e32 vcc_lo, v4, v6
	v_lshl_or_b32 v6, v5, 12, v2
	v_cndmask_b32_e64 v4, 0, 1, vcc_lo
	v_cmp_gt_i32_e32 vcc_lo, 1, v5
	s_delay_alu instid0(VALU_DEP_2) | instskip(NEXT) | instid1(VALU_DEP_1)
	v_or_b32_e32 v4, v7, v4
	v_cndmask_b32_e32 v4, v6, v4, vcc_lo
	s_delay_alu instid0(VALU_DEP_1) | instskip(NEXT) | instid1(VALU_DEP_1)
	v_dual_lshrrev_b32 v4, 2, v4 :: v_dual_bitop2_b32 v6, 7, v4 bitop3:0x40
	v_cmp_lt_i32_e32 vcc_lo, 5, v6
	v_cndmask_b32_e64 v7, 0, 1, vcc_lo
	v_cmp_eq_u32_e32 vcc_lo, 3, v6
	v_cndmask_b32_e64 v6, 0, 1, vcc_lo
	v_cmp_ne_u32_e32 vcc_lo, 0, v2
	s_delay_alu instid0(VALU_DEP_2) | instskip(NEXT) | instid1(VALU_DEP_1)
	v_or_b32_e32 v6, v6, v7
	v_dual_mov_b32 v7, 0x7e00 :: v_dual_add_nc_u32 v4, v4, v6
	s_delay_alu instid0(VALU_DEP_1) | instskip(SKIP_1) | instid1(VALU_DEP_3)
	v_cndmask_b32_e32 v2, 0x7c00, v7, vcc_lo
	v_cmp_gt_i32_e32 vcc_lo, 31, v5
	v_cndmask_b32_e32 v4, 0x7c00, v4, vcc_lo
	v_cmp_eq_u32_e32 vcc_lo, 0x40f, v5
	s_delay_alu instid0(VALU_DEP_2) | instskip(NEXT) | instid1(VALU_DEP_1)
	v_cndmask_b32_e32 v2, v4, v2, vcc_lo
	v_and_or_b32 v2, 0x8000, v3, v2
	s_branch .LBB190_126
.LBB190_124:
	s_mov_b32 s21, -1
                                        ; implicit-def: $vgpr2
	s_branch .LBB190_129
.LBB190_125:
	s_mov_b32 s21, -1
                                        ; implicit-def: $vgpr2
.LBB190_126:
	s_delay_alu instid0(SALU_CYCLE_1)
	s_and_not1_b32 vcc_lo, exec_lo, s21
	s_cbranch_vccnz .LBB190_128
; %bb.127:
	s_wait_loadcnt 0x0
	global_load_b32 v2, v[0:1], off
	s_wait_loadcnt 0x0
	v_cvt_f16_f32_e32 v2, v2
.LBB190_128:
	s_mov_b32 s21, 0
.LBB190_129:
	s_delay_alu instid0(SALU_CYCLE_1)
	s_and_not1_b32 vcc_lo, exec_lo, s21
	s_cbranch_vccnz .LBB190_131
; %bb.130:
	s_wait_loadcnt 0x0
	global_load_u16 v2, v[0:1], off
.LBB190_131:
	s_cbranch_execnz .LBB190_151
.LBB190_132:
	s_cmp_lt_i32 s0, 2
	s_cbranch_scc1 .LBB190_136
; %bb.133:
	s_cmp_lt_i32 s0, 3
	s_cbranch_scc1 .LBB190_137
; %bb.134:
	s_cmp_gt_i32 s0, 3
	s_cbranch_scc0 .LBB190_138
; %bb.135:
	s_wait_loadcnt 0x0
	global_load_b64 v[2:3], v[0:1], off
	s_mov_b32 s21, 0
	s_wait_loadcnt 0x0
	v_xor_b32_e32 v4, v2, v3
	v_cls_i32_e32 v5, v3
	s_delay_alu instid0(VALU_DEP_2) | instskip(NEXT) | instid1(VALU_DEP_1)
	v_ashrrev_i32_e32 v4, 31, v4
	v_add_nc_u32_e32 v4, 32, v4
	s_delay_alu instid0(VALU_DEP_1) | instskip(NEXT) | instid1(VALU_DEP_1)
	v_add_min_u32_e64 v4, v5, -1, v4
	v_lshlrev_b64_e32 v[2:3], v4, v[2:3]
	s_delay_alu instid0(VALU_DEP_1) | instskip(NEXT) | instid1(VALU_DEP_1)
	v_min_u32_e32 v2, 1, v2
	v_dual_sub_nc_u32 v3, 32, v4 :: v_dual_bitop2_b32 v2, v3, v2 bitop3:0x54
	s_delay_alu instid0(VALU_DEP_1) | instskip(NEXT) | instid1(VALU_DEP_1)
	v_cvt_f32_i32_e32 v2, v2
	v_ldexp_f32 v2, v2, v3
	s_delay_alu instid0(VALU_DEP_1)
	v_cvt_f16_f32_e32 v2, v2
	s_branch .LBB190_139
.LBB190_136:
	s_mov_b32 s21, -1
                                        ; implicit-def: $vgpr2
	s_branch .LBB190_145
.LBB190_137:
	s_mov_b32 s21, -1
                                        ; implicit-def: $vgpr2
	s_branch .LBB190_142
.LBB190_138:
	s_mov_b32 s21, -1
                                        ; implicit-def: $vgpr2
.LBB190_139:
	s_delay_alu instid0(SALU_CYCLE_1)
	s_and_not1_b32 vcc_lo, exec_lo, s21
	s_cbranch_vccnz .LBB190_141
; %bb.140:
	s_wait_loadcnt 0x0
	global_load_b32 v2, v[0:1], off
	s_wait_loadcnt 0x0
	v_cvt_f32_i32_e32 v2, v2
	s_delay_alu instid0(VALU_DEP_1)
	v_cvt_f16_f32_e32 v2, v2
.LBB190_141:
	s_mov_b32 s21, 0
.LBB190_142:
	s_delay_alu instid0(SALU_CYCLE_1)
	s_and_not1_b32 vcc_lo, exec_lo, s21
	s_cbranch_vccnz .LBB190_144
; %bb.143:
	s_wait_loadcnt 0x0
	global_load_u16 v2, v[0:1], off
	s_wait_loadcnt 0x0
	v_cvt_f16_i16_e32 v2, v2
.LBB190_144:
	s_mov_b32 s21, 0
.LBB190_145:
	s_delay_alu instid0(SALU_CYCLE_1)
	s_and_not1_b32 vcc_lo, exec_lo, s21
	s_cbranch_vccnz .LBB190_151
; %bb.146:
	s_cmp_gt_i32 s0, 0
	s_mov_b32 s0, 0
	s_cbranch_scc0 .LBB190_148
; %bb.147:
	s_wait_loadcnt 0x0
	global_load_i8 v2, v[0:1], off
	s_wait_loadcnt 0x0
	v_cvt_f16_i16_e32 v2, v2
	s_branch .LBB190_149
.LBB190_148:
	s_mov_b32 s0, -1
                                        ; implicit-def: $vgpr2
.LBB190_149:
	s_delay_alu instid0(SALU_CYCLE_1)
	s_and_not1_b32 vcc_lo, exec_lo, s0
	s_cbranch_vccnz .LBB190_151
; %bb.150:
	global_load_u8 v0, v[0:1], off
	s_wait_loadcnt 0x0
	v_cvt_f16_u16_e32 v2, v0
.LBB190_151:
	s_branch .LBB190_11
.LBB190_152:
	s_mov_b32 s0, 0
	s_mov_b32 s23, 0
	;; [unrolled: 1-line block ×3, first 2 shown]
	s_branch .LBB190_510
.LBB190_153:
	s_mov_b32 s24, -1
.LBB190_154:
	s_mov_b32 s23, 0
                                        ; implicit-def: $vgpr3
.LBB190_155:
	s_and_b32 vcc_lo, exec_lo, s28
	s_cbranch_vccz .LBB190_160
; %bb.156:
	s_cmp_eq_u32 s21, 44
	s_cbranch_scc0 .LBB190_159
; %bb.157:
	global_load_u8 v3, v[0:1], off
	s_mov_b32 s24, 0
	s_mov_b32 s23, -1
	s_wait_loadcnt 0x0
	v_lshlrev_b32_e32 v4, 23, v3
	v_cmp_ne_u32_e32 vcc_lo, 0xff, v3
	s_delay_alu instid0(VALU_DEP_2) | instskip(NEXT) | instid1(VALU_DEP_1)
	v_cvt_f16_f32_e32 v4, v4
	v_cndmask_b32_e32 v4, 0x7e00, v4, vcc_lo
	v_cmp_ne_u32_e32 vcc_lo, 0, v3
	s_delay_alu instid0(VALU_DEP_2)
	v_cndmask_b32_e32 v3, 0, v4, vcc_lo
	s_branch .LBB190_160
.LBB190_158:
	s_mov_b32 s28, -1
	s_mov_b32 s23, 0
	s_branch .LBB190_271
.LBB190_159:
	s_mov_b32 s24, -1
                                        ; implicit-def: $vgpr3
.LBB190_160:
	s_mov_b32 s28, 0
.LBB190_161:
	s_delay_alu instid0(SALU_CYCLE_1)
	s_and_b32 vcc_lo, exec_lo, s28
	s_cbranch_vccz .LBB190_165
; %bb.162:
	s_cmp_eq_u32 s21, 29
	s_cbranch_scc0 .LBB190_164
; %bb.163:
	global_load_b64 v[4:5], v[0:1], off
	s_mov_b32 s23, -1
	s_mov_b32 s24, 0
	s_mov_b32 s28, 0
	s_wait_loadcnt 0x0
	v_clz_i32_u32_e32 v3, v5
	s_delay_alu instid0(VALU_DEP_1) | instskip(NEXT) | instid1(VALU_DEP_1)
	v_min_u32_e32 v3, 32, v3
	v_lshlrev_b64_e32 v[4:5], v3, v[4:5]
	v_sub_nc_u32_e32 v3, 32, v3
	s_delay_alu instid0(VALU_DEP_2) | instskip(NEXT) | instid1(VALU_DEP_1)
	v_min_u32_e32 v4, 1, v4
	v_or_b32_e32 v4, v5, v4
	s_delay_alu instid0(VALU_DEP_1) | instskip(NEXT) | instid1(VALU_DEP_1)
	v_cvt_f32_u32_e32 v4, v4
	v_ldexp_f32 v3, v4, v3
	s_delay_alu instid0(VALU_DEP_1)
	v_cvt_f16_f32_e32 v3, v3
	s_branch .LBB190_166
.LBB190_164:
	s_mov_b32 s24, -1
                                        ; implicit-def: $vgpr3
.LBB190_165:
	s_mov_b32 s28, 0
.LBB190_166:
	s_delay_alu instid0(SALU_CYCLE_1)
	s_and_b32 vcc_lo, exec_lo, s28
	s_cbranch_vccz .LBB190_184
; %bb.167:
	s_cmp_lt_i32 s21, 27
	s_cbranch_scc1 .LBB190_170
; %bb.168:
	s_cmp_gt_i32 s21, 27
	s_cbranch_scc0 .LBB190_171
; %bb.169:
	global_load_b32 v3, v[0:1], off
	s_mov_b32 s23, 0
	s_wait_loadcnt 0x0
	v_cvt_f32_u32_e32 v3, v3
	s_delay_alu instid0(VALU_DEP_1)
	v_cvt_f16_f32_e32 v3, v3
	s_branch .LBB190_172
.LBB190_170:
	s_mov_b32 s23, -1
                                        ; implicit-def: $vgpr3
	s_branch .LBB190_175
.LBB190_171:
	s_mov_b32 s23, -1
                                        ; implicit-def: $vgpr3
.LBB190_172:
	s_delay_alu instid0(SALU_CYCLE_1)
	s_and_not1_b32 vcc_lo, exec_lo, s23
	s_cbranch_vccnz .LBB190_174
; %bb.173:
	global_load_u16 v3, v[0:1], off
	s_wait_loadcnt 0x0
	v_cvt_f16_u16_e32 v3, v3
.LBB190_174:
	s_mov_b32 s23, 0
.LBB190_175:
	s_delay_alu instid0(SALU_CYCLE_1)
	s_and_not1_b32 vcc_lo, exec_lo, s23
	s_cbranch_vccnz .LBB190_183
; %bb.176:
	global_load_u8 v4, v[0:1], off
	s_mov_b32 s23, 0
	s_mov_b32 s28, exec_lo
	s_wait_loadcnt 0x0
	v_cmpx_lt_i16_e32 0x7f, v4
	s_xor_b32 s28, exec_lo, s28
	s_cbranch_execz .LBB190_197
; %bb.177:
	s_mov_b32 s23, -1
	s_mov_b32 s29, exec_lo
	v_cmpx_eq_u16_e32 0x80, v4
; %bb.178:
	s_xor_b32 s23, exec_lo, -1
; %bb.179:
	s_or_b32 exec_lo, exec_lo, s29
	s_delay_alu instid0(SALU_CYCLE_1)
	s_and_b32 s23, s23, exec_lo
	s_or_saveexec_b32 s28, s28
	v_mov_b32_e32 v3, 0x7e00
	s_xor_b32 exec_lo, exec_lo, s28
	s_cbranch_execnz .LBB190_198
.LBB190_180:
	s_or_b32 exec_lo, exec_lo, s28
	s_and_saveexec_b32 s28, s23
	s_cbranch_execz .LBB190_182
.LBB190_181:
	v_and_b32_e32 v3, 0xffff, v4
	s_delay_alu instid0(VALU_DEP_1) | instskip(SKIP_1) | instid1(VALU_DEP_2)
	v_and_b32_e32 v5, 7, v3
	v_bfe_u32 v9, v3, 3, 4
	v_clz_i32_u32_e32 v6, v5
	s_delay_alu instid0(VALU_DEP_2) | instskip(NEXT) | instid1(VALU_DEP_2)
	v_cmp_eq_u32_e32 vcc_lo, 0, v9
	v_min_u32_e32 v6, 32, v6
	s_delay_alu instid0(VALU_DEP_1) | instskip(NEXT) | instid1(VALU_DEP_1)
	v_subrev_nc_u32_e32 v7, 28, v6
	v_dual_lshlrev_b32 v3, v7, v3 :: v_dual_sub_nc_u32 v6, 29, v6
	s_delay_alu instid0(VALU_DEP_1) | instskip(NEXT) | instid1(VALU_DEP_2)
	v_dual_lshlrev_b32 v4, 24, v4 :: v_dual_bitop2_b32 v3, 7, v3 bitop3:0x40
	v_cndmask_b32_e32 v6, v9, v6, vcc_lo
	s_delay_alu instid0(VALU_DEP_2) | instskip(NEXT) | instid1(VALU_DEP_3)
	v_cndmask_b32_e32 v3, v5, v3, vcc_lo
	v_and_b32_e32 v4, 0x80000000, v4
	s_delay_alu instid0(VALU_DEP_3) | instskip(NEXT) | instid1(VALU_DEP_3)
	v_lshl_add_u32 v5, v6, 23, 0x3b800000
	v_lshlrev_b32_e32 v3, 20, v3
	s_delay_alu instid0(VALU_DEP_1) | instskip(NEXT) | instid1(VALU_DEP_1)
	v_or3_b32 v3, v4, v5, v3
	v_cvt_f16_f32_e32 v3, v3
.LBB190_182:
	s_or_b32 exec_lo, exec_lo, s28
.LBB190_183:
	s_mov_b32 s23, -1
.LBB190_184:
	s_mov_b32 s28, 0
.LBB190_185:
	s_delay_alu instid0(SALU_CYCLE_1)
	s_and_b32 vcc_lo, exec_lo, s28
	s_cbranch_vccz .LBB190_220
; %bb.186:
	s_cmp_gt_i32 s21, 22
	s_cbranch_scc0 .LBB190_196
; %bb.187:
	s_cmp_lt_i32 s21, 24
	s_cbranch_scc1 .LBB190_199
; %bb.188:
	s_cmp_gt_i32 s21, 24
	s_cbranch_scc0 .LBB190_200
; %bb.189:
	global_load_u8 v4, v[0:1], off
	s_mov_b32 s23, 0
	s_mov_b32 s28, exec_lo
	s_wait_loadcnt 0x0
	v_cmpx_lt_i16_e32 0x7f, v4
	s_xor_b32 s28, exec_lo, s28
	s_cbranch_execz .LBB190_212
; %bb.190:
	s_mov_b32 s23, -1
	s_mov_b32 s29, exec_lo
	v_cmpx_eq_u16_e32 0x80, v4
; %bb.191:
	s_xor_b32 s23, exec_lo, -1
; %bb.192:
	s_or_b32 exec_lo, exec_lo, s29
	s_delay_alu instid0(SALU_CYCLE_1)
	s_and_b32 s23, s23, exec_lo
	s_or_saveexec_b32 s28, s28
	v_mov_b32_e32 v3, 0x7e00
	s_xor_b32 exec_lo, exec_lo, s28
	s_cbranch_execnz .LBB190_213
.LBB190_193:
	s_or_b32 exec_lo, exec_lo, s28
	s_and_saveexec_b32 s28, s23
	s_cbranch_execz .LBB190_195
.LBB190_194:
	v_and_b32_e32 v3, 0xffff, v4
	s_delay_alu instid0(VALU_DEP_1) | instskip(SKIP_1) | instid1(VALU_DEP_2)
	v_and_b32_e32 v5, 3, v3
	v_bfe_u32 v9, v3, 2, 5
	v_clz_i32_u32_e32 v6, v5
	s_delay_alu instid0(VALU_DEP_2) | instskip(NEXT) | instid1(VALU_DEP_2)
	v_cmp_eq_u32_e32 vcc_lo, 0, v9
	v_min_u32_e32 v6, 32, v6
	s_delay_alu instid0(VALU_DEP_1) | instskip(NEXT) | instid1(VALU_DEP_1)
	v_subrev_nc_u32_e32 v7, 29, v6
	v_dual_lshlrev_b32 v3, v7, v3 :: v_dual_sub_nc_u32 v6, 30, v6
	s_delay_alu instid0(VALU_DEP_1) | instskip(NEXT) | instid1(VALU_DEP_2)
	v_dual_lshlrev_b32 v4, 24, v4 :: v_dual_bitop2_b32 v3, 3, v3 bitop3:0x40
	v_cndmask_b32_e32 v6, v9, v6, vcc_lo
	s_delay_alu instid0(VALU_DEP_2) | instskip(NEXT) | instid1(VALU_DEP_3)
	v_cndmask_b32_e32 v3, v5, v3, vcc_lo
	v_and_b32_e32 v4, 0x80000000, v4
	s_delay_alu instid0(VALU_DEP_3) | instskip(NEXT) | instid1(VALU_DEP_3)
	v_lshl_add_u32 v5, v6, 23, 0x37800000
	v_lshlrev_b32_e32 v3, 21, v3
	s_delay_alu instid0(VALU_DEP_1) | instskip(NEXT) | instid1(VALU_DEP_1)
	v_or3_b32 v3, v4, v5, v3
	v_cvt_f16_f32_e32 v3, v3
.LBB190_195:
	s_or_b32 exec_lo, exec_lo, s28
	s_mov_b32 s23, 0
	s_branch .LBB190_201
.LBB190_196:
	s_mov_b32 s28, -1
                                        ; implicit-def: $vgpr3
	s_branch .LBB190_207
.LBB190_197:
	s_or_saveexec_b32 s28, s28
	v_mov_b32_e32 v3, 0x7e00
	s_xor_b32 exec_lo, exec_lo, s28
	s_cbranch_execz .LBB190_180
.LBB190_198:
	v_cmp_ne_u16_e32 vcc_lo, 0, v4
	v_mov_b32_e32 v3, v4
	s_and_not1_b32 s23, s23, exec_lo
	s_and_b32 s29, vcc_lo, exec_lo
	s_delay_alu instid0(SALU_CYCLE_1)
	s_or_b32 s23, s23, s29
	s_or_b32 exec_lo, exec_lo, s28
	s_and_saveexec_b32 s28, s23
	s_cbranch_execnz .LBB190_181
	s_branch .LBB190_182
.LBB190_199:
	s_mov_b32 s23, -1
                                        ; implicit-def: $vgpr3
	s_branch .LBB190_204
.LBB190_200:
	s_mov_b32 s23, -1
                                        ; implicit-def: $vgpr3
.LBB190_201:
	s_delay_alu instid0(SALU_CYCLE_1)
	s_and_b32 vcc_lo, exec_lo, s23
	s_cbranch_vccz .LBB190_203
; %bb.202:
	global_load_u8 v3, v[0:1], off
	s_wait_loadcnt 0x0
	v_lshlrev_b32_e32 v3, 24, v3
	s_delay_alu instid0(VALU_DEP_1) | instskip(NEXT) | instid1(VALU_DEP_1)
	v_and_b32_e32 v4, 0x7f000000, v3
	v_clz_i32_u32_e32 v5, v4
	v_cmp_ne_u32_e32 vcc_lo, 0, v4
	v_add_nc_u32_e32 v7, 0x1000000, v4
	s_delay_alu instid0(VALU_DEP_3) | instskip(NEXT) | instid1(VALU_DEP_1)
	v_min_u32_e32 v5, 32, v5
	v_sub_nc_u32_e64 v5, v5, 4 clamp
	s_delay_alu instid0(VALU_DEP_1) | instskip(NEXT) | instid1(VALU_DEP_1)
	v_dual_lshlrev_b32 v6, v5, v4 :: v_dual_lshlrev_b32 v5, 23, v5
	v_lshrrev_b32_e32 v6, 4, v6
	s_delay_alu instid0(VALU_DEP_1) | instskip(NEXT) | instid1(VALU_DEP_1)
	v_dual_sub_nc_u32 v5, v6, v5 :: v_dual_ashrrev_i32 v6, 8, v7
	v_add_nc_u32_e32 v5, 0x3c000000, v5
	s_delay_alu instid0(VALU_DEP_1) | instskip(NEXT) | instid1(VALU_DEP_1)
	v_and_or_b32 v5, 0x7f800000, v6, v5
	v_cndmask_b32_e32 v4, 0, v5, vcc_lo
	s_delay_alu instid0(VALU_DEP_1) | instskip(NEXT) | instid1(VALU_DEP_1)
	v_and_or_b32 v3, 0x80000000, v3, v4
	v_cvt_f16_f32_e32 v3, v3
.LBB190_203:
	s_mov_b32 s23, 0
.LBB190_204:
	s_delay_alu instid0(SALU_CYCLE_1)
	s_and_not1_b32 vcc_lo, exec_lo, s23
	s_cbranch_vccnz .LBB190_206
; %bb.205:
	global_load_u8 v3, v[0:1], off
	s_wait_loadcnt 0x0
	v_lshlrev_b32_e32 v4, 25, v3
	v_lshlrev_b16 v3, 8, v3
	s_delay_alu instid0(VALU_DEP_1) | instskip(SKIP_1) | instid1(VALU_DEP_2)
	v_and_or_b32 v6, 0x7f00, v3, 0.5
	v_bfe_i32 v3, v3, 0, 16
	v_dual_add_f32 v6, -0.5, v6 :: v_dual_lshrrev_b32 v5, 4, v4
	v_cmp_gt_u32_e32 vcc_lo, 0x8000000, v4
	s_delay_alu instid0(VALU_DEP_2) | instskip(NEXT) | instid1(VALU_DEP_1)
	v_or_b32_e32 v5, 0x70000000, v5
	v_mul_f32_e32 v5, 0x7800000, v5
	s_delay_alu instid0(VALU_DEP_1) | instskip(NEXT) | instid1(VALU_DEP_1)
	v_cndmask_b32_e32 v4, v5, v6, vcc_lo
	v_and_or_b32 v3, 0x80000000, v3, v4
	s_delay_alu instid0(VALU_DEP_1)
	v_cvt_f16_f32_e32 v3, v3
.LBB190_206:
	s_mov_b32 s28, 0
	s_mov_b32 s23, -1
.LBB190_207:
	s_and_not1_b32 vcc_lo, exec_lo, s28
	s_cbranch_vccnz .LBB190_220
; %bb.208:
	s_cmp_gt_i32 s21, 14
	s_cbranch_scc0 .LBB190_211
; %bb.209:
	s_cmp_eq_u32 s21, 15
	s_cbranch_scc0 .LBB190_214
; %bb.210:
	global_load_u16 v3, v[0:1], off
	s_mov_b32 s23, -1
	s_mov_b32 s24, 0
	s_wait_loadcnt 0x0
	v_lshlrev_b32_e32 v3, 16, v3
	s_delay_alu instid0(VALU_DEP_1)
	v_cvt_f16_f32_e32 v3, v3
	s_branch .LBB190_215
.LBB190_211:
	s_mov_b32 s28, -1
                                        ; implicit-def: $vgpr3
	s_branch .LBB190_216
.LBB190_212:
	s_or_saveexec_b32 s28, s28
	v_mov_b32_e32 v3, 0x7e00
	s_xor_b32 exec_lo, exec_lo, s28
	s_cbranch_execz .LBB190_193
.LBB190_213:
	v_cmp_ne_u16_e32 vcc_lo, 0, v4
	v_mov_b32_e32 v3, v4
	s_and_not1_b32 s23, s23, exec_lo
	s_and_b32 s29, vcc_lo, exec_lo
	s_delay_alu instid0(SALU_CYCLE_1)
	s_or_b32 s23, s23, s29
	s_or_b32 exec_lo, exec_lo, s28
	s_and_saveexec_b32 s28, s23
	s_cbranch_execnz .LBB190_194
	s_branch .LBB190_195
.LBB190_214:
	s_mov_b32 s24, -1
                                        ; implicit-def: $vgpr3
.LBB190_215:
	s_mov_b32 s28, 0
.LBB190_216:
	s_delay_alu instid0(SALU_CYCLE_1)
	s_and_b32 vcc_lo, exec_lo, s28
	s_cbranch_vccz .LBB190_220
; %bb.217:
	s_cmp_eq_u32 s21, 11
	s_cbranch_scc0 .LBB190_219
; %bb.218:
	global_load_u8 v3, v[0:1], off
	s_mov_b32 s24, 0
	s_mov_b32 s23, -1
	s_wait_loadcnt 0x0
	v_cmp_ne_u16_e32 vcc_lo, 0, v3
	v_cndmask_b32_e64 v3, 0, 0x3c00, vcc_lo
	s_branch .LBB190_220
.LBB190_219:
	s_mov_b32 s24, -1
                                        ; implicit-def: $vgpr3
.LBB190_220:
	s_branch .LBB190_20
.LBB190_221:
	s_and_b32 s0, 0xffff, s0
	s_delay_alu instid0(SALU_CYCLE_1)
	s_cmp_lt_i32 s0, 5
	s_cbranch_scc1 .LBB190_226
; %bb.222:
	s_cmp_lt_i32 s0, 8
	s_cbranch_scc1 .LBB190_227
; %bb.223:
	;; [unrolled: 3-line block ×3, first 2 shown]
	s_cmp_gt_i32 s0, 9
	s_cbranch_scc0 .LBB190_229
; %bb.225:
	global_load_b64 v[4:5], v[0:1], off
	s_mov_b32 s21, 0
	s_wait_loadcnt 0x0
	v_and_or_b32 v3, 0x1ff, v5, v4
	v_lshrrev_b32_e32 v4, 8, v5
	v_bfe_u32 v6, v5, 20, 11
	s_delay_alu instid0(VALU_DEP_3) | instskip(NEXT) | instid1(VALU_DEP_2)
	v_cmp_ne_u32_e32 vcc_lo, 0, v3
	v_sub_nc_u32_e32 v7, 0x3f1, v6
	v_add_nc_u32_e32 v6, 0xfffffc10, v6
	v_cndmask_b32_e64 v3, 0, 1, vcc_lo
	s_delay_alu instid0(VALU_DEP_1) | instskip(NEXT) | instid1(VALU_DEP_4)
	v_and_or_b32 v3, 0xffe, v4, v3
	v_med3_i32 v4, v7, 0, 13
	s_delay_alu instid0(VALU_DEP_2) | instskip(NEXT) | instid1(VALU_DEP_1)
	v_or_b32_e32 v7, 0x1000, v3
	v_lshrrev_b32_e32 v9, v4, v7
	s_delay_alu instid0(VALU_DEP_1) | instskip(NEXT) | instid1(VALU_DEP_1)
	v_lshlrev_b32_e32 v4, v4, v9
	v_cmp_ne_u32_e32 vcc_lo, v4, v7
	v_lshl_or_b32 v7, v6, 12, v3
	v_cndmask_b32_e64 v4, 0, 1, vcc_lo
	v_cmp_gt_i32_e32 vcc_lo, 1, v6
	s_delay_alu instid0(VALU_DEP_2) | instskip(NEXT) | instid1(VALU_DEP_1)
	v_or_b32_e32 v4, v9, v4
	v_cndmask_b32_e32 v4, v7, v4, vcc_lo
	s_delay_alu instid0(VALU_DEP_1) | instskip(NEXT) | instid1(VALU_DEP_1)
	v_dual_lshrrev_b32 v4, 2, v4 :: v_dual_bitop2_b32 v7, 7, v4 bitop3:0x40
	v_cmp_lt_i32_e32 vcc_lo, 5, v7
	v_cndmask_b32_e64 v9, 0, 1, vcc_lo
	v_cmp_eq_u32_e32 vcc_lo, 3, v7
	v_cndmask_b32_e64 v7, 0, 1, vcc_lo
	v_cmp_ne_u32_e32 vcc_lo, 0, v3
	s_delay_alu instid0(VALU_DEP_2) | instskip(NEXT) | instid1(VALU_DEP_1)
	v_or_b32_e32 v7, v7, v9
	v_dual_mov_b32 v9, 0x7e00 :: v_dual_add_nc_u32 v4, v4, v7
	s_delay_alu instid0(VALU_DEP_1) | instskip(SKIP_1) | instid1(VALU_DEP_3)
	v_cndmask_b32_e32 v3, 0x7c00, v9, vcc_lo
	v_cmp_gt_i32_e32 vcc_lo, 31, v6
	v_cndmask_b32_e32 v4, 0x7c00, v4, vcc_lo
	v_cmp_eq_u32_e32 vcc_lo, 0x40f, v6
	s_delay_alu instid0(VALU_DEP_2) | instskip(NEXT) | instid1(VALU_DEP_1)
	v_dual_cndmask_b32 v3, v4, v3 :: v_dual_lshrrev_b32 v4, 16, v5
	v_and_or_b32 v3, 0x8000, v4, v3
	s_branch .LBB190_230
.LBB190_226:
	s_mov_b32 s21, -1
                                        ; implicit-def: $vgpr3
	s_branch .LBB190_248
.LBB190_227:
	s_mov_b32 s21, -1
                                        ; implicit-def: $vgpr3
	s_branch .LBB190_236
.LBB190_228:
	s_mov_b32 s21, -1
                                        ; implicit-def: $vgpr3
	s_branch .LBB190_233
.LBB190_229:
	s_mov_b32 s21, -1
                                        ; implicit-def: $vgpr3
.LBB190_230:
	s_delay_alu instid0(SALU_CYCLE_1)
	s_and_not1_b32 vcc_lo, exec_lo, s21
	s_cbranch_vccnz .LBB190_232
; %bb.231:
	global_load_b32 v3, v[0:1], off
	s_wait_loadcnt 0x0
	v_cvt_f16_f32_e32 v3, v3
.LBB190_232:
	s_mov_b32 s21, 0
.LBB190_233:
	s_delay_alu instid0(SALU_CYCLE_1)
	s_and_not1_b32 vcc_lo, exec_lo, s21
	s_cbranch_vccnz .LBB190_235
; %bb.234:
	global_load_b32 v3, v[0:1], off
.LBB190_235:
	s_mov_b32 s21, 0
.LBB190_236:
	s_delay_alu instid0(SALU_CYCLE_1)
	s_and_not1_b32 vcc_lo, exec_lo, s21
	s_cbranch_vccnz .LBB190_247
; %bb.237:
	s_cmp_lt_i32 s0, 6
	s_cbranch_scc1 .LBB190_240
; %bb.238:
	s_cmp_gt_i32 s0, 6
	s_cbranch_scc0 .LBB190_241
; %bb.239:
	global_load_b64 v[4:5], v[0:1], off
	s_mov_b32 s21, 0
	s_wait_loadcnt 0x0
	v_and_or_b32 v3, 0x1ff, v5, v4
	v_lshrrev_b32_e32 v4, 8, v5
	v_bfe_u32 v6, v5, 20, 11
	s_delay_alu instid0(VALU_DEP_3) | instskip(NEXT) | instid1(VALU_DEP_2)
	v_cmp_ne_u32_e32 vcc_lo, 0, v3
	v_sub_nc_u32_e32 v7, 0x3f1, v6
	v_add_nc_u32_e32 v6, 0xfffffc10, v6
	v_cndmask_b32_e64 v3, 0, 1, vcc_lo
	s_delay_alu instid0(VALU_DEP_1) | instskip(NEXT) | instid1(VALU_DEP_4)
	v_and_or_b32 v3, 0xffe, v4, v3
	v_med3_i32 v4, v7, 0, 13
	s_delay_alu instid0(VALU_DEP_2) | instskip(NEXT) | instid1(VALU_DEP_1)
	v_or_b32_e32 v7, 0x1000, v3
	v_lshrrev_b32_e32 v9, v4, v7
	s_delay_alu instid0(VALU_DEP_1) | instskip(NEXT) | instid1(VALU_DEP_1)
	v_lshlrev_b32_e32 v4, v4, v9
	v_cmp_ne_u32_e32 vcc_lo, v4, v7
	v_lshl_or_b32 v7, v6, 12, v3
	v_cndmask_b32_e64 v4, 0, 1, vcc_lo
	v_cmp_gt_i32_e32 vcc_lo, 1, v6
	s_delay_alu instid0(VALU_DEP_2) | instskip(NEXT) | instid1(VALU_DEP_1)
	v_or_b32_e32 v4, v9, v4
	v_cndmask_b32_e32 v4, v7, v4, vcc_lo
	s_delay_alu instid0(VALU_DEP_1) | instskip(NEXT) | instid1(VALU_DEP_1)
	v_dual_lshrrev_b32 v4, 2, v4 :: v_dual_bitop2_b32 v7, 7, v4 bitop3:0x40
	v_cmp_lt_i32_e32 vcc_lo, 5, v7
	v_cndmask_b32_e64 v9, 0, 1, vcc_lo
	v_cmp_eq_u32_e32 vcc_lo, 3, v7
	v_cndmask_b32_e64 v7, 0, 1, vcc_lo
	v_cmp_ne_u32_e32 vcc_lo, 0, v3
	s_delay_alu instid0(VALU_DEP_2) | instskip(NEXT) | instid1(VALU_DEP_1)
	v_or_b32_e32 v7, v7, v9
	v_dual_mov_b32 v9, 0x7e00 :: v_dual_add_nc_u32 v4, v4, v7
	s_delay_alu instid0(VALU_DEP_1) | instskip(SKIP_1) | instid1(VALU_DEP_3)
	v_cndmask_b32_e32 v3, 0x7c00, v9, vcc_lo
	v_cmp_gt_i32_e32 vcc_lo, 31, v6
	v_cndmask_b32_e32 v4, 0x7c00, v4, vcc_lo
	v_cmp_eq_u32_e32 vcc_lo, 0x40f, v6
	s_delay_alu instid0(VALU_DEP_2) | instskip(NEXT) | instid1(VALU_DEP_1)
	v_dual_cndmask_b32 v3, v4, v3 :: v_dual_lshrrev_b32 v4, 16, v5
	v_and_or_b32 v3, 0x8000, v4, v3
	s_branch .LBB190_242
.LBB190_240:
	s_mov_b32 s21, -1
                                        ; implicit-def: $vgpr3
	s_branch .LBB190_245
.LBB190_241:
	s_mov_b32 s21, -1
                                        ; implicit-def: $vgpr3
.LBB190_242:
	s_delay_alu instid0(SALU_CYCLE_1)
	s_and_not1_b32 vcc_lo, exec_lo, s21
	s_cbranch_vccnz .LBB190_244
; %bb.243:
	s_wait_loadcnt 0x0
	global_load_b32 v3, v[0:1], off
	s_wait_loadcnt 0x0
	v_cvt_f16_f32_e32 v3, v3
.LBB190_244:
	s_mov_b32 s21, 0
.LBB190_245:
	s_delay_alu instid0(SALU_CYCLE_1)
	s_and_not1_b32 vcc_lo, exec_lo, s21
	s_cbranch_vccnz .LBB190_247
; %bb.246:
	s_wait_loadcnt 0x0
	global_load_u16 v3, v[0:1], off
.LBB190_247:
	s_mov_b32 s21, 0
.LBB190_248:
	s_delay_alu instid0(SALU_CYCLE_1)
	s_and_not1_b32 vcc_lo, exec_lo, s21
	s_cbranch_vccnz .LBB190_268
; %bb.249:
	s_cmp_lt_i32 s0, 2
	s_cbranch_scc1 .LBB190_253
; %bb.250:
	s_cmp_lt_i32 s0, 3
	s_cbranch_scc1 .LBB190_254
; %bb.251:
	s_cmp_gt_i32 s0, 3
	s_cbranch_scc0 .LBB190_255
; %bb.252:
	global_load_b64 v[4:5], v[0:1], off
	s_mov_b32 s21, 0
	s_wait_loadcnt 0x0
	v_xor_b32_e32 v3, v4, v5
	v_cls_i32_e32 v6, v5
	s_delay_alu instid0(VALU_DEP_2) | instskip(NEXT) | instid1(VALU_DEP_1)
	v_ashrrev_i32_e32 v3, 31, v3
	v_add_nc_u32_e32 v3, 32, v3
	s_delay_alu instid0(VALU_DEP_1) | instskip(NEXT) | instid1(VALU_DEP_1)
	v_add_min_u32_e64 v3, v6, -1, v3
	v_lshlrev_b64_e32 v[4:5], v3, v[4:5]
	v_sub_nc_u32_e32 v3, 32, v3
	s_delay_alu instid0(VALU_DEP_2) | instskip(NEXT) | instid1(VALU_DEP_1)
	v_min_u32_e32 v4, 1, v4
	v_or_b32_e32 v4, v5, v4
	s_delay_alu instid0(VALU_DEP_1) | instskip(NEXT) | instid1(VALU_DEP_1)
	v_cvt_f32_i32_e32 v4, v4
	v_ldexp_f32 v3, v4, v3
	s_delay_alu instid0(VALU_DEP_1)
	v_cvt_f16_f32_e32 v3, v3
	s_branch .LBB190_256
.LBB190_253:
	s_mov_b32 s21, -1
                                        ; implicit-def: $vgpr3
	s_branch .LBB190_262
.LBB190_254:
	s_mov_b32 s21, -1
                                        ; implicit-def: $vgpr3
	s_branch .LBB190_259
.LBB190_255:
	s_mov_b32 s21, -1
                                        ; implicit-def: $vgpr3
.LBB190_256:
	s_delay_alu instid0(SALU_CYCLE_1)
	s_and_not1_b32 vcc_lo, exec_lo, s21
	s_cbranch_vccnz .LBB190_258
; %bb.257:
	s_wait_loadcnt 0x0
	global_load_b32 v3, v[0:1], off
	s_wait_loadcnt 0x0
	v_cvt_f32_i32_e32 v3, v3
	s_delay_alu instid0(VALU_DEP_1)
	v_cvt_f16_f32_e32 v3, v3
.LBB190_258:
	s_mov_b32 s21, 0
.LBB190_259:
	s_delay_alu instid0(SALU_CYCLE_1)
	s_and_not1_b32 vcc_lo, exec_lo, s21
	s_cbranch_vccnz .LBB190_261
; %bb.260:
	s_wait_loadcnt 0x0
	global_load_u16 v3, v[0:1], off
	s_wait_loadcnt 0x0
	v_cvt_f16_i16_e32 v3, v3
.LBB190_261:
	s_mov_b32 s21, 0
.LBB190_262:
	s_delay_alu instid0(SALU_CYCLE_1)
	s_and_not1_b32 vcc_lo, exec_lo, s21
	s_cbranch_vccnz .LBB190_268
; %bb.263:
	s_cmp_gt_i32 s0, 0
	s_mov_b32 s0, 0
	s_cbranch_scc0 .LBB190_265
; %bb.264:
	s_wait_loadcnt 0x0
	global_load_i8 v3, v[0:1], off
	s_wait_loadcnt 0x0
	v_cvt_f16_i16_e32 v3, v3
	s_branch .LBB190_266
.LBB190_265:
	s_mov_b32 s0, -1
                                        ; implicit-def: $vgpr3
.LBB190_266:
	s_delay_alu instid0(SALU_CYCLE_1)
	s_and_not1_b32 vcc_lo, exec_lo, s0
	s_cbranch_vccnz .LBB190_268
; %bb.267:
	global_load_u8 v0, v[0:1], off
	s_wait_loadcnt 0x0
	v_cvt_f16_u16_e32 v3, v0
.LBB190_268:
	s_branch .LBB190_21
.LBB190_269:
	s_mov_b32 s0, 0
	s_mov_b32 s23, 0
	s_branch .LBB190_510
.LBB190_270:
	s_mov_b32 s23, -1
.LBB190_271:
	s_mov_b32 s21, 0
                                        ; implicit-def: $vgpr4
.LBB190_272:
	s_and_b32 vcc_lo, exec_lo, s28
	s_cbranch_vccz .LBB190_276
; %bb.273:
	s_cmp_eq_u32 s0, 44
	s_cbranch_scc0 .LBB190_275
; %bb.274:
	global_load_u8 v4, v[0:1], off
	s_mov_b32 s23, 0
	s_mov_b32 s21, -1
	s_wait_loadcnt 0x0
	v_lshlrev_b32_e32 v5, 23, v4
	v_cmp_ne_u32_e32 vcc_lo, 0xff, v4
	s_delay_alu instid0(VALU_DEP_2) | instskip(NEXT) | instid1(VALU_DEP_1)
	v_cvt_f16_f32_e32 v5, v5
	v_cndmask_b32_e32 v5, 0x7e00, v5, vcc_lo
	v_cmp_ne_u32_e32 vcc_lo, 0, v4
	s_delay_alu instid0(VALU_DEP_2)
	v_cndmask_b32_e32 v4, 0, v5, vcc_lo
	s_branch .LBB190_276
.LBB190_275:
	s_mov_b32 s23, -1
                                        ; implicit-def: $vgpr4
.LBB190_276:
	s_mov_b32 s28, 0
.LBB190_277:
	s_delay_alu instid0(SALU_CYCLE_1)
	s_and_b32 vcc_lo, exec_lo, s28
	s_cbranch_vccz .LBB190_281
; %bb.278:
	s_cmp_eq_u32 s0, 29
	s_cbranch_scc0 .LBB190_280
; %bb.279:
	global_load_b64 v[4:5], v[0:1], off
	s_mov_b32 s21, -1
	s_mov_b32 s23, 0
	s_mov_b32 s28, 0
	s_wait_loadcnt 0x0
	v_clz_i32_u32_e32 v6, v5
	s_delay_alu instid0(VALU_DEP_1) | instskip(NEXT) | instid1(VALU_DEP_1)
	v_min_u32_e32 v6, 32, v6
	v_lshlrev_b64_e32 v[4:5], v6, v[4:5]
	s_delay_alu instid0(VALU_DEP_1) | instskip(NEXT) | instid1(VALU_DEP_1)
	v_min_u32_e32 v4, 1, v4
	v_dual_sub_nc_u32 v5, 32, v6 :: v_dual_bitop2_b32 v4, v5, v4 bitop3:0x54
	s_delay_alu instid0(VALU_DEP_1) | instskip(NEXT) | instid1(VALU_DEP_1)
	v_cvt_f32_u32_e32 v4, v4
	v_ldexp_f32 v4, v4, v5
	s_delay_alu instid0(VALU_DEP_1)
	v_cvt_f16_f32_e32 v4, v4
	s_branch .LBB190_282
.LBB190_280:
	s_mov_b32 s23, -1
                                        ; implicit-def: $vgpr4
.LBB190_281:
	s_mov_b32 s28, 0
.LBB190_282:
	s_delay_alu instid0(SALU_CYCLE_1)
	s_and_b32 vcc_lo, exec_lo, s28
	s_cbranch_vccz .LBB190_300
; %bb.283:
	s_cmp_lt_i32 s0, 27
	s_cbranch_scc1 .LBB190_286
; %bb.284:
	s_cmp_gt_i32 s0, 27
	s_cbranch_scc0 .LBB190_287
; %bb.285:
	global_load_b32 v4, v[0:1], off
	s_mov_b32 s21, 0
	s_wait_loadcnt 0x0
	v_cvt_f32_u32_e32 v4, v4
	s_delay_alu instid0(VALU_DEP_1)
	v_cvt_f16_f32_e32 v4, v4
	s_branch .LBB190_288
.LBB190_286:
	s_mov_b32 s21, -1
                                        ; implicit-def: $vgpr4
	s_branch .LBB190_291
.LBB190_287:
	s_mov_b32 s21, -1
                                        ; implicit-def: $vgpr4
.LBB190_288:
	s_delay_alu instid0(SALU_CYCLE_1)
	s_and_not1_b32 vcc_lo, exec_lo, s21
	s_cbranch_vccnz .LBB190_290
; %bb.289:
	global_load_u16 v4, v[0:1], off
	s_wait_loadcnt 0x0
	v_cvt_f16_u16_e32 v4, v4
.LBB190_290:
	s_mov_b32 s21, 0
.LBB190_291:
	s_delay_alu instid0(SALU_CYCLE_1)
	s_and_not1_b32 vcc_lo, exec_lo, s21
	s_cbranch_vccnz .LBB190_299
; %bb.292:
	global_load_u8 v5, v[0:1], off
	s_mov_b32 s21, 0
	s_mov_b32 s28, exec_lo
	s_wait_loadcnt 0x0
	v_cmpx_lt_i16_e32 0x7f, v5
	s_xor_b32 s28, exec_lo, s28
	s_cbranch_execz .LBB190_313
; %bb.293:
	s_mov_b32 s21, -1
	s_mov_b32 s29, exec_lo
	v_cmpx_eq_u16_e32 0x80, v5
; %bb.294:
	s_xor_b32 s21, exec_lo, -1
; %bb.295:
	s_or_b32 exec_lo, exec_lo, s29
	s_delay_alu instid0(SALU_CYCLE_1)
	s_and_b32 s21, s21, exec_lo
	s_or_saveexec_b32 s28, s28
	v_mov_b32_e32 v4, 0x7e00
	s_xor_b32 exec_lo, exec_lo, s28
	s_cbranch_execnz .LBB190_314
.LBB190_296:
	s_or_b32 exec_lo, exec_lo, s28
	s_and_saveexec_b32 s28, s21
	s_cbranch_execz .LBB190_298
.LBB190_297:
	v_and_b32_e32 v4, 0xffff, v5
	s_delay_alu instid0(VALU_DEP_1) | instskip(SKIP_1) | instid1(VALU_DEP_2)
	v_and_b32_e32 v6, 7, v4
	v_bfe_u32 v10, v4, 3, 4
	v_clz_i32_u32_e32 v7, v6
	s_delay_alu instid0(VALU_DEP_2) | instskip(NEXT) | instid1(VALU_DEP_2)
	v_cmp_eq_u32_e32 vcc_lo, 0, v10
	v_min_u32_e32 v7, 32, v7
	s_delay_alu instid0(VALU_DEP_1) | instskip(NEXT) | instid1(VALU_DEP_1)
	v_subrev_nc_u32_e32 v9, 28, v7
	v_dual_lshlrev_b32 v4, v9, v4 :: v_dual_sub_nc_u32 v7, 29, v7
	s_delay_alu instid0(VALU_DEP_1) | instskip(NEXT) | instid1(VALU_DEP_2)
	v_dual_lshlrev_b32 v5, 24, v5 :: v_dual_bitop2_b32 v4, 7, v4 bitop3:0x40
	v_cndmask_b32_e32 v7, v10, v7, vcc_lo
	s_delay_alu instid0(VALU_DEP_2) | instskip(NEXT) | instid1(VALU_DEP_3)
	v_cndmask_b32_e32 v4, v6, v4, vcc_lo
	v_and_b32_e32 v5, 0x80000000, v5
	s_delay_alu instid0(VALU_DEP_3) | instskip(NEXT) | instid1(VALU_DEP_3)
	v_lshl_add_u32 v6, v7, 23, 0x3b800000
	v_lshlrev_b32_e32 v4, 20, v4
	s_delay_alu instid0(VALU_DEP_1) | instskip(NEXT) | instid1(VALU_DEP_1)
	v_or3_b32 v4, v5, v6, v4
	v_cvt_f16_f32_e32 v4, v4
.LBB190_298:
	s_or_b32 exec_lo, exec_lo, s28
.LBB190_299:
	s_mov_b32 s21, -1
.LBB190_300:
	s_mov_b32 s28, 0
.LBB190_301:
	s_delay_alu instid0(SALU_CYCLE_1)
	s_and_b32 vcc_lo, exec_lo, s28
	s_cbranch_vccz .LBB190_336
; %bb.302:
	s_cmp_gt_i32 s0, 22
	s_cbranch_scc0 .LBB190_312
; %bb.303:
	s_cmp_lt_i32 s0, 24
	s_cbranch_scc1 .LBB190_315
; %bb.304:
	s_cmp_gt_i32 s0, 24
	s_cbranch_scc0 .LBB190_316
; %bb.305:
	global_load_u8 v5, v[0:1], off
	s_mov_b32 s21, 0
	s_mov_b32 s28, exec_lo
	s_wait_loadcnt 0x0
	v_cmpx_lt_i16_e32 0x7f, v5
	s_xor_b32 s28, exec_lo, s28
	s_cbranch_execz .LBB190_328
; %bb.306:
	s_mov_b32 s21, -1
	s_mov_b32 s29, exec_lo
	v_cmpx_eq_u16_e32 0x80, v5
; %bb.307:
	s_xor_b32 s21, exec_lo, -1
; %bb.308:
	s_or_b32 exec_lo, exec_lo, s29
	s_delay_alu instid0(SALU_CYCLE_1)
	s_and_b32 s21, s21, exec_lo
	s_or_saveexec_b32 s28, s28
	v_mov_b32_e32 v4, 0x7e00
	s_xor_b32 exec_lo, exec_lo, s28
	s_cbranch_execnz .LBB190_329
.LBB190_309:
	s_or_b32 exec_lo, exec_lo, s28
	s_and_saveexec_b32 s28, s21
	s_cbranch_execz .LBB190_311
.LBB190_310:
	v_and_b32_e32 v4, 0xffff, v5
	s_delay_alu instid0(VALU_DEP_1) | instskip(SKIP_1) | instid1(VALU_DEP_2)
	v_and_b32_e32 v6, 3, v4
	v_bfe_u32 v10, v4, 2, 5
	v_clz_i32_u32_e32 v7, v6
	s_delay_alu instid0(VALU_DEP_2) | instskip(NEXT) | instid1(VALU_DEP_2)
	v_cmp_eq_u32_e32 vcc_lo, 0, v10
	v_min_u32_e32 v7, 32, v7
	s_delay_alu instid0(VALU_DEP_1) | instskip(NEXT) | instid1(VALU_DEP_1)
	v_subrev_nc_u32_e32 v9, 29, v7
	v_dual_lshlrev_b32 v4, v9, v4 :: v_dual_sub_nc_u32 v7, 30, v7
	s_delay_alu instid0(VALU_DEP_1) | instskip(NEXT) | instid1(VALU_DEP_2)
	v_dual_lshlrev_b32 v5, 24, v5 :: v_dual_bitop2_b32 v4, 3, v4 bitop3:0x40
	v_cndmask_b32_e32 v7, v10, v7, vcc_lo
	s_delay_alu instid0(VALU_DEP_2) | instskip(NEXT) | instid1(VALU_DEP_3)
	v_cndmask_b32_e32 v4, v6, v4, vcc_lo
	v_and_b32_e32 v5, 0x80000000, v5
	s_delay_alu instid0(VALU_DEP_3) | instskip(NEXT) | instid1(VALU_DEP_3)
	v_lshl_add_u32 v6, v7, 23, 0x37800000
	v_lshlrev_b32_e32 v4, 21, v4
	s_delay_alu instid0(VALU_DEP_1) | instskip(NEXT) | instid1(VALU_DEP_1)
	v_or3_b32 v4, v5, v6, v4
	v_cvt_f16_f32_e32 v4, v4
.LBB190_311:
	s_or_b32 exec_lo, exec_lo, s28
	s_mov_b32 s21, 0
	s_branch .LBB190_317
.LBB190_312:
	s_mov_b32 s28, -1
                                        ; implicit-def: $vgpr4
	s_branch .LBB190_323
.LBB190_313:
	s_or_saveexec_b32 s28, s28
	v_mov_b32_e32 v4, 0x7e00
	s_xor_b32 exec_lo, exec_lo, s28
	s_cbranch_execz .LBB190_296
.LBB190_314:
	v_cmp_ne_u16_e32 vcc_lo, 0, v5
	v_mov_b32_e32 v4, v5
	s_and_not1_b32 s21, s21, exec_lo
	s_and_b32 s29, vcc_lo, exec_lo
	s_delay_alu instid0(SALU_CYCLE_1)
	s_or_b32 s21, s21, s29
	s_or_b32 exec_lo, exec_lo, s28
	s_and_saveexec_b32 s28, s21
	s_cbranch_execnz .LBB190_297
	s_branch .LBB190_298
.LBB190_315:
	s_mov_b32 s21, -1
                                        ; implicit-def: $vgpr4
	s_branch .LBB190_320
.LBB190_316:
	s_mov_b32 s21, -1
                                        ; implicit-def: $vgpr4
.LBB190_317:
	s_delay_alu instid0(SALU_CYCLE_1)
	s_and_b32 vcc_lo, exec_lo, s21
	s_cbranch_vccz .LBB190_319
; %bb.318:
	global_load_u8 v4, v[0:1], off
	s_wait_loadcnt 0x0
	v_lshlrev_b32_e32 v4, 24, v4
	s_delay_alu instid0(VALU_DEP_1) | instskip(NEXT) | instid1(VALU_DEP_1)
	v_and_b32_e32 v5, 0x7f000000, v4
	v_clz_i32_u32_e32 v6, v5
	v_add_nc_u32_e32 v9, 0x1000000, v5
	v_cmp_ne_u32_e32 vcc_lo, 0, v5
	s_delay_alu instid0(VALU_DEP_3) | instskip(NEXT) | instid1(VALU_DEP_1)
	v_min_u32_e32 v6, 32, v6
	v_sub_nc_u32_e64 v6, v6, 4 clamp
	s_delay_alu instid0(VALU_DEP_1) | instskip(NEXT) | instid1(VALU_DEP_1)
	v_dual_lshlrev_b32 v7, v6, v5 :: v_dual_lshlrev_b32 v6, 23, v6
	v_lshrrev_b32_e32 v7, 4, v7
	s_delay_alu instid0(VALU_DEP_1) | instskip(NEXT) | instid1(VALU_DEP_1)
	v_dual_sub_nc_u32 v6, v7, v6 :: v_dual_ashrrev_i32 v7, 8, v9
	v_add_nc_u32_e32 v6, 0x3c000000, v6
	s_delay_alu instid0(VALU_DEP_1) | instskip(NEXT) | instid1(VALU_DEP_1)
	v_and_or_b32 v6, 0x7f800000, v7, v6
	v_cndmask_b32_e32 v5, 0, v6, vcc_lo
	s_delay_alu instid0(VALU_DEP_1) | instskip(NEXT) | instid1(VALU_DEP_1)
	v_and_or_b32 v4, 0x80000000, v4, v5
	v_cvt_f16_f32_e32 v4, v4
.LBB190_319:
	s_mov_b32 s21, 0
.LBB190_320:
	s_delay_alu instid0(SALU_CYCLE_1)
	s_and_not1_b32 vcc_lo, exec_lo, s21
	s_cbranch_vccnz .LBB190_322
; %bb.321:
	global_load_u8 v4, v[0:1], off
	s_wait_loadcnt 0x0
	v_lshlrev_b32_e32 v5, 25, v4
	v_lshlrev_b16 v4, 8, v4
	s_delay_alu instid0(VALU_DEP_1) | instskip(SKIP_1) | instid1(VALU_DEP_2)
	v_and_or_b32 v7, 0x7f00, v4, 0.5
	v_bfe_i32 v4, v4, 0, 16
	v_dual_add_f32 v7, -0.5, v7 :: v_dual_lshrrev_b32 v6, 4, v5
	v_cmp_gt_u32_e32 vcc_lo, 0x8000000, v5
	s_delay_alu instid0(VALU_DEP_2) | instskip(NEXT) | instid1(VALU_DEP_1)
	v_or_b32_e32 v6, 0x70000000, v6
	v_mul_f32_e32 v6, 0x7800000, v6
	s_delay_alu instid0(VALU_DEP_1) | instskip(NEXT) | instid1(VALU_DEP_1)
	v_cndmask_b32_e32 v5, v6, v7, vcc_lo
	v_and_or_b32 v4, 0x80000000, v4, v5
	s_delay_alu instid0(VALU_DEP_1)
	v_cvt_f16_f32_e32 v4, v4
.LBB190_322:
	s_mov_b32 s28, 0
	s_mov_b32 s21, -1
.LBB190_323:
	s_and_not1_b32 vcc_lo, exec_lo, s28
	s_cbranch_vccnz .LBB190_336
; %bb.324:
	s_cmp_gt_i32 s0, 14
	s_cbranch_scc0 .LBB190_327
; %bb.325:
	s_cmp_eq_u32 s0, 15
	s_cbranch_scc0 .LBB190_330
; %bb.326:
	global_load_u16 v4, v[0:1], off
	s_mov_b32 s21, -1
	s_mov_b32 s23, 0
	s_wait_loadcnt 0x0
	v_lshlrev_b32_e32 v4, 16, v4
	s_delay_alu instid0(VALU_DEP_1)
	v_cvt_f16_f32_e32 v4, v4
	s_branch .LBB190_331
.LBB190_327:
	s_mov_b32 s28, -1
                                        ; implicit-def: $vgpr4
	s_branch .LBB190_332
.LBB190_328:
	s_or_saveexec_b32 s28, s28
	v_mov_b32_e32 v4, 0x7e00
	s_xor_b32 exec_lo, exec_lo, s28
	s_cbranch_execz .LBB190_309
.LBB190_329:
	v_cmp_ne_u16_e32 vcc_lo, 0, v5
	v_mov_b32_e32 v4, v5
	s_and_not1_b32 s21, s21, exec_lo
	s_and_b32 s29, vcc_lo, exec_lo
	s_delay_alu instid0(SALU_CYCLE_1)
	s_or_b32 s21, s21, s29
	s_or_b32 exec_lo, exec_lo, s28
	s_and_saveexec_b32 s28, s21
	s_cbranch_execnz .LBB190_310
	s_branch .LBB190_311
.LBB190_330:
	s_mov_b32 s23, -1
                                        ; implicit-def: $vgpr4
.LBB190_331:
	s_mov_b32 s28, 0
.LBB190_332:
	s_delay_alu instid0(SALU_CYCLE_1)
	s_and_b32 vcc_lo, exec_lo, s28
	s_cbranch_vccz .LBB190_336
; %bb.333:
	s_cmp_eq_u32 s0, 11
	s_cbranch_scc0 .LBB190_335
; %bb.334:
	global_load_u8 v4, v[0:1], off
	s_mov_b32 s23, 0
	s_mov_b32 s21, -1
	s_wait_loadcnt 0x0
	v_cmp_ne_u16_e32 vcc_lo, 0, v4
	v_cndmask_b32_e64 v4, 0, 0x3c00, vcc_lo
	s_branch .LBB190_336
.LBB190_335:
	s_mov_b32 s23, -1
                                        ; implicit-def: $vgpr4
.LBB190_336:
	s_mov_b32 s28, 0
.LBB190_337:
	s_delay_alu instid0(SALU_CYCLE_1)
	s_and_b32 vcc_lo, exec_lo, s28
	s_cbranch_vccz .LBB190_386
; %bb.338:
	s_cmp_lt_i32 s0, 5
	s_cbranch_scc1 .LBB190_343
; %bb.339:
	s_cmp_lt_i32 s0, 8
	s_cbranch_scc1 .LBB190_344
	;; [unrolled: 3-line block ×3, first 2 shown]
; %bb.341:
	s_cmp_gt_i32 s0, 9
	s_cbranch_scc0 .LBB190_346
; %bb.342:
	global_load_b64 v[4:5], v[0:1], off
	s_mov_b32 s21, 0
	s_wait_loadcnt 0x0
	v_and_or_b32 v4, 0x1ff, v5, v4
	v_lshrrev_b32_e32 v6, 8, v5
	v_bfe_u32 v7, v5, 20, 11
	v_lshrrev_b32_e32 v5, 16, v5
	s_delay_alu instid0(VALU_DEP_4) | instskip(NEXT) | instid1(VALU_DEP_3)
	v_cmp_ne_u32_e32 vcc_lo, 0, v4
	v_sub_nc_u32_e32 v9, 0x3f1, v7
	v_add_nc_u32_e32 v7, 0xfffffc10, v7
	v_cndmask_b32_e64 v4, 0, 1, vcc_lo
	s_delay_alu instid0(VALU_DEP_1) | instskip(NEXT) | instid1(VALU_DEP_4)
	v_and_or_b32 v4, 0xffe, v6, v4
	v_med3_i32 v6, v9, 0, 13
	s_delay_alu instid0(VALU_DEP_2) | instskip(NEXT) | instid1(VALU_DEP_1)
	v_or_b32_e32 v9, 0x1000, v4
	v_lshrrev_b32_e32 v10, v6, v9
	s_delay_alu instid0(VALU_DEP_1) | instskip(NEXT) | instid1(VALU_DEP_1)
	v_lshlrev_b32_e32 v6, v6, v10
	v_cmp_ne_u32_e32 vcc_lo, v6, v9
	v_lshl_or_b32 v9, v7, 12, v4
	v_cndmask_b32_e64 v6, 0, 1, vcc_lo
	v_cmp_gt_i32_e32 vcc_lo, 1, v7
	s_delay_alu instid0(VALU_DEP_2) | instskip(NEXT) | instid1(VALU_DEP_1)
	v_or_b32_e32 v6, v10, v6
	v_cndmask_b32_e32 v6, v9, v6, vcc_lo
	s_delay_alu instid0(VALU_DEP_1) | instskip(NEXT) | instid1(VALU_DEP_1)
	v_dual_lshrrev_b32 v6, 2, v6 :: v_dual_bitop2_b32 v9, 7, v6 bitop3:0x40
	v_cmp_lt_i32_e32 vcc_lo, 5, v9
	v_cndmask_b32_e64 v10, 0, 1, vcc_lo
	v_cmp_eq_u32_e32 vcc_lo, 3, v9
	v_cndmask_b32_e64 v9, 0, 1, vcc_lo
	v_cmp_ne_u32_e32 vcc_lo, 0, v4
	s_delay_alu instid0(VALU_DEP_2) | instskip(SKIP_1) | instid1(VALU_DEP_2)
	v_or_b32_e32 v9, v9, v10
	v_mov_b32_e32 v10, 0x7e00
	v_add_nc_u32_e32 v6, v6, v9
	s_delay_alu instid0(VALU_DEP_2) | instskip(SKIP_1) | instid1(VALU_DEP_3)
	v_cndmask_b32_e32 v4, 0x7c00, v10, vcc_lo
	v_cmp_gt_i32_e32 vcc_lo, 31, v7
	v_cndmask_b32_e32 v6, 0x7c00, v6, vcc_lo
	v_cmp_eq_u32_e32 vcc_lo, 0x40f, v7
	s_delay_alu instid0(VALU_DEP_2) | instskip(NEXT) | instid1(VALU_DEP_1)
	v_cndmask_b32_e32 v4, v6, v4, vcc_lo
	v_and_or_b32 v4, 0x8000, v5, v4
	s_branch .LBB190_347
.LBB190_343:
	s_mov_b32 s21, -1
                                        ; implicit-def: $vgpr4
	s_branch .LBB190_365
.LBB190_344:
	s_mov_b32 s21, -1
                                        ; implicit-def: $vgpr4
	s_branch .LBB190_353
.LBB190_345:
	s_mov_b32 s21, -1
                                        ; implicit-def: $vgpr4
	s_branch .LBB190_350
.LBB190_346:
	s_mov_b32 s21, -1
                                        ; implicit-def: $vgpr4
.LBB190_347:
	s_delay_alu instid0(SALU_CYCLE_1)
	s_and_not1_b32 vcc_lo, exec_lo, s21
	s_cbranch_vccnz .LBB190_349
; %bb.348:
	global_load_b32 v4, v[0:1], off
	s_wait_loadcnt 0x0
	v_cvt_f16_f32_e32 v4, v4
.LBB190_349:
	s_mov_b32 s21, 0
.LBB190_350:
	s_delay_alu instid0(SALU_CYCLE_1)
	s_and_not1_b32 vcc_lo, exec_lo, s21
	s_cbranch_vccnz .LBB190_352
; %bb.351:
	global_load_b32 v4, v[0:1], off
.LBB190_352:
	s_mov_b32 s21, 0
.LBB190_353:
	s_delay_alu instid0(SALU_CYCLE_1)
	s_and_not1_b32 vcc_lo, exec_lo, s21
	s_cbranch_vccnz .LBB190_364
; %bb.354:
	s_cmp_lt_i32 s0, 6
	s_cbranch_scc1 .LBB190_357
; %bb.355:
	s_cmp_gt_i32 s0, 6
	s_cbranch_scc0 .LBB190_358
; %bb.356:
	s_wait_loadcnt 0x0
	global_load_b64 v[4:5], v[0:1], off
	s_mov_b32 s21, 0
	s_wait_loadcnt 0x0
	v_and_or_b32 v4, 0x1ff, v5, v4
	v_lshrrev_b32_e32 v6, 8, v5
	v_bfe_u32 v7, v5, 20, 11
	v_lshrrev_b32_e32 v5, 16, v5
	s_delay_alu instid0(VALU_DEP_4) | instskip(NEXT) | instid1(VALU_DEP_3)
	v_cmp_ne_u32_e32 vcc_lo, 0, v4
	v_sub_nc_u32_e32 v9, 0x3f1, v7
	v_add_nc_u32_e32 v7, 0xfffffc10, v7
	v_cndmask_b32_e64 v4, 0, 1, vcc_lo
	s_delay_alu instid0(VALU_DEP_1) | instskip(NEXT) | instid1(VALU_DEP_4)
	v_and_or_b32 v4, 0xffe, v6, v4
	v_med3_i32 v6, v9, 0, 13
	s_delay_alu instid0(VALU_DEP_2) | instskip(NEXT) | instid1(VALU_DEP_1)
	v_or_b32_e32 v9, 0x1000, v4
	v_lshrrev_b32_e32 v10, v6, v9
	s_delay_alu instid0(VALU_DEP_1) | instskip(NEXT) | instid1(VALU_DEP_1)
	v_lshlrev_b32_e32 v6, v6, v10
	v_cmp_ne_u32_e32 vcc_lo, v6, v9
	v_lshl_or_b32 v9, v7, 12, v4
	v_cndmask_b32_e64 v6, 0, 1, vcc_lo
	v_cmp_gt_i32_e32 vcc_lo, 1, v7
	s_delay_alu instid0(VALU_DEP_2) | instskip(NEXT) | instid1(VALU_DEP_1)
	v_or_b32_e32 v6, v10, v6
	v_cndmask_b32_e32 v6, v9, v6, vcc_lo
	s_delay_alu instid0(VALU_DEP_1) | instskip(NEXT) | instid1(VALU_DEP_1)
	v_dual_lshrrev_b32 v6, 2, v6 :: v_dual_bitop2_b32 v9, 7, v6 bitop3:0x40
	v_cmp_lt_i32_e32 vcc_lo, 5, v9
	v_cndmask_b32_e64 v10, 0, 1, vcc_lo
	v_cmp_eq_u32_e32 vcc_lo, 3, v9
	v_cndmask_b32_e64 v9, 0, 1, vcc_lo
	v_cmp_ne_u32_e32 vcc_lo, 0, v4
	s_delay_alu instid0(VALU_DEP_2) | instskip(SKIP_1) | instid1(VALU_DEP_2)
	v_or_b32_e32 v9, v9, v10
	v_mov_b32_e32 v10, 0x7e00
	v_add_nc_u32_e32 v6, v6, v9
	s_delay_alu instid0(VALU_DEP_2) | instskip(SKIP_1) | instid1(VALU_DEP_3)
	v_cndmask_b32_e32 v4, 0x7c00, v10, vcc_lo
	v_cmp_gt_i32_e32 vcc_lo, 31, v7
	v_cndmask_b32_e32 v6, 0x7c00, v6, vcc_lo
	v_cmp_eq_u32_e32 vcc_lo, 0x40f, v7
	s_delay_alu instid0(VALU_DEP_2) | instskip(NEXT) | instid1(VALU_DEP_1)
	v_cndmask_b32_e32 v4, v6, v4, vcc_lo
	v_and_or_b32 v4, 0x8000, v5, v4
	s_branch .LBB190_359
.LBB190_357:
	s_mov_b32 s21, -1
                                        ; implicit-def: $vgpr4
	s_branch .LBB190_362
.LBB190_358:
	s_mov_b32 s21, -1
                                        ; implicit-def: $vgpr4
.LBB190_359:
	s_delay_alu instid0(SALU_CYCLE_1)
	s_and_not1_b32 vcc_lo, exec_lo, s21
	s_cbranch_vccnz .LBB190_361
; %bb.360:
	s_wait_loadcnt 0x0
	global_load_b32 v4, v[0:1], off
	s_wait_loadcnt 0x0
	v_cvt_f16_f32_e32 v4, v4
.LBB190_361:
	s_mov_b32 s21, 0
.LBB190_362:
	s_delay_alu instid0(SALU_CYCLE_1)
	s_and_not1_b32 vcc_lo, exec_lo, s21
	s_cbranch_vccnz .LBB190_364
; %bb.363:
	s_wait_loadcnt 0x0
	global_load_u16 v4, v[0:1], off
.LBB190_364:
	s_mov_b32 s21, 0
.LBB190_365:
	s_delay_alu instid0(SALU_CYCLE_1)
	s_and_not1_b32 vcc_lo, exec_lo, s21
	s_cbranch_vccnz .LBB190_385
; %bb.366:
	s_cmp_lt_i32 s0, 2
	s_cbranch_scc1 .LBB190_370
; %bb.367:
	s_cmp_lt_i32 s0, 3
	s_cbranch_scc1 .LBB190_371
; %bb.368:
	s_cmp_gt_i32 s0, 3
	s_cbranch_scc0 .LBB190_372
; %bb.369:
	s_wait_loadcnt 0x0
	global_load_b64 v[4:5], v[0:1], off
	s_mov_b32 s21, 0
	s_wait_loadcnt 0x0
	v_xor_b32_e32 v6, v4, v5
	v_cls_i32_e32 v7, v5
	s_delay_alu instid0(VALU_DEP_2) | instskip(NEXT) | instid1(VALU_DEP_1)
	v_ashrrev_i32_e32 v6, 31, v6
	v_add_nc_u32_e32 v6, 32, v6
	s_delay_alu instid0(VALU_DEP_1) | instskip(NEXT) | instid1(VALU_DEP_1)
	v_add_min_u32_e64 v6, v7, -1, v6
	v_lshlrev_b64_e32 v[4:5], v6, v[4:5]
	s_delay_alu instid0(VALU_DEP_1) | instskip(NEXT) | instid1(VALU_DEP_1)
	v_min_u32_e32 v4, 1, v4
	v_dual_sub_nc_u32 v5, 32, v6 :: v_dual_bitop2_b32 v4, v5, v4 bitop3:0x54
	s_delay_alu instid0(VALU_DEP_1) | instskip(NEXT) | instid1(VALU_DEP_1)
	v_cvt_f32_i32_e32 v4, v4
	v_ldexp_f32 v4, v4, v5
	s_delay_alu instid0(VALU_DEP_1)
	v_cvt_f16_f32_e32 v4, v4
	s_branch .LBB190_373
.LBB190_370:
	s_mov_b32 s21, -1
                                        ; implicit-def: $vgpr4
	s_branch .LBB190_379
.LBB190_371:
	s_mov_b32 s21, -1
                                        ; implicit-def: $vgpr4
	s_branch .LBB190_376
.LBB190_372:
	s_mov_b32 s21, -1
                                        ; implicit-def: $vgpr4
.LBB190_373:
	s_delay_alu instid0(SALU_CYCLE_1)
	s_and_not1_b32 vcc_lo, exec_lo, s21
	s_cbranch_vccnz .LBB190_375
; %bb.374:
	s_wait_loadcnt 0x0
	global_load_b32 v4, v[0:1], off
	s_wait_loadcnt 0x0
	v_cvt_f32_i32_e32 v4, v4
	s_delay_alu instid0(VALU_DEP_1)
	v_cvt_f16_f32_e32 v4, v4
.LBB190_375:
	s_mov_b32 s21, 0
.LBB190_376:
	s_delay_alu instid0(SALU_CYCLE_1)
	s_and_not1_b32 vcc_lo, exec_lo, s21
	s_cbranch_vccnz .LBB190_378
; %bb.377:
	s_wait_loadcnt 0x0
	global_load_u16 v4, v[0:1], off
	s_wait_loadcnt 0x0
	v_cvt_f16_i16_e32 v4, v4
.LBB190_378:
	s_mov_b32 s21, 0
.LBB190_379:
	s_delay_alu instid0(SALU_CYCLE_1)
	s_and_not1_b32 vcc_lo, exec_lo, s21
	s_cbranch_vccnz .LBB190_385
; %bb.380:
	s_cmp_gt_i32 s0, 0
	s_mov_b32 s0, 0
	s_cbranch_scc0 .LBB190_382
; %bb.381:
	s_wait_loadcnt 0x0
	global_load_i8 v4, v[0:1], off
	s_wait_loadcnt 0x0
	v_cvt_f16_i16_e32 v4, v4
	s_branch .LBB190_383
.LBB190_382:
	s_mov_b32 s0, -1
                                        ; implicit-def: $vgpr4
.LBB190_383:
	s_delay_alu instid0(SALU_CYCLE_1)
	s_and_not1_b32 vcc_lo, exec_lo, s0
	s_cbranch_vccnz .LBB190_385
; %bb.384:
	global_load_u8 v0, v[0:1], off
	s_wait_loadcnt 0x0
	v_cvt_f16_u16_e32 v4, v0
.LBB190_385:
	s_mov_b32 s21, -1
.LBB190_386:
	s_delay_alu instid0(SALU_CYCLE_1)
	s_and_not1_b32 vcc_lo, exec_lo, s21
	s_cbranch_vccnz .LBB190_394
; %bb.387:
	s_wait_xcnt 0x0
	v_mul_lo_u32 v0, v8, s12
	s_wait_loadcnt 0x0
	v_mul_f16_e32 v3, s1, v3
	s_and_b32 s21, s3, 0xff
	s_delay_alu instid0(SALU_CYCLE_1) | instskip(NEXT) | instid1(VALU_DEP_1)
	s_cmp_lt_i32 s21, 11
	v_mul_f16_e32 v3, v3, v4
	s_delay_alu instid0(VALU_DEP_1) | instskip(NEXT) | instid1(VALU_DEP_4)
	v_fmac_f16_e32 v3, s2, v2
	v_ashrrev_i32_e32 v1, 31, v0
	s_delay_alu instid0(VALU_DEP_1)
	v_add_nc_u64_e32 v[0:1], s[4:5], v[0:1]
	s_cbranch_scc1 .LBB190_395
; %bb.388:
	s_and_b32 s28, 0xffff, s21
	s_delay_alu instid0(SALU_CYCLE_1)
	s_cmp_gt_i32 s28, 25
	s_cbranch_scc0 .LBB190_396
; %bb.389:
	s_cmp_gt_i32 s28, 28
	s_cbranch_scc0 .LBB190_397
; %bb.390:
	s_cmp_gt_i32 s28, 43
	s_cbranch_scc0 .LBB190_398
; %bb.391:
	s_cmp_gt_i32 s28, 45
	s_cbranch_scc0 .LBB190_399
; %bb.392:
	s_mov_b32 s30, 0
	s_mov_b32 s0, -1
	s_cmp_eq_u32 s28, 46
	s_mov_b32 s29, 0
	s_cbranch_scc0 .LBB190_400
; %bb.393:
	v_cvt_f32_f16_e32 v2, v3
	v_cmp_o_f16_e32 vcc_lo, v3, v3
	s_mov_b32 s29, -1
	s_mov_b32 s0, 0
	s_delay_alu instid0(VALU_DEP_2) | instskip(NEXT) | instid1(VALU_DEP_1)
	v_bfe_u32 v4, v2, 16, 1
	v_add3_u32 v2, v2, v4, 0x7fff
	s_delay_alu instid0(VALU_DEP_1) | instskip(NEXT) | instid1(VALU_DEP_1)
	v_lshrrev_b32_e32 v2, 16, v2
	v_cndmask_b32_e32 v2, 0x7fc0, v2, vcc_lo
	global_store_b32 v[0:1], v2, off
	s_branch .LBB190_400
.LBB190_394:
	s_mov_b32 s0, 0
	s_branch .LBB190_510
.LBB190_395:
	s_mov_b32 s28, -1
	s_mov_b32 s0, 0
	s_mov_b32 s29, 0
	s_branch .LBB190_469
.LBB190_396:
	s_mov_b32 s0, 0
	s_mov_b32 s29, 0
	s_branch .LBB190_427
.LBB190_397:
	s_mov_b32 s0, 0
	s_mov_b32 s29, 0
	s_branch .LBB190_410
.LBB190_398:
	s_mov_b32 s0, 0
	s_mov_b32 s29, 0
	s_branch .LBB190_406
.LBB190_399:
	s_mov_b32 s0, 0
	s_mov_b32 s29, 0
.LBB190_400:
	s_and_b32 vcc_lo, exec_lo, s30
	s_cbranch_vccz .LBB190_405
; %bb.401:
	s_cmp_eq_u32 s28, 44
	s_mov_b32 s0, -1
	s_cbranch_scc0 .LBB190_405
; %bb.402:
	s_wait_xcnt 0x0
	v_cvt_f32_f16_e32 v2, v3
	v_mov_b32_e32 v4, 0xff
	s_mov_b32 s29, exec_lo
	s_delay_alu instid0(VALU_DEP_2) | instskip(NEXT) | instid1(VALU_DEP_1)
	v_bfe_u32 v5, v2, 23, 8
	v_cmpx_ne_u32_e32 0xff, v5
	s_cbranch_execz .LBB190_404
; %bb.403:
	v_and_b32_e32 v4, 0x400000, v2
	v_and_or_b32 v5, 0x3fffff, v2, v5
	v_lshrrev_b32_e32 v2, 23, v2
	s_delay_alu instid0(VALU_DEP_3) | instskip(NEXT) | instid1(VALU_DEP_3)
	v_cmp_ne_u32_e32 vcc_lo, 0, v4
	v_cmp_ne_u32_e64 s0, 0, v5
	s_and_b32 s0, vcc_lo, s0
	s_delay_alu instid0(SALU_CYCLE_1) | instskip(NEXT) | instid1(VALU_DEP_1)
	v_cndmask_b32_e64 v4, 0, 1, s0
	v_add_nc_u32_e32 v4, v2, v4
.LBB190_404:
	s_or_b32 exec_lo, exec_lo, s29
	s_mov_b32 s29, -1
	s_mov_b32 s0, 0
	global_store_b8 v[0:1], v4, off
.LBB190_405:
	s_mov_b32 s30, 0
.LBB190_406:
	s_delay_alu instid0(SALU_CYCLE_1)
	s_and_b32 vcc_lo, exec_lo, s30
	s_cbranch_vccz .LBB190_409
; %bb.407:
	s_cmp_eq_u32 s28, 29
	s_mov_b32 s0, -1
	s_cbranch_scc0 .LBB190_409
; %bb.408:
	s_wait_xcnt 0x0
	v_cvt_f32_f16_e32 v2, v3
	v_mov_b32_e32 v5, 0
	s_mov_b32 s29, -1
	s_mov_b32 s0, 0
	s_mov_b32 s30, 0
	v_cvt_u32_f32_e32 v4, v2
	global_store_b64 v[0:1], v[4:5], off
	s_branch .LBB190_410
.LBB190_409:
	s_mov_b32 s30, 0
.LBB190_410:
	s_delay_alu instid0(SALU_CYCLE_1)
	s_and_b32 vcc_lo, exec_lo, s30
	s_cbranch_vccz .LBB190_426
; %bb.411:
	s_cmp_lt_i32 s28, 27
	s_mov_b32 s29, -1
	s_cbranch_scc1 .LBB190_417
; %bb.412:
	s_cmp_gt_i32 s28, 27
	s_cbranch_scc0 .LBB190_414
; %bb.413:
	s_wait_xcnt 0x0
	v_cvt_f32_f16_e32 v2, v3
	s_mov_b32 s29, 0
	s_delay_alu instid0(VALU_DEP_1)
	v_cvt_u32_f32_e32 v2, v2
	global_store_b32 v[0:1], v2, off
.LBB190_414:
	s_and_not1_b32 vcc_lo, exec_lo, s29
	s_cbranch_vccnz .LBB190_416
; %bb.415:
	s_wait_xcnt 0x0
	v_cvt_u16_f16_e32 v2, v3
	global_store_b16 v[0:1], v2, off
.LBB190_416:
	s_mov_b32 s29, 0
.LBB190_417:
	s_delay_alu instid0(SALU_CYCLE_1)
	s_and_not1_b32 vcc_lo, exec_lo, s29
	s_cbranch_vccnz .LBB190_425
; %bb.418:
	s_wait_xcnt 0x0
	v_cvt_f32_f16_e32 v2, v3
	v_mov_b32_e32 v5, 0x80
	s_mov_b32 s29, exec_lo
	s_delay_alu instid0(VALU_DEP_2) | instskip(NEXT) | instid1(VALU_DEP_1)
	v_and_b32_e32 v4, 0x7fffffff, v2
	v_cmpx_gt_u32_e32 0x43800000, v4
	s_cbranch_execz .LBB190_424
; %bb.419:
	v_cmp_lt_u32_e32 vcc_lo, 0x3bffffff, v4
	s_mov_b32 s30, 0
                                        ; implicit-def: $vgpr4
	s_and_saveexec_b32 s31, vcc_lo
	s_delay_alu instid0(SALU_CYCLE_1)
	s_xor_b32 s31, exec_lo, s31
	s_cbranch_execz .LBB190_658
; %bb.420:
	v_bfe_u32 v4, v2, 20, 1
	s_mov_b32 s30, exec_lo
	s_delay_alu instid0(VALU_DEP_1) | instskip(NEXT) | instid1(VALU_DEP_1)
	v_add3_u32 v4, v2, v4, 0x487ffff
	v_lshrrev_b32_e32 v4, 20, v4
	s_and_not1_saveexec_b32 s31, s31
	s_cbranch_execnz .LBB190_659
.LBB190_421:
	s_or_b32 exec_lo, exec_lo, s31
	v_mov_b32_e32 v5, 0
	s_and_saveexec_b32 s31, s30
.LBB190_422:
	v_lshrrev_b32_e32 v2, 24, v2
	s_delay_alu instid0(VALU_DEP_1)
	v_and_or_b32 v5, 0x80, v2, v4
.LBB190_423:
	s_or_b32 exec_lo, exec_lo, s31
.LBB190_424:
	s_delay_alu instid0(SALU_CYCLE_1)
	s_or_b32 exec_lo, exec_lo, s29
	global_store_b8 v[0:1], v5, off
.LBB190_425:
	s_mov_b32 s29, -1
.LBB190_426:
	s_mov_b32 s30, 0
.LBB190_427:
	s_delay_alu instid0(SALU_CYCLE_1)
	s_and_b32 vcc_lo, exec_lo, s30
	s_cbranch_vccz .LBB190_468
; %bb.428:
	s_cmp_gt_i32 s28, 22
	s_mov_b32 s30, -1
	s_cbranch_scc0 .LBB190_460
; %bb.429:
	s_cmp_lt_i32 s28, 24
	s_mov_b32 s29, -1
	s_cbranch_scc1 .LBB190_449
; %bb.430:
	s_cmp_gt_i32 s28, 24
	s_cbranch_scc0 .LBB190_438
; %bb.431:
	s_wait_xcnt 0x0
	v_cvt_f32_f16_e32 v2, v3
	v_mov_b32_e32 v5, 0x80
	s_mov_b32 s29, exec_lo
	s_delay_alu instid0(VALU_DEP_2) | instskip(NEXT) | instid1(VALU_DEP_1)
	v_and_b32_e32 v4, 0x7fffffff, v2
	v_cmpx_gt_u32_e32 0x47800000, v4
	s_cbranch_execz .LBB190_437
; %bb.432:
	v_cmp_lt_u32_e32 vcc_lo, 0x37ffffff, v4
	s_mov_b32 s30, 0
                                        ; implicit-def: $vgpr4
	s_and_saveexec_b32 s31, vcc_lo
	s_delay_alu instid0(SALU_CYCLE_1)
	s_xor_b32 s31, exec_lo, s31
	s_cbranch_execz .LBB190_790
; %bb.433:
	v_bfe_u32 v4, v2, 21, 1
	s_mov_b32 s30, exec_lo
	s_delay_alu instid0(VALU_DEP_1) | instskip(NEXT) | instid1(VALU_DEP_1)
	v_add3_u32 v4, v2, v4, 0x88fffff
	v_lshrrev_b32_e32 v4, 21, v4
	s_and_not1_saveexec_b32 s31, s31
	s_cbranch_execnz .LBB190_791
.LBB190_434:
	s_or_b32 exec_lo, exec_lo, s31
	v_mov_b32_e32 v5, 0
	s_and_saveexec_b32 s31, s30
.LBB190_435:
	v_lshrrev_b32_e32 v2, 24, v2
	s_delay_alu instid0(VALU_DEP_1)
	v_and_or_b32 v5, 0x80, v2, v4
.LBB190_436:
	s_or_b32 exec_lo, exec_lo, s31
.LBB190_437:
	s_delay_alu instid0(SALU_CYCLE_1)
	s_or_b32 exec_lo, exec_lo, s29
	s_mov_b32 s29, 0
	global_store_b8 v[0:1], v5, off
.LBB190_438:
	s_and_b32 vcc_lo, exec_lo, s29
	s_cbranch_vccz .LBB190_448
; %bb.439:
	s_wait_xcnt 0x0
	v_cvt_f32_f16_e32 v2, v3
	s_mov_b32 s29, exec_lo
                                        ; implicit-def: $vgpr4
	s_delay_alu instid0(VALU_DEP_1) | instskip(NEXT) | instid1(VALU_DEP_1)
	v_and_b32_e32 v5, 0x7fffffff, v2
	v_cmpx_gt_u32_e32 0x43f00000, v5
	s_xor_b32 s29, exec_lo, s29
	s_cbranch_execz .LBB190_445
; %bb.440:
	s_mov_b32 s30, exec_lo
                                        ; implicit-def: $vgpr4
	v_cmpx_lt_u32_e32 0x3c7fffff, v5
	s_xor_b32 s30, exec_lo, s30
; %bb.441:
	v_bfe_u32 v4, v2, 20, 1
	s_delay_alu instid0(VALU_DEP_1) | instskip(NEXT) | instid1(VALU_DEP_1)
	v_add3_u32 v4, v2, v4, 0x407ffff
	v_and_b32_e32 v5, 0xff00000, v4
	v_lshrrev_b32_e32 v4, 20, v4
	s_delay_alu instid0(VALU_DEP_2) | instskip(NEXT) | instid1(VALU_DEP_2)
	v_cmp_ne_u32_e32 vcc_lo, 0x7f00000, v5
	v_cndmask_b32_e32 v4, 0x7e, v4, vcc_lo
; %bb.442:
	s_and_not1_saveexec_b32 s30, s30
; %bb.443:
	v_add_f32_e64 v4, 0x46800000, |v2|
; %bb.444:
	s_or_b32 exec_lo, exec_lo, s30
                                        ; implicit-def: $vgpr5
.LBB190_445:
	s_and_not1_saveexec_b32 s29, s29
; %bb.446:
	v_mov_b32_e32 v4, 0x7f
	v_cmp_lt_u32_e32 vcc_lo, 0x7f800000, v5
	s_delay_alu instid0(VALU_DEP_2)
	v_cndmask_b32_e32 v4, 0x7e, v4, vcc_lo
; %bb.447:
	s_or_b32 exec_lo, exec_lo, s29
	v_lshrrev_b32_e32 v2, 24, v2
	s_delay_alu instid0(VALU_DEP_1)
	v_and_or_b32 v2, 0x80, v2, v4
	global_store_b8 v[0:1], v2, off
.LBB190_448:
	s_mov_b32 s29, 0
.LBB190_449:
	s_delay_alu instid0(SALU_CYCLE_1)
	s_and_not1_b32 vcc_lo, exec_lo, s29
	s_cbranch_vccnz .LBB190_459
; %bb.450:
	s_wait_xcnt 0x0
	v_cvt_f32_f16_e32 v2, v3
	s_mov_b32 s29, exec_lo
                                        ; implicit-def: $vgpr4
	s_delay_alu instid0(VALU_DEP_1) | instskip(NEXT) | instid1(VALU_DEP_1)
	v_and_b32_e32 v5, 0x7fffffff, v2
	v_cmpx_gt_u32_e32 0x47800000, v5
	s_xor_b32 s29, exec_lo, s29
	s_cbranch_execz .LBB190_456
; %bb.451:
	s_mov_b32 s30, exec_lo
                                        ; implicit-def: $vgpr4
	v_cmpx_lt_u32_e32 0x387fffff, v5
	s_xor_b32 s30, exec_lo, s30
; %bb.452:
	v_bfe_u32 v4, v2, 21, 1
	s_delay_alu instid0(VALU_DEP_1) | instskip(NEXT) | instid1(VALU_DEP_1)
	v_add3_u32 v4, v2, v4, 0x80fffff
	v_lshrrev_b32_e32 v4, 21, v4
; %bb.453:
	s_and_not1_saveexec_b32 s30, s30
; %bb.454:
	v_add_f32_e64 v4, 0x43000000, |v2|
; %bb.455:
	s_or_b32 exec_lo, exec_lo, s30
                                        ; implicit-def: $vgpr5
.LBB190_456:
	s_and_not1_saveexec_b32 s29, s29
; %bb.457:
	v_mov_b32_e32 v4, 0x7f
	v_cmp_lt_u32_e32 vcc_lo, 0x7f800000, v5
	s_delay_alu instid0(VALU_DEP_2)
	v_cndmask_b32_e32 v4, 0x7c, v4, vcc_lo
; %bb.458:
	s_or_b32 exec_lo, exec_lo, s29
	v_lshrrev_b32_e32 v2, 24, v2
	s_delay_alu instid0(VALU_DEP_1)
	v_and_or_b32 v2, 0x80, v2, v4
	global_store_b8 v[0:1], v2, off
.LBB190_459:
	s_mov_b32 s30, 0
	s_mov_b32 s29, -1
.LBB190_460:
	s_and_not1_b32 vcc_lo, exec_lo, s30
	s_cbranch_vccnz .LBB190_468
; %bb.461:
	s_cmp_gt_i32 s28, 14
	s_mov_b32 s30, -1
	s_cbranch_scc0 .LBB190_465
; %bb.462:
	s_cmp_eq_u32 s28, 15
	s_mov_b32 s0, -1
	s_cbranch_scc0 .LBB190_464
; %bb.463:
	s_wait_xcnt 0x0
	v_cvt_f32_f16_e32 v2, v3
	v_cmp_o_f16_e32 vcc_lo, v3, v3
	s_mov_b32 s29, -1
	s_mov_b32 s0, 0
	s_delay_alu instid0(VALU_DEP_2) | instskip(NEXT) | instid1(VALU_DEP_1)
	v_bfe_u32 v4, v2, 16, 1
	v_add3_u32 v2, v2, v4, 0x7fff
	s_delay_alu instid0(VALU_DEP_1) | instskip(NEXT) | instid1(VALU_DEP_1)
	v_lshrrev_b32_e32 v2, 16, v2
	v_cndmask_b32_e32 v2, 0x7fc0, v2, vcc_lo
	global_store_b16 v[0:1], v2, off
.LBB190_464:
	s_mov_b32 s30, 0
.LBB190_465:
	s_delay_alu instid0(SALU_CYCLE_1)
	s_and_b32 vcc_lo, exec_lo, s30
	s_cbranch_vccz .LBB190_468
; %bb.466:
	s_cmp_eq_u32 s28, 11
	s_mov_b32 s0, -1
	s_cbranch_scc0 .LBB190_468
; %bb.467:
	v_cmp_neq_f16_e32 vcc_lo, 0, v3
	s_mov_b32 s0, 0
	s_mov_b32 s29, -1
	s_wait_xcnt 0x0
	v_cndmask_b32_e64 v2, 0, 1, vcc_lo
	global_store_b8 v[0:1], v2, off
.LBB190_468:
	s_mov_b32 s28, 0
.LBB190_469:
	s_delay_alu instid0(SALU_CYCLE_1)
	s_and_b32 vcc_lo, exec_lo, s28
	s_cbranch_vccz .LBB190_508
; %bb.470:
	s_and_b32 s21, 0xffff, s21
	s_mov_b32 s28, -1
	s_cmp_lt_i32 s21, 5
	s_cbranch_scc1 .LBB190_491
; %bb.471:
	s_cmp_lt_i32 s21, 8
	s_cbranch_scc1 .LBB190_481
; %bb.472:
	;; [unrolled: 3-line block ×3, first 2 shown]
	s_cmp_gt_i32 s21, 9
	s_cbranch_scc0 .LBB190_475
; %bb.474:
	s_wait_xcnt 0x0
	v_cvt_f32_f16_e32 v2, v3
	v_mov_b32_e32 v6, 0
	s_mov_b32 s28, 0
	s_delay_alu instid0(VALU_DEP_2) | instskip(NEXT) | instid1(VALU_DEP_2)
	v_cvt_f64_f32_e32 v[4:5], v2
	v_mov_b32_e32 v7, v6
	global_store_b128 v[0:1], v[4:7], off
.LBB190_475:
	s_and_not1_b32 vcc_lo, exec_lo, s28
	s_cbranch_vccnz .LBB190_477
; %bb.476:
	s_wait_xcnt 0x0
	v_cvt_f32_f16_e32 v4, v3
	v_mov_b32_e32 v5, 0
	global_store_b64 v[0:1], v[4:5], off
.LBB190_477:
	s_mov_b32 s28, 0
.LBB190_478:
	s_delay_alu instid0(SALU_CYCLE_1)
	s_and_not1_b32 vcc_lo, exec_lo, s28
	s_cbranch_vccnz .LBB190_480
; %bb.479:
	s_wait_xcnt 0x0
	v_and_b32_e32 v2, 0xffff, v3
	global_store_b32 v[0:1], v2, off
.LBB190_480:
	s_mov_b32 s28, 0
.LBB190_481:
	s_delay_alu instid0(SALU_CYCLE_1)
	s_and_not1_b32 vcc_lo, exec_lo, s28
	s_cbranch_vccnz .LBB190_490
; %bb.482:
	s_cmp_lt_i32 s21, 6
	s_mov_b32 s28, -1
	s_cbranch_scc1 .LBB190_488
; %bb.483:
	s_cmp_gt_i32 s21, 6
	s_cbranch_scc0 .LBB190_485
; %bb.484:
	s_wait_xcnt 0x0
	v_cvt_f32_f16_e32 v2, v3
	s_mov_b32 s28, 0
	s_delay_alu instid0(VALU_DEP_1)
	v_cvt_f64_f32_e32 v[4:5], v2
	global_store_b64 v[0:1], v[4:5], off
.LBB190_485:
	s_and_not1_b32 vcc_lo, exec_lo, s28
	s_cbranch_vccnz .LBB190_487
; %bb.486:
	s_wait_xcnt 0x0
	v_cvt_f32_f16_e32 v2, v3
	global_store_b32 v[0:1], v2, off
.LBB190_487:
	s_mov_b32 s28, 0
.LBB190_488:
	s_delay_alu instid0(SALU_CYCLE_1)
	s_and_not1_b32 vcc_lo, exec_lo, s28
	s_cbranch_vccnz .LBB190_490
; %bb.489:
	global_store_b16 v[0:1], v3, off
.LBB190_490:
	s_mov_b32 s28, 0
.LBB190_491:
	s_delay_alu instid0(SALU_CYCLE_1)
	s_and_not1_b32 vcc_lo, exec_lo, s28
	s_cbranch_vccnz .LBB190_507
; %bb.492:
	s_cmp_lt_i32 s21, 2
	s_mov_b32 s28, -1
	s_cbranch_scc1 .LBB190_502
; %bb.493:
	s_cmp_lt_i32 s21, 3
	s_cbranch_scc1 .LBB190_499
; %bb.494:
	s_cmp_gt_i32 s21, 3
	s_cbranch_scc0 .LBB190_496
; %bb.495:
	s_wait_xcnt 0x0
	v_cvt_f32_f16_e32 v2, v3
	s_mov_b32 s28, 0
	s_delay_alu instid0(VALU_DEP_1) | instskip(NEXT) | instid1(VALU_DEP_1)
	v_cvt_i32_f32_e32 v4, v2
	v_ashrrev_i32_e32 v5, 31, v4
	global_store_b64 v[0:1], v[4:5], off
.LBB190_496:
	s_and_not1_b32 vcc_lo, exec_lo, s28
	s_cbranch_vccnz .LBB190_498
; %bb.497:
	s_wait_xcnt 0x0
	v_cvt_f32_f16_e32 v2, v3
	s_delay_alu instid0(VALU_DEP_1)
	v_cvt_i32_f32_e32 v2, v2
	global_store_b32 v[0:1], v2, off
.LBB190_498:
	s_mov_b32 s28, 0
.LBB190_499:
	s_delay_alu instid0(SALU_CYCLE_1)
	s_and_not1_b32 vcc_lo, exec_lo, s28
	s_cbranch_vccnz .LBB190_501
; %bb.500:
	s_wait_xcnt 0x0
	v_cvt_i16_f16_e32 v2, v3
	global_store_b16 v[0:1], v2, off
.LBB190_501:
	s_mov_b32 s28, 0
.LBB190_502:
	s_delay_alu instid0(SALU_CYCLE_1)
	s_and_not1_b32 vcc_lo, exec_lo, s28
	s_cbranch_vccnz .LBB190_507
; %bb.503:
	s_cmp_gt_i32 s21, 0
	s_mov_b32 s21, -1
	s_cbranch_scc0 .LBB190_505
; %bb.504:
	s_wait_xcnt 0x0
	v_cvt_i16_f16_e32 v2, v3
	s_mov_b32 s21, 0
	global_store_b8 v[0:1], v2, off
.LBB190_505:
	s_and_not1_b32 vcc_lo, exec_lo, s21
	s_cbranch_vccnz .LBB190_507
; %bb.506:
	s_wait_xcnt 0x0
	v_cvt_f32_f16_e32 v2, v3
	s_delay_alu instid0(VALU_DEP_1)
	v_cvt_i32_f32_e32 v2, v2
	global_store_b8 v[0:1], v2, off
.LBB190_507:
	s_mov_b32 s29, -1
.LBB190_508:
	s_delay_alu instid0(SALU_CYCLE_1)
	s_and_not1_b32 vcc_lo, exec_lo, s29
	s_cbranch_vccnz .LBB190_510
; %bb.509:
	v_add_nc_u32_e32 v8, 0x80, v8
	s_mov_b32 s28, -1
	s_branch .LBB190_511
.LBB190_510:
	s_mov_b32 s28, 0
                                        ; implicit-def: $vgpr8
.LBB190_511:
	s_and_b32 s21, s0, exec_lo
	s_and_b32 s23, s23, exec_lo
	;; [unrolled: 1-line block ×4, first 2 shown]
	s_or_not1_b32 s30, s28, exec_lo
.LBB190_512:
	s_wait_xcnt 0x0
	s_or_b32 exec_lo, exec_lo, s26
	s_mov_b32 s29, 0
	s_mov_b32 s28, 0
                                        ; implicit-def: $sgpr0
                                        ; implicit-def: $vgpr0_vgpr1
                                        ; implicit-def: $vgpr2
	s_and_saveexec_b32 s26, s30
	s_cbranch_execz .LBB190_521
; %bb.513:
	s_mov_b32 s34, -1
	s_mov_b32 s27, s25
	s_mov_b32 s30, s24
	;; [unrolled: 1-line block ×4, first 2 shown]
	s_mov_b32 s31, exec_lo
	v_cmpx_gt_i32_e64 s22, v8
	s_cbranch_execz .LBB190_1035
; %bb.514:
	v_mul_lo_u32 v0, v8, s13
	s_and_b32 s0, s19, 0xff
	s_delay_alu instid0(SALU_CYCLE_1) | instskip(NEXT) | instid1(VALU_DEP_1)
	s_cmp_lt_i32 s0, 11
	v_ashrrev_i32_e32 v1, 31, v0
	s_delay_alu instid0(VALU_DEP_1)
	v_add_nc_u64_e32 v[0:1], s[6:7], v[0:1]
	s_cbranch_scc1 .LBB190_524
; %bb.515:
	s_and_b32 s28, 0xffff, s0
	s_delay_alu instid0(SALU_CYCLE_1)
	s_cmp_gt_i32 s28, 25
	s_cbranch_scc0 .LBB190_533
; %bb.516:
	s_cmp_gt_i32 s28, 28
	s_cbranch_scc0 .LBB190_535
; %bb.517:
	s_cmp_gt_i32 s28, 43
	s_cbranch_scc0 .LBB190_537
; %bb.518:
	s_cmp_gt_i32 s28, 45
	s_cbranch_scc0 .LBB190_539
; %bb.519:
	s_cmp_eq_u32 s28, 46
	s_mov_b32 s30, 0
	s_cbranch_scc0 .LBB190_541
; %bb.520:
	s_wait_loadcnt 0x0
	global_load_b32 v2, v[0:1], off
	s_mov_b32 s29, -1
	s_mov_b32 s27, 0
	s_wait_loadcnt 0x0
	v_lshlrev_b32_e32 v2, 16, v2
	s_delay_alu instid0(VALU_DEP_1)
	v_cvt_f16_f32_e32 v2, v2
	s_branch .LBB190_543
.LBB190_521:
	s_or_b32 exec_lo, exec_lo, s26
	s_mov_b32 s22, 0
	s_and_saveexec_b32 s26, s25
	s_cbranch_execnz .LBB190_1639
.LBB190_522:
	s_or_b32 exec_lo, exec_lo, s26
	s_and_saveexec_b32 s25, s27
	s_delay_alu instid0(SALU_CYCLE_1)
	s_xor_b32 s25, exec_lo, s25
	s_cbranch_execz .LBB190_1640
.LBB190_523:
	s_wait_loadcnt 0x0
	global_load_u8 v2, v[0:1], off
	s_or_b32 s28, s28, exec_lo
	s_wait_loadcnt 0x0
	v_cmp_ne_u16_e32 vcc_lo, 0, v2
	v_cndmask_b32_e64 v2, 0, 0x3c00, vcc_lo
	s_wait_xcnt 0x0
	s_or_b32 exec_lo, exec_lo, s25
	s_and_saveexec_b32 s25, s29
	s_cbranch_execz .LBB190_1686
	s_branch .LBB190_1641
.LBB190_524:
	s_mov_b32 s29, 0
	s_mov_b32 s27, s25
                                        ; implicit-def: $vgpr2
	s_cbranch_execnz .LBB190_609
.LBB190_525:
	s_and_not1_b32 vcc_lo, exec_lo, s29
	s_cbranch_vccnz .LBB190_657
.LBB190_526:
	s_wait_xcnt 0x0
	v_mul_lo_u32 v0, v8, s14
	s_and_b32 s0, s17, 0xff
	s_delay_alu instid0(SALU_CYCLE_1) | instskip(NEXT) | instid1(VALU_DEP_1)
	s_cmp_lt_i32 s0, 11
	v_ashrrev_i32_e32 v1, 31, v0
	s_delay_alu instid0(VALU_DEP_1)
	v_add_nc_u64_e32 v[0:1], s[8:9], v[0:1]
	s_cbranch_scc1 .LBB190_534
; %bb.527:
	s_and_b32 s28, 0xffff, s0
	s_delay_alu instid0(SALU_CYCLE_1)
	s_cmp_gt_i32 s28, 25
	s_cbranch_scc0 .LBB190_536
; %bb.528:
	s_cmp_gt_i32 s28, 28
	s_cbranch_scc0 .LBB190_538
; %bb.529:
	;; [unrolled: 3-line block ×4, first 2 shown]
	s_cmp_eq_u32 s28, 46
	s_mov_b32 s33, 0
	s_cbranch_scc0 .LBB190_660
; %bb.532:
	s_wait_loadcnt 0x0
	global_load_b32 v3, v[0:1], off
	s_mov_b32 s29, -1
	s_mov_b32 s30, 0
	s_wait_loadcnt 0x0
	v_lshlrev_b32_e32 v3, 16, v3
	s_delay_alu instid0(VALU_DEP_1)
	v_cvt_f16_f32_e32 v3, v3
	s_branch .LBB190_662
.LBB190_533:
	s_mov_b32 s30, -1
	s_mov_b32 s29, 0
	s_mov_b32 s27, s25
                                        ; implicit-def: $vgpr2
	s_branch .LBB190_573
.LBB190_534:
	s_mov_b32 s28, -1
	s_mov_b32 s29, 0
	s_mov_b32 s30, s24
                                        ; implicit-def: $vgpr3
	s_branch .LBB190_727
.LBB190_535:
	s_mov_b32 s30, -1
	s_mov_b32 s29, 0
	s_mov_b32 s27, s25
                                        ; implicit-def: $vgpr2
	s_branch .LBB190_554
.LBB190_536:
	s_mov_b32 s33, -1
	s_mov_b32 s29, 0
	s_mov_b32 s30, s24
                                        ; implicit-def: $vgpr3
	s_branch .LBB190_691
.LBB190_537:
	s_mov_b32 s30, -1
	s_mov_b32 s29, 0
	s_mov_b32 s27, s25
                                        ; implicit-def: $vgpr2
	s_branch .LBB190_549
.LBB190_538:
	s_mov_b32 s33, -1
	s_mov_b32 s29, 0
	s_mov_b32 s30, s24
                                        ; implicit-def: $vgpr3
	s_branch .LBB190_672
.LBB190_539:
	s_mov_b32 s30, -1
	s_mov_b32 s29, 0
	s_mov_b32 s27, s25
	s_branch .LBB190_542
.LBB190_540:
	s_mov_b32 s33, -1
	s_mov_b32 s29, 0
	s_mov_b32 s30, s24
                                        ; implicit-def: $vgpr3
	s_branch .LBB190_667
.LBB190_541:
	s_mov_b32 s27, -1
	s_mov_b32 s29, 0
.LBB190_542:
                                        ; implicit-def: $vgpr2
.LBB190_543:
	s_and_b32 vcc_lo, exec_lo, s30
	s_cbranch_vccz .LBB190_548
; %bb.544:
	s_cmp_eq_u32 s28, 44
	s_cbranch_scc0 .LBB190_547
; %bb.545:
	s_wait_loadcnt 0x0
	global_load_u8 v2, v[0:1], off
	s_mov_b32 s27, 0
	s_mov_b32 s29, -1
	s_wait_loadcnt 0x0
	v_lshlrev_b32_e32 v3, 23, v2
	v_cmp_ne_u32_e32 vcc_lo, 0xff, v2
	s_delay_alu instid0(VALU_DEP_2) | instskip(NEXT) | instid1(VALU_DEP_1)
	v_cvt_f16_f32_e32 v3, v3
	v_cndmask_b32_e32 v3, 0x7e00, v3, vcc_lo
	v_cmp_ne_u32_e32 vcc_lo, 0, v2
	s_delay_alu instid0(VALU_DEP_2)
	v_cndmask_b32_e32 v2, 0, v3, vcc_lo
	s_branch .LBB190_548
.LBB190_546:
	s_mov_b32 s33, -1
	s_mov_b32 s29, 0
	s_mov_b32 s30, s24
	s_branch .LBB190_661
.LBB190_547:
	s_mov_b32 s27, -1
                                        ; implicit-def: $vgpr2
.LBB190_548:
	s_mov_b32 s30, 0
.LBB190_549:
	s_delay_alu instid0(SALU_CYCLE_1)
	s_and_b32 vcc_lo, exec_lo, s30
	s_cbranch_vccz .LBB190_553
; %bb.550:
	s_cmp_eq_u32 s28, 29
	s_cbranch_scc0 .LBB190_552
; %bb.551:
	s_wait_loadcnt 0x0
	global_load_b64 v[2:3], v[0:1], off
	s_mov_b32 s29, -1
	s_mov_b32 s27, 0
	s_mov_b32 s30, 0
	s_wait_loadcnt 0x0
	v_clz_i32_u32_e32 v4, v3
	s_delay_alu instid0(VALU_DEP_1) | instskip(NEXT) | instid1(VALU_DEP_1)
	v_min_u32_e32 v4, 32, v4
	v_lshlrev_b64_e32 v[2:3], v4, v[2:3]
	s_delay_alu instid0(VALU_DEP_1) | instskip(NEXT) | instid1(VALU_DEP_1)
	v_min_u32_e32 v2, 1, v2
	v_dual_sub_nc_u32 v3, 32, v4 :: v_dual_bitop2_b32 v2, v3, v2 bitop3:0x54
	s_delay_alu instid0(VALU_DEP_1) | instskip(NEXT) | instid1(VALU_DEP_1)
	v_cvt_f32_u32_e32 v2, v2
	v_ldexp_f32 v2, v2, v3
	s_delay_alu instid0(VALU_DEP_1)
	v_cvt_f16_f32_e32 v2, v2
	s_branch .LBB190_554
.LBB190_552:
	s_mov_b32 s27, -1
                                        ; implicit-def: $vgpr2
.LBB190_553:
	s_mov_b32 s30, 0
.LBB190_554:
	s_delay_alu instid0(SALU_CYCLE_1)
	s_and_b32 vcc_lo, exec_lo, s30
	s_cbranch_vccz .LBB190_572
; %bb.555:
	s_cmp_lt_i32 s28, 27
	s_cbranch_scc1 .LBB190_558
; %bb.556:
	s_cmp_gt_i32 s28, 27
	s_cbranch_scc0 .LBB190_559
; %bb.557:
	s_wait_loadcnt 0x0
	global_load_b32 v2, v[0:1], off
	s_mov_b32 s29, 0
	s_wait_loadcnt 0x0
	v_cvt_f32_u32_e32 v2, v2
	s_delay_alu instid0(VALU_DEP_1)
	v_cvt_f16_f32_e32 v2, v2
	s_branch .LBB190_560
.LBB190_558:
	s_mov_b32 s29, -1
                                        ; implicit-def: $vgpr2
	s_branch .LBB190_563
.LBB190_559:
	s_mov_b32 s29, -1
                                        ; implicit-def: $vgpr2
.LBB190_560:
	s_delay_alu instid0(SALU_CYCLE_1)
	s_and_not1_b32 vcc_lo, exec_lo, s29
	s_cbranch_vccnz .LBB190_562
; %bb.561:
	s_wait_loadcnt 0x0
	global_load_u16 v2, v[0:1], off
	s_wait_loadcnt 0x0
	v_cvt_f16_u16_e32 v2, v2
.LBB190_562:
	s_mov_b32 s29, 0
.LBB190_563:
	s_delay_alu instid0(SALU_CYCLE_1)
	s_and_not1_b32 vcc_lo, exec_lo, s29
	s_cbranch_vccnz .LBB190_571
; %bb.564:
	s_wait_loadcnt 0x0
	global_load_u8 v3, v[0:1], off
	s_mov_b32 s29, 0
	s_mov_b32 s30, exec_lo
	s_wait_loadcnt 0x0
	v_cmpx_lt_i16_e32 0x7f, v3
	s_xor_b32 s30, exec_lo, s30
	s_cbranch_execz .LBB190_585
; %bb.565:
	s_mov_b32 s29, -1
	s_mov_b32 s33, exec_lo
	v_cmpx_eq_u16_e32 0x80, v3
; %bb.566:
	s_xor_b32 s29, exec_lo, -1
; %bb.567:
	s_or_b32 exec_lo, exec_lo, s33
	s_delay_alu instid0(SALU_CYCLE_1)
	s_and_b32 s29, s29, exec_lo
	s_or_saveexec_b32 s30, s30
	v_mov_b32_e32 v2, 0x7e00
	s_xor_b32 exec_lo, exec_lo, s30
	s_cbranch_execnz .LBB190_586
.LBB190_568:
	s_or_b32 exec_lo, exec_lo, s30
	s_and_saveexec_b32 s30, s29
	s_cbranch_execz .LBB190_570
.LBB190_569:
	v_and_b32_e32 v2, 0xffff, v3
	s_delay_alu instid0(VALU_DEP_1) | instskip(SKIP_1) | instid1(VALU_DEP_2)
	v_and_b32_e32 v4, 7, v2
	v_bfe_u32 v7, v2, 3, 4
	v_clz_i32_u32_e32 v5, v4
	s_delay_alu instid0(VALU_DEP_2) | instskip(NEXT) | instid1(VALU_DEP_2)
	v_cmp_eq_u32_e32 vcc_lo, 0, v7
	v_min_u32_e32 v5, 32, v5
	s_delay_alu instid0(VALU_DEP_1) | instskip(NEXT) | instid1(VALU_DEP_1)
	v_subrev_nc_u32_e32 v6, 28, v5
	v_dual_lshlrev_b32 v2, v6, v2 :: v_dual_sub_nc_u32 v5, 29, v5
	s_delay_alu instid0(VALU_DEP_1) | instskip(NEXT) | instid1(VALU_DEP_1)
	v_dual_lshlrev_b32 v3, 24, v3 :: v_dual_bitop2_b32 v2, 7, v2 bitop3:0x40
	v_dual_cndmask_b32 v5, v7, v5 :: v_dual_cndmask_b32 v2, v4, v2
	s_delay_alu instid0(VALU_DEP_2) | instskip(NEXT) | instid1(VALU_DEP_2)
	v_and_b32_e32 v3, 0x80000000, v3
	v_lshl_add_u32 v4, v5, 23, 0x3b800000
	s_delay_alu instid0(VALU_DEP_3) | instskip(NEXT) | instid1(VALU_DEP_1)
	v_lshlrev_b32_e32 v2, 20, v2
	v_or3_b32 v2, v3, v4, v2
	s_delay_alu instid0(VALU_DEP_1)
	v_cvt_f16_f32_e32 v2, v2
.LBB190_570:
	s_or_b32 exec_lo, exec_lo, s30
.LBB190_571:
	s_mov_b32 s29, -1
.LBB190_572:
	s_mov_b32 s30, 0
.LBB190_573:
	s_delay_alu instid0(SALU_CYCLE_1)
	s_and_b32 vcc_lo, exec_lo, s30
	s_cbranch_vccz .LBB190_608
; %bb.574:
	s_cmp_gt_i32 s28, 22
	s_cbranch_scc0 .LBB190_584
; %bb.575:
	s_cmp_lt_i32 s28, 24
	s_cbranch_scc1 .LBB190_587
; %bb.576:
	s_cmp_gt_i32 s28, 24
	s_cbranch_scc0 .LBB190_588
; %bb.577:
	s_wait_loadcnt 0x0
	global_load_u8 v3, v[0:1], off
	s_mov_b32 s29, 0
	s_mov_b32 s30, exec_lo
	s_wait_loadcnt 0x0
	v_cmpx_lt_i16_e32 0x7f, v3
	s_xor_b32 s30, exec_lo, s30
	s_cbranch_execz .LBB190_600
; %bb.578:
	s_mov_b32 s29, -1
	s_mov_b32 s33, exec_lo
	v_cmpx_eq_u16_e32 0x80, v3
; %bb.579:
	s_xor_b32 s29, exec_lo, -1
; %bb.580:
	s_or_b32 exec_lo, exec_lo, s33
	s_delay_alu instid0(SALU_CYCLE_1)
	s_and_b32 s29, s29, exec_lo
	s_or_saveexec_b32 s30, s30
	v_mov_b32_e32 v2, 0x7e00
	s_xor_b32 exec_lo, exec_lo, s30
	s_cbranch_execnz .LBB190_601
.LBB190_581:
	s_or_b32 exec_lo, exec_lo, s30
	s_and_saveexec_b32 s30, s29
	s_cbranch_execz .LBB190_583
.LBB190_582:
	v_and_b32_e32 v2, 0xffff, v3
	s_delay_alu instid0(VALU_DEP_1) | instskip(SKIP_1) | instid1(VALU_DEP_2)
	v_and_b32_e32 v4, 3, v2
	v_bfe_u32 v7, v2, 2, 5
	v_clz_i32_u32_e32 v5, v4
	s_delay_alu instid0(VALU_DEP_2) | instskip(NEXT) | instid1(VALU_DEP_2)
	v_cmp_eq_u32_e32 vcc_lo, 0, v7
	v_min_u32_e32 v5, 32, v5
	s_delay_alu instid0(VALU_DEP_1) | instskip(NEXT) | instid1(VALU_DEP_1)
	v_subrev_nc_u32_e32 v6, 29, v5
	v_dual_lshlrev_b32 v2, v6, v2 :: v_dual_sub_nc_u32 v5, 30, v5
	s_delay_alu instid0(VALU_DEP_1) | instskip(NEXT) | instid1(VALU_DEP_1)
	v_dual_lshlrev_b32 v3, 24, v3 :: v_dual_bitop2_b32 v2, 3, v2 bitop3:0x40
	v_dual_cndmask_b32 v5, v7, v5 :: v_dual_cndmask_b32 v2, v4, v2
	s_delay_alu instid0(VALU_DEP_2) | instskip(NEXT) | instid1(VALU_DEP_2)
	v_and_b32_e32 v3, 0x80000000, v3
	v_lshl_add_u32 v4, v5, 23, 0x37800000
	s_delay_alu instid0(VALU_DEP_3) | instskip(NEXT) | instid1(VALU_DEP_1)
	v_lshlrev_b32_e32 v2, 21, v2
	v_or3_b32 v2, v3, v4, v2
	s_delay_alu instid0(VALU_DEP_1)
	v_cvt_f16_f32_e32 v2, v2
.LBB190_583:
	s_or_b32 exec_lo, exec_lo, s30
	s_mov_b32 s29, 0
	s_branch .LBB190_589
.LBB190_584:
	s_mov_b32 s30, -1
                                        ; implicit-def: $vgpr2
	s_branch .LBB190_595
.LBB190_585:
	s_or_saveexec_b32 s30, s30
	v_mov_b32_e32 v2, 0x7e00
	s_xor_b32 exec_lo, exec_lo, s30
	s_cbranch_execz .LBB190_568
.LBB190_586:
	v_cmp_ne_u16_e32 vcc_lo, 0, v3
	v_mov_b32_e32 v2, v3
	s_and_not1_b32 s29, s29, exec_lo
	s_and_b32 s33, vcc_lo, exec_lo
	s_delay_alu instid0(SALU_CYCLE_1)
	s_or_b32 s29, s29, s33
	s_or_b32 exec_lo, exec_lo, s30
	s_and_saveexec_b32 s30, s29
	s_cbranch_execnz .LBB190_569
	s_branch .LBB190_570
.LBB190_587:
	s_mov_b32 s29, -1
                                        ; implicit-def: $vgpr2
	s_branch .LBB190_592
.LBB190_588:
	s_mov_b32 s29, -1
                                        ; implicit-def: $vgpr2
.LBB190_589:
	s_delay_alu instid0(SALU_CYCLE_1)
	s_and_b32 vcc_lo, exec_lo, s29
	s_cbranch_vccz .LBB190_591
; %bb.590:
	s_wait_loadcnt 0x0
	global_load_u8 v2, v[0:1], off
	s_wait_loadcnt 0x0
	v_lshlrev_b32_e32 v2, 24, v2
	s_delay_alu instid0(VALU_DEP_1) | instskip(NEXT) | instid1(VALU_DEP_1)
	v_and_b32_e32 v3, 0x7f000000, v2
	v_clz_i32_u32_e32 v4, v3
	v_cmp_ne_u32_e32 vcc_lo, 0, v3
	v_add_nc_u32_e32 v6, 0x1000000, v3
	s_delay_alu instid0(VALU_DEP_3) | instskip(NEXT) | instid1(VALU_DEP_1)
	v_min_u32_e32 v4, 32, v4
	v_sub_nc_u32_e64 v4, v4, 4 clamp
	s_delay_alu instid0(VALU_DEP_1) | instskip(NEXT) | instid1(VALU_DEP_1)
	v_dual_lshlrev_b32 v5, v4, v3 :: v_dual_lshlrev_b32 v4, 23, v4
	v_lshrrev_b32_e32 v5, 4, v5
	s_delay_alu instid0(VALU_DEP_1) | instskip(NEXT) | instid1(VALU_DEP_1)
	v_dual_sub_nc_u32 v4, v5, v4 :: v_dual_ashrrev_i32 v5, 8, v6
	v_add_nc_u32_e32 v4, 0x3c000000, v4
	s_delay_alu instid0(VALU_DEP_1) | instskip(NEXT) | instid1(VALU_DEP_1)
	v_and_or_b32 v4, 0x7f800000, v5, v4
	v_cndmask_b32_e32 v3, 0, v4, vcc_lo
	s_delay_alu instid0(VALU_DEP_1) | instskip(NEXT) | instid1(VALU_DEP_1)
	v_and_or_b32 v2, 0x80000000, v2, v3
	v_cvt_f16_f32_e32 v2, v2
.LBB190_591:
	s_mov_b32 s29, 0
.LBB190_592:
	s_delay_alu instid0(SALU_CYCLE_1)
	s_and_not1_b32 vcc_lo, exec_lo, s29
	s_cbranch_vccnz .LBB190_594
; %bb.593:
	s_wait_loadcnt 0x0
	global_load_u8 v2, v[0:1], off
	s_wait_loadcnt 0x0
	v_lshlrev_b32_e32 v3, 25, v2
	v_lshlrev_b16 v2, 8, v2
	s_delay_alu instid0(VALU_DEP_1) | instskip(SKIP_1) | instid1(VALU_DEP_2)
	v_and_or_b32 v5, 0x7f00, v2, 0.5
	v_bfe_i32 v2, v2, 0, 16
	v_dual_add_f32 v5, -0.5, v5 :: v_dual_lshrrev_b32 v4, 4, v3
	v_cmp_gt_u32_e32 vcc_lo, 0x8000000, v3
	s_delay_alu instid0(VALU_DEP_2) | instskip(NEXT) | instid1(VALU_DEP_1)
	v_or_b32_e32 v4, 0x70000000, v4
	v_mul_f32_e32 v4, 0x7800000, v4
	s_delay_alu instid0(VALU_DEP_1) | instskip(NEXT) | instid1(VALU_DEP_1)
	v_cndmask_b32_e32 v3, v4, v5, vcc_lo
	v_and_or_b32 v2, 0x80000000, v2, v3
	s_delay_alu instid0(VALU_DEP_1)
	v_cvt_f16_f32_e32 v2, v2
.LBB190_594:
	s_mov_b32 s30, 0
	s_mov_b32 s29, -1
.LBB190_595:
	s_and_not1_b32 vcc_lo, exec_lo, s30
	s_cbranch_vccnz .LBB190_608
; %bb.596:
	s_cmp_gt_i32 s28, 14
	s_cbranch_scc0 .LBB190_599
; %bb.597:
	s_cmp_eq_u32 s28, 15
	s_cbranch_scc0 .LBB190_602
; %bb.598:
	s_wait_loadcnt 0x0
	global_load_u16 v2, v[0:1], off
	s_mov_b32 s29, -1
	s_mov_b32 s27, 0
	s_wait_loadcnt 0x0
	v_lshlrev_b32_e32 v2, 16, v2
	s_delay_alu instid0(VALU_DEP_1)
	v_cvt_f16_f32_e32 v2, v2
	s_branch .LBB190_603
.LBB190_599:
	s_mov_b32 s30, -1
                                        ; implicit-def: $vgpr2
	s_branch .LBB190_604
.LBB190_600:
	s_or_saveexec_b32 s30, s30
	v_mov_b32_e32 v2, 0x7e00
	s_xor_b32 exec_lo, exec_lo, s30
	s_cbranch_execz .LBB190_581
.LBB190_601:
	v_cmp_ne_u16_e32 vcc_lo, 0, v3
	v_mov_b32_e32 v2, v3
	s_and_not1_b32 s29, s29, exec_lo
	s_and_b32 s33, vcc_lo, exec_lo
	s_delay_alu instid0(SALU_CYCLE_1)
	s_or_b32 s29, s29, s33
	s_or_b32 exec_lo, exec_lo, s30
	s_and_saveexec_b32 s30, s29
	s_cbranch_execnz .LBB190_582
	s_branch .LBB190_583
.LBB190_602:
	s_mov_b32 s27, -1
                                        ; implicit-def: $vgpr2
.LBB190_603:
	s_mov_b32 s30, 0
.LBB190_604:
	s_delay_alu instid0(SALU_CYCLE_1)
	s_and_b32 vcc_lo, exec_lo, s30
	s_cbranch_vccz .LBB190_608
; %bb.605:
	s_cmp_eq_u32 s28, 11
	s_cbranch_scc0 .LBB190_607
; %bb.606:
	s_wait_loadcnt 0x0
	global_load_u8 v2, v[0:1], off
	s_mov_b32 s27, 0
	s_mov_b32 s29, -1
	s_wait_loadcnt 0x0
	v_cmp_ne_u16_e32 vcc_lo, 0, v2
	v_cndmask_b32_e64 v2, 0, 0x3c00, vcc_lo
	s_branch .LBB190_608
.LBB190_607:
	s_mov_b32 s27, -1
                                        ; implicit-def: $vgpr2
.LBB190_608:
	s_branch .LBB190_525
.LBB190_609:
	s_and_b32 s0, 0xffff, s0
	s_delay_alu instid0(SALU_CYCLE_1)
	s_cmp_lt_i32 s0, 5
	s_cbranch_scc1 .LBB190_614
; %bb.610:
	s_cmp_lt_i32 s0, 8
	s_cbranch_scc1 .LBB190_615
; %bb.611:
	s_cmp_lt_i32 s0, 9
	s_cbranch_scc1 .LBB190_616
; %bb.612:
	s_cmp_gt_i32 s0, 9
	s_cbranch_scc0 .LBB190_617
; %bb.613:
	s_wait_loadcnt 0x0
	global_load_b64 v[2:3], v[0:1], off
	s_mov_b32 s28, 0
	s_wait_loadcnt 0x0
	v_and_or_b32 v2, 0x1ff, v3, v2
	v_lshrrev_b32_e32 v4, 8, v3
	v_bfe_u32 v5, v3, 20, 11
	v_lshrrev_b32_e32 v3, 16, v3
	s_delay_alu instid0(VALU_DEP_4) | instskip(NEXT) | instid1(VALU_DEP_3)
	v_cmp_ne_u32_e32 vcc_lo, 0, v2
	v_sub_nc_u32_e32 v6, 0x3f1, v5
	v_add_nc_u32_e32 v5, 0xfffffc10, v5
	v_cndmask_b32_e64 v2, 0, 1, vcc_lo
	s_delay_alu instid0(VALU_DEP_1) | instskip(NEXT) | instid1(VALU_DEP_4)
	v_and_or_b32 v2, 0xffe, v4, v2
	v_med3_i32 v4, v6, 0, 13
	s_delay_alu instid0(VALU_DEP_2) | instskip(NEXT) | instid1(VALU_DEP_1)
	v_or_b32_e32 v6, 0x1000, v2
	v_lshrrev_b32_e32 v7, v4, v6
	s_delay_alu instid0(VALU_DEP_1) | instskip(NEXT) | instid1(VALU_DEP_1)
	v_lshlrev_b32_e32 v4, v4, v7
	v_cmp_ne_u32_e32 vcc_lo, v4, v6
	v_lshl_or_b32 v6, v5, 12, v2
	v_cndmask_b32_e64 v4, 0, 1, vcc_lo
	v_cmp_gt_i32_e32 vcc_lo, 1, v5
	s_delay_alu instid0(VALU_DEP_2) | instskip(NEXT) | instid1(VALU_DEP_1)
	v_or_b32_e32 v4, v7, v4
	v_cndmask_b32_e32 v4, v6, v4, vcc_lo
	s_delay_alu instid0(VALU_DEP_1) | instskip(NEXT) | instid1(VALU_DEP_1)
	v_dual_lshrrev_b32 v4, 2, v4 :: v_dual_bitop2_b32 v6, 7, v4 bitop3:0x40
	v_cmp_lt_i32_e32 vcc_lo, 5, v6
	v_cndmask_b32_e64 v7, 0, 1, vcc_lo
	v_cmp_eq_u32_e32 vcc_lo, 3, v6
	v_cndmask_b32_e64 v6, 0, 1, vcc_lo
	v_cmp_ne_u32_e32 vcc_lo, 0, v2
	s_delay_alu instid0(VALU_DEP_2) | instskip(NEXT) | instid1(VALU_DEP_1)
	v_or_b32_e32 v6, v6, v7
	v_dual_mov_b32 v7, 0x7e00 :: v_dual_add_nc_u32 v4, v4, v6
	s_delay_alu instid0(VALU_DEP_1) | instskip(SKIP_1) | instid1(VALU_DEP_3)
	v_cndmask_b32_e32 v2, 0x7c00, v7, vcc_lo
	v_cmp_gt_i32_e32 vcc_lo, 31, v5
	v_cndmask_b32_e32 v4, 0x7c00, v4, vcc_lo
	v_cmp_eq_u32_e32 vcc_lo, 0x40f, v5
	s_delay_alu instid0(VALU_DEP_2) | instskip(NEXT) | instid1(VALU_DEP_1)
	v_cndmask_b32_e32 v2, v4, v2, vcc_lo
	v_and_or_b32 v2, 0x8000, v3, v2
	s_branch .LBB190_618
.LBB190_614:
	s_mov_b32 s28, -1
                                        ; implicit-def: $vgpr2
	s_branch .LBB190_636
.LBB190_615:
	s_mov_b32 s28, -1
                                        ; implicit-def: $vgpr2
	s_branch .LBB190_624
.LBB190_616:
	s_mov_b32 s28, -1
                                        ; implicit-def: $vgpr2
	s_branch .LBB190_621
.LBB190_617:
	s_mov_b32 s28, -1
                                        ; implicit-def: $vgpr2
.LBB190_618:
	s_delay_alu instid0(SALU_CYCLE_1)
	s_and_not1_b32 vcc_lo, exec_lo, s28
	s_cbranch_vccnz .LBB190_620
; %bb.619:
	s_wait_loadcnt 0x0
	global_load_b32 v2, v[0:1], off
	s_wait_loadcnt 0x0
	v_cvt_f16_f32_e32 v2, v2
.LBB190_620:
	s_mov_b32 s28, 0
.LBB190_621:
	s_delay_alu instid0(SALU_CYCLE_1)
	s_and_not1_b32 vcc_lo, exec_lo, s28
	s_cbranch_vccnz .LBB190_623
; %bb.622:
	s_wait_loadcnt 0x0
	global_load_b32 v2, v[0:1], off
.LBB190_623:
	s_mov_b32 s28, 0
.LBB190_624:
	s_delay_alu instid0(SALU_CYCLE_1)
	s_and_not1_b32 vcc_lo, exec_lo, s28
	s_cbranch_vccnz .LBB190_635
; %bb.625:
	s_cmp_lt_i32 s0, 6
	s_cbranch_scc1 .LBB190_628
; %bb.626:
	s_cmp_gt_i32 s0, 6
	s_cbranch_scc0 .LBB190_629
; %bb.627:
	s_wait_loadcnt 0x0
	global_load_b64 v[2:3], v[0:1], off
	s_mov_b32 s28, 0
	s_wait_loadcnt 0x0
	v_and_or_b32 v2, 0x1ff, v3, v2
	v_lshrrev_b32_e32 v4, 8, v3
	v_bfe_u32 v5, v3, 20, 11
	v_lshrrev_b32_e32 v3, 16, v3
	s_delay_alu instid0(VALU_DEP_4) | instskip(NEXT) | instid1(VALU_DEP_3)
	v_cmp_ne_u32_e32 vcc_lo, 0, v2
	v_sub_nc_u32_e32 v6, 0x3f1, v5
	v_add_nc_u32_e32 v5, 0xfffffc10, v5
	v_cndmask_b32_e64 v2, 0, 1, vcc_lo
	s_delay_alu instid0(VALU_DEP_1) | instskip(NEXT) | instid1(VALU_DEP_4)
	v_and_or_b32 v2, 0xffe, v4, v2
	v_med3_i32 v4, v6, 0, 13
	s_delay_alu instid0(VALU_DEP_2) | instskip(NEXT) | instid1(VALU_DEP_1)
	v_or_b32_e32 v6, 0x1000, v2
	v_lshrrev_b32_e32 v7, v4, v6
	s_delay_alu instid0(VALU_DEP_1) | instskip(NEXT) | instid1(VALU_DEP_1)
	v_lshlrev_b32_e32 v4, v4, v7
	v_cmp_ne_u32_e32 vcc_lo, v4, v6
	v_lshl_or_b32 v6, v5, 12, v2
	v_cndmask_b32_e64 v4, 0, 1, vcc_lo
	v_cmp_gt_i32_e32 vcc_lo, 1, v5
	s_delay_alu instid0(VALU_DEP_2) | instskip(NEXT) | instid1(VALU_DEP_1)
	v_or_b32_e32 v4, v7, v4
	v_cndmask_b32_e32 v4, v6, v4, vcc_lo
	s_delay_alu instid0(VALU_DEP_1) | instskip(NEXT) | instid1(VALU_DEP_1)
	v_dual_lshrrev_b32 v4, 2, v4 :: v_dual_bitop2_b32 v6, 7, v4 bitop3:0x40
	v_cmp_lt_i32_e32 vcc_lo, 5, v6
	v_cndmask_b32_e64 v7, 0, 1, vcc_lo
	v_cmp_eq_u32_e32 vcc_lo, 3, v6
	v_cndmask_b32_e64 v6, 0, 1, vcc_lo
	v_cmp_ne_u32_e32 vcc_lo, 0, v2
	s_delay_alu instid0(VALU_DEP_2) | instskip(NEXT) | instid1(VALU_DEP_1)
	v_or_b32_e32 v6, v6, v7
	v_dual_mov_b32 v7, 0x7e00 :: v_dual_add_nc_u32 v4, v4, v6
	s_delay_alu instid0(VALU_DEP_1) | instskip(SKIP_1) | instid1(VALU_DEP_3)
	v_cndmask_b32_e32 v2, 0x7c00, v7, vcc_lo
	v_cmp_gt_i32_e32 vcc_lo, 31, v5
	v_cndmask_b32_e32 v4, 0x7c00, v4, vcc_lo
	v_cmp_eq_u32_e32 vcc_lo, 0x40f, v5
	s_delay_alu instid0(VALU_DEP_2) | instskip(NEXT) | instid1(VALU_DEP_1)
	v_cndmask_b32_e32 v2, v4, v2, vcc_lo
	v_and_or_b32 v2, 0x8000, v3, v2
	s_branch .LBB190_630
.LBB190_628:
	s_mov_b32 s28, -1
                                        ; implicit-def: $vgpr2
	s_branch .LBB190_633
.LBB190_629:
	s_mov_b32 s28, -1
                                        ; implicit-def: $vgpr2
.LBB190_630:
	s_delay_alu instid0(SALU_CYCLE_1)
	s_and_not1_b32 vcc_lo, exec_lo, s28
	s_cbranch_vccnz .LBB190_632
; %bb.631:
	s_wait_loadcnt 0x0
	global_load_b32 v2, v[0:1], off
	s_wait_loadcnt 0x0
	v_cvt_f16_f32_e32 v2, v2
.LBB190_632:
	s_mov_b32 s28, 0
.LBB190_633:
	s_delay_alu instid0(SALU_CYCLE_1)
	s_and_not1_b32 vcc_lo, exec_lo, s28
	s_cbranch_vccnz .LBB190_635
; %bb.634:
	s_wait_loadcnt 0x0
	global_load_u16 v2, v[0:1], off
.LBB190_635:
	s_mov_b32 s28, 0
.LBB190_636:
	s_delay_alu instid0(SALU_CYCLE_1)
	s_and_not1_b32 vcc_lo, exec_lo, s28
	s_cbranch_vccnz .LBB190_656
; %bb.637:
	s_cmp_lt_i32 s0, 2
	s_cbranch_scc1 .LBB190_641
; %bb.638:
	s_cmp_lt_i32 s0, 3
	s_cbranch_scc1 .LBB190_642
; %bb.639:
	s_cmp_gt_i32 s0, 3
	s_cbranch_scc0 .LBB190_643
; %bb.640:
	s_wait_loadcnt 0x0
	global_load_b64 v[2:3], v[0:1], off
	s_mov_b32 s28, 0
	s_wait_loadcnt 0x0
	v_xor_b32_e32 v4, v2, v3
	v_cls_i32_e32 v5, v3
	s_delay_alu instid0(VALU_DEP_2) | instskip(NEXT) | instid1(VALU_DEP_1)
	v_ashrrev_i32_e32 v4, 31, v4
	v_add_nc_u32_e32 v4, 32, v4
	s_delay_alu instid0(VALU_DEP_1) | instskip(NEXT) | instid1(VALU_DEP_1)
	v_add_min_u32_e64 v4, v5, -1, v4
	v_lshlrev_b64_e32 v[2:3], v4, v[2:3]
	s_delay_alu instid0(VALU_DEP_1) | instskip(NEXT) | instid1(VALU_DEP_1)
	v_min_u32_e32 v2, 1, v2
	v_dual_sub_nc_u32 v3, 32, v4 :: v_dual_bitop2_b32 v2, v3, v2 bitop3:0x54
	s_delay_alu instid0(VALU_DEP_1) | instskip(NEXT) | instid1(VALU_DEP_1)
	v_cvt_f32_i32_e32 v2, v2
	v_ldexp_f32 v2, v2, v3
	s_delay_alu instid0(VALU_DEP_1)
	v_cvt_f16_f32_e32 v2, v2
	s_branch .LBB190_644
.LBB190_641:
	s_mov_b32 s28, -1
                                        ; implicit-def: $vgpr2
	s_branch .LBB190_650
.LBB190_642:
	s_mov_b32 s28, -1
                                        ; implicit-def: $vgpr2
	s_branch .LBB190_647
.LBB190_643:
	s_mov_b32 s28, -1
                                        ; implicit-def: $vgpr2
.LBB190_644:
	s_delay_alu instid0(SALU_CYCLE_1)
	s_and_not1_b32 vcc_lo, exec_lo, s28
	s_cbranch_vccnz .LBB190_646
; %bb.645:
	s_wait_loadcnt 0x0
	global_load_b32 v2, v[0:1], off
	s_wait_loadcnt 0x0
	v_cvt_f32_i32_e32 v2, v2
	s_delay_alu instid0(VALU_DEP_1)
	v_cvt_f16_f32_e32 v2, v2
.LBB190_646:
	s_mov_b32 s28, 0
.LBB190_647:
	s_delay_alu instid0(SALU_CYCLE_1)
	s_and_not1_b32 vcc_lo, exec_lo, s28
	s_cbranch_vccnz .LBB190_649
; %bb.648:
	s_wait_loadcnt 0x0
	global_load_u16 v2, v[0:1], off
	s_wait_loadcnt 0x0
	v_cvt_f16_i16_e32 v2, v2
.LBB190_649:
	s_mov_b32 s28, 0
.LBB190_650:
	s_delay_alu instid0(SALU_CYCLE_1)
	s_and_not1_b32 vcc_lo, exec_lo, s28
	s_cbranch_vccnz .LBB190_656
; %bb.651:
	s_cmp_gt_i32 s0, 0
	s_mov_b32 s0, 0
	s_cbranch_scc0 .LBB190_653
; %bb.652:
	s_wait_loadcnt 0x0
	global_load_i8 v2, v[0:1], off
	s_wait_loadcnt 0x0
	v_cvt_f16_i16_e32 v2, v2
	s_branch .LBB190_654
.LBB190_653:
	s_mov_b32 s0, -1
                                        ; implicit-def: $vgpr2
.LBB190_654:
	s_delay_alu instid0(SALU_CYCLE_1)
	s_and_not1_b32 vcc_lo, exec_lo, s0
	s_cbranch_vccnz .LBB190_656
; %bb.655:
	global_load_u8 v0, v[0:1], off
	s_wait_loadcnt 0x0
	v_cvt_f16_u16_e32 v2, v0
.LBB190_656:
	s_branch .LBB190_526
.LBB190_657:
	s_mov_b32 s33, 0
	s_mov_b32 s0, s21
	;; [unrolled: 1-line block ×4, first 2 shown]
	s_branch .LBB190_1033
.LBB190_658:
	s_and_not1_saveexec_b32 s31, s31
	s_cbranch_execz .LBB190_421
.LBB190_659:
	v_add_f32_e64 v4, 0x46000000, |v2|
	s_and_not1_b32 s30, s30, exec_lo
	s_delay_alu instid0(VALU_DEP_1) | instskip(NEXT) | instid1(VALU_DEP_1)
	v_and_b32_e32 v4, 0xff, v4
	v_cmp_ne_u32_e32 vcc_lo, 0, v4
	s_and_b32 s33, vcc_lo, exec_lo
	s_delay_alu instid0(SALU_CYCLE_1)
	s_or_b32 s30, s30, s33
	s_or_b32 exec_lo, exec_lo, s31
	v_mov_b32_e32 v5, 0
	s_and_saveexec_b32 s31, s30
	s_cbranch_execnz .LBB190_422
	s_branch .LBB190_423
.LBB190_660:
	s_mov_b32 s30, -1
	s_mov_b32 s29, 0
.LBB190_661:
                                        ; implicit-def: $vgpr3
.LBB190_662:
	s_and_b32 vcc_lo, exec_lo, s33
	s_cbranch_vccz .LBB190_666
; %bb.663:
	s_cmp_eq_u32 s28, 44
	s_cbranch_scc0 .LBB190_665
; %bb.664:
	s_wait_loadcnt 0x0
	global_load_u8 v3, v[0:1], off
	s_mov_b32 s30, 0
	s_mov_b32 s29, -1
	s_wait_loadcnt 0x0
	v_lshlrev_b32_e32 v4, 23, v3
	v_cmp_ne_u32_e32 vcc_lo, 0xff, v3
	s_delay_alu instid0(VALU_DEP_2) | instskip(NEXT) | instid1(VALU_DEP_1)
	v_cvt_f16_f32_e32 v4, v4
	v_cndmask_b32_e32 v4, 0x7e00, v4, vcc_lo
	v_cmp_ne_u32_e32 vcc_lo, 0, v3
	s_delay_alu instid0(VALU_DEP_2)
	v_cndmask_b32_e32 v3, 0, v4, vcc_lo
	s_branch .LBB190_666
.LBB190_665:
	s_mov_b32 s30, -1
                                        ; implicit-def: $vgpr3
.LBB190_666:
	s_mov_b32 s33, 0
.LBB190_667:
	s_delay_alu instid0(SALU_CYCLE_1)
	s_and_b32 vcc_lo, exec_lo, s33
	s_cbranch_vccz .LBB190_671
; %bb.668:
	s_cmp_eq_u32 s28, 29
	s_cbranch_scc0 .LBB190_670
; %bb.669:
	s_wait_loadcnt 0x0
	global_load_b64 v[4:5], v[0:1], off
	s_mov_b32 s29, -1
	s_mov_b32 s30, 0
	s_mov_b32 s33, 0
	s_wait_loadcnt 0x0
	v_clz_i32_u32_e32 v3, v5
	s_delay_alu instid0(VALU_DEP_1) | instskip(NEXT) | instid1(VALU_DEP_1)
	v_min_u32_e32 v3, 32, v3
	v_lshlrev_b64_e32 v[4:5], v3, v[4:5]
	v_sub_nc_u32_e32 v3, 32, v3
	s_delay_alu instid0(VALU_DEP_2) | instskip(NEXT) | instid1(VALU_DEP_1)
	v_min_u32_e32 v4, 1, v4
	v_or_b32_e32 v4, v5, v4
	s_delay_alu instid0(VALU_DEP_1) | instskip(NEXT) | instid1(VALU_DEP_1)
	v_cvt_f32_u32_e32 v4, v4
	v_ldexp_f32 v3, v4, v3
	s_delay_alu instid0(VALU_DEP_1)
	v_cvt_f16_f32_e32 v3, v3
	s_branch .LBB190_672
.LBB190_670:
	s_mov_b32 s30, -1
                                        ; implicit-def: $vgpr3
.LBB190_671:
	s_mov_b32 s33, 0
.LBB190_672:
	s_delay_alu instid0(SALU_CYCLE_1)
	s_and_b32 vcc_lo, exec_lo, s33
	s_cbranch_vccz .LBB190_690
; %bb.673:
	s_cmp_lt_i32 s28, 27
	s_cbranch_scc1 .LBB190_676
; %bb.674:
	s_cmp_gt_i32 s28, 27
	s_cbranch_scc0 .LBB190_677
; %bb.675:
	s_wait_loadcnt 0x0
	global_load_b32 v3, v[0:1], off
	s_mov_b32 s29, 0
	s_wait_loadcnt 0x0
	v_cvt_f32_u32_e32 v3, v3
	s_delay_alu instid0(VALU_DEP_1)
	v_cvt_f16_f32_e32 v3, v3
	s_branch .LBB190_678
.LBB190_676:
	s_mov_b32 s29, -1
                                        ; implicit-def: $vgpr3
	s_branch .LBB190_681
.LBB190_677:
	s_mov_b32 s29, -1
                                        ; implicit-def: $vgpr3
.LBB190_678:
	s_delay_alu instid0(SALU_CYCLE_1)
	s_and_not1_b32 vcc_lo, exec_lo, s29
	s_cbranch_vccnz .LBB190_680
; %bb.679:
	s_wait_loadcnt 0x0
	global_load_u16 v3, v[0:1], off
	s_wait_loadcnt 0x0
	v_cvt_f16_u16_e32 v3, v3
.LBB190_680:
	s_mov_b32 s29, 0
.LBB190_681:
	s_delay_alu instid0(SALU_CYCLE_1)
	s_and_not1_b32 vcc_lo, exec_lo, s29
	s_cbranch_vccnz .LBB190_689
; %bb.682:
	s_wait_loadcnt 0x0
	global_load_u8 v4, v[0:1], off
	s_mov_b32 s29, 0
	s_mov_b32 s33, exec_lo
	s_wait_loadcnt 0x0
	v_cmpx_lt_i16_e32 0x7f, v4
	s_xor_b32 s33, exec_lo, s33
	s_cbranch_execz .LBB190_703
; %bb.683:
	s_mov_b32 s29, -1
	s_mov_b32 s34, exec_lo
	v_cmpx_eq_u16_e32 0x80, v4
; %bb.684:
	s_xor_b32 s29, exec_lo, -1
; %bb.685:
	s_or_b32 exec_lo, exec_lo, s34
	s_delay_alu instid0(SALU_CYCLE_1)
	s_and_b32 s29, s29, exec_lo
	s_or_saveexec_b32 s33, s33
	v_mov_b32_e32 v3, 0x7e00
	s_xor_b32 exec_lo, exec_lo, s33
	s_cbranch_execnz .LBB190_704
.LBB190_686:
	s_or_b32 exec_lo, exec_lo, s33
	s_and_saveexec_b32 s33, s29
	s_cbranch_execz .LBB190_688
.LBB190_687:
	v_and_b32_e32 v3, 0xffff, v4
	s_delay_alu instid0(VALU_DEP_1) | instskip(SKIP_1) | instid1(VALU_DEP_2)
	v_and_b32_e32 v5, 7, v3
	v_bfe_u32 v9, v3, 3, 4
	v_clz_i32_u32_e32 v6, v5
	s_delay_alu instid0(VALU_DEP_2) | instskip(NEXT) | instid1(VALU_DEP_2)
	v_cmp_eq_u32_e32 vcc_lo, 0, v9
	v_min_u32_e32 v6, 32, v6
	s_delay_alu instid0(VALU_DEP_1) | instskip(NEXT) | instid1(VALU_DEP_1)
	v_subrev_nc_u32_e32 v7, 28, v6
	v_dual_lshlrev_b32 v3, v7, v3 :: v_dual_sub_nc_u32 v6, 29, v6
	s_delay_alu instid0(VALU_DEP_1) | instskip(NEXT) | instid1(VALU_DEP_2)
	v_dual_lshlrev_b32 v4, 24, v4 :: v_dual_bitop2_b32 v3, 7, v3 bitop3:0x40
	v_cndmask_b32_e32 v6, v9, v6, vcc_lo
	s_delay_alu instid0(VALU_DEP_2) | instskip(NEXT) | instid1(VALU_DEP_3)
	v_cndmask_b32_e32 v3, v5, v3, vcc_lo
	v_and_b32_e32 v4, 0x80000000, v4
	s_delay_alu instid0(VALU_DEP_3) | instskip(NEXT) | instid1(VALU_DEP_3)
	v_lshl_add_u32 v5, v6, 23, 0x3b800000
	v_lshlrev_b32_e32 v3, 20, v3
	s_delay_alu instid0(VALU_DEP_1) | instskip(NEXT) | instid1(VALU_DEP_1)
	v_or3_b32 v3, v4, v5, v3
	v_cvt_f16_f32_e32 v3, v3
.LBB190_688:
	s_or_b32 exec_lo, exec_lo, s33
.LBB190_689:
	s_mov_b32 s29, -1
.LBB190_690:
	s_mov_b32 s33, 0
.LBB190_691:
	s_delay_alu instid0(SALU_CYCLE_1)
	s_and_b32 vcc_lo, exec_lo, s33
	s_cbranch_vccz .LBB190_726
; %bb.692:
	s_cmp_gt_i32 s28, 22
	s_cbranch_scc0 .LBB190_702
; %bb.693:
	s_cmp_lt_i32 s28, 24
	s_cbranch_scc1 .LBB190_705
; %bb.694:
	s_cmp_gt_i32 s28, 24
	s_cbranch_scc0 .LBB190_706
; %bb.695:
	s_wait_loadcnt 0x0
	global_load_u8 v4, v[0:1], off
	s_mov_b32 s29, 0
	s_mov_b32 s33, exec_lo
	s_wait_loadcnt 0x0
	v_cmpx_lt_i16_e32 0x7f, v4
	s_xor_b32 s33, exec_lo, s33
	s_cbranch_execz .LBB190_718
; %bb.696:
	s_mov_b32 s29, -1
	s_mov_b32 s34, exec_lo
	v_cmpx_eq_u16_e32 0x80, v4
; %bb.697:
	s_xor_b32 s29, exec_lo, -1
; %bb.698:
	s_or_b32 exec_lo, exec_lo, s34
	s_delay_alu instid0(SALU_CYCLE_1)
	s_and_b32 s29, s29, exec_lo
	s_or_saveexec_b32 s33, s33
	v_mov_b32_e32 v3, 0x7e00
	s_xor_b32 exec_lo, exec_lo, s33
	s_cbranch_execnz .LBB190_719
.LBB190_699:
	s_or_b32 exec_lo, exec_lo, s33
	s_and_saveexec_b32 s33, s29
	s_cbranch_execz .LBB190_701
.LBB190_700:
	v_and_b32_e32 v3, 0xffff, v4
	s_delay_alu instid0(VALU_DEP_1) | instskip(SKIP_1) | instid1(VALU_DEP_2)
	v_and_b32_e32 v5, 3, v3
	v_bfe_u32 v9, v3, 2, 5
	v_clz_i32_u32_e32 v6, v5
	s_delay_alu instid0(VALU_DEP_2) | instskip(NEXT) | instid1(VALU_DEP_2)
	v_cmp_eq_u32_e32 vcc_lo, 0, v9
	v_min_u32_e32 v6, 32, v6
	s_delay_alu instid0(VALU_DEP_1) | instskip(NEXT) | instid1(VALU_DEP_1)
	v_subrev_nc_u32_e32 v7, 29, v6
	v_dual_lshlrev_b32 v3, v7, v3 :: v_dual_sub_nc_u32 v6, 30, v6
	s_delay_alu instid0(VALU_DEP_1) | instskip(NEXT) | instid1(VALU_DEP_2)
	v_dual_lshlrev_b32 v4, 24, v4 :: v_dual_bitop2_b32 v3, 3, v3 bitop3:0x40
	v_cndmask_b32_e32 v6, v9, v6, vcc_lo
	s_delay_alu instid0(VALU_DEP_2) | instskip(NEXT) | instid1(VALU_DEP_3)
	v_cndmask_b32_e32 v3, v5, v3, vcc_lo
	v_and_b32_e32 v4, 0x80000000, v4
	s_delay_alu instid0(VALU_DEP_3) | instskip(NEXT) | instid1(VALU_DEP_3)
	v_lshl_add_u32 v5, v6, 23, 0x37800000
	v_lshlrev_b32_e32 v3, 21, v3
	s_delay_alu instid0(VALU_DEP_1) | instskip(NEXT) | instid1(VALU_DEP_1)
	v_or3_b32 v3, v4, v5, v3
	v_cvt_f16_f32_e32 v3, v3
.LBB190_701:
	s_or_b32 exec_lo, exec_lo, s33
	s_mov_b32 s29, 0
	s_branch .LBB190_707
.LBB190_702:
	s_mov_b32 s33, -1
                                        ; implicit-def: $vgpr3
	s_branch .LBB190_713
.LBB190_703:
	s_or_saveexec_b32 s33, s33
	v_mov_b32_e32 v3, 0x7e00
	s_xor_b32 exec_lo, exec_lo, s33
	s_cbranch_execz .LBB190_686
.LBB190_704:
	v_cmp_ne_u16_e32 vcc_lo, 0, v4
	v_mov_b32_e32 v3, v4
	s_and_not1_b32 s29, s29, exec_lo
	s_and_b32 s34, vcc_lo, exec_lo
	s_delay_alu instid0(SALU_CYCLE_1)
	s_or_b32 s29, s29, s34
	s_or_b32 exec_lo, exec_lo, s33
	s_and_saveexec_b32 s33, s29
	s_cbranch_execnz .LBB190_687
	s_branch .LBB190_688
.LBB190_705:
	s_mov_b32 s29, -1
                                        ; implicit-def: $vgpr3
	s_branch .LBB190_710
.LBB190_706:
	s_mov_b32 s29, -1
                                        ; implicit-def: $vgpr3
.LBB190_707:
	s_delay_alu instid0(SALU_CYCLE_1)
	s_and_b32 vcc_lo, exec_lo, s29
	s_cbranch_vccz .LBB190_709
; %bb.708:
	s_wait_loadcnt 0x0
	global_load_u8 v3, v[0:1], off
	s_wait_loadcnt 0x0
	v_lshlrev_b32_e32 v3, 24, v3
	s_delay_alu instid0(VALU_DEP_1) | instskip(NEXT) | instid1(VALU_DEP_1)
	v_and_b32_e32 v4, 0x7f000000, v3
	v_clz_i32_u32_e32 v5, v4
	v_cmp_ne_u32_e32 vcc_lo, 0, v4
	v_add_nc_u32_e32 v7, 0x1000000, v4
	s_delay_alu instid0(VALU_DEP_3) | instskip(NEXT) | instid1(VALU_DEP_1)
	v_min_u32_e32 v5, 32, v5
	v_sub_nc_u32_e64 v5, v5, 4 clamp
	s_delay_alu instid0(VALU_DEP_1) | instskip(NEXT) | instid1(VALU_DEP_1)
	v_dual_lshlrev_b32 v6, v5, v4 :: v_dual_lshlrev_b32 v5, 23, v5
	v_lshrrev_b32_e32 v6, 4, v6
	s_delay_alu instid0(VALU_DEP_1) | instskip(NEXT) | instid1(VALU_DEP_1)
	v_dual_sub_nc_u32 v5, v6, v5 :: v_dual_ashrrev_i32 v6, 8, v7
	v_add_nc_u32_e32 v5, 0x3c000000, v5
	s_delay_alu instid0(VALU_DEP_1) | instskip(NEXT) | instid1(VALU_DEP_1)
	v_and_or_b32 v5, 0x7f800000, v6, v5
	v_cndmask_b32_e32 v4, 0, v5, vcc_lo
	s_delay_alu instid0(VALU_DEP_1) | instskip(NEXT) | instid1(VALU_DEP_1)
	v_and_or_b32 v3, 0x80000000, v3, v4
	v_cvt_f16_f32_e32 v3, v3
.LBB190_709:
	s_mov_b32 s29, 0
.LBB190_710:
	s_delay_alu instid0(SALU_CYCLE_1)
	s_and_not1_b32 vcc_lo, exec_lo, s29
	s_cbranch_vccnz .LBB190_712
; %bb.711:
	s_wait_loadcnt 0x0
	global_load_u8 v3, v[0:1], off
	s_wait_loadcnt 0x0
	v_lshlrev_b32_e32 v4, 25, v3
	v_lshlrev_b16 v3, 8, v3
	s_delay_alu instid0(VALU_DEP_1) | instskip(SKIP_1) | instid1(VALU_DEP_2)
	v_and_or_b32 v6, 0x7f00, v3, 0.5
	v_bfe_i32 v3, v3, 0, 16
	v_dual_add_f32 v6, -0.5, v6 :: v_dual_lshrrev_b32 v5, 4, v4
	v_cmp_gt_u32_e32 vcc_lo, 0x8000000, v4
	s_delay_alu instid0(VALU_DEP_2) | instskip(NEXT) | instid1(VALU_DEP_1)
	v_or_b32_e32 v5, 0x70000000, v5
	v_mul_f32_e32 v5, 0x7800000, v5
	s_delay_alu instid0(VALU_DEP_1) | instskip(NEXT) | instid1(VALU_DEP_1)
	v_cndmask_b32_e32 v4, v5, v6, vcc_lo
	v_and_or_b32 v3, 0x80000000, v3, v4
	s_delay_alu instid0(VALU_DEP_1)
	v_cvt_f16_f32_e32 v3, v3
.LBB190_712:
	s_mov_b32 s33, 0
	s_mov_b32 s29, -1
.LBB190_713:
	s_and_not1_b32 vcc_lo, exec_lo, s33
	s_cbranch_vccnz .LBB190_726
; %bb.714:
	s_cmp_gt_i32 s28, 14
	s_cbranch_scc0 .LBB190_717
; %bb.715:
	s_cmp_eq_u32 s28, 15
	s_cbranch_scc0 .LBB190_720
; %bb.716:
	s_wait_loadcnt 0x0
	global_load_u16 v3, v[0:1], off
	s_mov_b32 s29, -1
	s_mov_b32 s30, 0
	s_wait_loadcnt 0x0
	v_lshlrev_b32_e32 v3, 16, v3
	s_delay_alu instid0(VALU_DEP_1)
	v_cvt_f16_f32_e32 v3, v3
	s_branch .LBB190_721
.LBB190_717:
	s_mov_b32 s33, -1
                                        ; implicit-def: $vgpr3
	s_branch .LBB190_722
.LBB190_718:
	s_or_saveexec_b32 s33, s33
	v_mov_b32_e32 v3, 0x7e00
	s_xor_b32 exec_lo, exec_lo, s33
	s_cbranch_execz .LBB190_699
.LBB190_719:
	v_cmp_ne_u16_e32 vcc_lo, 0, v4
	v_mov_b32_e32 v3, v4
	s_and_not1_b32 s29, s29, exec_lo
	s_and_b32 s34, vcc_lo, exec_lo
	s_delay_alu instid0(SALU_CYCLE_1)
	s_or_b32 s29, s29, s34
	s_or_b32 exec_lo, exec_lo, s33
	s_and_saveexec_b32 s33, s29
	s_cbranch_execnz .LBB190_700
	s_branch .LBB190_701
.LBB190_720:
	s_mov_b32 s30, -1
                                        ; implicit-def: $vgpr3
.LBB190_721:
	s_mov_b32 s33, 0
.LBB190_722:
	s_delay_alu instid0(SALU_CYCLE_1)
	s_and_b32 vcc_lo, exec_lo, s33
	s_cbranch_vccz .LBB190_726
; %bb.723:
	s_cmp_eq_u32 s28, 11
	s_cbranch_scc0 .LBB190_725
; %bb.724:
	s_wait_loadcnt 0x0
	global_load_u8 v3, v[0:1], off
	s_mov_b32 s30, 0
	s_mov_b32 s29, -1
	s_wait_loadcnt 0x0
	v_cmp_ne_u16_e32 vcc_lo, 0, v3
	v_cndmask_b32_e64 v3, 0, 0x3c00, vcc_lo
	s_branch .LBB190_726
.LBB190_725:
	s_mov_b32 s30, -1
                                        ; implicit-def: $vgpr3
.LBB190_726:
	s_mov_b32 s28, 0
.LBB190_727:
	s_delay_alu instid0(SALU_CYCLE_1)
	s_and_b32 vcc_lo, exec_lo, s28
	s_cbranch_vccz .LBB190_776
; %bb.728:
	s_and_b32 s0, 0xffff, s0
	s_delay_alu instid0(SALU_CYCLE_1)
	s_cmp_lt_i32 s0, 5
	s_cbranch_scc1 .LBB190_733
; %bb.729:
	s_cmp_lt_i32 s0, 8
	s_cbranch_scc1 .LBB190_734
; %bb.730:
	s_cmp_lt_i32 s0, 9
	s_cbranch_scc1 .LBB190_735
; %bb.731:
	s_cmp_gt_i32 s0, 9
	s_cbranch_scc0 .LBB190_736
; %bb.732:
	s_wait_loadcnt 0x0
	global_load_b64 v[4:5], v[0:1], off
	s_mov_b32 s28, 0
	s_wait_loadcnt 0x0
	v_and_or_b32 v3, 0x1ff, v5, v4
	v_lshrrev_b32_e32 v4, 8, v5
	v_bfe_u32 v6, v5, 20, 11
	s_delay_alu instid0(VALU_DEP_3) | instskip(NEXT) | instid1(VALU_DEP_2)
	v_cmp_ne_u32_e32 vcc_lo, 0, v3
	v_sub_nc_u32_e32 v7, 0x3f1, v6
	v_add_nc_u32_e32 v6, 0xfffffc10, v6
	v_cndmask_b32_e64 v3, 0, 1, vcc_lo
	s_delay_alu instid0(VALU_DEP_1) | instskip(NEXT) | instid1(VALU_DEP_4)
	v_and_or_b32 v3, 0xffe, v4, v3
	v_med3_i32 v4, v7, 0, 13
	s_delay_alu instid0(VALU_DEP_2) | instskip(NEXT) | instid1(VALU_DEP_1)
	v_or_b32_e32 v7, 0x1000, v3
	v_lshrrev_b32_e32 v9, v4, v7
	s_delay_alu instid0(VALU_DEP_1) | instskip(NEXT) | instid1(VALU_DEP_1)
	v_lshlrev_b32_e32 v4, v4, v9
	v_cmp_ne_u32_e32 vcc_lo, v4, v7
	v_lshl_or_b32 v7, v6, 12, v3
	v_cndmask_b32_e64 v4, 0, 1, vcc_lo
	v_cmp_gt_i32_e32 vcc_lo, 1, v6
	s_delay_alu instid0(VALU_DEP_2) | instskip(NEXT) | instid1(VALU_DEP_1)
	v_or_b32_e32 v4, v9, v4
	v_cndmask_b32_e32 v4, v7, v4, vcc_lo
	s_delay_alu instid0(VALU_DEP_1) | instskip(NEXT) | instid1(VALU_DEP_1)
	v_dual_lshrrev_b32 v4, 2, v4 :: v_dual_bitop2_b32 v7, 7, v4 bitop3:0x40
	v_cmp_lt_i32_e32 vcc_lo, 5, v7
	v_cndmask_b32_e64 v9, 0, 1, vcc_lo
	v_cmp_eq_u32_e32 vcc_lo, 3, v7
	v_cndmask_b32_e64 v7, 0, 1, vcc_lo
	v_cmp_ne_u32_e32 vcc_lo, 0, v3
	s_delay_alu instid0(VALU_DEP_2) | instskip(NEXT) | instid1(VALU_DEP_1)
	v_or_b32_e32 v7, v7, v9
	v_dual_mov_b32 v9, 0x7e00 :: v_dual_add_nc_u32 v4, v4, v7
	s_delay_alu instid0(VALU_DEP_1) | instskip(SKIP_1) | instid1(VALU_DEP_3)
	v_cndmask_b32_e32 v3, 0x7c00, v9, vcc_lo
	v_cmp_gt_i32_e32 vcc_lo, 31, v6
	v_cndmask_b32_e32 v4, 0x7c00, v4, vcc_lo
	v_cmp_eq_u32_e32 vcc_lo, 0x40f, v6
	s_delay_alu instid0(VALU_DEP_2) | instskip(NEXT) | instid1(VALU_DEP_1)
	v_dual_cndmask_b32 v3, v4, v3 :: v_dual_lshrrev_b32 v4, 16, v5
	v_and_or_b32 v3, 0x8000, v4, v3
	s_branch .LBB190_737
.LBB190_733:
	s_mov_b32 s28, -1
                                        ; implicit-def: $vgpr3
	s_branch .LBB190_755
.LBB190_734:
	s_mov_b32 s28, -1
                                        ; implicit-def: $vgpr3
	s_branch .LBB190_743
.LBB190_735:
	s_mov_b32 s28, -1
                                        ; implicit-def: $vgpr3
	s_branch .LBB190_740
.LBB190_736:
	s_mov_b32 s28, -1
                                        ; implicit-def: $vgpr3
.LBB190_737:
	s_delay_alu instid0(SALU_CYCLE_1)
	s_and_not1_b32 vcc_lo, exec_lo, s28
	s_cbranch_vccnz .LBB190_739
; %bb.738:
	s_wait_loadcnt 0x0
	global_load_b32 v3, v[0:1], off
	s_wait_loadcnt 0x0
	v_cvt_f16_f32_e32 v3, v3
.LBB190_739:
	s_mov_b32 s28, 0
.LBB190_740:
	s_delay_alu instid0(SALU_CYCLE_1)
	s_and_not1_b32 vcc_lo, exec_lo, s28
	s_cbranch_vccnz .LBB190_742
; %bb.741:
	s_wait_loadcnt 0x0
	global_load_b32 v3, v[0:1], off
.LBB190_742:
	s_mov_b32 s28, 0
.LBB190_743:
	s_delay_alu instid0(SALU_CYCLE_1)
	s_and_not1_b32 vcc_lo, exec_lo, s28
	s_cbranch_vccnz .LBB190_754
; %bb.744:
	s_cmp_lt_i32 s0, 6
	s_cbranch_scc1 .LBB190_747
; %bb.745:
	s_cmp_gt_i32 s0, 6
	s_cbranch_scc0 .LBB190_748
; %bb.746:
	s_wait_loadcnt 0x0
	global_load_b64 v[4:5], v[0:1], off
	s_mov_b32 s28, 0
	s_wait_loadcnt 0x0
	v_and_or_b32 v3, 0x1ff, v5, v4
	v_lshrrev_b32_e32 v4, 8, v5
	v_bfe_u32 v6, v5, 20, 11
	s_delay_alu instid0(VALU_DEP_3) | instskip(NEXT) | instid1(VALU_DEP_2)
	v_cmp_ne_u32_e32 vcc_lo, 0, v3
	v_sub_nc_u32_e32 v7, 0x3f1, v6
	v_add_nc_u32_e32 v6, 0xfffffc10, v6
	v_cndmask_b32_e64 v3, 0, 1, vcc_lo
	s_delay_alu instid0(VALU_DEP_1) | instskip(NEXT) | instid1(VALU_DEP_4)
	v_and_or_b32 v3, 0xffe, v4, v3
	v_med3_i32 v4, v7, 0, 13
	s_delay_alu instid0(VALU_DEP_2) | instskip(NEXT) | instid1(VALU_DEP_1)
	v_or_b32_e32 v7, 0x1000, v3
	v_lshrrev_b32_e32 v9, v4, v7
	s_delay_alu instid0(VALU_DEP_1) | instskip(NEXT) | instid1(VALU_DEP_1)
	v_lshlrev_b32_e32 v4, v4, v9
	v_cmp_ne_u32_e32 vcc_lo, v4, v7
	v_lshl_or_b32 v7, v6, 12, v3
	v_cndmask_b32_e64 v4, 0, 1, vcc_lo
	v_cmp_gt_i32_e32 vcc_lo, 1, v6
	s_delay_alu instid0(VALU_DEP_2) | instskip(NEXT) | instid1(VALU_DEP_1)
	v_or_b32_e32 v4, v9, v4
	v_cndmask_b32_e32 v4, v7, v4, vcc_lo
	s_delay_alu instid0(VALU_DEP_1) | instskip(NEXT) | instid1(VALU_DEP_1)
	v_dual_lshrrev_b32 v4, 2, v4 :: v_dual_bitop2_b32 v7, 7, v4 bitop3:0x40
	v_cmp_lt_i32_e32 vcc_lo, 5, v7
	v_cndmask_b32_e64 v9, 0, 1, vcc_lo
	v_cmp_eq_u32_e32 vcc_lo, 3, v7
	v_cndmask_b32_e64 v7, 0, 1, vcc_lo
	v_cmp_ne_u32_e32 vcc_lo, 0, v3
	s_delay_alu instid0(VALU_DEP_2) | instskip(NEXT) | instid1(VALU_DEP_1)
	v_or_b32_e32 v7, v7, v9
	v_dual_mov_b32 v9, 0x7e00 :: v_dual_add_nc_u32 v4, v4, v7
	s_delay_alu instid0(VALU_DEP_1) | instskip(SKIP_1) | instid1(VALU_DEP_3)
	v_cndmask_b32_e32 v3, 0x7c00, v9, vcc_lo
	v_cmp_gt_i32_e32 vcc_lo, 31, v6
	v_cndmask_b32_e32 v4, 0x7c00, v4, vcc_lo
	v_cmp_eq_u32_e32 vcc_lo, 0x40f, v6
	s_delay_alu instid0(VALU_DEP_2) | instskip(NEXT) | instid1(VALU_DEP_1)
	v_dual_cndmask_b32 v3, v4, v3 :: v_dual_lshrrev_b32 v4, 16, v5
	v_and_or_b32 v3, 0x8000, v4, v3
	s_branch .LBB190_749
.LBB190_747:
	s_mov_b32 s28, -1
                                        ; implicit-def: $vgpr3
	s_branch .LBB190_752
.LBB190_748:
	s_mov_b32 s28, -1
                                        ; implicit-def: $vgpr3
.LBB190_749:
	s_delay_alu instid0(SALU_CYCLE_1)
	s_and_not1_b32 vcc_lo, exec_lo, s28
	s_cbranch_vccnz .LBB190_751
; %bb.750:
	s_wait_loadcnt 0x0
	global_load_b32 v3, v[0:1], off
	s_wait_loadcnt 0x0
	v_cvt_f16_f32_e32 v3, v3
.LBB190_751:
	s_mov_b32 s28, 0
.LBB190_752:
	s_delay_alu instid0(SALU_CYCLE_1)
	s_and_not1_b32 vcc_lo, exec_lo, s28
	s_cbranch_vccnz .LBB190_754
; %bb.753:
	s_wait_loadcnt 0x0
	global_load_u16 v3, v[0:1], off
.LBB190_754:
	s_mov_b32 s28, 0
.LBB190_755:
	s_delay_alu instid0(SALU_CYCLE_1)
	s_and_not1_b32 vcc_lo, exec_lo, s28
	s_cbranch_vccnz .LBB190_775
; %bb.756:
	s_cmp_lt_i32 s0, 2
	s_cbranch_scc1 .LBB190_760
; %bb.757:
	s_cmp_lt_i32 s0, 3
	s_cbranch_scc1 .LBB190_761
; %bb.758:
	s_cmp_gt_i32 s0, 3
	s_cbranch_scc0 .LBB190_762
; %bb.759:
	s_wait_loadcnt 0x0
	global_load_b64 v[4:5], v[0:1], off
	s_mov_b32 s28, 0
	s_wait_loadcnt 0x0
	v_xor_b32_e32 v3, v4, v5
	v_cls_i32_e32 v6, v5
	s_delay_alu instid0(VALU_DEP_2) | instskip(NEXT) | instid1(VALU_DEP_1)
	v_ashrrev_i32_e32 v3, 31, v3
	v_add_nc_u32_e32 v3, 32, v3
	s_delay_alu instid0(VALU_DEP_1) | instskip(NEXT) | instid1(VALU_DEP_1)
	v_add_min_u32_e64 v3, v6, -1, v3
	v_lshlrev_b64_e32 v[4:5], v3, v[4:5]
	v_sub_nc_u32_e32 v3, 32, v3
	s_delay_alu instid0(VALU_DEP_2) | instskip(NEXT) | instid1(VALU_DEP_1)
	v_min_u32_e32 v4, 1, v4
	v_or_b32_e32 v4, v5, v4
	s_delay_alu instid0(VALU_DEP_1) | instskip(NEXT) | instid1(VALU_DEP_1)
	v_cvt_f32_i32_e32 v4, v4
	v_ldexp_f32 v3, v4, v3
	s_delay_alu instid0(VALU_DEP_1)
	v_cvt_f16_f32_e32 v3, v3
	s_branch .LBB190_763
.LBB190_760:
	s_mov_b32 s28, -1
                                        ; implicit-def: $vgpr3
	s_branch .LBB190_769
.LBB190_761:
	s_mov_b32 s28, -1
                                        ; implicit-def: $vgpr3
	s_branch .LBB190_766
.LBB190_762:
	s_mov_b32 s28, -1
                                        ; implicit-def: $vgpr3
.LBB190_763:
	s_delay_alu instid0(SALU_CYCLE_1)
	s_and_not1_b32 vcc_lo, exec_lo, s28
	s_cbranch_vccnz .LBB190_765
; %bb.764:
	s_wait_loadcnt 0x0
	global_load_b32 v3, v[0:1], off
	s_wait_loadcnt 0x0
	v_cvt_f32_i32_e32 v3, v3
	s_delay_alu instid0(VALU_DEP_1)
	v_cvt_f16_f32_e32 v3, v3
.LBB190_765:
	s_mov_b32 s28, 0
.LBB190_766:
	s_delay_alu instid0(SALU_CYCLE_1)
	s_and_not1_b32 vcc_lo, exec_lo, s28
	s_cbranch_vccnz .LBB190_768
; %bb.767:
	s_wait_loadcnt 0x0
	global_load_u16 v3, v[0:1], off
	s_wait_loadcnt 0x0
	v_cvt_f16_i16_e32 v3, v3
.LBB190_768:
	s_mov_b32 s28, 0
.LBB190_769:
	s_delay_alu instid0(SALU_CYCLE_1)
	s_and_not1_b32 vcc_lo, exec_lo, s28
	s_cbranch_vccnz .LBB190_775
; %bb.770:
	s_cmp_gt_i32 s0, 0
	s_mov_b32 s0, 0
	s_cbranch_scc0 .LBB190_772
; %bb.771:
	s_wait_loadcnt 0x0
	global_load_i8 v3, v[0:1], off
	s_wait_loadcnt 0x0
	v_cvt_f16_i16_e32 v3, v3
	s_branch .LBB190_773
.LBB190_772:
	s_mov_b32 s0, -1
                                        ; implicit-def: $vgpr3
.LBB190_773:
	s_delay_alu instid0(SALU_CYCLE_1)
	s_and_not1_b32 vcc_lo, exec_lo, s0
	s_cbranch_vccnz .LBB190_775
; %bb.774:
	global_load_u8 v0, v[0:1], off
	s_wait_loadcnt 0x0
	v_cvt_f16_u16_e32 v3, v0
.LBB190_775:
	s_mov_b32 s29, -1
.LBB190_776:
	s_delay_alu instid0(SALU_CYCLE_1)
	s_and_not1_b32 vcc_lo, exec_lo, s29
	s_cbranch_vccnz .LBB190_784
; %bb.777:
	s_wait_xcnt 0x0
	v_mul_lo_u32 v0, v8, s15
	s_and_b32 s0, 0xffff, s16
	s_delay_alu instid0(SALU_CYCLE_1) | instskip(NEXT) | instid1(VALU_DEP_1)
	s_cmp_lt_i32 s0, 11
	v_ashrrev_i32_e32 v1, 31, v0
	s_delay_alu instid0(VALU_DEP_1)
	v_add_nc_u64_e32 v[0:1], s[10:11], v[0:1]
	s_cbranch_scc1 .LBB190_785
; %bb.778:
	s_cmp_gt_i32 s0, 25
	s_cbranch_scc0 .LBB190_786
; %bb.779:
	s_cmp_gt_i32 s0, 28
	s_cbranch_scc0 .LBB190_787
	;; [unrolled: 3-line block ×4, first 2 shown]
; %bb.782:
	s_cmp_eq_u32 s0, 46
	s_mov_b32 s33, 0
	s_cbranch_scc0 .LBB190_792
; %bb.783:
	s_wait_loadcnt 0x0
	global_load_b32 v4, v[0:1], off
	s_mov_b32 s29, -1
	s_mov_b32 s28, 0
	s_wait_loadcnt 0x0
	v_lshlrev_b32_e32 v4, 16, v4
	s_delay_alu instid0(VALU_DEP_1)
	v_cvt_f16_f32_e32 v4, v4
	s_branch .LBB190_794
.LBB190_784:
	s_mov_b32 s33, 0
	s_mov_b32 s0, s21
	;; [unrolled: 1-line block ×3, first 2 shown]
	s_branch .LBB190_1033
.LBB190_785:
	s_mov_b32 s33, -1
	s_mov_b32 s29, 0
	s_mov_b32 s28, s23
                                        ; implicit-def: $vgpr4
	s_branch .LBB190_859
.LBB190_786:
	s_mov_b32 s33, -1
	s_mov_b32 s29, 0
	s_mov_b32 s28, s23
                                        ; implicit-def: $vgpr4
	s_branch .LBB190_823
.LBB190_787:
	s_mov_b32 s33, -1
	s_mov_b32 s29, 0
	s_mov_b32 s28, s23
                                        ; implicit-def: $vgpr4
	s_branch .LBB190_804
.LBB190_788:
	s_mov_b32 s33, -1
	s_mov_b32 s29, 0
	s_mov_b32 s28, s23
                                        ; implicit-def: $vgpr4
	s_branch .LBB190_799
.LBB190_789:
	s_mov_b32 s33, -1
	s_mov_b32 s29, 0
	s_mov_b32 s28, s23
	s_branch .LBB190_793
.LBB190_790:
	s_and_not1_saveexec_b32 s31, s31
	s_cbranch_execz .LBB190_434
.LBB190_791:
	v_add_f32_e64 v4, 0x42800000, |v2|
	s_and_not1_b32 s30, s30, exec_lo
	s_delay_alu instid0(VALU_DEP_1) | instskip(NEXT) | instid1(VALU_DEP_1)
	v_and_b32_e32 v4, 0xff, v4
	v_cmp_ne_u32_e32 vcc_lo, 0, v4
	s_and_b32 s33, vcc_lo, exec_lo
	s_delay_alu instid0(SALU_CYCLE_1)
	s_or_b32 s30, s30, s33
	s_or_b32 exec_lo, exec_lo, s31
	v_mov_b32_e32 v5, 0
	s_and_saveexec_b32 s31, s30
	s_cbranch_execnz .LBB190_435
	s_branch .LBB190_436
.LBB190_792:
	s_mov_b32 s28, -1
	s_mov_b32 s29, 0
.LBB190_793:
                                        ; implicit-def: $vgpr4
.LBB190_794:
	s_and_b32 vcc_lo, exec_lo, s33
	s_cbranch_vccz .LBB190_798
; %bb.795:
	s_cmp_eq_u32 s0, 44
	s_cbranch_scc0 .LBB190_797
; %bb.796:
	s_wait_loadcnt 0x0
	global_load_u8 v4, v[0:1], off
	s_mov_b32 s28, 0
	s_mov_b32 s29, -1
	s_wait_loadcnt 0x0
	v_lshlrev_b32_e32 v5, 23, v4
	v_cmp_ne_u32_e32 vcc_lo, 0xff, v4
	s_delay_alu instid0(VALU_DEP_2) | instskip(NEXT) | instid1(VALU_DEP_1)
	v_cvt_f16_f32_e32 v5, v5
	v_cndmask_b32_e32 v5, 0x7e00, v5, vcc_lo
	v_cmp_ne_u32_e32 vcc_lo, 0, v4
	s_delay_alu instid0(VALU_DEP_2)
	v_cndmask_b32_e32 v4, 0, v5, vcc_lo
	s_branch .LBB190_798
.LBB190_797:
	s_mov_b32 s28, -1
                                        ; implicit-def: $vgpr4
.LBB190_798:
	s_mov_b32 s33, 0
.LBB190_799:
	s_delay_alu instid0(SALU_CYCLE_1)
	s_and_b32 vcc_lo, exec_lo, s33
	s_cbranch_vccz .LBB190_803
; %bb.800:
	s_cmp_eq_u32 s0, 29
	s_cbranch_scc0 .LBB190_802
; %bb.801:
	s_wait_loadcnt 0x0
	global_load_b64 v[4:5], v[0:1], off
	s_mov_b32 s29, -1
	s_mov_b32 s28, 0
	s_mov_b32 s33, 0
	s_wait_loadcnt 0x0
	v_clz_i32_u32_e32 v6, v5
	s_delay_alu instid0(VALU_DEP_1) | instskip(NEXT) | instid1(VALU_DEP_1)
	v_min_u32_e32 v6, 32, v6
	v_lshlrev_b64_e32 v[4:5], v6, v[4:5]
	s_delay_alu instid0(VALU_DEP_1) | instskip(NEXT) | instid1(VALU_DEP_1)
	v_min_u32_e32 v4, 1, v4
	v_dual_sub_nc_u32 v5, 32, v6 :: v_dual_bitop2_b32 v4, v5, v4 bitop3:0x54
	s_delay_alu instid0(VALU_DEP_1) | instskip(NEXT) | instid1(VALU_DEP_1)
	v_cvt_f32_u32_e32 v4, v4
	v_ldexp_f32 v4, v4, v5
	s_delay_alu instid0(VALU_DEP_1)
	v_cvt_f16_f32_e32 v4, v4
	s_branch .LBB190_804
.LBB190_802:
	s_mov_b32 s28, -1
                                        ; implicit-def: $vgpr4
.LBB190_803:
	s_mov_b32 s33, 0
.LBB190_804:
	s_delay_alu instid0(SALU_CYCLE_1)
	s_and_b32 vcc_lo, exec_lo, s33
	s_cbranch_vccz .LBB190_822
; %bb.805:
	s_cmp_lt_i32 s0, 27
	s_cbranch_scc1 .LBB190_808
; %bb.806:
	s_cmp_gt_i32 s0, 27
	s_cbranch_scc0 .LBB190_809
; %bb.807:
	s_wait_loadcnt 0x0
	global_load_b32 v4, v[0:1], off
	s_mov_b32 s29, 0
	s_wait_loadcnt 0x0
	v_cvt_f32_u32_e32 v4, v4
	s_delay_alu instid0(VALU_DEP_1)
	v_cvt_f16_f32_e32 v4, v4
	s_branch .LBB190_810
.LBB190_808:
	s_mov_b32 s29, -1
                                        ; implicit-def: $vgpr4
	s_branch .LBB190_813
.LBB190_809:
	s_mov_b32 s29, -1
                                        ; implicit-def: $vgpr4
.LBB190_810:
	s_delay_alu instid0(SALU_CYCLE_1)
	s_and_not1_b32 vcc_lo, exec_lo, s29
	s_cbranch_vccnz .LBB190_812
; %bb.811:
	s_wait_loadcnt 0x0
	global_load_u16 v4, v[0:1], off
	s_wait_loadcnt 0x0
	v_cvt_f16_u16_e32 v4, v4
.LBB190_812:
	s_mov_b32 s29, 0
.LBB190_813:
	s_delay_alu instid0(SALU_CYCLE_1)
	s_and_not1_b32 vcc_lo, exec_lo, s29
	s_cbranch_vccnz .LBB190_821
; %bb.814:
	global_load_u8 v5, v[0:1], off
	s_mov_b32 s29, 0
	s_mov_b32 s33, exec_lo
	s_wait_loadcnt 0x0
	v_cmpx_lt_i16_e32 0x7f, v5
	s_xor_b32 s33, exec_lo, s33
	s_cbranch_execz .LBB190_835
; %bb.815:
	s_mov_b32 s29, -1
	s_mov_b32 s34, exec_lo
	v_cmpx_eq_u16_e32 0x80, v5
; %bb.816:
	s_xor_b32 s29, exec_lo, -1
; %bb.817:
	s_or_b32 exec_lo, exec_lo, s34
	s_delay_alu instid0(SALU_CYCLE_1)
	s_and_b32 s29, s29, exec_lo
	s_or_saveexec_b32 s33, s33
	v_mov_b32_e32 v4, 0x7e00
	s_xor_b32 exec_lo, exec_lo, s33
	s_cbranch_execnz .LBB190_836
.LBB190_818:
	s_or_b32 exec_lo, exec_lo, s33
	s_and_saveexec_b32 s33, s29
	s_cbranch_execz .LBB190_820
.LBB190_819:
	v_and_b32_e32 v4, 0xffff, v5
	s_delay_alu instid0(VALU_DEP_1) | instskip(SKIP_1) | instid1(VALU_DEP_2)
	v_and_b32_e32 v6, 7, v4
	v_bfe_u32 v10, v4, 3, 4
	v_clz_i32_u32_e32 v7, v6
	s_delay_alu instid0(VALU_DEP_2) | instskip(NEXT) | instid1(VALU_DEP_2)
	v_cmp_eq_u32_e32 vcc_lo, 0, v10
	v_min_u32_e32 v7, 32, v7
	s_delay_alu instid0(VALU_DEP_1) | instskip(NEXT) | instid1(VALU_DEP_1)
	v_subrev_nc_u32_e32 v9, 28, v7
	v_dual_lshlrev_b32 v4, v9, v4 :: v_dual_sub_nc_u32 v7, 29, v7
	s_delay_alu instid0(VALU_DEP_1) | instskip(NEXT) | instid1(VALU_DEP_2)
	v_dual_lshlrev_b32 v5, 24, v5 :: v_dual_bitop2_b32 v4, 7, v4 bitop3:0x40
	v_cndmask_b32_e32 v7, v10, v7, vcc_lo
	s_delay_alu instid0(VALU_DEP_2) | instskip(NEXT) | instid1(VALU_DEP_3)
	v_cndmask_b32_e32 v4, v6, v4, vcc_lo
	v_and_b32_e32 v5, 0x80000000, v5
	s_delay_alu instid0(VALU_DEP_3) | instskip(NEXT) | instid1(VALU_DEP_3)
	v_lshl_add_u32 v6, v7, 23, 0x3b800000
	v_lshlrev_b32_e32 v4, 20, v4
	s_delay_alu instid0(VALU_DEP_1) | instskip(NEXT) | instid1(VALU_DEP_1)
	v_or3_b32 v4, v5, v6, v4
	v_cvt_f16_f32_e32 v4, v4
.LBB190_820:
	s_or_b32 exec_lo, exec_lo, s33
.LBB190_821:
	s_mov_b32 s29, -1
.LBB190_822:
	s_mov_b32 s33, 0
.LBB190_823:
	s_delay_alu instid0(SALU_CYCLE_1)
	s_and_b32 vcc_lo, exec_lo, s33
	s_cbranch_vccz .LBB190_858
; %bb.824:
	s_cmp_gt_i32 s0, 22
	s_cbranch_scc0 .LBB190_834
; %bb.825:
	s_cmp_lt_i32 s0, 24
	s_cbranch_scc1 .LBB190_837
; %bb.826:
	s_cmp_gt_i32 s0, 24
	s_cbranch_scc0 .LBB190_838
; %bb.827:
	global_load_u8 v5, v[0:1], off
	s_mov_b32 s29, 0
	s_mov_b32 s33, exec_lo
	s_wait_loadcnt 0x0
	v_cmpx_lt_i16_e32 0x7f, v5
	s_xor_b32 s33, exec_lo, s33
	s_cbranch_execz .LBB190_850
; %bb.828:
	s_mov_b32 s29, -1
	s_mov_b32 s34, exec_lo
	v_cmpx_eq_u16_e32 0x80, v5
; %bb.829:
	s_xor_b32 s29, exec_lo, -1
; %bb.830:
	s_or_b32 exec_lo, exec_lo, s34
	s_delay_alu instid0(SALU_CYCLE_1)
	s_and_b32 s29, s29, exec_lo
	s_or_saveexec_b32 s33, s33
	v_mov_b32_e32 v4, 0x7e00
	s_xor_b32 exec_lo, exec_lo, s33
	s_cbranch_execnz .LBB190_851
.LBB190_831:
	s_or_b32 exec_lo, exec_lo, s33
	s_and_saveexec_b32 s33, s29
	s_cbranch_execz .LBB190_833
.LBB190_832:
	v_and_b32_e32 v4, 0xffff, v5
	s_delay_alu instid0(VALU_DEP_1) | instskip(SKIP_1) | instid1(VALU_DEP_2)
	v_and_b32_e32 v6, 3, v4
	v_bfe_u32 v10, v4, 2, 5
	v_clz_i32_u32_e32 v7, v6
	s_delay_alu instid0(VALU_DEP_2) | instskip(NEXT) | instid1(VALU_DEP_2)
	v_cmp_eq_u32_e32 vcc_lo, 0, v10
	v_min_u32_e32 v7, 32, v7
	s_delay_alu instid0(VALU_DEP_1) | instskip(NEXT) | instid1(VALU_DEP_1)
	v_subrev_nc_u32_e32 v9, 29, v7
	v_dual_lshlrev_b32 v4, v9, v4 :: v_dual_sub_nc_u32 v7, 30, v7
	s_delay_alu instid0(VALU_DEP_1) | instskip(NEXT) | instid1(VALU_DEP_2)
	v_dual_lshlrev_b32 v5, 24, v5 :: v_dual_bitop2_b32 v4, 3, v4 bitop3:0x40
	v_cndmask_b32_e32 v7, v10, v7, vcc_lo
	s_delay_alu instid0(VALU_DEP_2) | instskip(NEXT) | instid1(VALU_DEP_3)
	v_cndmask_b32_e32 v4, v6, v4, vcc_lo
	v_and_b32_e32 v5, 0x80000000, v5
	s_delay_alu instid0(VALU_DEP_3) | instskip(NEXT) | instid1(VALU_DEP_3)
	v_lshl_add_u32 v6, v7, 23, 0x37800000
	v_lshlrev_b32_e32 v4, 21, v4
	s_delay_alu instid0(VALU_DEP_1) | instskip(NEXT) | instid1(VALU_DEP_1)
	v_or3_b32 v4, v5, v6, v4
	v_cvt_f16_f32_e32 v4, v4
.LBB190_833:
	s_or_b32 exec_lo, exec_lo, s33
	s_mov_b32 s29, 0
	s_branch .LBB190_839
.LBB190_834:
	s_mov_b32 s33, -1
                                        ; implicit-def: $vgpr4
	s_branch .LBB190_845
.LBB190_835:
	s_or_saveexec_b32 s33, s33
	v_mov_b32_e32 v4, 0x7e00
	s_xor_b32 exec_lo, exec_lo, s33
	s_cbranch_execz .LBB190_818
.LBB190_836:
	v_cmp_ne_u16_e32 vcc_lo, 0, v5
	v_mov_b32_e32 v4, v5
	s_and_not1_b32 s29, s29, exec_lo
	s_and_b32 s34, vcc_lo, exec_lo
	s_delay_alu instid0(SALU_CYCLE_1)
	s_or_b32 s29, s29, s34
	s_or_b32 exec_lo, exec_lo, s33
	s_and_saveexec_b32 s33, s29
	s_cbranch_execnz .LBB190_819
	s_branch .LBB190_820
.LBB190_837:
	s_mov_b32 s29, -1
                                        ; implicit-def: $vgpr4
	s_branch .LBB190_842
.LBB190_838:
	s_mov_b32 s29, -1
                                        ; implicit-def: $vgpr4
.LBB190_839:
	s_delay_alu instid0(SALU_CYCLE_1)
	s_and_b32 vcc_lo, exec_lo, s29
	s_cbranch_vccz .LBB190_841
; %bb.840:
	s_wait_loadcnt 0x0
	global_load_u8 v4, v[0:1], off
	s_wait_loadcnt 0x0
	v_lshlrev_b32_e32 v4, 24, v4
	s_delay_alu instid0(VALU_DEP_1) | instskip(NEXT) | instid1(VALU_DEP_1)
	v_and_b32_e32 v5, 0x7f000000, v4
	v_clz_i32_u32_e32 v6, v5
	v_add_nc_u32_e32 v9, 0x1000000, v5
	v_cmp_ne_u32_e32 vcc_lo, 0, v5
	s_delay_alu instid0(VALU_DEP_3) | instskip(NEXT) | instid1(VALU_DEP_1)
	v_min_u32_e32 v6, 32, v6
	v_sub_nc_u32_e64 v6, v6, 4 clamp
	s_delay_alu instid0(VALU_DEP_1) | instskip(NEXT) | instid1(VALU_DEP_1)
	v_dual_lshlrev_b32 v7, v6, v5 :: v_dual_lshlrev_b32 v6, 23, v6
	v_lshrrev_b32_e32 v7, 4, v7
	s_delay_alu instid0(VALU_DEP_1) | instskip(NEXT) | instid1(VALU_DEP_1)
	v_dual_sub_nc_u32 v6, v7, v6 :: v_dual_ashrrev_i32 v7, 8, v9
	v_add_nc_u32_e32 v6, 0x3c000000, v6
	s_delay_alu instid0(VALU_DEP_1) | instskip(NEXT) | instid1(VALU_DEP_1)
	v_and_or_b32 v6, 0x7f800000, v7, v6
	v_cndmask_b32_e32 v5, 0, v6, vcc_lo
	s_delay_alu instid0(VALU_DEP_1) | instskip(NEXT) | instid1(VALU_DEP_1)
	v_and_or_b32 v4, 0x80000000, v4, v5
	v_cvt_f16_f32_e32 v4, v4
.LBB190_841:
	s_mov_b32 s29, 0
.LBB190_842:
	s_delay_alu instid0(SALU_CYCLE_1)
	s_and_not1_b32 vcc_lo, exec_lo, s29
	s_cbranch_vccnz .LBB190_844
; %bb.843:
	s_wait_loadcnt 0x0
	global_load_u8 v4, v[0:1], off
	s_wait_loadcnt 0x0
	v_lshlrev_b32_e32 v5, 25, v4
	v_lshlrev_b16 v4, 8, v4
	s_delay_alu instid0(VALU_DEP_1) | instskip(SKIP_1) | instid1(VALU_DEP_2)
	v_and_or_b32 v7, 0x7f00, v4, 0.5
	v_bfe_i32 v4, v4, 0, 16
	v_dual_add_f32 v7, -0.5, v7 :: v_dual_lshrrev_b32 v6, 4, v5
	v_cmp_gt_u32_e32 vcc_lo, 0x8000000, v5
	s_delay_alu instid0(VALU_DEP_2) | instskip(NEXT) | instid1(VALU_DEP_1)
	v_or_b32_e32 v6, 0x70000000, v6
	v_mul_f32_e32 v6, 0x7800000, v6
	s_delay_alu instid0(VALU_DEP_1) | instskip(NEXT) | instid1(VALU_DEP_1)
	v_cndmask_b32_e32 v5, v6, v7, vcc_lo
	v_and_or_b32 v4, 0x80000000, v4, v5
	s_delay_alu instid0(VALU_DEP_1)
	v_cvt_f16_f32_e32 v4, v4
.LBB190_844:
	s_mov_b32 s33, 0
	s_mov_b32 s29, -1
.LBB190_845:
	s_and_not1_b32 vcc_lo, exec_lo, s33
	s_cbranch_vccnz .LBB190_858
; %bb.846:
	s_cmp_gt_i32 s0, 14
	s_cbranch_scc0 .LBB190_849
; %bb.847:
	s_cmp_eq_u32 s0, 15
	s_cbranch_scc0 .LBB190_852
; %bb.848:
	s_wait_loadcnt 0x0
	global_load_u16 v4, v[0:1], off
	s_mov_b32 s29, -1
	s_mov_b32 s28, 0
	s_wait_loadcnt 0x0
	v_lshlrev_b32_e32 v4, 16, v4
	s_delay_alu instid0(VALU_DEP_1)
	v_cvt_f16_f32_e32 v4, v4
	s_branch .LBB190_853
.LBB190_849:
	s_mov_b32 s33, -1
                                        ; implicit-def: $vgpr4
	s_branch .LBB190_854
.LBB190_850:
	s_or_saveexec_b32 s33, s33
	v_mov_b32_e32 v4, 0x7e00
	s_xor_b32 exec_lo, exec_lo, s33
	s_cbranch_execz .LBB190_831
.LBB190_851:
	v_cmp_ne_u16_e32 vcc_lo, 0, v5
	v_mov_b32_e32 v4, v5
	s_and_not1_b32 s29, s29, exec_lo
	s_and_b32 s34, vcc_lo, exec_lo
	s_delay_alu instid0(SALU_CYCLE_1)
	s_or_b32 s29, s29, s34
	s_or_b32 exec_lo, exec_lo, s33
	s_and_saveexec_b32 s33, s29
	s_cbranch_execnz .LBB190_832
	s_branch .LBB190_833
.LBB190_852:
	s_mov_b32 s28, -1
                                        ; implicit-def: $vgpr4
.LBB190_853:
	s_mov_b32 s33, 0
.LBB190_854:
	s_delay_alu instid0(SALU_CYCLE_1)
	s_and_b32 vcc_lo, exec_lo, s33
	s_cbranch_vccz .LBB190_858
; %bb.855:
	s_cmp_eq_u32 s0, 11
	s_cbranch_scc0 .LBB190_857
; %bb.856:
	s_wait_loadcnt 0x0
	global_load_u8 v4, v[0:1], off
	s_mov_b32 s28, 0
	s_mov_b32 s29, -1
	s_wait_loadcnt 0x0
	v_cmp_ne_u16_e32 vcc_lo, 0, v4
	v_cndmask_b32_e64 v4, 0, 0x3c00, vcc_lo
	s_branch .LBB190_858
.LBB190_857:
	s_mov_b32 s28, -1
                                        ; implicit-def: $vgpr4
.LBB190_858:
	s_mov_b32 s33, 0
.LBB190_859:
	s_delay_alu instid0(SALU_CYCLE_1)
	s_and_b32 vcc_lo, exec_lo, s33
	s_cbranch_vccz .LBB190_908
; %bb.860:
	s_cmp_lt_i32 s0, 5
	s_cbranch_scc1 .LBB190_865
; %bb.861:
	s_cmp_lt_i32 s0, 8
	s_cbranch_scc1 .LBB190_866
; %bb.862:
	s_cmp_lt_i32 s0, 9
	s_cbranch_scc1 .LBB190_867
; %bb.863:
	s_cmp_gt_i32 s0, 9
	s_cbranch_scc0 .LBB190_868
; %bb.864:
	s_wait_loadcnt 0x0
	global_load_b64 v[4:5], v[0:1], off
	s_mov_b32 s29, 0
	s_wait_loadcnt 0x0
	v_and_or_b32 v4, 0x1ff, v5, v4
	v_lshrrev_b32_e32 v6, 8, v5
	v_bfe_u32 v7, v5, 20, 11
	v_lshrrev_b32_e32 v5, 16, v5
	s_delay_alu instid0(VALU_DEP_4) | instskip(NEXT) | instid1(VALU_DEP_3)
	v_cmp_ne_u32_e32 vcc_lo, 0, v4
	v_sub_nc_u32_e32 v9, 0x3f1, v7
	v_add_nc_u32_e32 v7, 0xfffffc10, v7
	v_cndmask_b32_e64 v4, 0, 1, vcc_lo
	s_delay_alu instid0(VALU_DEP_1) | instskip(NEXT) | instid1(VALU_DEP_4)
	v_and_or_b32 v4, 0xffe, v6, v4
	v_med3_i32 v6, v9, 0, 13
	s_delay_alu instid0(VALU_DEP_2) | instskip(NEXT) | instid1(VALU_DEP_1)
	v_or_b32_e32 v9, 0x1000, v4
	v_lshrrev_b32_e32 v10, v6, v9
	s_delay_alu instid0(VALU_DEP_1) | instskip(NEXT) | instid1(VALU_DEP_1)
	v_lshlrev_b32_e32 v6, v6, v10
	v_cmp_ne_u32_e32 vcc_lo, v6, v9
	v_lshl_or_b32 v9, v7, 12, v4
	v_cndmask_b32_e64 v6, 0, 1, vcc_lo
	v_cmp_gt_i32_e32 vcc_lo, 1, v7
	s_delay_alu instid0(VALU_DEP_2) | instskip(NEXT) | instid1(VALU_DEP_1)
	v_or_b32_e32 v6, v10, v6
	v_cndmask_b32_e32 v6, v9, v6, vcc_lo
	s_delay_alu instid0(VALU_DEP_1) | instskip(NEXT) | instid1(VALU_DEP_1)
	v_dual_lshrrev_b32 v6, 2, v6 :: v_dual_bitop2_b32 v9, 7, v6 bitop3:0x40
	v_cmp_lt_i32_e32 vcc_lo, 5, v9
	v_cndmask_b32_e64 v10, 0, 1, vcc_lo
	v_cmp_eq_u32_e32 vcc_lo, 3, v9
	v_cndmask_b32_e64 v9, 0, 1, vcc_lo
	v_cmp_ne_u32_e32 vcc_lo, 0, v4
	s_delay_alu instid0(VALU_DEP_2) | instskip(SKIP_1) | instid1(VALU_DEP_2)
	v_or_b32_e32 v9, v9, v10
	v_mov_b32_e32 v10, 0x7e00
	v_add_nc_u32_e32 v6, v6, v9
	s_delay_alu instid0(VALU_DEP_2) | instskip(SKIP_1) | instid1(VALU_DEP_3)
	v_cndmask_b32_e32 v4, 0x7c00, v10, vcc_lo
	v_cmp_gt_i32_e32 vcc_lo, 31, v7
	v_cndmask_b32_e32 v6, 0x7c00, v6, vcc_lo
	v_cmp_eq_u32_e32 vcc_lo, 0x40f, v7
	s_delay_alu instid0(VALU_DEP_2) | instskip(NEXT) | instid1(VALU_DEP_1)
	v_cndmask_b32_e32 v4, v6, v4, vcc_lo
	v_and_or_b32 v4, 0x8000, v5, v4
	s_branch .LBB190_869
.LBB190_865:
	s_mov_b32 s29, -1
                                        ; implicit-def: $vgpr4
	s_branch .LBB190_887
.LBB190_866:
	s_mov_b32 s29, -1
                                        ; implicit-def: $vgpr4
	s_branch .LBB190_875
.LBB190_867:
	s_mov_b32 s29, -1
                                        ; implicit-def: $vgpr4
	s_branch .LBB190_872
.LBB190_868:
	s_mov_b32 s29, -1
                                        ; implicit-def: $vgpr4
.LBB190_869:
	s_delay_alu instid0(SALU_CYCLE_1)
	s_and_not1_b32 vcc_lo, exec_lo, s29
	s_cbranch_vccnz .LBB190_871
; %bb.870:
	s_wait_loadcnt 0x0
	global_load_b32 v4, v[0:1], off
	s_wait_loadcnt 0x0
	v_cvt_f16_f32_e32 v4, v4
.LBB190_871:
	s_mov_b32 s29, 0
.LBB190_872:
	s_delay_alu instid0(SALU_CYCLE_1)
	s_and_not1_b32 vcc_lo, exec_lo, s29
	s_cbranch_vccnz .LBB190_874
; %bb.873:
	s_wait_loadcnt 0x0
	global_load_b32 v4, v[0:1], off
.LBB190_874:
	s_mov_b32 s29, 0
.LBB190_875:
	s_delay_alu instid0(SALU_CYCLE_1)
	s_and_not1_b32 vcc_lo, exec_lo, s29
	s_cbranch_vccnz .LBB190_886
; %bb.876:
	s_cmp_lt_i32 s0, 6
	s_cbranch_scc1 .LBB190_879
; %bb.877:
	s_cmp_gt_i32 s0, 6
	s_cbranch_scc0 .LBB190_880
; %bb.878:
	s_wait_loadcnt 0x0
	global_load_b64 v[4:5], v[0:1], off
	s_mov_b32 s29, 0
	s_wait_loadcnt 0x0
	v_and_or_b32 v4, 0x1ff, v5, v4
	v_lshrrev_b32_e32 v6, 8, v5
	v_bfe_u32 v7, v5, 20, 11
	v_lshrrev_b32_e32 v5, 16, v5
	s_delay_alu instid0(VALU_DEP_4) | instskip(NEXT) | instid1(VALU_DEP_3)
	v_cmp_ne_u32_e32 vcc_lo, 0, v4
	v_sub_nc_u32_e32 v9, 0x3f1, v7
	v_add_nc_u32_e32 v7, 0xfffffc10, v7
	v_cndmask_b32_e64 v4, 0, 1, vcc_lo
	s_delay_alu instid0(VALU_DEP_1) | instskip(NEXT) | instid1(VALU_DEP_4)
	v_and_or_b32 v4, 0xffe, v6, v4
	v_med3_i32 v6, v9, 0, 13
	s_delay_alu instid0(VALU_DEP_2) | instskip(NEXT) | instid1(VALU_DEP_1)
	v_or_b32_e32 v9, 0x1000, v4
	v_lshrrev_b32_e32 v10, v6, v9
	s_delay_alu instid0(VALU_DEP_1) | instskip(NEXT) | instid1(VALU_DEP_1)
	v_lshlrev_b32_e32 v6, v6, v10
	v_cmp_ne_u32_e32 vcc_lo, v6, v9
	v_lshl_or_b32 v9, v7, 12, v4
	v_cndmask_b32_e64 v6, 0, 1, vcc_lo
	v_cmp_gt_i32_e32 vcc_lo, 1, v7
	s_delay_alu instid0(VALU_DEP_2) | instskip(NEXT) | instid1(VALU_DEP_1)
	v_or_b32_e32 v6, v10, v6
	v_cndmask_b32_e32 v6, v9, v6, vcc_lo
	s_delay_alu instid0(VALU_DEP_1) | instskip(NEXT) | instid1(VALU_DEP_1)
	v_dual_lshrrev_b32 v6, 2, v6 :: v_dual_bitop2_b32 v9, 7, v6 bitop3:0x40
	v_cmp_lt_i32_e32 vcc_lo, 5, v9
	v_cndmask_b32_e64 v10, 0, 1, vcc_lo
	v_cmp_eq_u32_e32 vcc_lo, 3, v9
	v_cndmask_b32_e64 v9, 0, 1, vcc_lo
	v_cmp_ne_u32_e32 vcc_lo, 0, v4
	s_delay_alu instid0(VALU_DEP_2) | instskip(SKIP_1) | instid1(VALU_DEP_2)
	v_or_b32_e32 v9, v9, v10
	v_mov_b32_e32 v10, 0x7e00
	v_add_nc_u32_e32 v6, v6, v9
	s_delay_alu instid0(VALU_DEP_2) | instskip(SKIP_1) | instid1(VALU_DEP_3)
	v_cndmask_b32_e32 v4, 0x7c00, v10, vcc_lo
	v_cmp_gt_i32_e32 vcc_lo, 31, v7
	v_cndmask_b32_e32 v6, 0x7c00, v6, vcc_lo
	v_cmp_eq_u32_e32 vcc_lo, 0x40f, v7
	s_delay_alu instid0(VALU_DEP_2) | instskip(NEXT) | instid1(VALU_DEP_1)
	v_cndmask_b32_e32 v4, v6, v4, vcc_lo
	v_and_or_b32 v4, 0x8000, v5, v4
	s_branch .LBB190_881
.LBB190_879:
	s_mov_b32 s29, -1
                                        ; implicit-def: $vgpr4
	s_branch .LBB190_884
.LBB190_880:
	s_mov_b32 s29, -1
                                        ; implicit-def: $vgpr4
.LBB190_881:
	s_delay_alu instid0(SALU_CYCLE_1)
	s_and_not1_b32 vcc_lo, exec_lo, s29
	s_cbranch_vccnz .LBB190_883
; %bb.882:
	s_wait_loadcnt 0x0
	global_load_b32 v4, v[0:1], off
	s_wait_loadcnt 0x0
	v_cvt_f16_f32_e32 v4, v4
.LBB190_883:
	s_mov_b32 s29, 0
.LBB190_884:
	s_delay_alu instid0(SALU_CYCLE_1)
	s_and_not1_b32 vcc_lo, exec_lo, s29
	s_cbranch_vccnz .LBB190_886
; %bb.885:
	s_wait_loadcnt 0x0
	global_load_u16 v4, v[0:1], off
.LBB190_886:
	s_mov_b32 s29, 0
.LBB190_887:
	s_delay_alu instid0(SALU_CYCLE_1)
	s_and_not1_b32 vcc_lo, exec_lo, s29
	s_cbranch_vccnz .LBB190_907
; %bb.888:
	s_cmp_lt_i32 s0, 2
	s_cbranch_scc1 .LBB190_892
; %bb.889:
	s_cmp_lt_i32 s0, 3
	s_cbranch_scc1 .LBB190_893
; %bb.890:
	s_cmp_gt_i32 s0, 3
	s_cbranch_scc0 .LBB190_894
; %bb.891:
	s_wait_loadcnt 0x0
	global_load_b64 v[4:5], v[0:1], off
	s_mov_b32 s29, 0
	s_wait_loadcnt 0x0
	v_xor_b32_e32 v6, v4, v5
	v_cls_i32_e32 v7, v5
	s_delay_alu instid0(VALU_DEP_2) | instskip(NEXT) | instid1(VALU_DEP_1)
	v_ashrrev_i32_e32 v6, 31, v6
	v_add_nc_u32_e32 v6, 32, v6
	s_delay_alu instid0(VALU_DEP_1) | instskip(NEXT) | instid1(VALU_DEP_1)
	v_add_min_u32_e64 v6, v7, -1, v6
	v_lshlrev_b64_e32 v[4:5], v6, v[4:5]
	s_delay_alu instid0(VALU_DEP_1) | instskip(NEXT) | instid1(VALU_DEP_1)
	v_min_u32_e32 v4, 1, v4
	v_dual_sub_nc_u32 v5, 32, v6 :: v_dual_bitop2_b32 v4, v5, v4 bitop3:0x54
	s_delay_alu instid0(VALU_DEP_1) | instskip(NEXT) | instid1(VALU_DEP_1)
	v_cvt_f32_i32_e32 v4, v4
	v_ldexp_f32 v4, v4, v5
	s_delay_alu instid0(VALU_DEP_1)
	v_cvt_f16_f32_e32 v4, v4
	s_branch .LBB190_895
.LBB190_892:
	s_mov_b32 s29, -1
                                        ; implicit-def: $vgpr4
	s_branch .LBB190_901
.LBB190_893:
	s_mov_b32 s29, -1
                                        ; implicit-def: $vgpr4
	s_branch .LBB190_898
.LBB190_894:
	s_mov_b32 s29, -1
                                        ; implicit-def: $vgpr4
.LBB190_895:
	s_delay_alu instid0(SALU_CYCLE_1)
	s_and_not1_b32 vcc_lo, exec_lo, s29
	s_cbranch_vccnz .LBB190_897
; %bb.896:
	s_wait_loadcnt 0x0
	global_load_b32 v4, v[0:1], off
	s_wait_loadcnt 0x0
	v_cvt_f32_i32_e32 v4, v4
	s_delay_alu instid0(VALU_DEP_1)
	v_cvt_f16_f32_e32 v4, v4
.LBB190_897:
	s_mov_b32 s29, 0
.LBB190_898:
	s_delay_alu instid0(SALU_CYCLE_1)
	s_and_not1_b32 vcc_lo, exec_lo, s29
	s_cbranch_vccnz .LBB190_900
; %bb.899:
	s_wait_loadcnt 0x0
	global_load_u16 v4, v[0:1], off
	s_wait_loadcnt 0x0
	v_cvt_f16_i16_e32 v4, v4
.LBB190_900:
	s_mov_b32 s29, 0
.LBB190_901:
	s_delay_alu instid0(SALU_CYCLE_1)
	s_and_not1_b32 vcc_lo, exec_lo, s29
	s_cbranch_vccnz .LBB190_907
; %bb.902:
	s_cmp_gt_i32 s0, 0
	s_mov_b32 s0, 0
	s_cbranch_scc0 .LBB190_904
; %bb.903:
	s_wait_loadcnt 0x0
	global_load_i8 v4, v[0:1], off
	s_wait_loadcnt 0x0
	v_cvt_f16_i16_e32 v4, v4
	s_branch .LBB190_905
.LBB190_904:
	s_mov_b32 s0, -1
                                        ; implicit-def: $vgpr4
.LBB190_905:
	s_delay_alu instid0(SALU_CYCLE_1)
	s_and_not1_b32 vcc_lo, exec_lo, s0
	s_cbranch_vccnz .LBB190_907
; %bb.906:
	global_load_u8 v0, v[0:1], off
	s_wait_loadcnt 0x0
	v_cvt_f16_u16_e32 v4, v0
.LBB190_907:
	s_mov_b32 s29, -1
.LBB190_908:
	s_delay_alu instid0(SALU_CYCLE_1)
	s_and_not1_b32 vcc_lo, exec_lo, s29
	s_cbranch_vccnz .LBB190_916
; %bb.909:
	s_wait_xcnt 0x0
	v_mul_lo_u32 v0, v8, s12
	s_wait_loadcnt 0x0
	v_mul_f16_e32 v3, s1, v3
	s_and_b32 s29, s3, 0xff
	s_delay_alu instid0(SALU_CYCLE_1) | instskip(NEXT) | instid1(VALU_DEP_1)
	s_cmp_lt_i32 s29, 11
	v_mul_f16_e32 v3, v3, v4
	s_delay_alu instid0(VALU_DEP_1) | instskip(NEXT) | instid1(VALU_DEP_4)
	v_fmac_f16_e32 v3, s2, v2
	v_ashrrev_i32_e32 v1, 31, v0
	s_delay_alu instid0(VALU_DEP_1)
	v_add_nc_u64_e32 v[0:1], s[4:5], v[0:1]
	s_cbranch_scc1 .LBB190_917
; %bb.910:
	s_and_b32 s33, 0xffff, s29
	s_delay_alu instid0(SALU_CYCLE_1)
	s_cmp_gt_i32 s33, 25
	s_cbranch_scc0 .LBB190_918
; %bb.911:
	s_cmp_gt_i32 s33, 28
	s_cbranch_scc0 .LBB190_919
; %bb.912:
	;; [unrolled: 3-line block ×4, first 2 shown]
	s_mov_b32 s35, 0
	s_mov_b32 s0, -1
	s_cmp_eq_u32 s33, 46
	s_mov_b32 s34, 0
	s_cbranch_scc0 .LBB190_922
; %bb.915:
	v_cvt_f32_f16_e32 v2, v3
	v_cmp_o_f16_e32 vcc_lo, v3, v3
	s_mov_b32 s34, -1
	s_mov_b32 s0, 0
	s_delay_alu instid0(VALU_DEP_2) | instskip(NEXT) | instid1(VALU_DEP_1)
	v_bfe_u32 v4, v2, 16, 1
	v_add3_u32 v2, v2, v4, 0x7fff
	s_delay_alu instid0(VALU_DEP_1) | instskip(NEXT) | instid1(VALU_DEP_1)
	v_lshrrev_b32_e32 v2, 16, v2
	v_cndmask_b32_e32 v2, 0x7fc0, v2, vcc_lo
	global_store_b32 v[0:1], v2, off
	s_branch .LBB190_922
.LBB190_916:
	s_mov_b32 s33, 0
	s_mov_b32 s0, s21
	s_branch .LBB190_1033
.LBB190_917:
	s_mov_b32 s33, -1
	s_mov_b32 s34, 0
	s_mov_b32 s0, s21
	s_branch .LBB190_991
.LBB190_918:
	s_mov_b32 s35, -1
	s_mov_b32 s34, 0
	s_mov_b32 s0, s21
	s_branch .LBB190_949
.LBB190_919:
	s_mov_b32 s35, -1
	s_mov_b32 s34, 0
	s_mov_b32 s0, s21
	s_branch .LBB190_932
.LBB190_920:
	s_mov_b32 s35, -1
	s_mov_b32 s34, 0
	s_mov_b32 s0, s21
	s_branch .LBB190_928
.LBB190_921:
	s_mov_b32 s35, -1
	s_mov_b32 s34, 0
	s_mov_b32 s0, s21
.LBB190_922:
	s_and_b32 vcc_lo, exec_lo, s35
	s_cbranch_vccz .LBB190_927
; %bb.923:
	s_cmp_eq_u32 s33, 44
	s_mov_b32 s0, -1
	s_cbranch_scc0 .LBB190_927
; %bb.924:
	s_wait_xcnt 0x0
	v_cvt_f32_f16_e32 v2, v3
	v_mov_b32_e32 v4, 0xff
	s_mov_b32 s34, exec_lo
	s_delay_alu instid0(VALU_DEP_2) | instskip(NEXT) | instid1(VALU_DEP_1)
	v_bfe_u32 v5, v2, 23, 8
	v_cmpx_ne_u32_e32 0xff, v5
	s_cbranch_execz .LBB190_926
; %bb.925:
	v_and_b32_e32 v4, 0x400000, v2
	v_and_or_b32 v5, 0x3fffff, v2, v5
	v_lshrrev_b32_e32 v2, 23, v2
	s_delay_alu instid0(VALU_DEP_3) | instskip(NEXT) | instid1(VALU_DEP_3)
	v_cmp_ne_u32_e32 vcc_lo, 0, v4
	v_cmp_ne_u32_e64 s0, 0, v5
	s_and_b32 s0, vcc_lo, s0
	s_delay_alu instid0(SALU_CYCLE_1) | instskip(NEXT) | instid1(VALU_DEP_1)
	v_cndmask_b32_e64 v4, 0, 1, s0
	v_add_nc_u32_e32 v4, v2, v4
.LBB190_926:
	s_or_b32 exec_lo, exec_lo, s34
	s_mov_b32 s34, -1
	s_mov_b32 s0, 0
	global_store_b8 v[0:1], v4, off
.LBB190_927:
	s_mov_b32 s35, 0
.LBB190_928:
	s_delay_alu instid0(SALU_CYCLE_1)
	s_and_b32 vcc_lo, exec_lo, s35
	s_cbranch_vccz .LBB190_931
; %bb.929:
	s_cmp_eq_u32 s33, 29
	s_mov_b32 s0, -1
	s_cbranch_scc0 .LBB190_931
; %bb.930:
	s_wait_xcnt 0x0
	v_cvt_f32_f16_e32 v2, v3
	v_mov_b32_e32 v5, 0
	s_mov_b32 s34, -1
	s_mov_b32 s0, 0
	s_mov_b32 s35, 0
	v_cvt_u32_f32_e32 v4, v2
	global_store_b64 v[0:1], v[4:5], off
	s_branch .LBB190_932
.LBB190_931:
	s_mov_b32 s35, 0
.LBB190_932:
	s_delay_alu instid0(SALU_CYCLE_1)
	s_and_b32 vcc_lo, exec_lo, s35
	s_cbranch_vccz .LBB190_948
; %bb.933:
	s_cmp_lt_i32 s33, 27
	s_mov_b32 s34, -1
	s_cbranch_scc1 .LBB190_939
; %bb.934:
	s_cmp_gt_i32 s33, 27
	s_cbranch_scc0 .LBB190_936
; %bb.935:
	s_wait_xcnt 0x0
	v_cvt_f32_f16_e32 v2, v3
	s_mov_b32 s34, 0
	s_delay_alu instid0(VALU_DEP_1)
	v_cvt_u32_f32_e32 v2, v2
	global_store_b32 v[0:1], v2, off
.LBB190_936:
	s_and_not1_b32 vcc_lo, exec_lo, s34
	s_cbranch_vccnz .LBB190_938
; %bb.937:
	s_wait_xcnt 0x0
	v_cvt_u16_f16_e32 v2, v3
	global_store_b16 v[0:1], v2, off
.LBB190_938:
	s_mov_b32 s34, 0
.LBB190_939:
	s_delay_alu instid0(SALU_CYCLE_1)
	s_and_not1_b32 vcc_lo, exec_lo, s34
	s_cbranch_vccnz .LBB190_947
; %bb.940:
	s_wait_xcnt 0x0
	v_cvt_f32_f16_e32 v2, v3
	v_mov_b32_e32 v5, 0x80
	s_mov_b32 s34, exec_lo
	s_delay_alu instid0(VALU_DEP_2) | instskip(NEXT) | instid1(VALU_DEP_1)
	v_and_b32_e32 v4, 0x7fffffff, v2
	v_cmpx_gt_u32_e32 0x43800000, v4
	s_cbranch_execz .LBB190_946
; %bb.941:
	v_cmp_lt_u32_e32 vcc_lo, 0x3bffffff, v4
	s_mov_b32 s35, 0
                                        ; implicit-def: $vgpr4
	s_and_saveexec_b32 s36, vcc_lo
	s_delay_alu instid0(SALU_CYCLE_1)
	s_xor_b32 s36, exec_lo, s36
	s_cbranch_execz .LBB190_1179
; %bb.942:
	v_bfe_u32 v4, v2, 20, 1
	s_mov_b32 s35, exec_lo
	s_delay_alu instid0(VALU_DEP_1) | instskip(NEXT) | instid1(VALU_DEP_1)
	v_add3_u32 v4, v2, v4, 0x487ffff
	v_lshrrev_b32_e32 v4, 20, v4
	s_and_not1_saveexec_b32 s36, s36
	s_cbranch_execnz .LBB190_1180
.LBB190_943:
	s_or_b32 exec_lo, exec_lo, s36
	v_mov_b32_e32 v5, 0
	s_and_saveexec_b32 s36, s35
.LBB190_944:
	v_lshrrev_b32_e32 v2, 24, v2
	s_delay_alu instid0(VALU_DEP_1)
	v_and_or_b32 v5, 0x80, v2, v4
.LBB190_945:
	s_or_b32 exec_lo, exec_lo, s36
.LBB190_946:
	s_delay_alu instid0(SALU_CYCLE_1)
	s_or_b32 exec_lo, exec_lo, s34
	global_store_b8 v[0:1], v5, off
.LBB190_947:
	s_mov_b32 s34, -1
.LBB190_948:
	s_mov_b32 s35, 0
.LBB190_949:
	s_delay_alu instid0(SALU_CYCLE_1)
	s_and_b32 vcc_lo, exec_lo, s35
	s_cbranch_vccz .LBB190_990
; %bb.950:
	s_cmp_gt_i32 s33, 22
	s_mov_b32 s35, -1
	s_cbranch_scc0 .LBB190_982
; %bb.951:
	s_cmp_lt_i32 s33, 24
	s_mov_b32 s34, -1
	s_cbranch_scc1 .LBB190_971
; %bb.952:
	s_cmp_gt_i32 s33, 24
	s_cbranch_scc0 .LBB190_960
; %bb.953:
	s_wait_xcnt 0x0
	v_cvt_f32_f16_e32 v2, v3
	v_mov_b32_e32 v5, 0x80
	s_mov_b32 s34, exec_lo
	s_delay_alu instid0(VALU_DEP_2) | instskip(NEXT) | instid1(VALU_DEP_1)
	v_and_b32_e32 v4, 0x7fffffff, v2
	v_cmpx_gt_u32_e32 0x47800000, v4
	s_cbranch_execz .LBB190_959
; %bb.954:
	v_cmp_lt_u32_e32 vcc_lo, 0x37ffffff, v4
	s_mov_b32 s35, 0
                                        ; implicit-def: $vgpr4
	s_and_saveexec_b32 s36, vcc_lo
	s_delay_alu instid0(SALU_CYCLE_1)
	s_xor_b32 s36, exec_lo, s36
	s_cbranch_execz .LBB190_1311
; %bb.955:
	v_bfe_u32 v4, v2, 21, 1
	s_mov_b32 s35, exec_lo
	s_delay_alu instid0(VALU_DEP_1) | instskip(NEXT) | instid1(VALU_DEP_1)
	v_add3_u32 v4, v2, v4, 0x88fffff
	v_lshrrev_b32_e32 v4, 21, v4
	s_and_not1_saveexec_b32 s36, s36
	s_cbranch_execnz .LBB190_1312
.LBB190_956:
	s_or_b32 exec_lo, exec_lo, s36
	v_mov_b32_e32 v5, 0
	s_and_saveexec_b32 s36, s35
.LBB190_957:
	v_lshrrev_b32_e32 v2, 24, v2
	s_delay_alu instid0(VALU_DEP_1)
	v_and_or_b32 v5, 0x80, v2, v4
.LBB190_958:
	s_or_b32 exec_lo, exec_lo, s36
.LBB190_959:
	s_delay_alu instid0(SALU_CYCLE_1)
	s_or_b32 exec_lo, exec_lo, s34
	s_mov_b32 s34, 0
	global_store_b8 v[0:1], v5, off
.LBB190_960:
	s_and_b32 vcc_lo, exec_lo, s34
	s_cbranch_vccz .LBB190_970
; %bb.961:
	s_wait_xcnt 0x0
	v_cvt_f32_f16_e32 v2, v3
	s_mov_b32 s34, exec_lo
                                        ; implicit-def: $vgpr4
	s_delay_alu instid0(VALU_DEP_1) | instskip(NEXT) | instid1(VALU_DEP_1)
	v_and_b32_e32 v5, 0x7fffffff, v2
	v_cmpx_gt_u32_e32 0x43f00000, v5
	s_xor_b32 s34, exec_lo, s34
	s_cbranch_execz .LBB190_967
; %bb.962:
	s_mov_b32 s35, exec_lo
                                        ; implicit-def: $vgpr4
	v_cmpx_lt_u32_e32 0x3c7fffff, v5
	s_xor_b32 s35, exec_lo, s35
; %bb.963:
	v_bfe_u32 v4, v2, 20, 1
	s_delay_alu instid0(VALU_DEP_1) | instskip(NEXT) | instid1(VALU_DEP_1)
	v_add3_u32 v4, v2, v4, 0x407ffff
	v_and_b32_e32 v5, 0xff00000, v4
	v_lshrrev_b32_e32 v4, 20, v4
	s_delay_alu instid0(VALU_DEP_2) | instskip(NEXT) | instid1(VALU_DEP_2)
	v_cmp_ne_u32_e32 vcc_lo, 0x7f00000, v5
	v_cndmask_b32_e32 v4, 0x7e, v4, vcc_lo
; %bb.964:
	s_and_not1_saveexec_b32 s35, s35
; %bb.965:
	v_add_f32_e64 v4, 0x46800000, |v2|
; %bb.966:
	s_or_b32 exec_lo, exec_lo, s35
                                        ; implicit-def: $vgpr5
.LBB190_967:
	s_and_not1_saveexec_b32 s34, s34
; %bb.968:
	v_mov_b32_e32 v4, 0x7f
	v_cmp_lt_u32_e32 vcc_lo, 0x7f800000, v5
	s_delay_alu instid0(VALU_DEP_2)
	v_cndmask_b32_e32 v4, 0x7e, v4, vcc_lo
; %bb.969:
	s_or_b32 exec_lo, exec_lo, s34
	v_lshrrev_b32_e32 v2, 24, v2
	s_delay_alu instid0(VALU_DEP_1)
	v_and_or_b32 v2, 0x80, v2, v4
	global_store_b8 v[0:1], v2, off
.LBB190_970:
	s_mov_b32 s34, 0
.LBB190_971:
	s_delay_alu instid0(SALU_CYCLE_1)
	s_and_not1_b32 vcc_lo, exec_lo, s34
	s_cbranch_vccnz .LBB190_981
; %bb.972:
	s_wait_xcnt 0x0
	v_cvt_f32_f16_e32 v2, v3
	s_mov_b32 s34, exec_lo
                                        ; implicit-def: $vgpr4
	s_delay_alu instid0(VALU_DEP_1) | instskip(NEXT) | instid1(VALU_DEP_1)
	v_and_b32_e32 v5, 0x7fffffff, v2
	v_cmpx_gt_u32_e32 0x47800000, v5
	s_xor_b32 s34, exec_lo, s34
	s_cbranch_execz .LBB190_978
; %bb.973:
	s_mov_b32 s35, exec_lo
                                        ; implicit-def: $vgpr4
	v_cmpx_lt_u32_e32 0x387fffff, v5
	s_xor_b32 s35, exec_lo, s35
; %bb.974:
	v_bfe_u32 v4, v2, 21, 1
	s_delay_alu instid0(VALU_DEP_1) | instskip(NEXT) | instid1(VALU_DEP_1)
	v_add3_u32 v4, v2, v4, 0x80fffff
	v_lshrrev_b32_e32 v4, 21, v4
; %bb.975:
	s_and_not1_saveexec_b32 s35, s35
; %bb.976:
	v_add_f32_e64 v4, 0x43000000, |v2|
; %bb.977:
	s_or_b32 exec_lo, exec_lo, s35
                                        ; implicit-def: $vgpr5
.LBB190_978:
	s_and_not1_saveexec_b32 s34, s34
; %bb.979:
	v_mov_b32_e32 v4, 0x7f
	v_cmp_lt_u32_e32 vcc_lo, 0x7f800000, v5
	s_delay_alu instid0(VALU_DEP_2)
	v_cndmask_b32_e32 v4, 0x7c, v4, vcc_lo
; %bb.980:
	s_or_b32 exec_lo, exec_lo, s34
	v_lshrrev_b32_e32 v2, 24, v2
	s_delay_alu instid0(VALU_DEP_1)
	v_and_or_b32 v2, 0x80, v2, v4
	global_store_b8 v[0:1], v2, off
.LBB190_981:
	s_mov_b32 s35, 0
	s_mov_b32 s34, -1
.LBB190_982:
	s_and_not1_b32 vcc_lo, exec_lo, s35
	s_cbranch_vccnz .LBB190_990
; %bb.983:
	s_cmp_gt_i32 s33, 14
	s_mov_b32 s35, -1
	s_cbranch_scc0 .LBB190_987
; %bb.984:
	s_cmp_eq_u32 s33, 15
	s_mov_b32 s0, -1
	s_cbranch_scc0 .LBB190_986
; %bb.985:
	s_wait_xcnt 0x0
	v_cvt_f32_f16_e32 v2, v3
	v_cmp_o_f16_e32 vcc_lo, v3, v3
	s_mov_b32 s34, -1
	s_mov_b32 s0, 0
	s_delay_alu instid0(VALU_DEP_2) | instskip(NEXT) | instid1(VALU_DEP_1)
	v_bfe_u32 v4, v2, 16, 1
	v_add3_u32 v2, v2, v4, 0x7fff
	s_delay_alu instid0(VALU_DEP_1) | instskip(NEXT) | instid1(VALU_DEP_1)
	v_lshrrev_b32_e32 v2, 16, v2
	v_cndmask_b32_e32 v2, 0x7fc0, v2, vcc_lo
	global_store_b16 v[0:1], v2, off
.LBB190_986:
	s_mov_b32 s35, 0
.LBB190_987:
	s_delay_alu instid0(SALU_CYCLE_1)
	s_and_b32 vcc_lo, exec_lo, s35
	s_cbranch_vccz .LBB190_990
; %bb.988:
	s_cmp_eq_u32 s33, 11
	s_mov_b32 s0, -1
	s_cbranch_scc0 .LBB190_990
; %bb.989:
	v_cmp_neq_f16_e32 vcc_lo, 0, v3
	s_mov_b32 s0, 0
	s_mov_b32 s34, -1
	s_wait_xcnt 0x0
	v_cndmask_b32_e64 v2, 0, 1, vcc_lo
	global_store_b8 v[0:1], v2, off
.LBB190_990:
	s_mov_b32 s33, 0
.LBB190_991:
	s_delay_alu instid0(SALU_CYCLE_1)
	s_and_b32 vcc_lo, exec_lo, s33
	s_cbranch_vccz .LBB190_1030
; %bb.992:
	s_and_b32 s29, 0xffff, s29
	s_mov_b32 s33, -1
	s_cmp_lt_i32 s29, 5
	s_cbranch_scc1 .LBB190_1013
; %bb.993:
	s_cmp_lt_i32 s29, 8
	s_cbranch_scc1 .LBB190_1003
; %bb.994:
	s_cmp_lt_i32 s29, 9
	s_cbranch_scc1 .LBB190_1000
; %bb.995:
	s_cmp_gt_i32 s29, 9
	s_cbranch_scc0 .LBB190_997
; %bb.996:
	s_wait_xcnt 0x0
	v_cvt_f32_f16_e32 v2, v3
	v_mov_b32_e32 v6, 0
	s_mov_b32 s33, 0
	s_delay_alu instid0(VALU_DEP_2) | instskip(NEXT) | instid1(VALU_DEP_2)
	v_cvt_f64_f32_e32 v[4:5], v2
	v_mov_b32_e32 v7, v6
	global_store_b128 v[0:1], v[4:7], off
.LBB190_997:
	s_and_not1_b32 vcc_lo, exec_lo, s33
	s_cbranch_vccnz .LBB190_999
; %bb.998:
	s_wait_xcnt 0x0
	v_cvt_f32_f16_e32 v4, v3
	v_mov_b32_e32 v5, 0
	global_store_b64 v[0:1], v[4:5], off
.LBB190_999:
	s_mov_b32 s33, 0
.LBB190_1000:
	s_delay_alu instid0(SALU_CYCLE_1)
	s_and_not1_b32 vcc_lo, exec_lo, s33
	s_cbranch_vccnz .LBB190_1002
; %bb.1001:
	s_wait_xcnt 0x0
	v_and_b32_e32 v2, 0xffff, v3
	global_store_b32 v[0:1], v2, off
.LBB190_1002:
	s_mov_b32 s33, 0
.LBB190_1003:
	s_delay_alu instid0(SALU_CYCLE_1)
	s_and_not1_b32 vcc_lo, exec_lo, s33
	s_cbranch_vccnz .LBB190_1012
; %bb.1004:
	s_cmp_lt_i32 s29, 6
	s_mov_b32 s33, -1
	s_cbranch_scc1 .LBB190_1010
; %bb.1005:
	s_cmp_gt_i32 s29, 6
	s_cbranch_scc0 .LBB190_1007
; %bb.1006:
	s_wait_xcnt 0x0
	v_cvt_f32_f16_e32 v2, v3
	s_mov_b32 s33, 0
	s_delay_alu instid0(VALU_DEP_1)
	v_cvt_f64_f32_e32 v[4:5], v2
	global_store_b64 v[0:1], v[4:5], off
.LBB190_1007:
	s_and_not1_b32 vcc_lo, exec_lo, s33
	s_cbranch_vccnz .LBB190_1009
; %bb.1008:
	s_wait_xcnt 0x0
	v_cvt_f32_f16_e32 v2, v3
	global_store_b32 v[0:1], v2, off
.LBB190_1009:
	s_mov_b32 s33, 0
.LBB190_1010:
	s_delay_alu instid0(SALU_CYCLE_1)
	s_and_not1_b32 vcc_lo, exec_lo, s33
	s_cbranch_vccnz .LBB190_1012
; %bb.1011:
	global_store_b16 v[0:1], v3, off
.LBB190_1012:
	s_mov_b32 s33, 0
.LBB190_1013:
	s_delay_alu instid0(SALU_CYCLE_1)
	s_and_not1_b32 vcc_lo, exec_lo, s33
	s_cbranch_vccnz .LBB190_1029
; %bb.1014:
	s_cmp_lt_i32 s29, 2
	s_mov_b32 s33, -1
	s_cbranch_scc1 .LBB190_1024
; %bb.1015:
	s_cmp_lt_i32 s29, 3
	s_cbranch_scc1 .LBB190_1021
; %bb.1016:
	s_cmp_gt_i32 s29, 3
	s_cbranch_scc0 .LBB190_1018
; %bb.1017:
	s_wait_xcnt 0x0
	v_cvt_f32_f16_e32 v2, v3
	s_mov_b32 s33, 0
	s_delay_alu instid0(VALU_DEP_1) | instskip(NEXT) | instid1(VALU_DEP_1)
	v_cvt_i32_f32_e32 v4, v2
	v_ashrrev_i32_e32 v5, 31, v4
	global_store_b64 v[0:1], v[4:5], off
.LBB190_1018:
	s_and_not1_b32 vcc_lo, exec_lo, s33
	s_cbranch_vccnz .LBB190_1020
; %bb.1019:
	s_wait_xcnt 0x0
	v_cvt_f32_f16_e32 v2, v3
	s_delay_alu instid0(VALU_DEP_1)
	v_cvt_i32_f32_e32 v2, v2
	global_store_b32 v[0:1], v2, off
.LBB190_1020:
	s_mov_b32 s33, 0
.LBB190_1021:
	s_delay_alu instid0(SALU_CYCLE_1)
	s_and_not1_b32 vcc_lo, exec_lo, s33
	s_cbranch_vccnz .LBB190_1023
; %bb.1022:
	s_wait_xcnt 0x0
	v_cvt_i16_f16_e32 v2, v3
	global_store_b16 v[0:1], v2, off
.LBB190_1023:
	s_mov_b32 s33, 0
.LBB190_1024:
	s_delay_alu instid0(SALU_CYCLE_1)
	s_and_not1_b32 vcc_lo, exec_lo, s33
	s_cbranch_vccnz .LBB190_1029
; %bb.1025:
	s_cmp_gt_i32 s29, 0
	s_mov_b32 s29, -1
	s_cbranch_scc0 .LBB190_1027
; %bb.1026:
	s_wait_xcnt 0x0
	v_cvt_i16_f16_e32 v2, v3
	s_mov_b32 s29, 0
	global_store_b8 v[0:1], v2, off
.LBB190_1027:
	s_and_not1_b32 vcc_lo, exec_lo, s29
	s_cbranch_vccnz .LBB190_1029
; %bb.1028:
	s_wait_xcnt 0x0
	v_cvt_f32_f16_e32 v2, v3
	s_delay_alu instid0(VALU_DEP_1)
	v_cvt_i32_f32_e32 v2, v2
	global_store_b8 v[0:1], v2, off
.LBB190_1029:
	s_mov_b32 s34, -1
.LBB190_1030:
	s_delay_alu instid0(SALU_CYCLE_1)
	s_and_not1_b32 vcc_lo, exec_lo, s34
	s_cbranch_vccnz .LBB190_1032
; %bb.1031:
	v_add_nc_u32_e32 v8, 0x80, v8
	s_mov_b32 s33, -1
	s_branch .LBB190_1034
.LBB190_1032:
	s_mov_b32 s33, 0
.LBB190_1033:
                                        ; implicit-def: $vgpr8
.LBB190_1034:
	s_and_not1_b32 s29, s21, exec_lo
	s_and_b32 s0, s0, exec_lo
	s_and_not1_b32 s34, s23, exec_lo
	s_and_b32 s35, s28, exec_lo
	s_or_b32 s28, s29, s0
	s_or_b32 s29, s34, s35
	s_and_not1_b32 s0, s24, exec_lo
	s_and_b32 s30, s30, exec_lo
	s_and_not1_b32 s34, s25, exec_lo
	s_and_b32 s27, s27, exec_lo
	s_or_b32 s30, s0, s30
	s_or_b32 s27, s34, s27
	s_or_not1_b32 s34, s33, exec_lo
.LBB190_1035:
	s_wait_xcnt 0x0
	s_or_b32 exec_lo, exec_lo, s31
	s_mov_b32 s33, 0
	s_mov_b32 s35, 0
	;; [unrolled: 1-line block ×3, first 2 shown]
                                        ; implicit-def: $sgpr0
                                        ; implicit-def: $vgpr0_vgpr1
                                        ; implicit-def: $vgpr2
	s_and_saveexec_b32 s31, s34
	s_cbranch_execz .LBB190_1638
; %bb.1036:
	s_mov_b32 s41, -1
	s_mov_b32 s34, s27
	s_mov_b32 s35, s30
	;; [unrolled: 1-line block ×4, first 2 shown]
	s_mov_b32 s33, exec_lo
	v_cmpx_gt_i32_e64 s22, v8
	s_cbranch_execz .LBB190_1556
; %bb.1037:
	v_mul_lo_u32 v0, v8, s13
	s_and_b32 s0, s19, 0xff
	s_delay_alu instid0(SALU_CYCLE_1) | instskip(NEXT) | instid1(VALU_DEP_1)
	s_cmp_lt_i32 s0, 11
	v_ashrrev_i32_e32 v1, 31, v0
	s_delay_alu instid0(VALU_DEP_1)
	v_add_nc_u64_e32 v[0:1], s[6:7], v[0:1]
	s_cbranch_scc1 .LBB190_1044
; %bb.1038:
	s_and_b32 s35, 0xffff, s0
	s_delay_alu instid0(SALU_CYCLE_1)
	s_cmp_gt_i32 s35, 25
	s_cbranch_scc0 .LBB190_1045
; %bb.1039:
	s_cmp_gt_i32 s35, 28
	s_cbranch_scc0 .LBB190_1046
; %bb.1040:
	;; [unrolled: 3-line block ×4, first 2 shown]
	s_cmp_eq_u32 s35, 46
	s_mov_b32 s37, 0
	s_cbranch_scc0 .LBB190_1049
; %bb.1043:
	s_wait_loadcnt 0x0
	global_load_b32 v2, v[0:1], off
	s_mov_b32 s36, -1
	s_mov_b32 s34, 0
	s_wait_loadcnt 0x0
	v_lshlrev_b32_e32 v2, 16, v2
	s_delay_alu instid0(VALU_DEP_1)
	v_cvt_f16_f32_e32 v2, v2
	s_branch .LBB190_1051
.LBB190_1044:
	s_mov_b32 s35, -1
	s_mov_b32 s36, 0
	s_mov_b32 s34, s27
                                        ; implicit-def: $vgpr2
	s_branch .LBB190_1116
.LBB190_1045:
	s_mov_b32 s37, -1
	s_mov_b32 s36, 0
	s_mov_b32 s34, s27
                                        ; implicit-def: $vgpr2
	s_branch .LBB190_1080
.LBB190_1046:
	s_mov_b32 s37, -1
	s_mov_b32 s36, 0
	s_mov_b32 s34, s27
                                        ; implicit-def: $vgpr2
	s_branch .LBB190_1061
.LBB190_1047:
	s_mov_b32 s37, -1
	s_mov_b32 s36, 0
	s_mov_b32 s34, s27
                                        ; implicit-def: $vgpr2
	s_branch .LBB190_1056
.LBB190_1048:
	s_mov_b32 s37, -1
	s_mov_b32 s36, 0
	s_mov_b32 s34, s27
	s_branch .LBB190_1050
.LBB190_1049:
	s_mov_b32 s34, -1
	s_mov_b32 s36, 0
.LBB190_1050:
                                        ; implicit-def: $vgpr2
.LBB190_1051:
	s_and_b32 vcc_lo, exec_lo, s37
	s_cbranch_vccz .LBB190_1055
; %bb.1052:
	s_cmp_eq_u32 s35, 44
	s_cbranch_scc0 .LBB190_1054
; %bb.1053:
	s_wait_loadcnt 0x0
	global_load_u8 v2, v[0:1], off
	s_mov_b32 s34, 0
	s_mov_b32 s36, -1
	s_wait_loadcnt 0x0
	v_lshlrev_b32_e32 v3, 23, v2
	v_cmp_ne_u32_e32 vcc_lo, 0xff, v2
	s_delay_alu instid0(VALU_DEP_2) | instskip(NEXT) | instid1(VALU_DEP_1)
	v_cvt_f16_f32_e32 v3, v3
	v_cndmask_b32_e32 v3, 0x7e00, v3, vcc_lo
	v_cmp_ne_u32_e32 vcc_lo, 0, v2
	s_delay_alu instid0(VALU_DEP_2)
	v_cndmask_b32_e32 v2, 0, v3, vcc_lo
	s_branch .LBB190_1055
.LBB190_1054:
	s_mov_b32 s34, -1
                                        ; implicit-def: $vgpr2
.LBB190_1055:
	s_mov_b32 s37, 0
.LBB190_1056:
	s_delay_alu instid0(SALU_CYCLE_1)
	s_and_b32 vcc_lo, exec_lo, s37
	s_cbranch_vccz .LBB190_1060
; %bb.1057:
	s_cmp_eq_u32 s35, 29
	s_cbranch_scc0 .LBB190_1059
; %bb.1058:
	s_wait_loadcnt 0x0
	global_load_b64 v[2:3], v[0:1], off
	s_mov_b32 s36, -1
	s_mov_b32 s34, 0
	s_mov_b32 s37, 0
	s_wait_loadcnt 0x0
	v_clz_i32_u32_e32 v4, v3
	s_delay_alu instid0(VALU_DEP_1) | instskip(NEXT) | instid1(VALU_DEP_1)
	v_min_u32_e32 v4, 32, v4
	v_lshlrev_b64_e32 v[2:3], v4, v[2:3]
	s_delay_alu instid0(VALU_DEP_1) | instskip(NEXT) | instid1(VALU_DEP_1)
	v_min_u32_e32 v2, 1, v2
	v_dual_sub_nc_u32 v3, 32, v4 :: v_dual_bitop2_b32 v2, v3, v2 bitop3:0x54
	s_delay_alu instid0(VALU_DEP_1) | instskip(NEXT) | instid1(VALU_DEP_1)
	v_cvt_f32_u32_e32 v2, v2
	v_ldexp_f32 v2, v2, v3
	s_delay_alu instid0(VALU_DEP_1)
	v_cvt_f16_f32_e32 v2, v2
	s_branch .LBB190_1061
.LBB190_1059:
	s_mov_b32 s34, -1
                                        ; implicit-def: $vgpr2
.LBB190_1060:
	s_mov_b32 s37, 0
.LBB190_1061:
	s_delay_alu instid0(SALU_CYCLE_1)
	s_and_b32 vcc_lo, exec_lo, s37
	s_cbranch_vccz .LBB190_1079
; %bb.1062:
	s_cmp_lt_i32 s35, 27
	s_cbranch_scc1 .LBB190_1065
; %bb.1063:
	s_cmp_gt_i32 s35, 27
	s_cbranch_scc0 .LBB190_1066
; %bb.1064:
	s_wait_loadcnt 0x0
	global_load_b32 v2, v[0:1], off
	s_mov_b32 s36, 0
	s_wait_loadcnt 0x0
	v_cvt_f32_u32_e32 v2, v2
	s_delay_alu instid0(VALU_DEP_1)
	v_cvt_f16_f32_e32 v2, v2
	s_branch .LBB190_1067
.LBB190_1065:
	s_mov_b32 s36, -1
                                        ; implicit-def: $vgpr2
	s_branch .LBB190_1070
.LBB190_1066:
	s_mov_b32 s36, -1
                                        ; implicit-def: $vgpr2
.LBB190_1067:
	s_delay_alu instid0(SALU_CYCLE_1)
	s_and_not1_b32 vcc_lo, exec_lo, s36
	s_cbranch_vccnz .LBB190_1069
; %bb.1068:
	s_wait_loadcnt 0x0
	global_load_u16 v2, v[0:1], off
	s_wait_loadcnt 0x0
	v_cvt_f16_u16_e32 v2, v2
.LBB190_1069:
	s_mov_b32 s36, 0
.LBB190_1070:
	s_delay_alu instid0(SALU_CYCLE_1)
	s_and_not1_b32 vcc_lo, exec_lo, s36
	s_cbranch_vccnz .LBB190_1078
; %bb.1071:
	s_wait_loadcnt 0x0
	global_load_u8 v3, v[0:1], off
	s_mov_b32 s36, 0
	s_mov_b32 s37, exec_lo
	s_wait_loadcnt 0x0
	v_cmpx_lt_i16_e32 0x7f, v3
	s_xor_b32 s37, exec_lo, s37
	s_cbranch_execz .LBB190_1092
; %bb.1072:
	s_mov_b32 s36, -1
	s_mov_b32 s38, exec_lo
	v_cmpx_eq_u16_e32 0x80, v3
; %bb.1073:
	s_xor_b32 s36, exec_lo, -1
; %bb.1074:
	s_or_b32 exec_lo, exec_lo, s38
	s_delay_alu instid0(SALU_CYCLE_1)
	s_and_b32 s36, s36, exec_lo
	s_or_saveexec_b32 s37, s37
	v_mov_b32_e32 v2, 0x7e00
	s_xor_b32 exec_lo, exec_lo, s37
	s_cbranch_execnz .LBB190_1093
.LBB190_1075:
	s_or_b32 exec_lo, exec_lo, s37
	s_and_saveexec_b32 s37, s36
	s_cbranch_execz .LBB190_1077
.LBB190_1076:
	v_and_b32_e32 v2, 0xffff, v3
	s_delay_alu instid0(VALU_DEP_1) | instskip(SKIP_1) | instid1(VALU_DEP_2)
	v_and_b32_e32 v4, 7, v2
	v_bfe_u32 v7, v2, 3, 4
	v_clz_i32_u32_e32 v5, v4
	s_delay_alu instid0(VALU_DEP_2) | instskip(NEXT) | instid1(VALU_DEP_2)
	v_cmp_eq_u32_e32 vcc_lo, 0, v7
	v_min_u32_e32 v5, 32, v5
	s_delay_alu instid0(VALU_DEP_1) | instskip(NEXT) | instid1(VALU_DEP_1)
	v_subrev_nc_u32_e32 v6, 28, v5
	v_dual_lshlrev_b32 v2, v6, v2 :: v_dual_sub_nc_u32 v5, 29, v5
	s_delay_alu instid0(VALU_DEP_1) | instskip(NEXT) | instid1(VALU_DEP_1)
	v_dual_lshlrev_b32 v3, 24, v3 :: v_dual_bitop2_b32 v2, 7, v2 bitop3:0x40
	v_dual_cndmask_b32 v5, v7, v5 :: v_dual_cndmask_b32 v2, v4, v2
	s_delay_alu instid0(VALU_DEP_2) | instskip(NEXT) | instid1(VALU_DEP_2)
	v_and_b32_e32 v3, 0x80000000, v3
	v_lshl_add_u32 v4, v5, 23, 0x3b800000
	s_delay_alu instid0(VALU_DEP_3) | instskip(NEXT) | instid1(VALU_DEP_1)
	v_lshlrev_b32_e32 v2, 20, v2
	v_or3_b32 v2, v3, v4, v2
	s_delay_alu instid0(VALU_DEP_1)
	v_cvt_f16_f32_e32 v2, v2
.LBB190_1077:
	s_or_b32 exec_lo, exec_lo, s37
.LBB190_1078:
	s_mov_b32 s36, -1
.LBB190_1079:
	s_mov_b32 s37, 0
.LBB190_1080:
	s_delay_alu instid0(SALU_CYCLE_1)
	s_and_b32 vcc_lo, exec_lo, s37
	s_cbranch_vccz .LBB190_1115
; %bb.1081:
	s_cmp_gt_i32 s35, 22
	s_cbranch_scc0 .LBB190_1091
; %bb.1082:
	s_cmp_lt_i32 s35, 24
	s_cbranch_scc1 .LBB190_1094
; %bb.1083:
	s_cmp_gt_i32 s35, 24
	s_cbranch_scc0 .LBB190_1095
; %bb.1084:
	s_wait_loadcnt 0x0
	global_load_u8 v3, v[0:1], off
	s_mov_b32 s36, 0
	s_mov_b32 s37, exec_lo
	s_wait_loadcnt 0x0
	v_cmpx_lt_i16_e32 0x7f, v3
	s_xor_b32 s37, exec_lo, s37
	s_cbranch_execz .LBB190_1107
; %bb.1085:
	s_mov_b32 s36, -1
	s_mov_b32 s38, exec_lo
	v_cmpx_eq_u16_e32 0x80, v3
; %bb.1086:
	s_xor_b32 s36, exec_lo, -1
; %bb.1087:
	s_or_b32 exec_lo, exec_lo, s38
	s_delay_alu instid0(SALU_CYCLE_1)
	s_and_b32 s36, s36, exec_lo
	s_or_saveexec_b32 s37, s37
	v_mov_b32_e32 v2, 0x7e00
	s_xor_b32 exec_lo, exec_lo, s37
	s_cbranch_execnz .LBB190_1108
.LBB190_1088:
	s_or_b32 exec_lo, exec_lo, s37
	s_and_saveexec_b32 s37, s36
	s_cbranch_execz .LBB190_1090
.LBB190_1089:
	v_and_b32_e32 v2, 0xffff, v3
	s_delay_alu instid0(VALU_DEP_1) | instskip(SKIP_1) | instid1(VALU_DEP_2)
	v_and_b32_e32 v4, 3, v2
	v_bfe_u32 v7, v2, 2, 5
	v_clz_i32_u32_e32 v5, v4
	s_delay_alu instid0(VALU_DEP_2) | instskip(NEXT) | instid1(VALU_DEP_2)
	v_cmp_eq_u32_e32 vcc_lo, 0, v7
	v_min_u32_e32 v5, 32, v5
	s_delay_alu instid0(VALU_DEP_1) | instskip(NEXT) | instid1(VALU_DEP_1)
	v_subrev_nc_u32_e32 v6, 29, v5
	v_dual_lshlrev_b32 v2, v6, v2 :: v_dual_sub_nc_u32 v5, 30, v5
	s_delay_alu instid0(VALU_DEP_1) | instskip(NEXT) | instid1(VALU_DEP_1)
	v_dual_lshlrev_b32 v3, 24, v3 :: v_dual_bitop2_b32 v2, 3, v2 bitop3:0x40
	v_dual_cndmask_b32 v5, v7, v5 :: v_dual_cndmask_b32 v2, v4, v2
	s_delay_alu instid0(VALU_DEP_2) | instskip(NEXT) | instid1(VALU_DEP_2)
	v_and_b32_e32 v3, 0x80000000, v3
	v_lshl_add_u32 v4, v5, 23, 0x37800000
	s_delay_alu instid0(VALU_DEP_3) | instskip(NEXT) | instid1(VALU_DEP_1)
	v_lshlrev_b32_e32 v2, 21, v2
	v_or3_b32 v2, v3, v4, v2
	s_delay_alu instid0(VALU_DEP_1)
	v_cvt_f16_f32_e32 v2, v2
.LBB190_1090:
	s_or_b32 exec_lo, exec_lo, s37
	s_mov_b32 s36, 0
	s_branch .LBB190_1096
.LBB190_1091:
	s_mov_b32 s37, -1
                                        ; implicit-def: $vgpr2
	s_branch .LBB190_1102
.LBB190_1092:
	s_or_saveexec_b32 s37, s37
	v_mov_b32_e32 v2, 0x7e00
	s_xor_b32 exec_lo, exec_lo, s37
	s_cbranch_execz .LBB190_1075
.LBB190_1093:
	v_cmp_ne_u16_e32 vcc_lo, 0, v3
	v_mov_b32_e32 v2, v3
	s_and_not1_b32 s36, s36, exec_lo
	s_and_b32 s38, vcc_lo, exec_lo
	s_delay_alu instid0(SALU_CYCLE_1)
	s_or_b32 s36, s36, s38
	s_or_b32 exec_lo, exec_lo, s37
	s_and_saveexec_b32 s37, s36
	s_cbranch_execnz .LBB190_1076
	s_branch .LBB190_1077
.LBB190_1094:
	s_mov_b32 s36, -1
                                        ; implicit-def: $vgpr2
	s_branch .LBB190_1099
.LBB190_1095:
	s_mov_b32 s36, -1
                                        ; implicit-def: $vgpr2
.LBB190_1096:
	s_delay_alu instid0(SALU_CYCLE_1)
	s_and_b32 vcc_lo, exec_lo, s36
	s_cbranch_vccz .LBB190_1098
; %bb.1097:
	s_wait_loadcnt 0x0
	global_load_u8 v2, v[0:1], off
	s_wait_loadcnt 0x0
	v_lshlrev_b32_e32 v2, 24, v2
	s_delay_alu instid0(VALU_DEP_1) | instskip(NEXT) | instid1(VALU_DEP_1)
	v_and_b32_e32 v3, 0x7f000000, v2
	v_clz_i32_u32_e32 v4, v3
	v_cmp_ne_u32_e32 vcc_lo, 0, v3
	v_add_nc_u32_e32 v6, 0x1000000, v3
	s_delay_alu instid0(VALU_DEP_3) | instskip(NEXT) | instid1(VALU_DEP_1)
	v_min_u32_e32 v4, 32, v4
	v_sub_nc_u32_e64 v4, v4, 4 clamp
	s_delay_alu instid0(VALU_DEP_1) | instskip(NEXT) | instid1(VALU_DEP_1)
	v_dual_lshlrev_b32 v5, v4, v3 :: v_dual_lshlrev_b32 v4, 23, v4
	v_lshrrev_b32_e32 v5, 4, v5
	s_delay_alu instid0(VALU_DEP_1) | instskip(NEXT) | instid1(VALU_DEP_1)
	v_dual_sub_nc_u32 v4, v5, v4 :: v_dual_ashrrev_i32 v5, 8, v6
	v_add_nc_u32_e32 v4, 0x3c000000, v4
	s_delay_alu instid0(VALU_DEP_1) | instskip(NEXT) | instid1(VALU_DEP_1)
	v_and_or_b32 v4, 0x7f800000, v5, v4
	v_cndmask_b32_e32 v3, 0, v4, vcc_lo
	s_delay_alu instid0(VALU_DEP_1) | instskip(NEXT) | instid1(VALU_DEP_1)
	v_and_or_b32 v2, 0x80000000, v2, v3
	v_cvt_f16_f32_e32 v2, v2
.LBB190_1098:
	s_mov_b32 s36, 0
.LBB190_1099:
	s_delay_alu instid0(SALU_CYCLE_1)
	s_and_not1_b32 vcc_lo, exec_lo, s36
	s_cbranch_vccnz .LBB190_1101
; %bb.1100:
	s_wait_loadcnt 0x0
	global_load_u8 v2, v[0:1], off
	s_wait_loadcnt 0x0
	v_lshlrev_b32_e32 v3, 25, v2
	v_lshlrev_b16 v2, 8, v2
	s_delay_alu instid0(VALU_DEP_1) | instskip(SKIP_1) | instid1(VALU_DEP_2)
	v_and_or_b32 v5, 0x7f00, v2, 0.5
	v_bfe_i32 v2, v2, 0, 16
	v_dual_add_f32 v5, -0.5, v5 :: v_dual_lshrrev_b32 v4, 4, v3
	v_cmp_gt_u32_e32 vcc_lo, 0x8000000, v3
	s_delay_alu instid0(VALU_DEP_2) | instskip(NEXT) | instid1(VALU_DEP_1)
	v_or_b32_e32 v4, 0x70000000, v4
	v_mul_f32_e32 v4, 0x7800000, v4
	s_delay_alu instid0(VALU_DEP_1) | instskip(NEXT) | instid1(VALU_DEP_1)
	v_cndmask_b32_e32 v3, v4, v5, vcc_lo
	v_and_or_b32 v2, 0x80000000, v2, v3
	s_delay_alu instid0(VALU_DEP_1)
	v_cvt_f16_f32_e32 v2, v2
.LBB190_1101:
	s_mov_b32 s37, 0
	s_mov_b32 s36, -1
.LBB190_1102:
	s_and_not1_b32 vcc_lo, exec_lo, s37
	s_cbranch_vccnz .LBB190_1115
; %bb.1103:
	s_cmp_gt_i32 s35, 14
	s_cbranch_scc0 .LBB190_1106
; %bb.1104:
	s_cmp_eq_u32 s35, 15
	s_cbranch_scc0 .LBB190_1109
; %bb.1105:
	s_wait_loadcnt 0x0
	global_load_u16 v2, v[0:1], off
	s_mov_b32 s36, -1
	s_mov_b32 s34, 0
	s_wait_loadcnt 0x0
	v_lshlrev_b32_e32 v2, 16, v2
	s_delay_alu instid0(VALU_DEP_1)
	v_cvt_f16_f32_e32 v2, v2
	s_branch .LBB190_1110
.LBB190_1106:
	s_mov_b32 s37, -1
                                        ; implicit-def: $vgpr2
	s_branch .LBB190_1111
.LBB190_1107:
	s_or_saveexec_b32 s37, s37
	v_mov_b32_e32 v2, 0x7e00
	s_xor_b32 exec_lo, exec_lo, s37
	s_cbranch_execz .LBB190_1088
.LBB190_1108:
	v_cmp_ne_u16_e32 vcc_lo, 0, v3
	v_mov_b32_e32 v2, v3
	s_and_not1_b32 s36, s36, exec_lo
	s_and_b32 s38, vcc_lo, exec_lo
	s_delay_alu instid0(SALU_CYCLE_1)
	s_or_b32 s36, s36, s38
	s_or_b32 exec_lo, exec_lo, s37
	s_and_saveexec_b32 s37, s36
	s_cbranch_execnz .LBB190_1089
	s_branch .LBB190_1090
.LBB190_1109:
	s_mov_b32 s34, -1
                                        ; implicit-def: $vgpr2
.LBB190_1110:
	s_mov_b32 s37, 0
.LBB190_1111:
	s_delay_alu instid0(SALU_CYCLE_1)
	s_and_b32 vcc_lo, exec_lo, s37
	s_cbranch_vccz .LBB190_1115
; %bb.1112:
	s_cmp_eq_u32 s35, 11
	s_cbranch_scc0 .LBB190_1114
; %bb.1113:
	s_wait_loadcnt 0x0
	global_load_u8 v2, v[0:1], off
	s_mov_b32 s34, 0
	s_mov_b32 s36, -1
	s_wait_loadcnt 0x0
	v_cmp_ne_u16_e32 vcc_lo, 0, v2
	v_cndmask_b32_e64 v2, 0, 0x3c00, vcc_lo
	s_branch .LBB190_1115
.LBB190_1114:
	s_mov_b32 s34, -1
                                        ; implicit-def: $vgpr2
.LBB190_1115:
	s_mov_b32 s35, 0
.LBB190_1116:
	s_delay_alu instid0(SALU_CYCLE_1)
	s_and_b32 vcc_lo, exec_lo, s35
	s_cbranch_vccz .LBB190_1165
; %bb.1117:
	s_and_b32 s0, 0xffff, s0
	s_delay_alu instid0(SALU_CYCLE_1)
	s_cmp_lt_i32 s0, 5
	s_cbranch_scc1 .LBB190_1122
; %bb.1118:
	s_cmp_lt_i32 s0, 8
	s_cbranch_scc1 .LBB190_1123
; %bb.1119:
	;; [unrolled: 3-line block ×3, first 2 shown]
	s_cmp_gt_i32 s0, 9
	s_cbranch_scc0 .LBB190_1125
; %bb.1121:
	s_wait_loadcnt 0x0
	global_load_b64 v[2:3], v[0:1], off
	s_mov_b32 s35, 0
	s_wait_loadcnt 0x0
	v_and_or_b32 v2, 0x1ff, v3, v2
	v_lshrrev_b32_e32 v4, 8, v3
	v_bfe_u32 v5, v3, 20, 11
	v_lshrrev_b32_e32 v3, 16, v3
	s_delay_alu instid0(VALU_DEP_4) | instskip(NEXT) | instid1(VALU_DEP_3)
	v_cmp_ne_u32_e32 vcc_lo, 0, v2
	v_sub_nc_u32_e32 v6, 0x3f1, v5
	v_add_nc_u32_e32 v5, 0xfffffc10, v5
	v_cndmask_b32_e64 v2, 0, 1, vcc_lo
	s_delay_alu instid0(VALU_DEP_1) | instskip(NEXT) | instid1(VALU_DEP_4)
	v_and_or_b32 v2, 0xffe, v4, v2
	v_med3_i32 v4, v6, 0, 13
	s_delay_alu instid0(VALU_DEP_2) | instskip(NEXT) | instid1(VALU_DEP_1)
	v_or_b32_e32 v6, 0x1000, v2
	v_lshrrev_b32_e32 v7, v4, v6
	s_delay_alu instid0(VALU_DEP_1) | instskip(NEXT) | instid1(VALU_DEP_1)
	v_lshlrev_b32_e32 v4, v4, v7
	v_cmp_ne_u32_e32 vcc_lo, v4, v6
	v_lshl_or_b32 v6, v5, 12, v2
	v_cndmask_b32_e64 v4, 0, 1, vcc_lo
	v_cmp_gt_i32_e32 vcc_lo, 1, v5
	s_delay_alu instid0(VALU_DEP_2) | instskip(NEXT) | instid1(VALU_DEP_1)
	v_or_b32_e32 v4, v7, v4
	v_cndmask_b32_e32 v4, v6, v4, vcc_lo
	s_delay_alu instid0(VALU_DEP_1) | instskip(NEXT) | instid1(VALU_DEP_1)
	v_dual_lshrrev_b32 v4, 2, v4 :: v_dual_bitop2_b32 v6, 7, v4 bitop3:0x40
	v_cmp_lt_i32_e32 vcc_lo, 5, v6
	v_cndmask_b32_e64 v7, 0, 1, vcc_lo
	v_cmp_eq_u32_e32 vcc_lo, 3, v6
	v_cndmask_b32_e64 v6, 0, 1, vcc_lo
	v_cmp_ne_u32_e32 vcc_lo, 0, v2
	s_delay_alu instid0(VALU_DEP_2) | instskip(NEXT) | instid1(VALU_DEP_1)
	v_or_b32_e32 v6, v6, v7
	v_dual_mov_b32 v7, 0x7e00 :: v_dual_add_nc_u32 v4, v4, v6
	s_delay_alu instid0(VALU_DEP_1) | instskip(SKIP_1) | instid1(VALU_DEP_3)
	v_cndmask_b32_e32 v2, 0x7c00, v7, vcc_lo
	v_cmp_gt_i32_e32 vcc_lo, 31, v5
	v_cndmask_b32_e32 v4, 0x7c00, v4, vcc_lo
	v_cmp_eq_u32_e32 vcc_lo, 0x40f, v5
	s_delay_alu instid0(VALU_DEP_2) | instskip(NEXT) | instid1(VALU_DEP_1)
	v_cndmask_b32_e32 v2, v4, v2, vcc_lo
	v_and_or_b32 v2, 0x8000, v3, v2
	s_branch .LBB190_1126
.LBB190_1122:
	s_mov_b32 s35, -1
                                        ; implicit-def: $vgpr2
	s_branch .LBB190_1144
.LBB190_1123:
	s_mov_b32 s35, -1
                                        ; implicit-def: $vgpr2
	s_branch .LBB190_1132
.LBB190_1124:
	s_mov_b32 s35, -1
                                        ; implicit-def: $vgpr2
	s_branch .LBB190_1129
.LBB190_1125:
	s_mov_b32 s35, -1
                                        ; implicit-def: $vgpr2
.LBB190_1126:
	s_delay_alu instid0(SALU_CYCLE_1)
	s_and_not1_b32 vcc_lo, exec_lo, s35
	s_cbranch_vccnz .LBB190_1128
; %bb.1127:
	s_wait_loadcnt 0x0
	global_load_b32 v2, v[0:1], off
	s_wait_loadcnt 0x0
	v_cvt_f16_f32_e32 v2, v2
.LBB190_1128:
	s_mov_b32 s35, 0
.LBB190_1129:
	s_delay_alu instid0(SALU_CYCLE_1)
	s_and_not1_b32 vcc_lo, exec_lo, s35
	s_cbranch_vccnz .LBB190_1131
; %bb.1130:
	s_wait_loadcnt 0x0
	global_load_b32 v2, v[0:1], off
.LBB190_1131:
	s_mov_b32 s35, 0
.LBB190_1132:
	s_delay_alu instid0(SALU_CYCLE_1)
	s_and_not1_b32 vcc_lo, exec_lo, s35
	s_cbranch_vccnz .LBB190_1143
; %bb.1133:
	s_cmp_lt_i32 s0, 6
	s_cbranch_scc1 .LBB190_1136
; %bb.1134:
	s_cmp_gt_i32 s0, 6
	s_cbranch_scc0 .LBB190_1137
; %bb.1135:
	s_wait_loadcnt 0x0
	global_load_b64 v[2:3], v[0:1], off
	s_mov_b32 s35, 0
	s_wait_loadcnt 0x0
	v_and_or_b32 v2, 0x1ff, v3, v2
	v_lshrrev_b32_e32 v4, 8, v3
	v_bfe_u32 v5, v3, 20, 11
	v_lshrrev_b32_e32 v3, 16, v3
	s_delay_alu instid0(VALU_DEP_4) | instskip(NEXT) | instid1(VALU_DEP_3)
	v_cmp_ne_u32_e32 vcc_lo, 0, v2
	v_sub_nc_u32_e32 v6, 0x3f1, v5
	v_add_nc_u32_e32 v5, 0xfffffc10, v5
	v_cndmask_b32_e64 v2, 0, 1, vcc_lo
	s_delay_alu instid0(VALU_DEP_1) | instskip(NEXT) | instid1(VALU_DEP_4)
	v_and_or_b32 v2, 0xffe, v4, v2
	v_med3_i32 v4, v6, 0, 13
	s_delay_alu instid0(VALU_DEP_2) | instskip(NEXT) | instid1(VALU_DEP_1)
	v_or_b32_e32 v6, 0x1000, v2
	v_lshrrev_b32_e32 v7, v4, v6
	s_delay_alu instid0(VALU_DEP_1) | instskip(NEXT) | instid1(VALU_DEP_1)
	v_lshlrev_b32_e32 v4, v4, v7
	v_cmp_ne_u32_e32 vcc_lo, v4, v6
	v_lshl_or_b32 v6, v5, 12, v2
	v_cndmask_b32_e64 v4, 0, 1, vcc_lo
	v_cmp_gt_i32_e32 vcc_lo, 1, v5
	s_delay_alu instid0(VALU_DEP_2) | instskip(NEXT) | instid1(VALU_DEP_1)
	v_or_b32_e32 v4, v7, v4
	v_cndmask_b32_e32 v4, v6, v4, vcc_lo
	s_delay_alu instid0(VALU_DEP_1) | instskip(NEXT) | instid1(VALU_DEP_1)
	v_dual_lshrrev_b32 v4, 2, v4 :: v_dual_bitop2_b32 v6, 7, v4 bitop3:0x40
	v_cmp_lt_i32_e32 vcc_lo, 5, v6
	v_cndmask_b32_e64 v7, 0, 1, vcc_lo
	v_cmp_eq_u32_e32 vcc_lo, 3, v6
	v_cndmask_b32_e64 v6, 0, 1, vcc_lo
	v_cmp_ne_u32_e32 vcc_lo, 0, v2
	s_delay_alu instid0(VALU_DEP_2) | instskip(NEXT) | instid1(VALU_DEP_1)
	v_or_b32_e32 v6, v6, v7
	v_dual_mov_b32 v7, 0x7e00 :: v_dual_add_nc_u32 v4, v4, v6
	s_delay_alu instid0(VALU_DEP_1) | instskip(SKIP_1) | instid1(VALU_DEP_3)
	v_cndmask_b32_e32 v2, 0x7c00, v7, vcc_lo
	v_cmp_gt_i32_e32 vcc_lo, 31, v5
	v_cndmask_b32_e32 v4, 0x7c00, v4, vcc_lo
	v_cmp_eq_u32_e32 vcc_lo, 0x40f, v5
	s_delay_alu instid0(VALU_DEP_2) | instskip(NEXT) | instid1(VALU_DEP_1)
	v_cndmask_b32_e32 v2, v4, v2, vcc_lo
	v_and_or_b32 v2, 0x8000, v3, v2
	s_branch .LBB190_1138
.LBB190_1136:
	s_mov_b32 s35, -1
                                        ; implicit-def: $vgpr2
	s_branch .LBB190_1141
.LBB190_1137:
	s_mov_b32 s35, -1
                                        ; implicit-def: $vgpr2
.LBB190_1138:
	s_delay_alu instid0(SALU_CYCLE_1)
	s_and_not1_b32 vcc_lo, exec_lo, s35
	s_cbranch_vccnz .LBB190_1140
; %bb.1139:
	s_wait_loadcnt 0x0
	global_load_b32 v2, v[0:1], off
	s_wait_loadcnt 0x0
	v_cvt_f16_f32_e32 v2, v2
.LBB190_1140:
	s_mov_b32 s35, 0
.LBB190_1141:
	s_delay_alu instid0(SALU_CYCLE_1)
	s_and_not1_b32 vcc_lo, exec_lo, s35
	s_cbranch_vccnz .LBB190_1143
; %bb.1142:
	s_wait_loadcnt 0x0
	global_load_u16 v2, v[0:1], off
.LBB190_1143:
	s_mov_b32 s35, 0
.LBB190_1144:
	s_delay_alu instid0(SALU_CYCLE_1)
	s_and_not1_b32 vcc_lo, exec_lo, s35
	s_cbranch_vccnz .LBB190_1164
; %bb.1145:
	s_cmp_lt_i32 s0, 2
	s_cbranch_scc1 .LBB190_1149
; %bb.1146:
	s_cmp_lt_i32 s0, 3
	s_cbranch_scc1 .LBB190_1150
; %bb.1147:
	s_cmp_gt_i32 s0, 3
	s_cbranch_scc0 .LBB190_1151
; %bb.1148:
	s_wait_loadcnt 0x0
	global_load_b64 v[2:3], v[0:1], off
	s_mov_b32 s35, 0
	s_wait_loadcnt 0x0
	v_xor_b32_e32 v4, v2, v3
	v_cls_i32_e32 v5, v3
	s_delay_alu instid0(VALU_DEP_2) | instskip(NEXT) | instid1(VALU_DEP_1)
	v_ashrrev_i32_e32 v4, 31, v4
	v_add_nc_u32_e32 v4, 32, v4
	s_delay_alu instid0(VALU_DEP_1) | instskip(NEXT) | instid1(VALU_DEP_1)
	v_add_min_u32_e64 v4, v5, -1, v4
	v_lshlrev_b64_e32 v[2:3], v4, v[2:3]
	s_delay_alu instid0(VALU_DEP_1) | instskip(NEXT) | instid1(VALU_DEP_1)
	v_min_u32_e32 v2, 1, v2
	v_dual_sub_nc_u32 v3, 32, v4 :: v_dual_bitop2_b32 v2, v3, v2 bitop3:0x54
	s_delay_alu instid0(VALU_DEP_1) | instskip(NEXT) | instid1(VALU_DEP_1)
	v_cvt_f32_i32_e32 v2, v2
	v_ldexp_f32 v2, v2, v3
	s_delay_alu instid0(VALU_DEP_1)
	v_cvt_f16_f32_e32 v2, v2
	s_branch .LBB190_1152
.LBB190_1149:
	s_mov_b32 s35, -1
                                        ; implicit-def: $vgpr2
	s_branch .LBB190_1158
.LBB190_1150:
	s_mov_b32 s35, -1
                                        ; implicit-def: $vgpr2
	s_branch .LBB190_1155
.LBB190_1151:
	s_mov_b32 s35, -1
                                        ; implicit-def: $vgpr2
.LBB190_1152:
	s_delay_alu instid0(SALU_CYCLE_1)
	s_and_not1_b32 vcc_lo, exec_lo, s35
	s_cbranch_vccnz .LBB190_1154
; %bb.1153:
	s_wait_loadcnt 0x0
	global_load_b32 v2, v[0:1], off
	s_wait_loadcnt 0x0
	v_cvt_f32_i32_e32 v2, v2
	s_delay_alu instid0(VALU_DEP_1)
	v_cvt_f16_f32_e32 v2, v2
.LBB190_1154:
	s_mov_b32 s35, 0
.LBB190_1155:
	s_delay_alu instid0(SALU_CYCLE_1)
	s_and_not1_b32 vcc_lo, exec_lo, s35
	s_cbranch_vccnz .LBB190_1157
; %bb.1156:
	s_wait_loadcnt 0x0
	global_load_u16 v2, v[0:1], off
	s_wait_loadcnt 0x0
	v_cvt_f16_i16_e32 v2, v2
.LBB190_1157:
	s_mov_b32 s35, 0
.LBB190_1158:
	s_delay_alu instid0(SALU_CYCLE_1)
	s_and_not1_b32 vcc_lo, exec_lo, s35
	s_cbranch_vccnz .LBB190_1164
; %bb.1159:
	s_cmp_gt_i32 s0, 0
	s_mov_b32 s0, 0
	s_cbranch_scc0 .LBB190_1161
; %bb.1160:
	s_wait_loadcnt 0x0
	global_load_i8 v2, v[0:1], off
	s_wait_loadcnt 0x0
	v_cvt_f16_i16_e32 v2, v2
	s_branch .LBB190_1162
.LBB190_1161:
	s_mov_b32 s0, -1
                                        ; implicit-def: $vgpr2
.LBB190_1162:
	s_delay_alu instid0(SALU_CYCLE_1)
	s_and_not1_b32 vcc_lo, exec_lo, s0
	s_cbranch_vccnz .LBB190_1164
; %bb.1163:
	global_load_u8 v0, v[0:1], off
	s_wait_loadcnt 0x0
	v_cvt_f16_u16_e32 v2, v0
.LBB190_1164:
	s_mov_b32 s36, -1
.LBB190_1165:
	s_delay_alu instid0(SALU_CYCLE_1)
	s_and_not1_b32 vcc_lo, exec_lo, s36
	s_cbranch_vccnz .LBB190_1173
; %bb.1166:
	s_wait_xcnt 0x0
	v_mul_lo_u32 v0, v8, s14
	s_and_b32 s0, s17, 0xff
	s_delay_alu instid0(SALU_CYCLE_1) | instskip(NEXT) | instid1(VALU_DEP_1)
	s_cmp_lt_i32 s0, 11
	v_ashrrev_i32_e32 v1, 31, v0
	s_delay_alu instid0(VALU_DEP_1)
	v_add_nc_u64_e32 v[0:1], s[8:9], v[0:1]
	s_cbranch_scc1 .LBB190_1174
; %bb.1167:
	s_and_b32 s36, 0xffff, s0
	s_delay_alu instid0(SALU_CYCLE_1)
	s_cmp_gt_i32 s36, 25
	s_cbranch_scc0 .LBB190_1175
; %bb.1168:
	s_cmp_gt_i32 s36, 28
	s_cbranch_scc0 .LBB190_1176
; %bb.1169:
	;; [unrolled: 3-line block ×4, first 2 shown]
	s_cmp_eq_u32 s36, 46
	s_mov_b32 s38, 0
	s_cbranch_scc0 .LBB190_1181
; %bb.1172:
	s_wait_loadcnt 0x0
	global_load_b32 v3, v[0:1], off
	s_mov_b32 s37, -1
	s_mov_b32 s35, 0
	s_wait_loadcnt 0x0
	v_lshlrev_b32_e32 v3, 16, v3
	s_delay_alu instid0(VALU_DEP_1)
	v_cvt_f16_f32_e32 v3, v3
	s_branch .LBB190_1183
.LBB190_1173:
	s_mov_b32 s38, 0
	s_mov_b32 s0, s28
	;; [unrolled: 1-line block ×4, first 2 shown]
	s_branch .LBB190_1554
.LBB190_1174:
	s_mov_b32 s36, -1
	s_mov_b32 s37, 0
	s_mov_b32 s35, s30
                                        ; implicit-def: $vgpr3
	s_branch .LBB190_1248
.LBB190_1175:
	s_mov_b32 s38, -1
	s_mov_b32 s37, 0
	s_mov_b32 s35, s30
                                        ; implicit-def: $vgpr3
	s_branch .LBB190_1212
.LBB190_1176:
	s_mov_b32 s38, -1
	s_mov_b32 s37, 0
	s_mov_b32 s35, s30
                                        ; implicit-def: $vgpr3
	s_branch .LBB190_1193
.LBB190_1177:
	s_mov_b32 s38, -1
	s_mov_b32 s37, 0
	s_mov_b32 s35, s30
                                        ; implicit-def: $vgpr3
	s_branch .LBB190_1188
.LBB190_1178:
	s_mov_b32 s38, -1
	s_mov_b32 s37, 0
	s_mov_b32 s35, s30
	s_branch .LBB190_1182
.LBB190_1179:
	s_and_not1_saveexec_b32 s36, s36
	s_cbranch_execz .LBB190_943
.LBB190_1180:
	v_add_f32_e64 v4, 0x46000000, |v2|
	s_and_not1_b32 s35, s35, exec_lo
	s_delay_alu instid0(VALU_DEP_1) | instskip(NEXT) | instid1(VALU_DEP_1)
	v_and_b32_e32 v4, 0xff, v4
	v_cmp_ne_u32_e32 vcc_lo, 0, v4
	s_and_b32 s37, vcc_lo, exec_lo
	s_delay_alu instid0(SALU_CYCLE_1)
	s_or_b32 s35, s35, s37
	s_or_b32 exec_lo, exec_lo, s36
	v_mov_b32_e32 v5, 0
	s_and_saveexec_b32 s36, s35
	s_cbranch_execnz .LBB190_944
	s_branch .LBB190_945
.LBB190_1181:
	s_mov_b32 s35, -1
	s_mov_b32 s37, 0
.LBB190_1182:
                                        ; implicit-def: $vgpr3
.LBB190_1183:
	s_and_b32 vcc_lo, exec_lo, s38
	s_cbranch_vccz .LBB190_1187
; %bb.1184:
	s_cmp_eq_u32 s36, 44
	s_cbranch_scc0 .LBB190_1186
; %bb.1185:
	s_wait_loadcnt 0x0
	global_load_u8 v3, v[0:1], off
	s_mov_b32 s35, 0
	s_mov_b32 s37, -1
	s_wait_loadcnt 0x0
	v_lshlrev_b32_e32 v4, 23, v3
	v_cmp_ne_u32_e32 vcc_lo, 0xff, v3
	s_delay_alu instid0(VALU_DEP_2) | instskip(NEXT) | instid1(VALU_DEP_1)
	v_cvt_f16_f32_e32 v4, v4
	v_cndmask_b32_e32 v4, 0x7e00, v4, vcc_lo
	v_cmp_ne_u32_e32 vcc_lo, 0, v3
	s_delay_alu instid0(VALU_DEP_2)
	v_cndmask_b32_e32 v3, 0, v4, vcc_lo
	s_branch .LBB190_1187
.LBB190_1186:
	s_mov_b32 s35, -1
                                        ; implicit-def: $vgpr3
.LBB190_1187:
	s_mov_b32 s38, 0
.LBB190_1188:
	s_delay_alu instid0(SALU_CYCLE_1)
	s_and_b32 vcc_lo, exec_lo, s38
	s_cbranch_vccz .LBB190_1192
; %bb.1189:
	s_cmp_eq_u32 s36, 29
	s_cbranch_scc0 .LBB190_1191
; %bb.1190:
	s_wait_loadcnt 0x0
	global_load_b64 v[4:5], v[0:1], off
	s_mov_b32 s37, -1
	s_mov_b32 s35, 0
	s_mov_b32 s38, 0
	s_wait_loadcnt 0x0
	v_clz_i32_u32_e32 v3, v5
	s_delay_alu instid0(VALU_DEP_1) | instskip(NEXT) | instid1(VALU_DEP_1)
	v_min_u32_e32 v3, 32, v3
	v_lshlrev_b64_e32 v[4:5], v3, v[4:5]
	v_sub_nc_u32_e32 v3, 32, v3
	s_delay_alu instid0(VALU_DEP_2) | instskip(NEXT) | instid1(VALU_DEP_1)
	v_min_u32_e32 v4, 1, v4
	v_or_b32_e32 v4, v5, v4
	s_delay_alu instid0(VALU_DEP_1) | instskip(NEXT) | instid1(VALU_DEP_1)
	v_cvt_f32_u32_e32 v4, v4
	v_ldexp_f32 v3, v4, v3
	s_delay_alu instid0(VALU_DEP_1)
	v_cvt_f16_f32_e32 v3, v3
	s_branch .LBB190_1193
.LBB190_1191:
	s_mov_b32 s35, -1
                                        ; implicit-def: $vgpr3
.LBB190_1192:
	s_mov_b32 s38, 0
.LBB190_1193:
	s_delay_alu instid0(SALU_CYCLE_1)
	s_and_b32 vcc_lo, exec_lo, s38
	s_cbranch_vccz .LBB190_1211
; %bb.1194:
	s_cmp_lt_i32 s36, 27
	s_cbranch_scc1 .LBB190_1197
; %bb.1195:
	s_cmp_gt_i32 s36, 27
	s_cbranch_scc0 .LBB190_1198
; %bb.1196:
	s_wait_loadcnt 0x0
	global_load_b32 v3, v[0:1], off
	s_mov_b32 s37, 0
	s_wait_loadcnt 0x0
	v_cvt_f32_u32_e32 v3, v3
	s_delay_alu instid0(VALU_DEP_1)
	v_cvt_f16_f32_e32 v3, v3
	s_branch .LBB190_1199
.LBB190_1197:
	s_mov_b32 s37, -1
                                        ; implicit-def: $vgpr3
	s_branch .LBB190_1202
.LBB190_1198:
	s_mov_b32 s37, -1
                                        ; implicit-def: $vgpr3
.LBB190_1199:
	s_delay_alu instid0(SALU_CYCLE_1)
	s_and_not1_b32 vcc_lo, exec_lo, s37
	s_cbranch_vccnz .LBB190_1201
; %bb.1200:
	s_wait_loadcnt 0x0
	global_load_u16 v3, v[0:1], off
	s_wait_loadcnt 0x0
	v_cvt_f16_u16_e32 v3, v3
.LBB190_1201:
	s_mov_b32 s37, 0
.LBB190_1202:
	s_delay_alu instid0(SALU_CYCLE_1)
	s_and_not1_b32 vcc_lo, exec_lo, s37
	s_cbranch_vccnz .LBB190_1210
; %bb.1203:
	s_wait_loadcnt 0x0
	global_load_u8 v4, v[0:1], off
	s_mov_b32 s37, 0
	s_mov_b32 s38, exec_lo
	s_wait_loadcnt 0x0
	v_cmpx_lt_i16_e32 0x7f, v4
	s_xor_b32 s38, exec_lo, s38
	s_cbranch_execz .LBB190_1224
; %bb.1204:
	s_mov_b32 s37, -1
	s_mov_b32 s39, exec_lo
	v_cmpx_eq_u16_e32 0x80, v4
; %bb.1205:
	s_xor_b32 s37, exec_lo, -1
; %bb.1206:
	s_or_b32 exec_lo, exec_lo, s39
	s_delay_alu instid0(SALU_CYCLE_1)
	s_and_b32 s37, s37, exec_lo
	s_or_saveexec_b32 s38, s38
	v_mov_b32_e32 v3, 0x7e00
	s_xor_b32 exec_lo, exec_lo, s38
	s_cbranch_execnz .LBB190_1225
.LBB190_1207:
	s_or_b32 exec_lo, exec_lo, s38
	s_and_saveexec_b32 s38, s37
	s_cbranch_execz .LBB190_1209
.LBB190_1208:
	v_and_b32_e32 v3, 0xffff, v4
	s_delay_alu instid0(VALU_DEP_1) | instskip(SKIP_1) | instid1(VALU_DEP_2)
	v_and_b32_e32 v5, 7, v3
	v_bfe_u32 v9, v3, 3, 4
	v_clz_i32_u32_e32 v6, v5
	s_delay_alu instid0(VALU_DEP_2) | instskip(NEXT) | instid1(VALU_DEP_2)
	v_cmp_eq_u32_e32 vcc_lo, 0, v9
	v_min_u32_e32 v6, 32, v6
	s_delay_alu instid0(VALU_DEP_1) | instskip(NEXT) | instid1(VALU_DEP_1)
	v_subrev_nc_u32_e32 v7, 28, v6
	v_dual_lshlrev_b32 v3, v7, v3 :: v_dual_sub_nc_u32 v6, 29, v6
	s_delay_alu instid0(VALU_DEP_1) | instskip(NEXT) | instid1(VALU_DEP_2)
	v_dual_lshlrev_b32 v4, 24, v4 :: v_dual_bitop2_b32 v3, 7, v3 bitop3:0x40
	v_cndmask_b32_e32 v6, v9, v6, vcc_lo
	s_delay_alu instid0(VALU_DEP_2) | instskip(NEXT) | instid1(VALU_DEP_3)
	v_cndmask_b32_e32 v3, v5, v3, vcc_lo
	v_and_b32_e32 v4, 0x80000000, v4
	s_delay_alu instid0(VALU_DEP_3) | instskip(NEXT) | instid1(VALU_DEP_3)
	v_lshl_add_u32 v5, v6, 23, 0x3b800000
	v_lshlrev_b32_e32 v3, 20, v3
	s_delay_alu instid0(VALU_DEP_1) | instskip(NEXT) | instid1(VALU_DEP_1)
	v_or3_b32 v3, v4, v5, v3
	v_cvt_f16_f32_e32 v3, v3
.LBB190_1209:
	s_or_b32 exec_lo, exec_lo, s38
.LBB190_1210:
	s_mov_b32 s37, -1
.LBB190_1211:
	s_mov_b32 s38, 0
.LBB190_1212:
	s_delay_alu instid0(SALU_CYCLE_1)
	s_and_b32 vcc_lo, exec_lo, s38
	s_cbranch_vccz .LBB190_1247
; %bb.1213:
	s_cmp_gt_i32 s36, 22
	s_cbranch_scc0 .LBB190_1223
; %bb.1214:
	s_cmp_lt_i32 s36, 24
	s_cbranch_scc1 .LBB190_1226
; %bb.1215:
	s_cmp_gt_i32 s36, 24
	s_cbranch_scc0 .LBB190_1227
; %bb.1216:
	s_wait_loadcnt 0x0
	global_load_u8 v4, v[0:1], off
	s_mov_b32 s37, 0
	s_mov_b32 s38, exec_lo
	s_wait_loadcnt 0x0
	v_cmpx_lt_i16_e32 0x7f, v4
	s_xor_b32 s38, exec_lo, s38
	s_cbranch_execz .LBB190_1239
; %bb.1217:
	s_mov_b32 s37, -1
	s_mov_b32 s39, exec_lo
	v_cmpx_eq_u16_e32 0x80, v4
; %bb.1218:
	s_xor_b32 s37, exec_lo, -1
; %bb.1219:
	s_or_b32 exec_lo, exec_lo, s39
	s_delay_alu instid0(SALU_CYCLE_1)
	s_and_b32 s37, s37, exec_lo
	s_or_saveexec_b32 s38, s38
	v_mov_b32_e32 v3, 0x7e00
	s_xor_b32 exec_lo, exec_lo, s38
	s_cbranch_execnz .LBB190_1240
.LBB190_1220:
	s_or_b32 exec_lo, exec_lo, s38
	s_and_saveexec_b32 s38, s37
	s_cbranch_execz .LBB190_1222
.LBB190_1221:
	v_and_b32_e32 v3, 0xffff, v4
	s_delay_alu instid0(VALU_DEP_1) | instskip(SKIP_1) | instid1(VALU_DEP_2)
	v_and_b32_e32 v5, 3, v3
	v_bfe_u32 v9, v3, 2, 5
	v_clz_i32_u32_e32 v6, v5
	s_delay_alu instid0(VALU_DEP_2) | instskip(NEXT) | instid1(VALU_DEP_2)
	v_cmp_eq_u32_e32 vcc_lo, 0, v9
	v_min_u32_e32 v6, 32, v6
	s_delay_alu instid0(VALU_DEP_1) | instskip(NEXT) | instid1(VALU_DEP_1)
	v_subrev_nc_u32_e32 v7, 29, v6
	v_dual_lshlrev_b32 v3, v7, v3 :: v_dual_sub_nc_u32 v6, 30, v6
	s_delay_alu instid0(VALU_DEP_1) | instskip(NEXT) | instid1(VALU_DEP_2)
	v_dual_lshlrev_b32 v4, 24, v4 :: v_dual_bitop2_b32 v3, 3, v3 bitop3:0x40
	v_cndmask_b32_e32 v6, v9, v6, vcc_lo
	s_delay_alu instid0(VALU_DEP_2) | instskip(NEXT) | instid1(VALU_DEP_3)
	v_cndmask_b32_e32 v3, v5, v3, vcc_lo
	v_and_b32_e32 v4, 0x80000000, v4
	s_delay_alu instid0(VALU_DEP_3) | instskip(NEXT) | instid1(VALU_DEP_3)
	v_lshl_add_u32 v5, v6, 23, 0x37800000
	v_lshlrev_b32_e32 v3, 21, v3
	s_delay_alu instid0(VALU_DEP_1) | instskip(NEXT) | instid1(VALU_DEP_1)
	v_or3_b32 v3, v4, v5, v3
	v_cvt_f16_f32_e32 v3, v3
.LBB190_1222:
	s_or_b32 exec_lo, exec_lo, s38
	s_mov_b32 s37, 0
	s_branch .LBB190_1228
.LBB190_1223:
	s_mov_b32 s38, -1
                                        ; implicit-def: $vgpr3
	s_branch .LBB190_1234
.LBB190_1224:
	s_or_saveexec_b32 s38, s38
	v_mov_b32_e32 v3, 0x7e00
	s_xor_b32 exec_lo, exec_lo, s38
	s_cbranch_execz .LBB190_1207
.LBB190_1225:
	v_cmp_ne_u16_e32 vcc_lo, 0, v4
	v_mov_b32_e32 v3, v4
	s_and_not1_b32 s37, s37, exec_lo
	s_and_b32 s39, vcc_lo, exec_lo
	s_delay_alu instid0(SALU_CYCLE_1)
	s_or_b32 s37, s37, s39
	s_or_b32 exec_lo, exec_lo, s38
	s_and_saveexec_b32 s38, s37
	s_cbranch_execnz .LBB190_1208
	s_branch .LBB190_1209
.LBB190_1226:
	s_mov_b32 s37, -1
                                        ; implicit-def: $vgpr3
	s_branch .LBB190_1231
.LBB190_1227:
	s_mov_b32 s37, -1
                                        ; implicit-def: $vgpr3
.LBB190_1228:
	s_delay_alu instid0(SALU_CYCLE_1)
	s_and_b32 vcc_lo, exec_lo, s37
	s_cbranch_vccz .LBB190_1230
; %bb.1229:
	s_wait_loadcnt 0x0
	global_load_u8 v3, v[0:1], off
	s_wait_loadcnt 0x0
	v_lshlrev_b32_e32 v3, 24, v3
	s_delay_alu instid0(VALU_DEP_1) | instskip(NEXT) | instid1(VALU_DEP_1)
	v_and_b32_e32 v4, 0x7f000000, v3
	v_clz_i32_u32_e32 v5, v4
	v_cmp_ne_u32_e32 vcc_lo, 0, v4
	v_add_nc_u32_e32 v7, 0x1000000, v4
	s_delay_alu instid0(VALU_DEP_3) | instskip(NEXT) | instid1(VALU_DEP_1)
	v_min_u32_e32 v5, 32, v5
	v_sub_nc_u32_e64 v5, v5, 4 clamp
	s_delay_alu instid0(VALU_DEP_1) | instskip(NEXT) | instid1(VALU_DEP_1)
	v_dual_lshlrev_b32 v6, v5, v4 :: v_dual_lshlrev_b32 v5, 23, v5
	v_lshrrev_b32_e32 v6, 4, v6
	s_delay_alu instid0(VALU_DEP_1) | instskip(NEXT) | instid1(VALU_DEP_1)
	v_dual_sub_nc_u32 v5, v6, v5 :: v_dual_ashrrev_i32 v6, 8, v7
	v_add_nc_u32_e32 v5, 0x3c000000, v5
	s_delay_alu instid0(VALU_DEP_1) | instskip(NEXT) | instid1(VALU_DEP_1)
	v_and_or_b32 v5, 0x7f800000, v6, v5
	v_cndmask_b32_e32 v4, 0, v5, vcc_lo
	s_delay_alu instid0(VALU_DEP_1) | instskip(NEXT) | instid1(VALU_DEP_1)
	v_and_or_b32 v3, 0x80000000, v3, v4
	v_cvt_f16_f32_e32 v3, v3
.LBB190_1230:
	s_mov_b32 s37, 0
.LBB190_1231:
	s_delay_alu instid0(SALU_CYCLE_1)
	s_and_not1_b32 vcc_lo, exec_lo, s37
	s_cbranch_vccnz .LBB190_1233
; %bb.1232:
	s_wait_loadcnt 0x0
	global_load_u8 v3, v[0:1], off
	s_wait_loadcnt 0x0
	v_lshlrev_b32_e32 v4, 25, v3
	v_lshlrev_b16 v3, 8, v3
	s_delay_alu instid0(VALU_DEP_1) | instskip(SKIP_1) | instid1(VALU_DEP_2)
	v_and_or_b32 v6, 0x7f00, v3, 0.5
	v_bfe_i32 v3, v3, 0, 16
	v_dual_add_f32 v6, -0.5, v6 :: v_dual_lshrrev_b32 v5, 4, v4
	v_cmp_gt_u32_e32 vcc_lo, 0x8000000, v4
	s_delay_alu instid0(VALU_DEP_2) | instskip(NEXT) | instid1(VALU_DEP_1)
	v_or_b32_e32 v5, 0x70000000, v5
	v_mul_f32_e32 v5, 0x7800000, v5
	s_delay_alu instid0(VALU_DEP_1) | instskip(NEXT) | instid1(VALU_DEP_1)
	v_cndmask_b32_e32 v4, v5, v6, vcc_lo
	v_and_or_b32 v3, 0x80000000, v3, v4
	s_delay_alu instid0(VALU_DEP_1)
	v_cvt_f16_f32_e32 v3, v3
.LBB190_1233:
	s_mov_b32 s38, 0
	s_mov_b32 s37, -1
.LBB190_1234:
	s_and_not1_b32 vcc_lo, exec_lo, s38
	s_cbranch_vccnz .LBB190_1247
; %bb.1235:
	s_cmp_gt_i32 s36, 14
	s_cbranch_scc0 .LBB190_1238
; %bb.1236:
	s_cmp_eq_u32 s36, 15
	s_cbranch_scc0 .LBB190_1241
; %bb.1237:
	s_wait_loadcnt 0x0
	global_load_u16 v3, v[0:1], off
	s_mov_b32 s37, -1
	s_mov_b32 s35, 0
	s_wait_loadcnt 0x0
	v_lshlrev_b32_e32 v3, 16, v3
	s_delay_alu instid0(VALU_DEP_1)
	v_cvt_f16_f32_e32 v3, v3
	s_branch .LBB190_1242
.LBB190_1238:
	s_mov_b32 s38, -1
                                        ; implicit-def: $vgpr3
	s_branch .LBB190_1243
.LBB190_1239:
	s_or_saveexec_b32 s38, s38
	v_mov_b32_e32 v3, 0x7e00
	s_xor_b32 exec_lo, exec_lo, s38
	s_cbranch_execz .LBB190_1220
.LBB190_1240:
	v_cmp_ne_u16_e32 vcc_lo, 0, v4
	v_mov_b32_e32 v3, v4
	s_and_not1_b32 s37, s37, exec_lo
	s_and_b32 s39, vcc_lo, exec_lo
	s_delay_alu instid0(SALU_CYCLE_1)
	s_or_b32 s37, s37, s39
	s_or_b32 exec_lo, exec_lo, s38
	s_and_saveexec_b32 s38, s37
	s_cbranch_execnz .LBB190_1221
	s_branch .LBB190_1222
.LBB190_1241:
	s_mov_b32 s35, -1
                                        ; implicit-def: $vgpr3
.LBB190_1242:
	s_mov_b32 s38, 0
.LBB190_1243:
	s_delay_alu instid0(SALU_CYCLE_1)
	s_and_b32 vcc_lo, exec_lo, s38
	s_cbranch_vccz .LBB190_1247
; %bb.1244:
	s_cmp_eq_u32 s36, 11
	s_cbranch_scc0 .LBB190_1246
; %bb.1245:
	s_wait_loadcnt 0x0
	global_load_u8 v3, v[0:1], off
	s_mov_b32 s35, 0
	s_mov_b32 s37, -1
	s_wait_loadcnt 0x0
	v_cmp_ne_u16_e32 vcc_lo, 0, v3
	v_cndmask_b32_e64 v3, 0, 0x3c00, vcc_lo
	s_branch .LBB190_1247
.LBB190_1246:
	s_mov_b32 s35, -1
                                        ; implicit-def: $vgpr3
.LBB190_1247:
	s_mov_b32 s36, 0
.LBB190_1248:
	s_delay_alu instid0(SALU_CYCLE_1)
	s_and_b32 vcc_lo, exec_lo, s36
	s_cbranch_vccz .LBB190_1297
; %bb.1249:
	s_and_b32 s0, 0xffff, s0
	s_delay_alu instid0(SALU_CYCLE_1)
	s_cmp_lt_i32 s0, 5
	s_cbranch_scc1 .LBB190_1254
; %bb.1250:
	s_cmp_lt_i32 s0, 8
	s_cbranch_scc1 .LBB190_1255
; %bb.1251:
	;; [unrolled: 3-line block ×3, first 2 shown]
	s_cmp_gt_i32 s0, 9
	s_cbranch_scc0 .LBB190_1257
; %bb.1253:
	s_wait_loadcnt 0x0
	global_load_b64 v[4:5], v[0:1], off
	s_mov_b32 s36, 0
	s_wait_loadcnt 0x0
	v_and_or_b32 v3, 0x1ff, v5, v4
	v_lshrrev_b32_e32 v4, 8, v5
	v_bfe_u32 v6, v5, 20, 11
	s_delay_alu instid0(VALU_DEP_3) | instskip(NEXT) | instid1(VALU_DEP_2)
	v_cmp_ne_u32_e32 vcc_lo, 0, v3
	v_sub_nc_u32_e32 v7, 0x3f1, v6
	v_add_nc_u32_e32 v6, 0xfffffc10, v6
	v_cndmask_b32_e64 v3, 0, 1, vcc_lo
	s_delay_alu instid0(VALU_DEP_1) | instskip(NEXT) | instid1(VALU_DEP_4)
	v_and_or_b32 v3, 0xffe, v4, v3
	v_med3_i32 v4, v7, 0, 13
	s_delay_alu instid0(VALU_DEP_2) | instskip(NEXT) | instid1(VALU_DEP_1)
	v_or_b32_e32 v7, 0x1000, v3
	v_lshrrev_b32_e32 v9, v4, v7
	s_delay_alu instid0(VALU_DEP_1) | instskip(NEXT) | instid1(VALU_DEP_1)
	v_lshlrev_b32_e32 v4, v4, v9
	v_cmp_ne_u32_e32 vcc_lo, v4, v7
	v_lshl_or_b32 v7, v6, 12, v3
	v_cndmask_b32_e64 v4, 0, 1, vcc_lo
	v_cmp_gt_i32_e32 vcc_lo, 1, v6
	s_delay_alu instid0(VALU_DEP_2) | instskip(NEXT) | instid1(VALU_DEP_1)
	v_or_b32_e32 v4, v9, v4
	v_cndmask_b32_e32 v4, v7, v4, vcc_lo
	s_delay_alu instid0(VALU_DEP_1) | instskip(NEXT) | instid1(VALU_DEP_1)
	v_dual_lshrrev_b32 v4, 2, v4 :: v_dual_bitop2_b32 v7, 7, v4 bitop3:0x40
	v_cmp_lt_i32_e32 vcc_lo, 5, v7
	v_cndmask_b32_e64 v9, 0, 1, vcc_lo
	v_cmp_eq_u32_e32 vcc_lo, 3, v7
	v_cndmask_b32_e64 v7, 0, 1, vcc_lo
	v_cmp_ne_u32_e32 vcc_lo, 0, v3
	s_delay_alu instid0(VALU_DEP_2) | instskip(NEXT) | instid1(VALU_DEP_1)
	v_or_b32_e32 v7, v7, v9
	v_dual_mov_b32 v9, 0x7e00 :: v_dual_add_nc_u32 v4, v4, v7
	s_delay_alu instid0(VALU_DEP_1) | instskip(SKIP_1) | instid1(VALU_DEP_3)
	v_cndmask_b32_e32 v3, 0x7c00, v9, vcc_lo
	v_cmp_gt_i32_e32 vcc_lo, 31, v6
	v_cndmask_b32_e32 v4, 0x7c00, v4, vcc_lo
	v_cmp_eq_u32_e32 vcc_lo, 0x40f, v6
	s_delay_alu instid0(VALU_DEP_2) | instskip(NEXT) | instid1(VALU_DEP_1)
	v_dual_cndmask_b32 v3, v4, v3 :: v_dual_lshrrev_b32 v4, 16, v5
	v_and_or_b32 v3, 0x8000, v4, v3
	s_branch .LBB190_1258
.LBB190_1254:
	s_mov_b32 s36, -1
                                        ; implicit-def: $vgpr3
	s_branch .LBB190_1276
.LBB190_1255:
	s_mov_b32 s36, -1
                                        ; implicit-def: $vgpr3
	s_branch .LBB190_1264
.LBB190_1256:
	s_mov_b32 s36, -1
                                        ; implicit-def: $vgpr3
	s_branch .LBB190_1261
.LBB190_1257:
	s_mov_b32 s36, -1
                                        ; implicit-def: $vgpr3
.LBB190_1258:
	s_delay_alu instid0(SALU_CYCLE_1)
	s_and_not1_b32 vcc_lo, exec_lo, s36
	s_cbranch_vccnz .LBB190_1260
; %bb.1259:
	s_wait_loadcnt 0x0
	global_load_b32 v3, v[0:1], off
	s_wait_loadcnt 0x0
	v_cvt_f16_f32_e32 v3, v3
.LBB190_1260:
	s_mov_b32 s36, 0
.LBB190_1261:
	s_delay_alu instid0(SALU_CYCLE_1)
	s_and_not1_b32 vcc_lo, exec_lo, s36
	s_cbranch_vccnz .LBB190_1263
; %bb.1262:
	s_wait_loadcnt 0x0
	global_load_b32 v3, v[0:1], off
.LBB190_1263:
	s_mov_b32 s36, 0
.LBB190_1264:
	s_delay_alu instid0(SALU_CYCLE_1)
	s_and_not1_b32 vcc_lo, exec_lo, s36
	s_cbranch_vccnz .LBB190_1275
; %bb.1265:
	s_cmp_lt_i32 s0, 6
	s_cbranch_scc1 .LBB190_1268
; %bb.1266:
	s_cmp_gt_i32 s0, 6
	s_cbranch_scc0 .LBB190_1269
; %bb.1267:
	s_wait_loadcnt 0x0
	global_load_b64 v[4:5], v[0:1], off
	s_mov_b32 s36, 0
	s_wait_loadcnt 0x0
	v_and_or_b32 v3, 0x1ff, v5, v4
	v_lshrrev_b32_e32 v4, 8, v5
	v_bfe_u32 v6, v5, 20, 11
	s_delay_alu instid0(VALU_DEP_3) | instskip(NEXT) | instid1(VALU_DEP_2)
	v_cmp_ne_u32_e32 vcc_lo, 0, v3
	v_sub_nc_u32_e32 v7, 0x3f1, v6
	v_add_nc_u32_e32 v6, 0xfffffc10, v6
	v_cndmask_b32_e64 v3, 0, 1, vcc_lo
	s_delay_alu instid0(VALU_DEP_1) | instskip(NEXT) | instid1(VALU_DEP_4)
	v_and_or_b32 v3, 0xffe, v4, v3
	v_med3_i32 v4, v7, 0, 13
	s_delay_alu instid0(VALU_DEP_2) | instskip(NEXT) | instid1(VALU_DEP_1)
	v_or_b32_e32 v7, 0x1000, v3
	v_lshrrev_b32_e32 v9, v4, v7
	s_delay_alu instid0(VALU_DEP_1) | instskip(NEXT) | instid1(VALU_DEP_1)
	v_lshlrev_b32_e32 v4, v4, v9
	v_cmp_ne_u32_e32 vcc_lo, v4, v7
	v_lshl_or_b32 v7, v6, 12, v3
	v_cndmask_b32_e64 v4, 0, 1, vcc_lo
	v_cmp_gt_i32_e32 vcc_lo, 1, v6
	s_delay_alu instid0(VALU_DEP_2) | instskip(NEXT) | instid1(VALU_DEP_1)
	v_or_b32_e32 v4, v9, v4
	v_cndmask_b32_e32 v4, v7, v4, vcc_lo
	s_delay_alu instid0(VALU_DEP_1) | instskip(NEXT) | instid1(VALU_DEP_1)
	v_dual_lshrrev_b32 v4, 2, v4 :: v_dual_bitop2_b32 v7, 7, v4 bitop3:0x40
	v_cmp_lt_i32_e32 vcc_lo, 5, v7
	v_cndmask_b32_e64 v9, 0, 1, vcc_lo
	v_cmp_eq_u32_e32 vcc_lo, 3, v7
	v_cndmask_b32_e64 v7, 0, 1, vcc_lo
	v_cmp_ne_u32_e32 vcc_lo, 0, v3
	s_delay_alu instid0(VALU_DEP_2) | instskip(NEXT) | instid1(VALU_DEP_1)
	v_or_b32_e32 v7, v7, v9
	v_dual_mov_b32 v9, 0x7e00 :: v_dual_add_nc_u32 v4, v4, v7
	s_delay_alu instid0(VALU_DEP_1) | instskip(SKIP_1) | instid1(VALU_DEP_3)
	v_cndmask_b32_e32 v3, 0x7c00, v9, vcc_lo
	v_cmp_gt_i32_e32 vcc_lo, 31, v6
	v_cndmask_b32_e32 v4, 0x7c00, v4, vcc_lo
	v_cmp_eq_u32_e32 vcc_lo, 0x40f, v6
	s_delay_alu instid0(VALU_DEP_2) | instskip(NEXT) | instid1(VALU_DEP_1)
	v_dual_cndmask_b32 v3, v4, v3 :: v_dual_lshrrev_b32 v4, 16, v5
	v_and_or_b32 v3, 0x8000, v4, v3
	s_branch .LBB190_1270
.LBB190_1268:
	s_mov_b32 s36, -1
                                        ; implicit-def: $vgpr3
	s_branch .LBB190_1273
.LBB190_1269:
	s_mov_b32 s36, -1
                                        ; implicit-def: $vgpr3
.LBB190_1270:
	s_delay_alu instid0(SALU_CYCLE_1)
	s_and_not1_b32 vcc_lo, exec_lo, s36
	s_cbranch_vccnz .LBB190_1272
; %bb.1271:
	s_wait_loadcnt 0x0
	global_load_b32 v3, v[0:1], off
	s_wait_loadcnt 0x0
	v_cvt_f16_f32_e32 v3, v3
.LBB190_1272:
	s_mov_b32 s36, 0
.LBB190_1273:
	s_delay_alu instid0(SALU_CYCLE_1)
	s_and_not1_b32 vcc_lo, exec_lo, s36
	s_cbranch_vccnz .LBB190_1275
; %bb.1274:
	s_wait_loadcnt 0x0
	global_load_u16 v3, v[0:1], off
.LBB190_1275:
	s_mov_b32 s36, 0
.LBB190_1276:
	s_delay_alu instid0(SALU_CYCLE_1)
	s_and_not1_b32 vcc_lo, exec_lo, s36
	s_cbranch_vccnz .LBB190_1296
; %bb.1277:
	s_cmp_lt_i32 s0, 2
	s_cbranch_scc1 .LBB190_1281
; %bb.1278:
	s_cmp_lt_i32 s0, 3
	s_cbranch_scc1 .LBB190_1282
; %bb.1279:
	s_cmp_gt_i32 s0, 3
	s_cbranch_scc0 .LBB190_1283
; %bb.1280:
	s_wait_loadcnt 0x0
	global_load_b64 v[4:5], v[0:1], off
	s_mov_b32 s36, 0
	s_wait_loadcnt 0x0
	v_xor_b32_e32 v3, v4, v5
	v_cls_i32_e32 v6, v5
	s_delay_alu instid0(VALU_DEP_2) | instskip(NEXT) | instid1(VALU_DEP_1)
	v_ashrrev_i32_e32 v3, 31, v3
	v_add_nc_u32_e32 v3, 32, v3
	s_delay_alu instid0(VALU_DEP_1) | instskip(NEXT) | instid1(VALU_DEP_1)
	v_add_min_u32_e64 v3, v6, -1, v3
	v_lshlrev_b64_e32 v[4:5], v3, v[4:5]
	v_sub_nc_u32_e32 v3, 32, v3
	s_delay_alu instid0(VALU_DEP_2) | instskip(NEXT) | instid1(VALU_DEP_1)
	v_min_u32_e32 v4, 1, v4
	v_or_b32_e32 v4, v5, v4
	s_delay_alu instid0(VALU_DEP_1) | instskip(NEXT) | instid1(VALU_DEP_1)
	v_cvt_f32_i32_e32 v4, v4
	v_ldexp_f32 v3, v4, v3
	s_delay_alu instid0(VALU_DEP_1)
	v_cvt_f16_f32_e32 v3, v3
	s_branch .LBB190_1284
.LBB190_1281:
	s_mov_b32 s36, -1
                                        ; implicit-def: $vgpr3
	s_branch .LBB190_1290
.LBB190_1282:
	s_mov_b32 s36, -1
                                        ; implicit-def: $vgpr3
	s_branch .LBB190_1287
.LBB190_1283:
	s_mov_b32 s36, -1
                                        ; implicit-def: $vgpr3
.LBB190_1284:
	s_delay_alu instid0(SALU_CYCLE_1)
	s_and_not1_b32 vcc_lo, exec_lo, s36
	s_cbranch_vccnz .LBB190_1286
; %bb.1285:
	s_wait_loadcnt 0x0
	global_load_b32 v3, v[0:1], off
	s_wait_loadcnt 0x0
	v_cvt_f32_i32_e32 v3, v3
	s_delay_alu instid0(VALU_DEP_1)
	v_cvt_f16_f32_e32 v3, v3
.LBB190_1286:
	s_mov_b32 s36, 0
.LBB190_1287:
	s_delay_alu instid0(SALU_CYCLE_1)
	s_and_not1_b32 vcc_lo, exec_lo, s36
	s_cbranch_vccnz .LBB190_1289
; %bb.1288:
	s_wait_loadcnt 0x0
	global_load_u16 v3, v[0:1], off
	s_wait_loadcnt 0x0
	v_cvt_f16_i16_e32 v3, v3
.LBB190_1289:
	s_mov_b32 s36, 0
.LBB190_1290:
	s_delay_alu instid0(SALU_CYCLE_1)
	s_and_not1_b32 vcc_lo, exec_lo, s36
	s_cbranch_vccnz .LBB190_1296
; %bb.1291:
	s_cmp_gt_i32 s0, 0
	s_mov_b32 s0, 0
	s_cbranch_scc0 .LBB190_1293
; %bb.1292:
	s_wait_loadcnt 0x0
	global_load_i8 v3, v[0:1], off
	s_wait_loadcnt 0x0
	v_cvt_f16_i16_e32 v3, v3
	s_branch .LBB190_1294
.LBB190_1293:
	s_mov_b32 s0, -1
                                        ; implicit-def: $vgpr3
.LBB190_1294:
	s_delay_alu instid0(SALU_CYCLE_1)
	s_and_not1_b32 vcc_lo, exec_lo, s0
	s_cbranch_vccnz .LBB190_1296
; %bb.1295:
	global_load_u8 v0, v[0:1], off
	s_wait_loadcnt 0x0
	v_cvt_f16_u16_e32 v3, v0
.LBB190_1296:
	s_mov_b32 s37, -1
.LBB190_1297:
	s_delay_alu instid0(SALU_CYCLE_1)
	s_and_not1_b32 vcc_lo, exec_lo, s37
	s_cbranch_vccnz .LBB190_1305
; %bb.1298:
	s_wait_xcnt 0x0
	v_mul_lo_u32 v0, v8, s15
	s_and_b32 s0, 0xffff, s16
	s_delay_alu instid0(SALU_CYCLE_1) | instskip(NEXT) | instid1(VALU_DEP_1)
	s_cmp_lt_i32 s0, 11
	v_ashrrev_i32_e32 v1, 31, v0
	s_delay_alu instid0(VALU_DEP_1)
	v_add_nc_u64_e32 v[0:1], s[10:11], v[0:1]
	s_cbranch_scc1 .LBB190_1306
; %bb.1299:
	s_cmp_gt_i32 s0, 25
	s_cbranch_scc0 .LBB190_1307
; %bb.1300:
	s_cmp_gt_i32 s0, 28
	s_cbranch_scc0 .LBB190_1308
	;; [unrolled: 3-line block ×4, first 2 shown]
; %bb.1303:
	s_cmp_eq_u32 s0, 46
	s_mov_b32 s38, 0
	s_cbranch_scc0 .LBB190_1313
; %bb.1304:
	s_wait_loadcnt 0x0
	global_load_b32 v4, v[0:1], off
	s_mov_b32 s37, -1
	s_mov_b32 s36, 0
	s_wait_loadcnt 0x0
	v_lshlrev_b32_e32 v4, 16, v4
	s_delay_alu instid0(VALU_DEP_1)
	v_cvt_f16_f32_e32 v4, v4
	s_branch .LBB190_1315
.LBB190_1305:
	s_mov_b32 s38, 0
	s_mov_b32 s0, s28
	;; [unrolled: 1-line block ×3, first 2 shown]
	s_branch .LBB190_1554
.LBB190_1306:
	s_mov_b32 s38, -1
	s_mov_b32 s37, 0
	s_mov_b32 s36, s29
                                        ; implicit-def: $vgpr4
	s_branch .LBB190_1380
.LBB190_1307:
	s_mov_b32 s38, -1
	s_mov_b32 s37, 0
	s_mov_b32 s36, s29
                                        ; implicit-def: $vgpr4
	s_branch .LBB190_1344
.LBB190_1308:
	s_mov_b32 s38, -1
	s_mov_b32 s37, 0
	s_mov_b32 s36, s29
                                        ; implicit-def: $vgpr4
	s_branch .LBB190_1325
.LBB190_1309:
	s_mov_b32 s38, -1
	s_mov_b32 s37, 0
	s_mov_b32 s36, s29
                                        ; implicit-def: $vgpr4
	s_branch .LBB190_1320
.LBB190_1310:
	s_mov_b32 s38, -1
	s_mov_b32 s37, 0
	s_mov_b32 s36, s29
	s_branch .LBB190_1314
.LBB190_1311:
	s_and_not1_saveexec_b32 s36, s36
	s_cbranch_execz .LBB190_956
.LBB190_1312:
	v_add_f32_e64 v4, 0x42800000, |v2|
	s_and_not1_b32 s35, s35, exec_lo
	s_delay_alu instid0(VALU_DEP_1) | instskip(NEXT) | instid1(VALU_DEP_1)
	v_and_b32_e32 v4, 0xff, v4
	v_cmp_ne_u32_e32 vcc_lo, 0, v4
	s_and_b32 s37, vcc_lo, exec_lo
	s_delay_alu instid0(SALU_CYCLE_1)
	s_or_b32 s35, s35, s37
	s_or_b32 exec_lo, exec_lo, s36
	v_mov_b32_e32 v5, 0
	s_and_saveexec_b32 s36, s35
	s_cbranch_execnz .LBB190_957
	s_branch .LBB190_958
.LBB190_1313:
	s_mov_b32 s36, -1
	s_mov_b32 s37, 0
.LBB190_1314:
                                        ; implicit-def: $vgpr4
.LBB190_1315:
	s_and_b32 vcc_lo, exec_lo, s38
	s_cbranch_vccz .LBB190_1319
; %bb.1316:
	s_cmp_eq_u32 s0, 44
	s_cbranch_scc0 .LBB190_1318
; %bb.1317:
	s_wait_loadcnt 0x0
	global_load_u8 v4, v[0:1], off
	s_mov_b32 s36, 0
	s_mov_b32 s37, -1
	s_wait_loadcnt 0x0
	v_lshlrev_b32_e32 v5, 23, v4
	v_cmp_ne_u32_e32 vcc_lo, 0xff, v4
	s_delay_alu instid0(VALU_DEP_2) | instskip(NEXT) | instid1(VALU_DEP_1)
	v_cvt_f16_f32_e32 v5, v5
	v_cndmask_b32_e32 v5, 0x7e00, v5, vcc_lo
	v_cmp_ne_u32_e32 vcc_lo, 0, v4
	s_delay_alu instid0(VALU_DEP_2)
	v_cndmask_b32_e32 v4, 0, v5, vcc_lo
	s_branch .LBB190_1319
.LBB190_1318:
	s_mov_b32 s36, -1
                                        ; implicit-def: $vgpr4
.LBB190_1319:
	s_mov_b32 s38, 0
.LBB190_1320:
	s_delay_alu instid0(SALU_CYCLE_1)
	s_and_b32 vcc_lo, exec_lo, s38
	s_cbranch_vccz .LBB190_1324
; %bb.1321:
	s_cmp_eq_u32 s0, 29
	s_cbranch_scc0 .LBB190_1323
; %bb.1322:
	s_wait_loadcnt 0x0
	global_load_b64 v[4:5], v[0:1], off
	s_mov_b32 s37, -1
	s_mov_b32 s36, 0
	s_mov_b32 s38, 0
	s_wait_loadcnt 0x0
	v_clz_i32_u32_e32 v6, v5
	s_delay_alu instid0(VALU_DEP_1) | instskip(NEXT) | instid1(VALU_DEP_1)
	v_min_u32_e32 v6, 32, v6
	v_lshlrev_b64_e32 v[4:5], v6, v[4:5]
	s_delay_alu instid0(VALU_DEP_1) | instskip(NEXT) | instid1(VALU_DEP_1)
	v_min_u32_e32 v4, 1, v4
	v_dual_sub_nc_u32 v5, 32, v6 :: v_dual_bitop2_b32 v4, v5, v4 bitop3:0x54
	s_delay_alu instid0(VALU_DEP_1) | instskip(NEXT) | instid1(VALU_DEP_1)
	v_cvt_f32_u32_e32 v4, v4
	v_ldexp_f32 v4, v4, v5
	s_delay_alu instid0(VALU_DEP_1)
	v_cvt_f16_f32_e32 v4, v4
	s_branch .LBB190_1325
.LBB190_1323:
	s_mov_b32 s36, -1
                                        ; implicit-def: $vgpr4
.LBB190_1324:
	s_mov_b32 s38, 0
.LBB190_1325:
	s_delay_alu instid0(SALU_CYCLE_1)
	s_and_b32 vcc_lo, exec_lo, s38
	s_cbranch_vccz .LBB190_1343
; %bb.1326:
	s_cmp_lt_i32 s0, 27
	s_cbranch_scc1 .LBB190_1329
; %bb.1327:
	s_cmp_gt_i32 s0, 27
	s_cbranch_scc0 .LBB190_1330
; %bb.1328:
	s_wait_loadcnt 0x0
	global_load_b32 v4, v[0:1], off
	s_mov_b32 s37, 0
	s_wait_loadcnt 0x0
	v_cvt_f32_u32_e32 v4, v4
	s_delay_alu instid0(VALU_DEP_1)
	v_cvt_f16_f32_e32 v4, v4
	s_branch .LBB190_1331
.LBB190_1329:
	s_mov_b32 s37, -1
                                        ; implicit-def: $vgpr4
	s_branch .LBB190_1334
.LBB190_1330:
	s_mov_b32 s37, -1
                                        ; implicit-def: $vgpr4
.LBB190_1331:
	s_delay_alu instid0(SALU_CYCLE_1)
	s_and_not1_b32 vcc_lo, exec_lo, s37
	s_cbranch_vccnz .LBB190_1333
; %bb.1332:
	s_wait_loadcnt 0x0
	global_load_u16 v4, v[0:1], off
	s_wait_loadcnt 0x0
	v_cvt_f16_u16_e32 v4, v4
.LBB190_1333:
	s_mov_b32 s37, 0
.LBB190_1334:
	s_delay_alu instid0(SALU_CYCLE_1)
	s_and_not1_b32 vcc_lo, exec_lo, s37
	s_cbranch_vccnz .LBB190_1342
; %bb.1335:
	global_load_u8 v5, v[0:1], off
	s_mov_b32 s37, 0
	s_mov_b32 s38, exec_lo
	s_wait_loadcnt 0x0
	v_cmpx_lt_i16_e32 0x7f, v5
	s_xor_b32 s38, exec_lo, s38
	s_cbranch_execz .LBB190_1356
; %bb.1336:
	s_mov_b32 s37, -1
	s_mov_b32 s39, exec_lo
	v_cmpx_eq_u16_e32 0x80, v5
; %bb.1337:
	s_xor_b32 s37, exec_lo, -1
; %bb.1338:
	s_or_b32 exec_lo, exec_lo, s39
	s_delay_alu instid0(SALU_CYCLE_1)
	s_and_b32 s37, s37, exec_lo
	s_or_saveexec_b32 s38, s38
	v_mov_b32_e32 v4, 0x7e00
	s_xor_b32 exec_lo, exec_lo, s38
	s_cbranch_execnz .LBB190_1357
.LBB190_1339:
	s_or_b32 exec_lo, exec_lo, s38
	s_and_saveexec_b32 s38, s37
	s_cbranch_execz .LBB190_1341
.LBB190_1340:
	v_and_b32_e32 v4, 0xffff, v5
	s_delay_alu instid0(VALU_DEP_1) | instskip(SKIP_1) | instid1(VALU_DEP_2)
	v_and_b32_e32 v6, 7, v4
	v_bfe_u32 v10, v4, 3, 4
	v_clz_i32_u32_e32 v7, v6
	s_delay_alu instid0(VALU_DEP_2) | instskip(NEXT) | instid1(VALU_DEP_2)
	v_cmp_eq_u32_e32 vcc_lo, 0, v10
	v_min_u32_e32 v7, 32, v7
	s_delay_alu instid0(VALU_DEP_1) | instskip(NEXT) | instid1(VALU_DEP_1)
	v_subrev_nc_u32_e32 v9, 28, v7
	v_dual_lshlrev_b32 v4, v9, v4 :: v_dual_sub_nc_u32 v7, 29, v7
	s_delay_alu instid0(VALU_DEP_1) | instskip(NEXT) | instid1(VALU_DEP_2)
	v_dual_lshlrev_b32 v5, 24, v5 :: v_dual_bitop2_b32 v4, 7, v4 bitop3:0x40
	v_cndmask_b32_e32 v7, v10, v7, vcc_lo
	s_delay_alu instid0(VALU_DEP_2) | instskip(NEXT) | instid1(VALU_DEP_3)
	v_cndmask_b32_e32 v4, v6, v4, vcc_lo
	v_and_b32_e32 v5, 0x80000000, v5
	s_delay_alu instid0(VALU_DEP_3) | instskip(NEXT) | instid1(VALU_DEP_3)
	v_lshl_add_u32 v6, v7, 23, 0x3b800000
	v_lshlrev_b32_e32 v4, 20, v4
	s_delay_alu instid0(VALU_DEP_1) | instskip(NEXT) | instid1(VALU_DEP_1)
	v_or3_b32 v4, v5, v6, v4
	v_cvt_f16_f32_e32 v4, v4
.LBB190_1341:
	s_or_b32 exec_lo, exec_lo, s38
.LBB190_1342:
	s_mov_b32 s37, -1
.LBB190_1343:
	s_mov_b32 s38, 0
.LBB190_1344:
	s_delay_alu instid0(SALU_CYCLE_1)
	s_and_b32 vcc_lo, exec_lo, s38
	s_cbranch_vccz .LBB190_1379
; %bb.1345:
	s_cmp_gt_i32 s0, 22
	s_cbranch_scc0 .LBB190_1355
; %bb.1346:
	s_cmp_lt_i32 s0, 24
	s_cbranch_scc1 .LBB190_1358
; %bb.1347:
	s_cmp_gt_i32 s0, 24
	s_cbranch_scc0 .LBB190_1359
; %bb.1348:
	global_load_u8 v5, v[0:1], off
	s_mov_b32 s37, 0
	s_mov_b32 s38, exec_lo
	s_wait_loadcnt 0x0
	v_cmpx_lt_i16_e32 0x7f, v5
	s_xor_b32 s38, exec_lo, s38
	s_cbranch_execz .LBB190_1371
; %bb.1349:
	s_mov_b32 s37, -1
	s_mov_b32 s39, exec_lo
	v_cmpx_eq_u16_e32 0x80, v5
; %bb.1350:
	s_xor_b32 s37, exec_lo, -1
; %bb.1351:
	s_or_b32 exec_lo, exec_lo, s39
	s_delay_alu instid0(SALU_CYCLE_1)
	s_and_b32 s37, s37, exec_lo
	s_or_saveexec_b32 s38, s38
	v_mov_b32_e32 v4, 0x7e00
	s_xor_b32 exec_lo, exec_lo, s38
	s_cbranch_execnz .LBB190_1372
.LBB190_1352:
	s_or_b32 exec_lo, exec_lo, s38
	s_and_saveexec_b32 s38, s37
	s_cbranch_execz .LBB190_1354
.LBB190_1353:
	v_and_b32_e32 v4, 0xffff, v5
	s_delay_alu instid0(VALU_DEP_1) | instskip(SKIP_1) | instid1(VALU_DEP_2)
	v_and_b32_e32 v6, 3, v4
	v_bfe_u32 v10, v4, 2, 5
	v_clz_i32_u32_e32 v7, v6
	s_delay_alu instid0(VALU_DEP_2) | instskip(NEXT) | instid1(VALU_DEP_2)
	v_cmp_eq_u32_e32 vcc_lo, 0, v10
	v_min_u32_e32 v7, 32, v7
	s_delay_alu instid0(VALU_DEP_1) | instskip(NEXT) | instid1(VALU_DEP_1)
	v_subrev_nc_u32_e32 v9, 29, v7
	v_dual_lshlrev_b32 v4, v9, v4 :: v_dual_sub_nc_u32 v7, 30, v7
	s_delay_alu instid0(VALU_DEP_1) | instskip(NEXT) | instid1(VALU_DEP_2)
	v_dual_lshlrev_b32 v5, 24, v5 :: v_dual_bitop2_b32 v4, 3, v4 bitop3:0x40
	v_cndmask_b32_e32 v7, v10, v7, vcc_lo
	s_delay_alu instid0(VALU_DEP_2) | instskip(NEXT) | instid1(VALU_DEP_3)
	v_cndmask_b32_e32 v4, v6, v4, vcc_lo
	v_and_b32_e32 v5, 0x80000000, v5
	s_delay_alu instid0(VALU_DEP_3) | instskip(NEXT) | instid1(VALU_DEP_3)
	v_lshl_add_u32 v6, v7, 23, 0x37800000
	v_lshlrev_b32_e32 v4, 21, v4
	s_delay_alu instid0(VALU_DEP_1) | instskip(NEXT) | instid1(VALU_DEP_1)
	v_or3_b32 v4, v5, v6, v4
	v_cvt_f16_f32_e32 v4, v4
.LBB190_1354:
	s_or_b32 exec_lo, exec_lo, s38
	s_mov_b32 s37, 0
	s_branch .LBB190_1360
.LBB190_1355:
	s_mov_b32 s38, -1
                                        ; implicit-def: $vgpr4
	s_branch .LBB190_1366
.LBB190_1356:
	s_or_saveexec_b32 s38, s38
	v_mov_b32_e32 v4, 0x7e00
	s_xor_b32 exec_lo, exec_lo, s38
	s_cbranch_execz .LBB190_1339
.LBB190_1357:
	v_cmp_ne_u16_e32 vcc_lo, 0, v5
	v_mov_b32_e32 v4, v5
	s_and_not1_b32 s37, s37, exec_lo
	s_and_b32 s39, vcc_lo, exec_lo
	s_delay_alu instid0(SALU_CYCLE_1)
	s_or_b32 s37, s37, s39
	s_or_b32 exec_lo, exec_lo, s38
	s_and_saveexec_b32 s38, s37
	s_cbranch_execnz .LBB190_1340
	s_branch .LBB190_1341
.LBB190_1358:
	s_mov_b32 s37, -1
                                        ; implicit-def: $vgpr4
	s_branch .LBB190_1363
.LBB190_1359:
	s_mov_b32 s37, -1
                                        ; implicit-def: $vgpr4
.LBB190_1360:
	s_delay_alu instid0(SALU_CYCLE_1)
	s_and_b32 vcc_lo, exec_lo, s37
	s_cbranch_vccz .LBB190_1362
; %bb.1361:
	s_wait_loadcnt 0x0
	global_load_u8 v4, v[0:1], off
	s_wait_loadcnt 0x0
	v_lshlrev_b32_e32 v4, 24, v4
	s_delay_alu instid0(VALU_DEP_1) | instskip(NEXT) | instid1(VALU_DEP_1)
	v_and_b32_e32 v5, 0x7f000000, v4
	v_clz_i32_u32_e32 v6, v5
	v_add_nc_u32_e32 v9, 0x1000000, v5
	v_cmp_ne_u32_e32 vcc_lo, 0, v5
	s_delay_alu instid0(VALU_DEP_3) | instskip(NEXT) | instid1(VALU_DEP_1)
	v_min_u32_e32 v6, 32, v6
	v_sub_nc_u32_e64 v6, v6, 4 clamp
	s_delay_alu instid0(VALU_DEP_1) | instskip(NEXT) | instid1(VALU_DEP_1)
	v_dual_lshlrev_b32 v7, v6, v5 :: v_dual_lshlrev_b32 v6, 23, v6
	v_lshrrev_b32_e32 v7, 4, v7
	s_delay_alu instid0(VALU_DEP_1) | instskip(NEXT) | instid1(VALU_DEP_1)
	v_dual_sub_nc_u32 v6, v7, v6 :: v_dual_ashrrev_i32 v7, 8, v9
	v_add_nc_u32_e32 v6, 0x3c000000, v6
	s_delay_alu instid0(VALU_DEP_1) | instskip(NEXT) | instid1(VALU_DEP_1)
	v_and_or_b32 v6, 0x7f800000, v7, v6
	v_cndmask_b32_e32 v5, 0, v6, vcc_lo
	s_delay_alu instid0(VALU_DEP_1) | instskip(NEXT) | instid1(VALU_DEP_1)
	v_and_or_b32 v4, 0x80000000, v4, v5
	v_cvt_f16_f32_e32 v4, v4
.LBB190_1362:
	s_mov_b32 s37, 0
.LBB190_1363:
	s_delay_alu instid0(SALU_CYCLE_1)
	s_and_not1_b32 vcc_lo, exec_lo, s37
	s_cbranch_vccnz .LBB190_1365
; %bb.1364:
	s_wait_loadcnt 0x0
	global_load_u8 v4, v[0:1], off
	s_wait_loadcnt 0x0
	v_lshlrev_b32_e32 v5, 25, v4
	v_lshlrev_b16 v4, 8, v4
	s_delay_alu instid0(VALU_DEP_1) | instskip(SKIP_1) | instid1(VALU_DEP_2)
	v_and_or_b32 v7, 0x7f00, v4, 0.5
	v_bfe_i32 v4, v4, 0, 16
	v_dual_add_f32 v7, -0.5, v7 :: v_dual_lshrrev_b32 v6, 4, v5
	v_cmp_gt_u32_e32 vcc_lo, 0x8000000, v5
	s_delay_alu instid0(VALU_DEP_2) | instskip(NEXT) | instid1(VALU_DEP_1)
	v_or_b32_e32 v6, 0x70000000, v6
	v_mul_f32_e32 v6, 0x7800000, v6
	s_delay_alu instid0(VALU_DEP_1) | instskip(NEXT) | instid1(VALU_DEP_1)
	v_cndmask_b32_e32 v5, v6, v7, vcc_lo
	v_and_or_b32 v4, 0x80000000, v4, v5
	s_delay_alu instid0(VALU_DEP_1)
	v_cvt_f16_f32_e32 v4, v4
.LBB190_1365:
	s_mov_b32 s38, 0
	s_mov_b32 s37, -1
.LBB190_1366:
	s_and_not1_b32 vcc_lo, exec_lo, s38
	s_cbranch_vccnz .LBB190_1379
; %bb.1367:
	s_cmp_gt_i32 s0, 14
	s_cbranch_scc0 .LBB190_1370
; %bb.1368:
	s_cmp_eq_u32 s0, 15
	s_cbranch_scc0 .LBB190_1373
; %bb.1369:
	s_wait_loadcnt 0x0
	global_load_u16 v4, v[0:1], off
	s_mov_b32 s37, -1
	s_mov_b32 s36, 0
	s_wait_loadcnt 0x0
	v_lshlrev_b32_e32 v4, 16, v4
	s_delay_alu instid0(VALU_DEP_1)
	v_cvt_f16_f32_e32 v4, v4
	s_branch .LBB190_1374
.LBB190_1370:
	s_mov_b32 s38, -1
                                        ; implicit-def: $vgpr4
	s_branch .LBB190_1375
.LBB190_1371:
	s_or_saveexec_b32 s38, s38
	v_mov_b32_e32 v4, 0x7e00
	s_xor_b32 exec_lo, exec_lo, s38
	s_cbranch_execz .LBB190_1352
.LBB190_1372:
	v_cmp_ne_u16_e32 vcc_lo, 0, v5
	v_mov_b32_e32 v4, v5
	s_and_not1_b32 s37, s37, exec_lo
	s_and_b32 s39, vcc_lo, exec_lo
	s_delay_alu instid0(SALU_CYCLE_1)
	s_or_b32 s37, s37, s39
	s_or_b32 exec_lo, exec_lo, s38
	s_and_saveexec_b32 s38, s37
	s_cbranch_execnz .LBB190_1353
	s_branch .LBB190_1354
.LBB190_1373:
	s_mov_b32 s36, -1
                                        ; implicit-def: $vgpr4
.LBB190_1374:
	s_mov_b32 s38, 0
.LBB190_1375:
	s_delay_alu instid0(SALU_CYCLE_1)
	s_and_b32 vcc_lo, exec_lo, s38
	s_cbranch_vccz .LBB190_1379
; %bb.1376:
	s_cmp_eq_u32 s0, 11
	s_cbranch_scc0 .LBB190_1378
; %bb.1377:
	s_wait_loadcnt 0x0
	global_load_u8 v4, v[0:1], off
	s_mov_b32 s36, 0
	s_mov_b32 s37, -1
	s_wait_loadcnt 0x0
	v_cmp_ne_u16_e32 vcc_lo, 0, v4
	v_cndmask_b32_e64 v4, 0, 0x3c00, vcc_lo
	s_branch .LBB190_1379
.LBB190_1378:
	s_mov_b32 s36, -1
                                        ; implicit-def: $vgpr4
.LBB190_1379:
	s_mov_b32 s38, 0
.LBB190_1380:
	s_delay_alu instid0(SALU_CYCLE_1)
	s_and_b32 vcc_lo, exec_lo, s38
	s_cbranch_vccz .LBB190_1429
; %bb.1381:
	s_cmp_lt_i32 s0, 5
	s_cbranch_scc1 .LBB190_1386
; %bb.1382:
	s_cmp_lt_i32 s0, 8
	s_cbranch_scc1 .LBB190_1387
	;; [unrolled: 3-line block ×3, first 2 shown]
; %bb.1384:
	s_cmp_gt_i32 s0, 9
	s_cbranch_scc0 .LBB190_1389
; %bb.1385:
	s_wait_loadcnt 0x0
	global_load_b64 v[4:5], v[0:1], off
	s_mov_b32 s37, 0
	s_wait_loadcnt 0x0
	v_and_or_b32 v4, 0x1ff, v5, v4
	v_lshrrev_b32_e32 v6, 8, v5
	v_bfe_u32 v7, v5, 20, 11
	v_lshrrev_b32_e32 v5, 16, v5
	s_delay_alu instid0(VALU_DEP_4) | instskip(NEXT) | instid1(VALU_DEP_3)
	v_cmp_ne_u32_e32 vcc_lo, 0, v4
	v_sub_nc_u32_e32 v9, 0x3f1, v7
	v_add_nc_u32_e32 v7, 0xfffffc10, v7
	v_cndmask_b32_e64 v4, 0, 1, vcc_lo
	s_delay_alu instid0(VALU_DEP_1) | instskip(NEXT) | instid1(VALU_DEP_4)
	v_and_or_b32 v4, 0xffe, v6, v4
	v_med3_i32 v6, v9, 0, 13
	s_delay_alu instid0(VALU_DEP_2) | instskip(NEXT) | instid1(VALU_DEP_1)
	v_or_b32_e32 v9, 0x1000, v4
	v_lshrrev_b32_e32 v10, v6, v9
	s_delay_alu instid0(VALU_DEP_1) | instskip(NEXT) | instid1(VALU_DEP_1)
	v_lshlrev_b32_e32 v6, v6, v10
	v_cmp_ne_u32_e32 vcc_lo, v6, v9
	v_lshl_or_b32 v9, v7, 12, v4
	v_cndmask_b32_e64 v6, 0, 1, vcc_lo
	v_cmp_gt_i32_e32 vcc_lo, 1, v7
	s_delay_alu instid0(VALU_DEP_2) | instskip(NEXT) | instid1(VALU_DEP_1)
	v_or_b32_e32 v6, v10, v6
	v_cndmask_b32_e32 v6, v9, v6, vcc_lo
	s_delay_alu instid0(VALU_DEP_1) | instskip(NEXT) | instid1(VALU_DEP_1)
	v_dual_lshrrev_b32 v6, 2, v6 :: v_dual_bitop2_b32 v9, 7, v6 bitop3:0x40
	v_cmp_lt_i32_e32 vcc_lo, 5, v9
	v_cndmask_b32_e64 v10, 0, 1, vcc_lo
	v_cmp_eq_u32_e32 vcc_lo, 3, v9
	v_cndmask_b32_e64 v9, 0, 1, vcc_lo
	v_cmp_ne_u32_e32 vcc_lo, 0, v4
	s_delay_alu instid0(VALU_DEP_2) | instskip(SKIP_1) | instid1(VALU_DEP_2)
	v_or_b32_e32 v9, v9, v10
	v_mov_b32_e32 v10, 0x7e00
	v_add_nc_u32_e32 v6, v6, v9
	s_delay_alu instid0(VALU_DEP_2) | instskip(SKIP_1) | instid1(VALU_DEP_3)
	v_cndmask_b32_e32 v4, 0x7c00, v10, vcc_lo
	v_cmp_gt_i32_e32 vcc_lo, 31, v7
	v_cndmask_b32_e32 v6, 0x7c00, v6, vcc_lo
	v_cmp_eq_u32_e32 vcc_lo, 0x40f, v7
	s_delay_alu instid0(VALU_DEP_2) | instskip(NEXT) | instid1(VALU_DEP_1)
	v_cndmask_b32_e32 v4, v6, v4, vcc_lo
	v_and_or_b32 v4, 0x8000, v5, v4
	s_branch .LBB190_1390
.LBB190_1386:
	s_mov_b32 s37, -1
                                        ; implicit-def: $vgpr4
	s_branch .LBB190_1408
.LBB190_1387:
	s_mov_b32 s37, -1
                                        ; implicit-def: $vgpr4
	s_branch .LBB190_1396
.LBB190_1388:
	s_mov_b32 s37, -1
                                        ; implicit-def: $vgpr4
	s_branch .LBB190_1393
.LBB190_1389:
	s_mov_b32 s37, -1
                                        ; implicit-def: $vgpr4
.LBB190_1390:
	s_delay_alu instid0(SALU_CYCLE_1)
	s_and_not1_b32 vcc_lo, exec_lo, s37
	s_cbranch_vccnz .LBB190_1392
; %bb.1391:
	s_wait_loadcnt 0x0
	global_load_b32 v4, v[0:1], off
	s_wait_loadcnt 0x0
	v_cvt_f16_f32_e32 v4, v4
.LBB190_1392:
	s_mov_b32 s37, 0
.LBB190_1393:
	s_delay_alu instid0(SALU_CYCLE_1)
	s_and_not1_b32 vcc_lo, exec_lo, s37
	s_cbranch_vccnz .LBB190_1395
; %bb.1394:
	s_wait_loadcnt 0x0
	global_load_b32 v4, v[0:1], off
.LBB190_1395:
	s_mov_b32 s37, 0
.LBB190_1396:
	s_delay_alu instid0(SALU_CYCLE_1)
	s_and_not1_b32 vcc_lo, exec_lo, s37
	s_cbranch_vccnz .LBB190_1407
; %bb.1397:
	s_cmp_lt_i32 s0, 6
	s_cbranch_scc1 .LBB190_1400
; %bb.1398:
	s_cmp_gt_i32 s0, 6
	s_cbranch_scc0 .LBB190_1401
; %bb.1399:
	s_wait_loadcnt 0x0
	global_load_b64 v[4:5], v[0:1], off
	s_mov_b32 s37, 0
	s_wait_loadcnt 0x0
	v_and_or_b32 v4, 0x1ff, v5, v4
	v_lshrrev_b32_e32 v6, 8, v5
	v_bfe_u32 v7, v5, 20, 11
	v_lshrrev_b32_e32 v5, 16, v5
	s_delay_alu instid0(VALU_DEP_4) | instskip(NEXT) | instid1(VALU_DEP_3)
	v_cmp_ne_u32_e32 vcc_lo, 0, v4
	v_sub_nc_u32_e32 v9, 0x3f1, v7
	v_add_nc_u32_e32 v7, 0xfffffc10, v7
	v_cndmask_b32_e64 v4, 0, 1, vcc_lo
	s_delay_alu instid0(VALU_DEP_1) | instskip(NEXT) | instid1(VALU_DEP_4)
	v_and_or_b32 v4, 0xffe, v6, v4
	v_med3_i32 v6, v9, 0, 13
	s_delay_alu instid0(VALU_DEP_2) | instskip(NEXT) | instid1(VALU_DEP_1)
	v_or_b32_e32 v9, 0x1000, v4
	v_lshrrev_b32_e32 v10, v6, v9
	s_delay_alu instid0(VALU_DEP_1) | instskip(NEXT) | instid1(VALU_DEP_1)
	v_lshlrev_b32_e32 v6, v6, v10
	v_cmp_ne_u32_e32 vcc_lo, v6, v9
	v_lshl_or_b32 v9, v7, 12, v4
	v_cndmask_b32_e64 v6, 0, 1, vcc_lo
	v_cmp_gt_i32_e32 vcc_lo, 1, v7
	s_delay_alu instid0(VALU_DEP_2) | instskip(NEXT) | instid1(VALU_DEP_1)
	v_or_b32_e32 v6, v10, v6
	v_cndmask_b32_e32 v6, v9, v6, vcc_lo
	s_delay_alu instid0(VALU_DEP_1) | instskip(NEXT) | instid1(VALU_DEP_1)
	v_dual_lshrrev_b32 v6, 2, v6 :: v_dual_bitop2_b32 v9, 7, v6 bitop3:0x40
	v_cmp_lt_i32_e32 vcc_lo, 5, v9
	v_cndmask_b32_e64 v10, 0, 1, vcc_lo
	v_cmp_eq_u32_e32 vcc_lo, 3, v9
	v_cndmask_b32_e64 v9, 0, 1, vcc_lo
	v_cmp_ne_u32_e32 vcc_lo, 0, v4
	s_delay_alu instid0(VALU_DEP_2) | instskip(SKIP_1) | instid1(VALU_DEP_2)
	v_or_b32_e32 v9, v9, v10
	v_mov_b32_e32 v10, 0x7e00
	v_add_nc_u32_e32 v6, v6, v9
	s_delay_alu instid0(VALU_DEP_2) | instskip(SKIP_1) | instid1(VALU_DEP_3)
	v_cndmask_b32_e32 v4, 0x7c00, v10, vcc_lo
	v_cmp_gt_i32_e32 vcc_lo, 31, v7
	v_cndmask_b32_e32 v6, 0x7c00, v6, vcc_lo
	v_cmp_eq_u32_e32 vcc_lo, 0x40f, v7
	s_delay_alu instid0(VALU_DEP_2) | instskip(NEXT) | instid1(VALU_DEP_1)
	v_cndmask_b32_e32 v4, v6, v4, vcc_lo
	v_and_or_b32 v4, 0x8000, v5, v4
	s_branch .LBB190_1402
.LBB190_1400:
	s_mov_b32 s37, -1
                                        ; implicit-def: $vgpr4
	s_branch .LBB190_1405
.LBB190_1401:
	s_mov_b32 s37, -1
                                        ; implicit-def: $vgpr4
.LBB190_1402:
	s_delay_alu instid0(SALU_CYCLE_1)
	s_and_not1_b32 vcc_lo, exec_lo, s37
	s_cbranch_vccnz .LBB190_1404
; %bb.1403:
	s_wait_loadcnt 0x0
	global_load_b32 v4, v[0:1], off
	s_wait_loadcnt 0x0
	v_cvt_f16_f32_e32 v4, v4
.LBB190_1404:
	s_mov_b32 s37, 0
.LBB190_1405:
	s_delay_alu instid0(SALU_CYCLE_1)
	s_and_not1_b32 vcc_lo, exec_lo, s37
	s_cbranch_vccnz .LBB190_1407
; %bb.1406:
	s_wait_loadcnt 0x0
	global_load_u16 v4, v[0:1], off
.LBB190_1407:
	s_mov_b32 s37, 0
.LBB190_1408:
	s_delay_alu instid0(SALU_CYCLE_1)
	s_and_not1_b32 vcc_lo, exec_lo, s37
	s_cbranch_vccnz .LBB190_1428
; %bb.1409:
	s_cmp_lt_i32 s0, 2
	s_cbranch_scc1 .LBB190_1413
; %bb.1410:
	s_cmp_lt_i32 s0, 3
	s_cbranch_scc1 .LBB190_1414
; %bb.1411:
	s_cmp_gt_i32 s0, 3
	s_cbranch_scc0 .LBB190_1415
; %bb.1412:
	s_wait_loadcnt 0x0
	global_load_b64 v[4:5], v[0:1], off
	s_mov_b32 s37, 0
	s_wait_loadcnt 0x0
	v_xor_b32_e32 v6, v4, v5
	v_cls_i32_e32 v7, v5
	s_delay_alu instid0(VALU_DEP_2) | instskip(NEXT) | instid1(VALU_DEP_1)
	v_ashrrev_i32_e32 v6, 31, v6
	v_add_nc_u32_e32 v6, 32, v6
	s_delay_alu instid0(VALU_DEP_1) | instskip(NEXT) | instid1(VALU_DEP_1)
	v_add_min_u32_e64 v6, v7, -1, v6
	v_lshlrev_b64_e32 v[4:5], v6, v[4:5]
	s_delay_alu instid0(VALU_DEP_1) | instskip(NEXT) | instid1(VALU_DEP_1)
	v_min_u32_e32 v4, 1, v4
	v_dual_sub_nc_u32 v5, 32, v6 :: v_dual_bitop2_b32 v4, v5, v4 bitop3:0x54
	s_delay_alu instid0(VALU_DEP_1) | instskip(NEXT) | instid1(VALU_DEP_1)
	v_cvt_f32_i32_e32 v4, v4
	v_ldexp_f32 v4, v4, v5
	s_delay_alu instid0(VALU_DEP_1)
	v_cvt_f16_f32_e32 v4, v4
	s_branch .LBB190_1416
.LBB190_1413:
	s_mov_b32 s37, -1
                                        ; implicit-def: $vgpr4
	s_branch .LBB190_1422
.LBB190_1414:
	s_mov_b32 s37, -1
                                        ; implicit-def: $vgpr4
	s_branch .LBB190_1419
.LBB190_1415:
	s_mov_b32 s37, -1
                                        ; implicit-def: $vgpr4
.LBB190_1416:
	s_delay_alu instid0(SALU_CYCLE_1)
	s_and_not1_b32 vcc_lo, exec_lo, s37
	s_cbranch_vccnz .LBB190_1418
; %bb.1417:
	s_wait_loadcnt 0x0
	global_load_b32 v4, v[0:1], off
	s_wait_loadcnt 0x0
	v_cvt_f32_i32_e32 v4, v4
	s_delay_alu instid0(VALU_DEP_1)
	v_cvt_f16_f32_e32 v4, v4
.LBB190_1418:
	s_mov_b32 s37, 0
.LBB190_1419:
	s_delay_alu instid0(SALU_CYCLE_1)
	s_and_not1_b32 vcc_lo, exec_lo, s37
	s_cbranch_vccnz .LBB190_1421
; %bb.1420:
	s_wait_loadcnt 0x0
	global_load_u16 v4, v[0:1], off
	s_wait_loadcnt 0x0
	v_cvt_f16_i16_e32 v4, v4
.LBB190_1421:
	s_mov_b32 s37, 0
.LBB190_1422:
	s_delay_alu instid0(SALU_CYCLE_1)
	s_and_not1_b32 vcc_lo, exec_lo, s37
	s_cbranch_vccnz .LBB190_1428
; %bb.1423:
	s_cmp_gt_i32 s0, 0
	s_mov_b32 s0, 0
	s_cbranch_scc0 .LBB190_1425
; %bb.1424:
	s_wait_loadcnt 0x0
	global_load_i8 v4, v[0:1], off
	s_wait_loadcnt 0x0
	v_cvt_f16_i16_e32 v4, v4
	s_branch .LBB190_1426
.LBB190_1425:
	s_mov_b32 s0, -1
                                        ; implicit-def: $vgpr4
.LBB190_1426:
	s_delay_alu instid0(SALU_CYCLE_1)
	s_and_not1_b32 vcc_lo, exec_lo, s0
	s_cbranch_vccnz .LBB190_1428
; %bb.1427:
	global_load_u8 v0, v[0:1], off
	s_wait_loadcnt 0x0
	v_cvt_f16_u16_e32 v4, v0
.LBB190_1428:
	s_mov_b32 s37, -1
.LBB190_1429:
	s_delay_alu instid0(SALU_CYCLE_1)
	s_and_not1_b32 vcc_lo, exec_lo, s37
	s_cbranch_vccnz .LBB190_1437
; %bb.1430:
	s_wait_xcnt 0x0
	v_mul_lo_u32 v0, v8, s12
	s_wait_loadcnt 0x0
	v_mul_f16_e32 v3, s1, v3
	s_and_b32 s37, s3, 0xff
	s_delay_alu instid0(SALU_CYCLE_1) | instskip(NEXT) | instid1(VALU_DEP_1)
	s_cmp_lt_i32 s37, 11
	v_mul_f16_e32 v3, v3, v4
	s_delay_alu instid0(VALU_DEP_1) | instskip(NEXT) | instid1(VALU_DEP_4)
	v_fmac_f16_e32 v3, s2, v2
	v_ashrrev_i32_e32 v1, 31, v0
	s_delay_alu instid0(VALU_DEP_1)
	v_add_nc_u64_e32 v[0:1], s[4:5], v[0:1]
	s_cbranch_scc1 .LBB190_1438
; %bb.1431:
	s_and_b32 s38, 0xffff, s37
	s_delay_alu instid0(SALU_CYCLE_1)
	s_cmp_gt_i32 s38, 25
	s_cbranch_scc0 .LBB190_1439
; %bb.1432:
	s_cmp_gt_i32 s38, 28
	s_cbranch_scc0 .LBB190_1440
; %bb.1433:
	;; [unrolled: 3-line block ×4, first 2 shown]
	s_mov_b32 s40, 0
	s_mov_b32 s0, -1
	s_cmp_eq_u32 s38, 46
	s_mov_b32 s39, 0
	s_cbranch_scc0 .LBB190_1443
; %bb.1436:
	v_cvt_f32_f16_e32 v2, v3
	v_cmp_o_f16_e32 vcc_lo, v3, v3
	s_mov_b32 s39, -1
	s_mov_b32 s0, 0
	s_delay_alu instid0(VALU_DEP_2) | instskip(NEXT) | instid1(VALU_DEP_1)
	v_bfe_u32 v4, v2, 16, 1
	v_add3_u32 v2, v2, v4, 0x7fff
	s_delay_alu instid0(VALU_DEP_1) | instskip(NEXT) | instid1(VALU_DEP_1)
	v_lshrrev_b32_e32 v2, 16, v2
	v_cndmask_b32_e32 v2, 0x7fc0, v2, vcc_lo
	global_store_b32 v[0:1], v2, off
	s_branch .LBB190_1443
.LBB190_1437:
	s_mov_b32 s38, 0
	s_mov_b32 s0, s28
	s_branch .LBB190_1554
.LBB190_1438:
	s_mov_b32 s38, -1
	s_mov_b32 s39, 0
	s_mov_b32 s0, s28
	s_branch .LBB190_1512
.LBB190_1439:
	s_mov_b32 s40, -1
	s_mov_b32 s39, 0
	s_mov_b32 s0, s28
	s_branch .LBB190_1470
.LBB190_1440:
	s_mov_b32 s40, -1
	s_mov_b32 s39, 0
	s_mov_b32 s0, s28
	s_branch .LBB190_1453
.LBB190_1441:
	s_mov_b32 s40, -1
	s_mov_b32 s39, 0
	s_mov_b32 s0, s28
	s_branch .LBB190_1449
.LBB190_1442:
	s_mov_b32 s40, -1
	s_mov_b32 s39, 0
	s_mov_b32 s0, s28
.LBB190_1443:
	s_and_b32 vcc_lo, exec_lo, s40
	s_cbranch_vccz .LBB190_1448
; %bb.1444:
	s_cmp_eq_u32 s38, 44
	s_mov_b32 s0, -1
	s_cbranch_scc0 .LBB190_1448
; %bb.1445:
	s_wait_xcnt 0x0
	v_cvt_f32_f16_e32 v2, v3
	v_mov_b32_e32 v4, 0xff
	s_mov_b32 s39, exec_lo
	s_delay_alu instid0(VALU_DEP_2) | instskip(NEXT) | instid1(VALU_DEP_1)
	v_bfe_u32 v5, v2, 23, 8
	v_cmpx_ne_u32_e32 0xff, v5
	s_cbranch_execz .LBB190_1447
; %bb.1446:
	v_and_b32_e32 v4, 0x400000, v2
	v_and_or_b32 v5, 0x3fffff, v2, v5
	v_lshrrev_b32_e32 v2, 23, v2
	s_delay_alu instid0(VALU_DEP_3) | instskip(NEXT) | instid1(VALU_DEP_3)
	v_cmp_ne_u32_e32 vcc_lo, 0, v4
	v_cmp_ne_u32_e64 s0, 0, v5
	s_and_b32 s0, vcc_lo, s0
	s_delay_alu instid0(SALU_CYCLE_1) | instskip(NEXT) | instid1(VALU_DEP_1)
	v_cndmask_b32_e64 v4, 0, 1, s0
	v_add_nc_u32_e32 v4, v2, v4
.LBB190_1447:
	s_or_b32 exec_lo, exec_lo, s39
	s_mov_b32 s39, -1
	s_mov_b32 s0, 0
	global_store_b8 v[0:1], v4, off
.LBB190_1448:
	s_mov_b32 s40, 0
.LBB190_1449:
	s_delay_alu instid0(SALU_CYCLE_1)
	s_and_b32 vcc_lo, exec_lo, s40
	s_cbranch_vccz .LBB190_1452
; %bb.1450:
	s_cmp_eq_u32 s38, 29
	s_mov_b32 s0, -1
	s_cbranch_scc0 .LBB190_1452
; %bb.1451:
	s_wait_xcnt 0x0
	v_cvt_f32_f16_e32 v2, v3
	v_mov_b32_e32 v5, 0
	s_mov_b32 s39, -1
	s_mov_b32 s0, 0
	s_mov_b32 s40, 0
	v_cvt_u32_f32_e32 v4, v2
	global_store_b64 v[0:1], v[4:5], off
	s_branch .LBB190_1453
.LBB190_1452:
	s_mov_b32 s40, 0
.LBB190_1453:
	s_delay_alu instid0(SALU_CYCLE_1)
	s_and_b32 vcc_lo, exec_lo, s40
	s_cbranch_vccz .LBB190_1469
; %bb.1454:
	s_cmp_lt_i32 s38, 27
	s_mov_b32 s39, -1
	s_cbranch_scc1 .LBB190_1460
; %bb.1455:
	s_cmp_gt_i32 s38, 27
	s_cbranch_scc0 .LBB190_1457
; %bb.1456:
	s_wait_xcnt 0x0
	v_cvt_f32_f16_e32 v2, v3
	s_mov_b32 s39, 0
	s_delay_alu instid0(VALU_DEP_1)
	v_cvt_u32_f32_e32 v2, v2
	global_store_b32 v[0:1], v2, off
.LBB190_1457:
	s_and_not1_b32 vcc_lo, exec_lo, s39
	s_cbranch_vccnz .LBB190_1459
; %bb.1458:
	s_wait_xcnt 0x0
	v_cvt_u16_f16_e32 v2, v3
	global_store_b16 v[0:1], v2, off
.LBB190_1459:
	s_mov_b32 s39, 0
.LBB190_1460:
	s_delay_alu instid0(SALU_CYCLE_1)
	s_and_not1_b32 vcc_lo, exec_lo, s39
	s_cbranch_vccnz .LBB190_1468
; %bb.1461:
	s_wait_xcnt 0x0
	v_cvt_f32_f16_e32 v2, v3
	v_mov_b32_e32 v5, 0x80
	s_mov_b32 s39, exec_lo
	s_delay_alu instid0(VALU_DEP_2) | instskip(NEXT) | instid1(VALU_DEP_1)
	v_and_b32_e32 v4, 0x7fffffff, v2
	v_cmpx_gt_u32_e32 0x43800000, v4
	s_cbranch_execz .LBB190_1467
; %bb.1462:
	v_cmp_lt_u32_e32 vcc_lo, 0x3bffffff, v4
	s_mov_b32 s40, 0
                                        ; implicit-def: $vgpr4
	s_and_saveexec_b32 s41, vcc_lo
	s_delay_alu instid0(SALU_CYCLE_1)
	s_xor_b32 s41, exec_lo, s41
	s_cbranch_execz .LBB190_2724
; %bb.1463:
	v_bfe_u32 v4, v2, 20, 1
	s_mov_b32 s40, exec_lo
	s_delay_alu instid0(VALU_DEP_1) | instskip(NEXT) | instid1(VALU_DEP_1)
	v_add3_u32 v4, v2, v4, 0x487ffff
	v_lshrrev_b32_e32 v4, 20, v4
	s_and_not1_saveexec_b32 s41, s41
	s_cbranch_execnz .LBB190_2725
.LBB190_1464:
	s_or_b32 exec_lo, exec_lo, s41
	v_mov_b32_e32 v5, 0
	s_and_saveexec_b32 s41, s40
.LBB190_1465:
	v_lshrrev_b32_e32 v2, 24, v2
	s_delay_alu instid0(VALU_DEP_1)
	v_and_or_b32 v5, 0x80, v2, v4
.LBB190_1466:
	s_or_b32 exec_lo, exec_lo, s41
.LBB190_1467:
	s_delay_alu instid0(SALU_CYCLE_1)
	s_or_b32 exec_lo, exec_lo, s39
	global_store_b8 v[0:1], v5, off
.LBB190_1468:
	s_mov_b32 s39, -1
.LBB190_1469:
	s_mov_b32 s40, 0
.LBB190_1470:
	s_delay_alu instid0(SALU_CYCLE_1)
	s_and_b32 vcc_lo, exec_lo, s40
	s_cbranch_vccz .LBB190_1511
; %bb.1471:
	s_cmp_gt_i32 s38, 22
	s_mov_b32 s40, -1
	s_cbranch_scc0 .LBB190_1503
; %bb.1472:
	s_cmp_lt_i32 s38, 24
	s_mov_b32 s39, -1
	s_cbranch_scc1 .LBB190_1492
; %bb.1473:
	s_cmp_gt_i32 s38, 24
	s_cbranch_scc0 .LBB190_1481
; %bb.1474:
	s_wait_xcnt 0x0
	v_cvt_f32_f16_e32 v2, v3
	v_mov_b32_e32 v5, 0x80
	s_mov_b32 s39, exec_lo
	s_delay_alu instid0(VALU_DEP_2) | instskip(NEXT) | instid1(VALU_DEP_1)
	v_and_b32_e32 v4, 0x7fffffff, v2
	v_cmpx_gt_u32_e32 0x47800000, v4
	s_cbranch_execz .LBB190_1480
; %bb.1475:
	v_cmp_lt_u32_e32 vcc_lo, 0x37ffffff, v4
	s_mov_b32 s40, 0
                                        ; implicit-def: $vgpr4
	s_and_saveexec_b32 s41, vcc_lo
	s_delay_alu instid0(SALU_CYCLE_1)
	s_xor_b32 s41, exec_lo, s41
	s_cbranch_execz .LBB190_2857
; %bb.1476:
	v_bfe_u32 v4, v2, 21, 1
	s_mov_b32 s40, exec_lo
	s_delay_alu instid0(VALU_DEP_1) | instskip(NEXT) | instid1(VALU_DEP_1)
	v_add3_u32 v4, v2, v4, 0x88fffff
	v_lshrrev_b32_e32 v4, 21, v4
	s_and_not1_saveexec_b32 s41, s41
	s_cbranch_execnz .LBB190_2858
.LBB190_1477:
	s_or_b32 exec_lo, exec_lo, s41
	v_mov_b32_e32 v5, 0
	s_and_saveexec_b32 s41, s40
.LBB190_1478:
	v_lshrrev_b32_e32 v2, 24, v2
	s_delay_alu instid0(VALU_DEP_1)
	v_and_or_b32 v5, 0x80, v2, v4
.LBB190_1479:
	s_or_b32 exec_lo, exec_lo, s41
.LBB190_1480:
	s_delay_alu instid0(SALU_CYCLE_1)
	s_or_b32 exec_lo, exec_lo, s39
	s_mov_b32 s39, 0
	global_store_b8 v[0:1], v5, off
.LBB190_1481:
	s_and_b32 vcc_lo, exec_lo, s39
	s_cbranch_vccz .LBB190_1491
; %bb.1482:
	s_wait_xcnt 0x0
	v_cvt_f32_f16_e32 v2, v3
	s_mov_b32 s39, exec_lo
                                        ; implicit-def: $vgpr4
	s_delay_alu instid0(VALU_DEP_1) | instskip(NEXT) | instid1(VALU_DEP_1)
	v_and_b32_e32 v5, 0x7fffffff, v2
	v_cmpx_gt_u32_e32 0x43f00000, v5
	s_xor_b32 s39, exec_lo, s39
	s_cbranch_execz .LBB190_1488
; %bb.1483:
	s_mov_b32 s40, exec_lo
                                        ; implicit-def: $vgpr4
	v_cmpx_lt_u32_e32 0x3c7fffff, v5
	s_xor_b32 s40, exec_lo, s40
; %bb.1484:
	v_bfe_u32 v4, v2, 20, 1
	s_delay_alu instid0(VALU_DEP_1) | instskip(NEXT) | instid1(VALU_DEP_1)
	v_add3_u32 v4, v2, v4, 0x407ffff
	v_and_b32_e32 v5, 0xff00000, v4
	v_lshrrev_b32_e32 v4, 20, v4
	s_delay_alu instid0(VALU_DEP_2) | instskip(NEXT) | instid1(VALU_DEP_2)
	v_cmp_ne_u32_e32 vcc_lo, 0x7f00000, v5
	v_cndmask_b32_e32 v4, 0x7e, v4, vcc_lo
; %bb.1485:
	s_and_not1_saveexec_b32 s40, s40
; %bb.1486:
	v_add_f32_e64 v4, 0x46800000, |v2|
; %bb.1487:
	s_or_b32 exec_lo, exec_lo, s40
                                        ; implicit-def: $vgpr5
.LBB190_1488:
	s_and_not1_saveexec_b32 s39, s39
; %bb.1489:
	v_mov_b32_e32 v4, 0x7f
	v_cmp_lt_u32_e32 vcc_lo, 0x7f800000, v5
	s_delay_alu instid0(VALU_DEP_2)
	v_cndmask_b32_e32 v4, 0x7e, v4, vcc_lo
; %bb.1490:
	s_or_b32 exec_lo, exec_lo, s39
	v_lshrrev_b32_e32 v2, 24, v2
	s_delay_alu instid0(VALU_DEP_1)
	v_and_or_b32 v2, 0x80, v2, v4
	global_store_b8 v[0:1], v2, off
.LBB190_1491:
	s_mov_b32 s39, 0
.LBB190_1492:
	s_delay_alu instid0(SALU_CYCLE_1)
	s_and_not1_b32 vcc_lo, exec_lo, s39
	s_cbranch_vccnz .LBB190_1502
; %bb.1493:
	s_wait_xcnt 0x0
	v_cvt_f32_f16_e32 v2, v3
	s_mov_b32 s39, exec_lo
                                        ; implicit-def: $vgpr4
	s_delay_alu instid0(VALU_DEP_1) | instskip(NEXT) | instid1(VALU_DEP_1)
	v_and_b32_e32 v5, 0x7fffffff, v2
	v_cmpx_gt_u32_e32 0x47800000, v5
	s_xor_b32 s39, exec_lo, s39
	s_cbranch_execz .LBB190_1499
; %bb.1494:
	s_mov_b32 s40, exec_lo
                                        ; implicit-def: $vgpr4
	v_cmpx_lt_u32_e32 0x387fffff, v5
	s_xor_b32 s40, exec_lo, s40
; %bb.1495:
	v_bfe_u32 v4, v2, 21, 1
	s_delay_alu instid0(VALU_DEP_1) | instskip(NEXT) | instid1(VALU_DEP_1)
	v_add3_u32 v4, v2, v4, 0x80fffff
	v_lshrrev_b32_e32 v4, 21, v4
; %bb.1496:
	s_and_not1_saveexec_b32 s40, s40
; %bb.1497:
	v_add_f32_e64 v4, 0x43000000, |v2|
; %bb.1498:
	s_or_b32 exec_lo, exec_lo, s40
                                        ; implicit-def: $vgpr5
.LBB190_1499:
	s_and_not1_saveexec_b32 s39, s39
; %bb.1500:
	v_mov_b32_e32 v4, 0x7f
	v_cmp_lt_u32_e32 vcc_lo, 0x7f800000, v5
	s_delay_alu instid0(VALU_DEP_2)
	v_cndmask_b32_e32 v4, 0x7c, v4, vcc_lo
; %bb.1501:
	s_or_b32 exec_lo, exec_lo, s39
	v_lshrrev_b32_e32 v2, 24, v2
	s_delay_alu instid0(VALU_DEP_1)
	v_and_or_b32 v2, 0x80, v2, v4
	global_store_b8 v[0:1], v2, off
.LBB190_1502:
	s_mov_b32 s40, 0
	s_mov_b32 s39, -1
.LBB190_1503:
	s_and_not1_b32 vcc_lo, exec_lo, s40
	s_cbranch_vccnz .LBB190_1511
; %bb.1504:
	s_cmp_gt_i32 s38, 14
	s_mov_b32 s40, -1
	s_cbranch_scc0 .LBB190_1508
; %bb.1505:
	s_cmp_eq_u32 s38, 15
	s_mov_b32 s0, -1
	s_cbranch_scc0 .LBB190_1507
; %bb.1506:
	s_wait_xcnt 0x0
	v_cvt_f32_f16_e32 v2, v3
	v_cmp_o_f16_e32 vcc_lo, v3, v3
	s_mov_b32 s39, -1
	s_mov_b32 s0, 0
	s_delay_alu instid0(VALU_DEP_2) | instskip(NEXT) | instid1(VALU_DEP_1)
	v_bfe_u32 v4, v2, 16, 1
	v_add3_u32 v2, v2, v4, 0x7fff
	s_delay_alu instid0(VALU_DEP_1) | instskip(NEXT) | instid1(VALU_DEP_1)
	v_lshrrev_b32_e32 v2, 16, v2
	v_cndmask_b32_e32 v2, 0x7fc0, v2, vcc_lo
	global_store_b16 v[0:1], v2, off
.LBB190_1507:
	s_mov_b32 s40, 0
.LBB190_1508:
	s_delay_alu instid0(SALU_CYCLE_1)
	s_and_b32 vcc_lo, exec_lo, s40
	s_cbranch_vccz .LBB190_1511
; %bb.1509:
	s_cmp_eq_u32 s38, 11
	s_mov_b32 s0, -1
	s_cbranch_scc0 .LBB190_1511
; %bb.1510:
	v_cmp_neq_f16_e32 vcc_lo, 0, v3
	s_mov_b32 s0, 0
	s_mov_b32 s39, -1
	s_wait_xcnt 0x0
	v_cndmask_b32_e64 v2, 0, 1, vcc_lo
	global_store_b8 v[0:1], v2, off
.LBB190_1511:
	s_mov_b32 s38, 0
.LBB190_1512:
	s_delay_alu instid0(SALU_CYCLE_1)
	s_and_b32 vcc_lo, exec_lo, s38
	s_cbranch_vccz .LBB190_1551
; %bb.1513:
	s_and_b32 s37, 0xffff, s37
	s_mov_b32 s38, -1
	s_cmp_lt_i32 s37, 5
	s_cbranch_scc1 .LBB190_1534
; %bb.1514:
	s_cmp_lt_i32 s37, 8
	s_cbranch_scc1 .LBB190_1524
; %bb.1515:
	;; [unrolled: 3-line block ×3, first 2 shown]
	s_cmp_gt_i32 s37, 9
	s_cbranch_scc0 .LBB190_1518
; %bb.1517:
	s_wait_xcnt 0x0
	v_cvt_f32_f16_e32 v2, v3
	v_mov_b32_e32 v6, 0
	s_mov_b32 s38, 0
	s_delay_alu instid0(VALU_DEP_2) | instskip(NEXT) | instid1(VALU_DEP_2)
	v_cvt_f64_f32_e32 v[4:5], v2
	v_mov_b32_e32 v7, v6
	global_store_b128 v[0:1], v[4:7], off
.LBB190_1518:
	s_and_not1_b32 vcc_lo, exec_lo, s38
	s_cbranch_vccnz .LBB190_1520
; %bb.1519:
	s_wait_xcnt 0x0
	v_cvt_f32_f16_e32 v4, v3
	v_mov_b32_e32 v5, 0
	global_store_b64 v[0:1], v[4:5], off
.LBB190_1520:
	s_mov_b32 s38, 0
.LBB190_1521:
	s_delay_alu instid0(SALU_CYCLE_1)
	s_and_not1_b32 vcc_lo, exec_lo, s38
	s_cbranch_vccnz .LBB190_1523
; %bb.1522:
	s_wait_xcnt 0x0
	v_and_b32_e32 v2, 0xffff, v3
	global_store_b32 v[0:1], v2, off
.LBB190_1523:
	s_mov_b32 s38, 0
.LBB190_1524:
	s_delay_alu instid0(SALU_CYCLE_1)
	s_and_not1_b32 vcc_lo, exec_lo, s38
	s_cbranch_vccnz .LBB190_1533
; %bb.1525:
	s_cmp_lt_i32 s37, 6
	s_mov_b32 s38, -1
	s_cbranch_scc1 .LBB190_1531
; %bb.1526:
	s_cmp_gt_i32 s37, 6
	s_cbranch_scc0 .LBB190_1528
; %bb.1527:
	s_wait_xcnt 0x0
	v_cvt_f32_f16_e32 v2, v3
	s_mov_b32 s38, 0
	s_delay_alu instid0(VALU_DEP_1)
	v_cvt_f64_f32_e32 v[4:5], v2
	global_store_b64 v[0:1], v[4:5], off
.LBB190_1528:
	s_and_not1_b32 vcc_lo, exec_lo, s38
	s_cbranch_vccnz .LBB190_1530
; %bb.1529:
	s_wait_xcnt 0x0
	v_cvt_f32_f16_e32 v2, v3
	global_store_b32 v[0:1], v2, off
.LBB190_1530:
	s_mov_b32 s38, 0
.LBB190_1531:
	s_delay_alu instid0(SALU_CYCLE_1)
	s_and_not1_b32 vcc_lo, exec_lo, s38
	s_cbranch_vccnz .LBB190_1533
; %bb.1532:
	global_store_b16 v[0:1], v3, off
.LBB190_1533:
	s_mov_b32 s38, 0
.LBB190_1534:
	s_delay_alu instid0(SALU_CYCLE_1)
	s_and_not1_b32 vcc_lo, exec_lo, s38
	s_cbranch_vccnz .LBB190_1550
; %bb.1535:
	s_cmp_lt_i32 s37, 2
	s_mov_b32 s38, -1
	s_cbranch_scc1 .LBB190_1545
; %bb.1536:
	s_cmp_lt_i32 s37, 3
	s_cbranch_scc1 .LBB190_1542
; %bb.1537:
	s_cmp_gt_i32 s37, 3
	s_cbranch_scc0 .LBB190_1539
; %bb.1538:
	s_wait_xcnt 0x0
	v_cvt_f32_f16_e32 v2, v3
	s_mov_b32 s38, 0
	s_delay_alu instid0(VALU_DEP_1) | instskip(NEXT) | instid1(VALU_DEP_1)
	v_cvt_i32_f32_e32 v4, v2
	v_ashrrev_i32_e32 v5, 31, v4
	global_store_b64 v[0:1], v[4:5], off
.LBB190_1539:
	s_and_not1_b32 vcc_lo, exec_lo, s38
	s_cbranch_vccnz .LBB190_1541
; %bb.1540:
	s_wait_xcnt 0x0
	v_cvt_f32_f16_e32 v2, v3
	s_delay_alu instid0(VALU_DEP_1)
	v_cvt_i32_f32_e32 v2, v2
	global_store_b32 v[0:1], v2, off
.LBB190_1541:
	s_mov_b32 s38, 0
.LBB190_1542:
	s_delay_alu instid0(SALU_CYCLE_1)
	s_and_not1_b32 vcc_lo, exec_lo, s38
	s_cbranch_vccnz .LBB190_1544
; %bb.1543:
	s_wait_xcnt 0x0
	v_cvt_i16_f16_e32 v2, v3
	global_store_b16 v[0:1], v2, off
.LBB190_1544:
	s_mov_b32 s38, 0
.LBB190_1545:
	s_delay_alu instid0(SALU_CYCLE_1)
	s_and_not1_b32 vcc_lo, exec_lo, s38
	s_cbranch_vccnz .LBB190_1550
; %bb.1546:
	s_cmp_gt_i32 s37, 0
	s_mov_b32 s37, -1
	s_cbranch_scc0 .LBB190_1548
; %bb.1547:
	s_wait_xcnt 0x0
	v_cvt_i16_f16_e32 v2, v3
	s_mov_b32 s37, 0
	global_store_b8 v[0:1], v2, off
.LBB190_1548:
	s_and_not1_b32 vcc_lo, exec_lo, s37
	s_cbranch_vccnz .LBB190_1550
; %bb.1549:
	s_wait_xcnt 0x0
	v_cvt_f32_f16_e32 v2, v3
	s_delay_alu instid0(VALU_DEP_1)
	v_cvt_i32_f32_e32 v2, v2
	global_store_b8 v[0:1], v2, off
.LBB190_1550:
	s_mov_b32 s39, -1
.LBB190_1551:
	s_delay_alu instid0(SALU_CYCLE_1)
	s_and_not1_b32 vcc_lo, exec_lo, s39
	s_cbranch_vccnz .LBB190_1553
; %bb.1552:
	v_add_nc_u32_e32 v8, 0x80, v8
	s_mov_b32 s38, -1
	s_branch .LBB190_1555
.LBB190_1553:
	s_mov_b32 s38, 0
.LBB190_1554:
                                        ; implicit-def: $vgpr8
.LBB190_1555:
	s_and_not1_b32 s37, s28, exec_lo
	s_and_b32 s0, s0, exec_lo
	s_and_not1_b32 s39, s29, exec_lo
	s_and_b32 s36, s36, exec_lo
	s_or_b32 s37, s37, s0
	s_or_b32 s36, s39, s36
	s_and_not1_b32 s0, s30, exec_lo
	s_and_b32 s35, s35, exec_lo
	s_and_not1_b32 s39, s27, exec_lo
	s_and_b32 s34, s34, exec_lo
	s_or_b32 s35, s0, s35
	s_or_b32 s34, s39, s34
	s_or_not1_b32 s41, s38, exec_lo
.LBB190_1556:
	s_wait_xcnt 0x0
	s_or_b32 exec_lo, exec_lo, s33
	s_mov_b32 s38, 0
	s_mov_b32 s39, 0
	s_mov_b32 s40, 0
                                        ; implicit-def: $sgpr0
                                        ; implicit-def: $vgpr0_vgpr1
                                        ; implicit-def: $vgpr2
	s_and_saveexec_b32 s33, s41
	s_cbranch_execz .LBB190_1637
; %bb.1557:
	v_cmp_gt_i32_e32 vcc_lo, s22, v8
	s_mov_b32 s42, s34
	s_mov_b32 s41, 0
	;; [unrolled: 1-line block ×3, first 2 shown]
                                        ; implicit-def: $sgpr0
                                        ; implicit-def: $vgpr0_vgpr1
                                        ; implicit-def: $vgpr2
	s_and_saveexec_b32 s22, vcc_lo
	s_cbranch_execz .LBB190_1636
; %bb.1558:
	v_mul_lo_u32 v0, v8, s13
	s_and_b32 s0, s19, 0xff
	s_delay_alu instid0(SALU_CYCLE_1) | instskip(NEXT) | instid1(VALU_DEP_1)
	s_cmp_lt_i32 s0, 11
	v_ashrrev_i32_e32 v1, 31, v0
	s_delay_alu instid0(VALU_DEP_1)
	v_add_nc_u64_e32 v[0:1], s[6:7], v[0:1]
	s_cbranch_scc1 .LBB190_1565
; %bb.1559:
	s_and_b32 s38, 0xffff, s0
	s_delay_alu instid0(SALU_CYCLE_1)
	s_cmp_gt_i32 s38, 25
	s_cbranch_scc0 .LBB190_1566
; %bb.1560:
	s_cmp_gt_i32 s38, 28
	s_cbranch_scc0 .LBB190_1567
; %bb.1561:
	;; [unrolled: 3-line block ×4, first 2 shown]
	s_cmp_eq_u32 s38, 46
	s_mov_b32 s42, 0
	s_cbranch_scc0 .LBB190_1570
; %bb.1564:
	s_wait_loadcnt 0x0
	global_load_b32 v2, v[0:1], off
	s_mov_b32 s41, -1
	s_wait_loadcnt 0x0
	v_lshlrev_b32_e32 v2, 16, v2
	s_delay_alu instid0(VALU_DEP_1)
	v_cvt_f16_f32_e32 v2, v2
	s_branch .LBB190_1572
.LBB190_1565:
	s_mov_b32 s38, -1
	s_mov_b32 s39, s34
                                        ; implicit-def: $vgpr2
	s_branch .LBB190_1635
.LBB190_1566:
	s_mov_b32 s42, -1
	s_mov_b32 s39, s34
                                        ; implicit-def: $vgpr2
	s_branch .LBB190_1601
.LBB190_1567:
	s_mov_b32 s42, -1
	s_mov_b32 s39, s34
                                        ; implicit-def: $vgpr2
	s_branch .LBB190_1582
.LBB190_1568:
	s_mov_b32 s42, -1
	s_mov_b32 s39, s34
                                        ; implicit-def: $vgpr2
	s_branch .LBB190_1577
.LBB190_1569:
	s_mov_b32 s42, -1
	s_mov_b32 s39, s34
	s_branch .LBB190_1571
.LBB190_1570:
	s_mov_b32 s39, -1
.LBB190_1571:
                                        ; implicit-def: $vgpr2
.LBB190_1572:
	s_and_b32 vcc_lo, exec_lo, s42
	s_cbranch_vccz .LBB190_1576
; %bb.1573:
	s_cmp_eq_u32 s38, 44
	s_cbranch_scc0 .LBB190_1575
; %bb.1574:
	s_wait_loadcnt 0x0
	global_load_u8 v2, v[0:1], off
	s_mov_b32 s39, 0
	s_mov_b32 s41, -1
	s_wait_loadcnt 0x0
	v_lshlrev_b32_e32 v3, 23, v2
	v_cmp_ne_u32_e32 vcc_lo, 0xff, v2
	s_delay_alu instid0(VALU_DEP_2) | instskip(NEXT) | instid1(VALU_DEP_1)
	v_cvt_f16_f32_e32 v3, v3
	v_cndmask_b32_e32 v3, 0x7e00, v3, vcc_lo
	v_cmp_ne_u32_e32 vcc_lo, 0, v2
	s_delay_alu instid0(VALU_DEP_2)
	v_cndmask_b32_e32 v2, 0, v3, vcc_lo
	s_branch .LBB190_1576
.LBB190_1575:
	s_mov_b32 s39, -1
                                        ; implicit-def: $vgpr2
.LBB190_1576:
	s_mov_b32 s42, 0
.LBB190_1577:
	s_delay_alu instid0(SALU_CYCLE_1)
	s_and_b32 vcc_lo, exec_lo, s42
	s_cbranch_vccz .LBB190_1581
; %bb.1578:
	s_cmp_eq_u32 s38, 29
	s_cbranch_scc0 .LBB190_1580
; %bb.1579:
	s_wait_loadcnt 0x0
	global_load_b64 v[2:3], v[0:1], off
	s_mov_b32 s39, 0
	s_mov_b32 s41, -1
	s_mov_b32 s42, 0
	s_wait_loadcnt 0x0
	v_clz_i32_u32_e32 v4, v3
	s_delay_alu instid0(VALU_DEP_1) | instskip(NEXT) | instid1(VALU_DEP_1)
	v_min_u32_e32 v4, 32, v4
	v_lshlrev_b64_e32 v[2:3], v4, v[2:3]
	s_delay_alu instid0(VALU_DEP_1) | instskip(NEXT) | instid1(VALU_DEP_1)
	v_min_u32_e32 v2, 1, v2
	v_dual_sub_nc_u32 v3, 32, v4 :: v_dual_bitop2_b32 v2, v3, v2 bitop3:0x54
	s_delay_alu instid0(VALU_DEP_1) | instskip(NEXT) | instid1(VALU_DEP_1)
	v_cvt_f32_u32_e32 v2, v2
	v_ldexp_f32 v2, v2, v3
	s_delay_alu instid0(VALU_DEP_1)
	v_cvt_f16_f32_e32 v2, v2
	s_branch .LBB190_1582
.LBB190_1580:
	s_mov_b32 s39, -1
                                        ; implicit-def: $vgpr2
.LBB190_1581:
	s_mov_b32 s42, 0
.LBB190_1582:
	s_delay_alu instid0(SALU_CYCLE_1)
	s_and_b32 vcc_lo, exec_lo, s42
	s_cbranch_vccz .LBB190_1600
; %bb.1583:
	s_cmp_lt_i32 s38, 27
	s_cbranch_scc1 .LBB190_1586
; %bb.1584:
	s_cmp_gt_i32 s38, 27
	s_cbranch_scc0 .LBB190_1587
; %bb.1585:
	s_wait_loadcnt 0x0
	global_load_b32 v2, v[0:1], off
	s_mov_b32 s41, 0
	s_wait_loadcnt 0x0
	v_cvt_f32_u32_e32 v2, v2
	s_delay_alu instid0(VALU_DEP_1)
	v_cvt_f16_f32_e32 v2, v2
	s_branch .LBB190_1588
.LBB190_1586:
	s_mov_b32 s41, -1
                                        ; implicit-def: $vgpr2
	s_branch .LBB190_1591
.LBB190_1587:
	s_mov_b32 s41, -1
                                        ; implicit-def: $vgpr2
.LBB190_1588:
	s_delay_alu instid0(SALU_CYCLE_1)
	s_and_not1_b32 vcc_lo, exec_lo, s41
	s_cbranch_vccnz .LBB190_1590
; %bb.1589:
	s_wait_loadcnt 0x0
	global_load_u16 v2, v[0:1], off
	s_wait_loadcnt 0x0
	v_cvt_f16_u16_e32 v2, v2
.LBB190_1590:
	s_mov_b32 s41, 0
.LBB190_1591:
	s_delay_alu instid0(SALU_CYCLE_1)
	s_and_not1_b32 vcc_lo, exec_lo, s41
	s_cbranch_vccnz .LBB190_1599
; %bb.1592:
	s_wait_loadcnt 0x0
	global_load_u8 v3, v[0:1], off
	s_mov_b32 s41, 0
	s_mov_b32 s42, exec_lo
	s_wait_loadcnt 0x0
	v_cmpx_lt_i16_e32 0x7f, v3
	s_xor_b32 s42, exec_lo, s42
	s_cbranch_execz .LBB190_1613
; %bb.1593:
	s_mov_b32 s41, -1
	s_mov_b32 s43, exec_lo
	v_cmpx_eq_u16_e32 0x80, v3
; %bb.1594:
	s_xor_b32 s41, exec_lo, -1
; %bb.1595:
	s_or_b32 exec_lo, exec_lo, s43
	s_delay_alu instid0(SALU_CYCLE_1)
	s_and_b32 s41, s41, exec_lo
	s_or_saveexec_b32 s42, s42
	v_mov_b32_e32 v2, 0x7e00
	s_xor_b32 exec_lo, exec_lo, s42
	s_cbranch_execnz .LBB190_1614
.LBB190_1596:
	s_or_b32 exec_lo, exec_lo, s42
	s_and_saveexec_b32 s42, s41
	s_cbranch_execz .LBB190_1598
.LBB190_1597:
	v_and_b32_e32 v2, 0xffff, v3
	s_delay_alu instid0(VALU_DEP_1) | instskip(SKIP_1) | instid1(VALU_DEP_2)
	v_and_b32_e32 v4, 7, v2
	v_bfe_u32 v7, v2, 3, 4
	v_clz_i32_u32_e32 v5, v4
	s_delay_alu instid0(VALU_DEP_2) | instskip(NEXT) | instid1(VALU_DEP_2)
	v_cmp_eq_u32_e32 vcc_lo, 0, v7
	v_min_u32_e32 v5, 32, v5
	s_delay_alu instid0(VALU_DEP_1) | instskip(NEXT) | instid1(VALU_DEP_1)
	v_subrev_nc_u32_e32 v6, 28, v5
	v_dual_lshlrev_b32 v2, v6, v2 :: v_dual_sub_nc_u32 v5, 29, v5
	s_delay_alu instid0(VALU_DEP_1) | instskip(NEXT) | instid1(VALU_DEP_1)
	v_dual_lshlrev_b32 v3, 24, v3 :: v_dual_bitop2_b32 v2, 7, v2 bitop3:0x40
	v_dual_cndmask_b32 v5, v7, v5 :: v_dual_cndmask_b32 v2, v4, v2
	s_delay_alu instid0(VALU_DEP_2) | instskip(NEXT) | instid1(VALU_DEP_2)
	v_and_b32_e32 v3, 0x80000000, v3
	v_lshl_add_u32 v4, v5, 23, 0x3b800000
	s_delay_alu instid0(VALU_DEP_3) | instskip(NEXT) | instid1(VALU_DEP_1)
	v_lshlrev_b32_e32 v2, 20, v2
	v_or3_b32 v2, v3, v4, v2
	s_delay_alu instid0(VALU_DEP_1)
	v_cvt_f16_f32_e32 v2, v2
.LBB190_1598:
	s_or_b32 exec_lo, exec_lo, s42
.LBB190_1599:
	s_mov_b32 s41, -1
.LBB190_1600:
	s_mov_b32 s42, 0
.LBB190_1601:
	s_delay_alu instid0(SALU_CYCLE_1)
	s_and_b32 vcc_lo, exec_lo, s42
	s_cbranch_vccz .LBB190_1634
; %bb.1602:
	s_cmp_gt_i32 s38, 22
	s_cbranch_scc0 .LBB190_1612
; %bb.1603:
	s_cmp_lt_i32 s38, 24
	s_cbranch_scc1 .LBB190_1615
; %bb.1604:
	s_cmp_gt_i32 s38, 24
	s_cbranch_scc0 .LBB190_1616
; %bb.1605:
	s_wait_loadcnt 0x0
	global_load_u8 v3, v[0:1], off
	s_mov_b32 s41, exec_lo
	s_wait_loadcnt 0x0
	v_cmpx_lt_i16_e32 0x7f, v3
	s_xor_b32 s41, exec_lo, s41
	s_cbranch_execz .LBB190_1628
; %bb.1606:
	s_mov_b32 s40, -1
	s_mov_b32 s42, exec_lo
	v_cmpx_eq_u16_e32 0x80, v3
; %bb.1607:
	s_xor_b32 s40, exec_lo, -1
; %bb.1608:
	s_or_b32 exec_lo, exec_lo, s42
	s_delay_alu instid0(SALU_CYCLE_1)
	s_and_b32 s40, s40, exec_lo
	s_or_saveexec_b32 s41, s41
	v_mov_b32_e32 v2, 0x7e00
	s_xor_b32 exec_lo, exec_lo, s41
	s_cbranch_execnz .LBB190_1629
.LBB190_1609:
	s_or_b32 exec_lo, exec_lo, s41
	s_and_saveexec_b32 s41, s40
	s_cbranch_execz .LBB190_1611
.LBB190_1610:
	v_and_b32_e32 v2, 0xffff, v3
	s_delay_alu instid0(VALU_DEP_1) | instskip(SKIP_1) | instid1(VALU_DEP_2)
	v_and_b32_e32 v4, 3, v2
	v_bfe_u32 v7, v2, 2, 5
	v_clz_i32_u32_e32 v5, v4
	s_delay_alu instid0(VALU_DEP_2) | instskip(NEXT) | instid1(VALU_DEP_2)
	v_cmp_eq_u32_e32 vcc_lo, 0, v7
	v_min_u32_e32 v5, 32, v5
	s_delay_alu instid0(VALU_DEP_1) | instskip(NEXT) | instid1(VALU_DEP_1)
	v_subrev_nc_u32_e32 v6, 29, v5
	v_dual_lshlrev_b32 v2, v6, v2 :: v_dual_sub_nc_u32 v5, 30, v5
	s_delay_alu instid0(VALU_DEP_1) | instskip(NEXT) | instid1(VALU_DEP_1)
	v_dual_lshlrev_b32 v3, 24, v3 :: v_dual_bitop2_b32 v2, 3, v2 bitop3:0x40
	v_dual_cndmask_b32 v5, v7, v5 :: v_dual_cndmask_b32 v2, v4, v2
	s_delay_alu instid0(VALU_DEP_2) | instskip(NEXT) | instid1(VALU_DEP_2)
	v_and_b32_e32 v3, 0x80000000, v3
	v_lshl_add_u32 v4, v5, 23, 0x37800000
	s_delay_alu instid0(VALU_DEP_3) | instskip(NEXT) | instid1(VALU_DEP_1)
	v_lshlrev_b32_e32 v2, 21, v2
	v_or3_b32 v2, v3, v4, v2
	s_delay_alu instid0(VALU_DEP_1)
	v_cvt_f16_f32_e32 v2, v2
.LBB190_1611:
	s_or_b32 exec_lo, exec_lo, s41
	s_mov_b32 s40, 0
	s_branch .LBB190_1617
.LBB190_1612:
	s_mov_b32 s40, -1
                                        ; implicit-def: $vgpr2
	s_branch .LBB190_1623
.LBB190_1613:
	s_or_saveexec_b32 s42, s42
	v_mov_b32_e32 v2, 0x7e00
	s_xor_b32 exec_lo, exec_lo, s42
	s_cbranch_execz .LBB190_1596
.LBB190_1614:
	v_cmp_ne_u16_e32 vcc_lo, 0, v3
	v_mov_b32_e32 v2, v3
	s_and_not1_b32 s41, s41, exec_lo
	s_and_b32 s43, vcc_lo, exec_lo
	s_delay_alu instid0(SALU_CYCLE_1)
	s_or_b32 s41, s41, s43
	s_or_b32 exec_lo, exec_lo, s42
	s_and_saveexec_b32 s42, s41
	s_cbranch_execnz .LBB190_1597
	s_branch .LBB190_1598
.LBB190_1615:
	s_mov_b32 s40, -1
                                        ; implicit-def: $vgpr2
	s_branch .LBB190_1620
.LBB190_1616:
	s_mov_b32 s40, -1
                                        ; implicit-def: $vgpr2
.LBB190_1617:
	s_delay_alu instid0(SALU_CYCLE_1)
	s_and_b32 vcc_lo, exec_lo, s40
	s_cbranch_vccz .LBB190_1619
; %bb.1618:
	s_wait_loadcnt 0x0
	global_load_u8 v2, v[0:1], off
	s_wait_loadcnt 0x0
	v_lshlrev_b32_e32 v2, 24, v2
	s_delay_alu instid0(VALU_DEP_1) | instskip(NEXT) | instid1(VALU_DEP_1)
	v_and_b32_e32 v3, 0x7f000000, v2
	v_clz_i32_u32_e32 v4, v3
	v_cmp_ne_u32_e32 vcc_lo, 0, v3
	v_add_nc_u32_e32 v6, 0x1000000, v3
	s_delay_alu instid0(VALU_DEP_3) | instskip(NEXT) | instid1(VALU_DEP_1)
	v_min_u32_e32 v4, 32, v4
	v_sub_nc_u32_e64 v4, v4, 4 clamp
	s_delay_alu instid0(VALU_DEP_1) | instskip(NEXT) | instid1(VALU_DEP_1)
	v_dual_lshlrev_b32 v5, v4, v3 :: v_dual_lshlrev_b32 v4, 23, v4
	v_lshrrev_b32_e32 v5, 4, v5
	s_delay_alu instid0(VALU_DEP_1) | instskip(NEXT) | instid1(VALU_DEP_1)
	v_dual_sub_nc_u32 v4, v5, v4 :: v_dual_ashrrev_i32 v5, 8, v6
	v_add_nc_u32_e32 v4, 0x3c000000, v4
	s_delay_alu instid0(VALU_DEP_1) | instskip(NEXT) | instid1(VALU_DEP_1)
	v_and_or_b32 v4, 0x7f800000, v5, v4
	v_cndmask_b32_e32 v3, 0, v4, vcc_lo
	s_delay_alu instid0(VALU_DEP_1) | instskip(NEXT) | instid1(VALU_DEP_1)
	v_and_or_b32 v2, 0x80000000, v2, v3
	v_cvt_f16_f32_e32 v2, v2
.LBB190_1619:
	s_mov_b32 s40, 0
.LBB190_1620:
	s_delay_alu instid0(SALU_CYCLE_1)
	s_and_not1_b32 vcc_lo, exec_lo, s40
	s_cbranch_vccnz .LBB190_1622
; %bb.1621:
	s_wait_loadcnt 0x0
	global_load_u8 v2, v[0:1], off
	s_wait_loadcnt 0x0
	v_lshlrev_b32_e32 v3, 25, v2
	v_lshlrev_b16 v2, 8, v2
	s_delay_alu instid0(VALU_DEP_1) | instskip(SKIP_1) | instid1(VALU_DEP_2)
	v_and_or_b32 v5, 0x7f00, v2, 0.5
	v_bfe_i32 v2, v2, 0, 16
	v_dual_add_f32 v5, -0.5, v5 :: v_dual_lshrrev_b32 v4, 4, v3
	v_cmp_gt_u32_e32 vcc_lo, 0x8000000, v3
	s_delay_alu instid0(VALU_DEP_2) | instskip(NEXT) | instid1(VALU_DEP_1)
	v_or_b32_e32 v4, 0x70000000, v4
	v_mul_f32_e32 v4, 0x7800000, v4
	s_delay_alu instid0(VALU_DEP_1) | instskip(NEXT) | instid1(VALU_DEP_1)
	v_cndmask_b32_e32 v3, v4, v5, vcc_lo
	v_and_or_b32 v2, 0x80000000, v2, v3
	s_delay_alu instid0(VALU_DEP_1)
	v_cvt_f16_f32_e32 v2, v2
.LBB190_1622:
	s_mov_b32 s40, 0
	s_mov_b32 s41, -1
.LBB190_1623:
	s_and_not1_b32 vcc_lo, exec_lo, s40
	s_mov_b32 s40, 0
	s_cbranch_vccnz .LBB190_1634
; %bb.1624:
	s_cmp_gt_i32 s38, 14
	s_cbranch_scc0 .LBB190_1627
; %bb.1625:
	s_cmp_eq_u32 s38, 15
	s_cbranch_scc0 .LBB190_1630
; %bb.1626:
	s_wait_loadcnt 0x0
	global_load_u16 v2, v[0:1], off
	s_mov_b32 s39, 0
	s_mov_b32 s41, -1
	s_wait_loadcnt 0x0
	v_lshlrev_b32_e32 v2, 16, v2
	s_delay_alu instid0(VALU_DEP_1)
	v_cvt_f16_f32_e32 v2, v2
	s_branch .LBB190_1632
.LBB190_1627:
	s_mov_b32 s40, -1
	s_branch .LBB190_1631
.LBB190_1628:
	s_or_saveexec_b32 s41, s41
	v_mov_b32_e32 v2, 0x7e00
	s_xor_b32 exec_lo, exec_lo, s41
	s_cbranch_execz .LBB190_1609
.LBB190_1629:
	v_cmp_ne_u16_e32 vcc_lo, 0, v3
	v_mov_b32_e32 v2, v3
	s_and_not1_b32 s40, s40, exec_lo
	s_and_b32 s42, vcc_lo, exec_lo
	s_delay_alu instid0(SALU_CYCLE_1)
	s_or_b32 s40, s40, s42
	s_or_b32 exec_lo, exec_lo, s41
	s_and_saveexec_b32 s41, s40
	s_cbranch_execnz .LBB190_1610
	s_branch .LBB190_1611
.LBB190_1630:
	s_mov_b32 s39, -1
.LBB190_1631:
                                        ; implicit-def: $vgpr2
.LBB190_1632:
	s_and_b32 vcc_lo, exec_lo, s40
	s_mov_b32 s40, 0
	s_cbranch_vccz .LBB190_1634
; %bb.1633:
	s_cmp_lg_u32 s38, 11
	s_mov_b32 s40, -1
	s_cselect_b32 s38, -1, 0
	s_and_not1_b32 s39, s39, exec_lo
	s_and_b32 s38, s38, exec_lo
	s_delay_alu instid0(SALU_CYCLE_1)
	s_or_b32 s39, s39, s38
.LBB190_1634:
	s_mov_b32 s38, 0
.LBB190_1635:
	s_and_not1_b32 s42, s34, exec_lo
	s_and_b32 s39, s39, exec_lo
	s_and_b32 s43, s41, exec_lo
	;; [unrolled: 1-line block ×4, first 2 shown]
	s_or_b32 s42, s42, s39
.LBB190_1636:
	s_wait_xcnt 0x0
	s_or_b32 exec_lo, exec_lo, s22
	s_delay_alu instid0(SALU_CYCLE_1)
	s_and_not1_b32 s22, s34, exec_lo
	s_and_b32 s34, s42, exec_lo
	s_and_b32 s40, s43, exec_lo
	;; [unrolled: 1-line block ×4, first 2 shown]
	s_or_b32 s34, s22, s34
.LBB190_1637:
	s_or_b32 exec_lo, exec_lo, s33
	s_delay_alu instid0(SALU_CYCLE_1)
	s_and_not1_b32 s22, s28, exec_lo
	s_and_b32 s28, s37, exec_lo
	s_and_not1_b32 s30, s30, exec_lo
	s_or_b32 s28, s22, s28
	s_and_not1_b32 s22, s29, exec_lo
	s_and_b32 s29, s36, exec_lo
	s_and_b32 s33, s35, exec_lo
	s_or_b32 s29, s22, s29
	s_and_not1_b32 s22, s27, exec_lo
	s_and_b32 s27, s34, exec_lo
	s_or_b32 s30, s30, s33
	s_and_b32 s36, s40, exec_lo
	s_and_b32 s35, s39, exec_lo
	;; [unrolled: 1-line block ×3, first 2 shown]
	s_or_b32 s27, s22, s27
.LBB190_1638:
	s_or_b32 exec_lo, exec_lo, s31
	s_delay_alu instid0(SALU_CYCLE_1)
	s_and_not1_b32 s21, s21, exec_lo
	s_and_b32 s22, s28, exec_lo
	s_and_not1_b32 s24, s24, exec_lo
	s_or_b32 s21, s21, s22
	s_and_not1_b32 s22, s23, exec_lo
	s_and_b32 s23, s29, exec_lo
	s_and_b32 s28, s30, exec_lo
	s_or_b32 s23, s22, s23
	s_and_not1_b32 s22, s25, exec_lo
	s_and_b32 s25, s27, exec_lo
	s_or_b32 s24, s24, s28
	s_and_b32 s28, s36, exec_lo
	s_and_b32 s29, s35, exec_lo
	;; [unrolled: 1-line block ×3, first 2 shown]
	s_or_b32 s25, s22, s25
	s_or_b32 exec_lo, exec_lo, s26
	s_mov_b32 s22, 0
	s_and_saveexec_b32 s26, s25
	s_cbranch_execz .LBB190_522
.LBB190_1639:
	s_mov_b32 s22, exec_lo
	s_and_not1_b32 s27, s27, exec_lo
	s_trap 2
	s_or_b32 exec_lo, exec_lo, s26
	s_and_saveexec_b32 s25, s27
	s_delay_alu instid0(SALU_CYCLE_1)
	s_xor_b32 s25, exec_lo, s25
	s_cbranch_execnz .LBB190_523
.LBB190_1640:
	s_or_b32 exec_lo, exec_lo, s25
	s_and_saveexec_b32 s25, s29
	s_cbranch_execz .LBB190_1686
.LBB190_1641:
	s_sext_i32_i16 s26, s0
	s_delay_alu instid0(SALU_CYCLE_1)
	s_cmp_lt_i32 s26, 5
	s_cbranch_scc1 .LBB190_1646
; %bb.1642:
	s_cmp_lt_i32 s26, 8
	s_cbranch_scc1 .LBB190_1647
; %bb.1643:
	;; [unrolled: 3-line block ×3, first 2 shown]
	s_cmp_gt_i32 s26, 9
	s_cbranch_scc0 .LBB190_1649
; %bb.1645:
	s_wait_loadcnt 0x0
	global_load_b64 v[2:3], v[0:1], off
	s_mov_b32 s26, 0
	s_wait_loadcnt 0x0
	v_and_or_b32 v2, 0x1ff, v3, v2
	v_lshrrev_b32_e32 v4, 8, v3
	v_bfe_u32 v5, v3, 20, 11
	v_lshrrev_b32_e32 v3, 16, v3
	s_delay_alu instid0(VALU_DEP_4) | instskip(NEXT) | instid1(VALU_DEP_3)
	v_cmp_ne_u32_e32 vcc_lo, 0, v2
	v_sub_nc_u32_e32 v6, 0x3f1, v5
	v_add_nc_u32_e32 v5, 0xfffffc10, v5
	v_cndmask_b32_e64 v2, 0, 1, vcc_lo
	s_delay_alu instid0(VALU_DEP_1) | instskip(NEXT) | instid1(VALU_DEP_4)
	v_and_or_b32 v2, 0xffe, v4, v2
	v_med3_i32 v4, v6, 0, 13
	s_delay_alu instid0(VALU_DEP_2) | instskip(NEXT) | instid1(VALU_DEP_1)
	v_or_b32_e32 v6, 0x1000, v2
	v_lshrrev_b32_e32 v7, v4, v6
	s_delay_alu instid0(VALU_DEP_1) | instskip(NEXT) | instid1(VALU_DEP_1)
	v_lshlrev_b32_e32 v4, v4, v7
	v_cmp_ne_u32_e32 vcc_lo, v4, v6
	v_lshl_or_b32 v6, v5, 12, v2
	v_cndmask_b32_e64 v4, 0, 1, vcc_lo
	v_cmp_gt_i32_e32 vcc_lo, 1, v5
	s_delay_alu instid0(VALU_DEP_2) | instskip(NEXT) | instid1(VALU_DEP_1)
	v_or_b32_e32 v4, v7, v4
	v_cndmask_b32_e32 v4, v6, v4, vcc_lo
	s_delay_alu instid0(VALU_DEP_1) | instskip(NEXT) | instid1(VALU_DEP_1)
	v_dual_lshrrev_b32 v4, 2, v4 :: v_dual_bitop2_b32 v6, 7, v4 bitop3:0x40
	v_cmp_lt_i32_e32 vcc_lo, 5, v6
	v_cndmask_b32_e64 v7, 0, 1, vcc_lo
	v_cmp_eq_u32_e32 vcc_lo, 3, v6
	v_cndmask_b32_e64 v6, 0, 1, vcc_lo
	v_cmp_ne_u32_e32 vcc_lo, 0, v2
	s_delay_alu instid0(VALU_DEP_2) | instskip(NEXT) | instid1(VALU_DEP_1)
	v_or_b32_e32 v6, v6, v7
	v_dual_mov_b32 v7, 0x7e00 :: v_dual_add_nc_u32 v4, v4, v6
	s_delay_alu instid0(VALU_DEP_1) | instskip(SKIP_1) | instid1(VALU_DEP_3)
	v_cndmask_b32_e32 v2, 0x7c00, v7, vcc_lo
	v_cmp_gt_i32_e32 vcc_lo, 31, v5
	v_cndmask_b32_e32 v4, 0x7c00, v4, vcc_lo
	v_cmp_eq_u32_e32 vcc_lo, 0x40f, v5
	s_delay_alu instid0(VALU_DEP_2) | instskip(NEXT) | instid1(VALU_DEP_1)
	v_cndmask_b32_e32 v2, v4, v2, vcc_lo
	v_and_or_b32 v2, 0x8000, v3, v2
	s_branch .LBB190_1650
.LBB190_1646:
                                        ; implicit-def: $vgpr2
	s_branch .LBB190_1667
.LBB190_1647:
                                        ; implicit-def: $vgpr2
	s_branch .LBB190_1656
.LBB190_1648:
	s_mov_b32 s26, -1
                                        ; implicit-def: $vgpr2
	s_branch .LBB190_1653
.LBB190_1649:
	s_mov_b32 s26, -1
                                        ; implicit-def: $vgpr2
.LBB190_1650:
	s_delay_alu instid0(SALU_CYCLE_1)
	s_and_not1_b32 vcc_lo, exec_lo, s26
	s_cbranch_vccnz .LBB190_1652
; %bb.1651:
	s_wait_loadcnt 0x0
	global_load_b32 v2, v[0:1], off
	s_wait_loadcnt 0x0
	v_cvt_f16_f32_e32 v2, v2
.LBB190_1652:
	s_mov_b32 s26, 0
.LBB190_1653:
	s_delay_alu instid0(SALU_CYCLE_1)
	s_and_not1_b32 vcc_lo, exec_lo, s26
	s_cbranch_vccnz .LBB190_1655
; %bb.1654:
	s_wait_loadcnt 0x0
	global_load_b32 v2, v[0:1], off
.LBB190_1655:
	s_cbranch_execnz .LBB190_1666
.LBB190_1656:
	s_sext_i32_i16 s26, s0
	s_delay_alu instid0(SALU_CYCLE_1)
	s_cmp_lt_i32 s26, 6
	s_cbranch_scc1 .LBB190_1659
; %bb.1657:
	s_cmp_gt_i32 s26, 6
	s_cbranch_scc0 .LBB190_1660
; %bb.1658:
	s_wait_loadcnt 0x0
	global_load_b64 v[2:3], v[0:1], off
	s_mov_b32 s26, 0
	s_wait_loadcnt 0x0
	v_and_or_b32 v2, 0x1ff, v3, v2
	v_lshrrev_b32_e32 v4, 8, v3
	v_bfe_u32 v5, v3, 20, 11
	v_lshrrev_b32_e32 v3, 16, v3
	s_delay_alu instid0(VALU_DEP_4) | instskip(NEXT) | instid1(VALU_DEP_3)
	v_cmp_ne_u32_e32 vcc_lo, 0, v2
	v_sub_nc_u32_e32 v6, 0x3f1, v5
	v_add_nc_u32_e32 v5, 0xfffffc10, v5
	v_cndmask_b32_e64 v2, 0, 1, vcc_lo
	s_delay_alu instid0(VALU_DEP_1) | instskip(NEXT) | instid1(VALU_DEP_4)
	v_and_or_b32 v2, 0xffe, v4, v2
	v_med3_i32 v4, v6, 0, 13
	s_delay_alu instid0(VALU_DEP_2) | instskip(NEXT) | instid1(VALU_DEP_1)
	v_or_b32_e32 v6, 0x1000, v2
	v_lshrrev_b32_e32 v7, v4, v6
	s_delay_alu instid0(VALU_DEP_1) | instskip(NEXT) | instid1(VALU_DEP_1)
	v_lshlrev_b32_e32 v4, v4, v7
	v_cmp_ne_u32_e32 vcc_lo, v4, v6
	v_lshl_or_b32 v6, v5, 12, v2
	v_cndmask_b32_e64 v4, 0, 1, vcc_lo
	v_cmp_gt_i32_e32 vcc_lo, 1, v5
	s_delay_alu instid0(VALU_DEP_2) | instskip(NEXT) | instid1(VALU_DEP_1)
	v_or_b32_e32 v4, v7, v4
	v_cndmask_b32_e32 v4, v6, v4, vcc_lo
	s_delay_alu instid0(VALU_DEP_1) | instskip(NEXT) | instid1(VALU_DEP_1)
	v_dual_lshrrev_b32 v4, 2, v4 :: v_dual_bitop2_b32 v6, 7, v4 bitop3:0x40
	v_cmp_lt_i32_e32 vcc_lo, 5, v6
	v_cndmask_b32_e64 v7, 0, 1, vcc_lo
	v_cmp_eq_u32_e32 vcc_lo, 3, v6
	v_cndmask_b32_e64 v6, 0, 1, vcc_lo
	v_cmp_ne_u32_e32 vcc_lo, 0, v2
	s_delay_alu instid0(VALU_DEP_2) | instskip(NEXT) | instid1(VALU_DEP_1)
	v_or_b32_e32 v6, v6, v7
	v_dual_mov_b32 v7, 0x7e00 :: v_dual_add_nc_u32 v4, v4, v6
	s_delay_alu instid0(VALU_DEP_1) | instskip(SKIP_1) | instid1(VALU_DEP_3)
	v_cndmask_b32_e32 v2, 0x7c00, v7, vcc_lo
	v_cmp_gt_i32_e32 vcc_lo, 31, v5
	v_cndmask_b32_e32 v4, 0x7c00, v4, vcc_lo
	v_cmp_eq_u32_e32 vcc_lo, 0x40f, v5
	s_delay_alu instid0(VALU_DEP_2) | instskip(NEXT) | instid1(VALU_DEP_1)
	v_cndmask_b32_e32 v2, v4, v2, vcc_lo
	v_and_or_b32 v2, 0x8000, v3, v2
	s_branch .LBB190_1661
.LBB190_1659:
	s_mov_b32 s26, -1
                                        ; implicit-def: $vgpr2
	s_branch .LBB190_1664
.LBB190_1660:
	s_mov_b32 s26, -1
                                        ; implicit-def: $vgpr2
.LBB190_1661:
	s_delay_alu instid0(SALU_CYCLE_1)
	s_and_not1_b32 vcc_lo, exec_lo, s26
	s_cbranch_vccnz .LBB190_1663
; %bb.1662:
	s_wait_loadcnt 0x0
	global_load_b32 v2, v[0:1], off
	s_wait_loadcnt 0x0
	v_cvt_f16_f32_e32 v2, v2
.LBB190_1663:
	s_mov_b32 s26, 0
.LBB190_1664:
	s_delay_alu instid0(SALU_CYCLE_1)
	s_and_not1_b32 vcc_lo, exec_lo, s26
	s_cbranch_vccnz .LBB190_1666
; %bb.1665:
	s_wait_loadcnt 0x0
	global_load_u16 v2, v[0:1], off
.LBB190_1666:
	s_cbranch_execnz .LBB190_1685
.LBB190_1667:
	s_sext_i32_i16 s26, s0
	s_delay_alu instid0(SALU_CYCLE_1)
	s_cmp_lt_i32 s26, 2
	s_cbranch_scc1 .LBB190_1671
; %bb.1668:
	s_cmp_lt_i32 s26, 3
	s_cbranch_scc1 .LBB190_1672
; %bb.1669:
	s_cmp_gt_i32 s26, 3
	s_cbranch_scc0 .LBB190_1673
; %bb.1670:
	s_wait_loadcnt 0x0
	global_load_b64 v[2:3], v[0:1], off
	s_mov_b32 s26, 0
	s_wait_loadcnt 0x0
	v_xor_b32_e32 v4, v2, v3
	v_cls_i32_e32 v5, v3
	s_delay_alu instid0(VALU_DEP_2) | instskip(NEXT) | instid1(VALU_DEP_1)
	v_ashrrev_i32_e32 v4, 31, v4
	v_add_nc_u32_e32 v4, 32, v4
	s_delay_alu instid0(VALU_DEP_1) | instskip(NEXT) | instid1(VALU_DEP_1)
	v_add_min_u32_e64 v4, v5, -1, v4
	v_lshlrev_b64_e32 v[2:3], v4, v[2:3]
	s_delay_alu instid0(VALU_DEP_1) | instskip(NEXT) | instid1(VALU_DEP_1)
	v_min_u32_e32 v2, 1, v2
	v_dual_sub_nc_u32 v3, 32, v4 :: v_dual_bitop2_b32 v2, v3, v2 bitop3:0x54
	s_delay_alu instid0(VALU_DEP_1) | instskip(NEXT) | instid1(VALU_DEP_1)
	v_cvt_f32_i32_e32 v2, v2
	v_ldexp_f32 v2, v2, v3
	s_delay_alu instid0(VALU_DEP_1)
	v_cvt_f16_f32_e32 v2, v2
	s_branch .LBB190_1674
.LBB190_1671:
                                        ; implicit-def: $vgpr2
	s_branch .LBB190_1680
.LBB190_1672:
	s_mov_b32 s26, -1
                                        ; implicit-def: $vgpr2
	s_branch .LBB190_1677
.LBB190_1673:
	s_mov_b32 s26, -1
                                        ; implicit-def: $vgpr2
.LBB190_1674:
	s_delay_alu instid0(SALU_CYCLE_1)
	s_and_not1_b32 vcc_lo, exec_lo, s26
	s_cbranch_vccnz .LBB190_1676
; %bb.1675:
	s_wait_loadcnt 0x0
	global_load_b32 v2, v[0:1], off
	s_wait_loadcnt 0x0
	v_cvt_f32_i32_e32 v2, v2
	s_delay_alu instid0(VALU_DEP_1)
	v_cvt_f16_f32_e32 v2, v2
.LBB190_1676:
	s_mov_b32 s26, 0
.LBB190_1677:
	s_delay_alu instid0(SALU_CYCLE_1)
	s_and_not1_b32 vcc_lo, exec_lo, s26
	s_cbranch_vccnz .LBB190_1679
; %bb.1678:
	s_wait_loadcnt 0x0
	global_load_u16 v2, v[0:1], off
	s_wait_loadcnt 0x0
	v_cvt_f16_i16_e32 v2, v2
.LBB190_1679:
	s_cbranch_execnz .LBB190_1685
.LBB190_1680:
	s_sext_i32_i16 s0, s0
	s_delay_alu instid0(SALU_CYCLE_1)
	s_cmp_gt_i32 s0, 0
	s_mov_b32 s0, 0
	s_cbranch_scc0 .LBB190_1682
; %bb.1681:
	s_wait_loadcnt 0x0
	global_load_i8 v2, v[0:1], off
	s_wait_loadcnt 0x0
	v_cvt_f16_i16_e32 v2, v2
	s_branch .LBB190_1683
.LBB190_1682:
	s_mov_b32 s0, -1
                                        ; implicit-def: $vgpr2
.LBB190_1683:
	s_delay_alu instid0(SALU_CYCLE_1)
	s_and_not1_b32 vcc_lo, exec_lo, s0
	s_cbranch_vccnz .LBB190_1685
; %bb.1684:
	global_load_u8 v0, v[0:1], off
	s_wait_loadcnt 0x0
	v_cvt_f16_u16_e32 v2, v0
.LBB190_1685:
	s_or_b32 s28, s28, exec_lo
.LBB190_1686:
	s_wait_xcnt 0x0
	s_or_b32 exec_lo, exec_lo, s25
	s_mov_b32 s27, 0
	s_mov_b32 s29, 0
	;; [unrolled: 1-line block ×3, first 2 shown]
                                        ; implicit-def: $sgpr0
                                        ; implicit-def: $vgpr0_vgpr1
                                        ; implicit-def: $vgpr3
	s_and_saveexec_b32 s25, s28
	s_cbranch_execz .LBB190_1694
; %bb.1687:
	v_mul_lo_u32 v0, v8, s14
	s_and_b32 s0, s17, 0xff
	s_delay_alu instid0(SALU_CYCLE_1) | instskip(NEXT) | instid1(VALU_DEP_1)
	s_cmp_lt_i32 s0, 11
	v_ashrrev_i32_e32 v1, 31, v0
	s_delay_alu instid0(VALU_DEP_1)
	v_add_nc_u64_e32 v[0:1], s[8:9], v[0:1]
	s_cbranch_scc1 .LBB190_1697
; %bb.1688:
	s_and_b32 s26, 0xffff, s0
	s_mov_b32 s28, 0
	s_cmp_gt_i32 s26, 25
	s_cbranch_scc0 .LBB190_1698
; %bb.1689:
	s_cmp_gt_i32 s26, 28
	s_cbranch_scc0 .LBB190_1699
; %bb.1690:
	;; [unrolled: 3-line block ×4, first 2 shown]
	s_cmp_eq_u32 s26, 46
	s_mov_b32 s30, 0
	s_cbranch_scc0 .LBB190_1702
; %bb.1693:
	s_wait_loadcnt 0x0
	global_load_b32 v3, v[0:1], off
	s_mov_b32 s29, -1
	s_wait_loadcnt 0x0
	v_lshlrev_b32_e32 v3, 16, v3
	s_delay_alu instid0(VALU_DEP_1)
	v_cvt_f16_f32_e32 v3, v3
	s_branch .LBB190_1704
.LBB190_1694:
	s_or_b32 exec_lo, exec_lo, s25
	s_and_saveexec_b32 s25, s24
	s_cbranch_execnz .LBB190_1767
.LBB190_1695:
	s_or_b32 exec_lo, exec_lo, s25
	s_and_saveexec_b32 s24, s27
	s_delay_alu instid0(SALU_CYCLE_1)
	s_xor_b32 s24, exec_lo, s24
	s_cbranch_execz .LBB190_1768
.LBB190_1696:
	s_wait_loadcnt 0x0
	global_load_u8 v3, v[0:1], off
	s_or_b32 s26, s26, exec_lo
	s_wait_loadcnt 0x0
	v_cmp_ne_u16_e32 vcc_lo, 0, v3
	v_cndmask_b32_e64 v3, 0, 0x3c00, vcc_lo
	s_wait_xcnt 0x0
	s_or_b32 exec_lo, exec_lo, s24
	s_and_saveexec_b32 s24, s29
	s_cbranch_execz .LBB190_1814
	s_branch .LBB190_1769
.LBB190_1697:
	s_mov_b32 s30, -1
	s_mov_b32 s28, 0
	s_mov_b32 s27, s24
                                        ; implicit-def: $vgpr3
	s_branch .LBB190_1766
.LBB190_1698:
	s_mov_b32 s27, s24
                                        ; implicit-def: $vgpr3
	s_cbranch_execnz .LBB190_1733
	s_branch .LBB190_1765
.LBB190_1699:
	s_mov_b32 s30, -1
	s_mov_b32 s27, s24
                                        ; implicit-def: $vgpr3
	s_branch .LBB190_1714
.LBB190_1700:
	s_mov_b32 s30, -1
	s_mov_b32 s27, s24
                                        ; implicit-def: $vgpr3
	s_branch .LBB190_1709
.LBB190_1701:
	s_mov_b32 s30, -1
	s_mov_b32 s27, s24
	s_branch .LBB190_1703
.LBB190_1702:
	s_mov_b32 s27, -1
.LBB190_1703:
                                        ; implicit-def: $vgpr3
.LBB190_1704:
	s_and_b32 vcc_lo, exec_lo, s30
	s_cbranch_vccz .LBB190_1708
; %bb.1705:
	s_cmp_eq_u32 s26, 44
	s_cbranch_scc0 .LBB190_1707
; %bb.1706:
	s_wait_loadcnt 0x0
	global_load_u8 v3, v[0:1], off
	s_mov_b32 s27, 0
	s_mov_b32 s29, -1
	s_wait_loadcnt 0x0
	v_lshlrev_b32_e32 v4, 23, v3
	v_cmp_ne_u32_e32 vcc_lo, 0xff, v3
	s_delay_alu instid0(VALU_DEP_2) | instskip(NEXT) | instid1(VALU_DEP_1)
	v_cvt_f16_f32_e32 v4, v4
	v_cndmask_b32_e32 v4, 0x7e00, v4, vcc_lo
	v_cmp_ne_u32_e32 vcc_lo, 0, v3
	s_delay_alu instid0(VALU_DEP_2)
	v_cndmask_b32_e32 v3, 0, v4, vcc_lo
	s_branch .LBB190_1708
.LBB190_1707:
	s_mov_b32 s27, -1
                                        ; implicit-def: $vgpr3
.LBB190_1708:
	s_mov_b32 s30, 0
.LBB190_1709:
	s_delay_alu instid0(SALU_CYCLE_1)
	s_and_b32 vcc_lo, exec_lo, s30
	s_cbranch_vccz .LBB190_1713
; %bb.1710:
	s_cmp_eq_u32 s26, 29
	s_cbranch_scc0 .LBB190_1712
; %bb.1711:
	s_wait_loadcnt 0x0
	global_load_b64 v[4:5], v[0:1], off
	s_mov_b32 s27, 0
	s_mov_b32 s29, -1
	s_mov_b32 s30, 0
	s_wait_loadcnt 0x0
	v_clz_i32_u32_e32 v3, v5
	s_delay_alu instid0(VALU_DEP_1) | instskip(NEXT) | instid1(VALU_DEP_1)
	v_min_u32_e32 v3, 32, v3
	v_lshlrev_b64_e32 v[4:5], v3, v[4:5]
	v_sub_nc_u32_e32 v3, 32, v3
	s_delay_alu instid0(VALU_DEP_2) | instskip(NEXT) | instid1(VALU_DEP_1)
	v_min_u32_e32 v4, 1, v4
	v_or_b32_e32 v4, v5, v4
	s_delay_alu instid0(VALU_DEP_1) | instskip(NEXT) | instid1(VALU_DEP_1)
	v_cvt_f32_u32_e32 v4, v4
	v_ldexp_f32 v3, v4, v3
	s_delay_alu instid0(VALU_DEP_1)
	v_cvt_f16_f32_e32 v3, v3
	s_branch .LBB190_1714
.LBB190_1712:
	s_mov_b32 s27, -1
                                        ; implicit-def: $vgpr3
.LBB190_1713:
	s_mov_b32 s30, 0
.LBB190_1714:
	s_delay_alu instid0(SALU_CYCLE_1)
	s_and_b32 vcc_lo, exec_lo, s30
	s_cbranch_vccz .LBB190_1732
; %bb.1715:
	s_cmp_lt_i32 s26, 27
	s_cbranch_scc1 .LBB190_1718
; %bb.1716:
	s_cmp_gt_i32 s26, 27
	s_cbranch_scc0 .LBB190_1719
; %bb.1717:
	s_wait_loadcnt 0x0
	global_load_b32 v3, v[0:1], off
	s_mov_b32 s29, 0
	s_wait_loadcnt 0x0
	v_cvt_f32_u32_e32 v3, v3
	s_delay_alu instid0(VALU_DEP_1)
	v_cvt_f16_f32_e32 v3, v3
	s_branch .LBB190_1720
.LBB190_1718:
	s_mov_b32 s29, -1
                                        ; implicit-def: $vgpr3
	s_branch .LBB190_1723
.LBB190_1719:
	s_mov_b32 s29, -1
                                        ; implicit-def: $vgpr3
.LBB190_1720:
	s_delay_alu instid0(SALU_CYCLE_1)
	s_and_not1_b32 vcc_lo, exec_lo, s29
	s_cbranch_vccnz .LBB190_1722
; %bb.1721:
	s_wait_loadcnt 0x0
	global_load_u16 v3, v[0:1], off
	s_wait_loadcnt 0x0
	v_cvt_f16_u16_e32 v3, v3
.LBB190_1722:
	s_mov_b32 s29, 0
.LBB190_1723:
	s_delay_alu instid0(SALU_CYCLE_1)
	s_and_not1_b32 vcc_lo, exec_lo, s29
	s_cbranch_vccnz .LBB190_1731
; %bb.1724:
	s_wait_loadcnt 0x0
	global_load_u8 v4, v[0:1], off
	s_mov_b32 s29, 0
	s_mov_b32 s30, exec_lo
	s_wait_loadcnt 0x0
	v_cmpx_lt_i16_e32 0x7f, v4
	s_xor_b32 s30, exec_lo, s30
	s_cbranch_execz .LBB190_1744
; %bb.1725:
	s_mov_b32 s29, -1
	s_mov_b32 s31, exec_lo
	v_cmpx_eq_u16_e32 0x80, v4
; %bb.1726:
	s_xor_b32 s29, exec_lo, -1
; %bb.1727:
	s_or_b32 exec_lo, exec_lo, s31
	s_delay_alu instid0(SALU_CYCLE_1)
	s_and_b32 s29, s29, exec_lo
	s_or_saveexec_b32 s30, s30
	v_mov_b32_e32 v3, 0x7e00
	s_xor_b32 exec_lo, exec_lo, s30
	s_cbranch_execnz .LBB190_1745
.LBB190_1728:
	s_or_b32 exec_lo, exec_lo, s30
	s_and_saveexec_b32 s30, s29
	s_cbranch_execz .LBB190_1730
.LBB190_1729:
	v_and_b32_e32 v3, 0xffff, v4
	s_delay_alu instid0(VALU_DEP_1) | instskip(SKIP_1) | instid1(VALU_DEP_2)
	v_and_b32_e32 v5, 7, v3
	v_bfe_u32 v9, v3, 3, 4
	v_clz_i32_u32_e32 v6, v5
	s_delay_alu instid0(VALU_DEP_2) | instskip(NEXT) | instid1(VALU_DEP_2)
	v_cmp_eq_u32_e32 vcc_lo, 0, v9
	v_min_u32_e32 v6, 32, v6
	s_delay_alu instid0(VALU_DEP_1) | instskip(NEXT) | instid1(VALU_DEP_1)
	v_subrev_nc_u32_e32 v7, 28, v6
	v_dual_lshlrev_b32 v3, v7, v3 :: v_dual_sub_nc_u32 v6, 29, v6
	s_delay_alu instid0(VALU_DEP_1) | instskip(NEXT) | instid1(VALU_DEP_2)
	v_dual_lshlrev_b32 v4, 24, v4 :: v_dual_bitop2_b32 v3, 7, v3 bitop3:0x40
	v_cndmask_b32_e32 v6, v9, v6, vcc_lo
	s_delay_alu instid0(VALU_DEP_2) | instskip(NEXT) | instid1(VALU_DEP_3)
	v_cndmask_b32_e32 v3, v5, v3, vcc_lo
	v_and_b32_e32 v4, 0x80000000, v4
	s_delay_alu instid0(VALU_DEP_3) | instskip(NEXT) | instid1(VALU_DEP_3)
	v_lshl_add_u32 v5, v6, 23, 0x3b800000
	v_lshlrev_b32_e32 v3, 20, v3
	s_delay_alu instid0(VALU_DEP_1) | instskip(NEXT) | instid1(VALU_DEP_1)
	v_or3_b32 v3, v4, v5, v3
	v_cvt_f16_f32_e32 v3, v3
.LBB190_1730:
	s_or_b32 exec_lo, exec_lo, s30
.LBB190_1731:
	s_mov_b32 s29, -1
.LBB190_1732:
	s_branch .LBB190_1765
.LBB190_1733:
	s_cmp_gt_i32 s26, 22
	s_cbranch_scc0 .LBB190_1743
; %bb.1734:
	s_cmp_lt_i32 s26, 24
	s_cbranch_scc1 .LBB190_1746
; %bb.1735:
	s_cmp_gt_i32 s26, 24
	s_cbranch_scc0 .LBB190_1747
; %bb.1736:
	s_wait_loadcnt 0x0
	global_load_u8 v4, v[0:1], off
	s_mov_b32 s29, exec_lo
	s_wait_loadcnt 0x0
	v_cmpx_lt_i16_e32 0x7f, v4
	s_xor_b32 s29, exec_lo, s29
	s_cbranch_execz .LBB190_1759
; %bb.1737:
	s_mov_b32 s28, -1
	s_mov_b32 s30, exec_lo
	v_cmpx_eq_u16_e32 0x80, v4
; %bb.1738:
	s_xor_b32 s28, exec_lo, -1
; %bb.1739:
	s_or_b32 exec_lo, exec_lo, s30
	s_delay_alu instid0(SALU_CYCLE_1)
	s_and_b32 s28, s28, exec_lo
	s_or_saveexec_b32 s29, s29
	v_mov_b32_e32 v3, 0x7e00
	s_xor_b32 exec_lo, exec_lo, s29
	s_cbranch_execnz .LBB190_1760
.LBB190_1740:
	s_or_b32 exec_lo, exec_lo, s29
	s_and_saveexec_b32 s29, s28
	s_cbranch_execz .LBB190_1742
.LBB190_1741:
	v_and_b32_e32 v3, 0xffff, v4
	s_delay_alu instid0(VALU_DEP_1) | instskip(SKIP_1) | instid1(VALU_DEP_2)
	v_and_b32_e32 v5, 3, v3
	v_bfe_u32 v9, v3, 2, 5
	v_clz_i32_u32_e32 v6, v5
	s_delay_alu instid0(VALU_DEP_2) | instskip(NEXT) | instid1(VALU_DEP_2)
	v_cmp_eq_u32_e32 vcc_lo, 0, v9
	v_min_u32_e32 v6, 32, v6
	s_delay_alu instid0(VALU_DEP_1) | instskip(NEXT) | instid1(VALU_DEP_1)
	v_subrev_nc_u32_e32 v7, 29, v6
	v_dual_lshlrev_b32 v3, v7, v3 :: v_dual_sub_nc_u32 v6, 30, v6
	s_delay_alu instid0(VALU_DEP_1) | instskip(NEXT) | instid1(VALU_DEP_2)
	v_dual_lshlrev_b32 v4, 24, v4 :: v_dual_bitop2_b32 v3, 3, v3 bitop3:0x40
	v_cndmask_b32_e32 v6, v9, v6, vcc_lo
	s_delay_alu instid0(VALU_DEP_2) | instskip(NEXT) | instid1(VALU_DEP_3)
	v_cndmask_b32_e32 v3, v5, v3, vcc_lo
	v_and_b32_e32 v4, 0x80000000, v4
	s_delay_alu instid0(VALU_DEP_3) | instskip(NEXT) | instid1(VALU_DEP_3)
	v_lshl_add_u32 v5, v6, 23, 0x37800000
	v_lshlrev_b32_e32 v3, 21, v3
	s_delay_alu instid0(VALU_DEP_1) | instskip(NEXT) | instid1(VALU_DEP_1)
	v_or3_b32 v3, v4, v5, v3
	v_cvt_f16_f32_e32 v3, v3
.LBB190_1742:
	s_or_b32 exec_lo, exec_lo, s29
	s_mov_b32 s28, 0
	s_branch .LBB190_1748
.LBB190_1743:
	s_mov_b32 s28, -1
                                        ; implicit-def: $vgpr3
	s_branch .LBB190_1754
.LBB190_1744:
	s_or_saveexec_b32 s30, s30
	v_mov_b32_e32 v3, 0x7e00
	s_xor_b32 exec_lo, exec_lo, s30
	s_cbranch_execz .LBB190_1728
.LBB190_1745:
	v_cmp_ne_u16_e32 vcc_lo, 0, v4
	v_mov_b32_e32 v3, v4
	s_and_not1_b32 s29, s29, exec_lo
	s_and_b32 s31, vcc_lo, exec_lo
	s_delay_alu instid0(SALU_CYCLE_1)
	s_or_b32 s29, s29, s31
	s_or_b32 exec_lo, exec_lo, s30
	s_and_saveexec_b32 s30, s29
	s_cbranch_execnz .LBB190_1729
	s_branch .LBB190_1730
.LBB190_1746:
	s_mov_b32 s28, -1
                                        ; implicit-def: $vgpr3
	s_branch .LBB190_1751
.LBB190_1747:
	s_mov_b32 s28, -1
                                        ; implicit-def: $vgpr3
.LBB190_1748:
	s_delay_alu instid0(SALU_CYCLE_1)
	s_and_b32 vcc_lo, exec_lo, s28
	s_cbranch_vccz .LBB190_1750
; %bb.1749:
	s_wait_loadcnt 0x0
	global_load_u8 v3, v[0:1], off
	s_wait_loadcnt 0x0
	v_lshlrev_b32_e32 v3, 24, v3
	s_delay_alu instid0(VALU_DEP_1) | instskip(NEXT) | instid1(VALU_DEP_1)
	v_and_b32_e32 v4, 0x7f000000, v3
	v_clz_i32_u32_e32 v5, v4
	v_cmp_ne_u32_e32 vcc_lo, 0, v4
	v_add_nc_u32_e32 v7, 0x1000000, v4
	s_delay_alu instid0(VALU_DEP_3) | instskip(NEXT) | instid1(VALU_DEP_1)
	v_min_u32_e32 v5, 32, v5
	v_sub_nc_u32_e64 v5, v5, 4 clamp
	s_delay_alu instid0(VALU_DEP_1) | instskip(NEXT) | instid1(VALU_DEP_1)
	v_dual_lshlrev_b32 v6, v5, v4 :: v_dual_lshlrev_b32 v5, 23, v5
	v_lshrrev_b32_e32 v6, 4, v6
	s_delay_alu instid0(VALU_DEP_1) | instskip(NEXT) | instid1(VALU_DEP_1)
	v_dual_sub_nc_u32 v5, v6, v5 :: v_dual_ashrrev_i32 v6, 8, v7
	v_add_nc_u32_e32 v5, 0x3c000000, v5
	s_delay_alu instid0(VALU_DEP_1) | instskip(NEXT) | instid1(VALU_DEP_1)
	v_and_or_b32 v5, 0x7f800000, v6, v5
	v_cndmask_b32_e32 v4, 0, v5, vcc_lo
	s_delay_alu instid0(VALU_DEP_1) | instskip(NEXT) | instid1(VALU_DEP_1)
	v_and_or_b32 v3, 0x80000000, v3, v4
	v_cvt_f16_f32_e32 v3, v3
.LBB190_1750:
	s_mov_b32 s28, 0
.LBB190_1751:
	s_delay_alu instid0(SALU_CYCLE_1)
	s_and_not1_b32 vcc_lo, exec_lo, s28
	s_cbranch_vccnz .LBB190_1753
; %bb.1752:
	s_wait_loadcnt 0x0
	global_load_u8 v3, v[0:1], off
	s_wait_loadcnt 0x0
	v_lshlrev_b32_e32 v4, 25, v3
	v_lshlrev_b16 v3, 8, v3
	s_delay_alu instid0(VALU_DEP_1) | instskip(SKIP_1) | instid1(VALU_DEP_2)
	v_and_or_b32 v6, 0x7f00, v3, 0.5
	v_bfe_i32 v3, v3, 0, 16
	v_dual_add_f32 v6, -0.5, v6 :: v_dual_lshrrev_b32 v5, 4, v4
	v_cmp_gt_u32_e32 vcc_lo, 0x8000000, v4
	s_delay_alu instid0(VALU_DEP_2) | instskip(NEXT) | instid1(VALU_DEP_1)
	v_or_b32_e32 v5, 0x70000000, v5
	v_mul_f32_e32 v5, 0x7800000, v5
	s_delay_alu instid0(VALU_DEP_1) | instskip(NEXT) | instid1(VALU_DEP_1)
	v_cndmask_b32_e32 v4, v5, v6, vcc_lo
	v_and_or_b32 v3, 0x80000000, v3, v4
	s_delay_alu instid0(VALU_DEP_1)
	v_cvt_f16_f32_e32 v3, v3
.LBB190_1753:
	s_mov_b32 s28, 0
	s_mov_b32 s29, -1
.LBB190_1754:
	s_and_not1_b32 vcc_lo, exec_lo, s28
	s_mov_b32 s28, 0
	s_cbranch_vccnz .LBB190_1765
; %bb.1755:
	s_cmp_gt_i32 s26, 14
	s_cbranch_scc0 .LBB190_1758
; %bb.1756:
	s_cmp_eq_u32 s26, 15
	s_cbranch_scc0 .LBB190_1761
; %bb.1757:
	s_wait_loadcnt 0x0
	global_load_u16 v3, v[0:1], off
	s_mov_b32 s27, 0
	s_mov_b32 s29, -1
	s_wait_loadcnt 0x0
	v_lshlrev_b32_e32 v3, 16, v3
	s_delay_alu instid0(VALU_DEP_1)
	v_cvt_f16_f32_e32 v3, v3
	s_branch .LBB190_1763
.LBB190_1758:
	s_mov_b32 s28, -1
	s_branch .LBB190_1762
.LBB190_1759:
	s_or_saveexec_b32 s29, s29
	v_mov_b32_e32 v3, 0x7e00
	s_xor_b32 exec_lo, exec_lo, s29
	s_cbranch_execz .LBB190_1740
.LBB190_1760:
	v_cmp_ne_u16_e32 vcc_lo, 0, v4
	v_mov_b32_e32 v3, v4
	s_and_not1_b32 s28, s28, exec_lo
	s_and_b32 s30, vcc_lo, exec_lo
	s_delay_alu instid0(SALU_CYCLE_1)
	s_or_b32 s28, s28, s30
	s_or_b32 exec_lo, exec_lo, s29
	s_and_saveexec_b32 s29, s28
	s_cbranch_execnz .LBB190_1741
	s_branch .LBB190_1742
.LBB190_1761:
	s_mov_b32 s27, -1
.LBB190_1762:
                                        ; implicit-def: $vgpr3
.LBB190_1763:
	s_and_b32 vcc_lo, exec_lo, s28
	s_mov_b32 s28, 0
	s_cbranch_vccz .LBB190_1765
; %bb.1764:
	s_cmp_lg_u32 s26, 11
	s_mov_b32 s28, -1
	s_cselect_b32 s26, -1, 0
	s_and_not1_b32 s27, s27, exec_lo
	s_and_b32 s26, s26, exec_lo
	s_delay_alu instid0(SALU_CYCLE_1)
	s_or_b32 s27, s27, s26
.LBB190_1765:
	s_mov_b32 s30, 0
.LBB190_1766:
	s_and_b32 s26, s29, exec_lo
	s_and_b32 s29, s30, exec_lo
	s_and_not1_b32 s24, s24, exec_lo
	s_and_b32 s30, s27, exec_lo
	s_and_b32 s27, s28, exec_lo
	s_or_b32 s24, s24, s30
	s_wait_xcnt 0x0
	s_or_b32 exec_lo, exec_lo, s25
	s_and_saveexec_b32 s25, s24
	s_cbranch_execz .LBB190_1695
.LBB190_1767:
	s_or_b32 s22, s22, exec_lo
	s_and_not1_b32 s27, s27, exec_lo
	s_trap 2
	s_or_b32 exec_lo, exec_lo, s25
	s_and_saveexec_b32 s24, s27
	s_delay_alu instid0(SALU_CYCLE_1)
	s_xor_b32 s24, exec_lo, s24
	s_cbranch_execnz .LBB190_1696
.LBB190_1768:
	s_or_b32 exec_lo, exec_lo, s24
	s_and_saveexec_b32 s24, s29
	s_cbranch_execz .LBB190_1814
.LBB190_1769:
	s_sext_i32_i16 s25, s0
	s_delay_alu instid0(SALU_CYCLE_1)
	s_cmp_lt_i32 s25, 5
	s_cbranch_scc1 .LBB190_1774
; %bb.1770:
	s_cmp_lt_i32 s25, 8
	s_cbranch_scc1 .LBB190_1775
; %bb.1771:
	;; [unrolled: 3-line block ×3, first 2 shown]
	s_cmp_gt_i32 s25, 9
	s_cbranch_scc0 .LBB190_1777
; %bb.1773:
	s_wait_loadcnt 0x0
	global_load_b64 v[4:5], v[0:1], off
	s_mov_b32 s25, 0
	s_wait_loadcnt 0x0
	v_and_or_b32 v3, 0x1ff, v5, v4
	v_lshrrev_b32_e32 v4, 8, v5
	v_bfe_u32 v6, v5, 20, 11
	s_delay_alu instid0(VALU_DEP_3) | instskip(NEXT) | instid1(VALU_DEP_2)
	v_cmp_ne_u32_e32 vcc_lo, 0, v3
	v_sub_nc_u32_e32 v7, 0x3f1, v6
	v_add_nc_u32_e32 v6, 0xfffffc10, v6
	v_cndmask_b32_e64 v3, 0, 1, vcc_lo
	s_delay_alu instid0(VALU_DEP_1) | instskip(NEXT) | instid1(VALU_DEP_4)
	v_and_or_b32 v3, 0xffe, v4, v3
	v_med3_i32 v4, v7, 0, 13
	s_delay_alu instid0(VALU_DEP_2) | instskip(NEXT) | instid1(VALU_DEP_1)
	v_or_b32_e32 v7, 0x1000, v3
	v_lshrrev_b32_e32 v9, v4, v7
	s_delay_alu instid0(VALU_DEP_1) | instskip(NEXT) | instid1(VALU_DEP_1)
	v_lshlrev_b32_e32 v4, v4, v9
	v_cmp_ne_u32_e32 vcc_lo, v4, v7
	v_lshl_or_b32 v7, v6, 12, v3
	v_cndmask_b32_e64 v4, 0, 1, vcc_lo
	v_cmp_gt_i32_e32 vcc_lo, 1, v6
	s_delay_alu instid0(VALU_DEP_2) | instskip(NEXT) | instid1(VALU_DEP_1)
	v_or_b32_e32 v4, v9, v4
	v_cndmask_b32_e32 v4, v7, v4, vcc_lo
	s_delay_alu instid0(VALU_DEP_1) | instskip(NEXT) | instid1(VALU_DEP_1)
	v_dual_lshrrev_b32 v4, 2, v4 :: v_dual_bitop2_b32 v7, 7, v4 bitop3:0x40
	v_cmp_lt_i32_e32 vcc_lo, 5, v7
	v_cndmask_b32_e64 v9, 0, 1, vcc_lo
	v_cmp_eq_u32_e32 vcc_lo, 3, v7
	v_cndmask_b32_e64 v7, 0, 1, vcc_lo
	v_cmp_ne_u32_e32 vcc_lo, 0, v3
	s_delay_alu instid0(VALU_DEP_2) | instskip(NEXT) | instid1(VALU_DEP_1)
	v_or_b32_e32 v7, v7, v9
	v_dual_mov_b32 v9, 0x7e00 :: v_dual_add_nc_u32 v4, v4, v7
	s_delay_alu instid0(VALU_DEP_1) | instskip(SKIP_1) | instid1(VALU_DEP_3)
	v_cndmask_b32_e32 v3, 0x7c00, v9, vcc_lo
	v_cmp_gt_i32_e32 vcc_lo, 31, v6
	v_cndmask_b32_e32 v4, 0x7c00, v4, vcc_lo
	v_cmp_eq_u32_e32 vcc_lo, 0x40f, v6
	s_delay_alu instid0(VALU_DEP_2) | instskip(NEXT) | instid1(VALU_DEP_1)
	v_dual_cndmask_b32 v3, v4, v3 :: v_dual_lshrrev_b32 v4, 16, v5
	v_and_or_b32 v3, 0x8000, v4, v3
	s_branch .LBB190_1778
.LBB190_1774:
                                        ; implicit-def: $vgpr3
	s_branch .LBB190_1795
.LBB190_1775:
                                        ; implicit-def: $vgpr3
	s_branch .LBB190_1784
.LBB190_1776:
	s_mov_b32 s25, -1
                                        ; implicit-def: $vgpr3
	s_branch .LBB190_1781
.LBB190_1777:
	s_mov_b32 s25, -1
                                        ; implicit-def: $vgpr3
.LBB190_1778:
	s_delay_alu instid0(SALU_CYCLE_1)
	s_and_not1_b32 vcc_lo, exec_lo, s25
	s_cbranch_vccnz .LBB190_1780
; %bb.1779:
	s_wait_loadcnt 0x0
	global_load_b32 v3, v[0:1], off
	s_wait_loadcnt 0x0
	v_cvt_f16_f32_e32 v3, v3
.LBB190_1780:
	s_mov_b32 s25, 0
.LBB190_1781:
	s_delay_alu instid0(SALU_CYCLE_1)
	s_and_not1_b32 vcc_lo, exec_lo, s25
	s_cbranch_vccnz .LBB190_1783
; %bb.1782:
	s_wait_loadcnt 0x0
	global_load_b32 v3, v[0:1], off
.LBB190_1783:
	s_cbranch_execnz .LBB190_1794
.LBB190_1784:
	s_sext_i32_i16 s25, s0
	s_delay_alu instid0(SALU_CYCLE_1)
	s_cmp_lt_i32 s25, 6
	s_cbranch_scc1 .LBB190_1787
; %bb.1785:
	s_cmp_gt_i32 s25, 6
	s_cbranch_scc0 .LBB190_1788
; %bb.1786:
	s_wait_loadcnt 0x0
	global_load_b64 v[4:5], v[0:1], off
	s_mov_b32 s25, 0
	s_wait_loadcnt 0x0
	v_and_or_b32 v3, 0x1ff, v5, v4
	v_lshrrev_b32_e32 v4, 8, v5
	v_bfe_u32 v6, v5, 20, 11
	s_delay_alu instid0(VALU_DEP_3) | instskip(NEXT) | instid1(VALU_DEP_2)
	v_cmp_ne_u32_e32 vcc_lo, 0, v3
	v_sub_nc_u32_e32 v7, 0x3f1, v6
	v_add_nc_u32_e32 v6, 0xfffffc10, v6
	v_cndmask_b32_e64 v3, 0, 1, vcc_lo
	s_delay_alu instid0(VALU_DEP_1) | instskip(NEXT) | instid1(VALU_DEP_4)
	v_and_or_b32 v3, 0xffe, v4, v3
	v_med3_i32 v4, v7, 0, 13
	s_delay_alu instid0(VALU_DEP_2) | instskip(NEXT) | instid1(VALU_DEP_1)
	v_or_b32_e32 v7, 0x1000, v3
	v_lshrrev_b32_e32 v9, v4, v7
	s_delay_alu instid0(VALU_DEP_1) | instskip(NEXT) | instid1(VALU_DEP_1)
	v_lshlrev_b32_e32 v4, v4, v9
	v_cmp_ne_u32_e32 vcc_lo, v4, v7
	v_lshl_or_b32 v7, v6, 12, v3
	v_cndmask_b32_e64 v4, 0, 1, vcc_lo
	v_cmp_gt_i32_e32 vcc_lo, 1, v6
	s_delay_alu instid0(VALU_DEP_2) | instskip(NEXT) | instid1(VALU_DEP_1)
	v_or_b32_e32 v4, v9, v4
	v_cndmask_b32_e32 v4, v7, v4, vcc_lo
	s_delay_alu instid0(VALU_DEP_1) | instskip(NEXT) | instid1(VALU_DEP_1)
	v_dual_lshrrev_b32 v4, 2, v4 :: v_dual_bitop2_b32 v7, 7, v4 bitop3:0x40
	v_cmp_lt_i32_e32 vcc_lo, 5, v7
	v_cndmask_b32_e64 v9, 0, 1, vcc_lo
	v_cmp_eq_u32_e32 vcc_lo, 3, v7
	v_cndmask_b32_e64 v7, 0, 1, vcc_lo
	v_cmp_ne_u32_e32 vcc_lo, 0, v3
	s_delay_alu instid0(VALU_DEP_2) | instskip(NEXT) | instid1(VALU_DEP_1)
	v_or_b32_e32 v7, v7, v9
	v_dual_mov_b32 v9, 0x7e00 :: v_dual_add_nc_u32 v4, v4, v7
	s_delay_alu instid0(VALU_DEP_1) | instskip(SKIP_1) | instid1(VALU_DEP_3)
	v_cndmask_b32_e32 v3, 0x7c00, v9, vcc_lo
	v_cmp_gt_i32_e32 vcc_lo, 31, v6
	v_cndmask_b32_e32 v4, 0x7c00, v4, vcc_lo
	v_cmp_eq_u32_e32 vcc_lo, 0x40f, v6
	s_delay_alu instid0(VALU_DEP_2) | instskip(NEXT) | instid1(VALU_DEP_1)
	v_dual_cndmask_b32 v3, v4, v3 :: v_dual_lshrrev_b32 v4, 16, v5
	v_and_or_b32 v3, 0x8000, v4, v3
	s_branch .LBB190_1789
.LBB190_1787:
	s_mov_b32 s25, -1
                                        ; implicit-def: $vgpr3
	s_branch .LBB190_1792
.LBB190_1788:
	s_mov_b32 s25, -1
                                        ; implicit-def: $vgpr3
.LBB190_1789:
	s_delay_alu instid0(SALU_CYCLE_1)
	s_and_not1_b32 vcc_lo, exec_lo, s25
	s_cbranch_vccnz .LBB190_1791
; %bb.1790:
	s_wait_loadcnt 0x0
	global_load_b32 v3, v[0:1], off
	s_wait_loadcnt 0x0
	v_cvt_f16_f32_e32 v3, v3
.LBB190_1791:
	s_mov_b32 s25, 0
.LBB190_1792:
	s_delay_alu instid0(SALU_CYCLE_1)
	s_and_not1_b32 vcc_lo, exec_lo, s25
	s_cbranch_vccnz .LBB190_1794
; %bb.1793:
	s_wait_loadcnt 0x0
	global_load_u16 v3, v[0:1], off
.LBB190_1794:
	s_cbranch_execnz .LBB190_1813
.LBB190_1795:
	s_sext_i32_i16 s25, s0
	s_delay_alu instid0(SALU_CYCLE_1)
	s_cmp_lt_i32 s25, 2
	s_cbranch_scc1 .LBB190_1799
; %bb.1796:
	s_cmp_lt_i32 s25, 3
	s_cbranch_scc1 .LBB190_1800
; %bb.1797:
	s_cmp_gt_i32 s25, 3
	s_cbranch_scc0 .LBB190_1801
; %bb.1798:
	s_wait_loadcnt 0x0
	global_load_b64 v[4:5], v[0:1], off
	s_mov_b32 s25, 0
	s_wait_loadcnt 0x0
	v_xor_b32_e32 v3, v4, v5
	v_cls_i32_e32 v6, v5
	s_delay_alu instid0(VALU_DEP_2) | instskip(NEXT) | instid1(VALU_DEP_1)
	v_ashrrev_i32_e32 v3, 31, v3
	v_add_nc_u32_e32 v3, 32, v3
	s_delay_alu instid0(VALU_DEP_1) | instskip(NEXT) | instid1(VALU_DEP_1)
	v_add_min_u32_e64 v3, v6, -1, v3
	v_lshlrev_b64_e32 v[4:5], v3, v[4:5]
	v_sub_nc_u32_e32 v3, 32, v3
	s_delay_alu instid0(VALU_DEP_2) | instskip(NEXT) | instid1(VALU_DEP_1)
	v_min_u32_e32 v4, 1, v4
	v_or_b32_e32 v4, v5, v4
	s_delay_alu instid0(VALU_DEP_1) | instskip(NEXT) | instid1(VALU_DEP_1)
	v_cvt_f32_i32_e32 v4, v4
	v_ldexp_f32 v3, v4, v3
	s_delay_alu instid0(VALU_DEP_1)
	v_cvt_f16_f32_e32 v3, v3
	s_branch .LBB190_1802
.LBB190_1799:
                                        ; implicit-def: $vgpr3
	s_branch .LBB190_1808
.LBB190_1800:
	s_mov_b32 s25, -1
                                        ; implicit-def: $vgpr3
	s_branch .LBB190_1805
.LBB190_1801:
	s_mov_b32 s25, -1
                                        ; implicit-def: $vgpr3
.LBB190_1802:
	s_delay_alu instid0(SALU_CYCLE_1)
	s_and_not1_b32 vcc_lo, exec_lo, s25
	s_cbranch_vccnz .LBB190_1804
; %bb.1803:
	s_wait_loadcnt 0x0
	global_load_b32 v3, v[0:1], off
	s_wait_loadcnt 0x0
	v_cvt_f32_i32_e32 v3, v3
	s_delay_alu instid0(VALU_DEP_1)
	v_cvt_f16_f32_e32 v3, v3
.LBB190_1804:
	s_mov_b32 s25, 0
.LBB190_1805:
	s_delay_alu instid0(SALU_CYCLE_1)
	s_and_not1_b32 vcc_lo, exec_lo, s25
	s_cbranch_vccnz .LBB190_1807
; %bb.1806:
	s_wait_loadcnt 0x0
	global_load_u16 v3, v[0:1], off
	s_wait_loadcnt 0x0
	v_cvt_f16_i16_e32 v3, v3
.LBB190_1807:
	s_cbranch_execnz .LBB190_1813
.LBB190_1808:
	s_sext_i32_i16 s0, s0
	s_delay_alu instid0(SALU_CYCLE_1)
	s_cmp_gt_i32 s0, 0
	s_mov_b32 s0, 0
	s_cbranch_scc0 .LBB190_1810
; %bb.1809:
	s_wait_loadcnt 0x0
	global_load_i8 v3, v[0:1], off
	s_wait_loadcnt 0x0
	v_cvt_f16_i16_e32 v3, v3
	s_branch .LBB190_1811
.LBB190_1810:
	s_mov_b32 s0, -1
                                        ; implicit-def: $vgpr3
.LBB190_1811:
	s_delay_alu instid0(SALU_CYCLE_1)
	s_and_not1_b32 vcc_lo, exec_lo, s0
	s_cbranch_vccnz .LBB190_1813
; %bb.1812:
	global_load_u8 v0, v[0:1], off
	s_wait_loadcnt 0x0
	v_cvt_f16_u16_e32 v3, v0
.LBB190_1813:
	s_or_b32 s26, s26, exec_lo
.LBB190_1814:
	s_wait_xcnt 0x0
	s_or_b32 exec_lo, exec_lo, s24
	s_mov_b32 s25, 0
	s_mov_b32 s24, 0
	;; [unrolled: 1-line block ×3, first 2 shown]
                                        ; implicit-def: $vgpr0_vgpr1
                                        ; implicit-def: $vgpr5
	s_and_saveexec_b32 s0, s26
	s_cbranch_execz .LBB190_1822
; %bb.1815:
	v_mul_lo_u32 v0, v8, s15
	s_and_b32 s24, 0xffff, s16
	s_delay_alu instid0(SALU_CYCLE_1) | instskip(NEXT) | instid1(VALU_DEP_1)
	s_cmp_lt_i32 s24, 11
	v_ashrrev_i32_e32 v1, 31, v0
	s_delay_alu instid0(VALU_DEP_1)
	v_add_nc_u64_e32 v[0:1], s[10:11], v[0:1]
	s_cbranch_scc1 .LBB190_1825
; %bb.1816:
	s_cmp_gt_i32 s24, 25
	s_mov_b32 s26, 0
	s_cbranch_scc0 .LBB190_1826
; %bb.1817:
	s_cmp_gt_i32 s24, 28
	s_cbranch_scc0 .LBB190_1827
; %bb.1818:
	s_cmp_gt_i32 s24, 43
	;; [unrolled: 3-line block ×3, first 2 shown]
	s_cbranch_scc0 .LBB190_1829
; %bb.1820:
	s_cmp_eq_u32 s24, 46
	s_mov_b32 s28, 0
	s_cbranch_scc0 .LBB190_1830
; %bb.1821:
	s_wait_loadcnt 0x0
	global_load_b32 v4, v[0:1], off
	s_mov_b32 s27, -1
	s_wait_loadcnt 0x0
	v_lshlrev_b32_e32 v4, 16, v4
	s_delay_alu instid0(VALU_DEP_1)
	v_cvt_f16_f32_e32 v5, v4
	s_branch .LBB190_1832
.LBB190_1822:
	s_or_b32 exec_lo, exec_lo, s0
	s_and_saveexec_b32 s0, s23
	s_cbranch_execnz .LBB190_1895
.LBB190_1823:
	s_or_b32 exec_lo, exec_lo, s0
	s_and_saveexec_b32 s0, s25
	s_delay_alu instid0(SALU_CYCLE_1)
	s_xor_b32 s0, exec_lo, s0
	s_cbranch_execz .LBB190_1896
.LBB190_1824:
	s_wait_loadcnt 0x0
	global_load_u8 v4, v[0:1], off
	s_or_b32 s27, s27, exec_lo
	s_wait_loadcnt 0x0
	v_cmp_ne_u16_e32 vcc_lo, 0, v4
	v_cndmask_b32_e64 v5, 0, 0x3c00, vcc_lo
	s_wait_xcnt 0x0
	s_or_b32 exec_lo, exec_lo, s0
	s_and_saveexec_b32 s0, s24
	s_cbranch_execz .LBB190_1942
	s_branch .LBB190_1897
.LBB190_1825:
	s_mov_b32 s24, -1
	s_mov_b32 s26, 0
	s_mov_b32 s25, s23
                                        ; implicit-def: $vgpr5
	s_branch .LBB190_1894
.LBB190_1826:
	s_mov_b32 s25, s23
                                        ; implicit-def: $vgpr5
	s_cbranch_execnz .LBB190_1861
	s_branch .LBB190_1893
.LBB190_1827:
	s_mov_b32 s28, -1
	s_mov_b32 s25, s23
                                        ; implicit-def: $vgpr5
	s_branch .LBB190_1842
.LBB190_1828:
	s_mov_b32 s28, -1
	s_mov_b32 s25, s23
                                        ; implicit-def: $vgpr5
	s_branch .LBB190_1837
.LBB190_1829:
	s_mov_b32 s28, -1
	s_mov_b32 s25, s23
	s_branch .LBB190_1831
.LBB190_1830:
	s_mov_b32 s25, -1
.LBB190_1831:
                                        ; implicit-def: $vgpr5
.LBB190_1832:
	s_and_b32 vcc_lo, exec_lo, s28
	s_cbranch_vccz .LBB190_1836
; %bb.1833:
	s_cmp_eq_u32 s24, 44
	s_cbranch_scc0 .LBB190_1835
; %bb.1834:
	s_wait_loadcnt 0x0
	global_load_u8 v4, v[0:1], off
	s_mov_b32 s25, 0
	s_mov_b32 s27, -1
	s_wait_loadcnt 0x0
	v_lshlrev_b32_e32 v5, 23, v4
	v_cmp_ne_u32_e32 vcc_lo, 0xff, v4
	s_delay_alu instid0(VALU_DEP_2) | instskip(NEXT) | instid1(VALU_DEP_1)
	v_cvt_f16_f32_e32 v5, v5
	v_cndmask_b32_e32 v5, 0x7e00, v5, vcc_lo
	v_cmp_ne_u32_e32 vcc_lo, 0, v4
	s_delay_alu instid0(VALU_DEP_2)
	v_cndmask_b32_e32 v5, 0, v5, vcc_lo
	s_branch .LBB190_1836
.LBB190_1835:
	s_mov_b32 s25, -1
                                        ; implicit-def: $vgpr5
.LBB190_1836:
	s_mov_b32 s28, 0
.LBB190_1837:
	s_delay_alu instid0(SALU_CYCLE_1)
	s_and_b32 vcc_lo, exec_lo, s28
	s_cbranch_vccz .LBB190_1841
; %bb.1838:
	s_cmp_eq_u32 s24, 29
	s_cbranch_scc0 .LBB190_1840
; %bb.1839:
	s_wait_loadcnt 0x0
	global_load_b64 v[4:5], v[0:1], off
	s_mov_b32 s25, 0
	s_mov_b32 s27, -1
	s_mov_b32 s28, 0
	s_wait_loadcnt 0x0
	v_clz_i32_u32_e32 v6, v5
	s_delay_alu instid0(VALU_DEP_1) | instskip(NEXT) | instid1(VALU_DEP_1)
	v_min_u32_e32 v6, 32, v6
	v_lshlrev_b64_e32 v[4:5], v6, v[4:5]
	s_delay_alu instid0(VALU_DEP_1) | instskip(NEXT) | instid1(VALU_DEP_1)
	v_min_u32_e32 v4, 1, v4
	v_dual_sub_nc_u32 v5, 32, v6 :: v_dual_bitop2_b32 v4, v5, v4 bitop3:0x54
	s_delay_alu instid0(VALU_DEP_1) | instskip(NEXT) | instid1(VALU_DEP_1)
	v_cvt_f32_u32_e32 v4, v4
	v_ldexp_f32 v4, v4, v5
	s_delay_alu instid0(VALU_DEP_1)
	v_cvt_f16_f32_e32 v5, v4
	s_branch .LBB190_1842
.LBB190_1840:
	s_mov_b32 s25, -1
                                        ; implicit-def: $vgpr5
.LBB190_1841:
	s_mov_b32 s28, 0
.LBB190_1842:
	s_delay_alu instid0(SALU_CYCLE_1)
	s_and_b32 vcc_lo, exec_lo, s28
	s_cbranch_vccz .LBB190_1860
; %bb.1843:
	s_cmp_lt_i32 s24, 27
	s_cbranch_scc1 .LBB190_1846
; %bb.1844:
	s_cmp_gt_i32 s24, 27
	s_cbranch_scc0 .LBB190_1847
; %bb.1845:
	s_wait_loadcnt 0x0
	global_load_b32 v4, v[0:1], off
	s_mov_b32 s27, 0
	s_wait_loadcnt 0x0
	v_cvt_f32_u32_e32 v4, v4
	s_delay_alu instid0(VALU_DEP_1)
	v_cvt_f16_f32_e32 v5, v4
	s_branch .LBB190_1848
.LBB190_1846:
	s_mov_b32 s27, -1
                                        ; implicit-def: $vgpr5
	s_branch .LBB190_1851
.LBB190_1847:
	s_mov_b32 s27, -1
                                        ; implicit-def: $vgpr5
.LBB190_1848:
	s_delay_alu instid0(SALU_CYCLE_1)
	s_and_not1_b32 vcc_lo, exec_lo, s27
	s_cbranch_vccnz .LBB190_1850
; %bb.1849:
	s_wait_loadcnt 0x0
	global_load_u16 v4, v[0:1], off
	s_wait_loadcnt 0x0
	v_cvt_f16_u16_e32 v5, v4
.LBB190_1850:
	s_mov_b32 s27, 0
.LBB190_1851:
	s_delay_alu instid0(SALU_CYCLE_1)
	s_and_not1_b32 vcc_lo, exec_lo, s27
	s_cbranch_vccnz .LBB190_1859
; %bb.1852:
	s_wait_loadcnt 0x0
	global_load_u8 v4, v[0:1], off
	s_mov_b32 s27, 0
	s_mov_b32 s28, exec_lo
	s_wait_loadcnt 0x0
	v_cmpx_lt_i16_e32 0x7f, v4
	s_xor_b32 s28, exec_lo, s28
	s_cbranch_execz .LBB190_1872
; %bb.1853:
	s_mov_b32 s27, -1
	s_mov_b32 s29, exec_lo
	v_cmpx_eq_u16_e32 0x80, v4
; %bb.1854:
	s_xor_b32 s27, exec_lo, -1
; %bb.1855:
	s_or_b32 exec_lo, exec_lo, s29
	s_delay_alu instid0(SALU_CYCLE_1)
	s_and_b32 s27, s27, exec_lo
	s_or_saveexec_b32 s28, s28
	v_mov_b32_e32 v5, 0x7e00
	s_xor_b32 exec_lo, exec_lo, s28
	s_cbranch_execnz .LBB190_1873
.LBB190_1856:
	s_or_b32 exec_lo, exec_lo, s28
	s_and_saveexec_b32 s28, s27
	s_cbranch_execz .LBB190_1858
.LBB190_1857:
	v_and_b32_e32 v5, 0xffff, v4
	s_delay_alu instid0(VALU_DEP_1) | instskip(SKIP_1) | instid1(VALU_DEP_2)
	v_and_b32_e32 v6, 7, v5
	v_bfe_u32 v10, v5, 3, 4
	v_clz_i32_u32_e32 v7, v6
	s_delay_alu instid0(VALU_DEP_2) | instskip(NEXT) | instid1(VALU_DEP_2)
	v_cmp_eq_u32_e32 vcc_lo, 0, v10
	v_min_u32_e32 v7, 32, v7
	s_delay_alu instid0(VALU_DEP_1) | instskip(NEXT) | instid1(VALU_DEP_1)
	v_subrev_nc_u32_e32 v9, 28, v7
	v_dual_lshlrev_b32 v5, v9, v5 :: v_dual_sub_nc_u32 v7, 29, v7
	s_delay_alu instid0(VALU_DEP_1) | instskip(NEXT) | instid1(VALU_DEP_2)
	v_dual_lshlrev_b32 v4, 24, v4 :: v_dual_bitop2_b32 v5, 7, v5 bitop3:0x40
	v_cndmask_b32_e32 v7, v10, v7, vcc_lo
	s_delay_alu instid0(VALU_DEP_2) | instskip(NEXT) | instid1(VALU_DEP_3)
	v_cndmask_b32_e32 v5, v6, v5, vcc_lo
	v_and_b32_e32 v4, 0x80000000, v4
	s_delay_alu instid0(VALU_DEP_3) | instskip(NEXT) | instid1(VALU_DEP_3)
	v_lshl_add_u32 v6, v7, 23, 0x3b800000
	v_lshlrev_b32_e32 v5, 20, v5
	s_delay_alu instid0(VALU_DEP_1) | instskip(NEXT) | instid1(VALU_DEP_1)
	v_or3_b32 v4, v4, v6, v5
	v_cvt_f16_f32_e32 v5, v4
.LBB190_1858:
	s_or_b32 exec_lo, exec_lo, s28
.LBB190_1859:
	s_mov_b32 s27, -1
.LBB190_1860:
	s_branch .LBB190_1893
.LBB190_1861:
	s_cmp_gt_i32 s24, 22
	s_cbranch_scc0 .LBB190_1871
; %bb.1862:
	s_cmp_lt_i32 s24, 24
	s_cbranch_scc1 .LBB190_1874
; %bb.1863:
	s_cmp_gt_i32 s24, 24
	s_cbranch_scc0 .LBB190_1875
; %bb.1864:
	s_wait_loadcnt 0x0
	global_load_u8 v4, v[0:1], off
	s_mov_b32 s27, exec_lo
	s_wait_loadcnt 0x0
	v_cmpx_lt_i16_e32 0x7f, v4
	s_xor_b32 s27, exec_lo, s27
	s_cbranch_execz .LBB190_1887
; %bb.1865:
	s_mov_b32 s26, -1
	s_mov_b32 s28, exec_lo
	v_cmpx_eq_u16_e32 0x80, v4
; %bb.1866:
	s_xor_b32 s26, exec_lo, -1
; %bb.1867:
	s_or_b32 exec_lo, exec_lo, s28
	s_delay_alu instid0(SALU_CYCLE_1)
	s_and_b32 s26, s26, exec_lo
	s_or_saveexec_b32 s27, s27
	v_mov_b32_e32 v5, 0x7e00
	s_xor_b32 exec_lo, exec_lo, s27
	s_cbranch_execnz .LBB190_1888
.LBB190_1868:
	s_or_b32 exec_lo, exec_lo, s27
	s_and_saveexec_b32 s27, s26
	s_cbranch_execz .LBB190_1870
.LBB190_1869:
	v_and_b32_e32 v5, 0xffff, v4
	s_delay_alu instid0(VALU_DEP_1) | instskip(SKIP_1) | instid1(VALU_DEP_2)
	v_and_b32_e32 v6, 3, v5
	v_bfe_u32 v10, v5, 2, 5
	v_clz_i32_u32_e32 v7, v6
	s_delay_alu instid0(VALU_DEP_2) | instskip(NEXT) | instid1(VALU_DEP_2)
	v_cmp_eq_u32_e32 vcc_lo, 0, v10
	v_min_u32_e32 v7, 32, v7
	s_delay_alu instid0(VALU_DEP_1) | instskip(NEXT) | instid1(VALU_DEP_1)
	v_subrev_nc_u32_e32 v9, 29, v7
	v_dual_lshlrev_b32 v5, v9, v5 :: v_dual_sub_nc_u32 v7, 30, v7
	s_delay_alu instid0(VALU_DEP_1) | instskip(NEXT) | instid1(VALU_DEP_2)
	v_dual_lshlrev_b32 v4, 24, v4 :: v_dual_bitop2_b32 v5, 3, v5 bitop3:0x40
	v_cndmask_b32_e32 v7, v10, v7, vcc_lo
	s_delay_alu instid0(VALU_DEP_2) | instskip(NEXT) | instid1(VALU_DEP_3)
	v_cndmask_b32_e32 v5, v6, v5, vcc_lo
	v_and_b32_e32 v4, 0x80000000, v4
	s_delay_alu instid0(VALU_DEP_3) | instskip(NEXT) | instid1(VALU_DEP_3)
	v_lshl_add_u32 v6, v7, 23, 0x37800000
	v_lshlrev_b32_e32 v5, 21, v5
	s_delay_alu instid0(VALU_DEP_1) | instskip(NEXT) | instid1(VALU_DEP_1)
	v_or3_b32 v4, v4, v6, v5
	v_cvt_f16_f32_e32 v5, v4
.LBB190_1870:
	s_or_b32 exec_lo, exec_lo, s27
	s_mov_b32 s26, 0
	s_branch .LBB190_1876
.LBB190_1871:
	s_mov_b32 s26, -1
                                        ; implicit-def: $vgpr5
	s_branch .LBB190_1882
.LBB190_1872:
	s_or_saveexec_b32 s28, s28
	v_mov_b32_e32 v5, 0x7e00
	s_xor_b32 exec_lo, exec_lo, s28
	s_cbranch_execz .LBB190_1856
.LBB190_1873:
	v_cmp_ne_u16_e32 vcc_lo, 0, v4
	v_mov_b32_e32 v5, v4
	s_and_not1_b32 s27, s27, exec_lo
	s_and_b32 s29, vcc_lo, exec_lo
	s_delay_alu instid0(SALU_CYCLE_1)
	s_or_b32 s27, s27, s29
	s_or_b32 exec_lo, exec_lo, s28
	s_and_saveexec_b32 s28, s27
	s_cbranch_execnz .LBB190_1857
	s_branch .LBB190_1858
.LBB190_1874:
	s_mov_b32 s26, -1
                                        ; implicit-def: $vgpr5
	s_branch .LBB190_1879
.LBB190_1875:
	s_mov_b32 s26, -1
                                        ; implicit-def: $vgpr5
.LBB190_1876:
	s_delay_alu instid0(SALU_CYCLE_1)
	s_and_b32 vcc_lo, exec_lo, s26
	s_cbranch_vccz .LBB190_1878
; %bb.1877:
	s_wait_loadcnt 0x0
	global_load_u8 v4, v[0:1], off
	s_wait_loadcnt 0x0
	v_lshlrev_b32_e32 v4, 24, v4
	s_delay_alu instid0(VALU_DEP_1) | instskip(NEXT) | instid1(VALU_DEP_1)
	v_and_b32_e32 v5, 0x7f000000, v4
	v_clz_i32_u32_e32 v6, v5
	v_add_nc_u32_e32 v9, 0x1000000, v5
	v_cmp_ne_u32_e32 vcc_lo, 0, v5
	s_delay_alu instid0(VALU_DEP_3) | instskip(NEXT) | instid1(VALU_DEP_1)
	v_min_u32_e32 v6, 32, v6
	v_sub_nc_u32_e64 v6, v6, 4 clamp
	s_delay_alu instid0(VALU_DEP_1) | instskip(NEXT) | instid1(VALU_DEP_1)
	v_dual_lshlrev_b32 v7, v6, v5 :: v_dual_lshlrev_b32 v6, 23, v6
	v_lshrrev_b32_e32 v7, 4, v7
	s_delay_alu instid0(VALU_DEP_1) | instskip(NEXT) | instid1(VALU_DEP_1)
	v_dual_sub_nc_u32 v6, v7, v6 :: v_dual_ashrrev_i32 v7, 8, v9
	v_add_nc_u32_e32 v6, 0x3c000000, v6
	s_delay_alu instid0(VALU_DEP_1) | instskip(NEXT) | instid1(VALU_DEP_1)
	v_and_or_b32 v6, 0x7f800000, v7, v6
	v_cndmask_b32_e32 v5, 0, v6, vcc_lo
	s_delay_alu instid0(VALU_DEP_1) | instskip(NEXT) | instid1(VALU_DEP_1)
	v_and_or_b32 v4, 0x80000000, v4, v5
	v_cvt_f16_f32_e32 v5, v4
.LBB190_1878:
	s_mov_b32 s26, 0
.LBB190_1879:
	s_delay_alu instid0(SALU_CYCLE_1)
	s_and_not1_b32 vcc_lo, exec_lo, s26
	s_cbranch_vccnz .LBB190_1881
; %bb.1880:
	s_wait_loadcnt 0x0
	global_load_u8 v4, v[0:1], off
	s_wait_loadcnt 0x0
	v_lshlrev_b32_e32 v5, 25, v4
	v_lshlrev_b16 v4, 8, v4
	s_delay_alu instid0(VALU_DEP_1) | instskip(SKIP_1) | instid1(VALU_DEP_2)
	v_and_or_b32 v7, 0x7f00, v4, 0.5
	v_bfe_i32 v4, v4, 0, 16
	v_dual_add_f32 v7, -0.5, v7 :: v_dual_lshrrev_b32 v6, 4, v5
	v_cmp_gt_u32_e32 vcc_lo, 0x8000000, v5
	s_delay_alu instid0(VALU_DEP_2) | instskip(NEXT) | instid1(VALU_DEP_1)
	v_or_b32_e32 v6, 0x70000000, v6
	v_mul_f32_e32 v6, 0x7800000, v6
	s_delay_alu instid0(VALU_DEP_1) | instskip(NEXT) | instid1(VALU_DEP_1)
	v_cndmask_b32_e32 v5, v6, v7, vcc_lo
	v_and_or_b32 v4, 0x80000000, v4, v5
	s_delay_alu instid0(VALU_DEP_1)
	v_cvt_f16_f32_e32 v5, v4
.LBB190_1881:
	s_mov_b32 s26, 0
	s_mov_b32 s27, -1
.LBB190_1882:
	s_and_not1_b32 vcc_lo, exec_lo, s26
	s_mov_b32 s26, 0
	s_cbranch_vccnz .LBB190_1893
; %bb.1883:
	s_cmp_gt_i32 s24, 14
	s_cbranch_scc0 .LBB190_1886
; %bb.1884:
	s_cmp_eq_u32 s24, 15
	s_cbranch_scc0 .LBB190_1889
; %bb.1885:
	s_wait_loadcnt 0x0
	global_load_u16 v4, v[0:1], off
	s_mov_b32 s25, 0
	s_mov_b32 s27, -1
	s_wait_loadcnt 0x0
	v_lshlrev_b32_e32 v4, 16, v4
	s_delay_alu instid0(VALU_DEP_1)
	v_cvt_f16_f32_e32 v5, v4
	s_branch .LBB190_1891
.LBB190_1886:
	s_mov_b32 s26, -1
	s_branch .LBB190_1890
.LBB190_1887:
	s_or_saveexec_b32 s27, s27
	v_mov_b32_e32 v5, 0x7e00
	s_xor_b32 exec_lo, exec_lo, s27
	s_cbranch_execz .LBB190_1868
.LBB190_1888:
	v_cmp_ne_u16_e32 vcc_lo, 0, v4
	v_mov_b32_e32 v5, v4
	s_and_not1_b32 s26, s26, exec_lo
	s_and_b32 s28, vcc_lo, exec_lo
	s_delay_alu instid0(SALU_CYCLE_1)
	s_or_b32 s26, s26, s28
	s_or_b32 exec_lo, exec_lo, s27
	s_and_saveexec_b32 s27, s26
	s_cbranch_execnz .LBB190_1869
	s_branch .LBB190_1870
.LBB190_1889:
	s_mov_b32 s25, -1
.LBB190_1890:
                                        ; implicit-def: $vgpr5
.LBB190_1891:
	s_and_b32 vcc_lo, exec_lo, s26
	s_mov_b32 s26, 0
	s_cbranch_vccz .LBB190_1893
; %bb.1892:
	s_cmp_lg_u32 s24, 11
	s_mov_b32 s26, -1
	s_cselect_b32 s24, -1, 0
	s_and_not1_b32 s25, s25, exec_lo
	s_and_b32 s24, s24, exec_lo
	s_delay_alu instid0(SALU_CYCLE_1)
	s_or_b32 s25, s25, s24
.LBB190_1893:
	s_mov_b32 s24, 0
.LBB190_1894:
	s_and_not1_b32 s23, s23, exec_lo
	s_and_b32 s28, s25, exec_lo
	s_and_b32 s27, s27, exec_lo
	s_and_b32 s24, s24, exec_lo
	s_and_b32 s25, s26, exec_lo
	s_or_b32 s23, s23, s28
	s_wait_xcnt 0x0
	s_or_b32 exec_lo, exec_lo, s0
	s_and_saveexec_b32 s0, s23
	s_cbranch_execz .LBB190_1823
.LBB190_1895:
	s_or_b32 s22, s22, exec_lo
	s_and_not1_b32 s25, s25, exec_lo
	s_trap 2
	s_or_b32 exec_lo, exec_lo, s0
	s_and_saveexec_b32 s0, s25
	s_delay_alu instid0(SALU_CYCLE_1)
	s_xor_b32 s0, exec_lo, s0
	s_cbranch_execnz .LBB190_1824
.LBB190_1896:
	s_or_b32 exec_lo, exec_lo, s0
	s_and_saveexec_b32 s0, s24
	s_cbranch_execz .LBB190_1942
.LBB190_1897:
	s_sext_i32_i16 s23, s16
	s_delay_alu instid0(SALU_CYCLE_1)
	s_cmp_lt_i32 s23, 5
	s_cbranch_scc1 .LBB190_1902
; %bb.1898:
	s_cmp_lt_i32 s23, 8
	s_cbranch_scc1 .LBB190_1903
; %bb.1899:
	;; [unrolled: 3-line block ×3, first 2 shown]
	s_cmp_gt_i32 s23, 9
	s_cbranch_scc0 .LBB190_1905
; %bb.1901:
	s_wait_loadcnt 0x0
	global_load_b64 v[4:5], v[0:1], off
	s_mov_b32 s23, 0
	s_wait_loadcnt 0x0
	v_and_or_b32 v4, 0x1ff, v5, v4
	v_lshrrev_b32_e32 v6, 8, v5
	v_bfe_u32 v7, v5, 20, 11
	v_lshrrev_b32_e32 v5, 16, v5
	s_delay_alu instid0(VALU_DEP_4) | instskip(NEXT) | instid1(VALU_DEP_3)
	v_cmp_ne_u32_e32 vcc_lo, 0, v4
	v_sub_nc_u32_e32 v9, 0x3f1, v7
	v_add_nc_u32_e32 v7, 0xfffffc10, v7
	v_cndmask_b32_e64 v4, 0, 1, vcc_lo
	s_delay_alu instid0(VALU_DEP_1) | instskip(NEXT) | instid1(VALU_DEP_4)
	v_and_or_b32 v4, 0xffe, v6, v4
	v_med3_i32 v6, v9, 0, 13
	s_delay_alu instid0(VALU_DEP_2) | instskip(NEXT) | instid1(VALU_DEP_1)
	v_or_b32_e32 v9, 0x1000, v4
	v_lshrrev_b32_e32 v10, v6, v9
	s_delay_alu instid0(VALU_DEP_1) | instskip(NEXT) | instid1(VALU_DEP_1)
	v_lshlrev_b32_e32 v6, v6, v10
	v_cmp_ne_u32_e32 vcc_lo, v6, v9
	v_lshl_or_b32 v9, v7, 12, v4
	v_cndmask_b32_e64 v6, 0, 1, vcc_lo
	v_cmp_gt_i32_e32 vcc_lo, 1, v7
	s_delay_alu instid0(VALU_DEP_2) | instskip(NEXT) | instid1(VALU_DEP_1)
	v_or_b32_e32 v6, v10, v6
	v_cndmask_b32_e32 v6, v9, v6, vcc_lo
	s_delay_alu instid0(VALU_DEP_1) | instskip(NEXT) | instid1(VALU_DEP_1)
	v_dual_lshrrev_b32 v6, 2, v6 :: v_dual_bitop2_b32 v9, 7, v6 bitop3:0x40
	v_cmp_lt_i32_e32 vcc_lo, 5, v9
	v_cndmask_b32_e64 v10, 0, 1, vcc_lo
	v_cmp_eq_u32_e32 vcc_lo, 3, v9
	v_cndmask_b32_e64 v9, 0, 1, vcc_lo
	v_cmp_ne_u32_e32 vcc_lo, 0, v4
	s_delay_alu instid0(VALU_DEP_2) | instskip(SKIP_1) | instid1(VALU_DEP_2)
	v_or_b32_e32 v9, v9, v10
	v_mov_b32_e32 v10, 0x7e00
	v_add_nc_u32_e32 v6, v6, v9
	s_delay_alu instid0(VALU_DEP_2) | instskip(SKIP_1) | instid1(VALU_DEP_3)
	v_cndmask_b32_e32 v4, 0x7c00, v10, vcc_lo
	v_cmp_gt_i32_e32 vcc_lo, 31, v7
	v_cndmask_b32_e32 v6, 0x7c00, v6, vcc_lo
	v_cmp_eq_u32_e32 vcc_lo, 0x40f, v7
	s_delay_alu instid0(VALU_DEP_2) | instskip(NEXT) | instid1(VALU_DEP_1)
	v_cndmask_b32_e32 v4, v6, v4, vcc_lo
	v_and_or_b32 v5, 0x8000, v5, v4
	s_branch .LBB190_1906
.LBB190_1902:
                                        ; implicit-def: $vgpr5
	s_branch .LBB190_1923
.LBB190_1903:
                                        ; implicit-def: $vgpr5
	s_branch .LBB190_1912
.LBB190_1904:
	s_mov_b32 s23, -1
                                        ; implicit-def: $vgpr5
	s_branch .LBB190_1909
.LBB190_1905:
	s_mov_b32 s23, -1
                                        ; implicit-def: $vgpr5
.LBB190_1906:
	s_delay_alu instid0(SALU_CYCLE_1)
	s_and_not1_b32 vcc_lo, exec_lo, s23
	s_cbranch_vccnz .LBB190_1908
; %bb.1907:
	s_wait_loadcnt 0x0
	global_load_b32 v4, v[0:1], off
	s_wait_loadcnt 0x0
	v_cvt_f16_f32_e32 v5, v4
.LBB190_1908:
	s_mov_b32 s23, 0
.LBB190_1909:
	s_delay_alu instid0(SALU_CYCLE_1)
	s_and_not1_b32 vcc_lo, exec_lo, s23
	s_cbranch_vccnz .LBB190_1911
; %bb.1910:
	global_load_b32 v5, v[0:1], off
.LBB190_1911:
	s_cbranch_execnz .LBB190_1922
.LBB190_1912:
	s_sext_i32_i16 s23, s16
	s_delay_alu instid0(SALU_CYCLE_1)
	s_cmp_lt_i32 s23, 6
	s_cbranch_scc1 .LBB190_1915
; %bb.1913:
	s_cmp_gt_i32 s23, 6
	s_cbranch_scc0 .LBB190_1916
; %bb.1914:
	s_wait_loadcnt 0x0
	global_load_b64 v[4:5], v[0:1], off
	s_mov_b32 s23, 0
	s_wait_loadcnt 0x0
	v_and_or_b32 v4, 0x1ff, v5, v4
	v_lshrrev_b32_e32 v6, 8, v5
	v_bfe_u32 v7, v5, 20, 11
	v_lshrrev_b32_e32 v5, 16, v5
	s_delay_alu instid0(VALU_DEP_4) | instskip(NEXT) | instid1(VALU_DEP_3)
	v_cmp_ne_u32_e32 vcc_lo, 0, v4
	v_sub_nc_u32_e32 v9, 0x3f1, v7
	v_add_nc_u32_e32 v7, 0xfffffc10, v7
	v_cndmask_b32_e64 v4, 0, 1, vcc_lo
	s_delay_alu instid0(VALU_DEP_1) | instskip(NEXT) | instid1(VALU_DEP_4)
	v_and_or_b32 v4, 0xffe, v6, v4
	v_med3_i32 v6, v9, 0, 13
	s_delay_alu instid0(VALU_DEP_2) | instskip(NEXT) | instid1(VALU_DEP_1)
	v_or_b32_e32 v9, 0x1000, v4
	v_lshrrev_b32_e32 v10, v6, v9
	s_delay_alu instid0(VALU_DEP_1) | instskip(NEXT) | instid1(VALU_DEP_1)
	v_lshlrev_b32_e32 v6, v6, v10
	v_cmp_ne_u32_e32 vcc_lo, v6, v9
	v_lshl_or_b32 v9, v7, 12, v4
	v_cndmask_b32_e64 v6, 0, 1, vcc_lo
	v_cmp_gt_i32_e32 vcc_lo, 1, v7
	s_delay_alu instid0(VALU_DEP_2) | instskip(NEXT) | instid1(VALU_DEP_1)
	v_or_b32_e32 v6, v10, v6
	v_cndmask_b32_e32 v6, v9, v6, vcc_lo
	s_delay_alu instid0(VALU_DEP_1) | instskip(NEXT) | instid1(VALU_DEP_1)
	v_dual_lshrrev_b32 v6, 2, v6 :: v_dual_bitop2_b32 v9, 7, v6 bitop3:0x40
	v_cmp_lt_i32_e32 vcc_lo, 5, v9
	v_cndmask_b32_e64 v10, 0, 1, vcc_lo
	v_cmp_eq_u32_e32 vcc_lo, 3, v9
	v_cndmask_b32_e64 v9, 0, 1, vcc_lo
	v_cmp_ne_u32_e32 vcc_lo, 0, v4
	s_delay_alu instid0(VALU_DEP_2) | instskip(SKIP_1) | instid1(VALU_DEP_2)
	v_or_b32_e32 v9, v9, v10
	v_mov_b32_e32 v10, 0x7e00
	v_add_nc_u32_e32 v6, v6, v9
	s_delay_alu instid0(VALU_DEP_2) | instskip(SKIP_1) | instid1(VALU_DEP_3)
	v_cndmask_b32_e32 v4, 0x7c00, v10, vcc_lo
	v_cmp_gt_i32_e32 vcc_lo, 31, v7
	v_cndmask_b32_e32 v6, 0x7c00, v6, vcc_lo
	v_cmp_eq_u32_e32 vcc_lo, 0x40f, v7
	s_delay_alu instid0(VALU_DEP_2) | instskip(NEXT) | instid1(VALU_DEP_1)
	v_cndmask_b32_e32 v4, v6, v4, vcc_lo
	v_and_or_b32 v5, 0x8000, v5, v4
	s_branch .LBB190_1917
.LBB190_1915:
	s_mov_b32 s23, -1
                                        ; implicit-def: $vgpr5
	s_branch .LBB190_1920
.LBB190_1916:
	s_mov_b32 s23, -1
                                        ; implicit-def: $vgpr5
.LBB190_1917:
	s_delay_alu instid0(SALU_CYCLE_1)
	s_and_not1_b32 vcc_lo, exec_lo, s23
	s_cbranch_vccnz .LBB190_1919
; %bb.1918:
	s_wait_loadcnt 0x0
	global_load_b32 v4, v[0:1], off
	s_wait_loadcnt 0x0
	v_cvt_f16_f32_e32 v5, v4
.LBB190_1919:
	s_mov_b32 s23, 0
.LBB190_1920:
	s_delay_alu instid0(SALU_CYCLE_1)
	s_and_not1_b32 vcc_lo, exec_lo, s23
	s_cbranch_vccnz .LBB190_1922
; %bb.1921:
	s_wait_loadcnt 0x0
	global_load_u16 v5, v[0:1], off
.LBB190_1922:
	s_cbranch_execnz .LBB190_1941
.LBB190_1923:
	s_sext_i32_i16 s23, s16
	s_delay_alu instid0(SALU_CYCLE_1)
	s_cmp_lt_i32 s23, 2
	s_cbranch_scc1 .LBB190_1927
; %bb.1924:
	s_cmp_lt_i32 s23, 3
	s_cbranch_scc1 .LBB190_1928
; %bb.1925:
	s_cmp_gt_i32 s23, 3
	s_cbranch_scc0 .LBB190_1929
; %bb.1926:
	s_wait_loadcnt 0x0
	global_load_b64 v[4:5], v[0:1], off
	s_mov_b32 s23, 0
	s_wait_loadcnt 0x0
	v_xor_b32_e32 v6, v4, v5
	v_cls_i32_e32 v7, v5
	s_delay_alu instid0(VALU_DEP_2) | instskip(NEXT) | instid1(VALU_DEP_1)
	v_ashrrev_i32_e32 v6, 31, v6
	v_add_nc_u32_e32 v6, 32, v6
	s_delay_alu instid0(VALU_DEP_1) | instskip(NEXT) | instid1(VALU_DEP_1)
	v_add_min_u32_e64 v6, v7, -1, v6
	v_lshlrev_b64_e32 v[4:5], v6, v[4:5]
	s_delay_alu instid0(VALU_DEP_1) | instskip(NEXT) | instid1(VALU_DEP_1)
	v_min_u32_e32 v4, 1, v4
	v_dual_sub_nc_u32 v5, 32, v6 :: v_dual_bitop2_b32 v4, v5, v4 bitop3:0x54
	s_delay_alu instid0(VALU_DEP_1) | instskip(NEXT) | instid1(VALU_DEP_1)
	v_cvt_f32_i32_e32 v4, v4
	v_ldexp_f32 v4, v4, v5
	s_delay_alu instid0(VALU_DEP_1)
	v_cvt_f16_f32_e32 v5, v4
	s_branch .LBB190_1930
.LBB190_1927:
                                        ; implicit-def: $vgpr5
	s_branch .LBB190_1936
.LBB190_1928:
	s_mov_b32 s23, -1
                                        ; implicit-def: $vgpr5
	s_branch .LBB190_1933
.LBB190_1929:
	s_mov_b32 s23, -1
                                        ; implicit-def: $vgpr5
.LBB190_1930:
	s_delay_alu instid0(SALU_CYCLE_1)
	s_and_not1_b32 vcc_lo, exec_lo, s23
	s_cbranch_vccnz .LBB190_1932
; %bb.1931:
	s_wait_loadcnt 0x0
	global_load_b32 v4, v[0:1], off
	s_wait_loadcnt 0x0
	v_cvt_f32_i32_e32 v4, v4
	s_delay_alu instid0(VALU_DEP_1)
	v_cvt_f16_f32_e32 v5, v4
.LBB190_1932:
	s_mov_b32 s23, 0
.LBB190_1933:
	s_delay_alu instid0(SALU_CYCLE_1)
	s_and_not1_b32 vcc_lo, exec_lo, s23
	s_cbranch_vccnz .LBB190_1935
; %bb.1934:
	s_wait_loadcnt 0x0
	global_load_u16 v4, v[0:1], off
	s_wait_loadcnt 0x0
	v_cvt_f16_i16_e32 v5, v4
.LBB190_1935:
	s_cbranch_execnz .LBB190_1941
.LBB190_1936:
	s_sext_i32_i16 s23, s16
	s_delay_alu instid0(SALU_CYCLE_1)
	s_cmp_gt_i32 s23, 0
	s_mov_b32 s23, 0
	s_cbranch_scc0 .LBB190_1938
; %bb.1937:
	s_wait_loadcnt 0x0
	global_load_i8 v4, v[0:1], off
	s_wait_loadcnt 0x0
	v_cvt_f16_i16_e32 v5, v4
	s_branch .LBB190_1939
.LBB190_1938:
	s_mov_b32 s23, -1
                                        ; implicit-def: $vgpr5
.LBB190_1939:
	s_delay_alu instid0(SALU_CYCLE_1)
	s_and_not1_b32 vcc_lo, exec_lo, s23
	s_cbranch_vccnz .LBB190_1941
; %bb.1940:
	global_load_u8 v0, v[0:1], off
	s_wait_loadcnt 0x0
	v_cvt_f16_u16_e32 v5, v0
.LBB190_1941:
	s_or_b32 s27, s27, exec_lo
.LBB190_1942:
	s_wait_xcnt 0x0
	s_or_b32 exec_lo, exec_lo, s0
	s_mov_b32 s0, 0
	s_mov_b32 s25, 0
                                        ; implicit-def: $sgpr23
                                        ; implicit-def: $vgpr0_vgpr1
                                        ; implicit-def: $vgpr4
	s_and_saveexec_b32 s24, s27
	s_cbranch_execz .LBB190_1950
; %bb.1943:
	v_mul_lo_u32 v0, v8, s12
	s_wait_loadcnt 0x0
	v_mul_f16_e32 v3, s1, v3
	s_and_b32 s23, s3, 0xff
	s_delay_alu instid0(SALU_CYCLE_1) | instskip(NEXT) | instid1(VALU_DEP_1)
	s_cmp_lt_i32 s23, 11
	v_mul_f16_e32 v4, v3, v5
	s_delay_alu instid0(VALU_DEP_1) | instskip(NEXT) | instid1(VALU_DEP_4)
	v_fmac_f16_e32 v4, s2, v2
	v_ashrrev_i32_e32 v1, 31, v0
	s_delay_alu instid0(VALU_DEP_1)
	v_add_nc_u64_e32 v[0:1], s[4:5], v[0:1]
	s_cbranch_scc1 .LBB190_1953
; %bb.1944:
	s_and_b32 s25, 0xffff, s23
	s_mov_b32 s26, -1
	s_cmp_gt_i32 s25, 25
	s_mov_b32 s0, s21
	s_cbranch_scc0 .LBB190_1981
; %bb.1945:
	s_cmp_gt_i32 s25, 28
	s_mov_b32 s0, s21
	s_cbranch_scc0 .LBB190_1965
; %bb.1946:
	s_cmp_gt_i32 s25, 43
	s_mov_b32 s0, s21
	s_cbranch_scc0 .LBB190_1961
; %bb.1947:
	s_cmp_gt_i32 s25, 45
	s_mov_b32 s0, s21
	s_cbranch_scc0 .LBB190_1955
; %bb.1948:
	s_cmp_eq_u32 s25, 46
	s_mov_b32 s0, -1
	s_cbranch_scc0 .LBB190_1954
; %bb.1949:
	v_cvt_f32_f16_e32 v2, v4
	v_cmp_o_f16_e32 vcc_lo, v4, v4
	s_mov_b32 s0, 0
	s_mov_b32 s26, 0
	s_delay_alu instid0(VALU_DEP_2) | instskip(NEXT) | instid1(VALU_DEP_1)
	v_bfe_u32 v3, v2, 16, 1
	v_add3_u32 v2, v2, v3, 0x7fff
	s_delay_alu instid0(VALU_DEP_1) | instskip(NEXT) | instid1(VALU_DEP_1)
	v_lshrrev_b32_e32 v2, 16, v2
	v_cndmask_b32_e32 v2, 0x7fc0, v2, vcc_lo
	global_store_b32 v[0:1], v2, off
	s_branch .LBB190_1955
.LBB190_1950:
	s_or_b32 exec_lo, exec_lo, s24
	s_and_saveexec_b32 s24, s21
	s_cbranch_execnz .LBB190_2023
.LBB190_1951:
	s_or_b32 exec_lo, exec_lo, s24
	s_and_saveexec_b32 s21, s0
	s_delay_alu instid0(SALU_CYCLE_1)
	s_xor_b32 s0, exec_lo, s21
	s_cbranch_execz .LBB190_2024
.LBB190_1952:
	s_wait_loadcnt 0x0
	v_cmp_neq_f16_e32 vcc_lo, 0, v4
	v_cndmask_b32_e64 v2, 0, 1, vcc_lo
	global_store_b8 v[0:1], v2, off
	s_wait_xcnt 0x0
	s_or_b32 exec_lo, exec_lo, s0
	s_and_saveexec_b32 s0, s25
	s_delay_alu instid0(SALU_CYCLE_1)
	s_xor_b32 s0, exec_lo, s0
	s_cbranch_execz .LBB190_2062
	s_branch .LBB190_2025
.LBB190_1953:
	s_mov_b32 s27, 0
	s_mov_b32 s26, -1
	s_mov_b32 s0, s21
	s_branch .LBB190_2022
.LBB190_1954:
	s_mov_b32 s26, 0
.LBB190_1955:
	s_delay_alu instid0(SALU_CYCLE_1)
	s_and_b32 vcc_lo, exec_lo, s26
	s_cbranch_vccz .LBB190_1960
; %bb.1956:
	s_cmp_eq_u32 s25, 44
	s_mov_b32 s0, -1
	s_cbranch_scc0 .LBB190_1960
; %bb.1957:
	s_wait_xcnt 0x0
	v_cvt_f32_f16_e32 v2, v4
	v_mov_b32_e32 v3, 0xff
	s_mov_b32 s26, exec_lo
	s_delay_alu instid0(VALU_DEP_2) | instskip(NEXT) | instid1(VALU_DEP_1)
	v_bfe_u32 v5, v2, 23, 8
	v_cmpx_ne_u32_e32 0xff, v5
	s_cbranch_execz .LBB190_1959
; %bb.1958:
	v_and_b32_e32 v3, 0x400000, v2
	v_and_or_b32 v5, 0x3fffff, v2, v5
	v_lshrrev_b32_e32 v2, 23, v2
	s_delay_alu instid0(VALU_DEP_3) | instskip(NEXT) | instid1(VALU_DEP_3)
	v_cmp_ne_u32_e32 vcc_lo, 0, v3
	v_cmp_ne_u32_e64 s0, 0, v5
	s_and_b32 s0, vcc_lo, s0
	s_delay_alu instid0(SALU_CYCLE_1) | instskip(NEXT) | instid1(VALU_DEP_1)
	v_cndmask_b32_e64 v3, 0, 1, s0
	v_add_nc_u32_e32 v3, v2, v3
.LBB190_1959:
	s_or_b32 exec_lo, exec_lo, s26
	s_mov_b32 s0, 0
	global_store_b8 v[0:1], v3, off
.LBB190_1960:
	s_mov_b32 s26, 0
.LBB190_1961:
	s_delay_alu instid0(SALU_CYCLE_1)
	s_and_b32 vcc_lo, exec_lo, s26
	s_cbranch_vccz .LBB190_1964
; %bb.1962:
	s_cmp_eq_u32 s25, 29
	s_mov_b32 s0, -1
	s_cbranch_scc0 .LBB190_1964
; %bb.1963:
	s_wait_xcnt 0x0
	v_cvt_f32_f16_e32 v2, v4
	v_mov_b32_e32 v3, 0
	s_mov_b32 s0, 0
	s_mov_b32 s26, 0
	s_delay_alu instid0(VALU_DEP_2)
	v_cvt_u32_f32_e32 v2, v2
	global_store_b64 v[0:1], v[2:3], off
	s_branch .LBB190_1965
.LBB190_1964:
	s_mov_b32 s26, 0
.LBB190_1965:
	s_delay_alu instid0(SALU_CYCLE_1)
	s_and_b32 vcc_lo, exec_lo, s26
	s_cbranch_vccz .LBB190_1980
; %bb.1966:
	s_cmp_lt_i32 s25, 27
	s_mov_b32 s26, -1
	s_cbranch_scc1 .LBB190_1972
; %bb.1967:
	s_cmp_gt_i32 s25, 27
	s_cbranch_scc0 .LBB190_1969
; %bb.1968:
	s_wait_xcnt 0x0
	v_cvt_f32_f16_e32 v2, v4
	s_mov_b32 s26, 0
	s_delay_alu instid0(VALU_DEP_1)
	v_cvt_u32_f32_e32 v2, v2
	global_store_b32 v[0:1], v2, off
.LBB190_1969:
	s_and_not1_b32 vcc_lo, exec_lo, s26
	s_cbranch_vccnz .LBB190_1971
; %bb.1970:
	s_wait_xcnt 0x0
	v_cvt_u16_f16_e32 v2, v4
	global_store_b16 v[0:1], v2, off
.LBB190_1971:
	s_mov_b32 s26, 0
.LBB190_1972:
	s_delay_alu instid0(SALU_CYCLE_1)
	s_and_not1_b32 vcc_lo, exec_lo, s26
	s_cbranch_vccnz .LBB190_1980
; %bb.1973:
	s_wait_xcnt 0x0
	v_cvt_f32_f16_e32 v2, v4
	v_mov_b32_e32 v5, 0x80
	s_mov_b32 s26, exec_lo
	s_delay_alu instid0(VALU_DEP_2) | instskip(NEXT) | instid1(VALU_DEP_1)
	v_and_b32_e32 v3, 0x7fffffff, v2
	v_cmpx_gt_u32_e32 0x43800000, v3
	s_cbranch_execz .LBB190_1979
; %bb.1974:
	v_cmp_lt_u32_e32 vcc_lo, 0x3bffffff, v3
	s_mov_b32 s27, 0
                                        ; implicit-def: $vgpr3
	s_and_saveexec_b32 s28, vcc_lo
	s_delay_alu instid0(SALU_CYCLE_1)
	s_xor_b32 s28, exec_lo, s28
	s_cbranch_execz .LBB190_2077
; %bb.1975:
	v_bfe_u32 v3, v2, 20, 1
	s_mov_b32 s27, exec_lo
	s_delay_alu instid0(VALU_DEP_1) | instskip(NEXT) | instid1(VALU_DEP_1)
	v_add3_u32 v3, v2, v3, 0x487ffff
	v_lshrrev_b32_e32 v3, 20, v3
	s_and_not1_saveexec_b32 s28, s28
	s_cbranch_execnz .LBB190_2078
.LBB190_1976:
	s_or_b32 exec_lo, exec_lo, s28
	v_mov_b32_e32 v5, 0
	s_and_saveexec_b32 s28, s27
.LBB190_1977:
	v_lshrrev_b32_e32 v2, 24, v2
	s_delay_alu instid0(VALU_DEP_1)
	v_and_or_b32 v5, 0x80, v2, v3
.LBB190_1978:
	s_or_b32 exec_lo, exec_lo, s28
.LBB190_1979:
	s_delay_alu instid0(SALU_CYCLE_1)
	s_or_b32 exec_lo, exec_lo, s26
	global_store_b8 v[0:1], v5, off
.LBB190_1980:
	s_mov_b32 s26, 0
.LBB190_1981:
	s_delay_alu instid0(SALU_CYCLE_1)
	s_and_b32 vcc_lo, exec_lo, s26
	s_mov_b32 s26, 0
	s_cbranch_vccz .LBB190_2021
; %bb.1982:
	s_cmp_gt_i32 s25, 22
	s_mov_b32 s27, -1
	s_cbranch_scc0 .LBB190_2014
; %bb.1983:
	s_cmp_lt_i32 s25, 24
	s_cbranch_scc1 .LBB190_2003
; %bb.1984:
	s_cmp_gt_i32 s25, 24
	s_cbranch_scc0 .LBB190_1992
; %bb.1985:
	s_wait_xcnt 0x0
	v_cvt_f32_f16_e32 v2, v4
	v_mov_b32_e32 v5, 0x80
	s_mov_b32 s27, exec_lo
	s_delay_alu instid0(VALU_DEP_2) | instskip(NEXT) | instid1(VALU_DEP_1)
	v_and_b32_e32 v3, 0x7fffffff, v2
	v_cmpx_gt_u32_e32 0x47800000, v3
	s_cbranch_execz .LBB190_1991
; %bb.1986:
	v_cmp_lt_u32_e32 vcc_lo, 0x37ffffff, v3
	s_mov_b32 s28, 0
                                        ; implicit-def: $vgpr3
	s_and_saveexec_b32 s29, vcc_lo
	s_delay_alu instid0(SALU_CYCLE_1)
	s_xor_b32 s29, exec_lo, s29
	s_cbranch_execz .LBB190_2203
; %bb.1987:
	v_bfe_u32 v3, v2, 21, 1
	s_mov_b32 s28, exec_lo
	s_delay_alu instid0(VALU_DEP_1) | instskip(NEXT) | instid1(VALU_DEP_1)
	v_add3_u32 v3, v2, v3, 0x88fffff
	v_lshrrev_b32_e32 v3, 21, v3
	s_and_not1_saveexec_b32 s29, s29
	s_cbranch_execnz .LBB190_2204
.LBB190_1988:
	s_or_b32 exec_lo, exec_lo, s29
	v_mov_b32_e32 v5, 0
	s_and_saveexec_b32 s29, s28
.LBB190_1989:
	v_lshrrev_b32_e32 v2, 24, v2
	s_delay_alu instid0(VALU_DEP_1)
	v_and_or_b32 v5, 0x80, v2, v3
.LBB190_1990:
	s_or_b32 exec_lo, exec_lo, s29
.LBB190_1991:
	s_delay_alu instid0(SALU_CYCLE_1)
	s_or_b32 exec_lo, exec_lo, s27
	s_mov_b32 s27, 0
	global_store_b8 v[0:1], v5, off
.LBB190_1992:
	s_and_b32 vcc_lo, exec_lo, s27
	s_cbranch_vccz .LBB190_2002
; %bb.1993:
	s_wait_xcnt 0x0
	v_cvt_f32_f16_e32 v2, v4
	s_mov_b32 s27, exec_lo
                                        ; implicit-def: $vgpr3
	s_delay_alu instid0(VALU_DEP_1) | instskip(NEXT) | instid1(VALU_DEP_1)
	v_and_b32_e32 v5, 0x7fffffff, v2
	v_cmpx_gt_u32_e32 0x43f00000, v5
	s_xor_b32 s27, exec_lo, s27
	s_cbranch_execz .LBB190_1999
; %bb.1994:
	s_mov_b32 s28, exec_lo
                                        ; implicit-def: $vgpr3
	v_cmpx_lt_u32_e32 0x3c7fffff, v5
	s_xor_b32 s28, exec_lo, s28
; %bb.1995:
	v_bfe_u32 v3, v2, 20, 1
	s_delay_alu instid0(VALU_DEP_1) | instskip(NEXT) | instid1(VALU_DEP_1)
	v_add3_u32 v3, v2, v3, 0x407ffff
	v_and_b32_e32 v5, 0xff00000, v3
	v_lshrrev_b32_e32 v3, 20, v3
	s_delay_alu instid0(VALU_DEP_2) | instskip(NEXT) | instid1(VALU_DEP_2)
	v_cmp_ne_u32_e32 vcc_lo, 0x7f00000, v5
	v_cndmask_b32_e32 v3, 0x7e, v3, vcc_lo
; %bb.1996:
	s_and_not1_saveexec_b32 s28, s28
; %bb.1997:
	v_add_f32_e64 v3, 0x46800000, |v2|
; %bb.1998:
	s_or_b32 exec_lo, exec_lo, s28
                                        ; implicit-def: $vgpr5
.LBB190_1999:
	s_and_not1_saveexec_b32 s27, s27
; %bb.2000:
	v_mov_b32_e32 v3, 0x7f
	v_cmp_lt_u32_e32 vcc_lo, 0x7f800000, v5
	s_delay_alu instid0(VALU_DEP_2)
	v_cndmask_b32_e32 v3, 0x7e, v3, vcc_lo
; %bb.2001:
	s_or_b32 exec_lo, exec_lo, s27
	v_lshrrev_b32_e32 v2, 24, v2
	s_delay_alu instid0(VALU_DEP_1)
	v_and_or_b32 v2, 0x80, v2, v3
	global_store_b8 v[0:1], v2, off
.LBB190_2002:
	s_mov_b32 s27, 0
.LBB190_2003:
	s_delay_alu instid0(SALU_CYCLE_1)
	s_and_not1_b32 vcc_lo, exec_lo, s27
	s_cbranch_vccnz .LBB190_2013
; %bb.2004:
	s_wait_xcnt 0x0
	v_cvt_f32_f16_e32 v2, v4
	s_mov_b32 s27, exec_lo
                                        ; implicit-def: $vgpr3
	s_delay_alu instid0(VALU_DEP_1) | instskip(NEXT) | instid1(VALU_DEP_1)
	v_and_b32_e32 v5, 0x7fffffff, v2
	v_cmpx_gt_u32_e32 0x47800000, v5
	s_xor_b32 s27, exec_lo, s27
	s_cbranch_execz .LBB190_2010
; %bb.2005:
	s_mov_b32 s28, exec_lo
                                        ; implicit-def: $vgpr3
	v_cmpx_lt_u32_e32 0x387fffff, v5
	s_xor_b32 s28, exec_lo, s28
; %bb.2006:
	v_bfe_u32 v3, v2, 21, 1
	s_delay_alu instid0(VALU_DEP_1) | instskip(NEXT) | instid1(VALU_DEP_1)
	v_add3_u32 v3, v2, v3, 0x80fffff
	v_lshrrev_b32_e32 v3, 21, v3
; %bb.2007:
	s_and_not1_saveexec_b32 s28, s28
; %bb.2008:
	v_add_f32_e64 v3, 0x43000000, |v2|
; %bb.2009:
	s_or_b32 exec_lo, exec_lo, s28
                                        ; implicit-def: $vgpr5
.LBB190_2010:
	s_and_not1_saveexec_b32 s27, s27
; %bb.2011:
	v_mov_b32_e32 v3, 0x7f
	v_cmp_lt_u32_e32 vcc_lo, 0x7f800000, v5
	s_delay_alu instid0(VALU_DEP_2)
	v_cndmask_b32_e32 v3, 0x7c, v3, vcc_lo
; %bb.2012:
	s_or_b32 exec_lo, exec_lo, s27
	v_lshrrev_b32_e32 v2, 24, v2
	s_delay_alu instid0(VALU_DEP_1)
	v_and_or_b32 v2, 0x80, v2, v3
	global_store_b8 v[0:1], v2, off
.LBB190_2013:
	s_mov_b32 s27, 0
.LBB190_2014:
	s_delay_alu instid0(SALU_CYCLE_1)
	s_and_not1_b32 vcc_lo, exec_lo, s27
	s_mov_b32 s27, 0
	s_cbranch_vccnz .LBB190_2022
; %bb.2015:
	s_cmp_gt_i32 s25, 14
	s_mov_b32 s27, -1
	s_cbranch_scc0 .LBB190_2019
; %bb.2016:
	s_cmp_eq_u32 s25, 15
	s_mov_b32 s0, -1
	s_cbranch_scc0 .LBB190_2018
; %bb.2017:
	s_wait_xcnt 0x0
	v_cvt_f32_f16_e32 v2, v4
	v_cmp_o_f16_e32 vcc_lo, v4, v4
	s_mov_b32 s0, 0
	s_delay_alu instid0(VALU_DEP_2) | instskip(NEXT) | instid1(VALU_DEP_1)
	v_bfe_u32 v3, v2, 16, 1
	v_add3_u32 v2, v2, v3, 0x7fff
	s_delay_alu instid0(VALU_DEP_1) | instskip(NEXT) | instid1(VALU_DEP_1)
	v_lshrrev_b32_e32 v2, 16, v2
	v_cndmask_b32_e32 v2, 0x7fc0, v2, vcc_lo
	global_store_b16 v[0:1], v2, off
.LBB190_2018:
	s_mov_b32 s27, 0
.LBB190_2019:
	s_delay_alu instid0(SALU_CYCLE_1)
	s_and_b32 vcc_lo, exec_lo, s27
	s_mov_b32 s27, 0
	s_cbranch_vccz .LBB190_2022
; %bb.2020:
	s_cmp_lg_u32 s25, 11
	s_mov_b32 s27, -1
	s_cselect_b32 s25, -1, 0
	s_and_not1_b32 s0, s0, exec_lo
	s_and_b32 s25, s25, exec_lo
	s_delay_alu instid0(SALU_CYCLE_1)
	s_or_b32 s0, s0, s25
	s_branch .LBB190_2022
.LBB190_2021:
	s_mov_b32 s27, 0
.LBB190_2022:
	s_and_b32 s25, s26, exec_lo
	s_and_not1_b32 s21, s21, exec_lo
	s_and_b32 s26, s0, exec_lo
	s_and_b32 s0, s27, exec_lo
	s_or_b32 s21, s21, s26
	s_wait_xcnt 0x0
	s_or_b32 exec_lo, exec_lo, s24
	s_and_saveexec_b32 s24, s21
	s_cbranch_execz .LBB190_1951
.LBB190_2023:
	s_or_b32 s22, s22, exec_lo
	s_and_not1_b32 s0, s0, exec_lo
	s_trap 2
	s_or_b32 exec_lo, exec_lo, s24
	s_and_saveexec_b32 s21, s0
	s_delay_alu instid0(SALU_CYCLE_1)
	s_xor_b32 s0, exec_lo, s21
	s_cbranch_execnz .LBB190_1952
.LBB190_2024:
	s_or_b32 exec_lo, exec_lo, s0
	s_and_saveexec_b32 s0, s25
	s_delay_alu instid0(SALU_CYCLE_1)
	s_xor_b32 s0, exec_lo, s0
	s_cbranch_execz .LBB190_2062
.LBB190_2025:
	s_sext_i32_i16 s24, s23
	s_mov_b32 s21, -1
	s_cmp_lt_i32 s24, 5
	s_cbranch_scc1 .LBB190_2046
; %bb.2026:
	s_cmp_lt_i32 s24, 8
	s_cbranch_scc1 .LBB190_2036
; %bb.2027:
	;; [unrolled: 3-line block ×3, first 2 shown]
	s_cmp_gt_i32 s24, 9
	s_cbranch_scc0 .LBB190_2030
; %bb.2029:
	s_wait_loadcnt 0x0
	v_cvt_f32_f16_e32 v2, v4
	v_mov_b32_e32 v8, 0
	s_mov_b32 s21, 0
	s_delay_alu instid0(VALU_DEP_2) | instskip(NEXT) | instid1(VALU_DEP_2)
	v_cvt_f64_f32_e32 v[6:7], v2
	v_mov_b32_e32 v9, v8
	global_store_b128 v[0:1], v[6:9], off
.LBB190_2030:
	s_and_not1_b32 vcc_lo, exec_lo, s21
	s_cbranch_vccnz .LBB190_2032
; %bb.2031:
	s_wait_loadcnt 0x0
	v_cvt_f32_f16_e32 v2, v4
	v_mov_b32_e32 v3, 0
	global_store_b64 v[0:1], v[2:3], off
.LBB190_2032:
	s_mov_b32 s21, 0
.LBB190_2033:
	s_delay_alu instid0(SALU_CYCLE_1)
	s_and_not1_b32 vcc_lo, exec_lo, s21
	s_cbranch_vccnz .LBB190_2035
; %bb.2034:
	s_wait_loadcnt 0x0
	v_and_b32_e32 v2, 0xffff, v4
	global_store_b32 v[0:1], v2, off
.LBB190_2035:
	s_mov_b32 s21, 0
.LBB190_2036:
	s_delay_alu instid0(SALU_CYCLE_1)
	s_and_not1_b32 vcc_lo, exec_lo, s21
	s_cbranch_vccnz .LBB190_2045
; %bb.2037:
	s_sext_i32_i16 s24, s23
	s_mov_b32 s21, -1
	s_cmp_lt_i32 s24, 6
	s_cbranch_scc1 .LBB190_2043
; %bb.2038:
	s_cmp_gt_i32 s24, 6
	s_cbranch_scc0 .LBB190_2040
; %bb.2039:
	s_wait_loadcnt 0x0
	v_cvt_f32_f16_e32 v2, v4
	s_mov_b32 s21, 0
	s_delay_alu instid0(VALU_DEP_1)
	v_cvt_f64_f32_e32 v[2:3], v2
	global_store_b64 v[0:1], v[2:3], off
.LBB190_2040:
	s_and_not1_b32 vcc_lo, exec_lo, s21
	s_cbranch_vccnz .LBB190_2042
; %bb.2041:
	s_wait_loadcnt 0x0
	v_cvt_f32_f16_e32 v2, v4
	global_store_b32 v[0:1], v2, off
.LBB190_2042:
	s_mov_b32 s21, 0
.LBB190_2043:
	s_delay_alu instid0(SALU_CYCLE_1)
	s_and_not1_b32 vcc_lo, exec_lo, s21
	s_cbranch_vccnz .LBB190_2045
; %bb.2044:
	s_wait_loadcnt 0x0
	global_store_b16 v[0:1], v4, off
.LBB190_2045:
	s_mov_b32 s21, 0
.LBB190_2046:
	s_delay_alu instid0(SALU_CYCLE_1)
	s_and_not1_b32 vcc_lo, exec_lo, s21
	s_cbranch_vccnz .LBB190_2062
; %bb.2047:
	s_sext_i32_i16 s24, s23
	s_mov_b32 s21, -1
	s_cmp_lt_i32 s24, 2
	s_cbranch_scc1 .LBB190_2057
; %bb.2048:
	s_cmp_lt_i32 s24, 3
	s_cbranch_scc1 .LBB190_2054
; %bb.2049:
	s_cmp_gt_i32 s24, 3
	s_cbranch_scc0 .LBB190_2051
; %bb.2050:
	s_wait_loadcnt 0x0
	v_cvt_f32_f16_e32 v2, v4
	s_mov_b32 s21, 0
	s_delay_alu instid0(VALU_DEP_1) | instskip(NEXT) | instid1(VALU_DEP_1)
	v_cvt_i32_f32_e32 v2, v2
	v_ashrrev_i32_e32 v3, 31, v2
	global_store_b64 v[0:1], v[2:3], off
.LBB190_2051:
	s_and_not1_b32 vcc_lo, exec_lo, s21
	s_cbranch_vccnz .LBB190_2053
; %bb.2052:
	s_wait_loadcnt 0x0
	v_cvt_f32_f16_e32 v2, v4
	s_delay_alu instid0(VALU_DEP_1)
	v_cvt_i32_f32_e32 v2, v2
	global_store_b32 v[0:1], v2, off
.LBB190_2053:
	s_mov_b32 s21, 0
.LBB190_2054:
	s_delay_alu instid0(SALU_CYCLE_1)
	s_and_not1_b32 vcc_lo, exec_lo, s21
	s_cbranch_vccnz .LBB190_2056
; %bb.2055:
	s_wait_loadcnt 0x0
	v_cvt_i16_f16_e32 v2, v4
	global_store_b16 v[0:1], v2, off
.LBB190_2056:
	s_mov_b32 s21, 0
.LBB190_2057:
	s_delay_alu instid0(SALU_CYCLE_1)
	s_and_not1_b32 vcc_lo, exec_lo, s21
	s_cbranch_vccnz .LBB190_2062
; %bb.2058:
	s_sext_i32_i16 s21, s23
	s_delay_alu instid0(SALU_CYCLE_1)
	s_cmp_gt_i32 s21, 0
	s_mov_b32 s21, -1
	s_cbranch_scc0 .LBB190_2060
; %bb.2059:
	s_wait_loadcnt 0x0
	v_cvt_i16_f16_e32 v2, v4
	s_mov_b32 s21, 0
	global_store_b8 v[0:1], v2, off
.LBB190_2060:
	s_and_not1_b32 vcc_lo, exec_lo, s21
	s_cbranch_vccnz .LBB190_2062
; %bb.2061:
	s_wait_loadcnt 0x0
	v_cvt_f32_f16_e32 v2, v4
	s_delay_alu instid0(VALU_DEP_1)
	v_cvt_i32_f32_e32 v2, v2
	global_store_b8 v[0:1], v2, off
.LBB190_2062:
	s_wait_xcnt 0x0
	s_or_b32 exec_lo, exec_lo, s0
	s_delay_alu instid0(SALU_CYCLE_1)
	s_and_b32 s21, s22, exec_lo
                                        ; implicit-def: $vgpr8
.LBB190_2063:
	s_or_saveexec_b32 s20, s20
	s_mov_b32 s0, 0
                                        ; implicit-def: $sgpr22
                                        ; implicit-def: $vgpr0_vgpr1
                                        ; implicit-def: $vgpr4
	s_xor_b32 exec_lo, exec_lo, s20
	s_cbranch_execz .LBB190_4067
; %bb.2064:
	v_mul_lo_u32 v0, s13, v8
	s_and_b32 s19, s19, 0xff
	s_delay_alu instid0(SALU_CYCLE_1) | instskip(NEXT) | instid1(VALU_DEP_1)
	s_cmp_lt_i32 s19, 11
	v_ashrrev_i32_e32 v1, 31, v0
	s_wait_loadcnt 0x0
	s_delay_alu instid0(VALU_DEP_1)
	v_add_nc_u64_e32 v[2:3], s[6:7], v[0:1]
	s_cbranch_scc1 .LBB190_2071
; %bb.2065:
	s_and_b32 s0, 0xffff, s19
	s_mov_b32 s22, 0
	s_cmp_gt_i32 s0, 25
	s_cbranch_scc0 .LBB190_2073
; %bb.2066:
	s_cmp_gt_i32 s0, 28
	s_cbranch_scc0 .LBB190_2074
; %bb.2067:
	;; [unrolled: 3-line block ×4, first 2 shown]
	s_cmp_eq_u32 s0, 46
	s_mov_b32 s24, 0
	s_cbranch_scc0 .LBB190_2079
; %bb.2070:
	global_load_b32 v1, v[2:3], off
	s_mov_b32 s23, -1
	s_wait_loadcnt 0x0
	v_lshlrev_b32_e32 v1, 16, v1
	s_delay_alu instid0(VALU_DEP_1)
	v_cvt_f16_f32_e32 v9, v1
	s_branch .LBB190_2081
.LBB190_2071:
	s_mov_b32 s23, 0
	s_mov_b32 s18, s21
                                        ; implicit-def: $vgpr9
	s_cbranch_execnz .LBB190_2144
.LBB190_2072:
	s_and_not1_b32 vcc_lo, exec_lo, s23
	s_cbranch_vccz .LBB190_2189
	s_branch .LBB190_4065
.LBB190_2073:
	s_mov_b32 s23, 0
                                        ; implicit-def: $vgpr9
	s_cbranch_execnz .LBB190_2109
	s_branch .LBB190_2140
.LBB190_2074:
	s_mov_b32 s24, -1
	s_mov_b32 s23, 0
                                        ; implicit-def: $vgpr9
	s_branch .LBB190_2090
.LBB190_2075:
	s_mov_b32 s23, 0
                                        ; implicit-def: $vgpr9
	s_cbranch_execnz .LBB190_2086
	s_branch .LBB190_2089
.LBB190_2076:
	s_mov_b32 s24, -1
	s_branch .LBB190_2080
.LBB190_2077:
	s_and_not1_saveexec_b32 s28, s28
	s_cbranch_execz .LBB190_1976
.LBB190_2078:
	v_add_f32_e64 v3, 0x46000000, |v2|
	s_and_not1_b32 s27, s27, exec_lo
	s_delay_alu instid0(VALU_DEP_1) | instskip(NEXT) | instid1(VALU_DEP_1)
	v_and_b32_e32 v3, 0xff, v3
	v_cmp_ne_u32_e32 vcc_lo, 0, v3
	s_and_b32 s29, vcc_lo, exec_lo
	s_delay_alu instid0(SALU_CYCLE_1)
	s_or_b32 s27, s27, s29
	s_or_b32 exec_lo, exec_lo, s28
	v_mov_b32_e32 v5, 0
	s_and_saveexec_b32 s28, s27
	s_cbranch_execnz .LBB190_1977
	s_branch .LBB190_1978
.LBB190_2079:
	s_mov_b32 s18, -1
.LBB190_2080:
	s_mov_b32 s23, 0
                                        ; implicit-def: $vgpr9
.LBB190_2081:
	s_and_b32 vcc_lo, exec_lo, s24
	s_cbranch_vccz .LBB190_2084
; %bb.2082:
	s_cmp_eq_u32 s0, 44
	s_cbranch_scc0 .LBB190_2085
; %bb.2083:
	global_load_u8 v1, v[2:3], off
	s_mov_b32 s18, 0
	s_mov_b32 s23, -1
	s_wait_loadcnt 0x0
	v_lshlrev_b32_e32 v4, 23, v1
	v_cmp_ne_u32_e32 vcc_lo, 0xff, v1
	s_delay_alu instid0(VALU_DEP_2) | instskip(NEXT) | instid1(VALU_DEP_1)
	v_cvt_f16_f32_e32 v4, v4
	v_cndmask_b32_e32 v4, 0x7e00, v4, vcc_lo
	v_cmp_ne_u32_e32 vcc_lo, 0, v1
	s_delay_alu instid0(VALU_DEP_2)
	v_cndmask_b32_e32 v9, 0, v4, vcc_lo
.LBB190_2084:
	s_branch .LBB190_2089
.LBB190_2085:
	s_mov_b32 s18, -1
                                        ; implicit-def: $vgpr9
	s_branch .LBB190_2089
.LBB190_2086:
	s_cmp_eq_u32 s0, 29
	s_cbranch_scc0 .LBB190_2088
; %bb.2087:
	global_load_b64 v[4:5], v[2:3], off
	s_mov_b32 s18, 0
	s_mov_b32 s23, -1
	s_mov_b32 s24, 0
	s_wait_loadcnt 0x0
	v_clz_i32_u32_e32 v1, v5
	s_delay_alu instid0(VALU_DEP_1) | instskip(NEXT) | instid1(VALU_DEP_1)
	v_min_u32_e32 v1, 32, v1
	v_lshlrev_b64_e32 v[4:5], v1, v[4:5]
	v_sub_nc_u32_e32 v1, 32, v1
	s_delay_alu instid0(VALU_DEP_2) | instskip(NEXT) | instid1(VALU_DEP_1)
	v_min_u32_e32 v4, 1, v4
	v_or_b32_e32 v4, v5, v4
	s_delay_alu instid0(VALU_DEP_1) | instskip(NEXT) | instid1(VALU_DEP_1)
	v_cvt_f32_u32_e32 v4, v4
	v_ldexp_f32 v1, v4, v1
	s_delay_alu instid0(VALU_DEP_1)
	v_cvt_f16_f32_e32 v9, v1
	s_branch .LBB190_2090
.LBB190_2088:
	s_mov_b32 s18, -1
                                        ; implicit-def: $vgpr9
.LBB190_2089:
	s_mov_b32 s24, 0
.LBB190_2090:
	s_delay_alu instid0(SALU_CYCLE_1)
	s_and_b32 vcc_lo, exec_lo, s24
	s_cbranch_vccz .LBB190_2108
; %bb.2091:
	s_cmp_lt_i32 s0, 27
	s_cbranch_scc1 .LBB190_2094
; %bb.2092:
	s_cmp_gt_i32 s0, 27
	s_cbranch_scc0 .LBB190_2095
; %bb.2093:
	global_load_b32 v1, v[2:3], off
	s_mov_b32 s23, 0
	s_wait_loadcnt 0x0
	v_cvt_f32_u32_e32 v1, v1
	s_delay_alu instid0(VALU_DEP_1)
	v_cvt_f16_f32_e32 v9, v1
	s_branch .LBB190_2096
.LBB190_2094:
	s_mov_b32 s23, -1
                                        ; implicit-def: $vgpr9
	s_branch .LBB190_2099
.LBB190_2095:
	s_mov_b32 s23, -1
                                        ; implicit-def: $vgpr9
.LBB190_2096:
	s_delay_alu instid0(SALU_CYCLE_1)
	s_and_not1_b32 vcc_lo, exec_lo, s23
	s_cbranch_vccnz .LBB190_2098
; %bb.2097:
	global_load_u16 v1, v[2:3], off
	s_wait_loadcnt 0x0
	v_cvt_f16_u16_e32 v9, v1
.LBB190_2098:
	s_mov_b32 s23, 0
.LBB190_2099:
	s_delay_alu instid0(SALU_CYCLE_1)
	s_and_not1_b32 vcc_lo, exec_lo, s23
	s_cbranch_vccnz .LBB190_2107
; %bb.2100:
	global_load_u8 v1, v[2:3], off
	s_mov_b32 s23, 0
	s_mov_b32 s24, exec_lo
	s_wait_loadcnt 0x0
	v_cmpx_lt_i16_e32 0x7f, v1
	s_xor_b32 s24, exec_lo, s24
	s_cbranch_execz .LBB190_2120
; %bb.2101:
	s_mov_b32 s23, -1
	s_mov_b32 s25, exec_lo
	v_cmpx_eq_u16_e32 0x80, v1
; %bb.2102:
	s_xor_b32 s23, exec_lo, -1
; %bb.2103:
	s_or_b32 exec_lo, exec_lo, s25
	s_delay_alu instid0(SALU_CYCLE_1)
	s_and_b32 s23, s23, exec_lo
	s_or_saveexec_b32 s24, s24
	v_mov_b32_e32 v9, 0x7e00
	s_xor_b32 exec_lo, exec_lo, s24
	s_cbranch_execnz .LBB190_2121
.LBB190_2104:
	s_or_b32 exec_lo, exec_lo, s24
	s_and_saveexec_b32 s24, s23
	s_cbranch_execz .LBB190_2106
.LBB190_2105:
	v_and_b32_e32 v4, 0xffff, v1
	s_delay_alu instid0(VALU_DEP_1) | instskip(SKIP_1) | instid1(VALU_DEP_2)
	v_and_b32_e32 v5, 7, v4
	v_bfe_u32 v9, v4, 3, 4
	v_clz_i32_u32_e32 v6, v5
	s_delay_alu instid0(VALU_DEP_2) | instskip(NEXT) | instid1(VALU_DEP_2)
	v_cmp_eq_u32_e32 vcc_lo, 0, v9
	v_min_u32_e32 v6, 32, v6
	s_delay_alu instid0(VALU_DEP_1) | instskip(NEXT) | instid1(VALU_DEP_1)
	v_subrev_nc_u32_e32 v7, 28, v6
	v_dual_lshlrev_b32 v4, v7, v4 :: v_dual_sub_nc_u32 v6, 29, v6
	s_delay_alu instid0(VALU_DEP_1) | instskip(NEXT) | instid1(VALU_DEP_2)
	v_dual_lshlrev_b32 v1, 24, v1 :: v_dual_bitop2_b32 v4, 7, v4 bitop3:0x40
	v_cndmask_b32_e32 v6, v9, v6, vcc_lo
	s_delay_alu instid0(VALU_DEP_2) | instskip(NEXT) | instid1(VALU_DEP_3)
	v_cndmask_b32_e32 v4, v5, v4, vcc_lo
	v_and_b32_e32 v1, 0x80000000, v1
	s_delay_alu instid0(VALU_DEP_3) | instskip(NEXT) | instid1(VALU_DEP_3)
	v_lshl_add_u32 v5, v6, 23, 0x3b800000
	v_lshlrev_b32_e32 v4, 20, v4
	s_delay_alu instid0(VALU_DEP_1) | instskip(NEXT) | instid1(VALU_DEP_1)
	v_or3_b32 v1, v1, v5, v4
	v_cvt_f16_f32_e32 v9, v1
.LBB190_2106:
	s_or_b32 exec_lo, exec_lo, s24
.LBB190_2107:
	s_mov_b32 s23, -1
.LBB190_2108:
	s_branch .LBB190_2140
.LBB190_2109:
	s_cmp_gt_i32 s0, 22
	s_cbranch_scc0 .LBB190_2119
; %bb.2110:
	s_cmp_lt_i32 s0, 24
	s_cbranch_scc1 .LBB190_2122
; %bb.2111:
	s_cmp_gt_i32 s0, 24
	s_cbranch_scc0 .LBB190_2123
; %bb.2112:
	global_load_u8 v1, v[2:3], off
	s_mov_b32 s23, exec_lo
	s_wait_loadcnt 0x0
	v_cmpx_lt_i16_e32 0x7f, v1
	s_xor_b32 s23, exec_lo, s23
	s_cbranch_execz .LBB190_2134
; %bb.2113:
	s_mov_b32 s22, -1
	s_mov_b32 s24, exec_lo
	v_cmpx_eq_u16_e32 0x80, v1
; %bb.2114:
	s_xor_b32 s22, exec_lo, -1
; %bb.2115:
	s_or_b32 exec_lo, exec_lo, s24
	s_delay_alu instid0(SALU_CYCLE_1)
	s_and_b32 s22, s22, exec_lo
	s_or_saveexec_b32 s23, s23
	v_mov_b32_e32 v9, 0x7e00
	s_xor_b32 exec_lo, exec_lo, s23
	s_cbranch_execnz .LBB190_2135
.LBB190_2116:
	s_or_b32 exec_lo, exec_lo, s23
	s_and_saveexec_b32 s23, s22
	s_cbranch_execz .LBB190_2118
.LBB190_2117:
	v_and_b32_e32 v4, 0xffff, v1
	s_delay_alu instid0(VALU_DEP_1) | instskip(SKIP_1) | instid1(VALU_DEP_2)
	v_and_b32_e32 v5, 3, v4
	v_bfe_u32 v9, v4, 2, 5
	v_clz_i32_u32_e32 v6, v5
	s_delay_alu instid0(VALU_DEP_2) | instskip(NEXT) | instid1(VALU_DEP_2)
	v_cmp_eq_u32_e32 vcc_lo, 0, v9
	v_min_u32_e32 v6, 32, v6
	s_delay_alu instid0(VALU_DEP_1) | instskip(NEXT) | instid1(VALU_DEP_1)
	v_subrev_nc_u32_e32 v7, 29, v6
	v_dual_lshlrev_b32 v4, v7, v4 :: v_dual_sub_nc_u32 v6, 30, v6
	s_delay_alu instid0(VALU_DEP_1) | instskip(NEXT) | instid1(VALU_DEP_2)
	v_dual_lshlrev_b32 v1, 24, v1 :: v_dual_bitop2_b32 v4, 3, v4 bitop3:0x40
	v_cndmask_b32_e32 v6, v9, v6, vcc_lo
	s_delay_alu instid0(VALU_DEP_2) | instskip(NEXT) | instid1(VALU_DEP_3)
	v_cndmask_b32_e32 v4, v5, v4, vcc_lo
	v_and_b32_e32 v1, 0x80000000, v1
	s_delay_alu instid0(VALU_DEP_3) | instskip(NEXT) | instid1(VALU_DEP_3)
	v_lshl_add_u32 v5, v6, 23, 0x37800000
	v_lshlrev_b32_e32 v4, 21, v4
	s_delay_alu instid0(VALU_DEP_1) | instskip(NEXT) | instid1(VALU_DEP_1)
	v_or3_b32 v1, v1, v5, v4
	v_cvt_f16_f32_e32 v9, v1
.LBB190_2118:
	s_or_b32 exec_lo, exec_lo, s23
	s_mov_b32 s22, 0
	s_branch .LBB190_2124
.LBB190_2119:
                                        ; implicit-def: $vgpr9
	s_mov_b32 s22, 0
	s_branch .LBB190_2130
.LBB190_2120:
	s_or_saveexec_b32 s24, s24
	v_mov_b32_e32 v9, 0x7e00
	s_xor_b32 exec_lo, exec_lo, s24
	s_cbranch_execz .LBB190_2104
.LBB190_2121:
	v_cmp_ne_u16_e32 vcc_lo, 0, v1
	v_mov_b32_e32 v9, v1
	s_and_not1_b32 s23, s23, exec_lo
	s_and_b32 s25, vcc_lo, exec_lo
	s_delay_alu instid0(SALU_CYCLE_1)
	s_or_b32 s23, s23, s25
	s_or_b32 exec_lo, exec_lo, s24
	s_and_saveexec_b32 s24, s23
	s_cbranch_execnz .LBB190_2105
	s_branch .LBB190_2106
.LBB190_2122:
	s_mov_b32 s22, -1
                                        ; implicit-def: $vgpr9
	s_branch .LBB190_2127
.LBB190_2123:
	s_mov_b32 s22, -1
                                        ; implicit-def: $vgpr9
.LBB190_2124:
	s_delay_alu instid0(SALU_CYCLE_1)
	s_and_b32 vcc_lo, exec_lo, s22
	s_cbranch_vccz .LBB190_2126
; %bb.2125:
	global_load_u8 v1, v[2:3], off
	s_wait_loadcnt 0x0
	v_lshlrev_b32_e32 v1, 24, v1
	s_delay_alu instid0(VALU_DEP_1) | instskip(NEXT) | instid1(VALU_DEP_1)
	v_and_b32_e32 v4, 0x7f000000, v1
	v_clz_i32_u32_e32 v5, v4
	v_cmp_ne_u32_e32 vcc_lo, 0, v4
	v_add_nc_u32_e32 v7, 0x1000000, v4
	s_delay_alu instid0(VALU_DEP_3) | instskip(NEXT) | instid1(VALU_DEP_1)
	v_min_u32_e32 v5, 32, v5
	v_sub_nc_u32_e64 v5, v5, 4 clamp
	s_delay_alu instid0(VALU_DEP_1) | instskip(NEXT) | instid1(VALU_DEP_1)
	v_dual_lshlrev_b32 v6, v5, v4 :: v_dual_lshlrev_b32 v5, 23, v5
	v_lshrrev_b32_e32 v6, 4, v6
	s_delay_alu instid0(VALU_DEP_1) | instskip(NEXT) | instid1(VALU_DEP_1)
	v_dual_sub_nc_u32 v5, v6, v5 :: v_dual_ashrrev_i32 v6, 8, v7
	v_add_nc_u32_e32 v5, 0x3c000000, v5
	s_delay_alu instid0(VALU_DEP_1) | instskip(NEXT) | instid1(VALU_DEP_1)
	v_and_or_b32 v5, 0x7f800000, v6, v5
	v_cndmask_b32_e32 v4, 0, v5, vcc_lo
	s_delay_alu instid0(VALU_DEP_1) | instskip(NEXT) | instid1(VALU_DEP_1)
	v_and_or_b32 v1, 0x80000000, v1, v4
	v_cvt_f16_f32_e32 v9, v1
.LBB190_2126:
	s_mov_b32 s22, 0
.LBB190_2127:
	s_delay_alu instid0(SALU_CYCLE_1)
	s_and_not1_b32 vcc_lo, exec_lo, s22
	s_cbranch_vccnz .LBB190_2129
; %bb.2128:
	global_load_u8 v1, v[2:3], off
	s_wait_loadcnt 0x0
	v_lshlrev_b32_e32 v4, 25, v1
	v_lshlrev_b16 v1, 8, v1
	s_delay_alu instid0(VALU_DEP_1) | instskip(SKIP_1) | instid1(VALU_DEP_2)
	v_and_or_b32 v6, 0x7f00, v1, 0.5
	v_bfe_i32 v1, v1, 0, 16
	v_dual_add_f32 v6, -0.5, v6 :: v_dual_lshrrev_b32 v5, 4, v4
	v_cmp_gt_u32_e32 vcc_lo, 0x8000000, v4
	s_delay_alu instid0(VALU_DEP_2) | instskip(NEXT) | instid1(VALU_DEP_1)
	v_or_b32_e32 v5, 0x70000000, v5
	v_mul_f32_e32 v5, 0x7800000, v5
	s_delay_alu instid0(VALU_DEP_1) | instskip(NEXT) | instid1(VALU_DEP_1)
	v_cndmask_b32_e32 v4, v5, v6, vcc_lo
	v_and_or_b32 v1, 0x80000000, v1, v4
	s_delay_alu instid0(VALU_DEP_1)
	v_cvt_f16_f32_e32 v9, v1
.LBB190_2129:
	s_mov_b32 s23, -1
	s_mov_b32 s22, 0
	s_cbranch_execnz .LBB190_2140
.LBB190_2130:
	s_cmp_gt_i32 s0, 14
	s_cbranch_scc0 .LBB190_2133
; %bb.2131:
	s_cmp_eq_u32 s0, 15
	s_cbranch_scc0 .LBB190_2136
; %bb.2132:
	global_load_u16 v1, v[2:3], off
	s_mov_b32 s18, 0
	s_mov_b32 s23, -1
	s_wait_loadcnt 0x0
	v_lshlrev_b32_e32 v1, 16, v1
	s_delay_alu instid0(VALU_DEP_1)
	v_cvt_f16_f32_e32 v9, v1
	s_branch .LBB190_2138
.LBB190_2133:
	s_mov_b32 s22, -1
	s_branch .LBB190_2137
.LBB190_2134:
	s_or_saveexec_b32 s23, s23
	v_mov_b32_e32 v9, 0x7e00
	s_xor_b32 exec_lo, exec_lo, s23
	s_cbranch_execz .LBB190_2116
.LBB190_2135:
	v_cmp_ne_u16_e32 vcc_lo, 0, v1
	v_mov_b32_e32 v9, v1
	s_and_not1_b32 s22, s22, exec_lo
	s_and_b32 s24, vcc_lo, exec_lo
	s_delay_alu instid0(SALU_CYCLE_1)
	s_or_b32 s22, s22, s24
	s_or_b32 exec_lo, exec_lo, s23
	s_and_saveexec_b32 s23, s22
	s_cbranch_execnz .LBB190_2117
	s_branch .LBB190_2118
.LBB190_2136:
	s_mov_b32 s18, -1
.LBB190_2137:
                                        ; implicit-def: $vgpr9
.LBB190_2138:
	s_and_b32 vcc_lo, exec_lo, s22
	s_mov_b32 s22, 0
	s_cbranch_vccz .LBB190_2140
; %bb.2139:
	s_cmp_lg_u32 s0, 11
	s_mov_b32 s22, -1
	s_cselect_b32 s18, -1, 0
.LBB190_2140:
	s_delay_alu instid0(SALU_CYCLE_1)
	s_and_b32 vcc_lo, exec_lo, s18
	s_mov_b32 s18, s21
	s_cbranch_vccnz .LBB190_2201
; %bb.2141:
	s_and_not1_b32 vcc_lo, exec_lo, s22
	s_cbranch_vccnz .LBB190_2143
.LBB190_2142:
	global_load_u8 v1, v[2:3], off
	s_mov_b32 s23, -1
	s_wait_loadcnt 0x0
	v_cmp_ne_u16_e32 vcc_lo, 0, v1
	v_cndmask_b32_e64 v9, 0, 0x3c00, vcc_lo
.LBB190_2143:
	s_branch .LBB190_2072
.LBB190_2144:
	s_and_b32 s0, 0xffff, s19
	s_delay_alu instid0(SALU_CYCLE_1)
	s_cmp_lt_i32 s0, 5
	s_cbranch_scc1 .LBB190_2149
; %bb.2145:
	s_cmp_lt_i32 s0, 8
	s_cbranch_scc1 .LBB190_2150
; %bb.2146:
	;; [unrolled: 3-line block ×3, first 2 shown]
	s_cmp_gt_i32 s0, 9
	s_cbranch_scc0 .LBB190_2152
; %bb.2148:
	global_load_b64 v[4:5], v[2:3], off
	s_mov_b32 s22, 0
	s_wait_loadcnt 0x0
	v_and_or_b32 v1, 0x1ff, v5, v4
	v_lshrrev_b32_e32 v4, 8, v5
	v_bfe_u32 v6, v5, 20, 11
	s_delay_alu instid0(VALU_DEP_3) | instskip(NEXT) | instid1(VALU_DEP_2)
	v_cmp_ne_u32_e32 vcc_lo, 0, v1
	v_sub_nc_u32_e32 v7, 0x3f1, v6
	v_add_nc_u32_e32 v6, 0xfffffc10, v6
	v_cndmask_b32_e64 v1, 0, 1, vcc_lo
	s_delay_alu instid0(VALU_DEP_1) | instskip(NEXT) | instid1(VALU_DEP_4)
	v_and_or_b32 v1, 0xffe, v4, v1
	v_med3_i32 v4, v7, 0, 13
	s_delay_alu instid0(VALU_DEP_2) | instskip(NEXT) | instid1(VALU_DEP_1)
	v_or_b32_e32 v7, 0x1000, v1
	v_lshrrev_b32_e32 v9, v4, v7
	s_delay_alu instid0(VALU_DEP_1) | instskip(NEXT) | instid1(VALU_DEP_1)
	v_lshlrev_b32_e32 v4, v4, v9
	v_cmp_ne_u32_e32 vcc_lo, v4, v7
	v_lshl_or_b32 v7, v6, 12, v1
	v_cndmask_b32_e64 v4, 0, 1, vcc_lo
	v_cmp_gt_i32_e32 vcc_lo, 1, v6
	s_delay_alu instid0(VALU_DEP_2) | instskip(NEXT) | instid1(VALU_DEP_1)
	v_or_b32_e32 v4, v9, v4
	v_cndmask_b32_e32 v4, v7, v4, vcc_lo
	s_delay_alu instid0(VALU_DEP_1) | instskip(NEXT) | instid1(VALU_DEP_1)
	v_dual_lshrrev_b32 v4, 2, v4 :: v_dual_bitop2_b32 v7, 7, v4 bitop3:0x40
	v_cmp_lt_i32_e32 vcc_lo, 5, v7
	v_cndmask_b32_e64 v9, 0, 1, vcc_lo
	v_cmp_eq_u32_e32 vcc_lo, 3, v7
	v_cndmask_b32_e64 v7, 0, 1, vcc_lo
	v_cmp_ne_u32_e32 vcc_lo, 0, v1
	s_delay_alu instid0(VALU_DEP_2) | instskip(NEXT) | instid1(VALU_DEP_1)
	v_or_b32_e32 v7, v7, v9
	v_dual_mov_b32 v9, 0x7e00 :: v_dual_add_nc_u32 v4, v4, v7
	s_delay_alu instid0(VALU_DEP_1) | instskip(SKIP_1) | instid1(VALU_DEP_3)
	v_cndmask_b32_e32 v1, 0x7c00, v9, vcc_lo
	v_cmp_gt_i32_e32 vcc_lo, 31, v6
	v_cndmask_b32_e32 v4, 0x7c00, v4, vcc_lo
	v_cmp_eq_u32_e32 vcc_lo, 0x40f, v6
	s_delay_alu instid0(VALU_DEP_2) | instskip(SKIP_1) | instid1(VALU_DEP_1)
	v_cndmask_b32_e32 v1, v4, v1, vcc_lo
	v_lshrrev_b32_e32 v4, 16, v5
	v_and_or_b32 v9, 0x8000, v4, v1
	s_branch .LBB190_2153
.LBB190_2149:
                                        ; implicit-def: $vgpr9
	s_branch .LBB190_2170
.LBB190_2150:
                                        ; implicit-def: $vgpr9
	s_branch .LBB190_2159
.LBB190_2151:
	s_mov_b32 s22, -1
                                        ; implicit-def: $vgpr9
	s_branch .LBB190_2156
.LBB190_2152:
	s_mov_b32 s22, -1
                                        ; implicit-def: $vgpr9
.LBB190_2153:
	s_delay_alu instid0(SALU_CYCLE_1)
	s_and_not1_b32 vcc_lo, exec_lo, s22
	s_cbranch_vccnz .LBB190_2155
; %bb.2154:
	global_load_b32 v1, v[2:3], off
	s_wait_loadcnt 0x0
	v_cvt_f16_f32_e32 v9, v1
.LBB190_2155:
	s_mov_b32 s22, 0
.LBB190_2156:
	s_delay_alu instid0(SALU_CYCLE_1)
	s_and_not1_b32 vcc_lo, exec_lo, s22
	s_cbranch_vccnz .LBB190_2158
; %bb.2157:
	global_load_b32 v9, v[2:3], off
.LBB190_2158:
	s_cbranch_execnz .LBB190_2169
.LBB190_2159:
	s_cmp_lt_i32 s0, 6
	s_cbranch_scc1 .LBB190_2162
; %bb.2160:
	s_cmp_gt_i32 s0, 6
	s_cbranch_scc0 .LBB190_2163
; %bb.2161:
	global_load_b64 v[4:5], v[2:3], off
	s_mov_b32 s22, 0
	s_wait_loadcnt 0x0
	v_and_or_b32 v1, 0x1ff, v5, v4
	v_lshrrev_b32_e32 v4, 8, v5
	v_bfe_u32 v6, v5, 20, 11
	s_delay_alu instid0(VALU_DEP_3) | instskip(NEXT) | instid1(VALU_DEP_2)
	v_cmp_ne_u32_e32 vcc_lo, 0, v1
	v_sub_nc_u32_e32 v7, 0x3f1, v6
	v_add_nc_u32_e32 v6, 0xfffffc10, v6
	v_cndmask_b32_e64 v1, 0, 1, vcc_lo
	s_delay_alu instid0(VALU_DEP_1) | instskip(NEXT) | instid1(VALU_DEP_4)
	v_and_or_b32 v1, 0xffe, v4, v1
	v_med3_i32 v4, v7, 0, 13
	s_delay_alu instid0(VALU_DEP_2) | instskip(NEXT) | instid1(VALU_DEP_1)
	v_or_b32_e32 v7, 0x1000, v1
	v_lshrrev_b32_e32 v9, v4, v7
	s_delay_alu instid0(VALU_DEP_1) | instskip(NEXT) | instid1(VALU_DEP_1)
	v_lshlrev_b32_e32 v4, v4, v9
	v_cmp_ne_u32_e32 vcc_lo, v4, v7
	v_lshl_or_b32 v7, v6, 12, v1
	v_cndmask_b32_e64 v4, 0, 1, vcc_lo
	v_cmp_gt_i32_e32 vcc_lo, 1, v6
	s_delay_alu instid0(VALU_DEP_2) | instskip(NEXT) | instid1(VALU_DEP_1)
	v_or_b32_e32 v4, v9, v4
	v_cndmask_b32_e32 v4, v7, v4, vcc_lo
	s_delay_alu instid0(VALU_DEP_1) | instskip(NEXT) | instid1(VALU_DEP_1)
	v_dual_lshrrev_b32 v4, 2, v4 :: v_dual_bitop2_b32 v7, 7, v4 bitop3:0x40
	v_cmp_lt_i32_e32 vcc_lo, 5, v7
	v_cndmask_b32_e64 v9, 0, 1, vcc_lo
	v_cmp_eq_u32_e32 vcc_lo, 3, v7
	v_cndmask_b32_e64 v7, 0, 1, vcc_lo
	v_cmp_ne_u32_e32 vcc_lo, 0, v1
	s_delay_alu instid0(VALU_DEP_2) | instskip(NEXT) | instid1(VALU_DEP_1)
	v_or_b32_e32 v7, v7, v9
	v_dual_mov_b32 v9, 0x7e00 :: v_dual_add_nc_u32 v4, v4, v7
	s_delay_alu instid0(VALU_DEP_1) | instskip(SKIP_1) | instid1(VALU_DEP_3)
	v_cndmask_b32_e32 v1, 0x7c00, v9, vcc_lo
	v_cmp_gt_i32_e32 vcc_lo, 31, v6
	v_cndmask_b32_e32 v4, 0x7c00, v4, vcc_lo
	v_cmp_eq_u32_e32 vcc_lo, 0x40f, v6
	s_delay_alu instid0(VALU_DEP_2) | instskip(SKIP_1) | instid1(VALU_DEP_1)
	v_cndmask_b32_e32 v1, v4, v1, vcc_lo
	v_lshrrev_b32_e32 v4, 16, v5
	v_and_or_b32 v9, 0x8000, v4, v1
	s_branch .LBB190_2164
.LBB190_2162:
	s_mov_b32 s22, -1
                                        ; implicit-def: $vgpr9
	s_branch .LBB190_2167
.LBB190_2163:
	s_mov_b32 s22, -1
                                        ; implicit-def: $vgpr9
.LBB190_2164:
	s_delay_alu instid0(SALU_CYCLE_1)
	s_and_not1_b32 vcc_lo, exec_lo, s22
	s_cbranch_vccnz .LBB190_2166
; %bb.2165:
	global_load_b32 v1, v[2:3], off
	s_wait_loadcnt 0x0
	v_cvt_f16_f32_e32 v9, v1
.LBB190_2166:
	s_mov_b32 s22, 0
.LBB190_2167:
	s_delay_alu instid0(SALU_CYCLE_1)
	s_and_not1_b32 vcc_lo, exec_lo, s22
	s_cbranch_vccnz .LBB190_2169
; %bb.2168:
	s_wait_loadcnt 0x0
	global_load_u16 v9, v[2:3], off
.LBB190_2169:
	s_cbranch_execnz .LBB190_2188
.LBB190_2170:
	s_cmp_lt_i32 s0, 2
	s_cbranch_scc1 .LBB190_2174
; %bb.2171:
	s_cmp_lt_i32 s0, 3
	s_cbranch_scc1 .LBB190_2175
; %bb.2172:
	s_cmp_gt_i32 s0, 3
	s_cbranch_scc0 .LBB190_2176
; %bb.2173:
	global_load_b64 v[4:5], v[2:3], off
	s_mov_b32 s22, 0
	s_wait_loadcnt 0x0
	v_xor_b32_e32 v1, v4, v5
	v_cls_i32_e32 v6, v5
	s_delay_alu instid0(VALU_DEP_2) | instskip(NEXT) | instid1(VALU_DEP_1)
	v_ashrrev_i32_e32 v1, 31, v1
	v_add_nc_u32_e32 v1, 32, v1
	s_delay_alu instid0(VALU_DEP_1) | instskip(NEXT) | instid1(VALU_DEP_1)
	v_add_min_u32_e64 v1, v6, -1, v1
	v_lshlrev_b64_e32 v[4:5], v1, v[4:5]
	v_sub_nc_u32_e32 v1, 32, v1
	s_delay_alu instid0(VALU_DEP_2) | instskip(NEXT) | instid1(VALU_DEP_1)
	v_min_u32_e32 v4, 1, v4
	v_or_b32_e32 v4, v5, v4
	s_delay_alu instid0(VALU_DEP_1) | instskip(NEXT) | instid1(VALU_DEP_1)
	v_cvt_f32_i32_e32 v4, v4
	v_ldexp_f32 v1, v4, v1
	s_delay_alu instid0(VALU_DEP_1)
	v_cvt_f16_f32_e32 v9, v1
	s_branch .LBB190_2177
.LBB190_2174:
                                        ; implicit-def: $vgpr9
	s_branch .LBB190_2183
.LBB190_2175:
	s_mov_b32 s22, -1
                                        ; implicit-def: $vgpr9
	s_branch .LBB190_2180
.LBB190_2176:
	s_mov_b32 s22, -1
                                        ; implicit-def: $vgpr9
.LBB190_2177:
	s_delay_alu instid0(SALU_CYCLE_1)
	s_and_not1_b32 vcc_lo, exec_lo, s22
	s_cbranch_vccnz .LBB190_2179
; %bb.2178:
	global_load_b32 v1, v[2:3], off
	s_wait_loadcnt 0x0
	v_cvt_f32_i32_e32 v1, v1
	s_delay_alu instid0(VALU_DEP_1)
	v_cvt_f16_f32_e32 v9, v1
.LBB190_2179:
	s_mov_b32 s22, 0
.LBB190_2180:
	s_delay_alu instid0(SALU_CYCLE_1)
	s_and_not1_b32 vcc_lo, exec_lo, s22
	s_cbranch_vccnz .LBB190_2182
; %bb.2181:
	global_load_u16 v1, v[2:3], off
	s_wait_loadcnt 0x0
	v_cvt_f16_i16_e32 v9, v1
.LBB190_2182:
	s_cbranch_execnz .LBB190_2188
.LBB190_2183:
	s_cmp_gt_i32 s0, 0
	s_mov_b32 s0, 0
	s_cbranch_scc0 .LBB190_2185
; %bb.2184:
	global_load_i8 v1, v[2:3], off
	s_wait_loadcnt 0x0
	v_cvt_f16_i16_e32 v9, v1
	s_branch .LBB190_2186
.LBB190_2185:
	s_mov_b32 s0, -1
                                        ; implicit-def: $vgpr9
.LBB190_2186:
	s_delay_alu instid0(SALU_CYCLE_1)
	s_and_not1_b32 vcc_lo, exec_lo, s0
	s_cbranch_vccnz .LBB190_2188
; %bb.2187:
	global_load_u8 v1, v[2:3], off
	s_wait_loadcnt 0x0
	v_cvt_f16_u16_e32 v9, v1
.LBB190_2188:
.LBB190_2189:
	s_wait_xcnt 0x0
	v_mul_lo_u32 v2, s14, v8
	s_and_b32 s17, s17, 0xff
	s_delay_alu instid0(SALU_CYCLE_1) | instskip(NEXT) | instid1(VALU_DEP_1)
	s_cmp_lt_i32 s17, 11
	v_ashrrev_i32_e32 v3, 31, v2
	s_delay_alu instid0(VALU_DEP_1)
	v_add_nc_u64_e32 v[4:5], s[8:9], v[2:3]
	s_cbranch_scc1 .LBB190_2196
; %bb.2190:
	s_and_b32 s0, 0xffff, s17
	s_mov_b32 s23, 0
	s_cmp_gt_i32 s0, 25
	s_cbranch_scc0 .LBB190_2198
; %bb.2191:
	s_cmp_gt_i32 s0, 28
	s_cbranch_scc0 .LBB190_2199
; %bb.2192:
	;; [unrolled: 3-line block ×4, first 2 shown]
	s_cmp_eq_u32 s0, 46
	s_mov_b32 s25, 0
	s_cbranch_scc0 .LBB190_2205
; %bb.2195:
	global_load_b32 v1, v[4:5], off
	s_mov_b32 s22, 0
	s_mov_b32 s24, -1
	s_wait_loadcnt 0x0
	v_lshlrev_b32_e32 v1, 16, v1
	s_delay_alu instid0(VALU_DEP_1)
	v_cvt_f16_f32_e32 v10, v1
	s_branch .LBB190_2207
.LBB190_2196:
	s_mov_b32 s24, 0
                                        ; implicit-def: $vgpr10
	s_cbranch_execnz .LBB190_2272
.LBB190_2197:
	s_and_not1_b32 vcc_lo, exec_lo, s24
	s_cbranch_vccnz .LBB190_4065
	s_branch .LBB190_2319
.LBB190_2198:
	s_mov_b32 s24, 0
	s_mov_b32 s22, 0
                                        ; implicit-def: $vgpr10
	s_cbranch_execnz .LBB190_2236
	s_branch .LBB190_2268
.LBB190_2199:
	s_mov_b32 s25, -1
	s_mov_b32 s24, 0
	s_mov_b32 s22, 0
                                        ; implicit-def: $vgpr10
	s_branch .LBB190_2217
.LBB190_2200:
	s_mov_b32 s25, -1
	s_mov_b32 s24, 0
	s_mov_b32 s22, 0
                                        ; implicit-def: $vgpr10
	s_branch .LBB190_2212
.LBB190_2201:
	s_or_b32 s18, s21, exec_lo
	s_trap 2
	s_cbranch_execz .LBB190_2142
	s_branch .LBB190_2143
.LBB190_2202:
	s_mov_b32 s25, -1
	s_mov_b32 s24, 0
	s_mov_b32 s22, 0
	s_branch .LBB190_2206
.LBB190_2203:
	s_and_not1_saveexec_b32 s29, s29
	s_cbranch_execz .LBB190_1988
.LBB190_2204:
	v_add_f32_e64 v3, 0x42800000, |v2|
	s_and_not1_b32 s28, s28, exec_lo
	s_delay_alu instid0(VALU_DEP_1) | instskip(NEXT) | instid1(VALU_DEP_1)
	v_and_b32_e32 v3, 0xff, v3
	v_cmp_ne_u32_e32 vcc_lo, 0, v3
	s_and_b32 s30, vcc_lo, exec_lo
	s_delay_alu instid0(SALU_CYCLE_1)
	s_or_b32 s28, s28, s30
	s_or_b32 exec_lo, exec_lo, s29
	v_mov_b32_e32 v5, 0
	s_and_saveexec_b32 s29, s28
	s_cbranch_execnz .LBB190_1989
	s_branch .LBB190_1990
.LBB190_2205:
	s_mov_b32 s22, -1
	s_mov_b32 s24, 0
.LBB190_2206:
                                        ; implicit-def: $vgpr10
.LBB190_2207:
	s_and_b32 vcc_lo, exec_lo, s25
	s_cbranch_vccz .LBB190_2211
; %bb.2208:
	s_cmp_eq_u32 s0, 44
	s_cbranch_scc0 .LBB190_2210
; %bb.2209:
	global_load_u8 v1, v[4:5], off
	s_mov_b32 s22, 0
	s_mov_b32 s24, -1
	s_wait_loadcnt 0x0
	v_lshlrev_b32_e32 v3, 23, v1
	v_cmp_ne_u32_e32 vcc_lo, 0xff, v1
	s_delay_alu instid0(VALU_DEP_2) | instskip(NEXT) | instid1(VALU_DEP_1)
	v_cvt_f16_f32_e32 v3, v3
	v_cndmask_b32_e32 v3, 0x7e00, v3, vcc_lo
	v_cmp_ne_u32_e32 vcc_lo, 0, v1
	s_delay_alu instid0(VALU_DEP_2)
	v_cndmask_b32_e32 v10, 0, v3, vcc_lo
	s_branch .LBB190_2211
.LBB190_2210:
	s_mov_b32 s22, -1
                                        ; implicit-def: $vgpr10
.LBB190_2211:
	s_mov_b32 s25, 0
.LBB190_2212:
	s_delay_alu instid0(SALU_CYCLE_1)
	s_and_b32 vcc_lo, exec_lo, s25
	s_cbranch_vccz .LBB190_2216
; %bb.2213:
	s_cmp_eq_u32 s0, 29
	s_cbranch_scc0 .LBB190_2215
; %bb.2214:
	global_load_b64 v[6:7], v[4:5], off
	s_mov_b32 s22, 0
	s_mov_b32 s24, -1
	s_mov_b32 s25, 0
	s_wait_loadcnt 0x0
	v_clz_i32_u32_e32 v1, v7
	s_delay_alu instid0(VALU_DEP_1) | instskip(NEXT) | instid1(VALU_DEP_1)
	v_min_u32_e32 v1, 32, v1
	v_lshlrev_b64_e32 v[6:7], v1, v[6:7]
	v_sub_nc_u32_e32 v1, 32, v1
	s_delay_alu instid0(VALU_DEP_2) | instskip(NEXT) | instid1(VALU_DEP_1)
	v_min_u32_e32 v3, 1, v6
	v_or_b32_e32 v3, v7, v3
	s_delay_alu instid0(VALU_DEP_1) | instskip(NEXT) | instid1(VALU_DEP_1)
	v_cvt_f32_u32_e32 v3, v3
	v_ldexp_f32 v1, v3, v1
	s_delay_alu instid0(VALU_DEP_1)
	v_cvt_f16_f32_e32 v10, v1
	s_branch .LBB190_2217
.LBB190_2215:
	s_mov_b32 s22, -1
                                        ; implicit-def: $vgpr10
.LBB190_2216:
	s_mov_b32 s25, 0
.LBB190_2217:
	s_delay_alu instid0(SALU_CYCLE_1)
	s_and_b32 vcc_lo, exec_lo, s25
	s_cbranch_vccz .LBB190_2235
; %bb.2218:
	s_cmp_lt_i32 s0, 27
	s_cbranch_scc1 .LBB190_2221
; %bb.2219:
	s_cmp_gt_i32 s0, 27
	s_cbranch_scc0 .LBB190_2222
; %bb.2220:
	global_load_b32 v1, v[4:5], off
	s_mov_b32 s24, 0
	s_wait_loadcnt 0x0
	v_cvt_f32_u32_e32 v1, v1
	s_delay_alu instid0(VALU_DEP_1)
	v_cvt_f16_f32_e32 v10, v1
	s_branch .LBB190_2223
.LBB190_2221:
	s_mov_b32 s24, -1
                                        ; implicit-def: $vgpr10
	s_branch .LBB190_2226
.LBB190_2222:
	s_mov_b32 s24, -1
                                        ; implicit-def: $vgpr10
.LBB190_2223:
	s_delay_alu instid0(SALU_CYCLE_1)
	s_and_not1_b32 vcc_lo, exec_lo, s24
	s_cbranch_vccnz .LBB190_2225
; %bb.2224:
	global_load_u16 v1, v[4:5], off
	s_wait_loadcnt 0x0
	v_cvt_f16_u16_e32 v10, v1
.LBB190_2225:
	s_mov_b32 s24, 0
.LBB190_2226:
	s_delay_alu instid0(SALU_CYCLE_1)
	s_and_not1_b32 vcc_lo, exec_lo, s24
	s_cbranch_vccnz .LBB190_2234
; %bb.2227:
	global_load_u8 v1, v[4:5], off
	s_mov_b32 s24, 0
	s_mov_b32 s25, exec_lo
	s_wait_loadcnt 0x0
	v_cmpx_lt_i16_e32 0x7f, v1
	s_xor_b32 s25, exec_lo, s25
	s_cbranch_execz .LBB190_2247
; %bb.2228:
	s_mov_b32 s24, -1
	s_mov_b32 s26, exec_lo
	v_cmpx_eq_u16_e32 0x80, v1
; %bb.2229:
	s_xor_b32 s24, exec_lo, -1
; %bb.2230:
	s_or_b32 exec_lo, exec_lo, s26
	s_delay_alu instid0(SALU_CYCLE_1)
	s_and_b32 s24, s24, exec_lo
	s_or_saveexec_b32 s25, s25
	v_mov_b32_e32 v10, 0x7e00
	s_xor_b32 exec_lo, exec_lo, s25
	s_cbranch_execnz .LBB190_2248
.LBB190_2231:
	s_or_b32 exec_lo, exec_lo, s25
	s_and_saveexec_b32 s25, s24
	s_cbranch_execz .LBB190_2233
.LBB190_2232:
	v_and_b32_e32 v3, 0xffff, v1
	s_delay_alu instid0(VALU_DEP_1) | instskip(SKIP_1) | instid1(VALU_DEP_2)
	v_dual_lshlrev_b32 v1, 24, v1 :: v_dual_bitop2_b32 v6, 7, v3 bitop3:0x40
	v_bfe_u32 v11, v3, 3, 4
	v_and_b32_e32 v1, 0x80000000, v1
	s_delay_alu instid0(VALU_DEP_3) | instskip(NEXT) | instid1(VALU_DEP_3)
	v_clz_i32_u32_e32 v7, v6
	v_cmp_eq_u32_e32 vcc_lo, 0, v11
	s_delay_alu instid0(VALU_DEP_2) | instskip(NEXT) | instid1(VALU_DEP_1)
	v_min_u32_e32 v7, 32, v7
	v_subrev_nc_u32_e32 v10, 28, v7
	v_sub_nc_u32_e32 v7, 29, v7
	s_delay_alu instid0(VALU_DEP_2) | instskip(NEXT) | instid1(VALU_DEP_2)
	v_lshlrev_b32_e32 v3, v10, v3
	v_cndmask_b32_e32 v7, v11, v7, vcc_lo
	s_delay_alu instid0(VALU_DEP_2) | instskip(NEXT) | instid1(VALU_DEP_1)
	v_and_b32_e32 v3, 7, v3
	v_cndmask_b32_e32 v3, v6, v3, vcc_lo
	s_delay_alu instid0(VALU_DEP_3) | instskip(NEXT) | instid1(VALU_DEP_2)
	v_lshl_add_u32 v6, v7, 23, 0x3b800000
	v_lshlrev_b32_e32 v3, 20, v3
	s_delay_alu instid0(VALU_DEP_1) | instskip(NEXT) | instid1(VALU_DEP_1)
	v_or3_b32 v1, v1, v6, v3
	v_cvt_f16_f32_e32 v10, v1
.LBB190_2233:
	s_or_b32 exec_lo, exec_lo, s25
.LBB190_2234:
	s_mov_b32 s24, -1
.LBB190_2235:
	s_branch .LBB190_2268
.LBB190_2236:
	s_cmp_gt_i32 s0, 22
	s_cbranch_scc0 .LBB190_2246
; %bb.2237:
	s_cmp_lt_i32 s0, 24
	s_cbranch_scc1 .LBB190_2249
; %bb.2238:
	s_cmp_gt_i32 s0, 24
	s_cbranch_scc0 .LBB190_2250
; %bb.2239:
	global_load_u8 v1, v[4:5], off
	s_mov_b32 s24, exec_lo
	s_wait_loadcnt 0x0
	v_cmpx_lt_i16_e32 0x7f, v1
	s_xor_b32 s24, exec_lo, s24
	s_cbranch_execz .LBB190_2262
; %bb.2240:
	s_mov_b32 s23, -1
	s_mov_b32 s25, exec_lo
	v_cmpx_eq_u16_e32 0x80, v1
; %bb.2241:
	s_xor_b32 s23, exec_lo, -1
; %bb.2242:
	s_or_b32 exec_lo, exec_lo, s25
	s_delay_alu instid0(SALU_CYCLE_1)
	s_and_b32 s23, s23, exec_lo
	s_or_saveexec_b32 s24, s24
	v_mov_b32_e32 v10, 0x7e00
	s_xor_b32 exec_lo, exec_lo, s24
	s_cbranch_execnz .LBB190_2263
.LBB190_2243:
	s_or_b32 exec_lo, exec_lo, s24
	s_and_saveexec_b32 s24, s23
	s_cbranch_execz .LBB190_2245
.LBB190_2244:
	v_and_b32_e32 v3, 0xffff, v1
	s_delay_alu instid0(VALU_DEP_1) | instskip(SKIP_1) | instid1(VALU_DEP_2)
	v_dual_lshlrev_b32 v1, 24, v1 :: v_dual_bitop2_b32 v6, 3, v3 bitop3:0x40
	v_bfe_u32 v11, v3, 2, 5
	v_and_b32_e32 v1, 0x80000000, v1
	s_delay_alu instid0(VALU_DEP_3) | instskip(NEXT) | instid1(VALU_DEP_3)
	v_clz_i32_u32_e32 v7, v6
	v_cmp_eq_u32_e32 vcc_lo, 0, v11
	s_delay_alu instid0(VALU_DEP_2) | instskip(NEXT) | instid1(VALU_DEP_1)
	v_min_u32_e32 v7, 32, v7
	v_subrev_nc_u32_e32 v10, 29, v7
	v_sub_nc_u32_e32 v7, 30, v7
	s_delay_alu instid0(VALU_DEP_2) | instskip(NEXT) | instid1(VALU_DEP_2)
	v_lshlrev_b32_e32 v3, v10, v3
	v_cndmask_b32_e32 v7, v11, v7, vcc_lo
	s_delay_alu instid0(VALU_DEP_2) | instskip(NEXT) | instid1(VALU_DEP_1)
	v_and_b32_e32 v3, 3, v3
	v_cndmask_b32_e32 v3, v6, v3, vcc_lo
	s_delay_alu instid0(VALU_DEP_3) | instskip(NEXT) | instid1(VALU_DEP_2)
	v_lshl_add_u32 v6, v7, 23, 0x37800000
	v_lshlrev_b32_e32 v3, 21, v3
	s_delay_alu instid0(VALU_DEP_1) | instskip(NEXT) | instid1(VALU_DEP_1)
	v_or3_b32 v1, v1, v6, v3
	v_cvt_f16_f32_e32 v10, v1
.LBB190_2245:
	s_or_b32 exec_lo, exec_lo, s24
	s_mov_b32 s23, 0
	s_branch .LBB190_2251
.LBB190_2246:
	s_mov_b32 s23, -1
                                        ; implicit-def: $vgpr10
	s_branch .LBB190_2257
.LBB190_2247:
	s_or_saveexec_b32 s25, s25
	v_mov_b32_e32 v10, 0x7e00
	s_xor_b32 exec_lo, exec_lo, s25
	s_cbranch_execz .LBB190_2231
.LBB190_2248:
	v_cmp_ne_u16_e32 vcc_lo, 0, v1
	v_mov_b32_e32 v10, v1
	s_and_not1_b32 s24, s24, exec_lo
	s_and_b32 s26, vcc_lo, exec_lo
	s_delay_alu instid0(SALU_CYCLE_1)
	s_or_b32 s24, s24, s26
	s_or_b32 exec_lo, exec_lo, s25
	s_and_saveexec_b32 s25, s24
	s_cbranch_execnz .LBB190_2232
	s_branch .LBB190_2233
.LBB190_2249:
	s_mov_b32 s23, -1
                                        ; implicit-def: $vgpr10
	s_branch .LBB190_2254
.LBB190_2250:
	s_mov_b32 s23, -1
                                        ; implicit-def: $vgpr10
.LBB190_2251:
	s_delay_alu instid0(SALU_CYCLE_1)
	s_and_b32 vcc_lo, exec_lo, s23
	s_cbranch_vccz .LBB190_2253
; %bb.2252:
	global_load_u8 v1, v[4:5], off
	s_wait_loadcnt 0x0
	v_lshlrev_b32_e32 v1, 24, v1
	s_delay_alu instid0(VALU_DEP_1) | instskip(NEXT) | instid1(VALU_DEP_1)
	v_and_b32_e32 v3, 0x7f000000, v1
	v_clz_i32_u32_e32 v6, v3
	v_cmp_ne_u32_e32 vcc_lo, 0, v3
	v_add_nc_u32_e32 v10, 0x1000000, v3
	s_delay_alu instid0(VALU_DEP_3) | instskip(NEXT) | instid1(VALU_DEP_1)
	v_min_u32_e32 v6, 32, v6
	v_sub_nc_u32_e64 v6, v6, 4 clamp
	s_delay_alu instid0(VALU_DEP_1) | instskip(NEXT) | instid1(VALU_DEP_1)
	v_dual_lshlrev_b32 v7, v6, v3 :: v_dual_lshlrev_b32 v6, 23, v6
	v_lshrrev_b32_e32 v7, 4, v7
	s_delay_alu instid0(VALU_DEP_1) | instskip(SKIP_1) | instid1(VALU_DEP_2)
	v_sub_nc_u32_e32 v6, v7, v6
	v_ashrrev_i32_e32 v7, 8, v10
	v_add_nc_u32_e32 v6, 0x3c000000, v6
	s_delay_alu instid0(VALU_DEP_1) | instskip(NEXT) | instid1(VALU_DEP_1)
	v_and_or_b32 v6, 0x7f800000, v7, v6
	v_cndmask_b32_e32 v3, 0, v6, vcc_lo
	s_delay_alu instid0(VALU_DEP_1) | instskip(NEXT) | instid1(VALU_DEP_1)
	v_and_or_b32 v1, 0x80000000, v1, v3
	v_cvt_f16_f32_e32 v10, v1
.LBB190_2253:
	s_mov_b32 s23, 0
.LBB190_2254:
	s_delay_alu instid0(SALU_CYCLE_1)
	s_and_not1_b32 vcc_lo, exec_lo, s23
	s_cbranch_vccnz .LBB190_2256
; %bb.2255:
	global_load_u8 v1, v[4:5], off
	s_wait_loadcnt 0x0
	v_lshlrev_b32_e32 v3, 25, v1
	v_lshlrev_b16 v1, 8, v1
	s_delay_alu instid0(VALU_DEP_1) | instskip(SKIP_1) | instid1(VALU_DEP_2)
	v_and_or_b32 v7, 0x7f00, v1, 0.5
	v_bfe_i32 v1, v1, 0, 16
	v_add_f32_e32 v7, -0.5, v7
	v_lshrrev_b32_e32 v6, 4, v3
	v_cmp_gt_u32_e32 vcc_lo, 0x8000000, v3
	s_delay_alu instid0(VALU_DEP_2) | instskip(NEXT) | instid1(VALU_DEP_1)
	v_or_b32_e32 v6, 0x70000000, v6
	v_mul_f32_e32 v6, 0x7800000, v6
	s_delay_alu instid0(VALU_DEP_1) | instskip(NEXT) | instid1(VALU_DEP_1)
	v_cndmask_b32_e32 v3, v6, v7, vcc_lo
	v_and_or_b32 v1, 0x80000000, v1, v3
	s_delay_alu instid0(VALU_DEP_1)
	v_cvt_f16_f32_e32 v10, v1
.LBB190_2256:
	s_mov_b32 s23, 0
	s_mov_b32 s24, -1
.LBB190_2257:
	s_and_not1_b32 vcc_lo, exec_lo, s23
	s_mov_b32 s23, 0
	s_cbranch_vccnz .LBB190_2268
; %bb.2258:
	s_cmp_gt_i32 s0, 14
	s_cbranch_scc0 .LBB190_2261
; %bb.2259:
	s_cmp_eq_u32 s0, 15
	s_cbranch_scc0 .LBB190_2264
; %bb.2260:
	global_load_u16 v1, v[4:5], off
	s_mov_b32 s22, 0
	s_mov_b32 s24, -1
	s_wait_loadcnt 0x0
	v_lshlrev_b32_e32 v1, 16, v1
	s_delay_alu instid0(VALU_DEP_1)
	v_cvt_f16_f32_e32 v10, v1
	s_branch .LBB190_2266
.LBB190_2261:
	s_mov_b32 s23, -1
	s_branch .LBB190_2265
.LBB190_2262:
	s_or_saveexec_b32 s24, s24
	v_mov_b32_e32 v10, 0x7e00
	s_xor_b32 exec_lo, exec_lo, s24
	s_cbranch_execz .LBB190_2243
.LBB190_2263:
	v_cmp_ne_u16_e32 vcc_lo, 0, v1
	v_mov_b32_e32 v10, v1
	s_and_not1_b32 s23, s23, exec_lo
	s_and_b32 s25, vcc_lo, exec_lo
	s_delay_alu instid0(SALU_CYCLE_1)
	s_or_b32 s23, s23, s25
	s_or_b32 exec_lo, exec_lo, s24
	s_and_saveexec_b32 s24, s23
	s_cbranch_execnz .LBB190_2244
	s_branch .LBB190_2245
.LBB190_2264:
	s_mov_b32 s22, -1
.LBB190_2265:
                                        ; implicit-def: $vgpr10
.LBB190_2266:
	s_and_b32 vcc_lo, exec_lo, s23
	s_mov_b32 s23, 0
	s_cbranch_vccz .LBB190_2268
; %bb.2267:
	s_cmp_lg_u32 s0, 11
	s_mov_b32 s23, -1
	s_cselect_b32 s22, -1, 0
.LBB190_2268:
	s_delay_alu instid0(SALU_CYCLE_1)
	s_and_b32 vcc_lo, exec_lo, s22
	s_cbranch_vccnz .LBB190_2331
; %bb.2269:
	s_and_not1_b32 vcc_lo, exec_lo, s23
	s_cbranch_vccnz .LBB190_2271
.LBB190_2270:
	global_load_u8 v1, v[4:5], off
	s_mov_b32 s24, -1
	s_wait_loadcnt 0x0
	v_cmp_ne_u16_e32 vcc_lo, 0, v1
	v_cndmask_b32_e64 v10, 0, 0x3c00, vcc_lo
.LBB190_2271:
	s_branch .LBB190_2197
.LBB190_2272:
	s_and_b32 s0, 0xffff, s17
	s_delay_alu instid0(SALU_CYCLE_1)
	s_cmp_lt_i32 s0, 5
	s_cbranch_scc1 .LBB190_2277
; %bb.2273:
	s_cmp_lt_i32 s0, 8
	s_cbranch_scc1 .LBB190_2278
; %bb.2274:
	s_cmp_lt_i32 s0, 9
	s_cbranch_scc1 .LBB190_2279
; %bb.2275:
	s_cmp_gt_i32 s0, 9
	s_cbranch_scc0 .LBB190_2280
; %bb.2276:
	global_load_b64 v[6:7], v[4:5], off
	s_mov_b32 s22, 0
	s_wait_loadcnt 0x0
	v_and_or_b32 v1, 0x1ff, v7, v6
	v_lshrrev_b32_e32 v3, 8, v7
	v_bfe_u32 v6, v7, 20, 11
	s_delay_alu instid0(VALU_DEP_3) | instskip(NEXT) | instid1(VALU_DEP_2)
	v_cmp_ne_u32_e32 vcc_lo, 0, v1
	v_sub_nc_u32_e32 v10, 0x3f1, v6
	v_add_nc_u32_e32 v6, 0xfffffc10, v6
	v_cndmask_b32_e64 v1, 0, 1, vcc_lo
	s_delay_alu instid0(VALU_DEP_1) | instskip(NEXT) | instid1(VALU_DEP_4)
	v_and_or_b32 v1, 0xffe, v3, v1
	v_med3_i32 v3, v10, 0, 13
	s_delay_alu instid0(VALU_DEP_2) | instskip(NEXT) | instid1(VALU_DEP_1)
	v_or_b32_e32 v10, 0x1000, v1
	v_lshrrev_b32_e32 v11, v3, v10
	s_delay_alu instid0(VALU_DEP_1) | instskip(NEXT) | instid1(VALU_DEP_1)
	v_lshlrev_b32_e32 v3, v3, v11
	v_cmp_ne_u32_e32 vcc_lo, v3, v10
	v_lshl_or_b32 v10, v6, 12, v1
	v_cndmask_b32_e64 v3, 0, 1, vcc_lo
	v_cmp_gt_i32_e32 vcc_lo, 1, v6
	s_delay_alu instid0(VALU_DEP_2) | instskip(NEXT) | instid1(VALU_DEP_1)
	v_or_b32_e32 v3, v11, v3
	v_cndmask_b32_e32 v3, v10, v3, vcc_lo
	s_delay_alu instid0(VALU_DEP_1) | instskip(NEXT) | instid1(VALU_DEP_1)
	v_dual_lshrrev_b32 v3, 2, v3 :: v_dual_bitop2_b32 v10, 7, v3 bitop3:0x40
	v_cmp_lt_i32_e32 vcc_lo, 5, v10
	v_cndmask_b32_e64 v11, 0, 1, vcc_lo
	v_cmp_eq_u32_e32 vcc_lo, 3, v10
	v_cndmask_b32_e64 v10, 0, 1, vcc_lo
	v_cmp_ne_u32_e32 vcc_lo, 0, v1
	s_delay_alu instid0(VALU_DEP_2) | instskip(SKIP_1) | instid1(VALU_DEP_2)
	v_or_b32_e32 v10, v10, v11
	v_mov_b32_e32 v11, 0x7e00
	v_add_nc_u32_e32 v3, v3, v10
	s_delay_alu instid0(VALU_DEP_2) | instskip(SKIP_1) | instid1(VALU_DEP_3)
	v_cndmask_b32_e32 v1, 0x7c00, v11, vcc_lo
	v_cmp_gt_i32_e32 vcc_lo, 31, v6
	v_cndmask_b32_e32 v3, 0x7c00, v3, vcc_lo
	v_cmp_eq_u32_e32 vcc_lo, 0x40f, v6
	s_delay_alu instid0(VALU_DEP_2) | instskip(NEXT) | instid1(VALU_DEP_1)
	v_dual_cndmask_b32 v1, v3, v1, vcc_lo :: v_dual_lshrrev_b32 v3, 16, v7
	v_and_or_b32 v10, 0x8000, v3, v1
	s_branch .LBB190_2281
.LBB190_2277:
                                        ; implicit-def: $vgpr10
	s_branch .LBB190_2299
.LBB190_2278:
	s_mov_b32 s22, -1
                                        ; implicit-def: $vgpr10
	s_branch .LBB190_2287
.LBB190_2279:
	s_mov_b32 s22, -1
                                        ; implicit-def: $vgpr10
	s_branch .LBB190_2284
.LBB190_2280:
	s_mov_b32 s22, -1
                                        ; implicit-def: $vgpr10
.LBB190_2281:
	s_delay_alu instid0(SALU_CYCLE_1)
	s_and_not1_b32 vcc_lo, exec_lo, s22
	s_cbranch_vccnz .LBB190_2283
; %bb.2282:
	global_load_b32 v1, v[4:5], off
	s_wait_loadcnt 0x0
	v_cvt_f16_f32_e32 v10, v1
.LBB190_2283:
	s_mov_b32 s22, 0
.LBB190_2284:
	s_delay_alu instid0(SALU_CYCLE_1)
	s_and_not1_b32 vcc_lo, exec_lo, s22
	s_cbranch_vccnz .LBB190_2286
; %bb.2285:
	global_load_b32 v10, v[4:5], off
.LBB190_2286:
	s_mov_b32 s22, 0
.LBB190_2287:
	s_delay_alu instid0(SALU_CYCLE_1)
	s_and_not1_b32 vcc_lo, exec_lo, s22
	s_cbranch_vccnz .LBB190_2298
; %bb.2288:
	s_cmp_lt_i32 s0, 6
	s_cbranch_scc1 .LBB190_2291
; %bb.2289:
	s_cmp_gt_i32 s0, 6
	s_cbranch_scc0 .LBB190_2292
; %bb.2290:
	global_load_b64 v[6:7], v[4:5], off
	s_mov_b32 s22, 0
	s_wait_loadcnt 0x0
	v_and_or_b32 v1, 0x1ff, v7, v6
	v_lshrrev_b32_e32 v3, 8, v7
	v_bfe_u32 v6, v7, 20, 11
	s_delay_alu instid0(VALU_DEP_3) | instskip(NEXT) | instid1(VALU_DEP_2)
	v_cmp_ne_u32_e32 vcc_lo, 0, v1
	v_sub_nc_u32_e32 v10, 0x3f1, v6
	v_add_nc_u32_e32 v6, 0xfffffc10, v6
	v_cndmask_b32_e64 v1, 0, 1, vcc_lo
	s_delay_alu instid0(VALU_DEP_1) | instskip(NEXT) | instid1(VALU_DEP_4)
	v_and_or_b32 v1, 0xffe, v3, v1
	v_med3_i32 v3, v10, 0, 13
	s_delay_alu instid0(VALU_DEP_2) | instskip(NEXT) | instid1(VALU_DEP_1)
	v_or_b32_e32 v10, 0x1000, v1
	v_lshrrev_b32_e32 v11, v3, v10
	s_delay_alu instid0(VALU_DEP_1) | instskip(NEXT) | instid1(VALU_DEP_1)
	v_lshlrev_b32_e32 v3, v3, v11
	v_cmp_ne_u32_e32 vcc_lo, v3, v10
	v_lshl_or_b32 v10, v6, 12, v1
	v_cndmask_b32_e64 v3, 0, 1, vcc_lo
	v_cmp_gt_i32_e32 vcc_lo, 1, v6
	s_delay_alu instid0(VALU_DEP_2) | instskip(NEXT) | instid1(VALU_DEP_1)
	v_or_b32_e32 v3, v11, v3
	v_cndmask_b32_e32 v3, v10, v3, vcc_lo
	s_delay_alu instid0(VALU_DEP_1) | instskip(NEXT) | instid1(VALU_DEP_1)
	v_dual_lshrrev_b32 v3, 2, v3 :: v_dual_bitop2_b32 v10, 7, v3 bitop3:0x40
	v_cmp_lt_i32_e32 vcc_lo, 5, v10
	v_cndmask_b32_e64 v11, 0, 1, vcc_lo
	v_cmp_eq_u32_e32 vcc_lo, 3, v10
	v_cndmask_b32_e64 v10, 0, 1, vcc_lo
	v_cmp_ne_u32_e32 vcc_lo, 0, v1
	s_delay_alu instid0(VALU_DEP_2) | instskip(SKIP_1) | instid1(VALU_DEP_2)
	v_or_b32_e32 v10, v10, v11
	v_mov_b32_e32 v11, 0x7e00
	v_add_nc_u32_e32 v3, v3, v10
	s_delay_alu instid0(VALU_DEP_2) | instskip(SKIP_1) | instid1(VALU_DEP_3)
	v_cndmask_b32_e32 v1, 0x7c00, v11, vcc_lo
	v_cmp_gt_i32_e32 vcc_lo, 31, v6
	v_cndmask_b32_e32 v3, 0x7c00, v3, vcc_lo
	v_cmp_eq_u32_e32 vcc_lo, 0x40f, v6
	s_delay_alu instid0(VALU_DEP_2) | instskip(NEXT) | instid1(VALU_DEP_1)
	v_dual_cndmask_b32 v1, v3, v1, vcc_lo :: v_dual_lshrrev_b32 v3, 16, v7
	v_and_or_b32 v10, 0x8000, v3, v1
	s_branch .LBB190_2293
.LBB190_2291:
	s_mov_b32 s22, -1
                                        ; implicit-def: $vgpr10
	s_branch .LBB190_2296
.LBB190_2292:
	s_mov_b32 s22, -1
                                        ; implicit-def: $vgpr10
.LBB190_2293:
	s_delay_alu instid0(SALU_CYCLE_1)
	s_and_not1_b32 vcc_lo, exec_lo, s22
	s_cbranch_vccnz .LBB190_2295
; %bb.2294:
	global_load_b32 v1, v[4:5], off
	s_wait_loadcnt 0x0
	v_cvt_f16_f32_e32 v10, v1
.LBB190_2295:
	s_mov_b32 s22, 0
.LBB190_2296:
	s_delay_alu instid0(SALU_CYCLE_1)
	s_and_not1_b32 vcc_lo, exec_lo, s22
	s_cbranch_vccnz .LBB190_2298
; %bb.2297:
	s_wait_loadcnt 0x0
	global_load_u16 v10, v[4:5], off
.LBB190_2298:
	s_cbranch_execnz .LBB190_2318
.LBB190_2299:
	s_cmp_lt_i32 s0, 2
	s_cbranch_scc1 .LBB190_2303
; %bb.2300:
	s_cmp_lt_i32 s0, 3
	s_cbranch_scc1 .LBB190_2304
; %bb.2301:
	s_cmp_gt_i32 s0, 3
	s_cbranch_scc0 .LBB190_2305
; %bb.2302:
	global_load_b64 v[6:7], v[4:5], off
	s_mov_b32 s22, 0
	s_wait_loadcnt 0x0
	v_xor_b32_e32 v1, v6, v7
	v_cls_i32_e32 v3, v7
	s_delay_alu instid0(VALU_DEP_2) | instskip(NEXT) | instid1(VALU_DEP_1)
	v_ashrrev_i32_e32 v1, 31, v1
	v_add_nc_u32_e32 v1, 32, v1
	s_delay_alu instid0(VALU_DEP_1) | instskip(NEXT) | instid1(VALU_DEP_1)
	v_add_min_u32_e64 v1, v3, -1, v1
	v_lshlrev_b64_e32 v[6:7], v1, v[6:7]
	v_sub_nc_u32_e32 v1, 32, v1
	s_delay_alu instid0(VALU_DEP_2) | instskip(NEXT) | instid1(VALU_DEP_1)
	v_min_u32_e32 v3, 1, v6
	v_or_b32_e32 v3, v7, v3
	s_delay_alu instid0(VALU_DEP_1) | instskip(NEXT) | instid1(VALU_DEP_1)
	v_cvt_f32_i32_e32 v3, v3
	v_ldexp_f32 v1, v3, v1
	s_delay_alu instid0(VALU_DEP_1)
	v_cvt_f16_f32_e32 v10, v1
	s_branch .LBB190_2306
.LBB190_2303:
	s_mov_b32 s22, -1
                                        ; implicit-def: $vgpr10
	s_branch .LBB190_2312
.LBB190_2304:
	s_mov_b32 s22, -1
                                        ; implicit-def: $vgpr10
	s_branch .LBB190_2309
.LBB190_2305:
	s_mov_b32 s22, -1
                                        ; implicit-def: $vgpr10
.LBB190_2306:
	s_delay_alu instid0(SALU_CYCLE_1)
	s_and_not1_b32 vcc_lo, exec_lo, s22
	s_cbranch_vccnz .LBB190_2308
; %bb.2307:
	global_load_b32 v1, v[4:5], off
	s_wait_loadcnt 0x0
	v_cvt_f32_i32_e32 v1, v1
	s_delay_alu instid0(VALU_DEP_1)
	v_cvt_f16_f32_e32 v10, v1
.LBB190_2308:
	s_mov_b32 s22, 0
.LBB190_2309:
	s_delay_alu instid0(SALU_CYCLE_1)
	s_and_not1_b32 vcc_lo, exec_lo, s22
	s_cbranch_vccnz .LBB190_2311
; %bb.2310:
	global_load_u16 v1, v[4:5], off
	s_wait_loadcnt 0x0
	v_cvt_f16_i16_e32 v10, v1
.LBB190_2311:
	s_mov_b32 s22, 0
.LBB190_2312:
	s_delay_alu instid0(SALU_CYCLE_1)
	s_and_not1_b32 vcc_lo, exec_lo, s22
	s_cbranch_vccnz .LBB190_2318
; %bb.2313:
	s_cmp_gt_i32 s0, 0
	s_mov_b32 s0, 0
	s_cbranch_scc0 .LBB190_2315
; %bb.2314:
	global_load_i8 v1, v[4:5], off
	s_wait_loadcnt 0x0
	v_cvt_f16_i16_e32 v10, v1
	s_branch .LBB190_2316
.LBB190_2315:
	s_mov_b32 s0, -1
                                        ; implicit-def: $vgpr10
.LBB190_2316:
	s_delay_alu instid0(SALU_CYCLE_1)
	s_and_not1_b32 vcc_lo, exec_lo, s0
	s_cbranch_vccnz .LBB190_2318
; %bb.2317:
	global_load_u8 v1, v[4:5], off
	s_wait_loadcnt 0x0
	v_cvt_f16_u16_e32 v10, v1
.LBB190_2318:
.LBB190_2319:
	s_wait_xcnt 0x0
	v_mul_lo_u32 v4, s15, v8
	s_and_b32 s0, 0xffff, s16
	s_delay_alu instid0(SALU_CYCLE_1) | instskip(NEXT) | instid1(VALU_DEP_1)
	s_cmp_lt_i32 s0, 11
	v_ashrrev_i32_e32 v5, 31, v4
	s_delay_alu instid0(VALU_DEP_1)
	v_add_nc_u64_e32 v[6:7], s[10:11], v[4:5]
	s_cbranch_scc1 .LBB190_2326
; %bb.2320:
	s_cmp_gt_i32 s0, 25
	s_mov_b32 s22, 0
	s_cbranch_scc0 .LBB190_2328
; %bb.2321:
	s_cmp_gt_i32 s0, 28
	s_cbranch_scc0 .LBB190_2329
; %bb.2322:
	s_cmp_gt_i32 s0, 43
	;; [unrolled: 3-line block ×3, first 2 shown]
	s_cbranch_scc0 .LBB190_2332
; %bb.2324:
	s_cmp_eq_u32 s0, 46
	s_mov_b32 s24, 0
	s_cbranch_scc0 .LBB190_2333
; %bb.2325:
	global_load_b32 v1, v[6:7], off
	s_mov_b32 s16, 0
	s_mov_b32 s23, -1
	s_wait_loadcnt 0x0
	v_lshlrev_b32_e32 v1, 16, v1
	s_delay_alu instid0(VALU_DEP_1)
	v_cvt_f16_f32_e32 v11, v1
	s_branch .LBB190_2335
.LBB190_2326:
	s_mov_b32 s23, 0
                                        ; implicit-def: $vgpr11
	s_cbranch_execnz .LBB190_2401
.LBB190_2327:
	s_and_not1_b32 vcc_lo, exec_lo, s23
	s_cbranch_vccnz .LBB190_4065
	s_branch .LBB190_2449
.LBB190_2328:
	s_mov_b32 s24, -1
	s_mov_b32 s23, 0
	s_mov_b32 s16, 0
                                        ; implicit-def: $vgpr11
	s_branch .LBB190_2364
.LBB190_2329:
	s_mov_b32 s24, -1
	s_mov_b32 s23, 0
	s_mov_b32 s16, 0
                                        ; implicit-def: $vgpr11
	s_branch .LBB190_2345
.LBB190_2330:
	s_mov_b32 s24, -1
	s_mov_b32 s23, 0
	s_mov_b32 s16, 0
                                        ; implicit-def: $vgpr11
	s_branch .LBB190_2340
.LBB190_2331:
	s_or_b32 s18, s18, exec_lo
	s_trap 2
	s_cbranch_execz .LBB190_2270
	s_branch .LBB190_2271
.LBB190_2332:
	s_mov_b32 s24, -1
	s_mov_b32 s23, 0
	s_mov_b32 s16, 0
	s_branch .LBB190_2334
.LBB190_2333:
	s_mov_b32 s16, -1
	s_mov_b32 s23, 0
.LBB190_2334:
                                        ; implicit-def: $vgpr11
.LBB190_2335:
	s_and_b32 vcc_lo, exec_lo, s24
	s_cbranch_vccz .LBB190_2339
; %bb.2336:
	s_cmp_eq_u32 s0, 44
	s_cbranch_scc0 .LBB190_2338
; %bb.2337:
	global_load_u8 v1, v[6:7], off
	s_mov_b32 s16, 0
	s_mov_b32 s23, -1
	s_wait_loadcnt 0x0
	v_lshlrev_b32_e32 v3, 23, v1
	v_cmp_ne_u32_e32 vcc_lo, 0xff, v1
	s_delay_alu instid0(VALU_DEP_2) | instskip(NEXT) | instid1(VALU_DEP_1)
	v_cvt_f16_f32_e32 v3, v3
	v_cndmask_b32_e32 v3, 0x7e00, v3, vcc_lo
	v_cmp_ne_u32_e32 vcc_lo, 0, v1
	s_delay_alu instid0(VALU_DEP_2)
	v_cndmask_b32_e32 v11, 0, v3, vcc_lo
	s_branch .LBB190_2339
.LBB190_2338:
	s_mov_b32 s16, -1
                                        ; implicit-def: $vgpr11
.LBB190_2339:
	s_mov_b32 s24, 0
.LBB190_2340:
	s_delay_alu instid0(SALU_CYCLE_1)
	s_and_b32 vcc_lo, exec_lo, s24
	s_cbranch_vccz .LBB190_2344
; %bb.2341:
	s_cmp_eq_u32 s0, 29
	s_cbranch_scc0 .LBB190_2343
; %bb.2342:
	global_load_b64 v[12:13], v[6:7], off
	s_mov_b32 s16, 0
	s_mov_b32 s23, -1
	s_mov_b32 s24, 0
	s_wait_loadcnt 0x0
	v_clz_i32_u32_e32 v1, v13
	s_delay_alu instid0(VALU_DEP_1) | instskip(NEXT) | instid1(VALU_DEP_1)
	v_min_u32_e32 v1, 32, v1
	v_lshlrev_b64_e32 v[12:13], v1, v[12:13]
	v_sub_nc_u32_e32 v1, 32, v1
	s_delay_alu instid0(VALU_DEP_2) | instskip(NEXT) | instid1(VALU_DEP_1)
	v_min_u32_e32 v3, 1, v12
	v_or_b32_e32 v3, v13, v3
	s_delay_alu instid0(VALU_DEP_1) | instskip(NEXT) | instid1(VALU_DEP_1)
	v_cvt_f32_u32_e32 v3, v3
	v_ldexp_f32 v1, v3, v1
	s_delay_alu instid0(VALU_DEP_1)
	v_cvt_f16_f32_e32 v11, v1
	s_branch .LBB190_2345
.LBB190_2343:
	s_mov_b32 s16, -1
                                        ; implicit-def: $vgpr11
.LBB190_2344:
	s_mov_b32 s24, 0
.LBB190_2345:
	s_delay_alu instid0(SALU_CYCLE_1)
	s_and_b32 vcc_lo, exec_lo, s24
	s_cbranch_vccz .LBB190_2363
; %bb.2346:
	s_cmp_lt_i32 s0, 27
	s_cbranch_scc1 .LBB190_2349
; %bb.2347:
	s_cmp_gt_i32 s0, 27
	s_cbranch_scc0 .LBB190_2350
; %bb.2348:
	global_load_b32 v1, v[6:7], off
	s_mov_b32 s23, 0
	s_wait_loadcnt 0x0
	v_cvt_f32_u32_e32 v1, v1
	s_delay_alu instid0(VALU_DEP_1)
	v_cvt_f16_f32_e32 v11, v1
	s_branch .LBB190_2351
.LBB190_2349:
	s_mov_b32 s23, -1
                                        ; implicit-def: $vgpr11
	s_branch .LBB190_2354
.LBB190_2350:
	s_mov_b32 s23, -1
                                        ; implicit-def: $vgpr11
.LBB190_2351:
	s_delay_alu instid0(SALU_CYCLE_1)
	s_and_not1_b32 vcc_lo, exec_lo, s23
	s_cbranch_vccnz .LBB190_2353
; %bb.2352:
	global_load_u16 v1, v[6:7], off
	s_wait_loadcnt 0x0
	v_cvt_f16_u16_e32 v11, v1
.LBB190_2353:
	s_mov_b32 s23, 0
.LBB190_2354:
	s_delay_alu instid0(SALU_CYCLE_1)
	s_and_not1_b32 vcc_lo, exec_lo, s23
	s_cbranch_vccnz .LBB190_2362
; %bb.2355:
	global_load_u8 v1, v[6:7], off
	s_mov_b32 s23, 0
	s_mov_b32 s24, exec_lo
	s_wait_loadcnt 0x0
	v_cmpx_lt_i16_e32 0x7f, v1
	s_xor_b32 s24, exec_lo, s24
	s_cbranch_execz .LBB190_2376
; %bb.2356:
	s_mov_b32 s23, -1
	s_mov_b32 s25, exec_lo
	v_cmpx_eq_u16_e32 0x80, v1
; %bb.2357:
	s_xor_b32 s23, exec_lo, -1
; %bb.2358:
	s_or_b32 exec_lo, exec_lo, s25
	s_delay_alu instid0(SALU_CYCLE_1)
	s_and_b32 s23, s23, exec_lo
	s_or_saveexec_b32 s24, s24
	v_mov_b32_e32 v11, 0x7e00
	s_xor_b32 exec_lo, exec_lo, s24
	s_cbranch_execnz .LBB190_2377
.LBB190_2359:
	s_or_b32 exec_lo, exec_lo, s24
	s_and_saveexec_b32 s24, s23
	s_cbranch_execz .LBB190_2361
.LBB190_2360:
	v_and_b32_e32 v3, 0xffff, v1
	s_delay_alu instid0(VALU_DEP_1) | instskip(SKIP_1) | instid1(VALU_DEP_2)
	v_dual_lshlrev_b32 v1, 24, v1 :: v_dual_bitop2_b32 v5, 7, v3 bitop3:0x40
	v_bfe_u32 v13, v3, 3, 4
	v_and_b32_e32 v1, 0x80000000, v1
	s_delay_alu instid0(VALU_DEP_3) | instskip(NEXT) | instid1(VALU_DEP_3)
	v_clz_i32_u32_e32 v11, v5
	v_cmp_eq_u32_e32 vcc_lo, 0, v13
	s_delay_alu instid0(VALU_DEP_2) | instskip(NEXT) | instid1(VALU_DEP_1)
	v_min_u32_e32 v11, 32, v11
	v_subrev_nc_u32_e32 v12, 28, v11
	v_sub_nc_u32_e32 v11, 29, v11
	s_delay_alu instid0(VALU_DEP_2) | instskip(NEXT) | instid1(VALU_DEP_2)
	v_lshlrev_b32_e32 v3, v12, v3
	v_cndmask_b32_e32 v11, v13, v11, vcc_lo
	s_delay_alu instid0(VALU_DEP_2) | instskip(NEXT) | instid1(VALU_DEP_1)
	v_and_b32_e32 v3, 7, v3
	v_cndmask_b32_e32 v3, v5, v3, vcc_lo
	s_delay_alu instid0(VALU_DEP_3) | instskip(NEXT) | instid1(VALU_DEP_2)
	v_lshl_add_u32 v5, v11, 23, 0x3b800000
	v_lshlrev_b32_e32 v3, 20, v3
	s_delay_alu instid0(VALU_DEP_1) | instskip(NEXT) | instid1(VALU_DEP_1)
	v_or3_b32 v1, v1, v5, v3
	v_cvt_f16_f32_e32 v11, v1
.LBB190_2361:
	s_or_b32 exec_lo, exec_lo, s24
.LBB190_2362:
	s_mov_b32 s23, -1
.LBB190_2363:
	s_mov_b32 s24, 0
.LBB190_2364:
	s_delay_alu instid0(SALU_CYCLE_1)
	s_and_b32 vcc_lo, exec_lo, s24
	s_cbranch_vccz .LBB190_2397
; %bb.2365:
	s_cmp_gt_i32 s0, 22
	s_cbranch_scc0 .LBB190_2375
; %bb.2366:
	s_cmp_lt_i32 s0, 24
	s_cbranch_scc1 .LBB190_2378
; %bb.2367:
	s_cmp_gt_i32 s0, 24
	s_cbranch_scc0 .LBB190_2379
; %bb.2368:
	global_load_u8 v1, v[6:7], off
	s_mov_b32 s23, exec_lo
	s_wait_loadcnt 0x0
	v_cmpx_lt_i16_e32 0x7f, v1
	s_xor_b32 s23, exec_lo, s23
	s_cbranch_execz .LBB190_2391
; %bb.2369:
	s_mov_b32 s22, -1
	s_mov_b32 s24, exec_lo
	v_cmpx_eq_u16_e32 0x80, v1
; %bb.2370:
	s_xor_b32 s22, exec_lo, -1
; %bb.2371:
	s_or_b32 exec_lo, exec_lo, s24
	s_delay_alu instid0(SALU_CYCLE_1)
	s_and_b32 s22, s22, exec_lo
	s_or_saveexec_b32 s23, s23
	v_mov_b32_e32 v11, 0x7e00
	s_xor_b32 exec_lo, exec_lo, s23
	s_cbranch_execnz .LBB190_2392
.LBB190_2372:
	s_or_b32 exec_lo, exec_lo, s23
	s_and_saveexec_b32 s23, s22
	s_cbranch_execz .LBB190_2374
.LBB190_2373:
	v_and_b32_e32 v3, 0xffff, v1
	s_delay_alu instid0(VALU_DEP_1) | instskip(SKIP_1) | instid1(VALU_DEP_2)
	v_dual_lshlrev_b32 v1, 24, v1 :: v_dual_bitop2_b32 v5, 3, v3 bitop3:0x40
	v_bfe_u32 v13, v3, 2, 5
	v_and_b32_e32 v1, 0x80000000, v1
	s_delay_alu instid0(VALU_DEP_3) | instskip(NEXT) | instid1(VALU_DEP_3)
	v_clz_i32_u32_e32 v11, v5
	v_cmp_eq_u32_e32 vcc_lo, 0, v13
	s_delay_alu instid0(VALU_DEP_2) | instskip(NEXT) | instid1(VALU_DEP_1)
	v_min_u32_e32 v11, 32, v11
	v_subrev_nc_u32_e32 v12, 29, v11
	v_sub_nc_u32_e32 v11, 30, v11
	s_delay_alu instid0(VALU_DEP_2) | instskip(NEXT) | instid1(VALU_DEP_2)
	v_lshlrev_b32_e32 v3, v12, v3
	v_cndmask_b32_e32 v11, v13, v11, vcc_lo
	s_delay_alu instid0(VALU_DEP_2) | instskip(NEXT) | instid1(VALU_DEP_1)
	v_and_b32_e32 v3, 3, v3
	v_cndmask_b32_e32 v3, v5, v3, vcc_lo
	s_delay_alu instid0(VALU_DEP_3) | instskip(NEXT) | instid1(VALU_DEP_2)
	v_lshl_add_u32 v5, v11, 23, 0x37800000
	v_lshlrev_b32_e32 v3, 21, v3
	s_delay_alu instid0(VALU_DEP_1) | instskip(NEXT) | instid1(VALU_DEP_1)
	v_or3_b32 v1, v1, v5, v3
	v_cvt_f16_f32_e32 v11, v1
.LBB190_2374:
	s_or_b32 exec_lo, exec_lo, s23
	s_mov_b32 s22, 0
	s_branch .LBB190_2380
.LBB190_2375:
	s_mov_b32 s22, -1
                                        ; implicit-def: $vgpr11
	s_branch .LBB190_2386
.LBB190_2376:
	s_or_saveexec_b32 s24, s24
	v_mov_b32_e32 v11, 0x7e00
	s_xor_b32 exec_lo, exec_lo, s24
	s_cbranch_execz .LBB190_2359
.LBB190_2377:
	v_cmp_ne_u16_e32 vcc_lo, 0, v1
	v_mov_b32_e32 v11, v1
	s_and_not1_b32 s23, s23, exec_lo
	s_and_b32 s25, vcc_lo, exec_lo
	s_delay_alu instid0(SALU_CYCLE_1)
	s_or_b32 s23, s23, s25
	s_or_b32 exec_lo, exec_lo, s24
	s_and_saveexec_b32 s24, s23
	s_cbranch_execnz .LBB190_2360
	s_branch .LBB190_2361
.LBB190_2378:
	s_mov_b32 s22, -1
                                        ; implicit-def: $vgpr11
	s_branch .LBB190_2383
.LBB190_2379:
	s_mov_b32 s22, -1
                                        ; implicit-def: $vgpr11
.LBB190_2380:
	s_delay_alu instid0(SALU_CYCLE_1)
	s_and_b32 vcc_lo, exec_lo, s22
	s_cbranch_vccz .LBB190_2382
; %bb.2381:
	global_load_u8 v1, v[6:7], off
	s_wait_loadcnt 0x0
	v_lshlrev_b32_e32 v1, 24, v1
	s_delay_alu instid0(VALU_DEP_1) | instskip(NEXT) | instid1(VALU_DEP_1)
	v_and_b32_e32 v3, 0x7f000000, v1
	v_clz_i32_u32_e32 v5, v3
	v_cmp_ne_u32_e32 vcc_lo, 0, v3
	v_add_nc_u32_e32 v12, 0x1000000, v3
	s_delay_alu instid0(VALU_DEP_3) | instskip(NEXT) | instid1(VALU_DEP_1)
	v_min_u32_e32 v5, 32, v5
	v_sub_nc_u32_e64 v5, v5, 4 clamp
	s_delay_alu instid0(VALU_DEP_1) | instskip(NEXT) | instid1(VALU_DEP_1)
	v_dual_lshlrev_b32 v11, v5, v3 :: v_dual_lshlrev_b32 v5, 23, v5
	v_lshrrev_b32_e32 v11, 4, v11
	s_delay_alu instid0(VALU_DEP_1) | instskip(NEXT) | instid1(VALU_DEP_1)
	v_dual_sub_nc_u32 v5, v11, v5 :: v_dual_ashrrev_i32 v11, 8, v12
	v_add_nc_u32_e32 v5, 0x3c000000, v5
	s_delay_alu instid0(VALU_DEP_1) | instskip(NEXT) | instid1(VALU_DEP_1)
	v_and_or_b32 v5, 0x7f800000, v11, v5
	v_cndmask_b32_e32 v3, 0, v5, vcc_lo
	s_delay_alu instid0(VALU_DEP_1) | instskip(NEXT) | instid1(VALU_DEP_1)
	v_and_or_b32 v1, 0x80000000, v1, v3
	v_cvt_f16_f32_e32 v11, v1
.LBB190_2382:
	s_mov_b32 s22, 0
.LBB190_2383:
	s_delay_alu instid0(SALU_CYCLE_1)
	s_and_not1_b32 vcc_lo, exec_lo, s22
	s_cbranch_vccnz .LBB190_2385
; %bb.2384:
	global_load_u8 v1, v[6:7], off
	s_wait_loadcnt 0x0
	v_lshlrev_b32_e32 v3, 25, v1
	v_lshlrev_b16 v1, 8, v1
	s_delay_alu instid0(VALU_DEP_1) | instskip(SKIP_1) | instid1(VALU_DEP_2)
	v_and_or_b32 v11, 0x7f00, v1, 0.5
	v_bfe_i32 v1, v1, 0, 16
	v_add_f32_e32 v11, -0.5, v11
	v_lshrrev_b32_e32 v5, 4, v3
	v_cmp_gt_u32_e32 vcc_lo, 0x8000000, v3
	s_delay_alu instid0(VALU_DEP_2) | instskip(NEXT) | instid1(VALU_DEP_1)
	v_or_b32_e32 v5, 0x70000000, v5
	v_mul_f32_e32 v5, 0x7800000, v5
	s_delay_alu instid0(VALU_DEP_1) | instskip(NEXT) | instid1(VALU_DEP_1)
	v_cndmask_b32_e32 v3, v5, v11, vcc_lo
	v_and_or_b32 v1, 0x80000000, v1, v3
	s_delay_alu instid0(VALU_DEP_1)
	v_cvt_f16_f32_e32 v11, v1
.LBB190_2385:
	s_mov_b32 s22, 0
	s_mov_b32 s23, -1
.LBB190_2386:
	s_and_not1_b32 vcc_lo, exec_lo, s22
	s_mov_b32 s22, 0
	s_cbranch_vccnz .LBB190_2397
; %bb.2387:
	s_cmp_gt_i32 s0, 14
	s_cbranch_scc0 .LBB190_2390
; %bb.2388:
	s_cmp_eq_u32 s0, 15
	s_cbranch_scc0 .LBB190_2393
; %bb.2389:
	global_load_u16 v1, v[6:7], off
	s_mov_b32 s16, 0
	s_mov_b32 s23, -1
	s_wait_loadcnt 0x0
	v_lshlrev_b32_e32 v1, 16, v1
	s_delay_alu instid0(VALU_DEP_1)
	v_cvt_f16_f32_e32 v11, v1
	s_branch .LBB190_2395
.LBB190_2390:
	s_mov_b32 s22, -1
	s_branch .LBB190_2394
.LBB190_2391:
	s_or_saveexec_b32 s23, s23
	v_mov_b32_e32 v11, 0x7e00
	s_xor_b32 exec_lo, exec_lo, s23
	s_cbranch_execz .LBB190_2372
.LBB190_2392:
	v_cmp_ne_u16_e32 vcc_lo, 0, v1
	v_mov_b32_e32 v11, v1
	s_and_not1_b32 s22, s22, exec_lo
	s_and_b32 s24, vcc_lo, exec_lo
	s_delay_alu instid0(SALU_CYCLE_1)
	s_or_b32 s22, s22, s24
	s_or_b32 exec_lo, exec_lo, s23
	s_and_saveexec_b32 s23, s22
	s_cbranch_execnz .LBB190_2373
	s_branch .LBB190_2374
.LBB190_2393:
	s_mov_b32 s16, -1
.LBB190_2394:
                                        ; implicit-def: $vgpr11
.LBB190_2395:
	s_and_b32 vcc_lo, exec_lo, s22
	s_mov_b32 s22, 0
	s_cbranch_vccz .LBB190_2397
; %bb.2396:
	s_cmp_lg_u32 s0, 11
	s_mov_b32 s22, -1
	s_cselect_b32 s16, -1, 0
.LBB190_2397:
	s_delay_alu instid0(SALU_CYCLE_1)
	s_and_b32 vcc_lo, exec_lo, s16
	s_cbranch_vccnz .LBB190_2460
; %bb.2398:
	s_and_not1_b32 vcc_lo, exec_lo, s22
	s_cbranch_vccnz .LBB190_2400
.LBB190_2399:
	global_load_u8 v1, v[6:7], off
	s_mov_b32 s23, -1
	s_wait_loadcnt 0x0
	v_cmp_ne_u16_e32 vcc_lo, 0, v1
	v_cndmask_b32_e64 v11, 0, 0x3c00, vcc_lo
.LBB190_2400:
	s_branch .LBB190_2327
.LBB190_2401:
	s_cmp_lt_i32 s0, 5
	s_cbranch_scc1 .LBB190_2406
; %bb.2402:
	s_cmp_lt_i32 s0, 8
	s_cbranch_scc1 .LBB190_2407
; %bb.2403:
	;; [unrolled: 3-line block ×3, first 2 shown]
	s_cmp_gt_i32 s0, 9
	s_cbranch_scc0 .LBB190_2409
; %bb.2405:
	global_load_b64 v[12:13], v[6:7], off
	s_mov_b32 s16, 0
	s_wait_loadcnt 0x0
	v_and_or_b32 v1, 0x1ff, v13, v12
	v_lshrrev_b32_e32 v3, 8, v13
	v_bfe_u32 v5, v13, 20, 11
	s_delay_alu instid0(VALU_DEP_3) | instskip(NEXT) | instid1(VALU_DEP_2)
	v_cmp_ne_u32_e32 vcc_lo, 0, v1
	v_sub_nc_u32_e32 v11, 0x3f1, v5
	v_add_nc_u32_e32 v5, 0xfffffc10, v5
	v_cndmask_b32_e64 v1, 0, 1, vcc_lo
	s_delay_alu instid0(VALU_DEP_1) | instskip(NEXT) | instid1(VALU_DEP_4)
	v_and_or_b32 v1, 0xffe, v3, v1
	v_med3_i32 v3, v11, 0, 13
	s_delay_alu instid0(VALU_DEP_2) | instskip(NEXT) | instid1(VALU_DEP_1)
	v_or_b32_e32 v11, 0x1000, v1
	v_lshrrev_b32_e32 v12, v3, v11
	s_delay_alu instid0(VALU_DEP_1) | instskip(NEXT) | instid1(VALU_DEP_1)
	v_lshlrev_b32_e32 v3, v3, v12
	v_cmp_ne_u32_e32 vcc_lo, v3, v11
	v_lshl_or_b32 v11, v5, 12, v1
	v_cndmask_b32_e64 v3, 0, 1, vcc_lo
	v_cmp_gt_i32_e32 vcc_lo, 1, v5
	s_delay_alu instid0(VALU_DEP_2) | instskip(NEXT) | instid1(VALU_DEP_1)
	v_or_b32_e32 v3, v12, v3
	v_cndmask_b32_e32 v3, v11, v3, vcc_lo
	s_delay_alu instid0(VALU_DEP_1) | instskip(NEXT) | instid1(VALU_DEP_1)
	v_dual_lshrrev_b32 v3, 2, v3 :: v_dual_bitop2_b32 v11, 7, v3 bitop3:0x40
	v_cmp_lt_i32_e32 vcc_lo, 5, v11
	v_cndmask_b32_e64 v12, 0, 1, vcc_lo
	v_cmp_eq_u32_e32 vcc_lo, 3, v11
	v_cndmask_b32_e64 v11, 0, 1, vcc_lo
	v_cmp_ne_u32_e32 vcc_lo, 0, v1
	s_delay_alu instid0(VALU_DEP_2) | instskip(NEXT) | instid1(VALU_DEP_1)
	v_or_b32_e32 v11, v11, v12
	v_dual_mov_b32 v12, 0x7e00 :: v_dual_add_nc_u32 v3, v3, v11
	s_delay_alu instid0(VALU_DEP_1) | instskip(SKIP_1) | instid1(VALU_DEP_3)
	v_cndmask_b32_e32 v1, 0x7c00, v12, vcc_lo
	v_cmp_gt_i32_e32 vcc_lo, 31, v5
	v_cndmask_b32_e32 v3, 0x7c00, v3, vcc_lo
	v_cmp_eq_u32_e32 vcc_lo, 0x40f, v5
	s_delay_alu instid0(VALU_DEP_2) | instskip(SKIP_1) | instid1(VALU_DEP_1)
	v_cndmask_b32_e32 v1, v3, v1, vcc_lo
	v_lshrrev_b32_e32 v3, 16, v13
	v_and_or_b32 v11, 0x8000, v3, v1
	s_branch .LBB190_2410
.LBB190_2406:
	s_mov_b32 s16, -1
                                        ; implicit-def: $vgpr11
	s_branch .LBB190_2428
.LBB190_2407:
	s_mov_b32 s16, -1
                                        ; implicit-def: $vgpr11
	s_branch .LBB190_2416
.LBB190_2408:
	s_mov_b32 s16, -1
                                        ; implicit-def: $vgpr11
	s_branch .LBB190_2413
.LBB190_2409:
	s_mov_b32 s16, -1
                                        ; implicit-def: $vgpr11
.LBB190_2410:
	s_delay_alu instid0(SALU_CYCLE_1)
	s_and_not1_b32 vcc_lo, exec_lo, s16
	s_cbranch_vccnz .LBB190_2412
; %bb.2411:
	global_load_b32 v1, v[6:7], off
	s_wait_loadcnt 0x0
	v_cvt_f16_f32_e32 v11, v1
.LBB190_2412:
	s_mov_b32 s16, 0
.LBB190_2413:
	s_delay_alu instid0(SALU_CYCLE_1)
	s_and_not1_b32 vcc_lo, exec_lo, s16
	s_cbranch_vccnz .LBB190_2415
; %bb.2414:
	global_load_b32 v11, v[6:7], off
.LBB190_2415:
	s_mov_b32 s16, 0
.LBB190_2416:
	s_delay_alu instid0(SALU_CYCLE_1)
	s_and_not1_b32 vcc_lo, exec_lo, s16
	s_cbranch_vccnz .LBB190_2427
; %bb.2417:
	s_cmp_lt_i32 s0, 6
	s_cbranch_scc1 .LBB190_2420
; %bb.2418:
	s_cmp_gt_i32 s0, 6
	s_cbranch_scc0 .LBB190_2421
; %bb.2419:
	global_load_b64 v[12:13], v[6:7], off
	s_mov_b32 s16, 0
	s_wait_loadcnt 0x0
	v_and_or_b32 v1, 0x1ff, v13, v12
	v_lshrrev_b32_e32 v3, 8, v13
	v_bfe_u32 v5, v13, 20, 11
	s_delay_alu instid0(VALU_DEP_3) | instskip(NEXT) | instid1(VALU_DEP_2)
	v_cmp_ne_u32_e32 vcc_lo, 0, v1
	v_sub_nc_u32_e32 v11, 0x3f1, v5
	v_add_nc_u32_e32 v5, 0xfffffc10, v5
	v_cndmask_b32_e64 v1, 0, 1, vcc_lo
	s_delay_alu instid0(VALU_DEP_1) | instskip(NEXT) | instid1(VALU_DEP_4)
	v_and_or_b32 v1, 0xffe, v3, v1
	v_med3_i32 v3, v11, 0, 13
	s_delay_alu instid0(VALU_DEP_2) | instskip(NEXT) | instid1(VALU_DEP_1)
	v_or_b32_e32 v11, 0x1000, v1
	v_lshrrev_b32_e32 v12, v3, v11
	s_delay_alu instid0(VALU_DEP_1) | instskip(NEXT) | instid1(VALU_DEP_1)
	v_lshlrev_b32_e32 v3, v3, v12
	v_cmp_ne_u32_e32 vcc_lo, v3, v11
	v_lshl_or_b32 v11, v5, 12, v1
	v_cndmask_b32_e64 v3, 0, 1, vcc_lo
	v_cmp_gt_i32_e32 vcc_lo, 1, v5
	s_delay_alu instid0(VALU_DEP_2) | instskip(NEXT) | instid1(VALU_DEP_1)
	v_or_b32_e32 v3, v12, v3
	v_cndmask_b32_e32 v3, v11, v3, vcc_lo
	s_delay_alu instid0(VALU_DEP_1) | instskip(NEXT) | instid1(VALU_DEP_1)
	v_dual_lshrrev_b32 v3, 2, v3 :: v_dual_bitop2_b32 v11, 7, v3 bitop3:0x40
	v_cmp_lt_i32_e32 vcc_lo, 5, v11
	v_cndmask_b32_e64 v12, 0, 1, vcc_lo
	v_cmp_eq_u32_e32 vcc_lo, 3, v11
	v_cndmask_b32_e64 v11, 0, 1, vcc_lo
	v_cmp_ne_u32_e32 vcc_lo, 0, v1
	s_delay_alu instid0(VALU_DEP_2) | instskip(NEXT) | instid1(VALU_DEP_1)
	v_or_b32_e32 v11, v11, v12
	v_dual_mov_b32 v12, 0x7e00 :: v_dual_add_nc_u32 v3, v3, v11
	s_delay_alu instid0(VALU_DEP_1) | instskip(SKIP_1) | instid1(VALU_DEP_3)
	v_cndmask_b32_e32 v1, 0x7c00, v12, vcc_lo
	v_cmp_gt_i32_e32 vcc_lo, 31, v5
	v_cndmask_b32_e32 v3, 0x7c00, v3, vcc_lo
	v_cmp_eq_u32_e32 vcc_lo, 0x40f, v5
	s_delay_alu instid0(VALU_DEP_2) | instskip(SKIP_1) | instid1(VALU_DEP_1)
	v_cndmask_b32_e32 v1, v3, v1, vcc_lo
	v_lshrrev_b32_e32 v3, 16, v13
	v_and_or_b32 v11, 0x8000, v3, v1
	s_branch .LBB190_2422
.LBB190_2420:
	s_mov_b32 s16, -1
                                        ; implicit-def: $vgpr11
	s_branch .LBB190_2425
.LBB190_2421:
	s_mov_b32 s16, -1
                                        ; implicit-def: $vgpr11
.LBB190_2422:
	s_delay_alu instid0(SALU_CYCLE_1)
	s_and_not1_b32 vcc_lo, exec_lo, s16
	s_cbranch_vccnz .LBB190_2424
; %bb.2423:
	global_load_b32 v1, v[6:7], off
	s_wait_loadcnt 0x0
	v_cvt_f16_f32_e32 v11, v1
.LBB190_2424:
	s_mov_b32 s16, 0
.LBB190_2425:
	s_delay_alu instid0(SALU_CYCLE_1)
	s_and_not1_b32 vcc_lo, exec_lo, s16
	s_cbranch_vccnz .LBB190_2427
; %bb.2426:
	s_wait_loadcnt 0x0
	global_load_u16 v11, v[6:7], off
.LBB190_2427:
	s_mov_b32 s16, 0
.LBB190_2428:
	s_delay_alu instid0(SALU_CYCLE_1)
	s_and_not1_b32 vcc_lo, exec_lo, s16
	s_cbranch_vccnz .LBB190_2448
; %bb.2429:
	s_cmp_lt_i32 s0, 2
	s_cbranch_scc1 .LBB190_2433
; %bb.2430:
	s_cmp_lt_i32 s0, 3
	s_cbranch_scc1 .LBB190_2434
; %bb.2431:
	s_cmp_gt_i32 s0, 3
	s_cbranch_scc0 .LBB190_2435
; %bb.2432:
	global_load_b64 v[12:13], v[6:7], off
	s_mov_b32 s16, 0
	s_wait_loadcnt 0x0
	v_xor_b32_e32 v1, v12, v13
	v_cls_i32_e32 v3, v13
	s_delay_alu instid0(VALU_DEP_2) | instskip(NEXT) | instid1(VALU_DEP_1)
	v_ashrrev_i32_e32 v1, 31, v1
	v_add_nc_u32_e32 v1, 32, v1
	s_delay_alu instid0(VALU_DEP_1) | instskip(NEXT) | instid1(VALU_DEP_1)
	v_add_min_u32_e64 v1, v3, -1, v1
	v_lshlrev_b64_e32 v[12:13], v1, v[12:13]
	v_sub_nc_u32_e32 v1, 32, v1
	s_delay_alu instid0(VALU_DEP_2) | instskip(NEXT) | instid1(VALU_DEP_1)
	v_min_u32_e32 v3, 1, v12
	v_or_b32_e32 v3, v13, v3
	s_delay_alu instid0(VALU_DEP_1) | instskip(NEXT) | instid1(VALU_DEP_1)
	v_cvt_f32_i32_e32 v3, v3
	v_ldexp_f32 v1, v3, v1
	s_delay_alu instid0(VALU_DEP_1)
	v_cvt_f16_f32_e32 v11, v1
	s_branch .LBB190_2436
.LBB190_2433:
	s_mov_b32 s16, -1
                                        ; implicit-def: $vgpr11
	s_branch .LBB190_2442
.LBB190_2434:
	s_mov_b32 s16, -1
                                        ; implicit-def: $vgpr11
	s_branch .LBB190_2439
.LBB190_2435:
	s_mov_b32 s16, -1
                                        ; implicit-def: $vgpr11
.LBB190_2436:
	s_delay_alu instid0(SALU_CYCLE_1)
	s_and_not1_b32 vcc_lo, exec_lo, s16
	s_cbranch_vccnz .LBB190_2438
; %bb.2437:
	global_load_b32 v1, v[6:7], off
	s_wait_loadcnt 0x0
	v_cvt_f32_i32_e32 v1, v1
	s_delay_alu instid0(VALU_DEP_1)
	v_cvt_f16_f32_e32 v11, v1
.LBB190_2438:
	s_mov_b32 s16, 0
.LBB190_2439:
	s_delay_alu instid0(SALU_CYCLE_1)
	s_and_not1_b32 vcc_lo, exec_lo, s16
	s_cbranch_vccnz .LBB190_2441
; %bb.2440:
	global_load_u16 v1, v[6:7], off
	s_wait_loadcnt 0x0
	v_cvt_f16_i16_e32 v11, v1
.LBB190_2441:
	s_mov_b32 s16, 0
.LBB190_2442:
	s_delay_alu instid0(SALU_CYCLE_1)
	s_and_not1_b32 vcc_lo, exec_lo, s16
	s_cbranch_vccnz .LBB190_2448
; %bb.2443:
	s_cmp_gt_i32 s0, 0
	s_mov_b32 s16, 0
	s_cbranch_scc0 .LBB190_2445
; %bb.2444:
	global_load_i8 v1, v[6:7], off
	s_wait_loadcnt 0x0
	v_cvt_f16_i16_e32 v11, v1
	s_branch .LBB190_2446
.LBB190_2445:
	s_mov_b32 s16, -1
                                        ; implicit-def: $vgpr11
.LBB190_2446:
	s_delay_alu instid0(SALU_CYCLE_1)
	s_and_not1_b32 vcc_lo, exec_lo, s16
	s_cbranch_vccnz .LBB190_2448
; %bb.2447:
	global_load_u8 v1, v[6:7], off
	s_wait_loadcnt 0x0
	v_cvt_f16_u16_e32 v11, v1
.LBB190_2448:
.LBB190_2449:
	s_lshl_b32 s13, s13, 7
	s_cmp_lt_i32 s19, 11
	v_add_nc_u32_e32 v0, s13, v0
	s_delay_alu instid0(VALU_DEP_1) | instskip(SKIP_1) | instid1(VALU_DEP_1)
	v_ashrrev_i32_e32 v1, 31, v0
	s_wait_xcnt 0x0
	v_add_nc_u64_e32 v[6:7], s[6:7], v[0:1]
	s_cbranch_scc1 .LBB190_2456
; %bb.2450:
	s_and_b32 s16, 0xffff, s19
	s_mov_b32 s23, 0
	s_cmp_gt_i32 s16, 25
	s_cbranch_scc0 .LBB190_2457
; %bb.2451:
	s_cmp_gt_i32 s16, 28
	s_cbranch_scc0 .LBB190_2458
; %bb.2452:
	;; [unrolled: 3-line block ×4, first 2 shown]
	s_cmp_eq_u32 s16, 46
	s_mov_b32 s25, 0
	s_cbranch_scc0 .LBB190_2462
; %bb.2455:
	global_load_b32 v1, v[6:7], off
	s_mov_b32 s22, 0
	s_mov_b32 s24, -1
	s_wait_loadcnt 0x0
	v_lshlrev_b32_e32 v1, 16, v1
	s_delay_alu instid0(VALU_DEP_1)
	v_cvt_f16_f32_e32 v12, v1
	s_branch .LBB190_2464
.LBB190_2456:
	s_mov_b32 s16, -1
	s_mov_b32 s24, 0
                                        ; implicit-def: $vgpr12
	s_branch .LBB190_2530
.LBB190_2457:
	s_mov_b32 s25, -1
	s_mov_b32 s24, 0
	s_mov_b32 s22, 0
                                        ; implicit-def: $vgpr12
	s_branch .LBB190_2493
.LBB190_2458:
	s_mov_b32 s25, -1
	s_mov_b32 s24, 0
	s_mov_b32 s22, 0
                                        ; implicit-def: $vgpr12
	s_branch .LBB190_2474
.LBB190_2459:
	s_mov_b32 s25, -1
	s_mov_b32 s24, 0
	s_mov_b32 s22, 0
                                        ; implicit-def: $vgpr12
	s_branch .LBB190_2469
.LBB190_2460:
	s_or_b32 s18, s18, exec_lo
	s_trap 2
	s_cbranch_execz .LBB190_2399
	s_branch .LBB190_2400
.LBB190_2461:
	s_mov_b32 s25, -1
	s_mov_b32 s24, 0
	s_mov_b32 s22, 0
	s_branch .LBB190_2463
.LBB190_2462:
	s_mov_b32 s22, -1
	s_mov_b32 s24, 0
.LBB190_2463:
                                        ; implicit-def: $vgpr12
.LBB190_2464:
	s_and_b32 vcc_lo, exec_lo, s25
	s_cbranch_vccz .LBB190_2468
; %bb.2465:
	s_cmp_eq_u32 s16, 44
	s_cbranch_scc0 .LBB190_2467
; %bb.2466:
	global_load_u8 v1, v[6:7], off
	s_mov_b32 s22, 0
	s_mov_b32 s24, -1
	s_wait_loadcnt 0x0
	v_lshlrev_b32_e32 v3, 23, v1
	v_cmp_ne_u32_e32 vcc_lo, 0xff, v1
	s_delay_alu instid0(VALU_DEP_2) | instskip(NEXT) | instid1(VALU_DEP_1)
	v_cvt_f16_f32_e32 v3, v3
	v_cndmask_b32_e32 v3, 0x7e00, v3, vcc_lo
	v_cmp_ne_u32_e32 vcc_lo, 0, v1
	s_delay_alu instid0(VALU_DEP_2)
	v_cndmask_b32_e32 v12, 0, v3, vcc_lo
	s_branch .LBB190_2468
.LBB190_2467:
	s_mov_b32 s22, -1
                                        ; implicit-def: $vgpr12
.LBB190_2468:
	s_mov_b32 s25, 0
.LBB190_2469:
	s_delay_alu instid0(SALU_CYCLE_1)
	s_and_b32 vcc_lo, exec_lo, s25
	s_cbranch_vccz .LBB190_2473
; %bb.2470:
	s_cmp_eq_u32 s16, 29
	s_cbranch_scc0 .LBB190_2472
; %bb.2471:
	global_load_b64 v[12:13], v[6:7], off
	s_mov_b32 s22, 0
	s_mov_b32 s24, -1
	s_mov_b32 s25, 0
	s_wait_loadcnt 0x0
	v_clz_i32_u32_e32 v1, v13
	s_delay_alu instid0(VALU_DEP_1) | instskip(NEXT) | instid1(VALU_DEP_1)
	v_min_u32_e32 v1, 32, v1
	v_lshlrev_b64_e32 v[12:13], v1, v[12:13]
	v_sub_nc_u32_e32 v1, 32, v1
	s_delay_alu instid0(VALU_DEP_2) | instskip(NEXT) | instid1(VALU_DEP_1)
	v_min_u32_e32 v3, 1, v12
	v_or_b32_e32 v3, v13, v3
	s_delay_alu instid0(VALU_DEP_1) | instskip(NEXT) | instid1(VALU_DEP_1)
	v_cvt_f32_u32_e32 v3, v3
	v_ldexp_f32 v1, v3, v1
	s_delay_alu instid0(VALU_DEP_1)
	v_cvt_f16_f32_e32 v12, v1
	s_branch .LBB190_2474
.LBB190_2472:
	s_mov_b32 s22, -1
                                        ; implicit-def: $vgpr12
.LBB190_2473:
	s_mov_b32 s25, 0
.LBB190_2474:
	s_delay_alu instid0(SALU_CYCLE_1)
	s_and_b32 vcc_lo, exec_lo, s25
	s_cbranch_vccz .LBB190_2492
; %bb.2475:
	s_cmp_lt_i32 s16, 27
	s_cbranch_scc1 .LBB190_2478
; %bb.2476:
	s_cmp_gt_i32 s16, 27
	s_cbranch_scc0 .LBB190_2479
; %bb.2477:
	global_load_b32 v1, v[6:7], off
	s_mov_b32 s24, 0
	s_wait_loadcnt 0x0
	v_cvt_f32_u32_e32 v1, v1
	s_delay_alu instid0(VALU_DEP_1)
	v_cvt_f16_f32_e32 v12, v1
	s_branch .LBB190_2480
.LBB190_2478:
	s_mov_b32 s24, -1
                                        ; implicit-def: $vgpr12
	s_branch .LBB190_2483
.LBB190_2479:
	s_mov_b32 s24, -1
                                        ; implicit-def: $vgpr12
.LBB190_2480:
	s_delay_alu instid0(SALU_CYCLE_1)
	s_and_not1_b32 vcc_lo, exec_lo, s24
	s_cbranch_vccnz .LBB190_2482
; %bb.2481:
	global_load_u16 v1, v[6:7], off
	s_wait_loadcnt 0x0
	v_cvt_f16_u16_e32 v12, v1
.LBB190_2482:
	s_mov_b32 s24, 0
.LBB190_2483:
	s_delay_alu instid0(SALU_CYCLE_1)
	s_and_not1_b32 vcc_lo, exec_lo, s24
	s_cbranch_vccnz .LBB190_2491
; %bb.2484:
	global_load_u8 v1, v[6:7], off
	s_mov_b32 s24, 0
	s_mov_b32 s25, exec_lo
	s_wait_loadcnt 0x0
	v_cmpx_lt_i16_e32 0x7f, v1
	s_xor_b32 s25, exec_lo, s25
	s_cbranch_execz .LBB190_2505
; %bb.2485:
	s_mov_b32 s24, -1
	s_mov_b32 s26, exec_lo
	v_cmpx_eq_u16_e32 0x80, v1
; %bb.2486:
	s_xor_b32 s24, exec_lo, -1
; %bb.2487:
	s_or_b32 exec_lo, exec_lo, s26
	s_delay_alu instid0(SALU_CYCLE_1)
	s_and_b32 s24, s24, exec_lo
	s_or_saveexec_b32 s25, s25
	v_mov_b32_e32 v12, 0x7e00
	s_xor_b32 exec_lo, exec_lo, s25
	s_cbranch_execnz .LBB190_2506
.LBB190_2488:
	s_or_b32 exec_lo, exec_lo, s25
	s_and_saveexec_b32 s25, s24
	s_cbranch_execz .LBB190_2490
.LBB190_2489:
	v_and_b32_e32 v3, 0xffff, v1
	s_delay_alu instid0(VALU_DEP_1) | instskip(SKIP_1) | instid1(VALU_DEP_2)
	v_and_b32_e32 v5, 7, v3
	v_bfe_u32 v14, v3, 3, 4
	v_clz_i32_u32_e32 v12, v5
	s_delay_alu instid0(VALU_DEP_2) | instskip(NEXT) | instid1(VALU_DEP_2)
	v_cmp_eq_u32_e32 vcc_lo, 0, v14
	v_min_u32_e32 v12, 32, v12
	s_delay_alu instid0(VALU_DEP_1) | instskip(NEXT) | instid1(VALU_DEP_1)
	v_subrev_nc_u32_e32 v13, 28, v12
	v_dual_lshlrev_b32 v3, v13, v3 :: v_dual_sub_nc_u32 v12, 29, v12
	s_delay_alu instid0(VALU_DEP_1) | instskip(NEXT) | instid1(VALU_DEP_1)
	v_dual_lshlrev_b32 v1, 24, v1 :: v_dual_bitop2_b32 v3, 7, v3 bitop3:0x40
	v_dual_cndmask_b32 v12, v14, v12 :: v_dual_cndmask_b32 v3, v5, v3
	s_delay_alu instid0(VALU_DEP_2) | instskip(NEXT) | instid1(VALU_DEP_2)
	v_and_b32_e32 v1, 0x80000000, v1
	v_lshl_add_u32 v5, v12, 23, 0x3b800000
	s_delay_alu instid0(VALU_DEP_3) | instskip(NEXT) | instid1(VALU_DEP_1)
	v_lshlrev_b32_e32 v3, 20, v3
	v_or3_b32 v1, v1, v5, v3
	s_delay_alu instid0(VALU_DEP_1)
	v_cvt_f16_f32_e32 v12, v1
.LBB190_2490:
	s_or_b32 exec_lo, exec_lo, s25
.LBB190_2491:
	s_mov_b32 s24, -1
.LBB190_2492:
	s_mov_b32 s25, 0
.LBB190_2493:
	s_delay_alu instid0(SALU_CYCLE_1)
	s_and_b32 vcc_lo, exec_lo, s25
	s_cbranch_vccz .LBB190_2526
; %bb.2494:
	s_cmp_gt_i32 s16, 22
	s_cbranch_scc0 .LBB190_2504
; %bb.2495:
	s_cmp_lt_i32 s16, 24
	s_cbranch_scc1 .LBB190_2507
; %bb.2496:
	s_cmp_gt_i32 s16, 24
	s_cbranch_scc0 .LBB190_2508
; %bb.2497:
	global_load_u8 v1, v[6:7], off
	s_mov_b32 s24, exec_lo
	s_wait_loadcnt 0x0
	v_cmpx_lt_i16_e32 0x7f, v1
	s_xor_b32 s24, exec_lo, s24
	s_cbranch_execz .LBB190_2520
; %bb.2498:
	s_mov_b32 s23, -1
	s_mov_b32 s25, exec_lo
	v_cmpx_eq_u16_e32 0x80, v1
; %bb.2499:
	s_xor_b32 s23, exec_lo, -1
; %bb.2500:
	s_or_b32 exec_lo, exec_lo, s25
	s_delay_alu instid0(SALU_CYCLE_1)
	s_and_b32 s23, s23, exec_lo
	s_or_saveexec_b32 s24, s24
	v_mov_b32_e32 v12, 0x7e00
	s_xor_b32 exec_lo, exec_lo, s24
	s_cbranch_execnz .LBB190_2521
.LBB190_2501:
	s_or_b32 exec_lo, exec_lo, s24
	s_and_saveexec_b32 s24, s23
	s_cbranch_execz .LBB190_2503
.LBB190_2502:
	v_and_b32_e32 v3, 0xffff, v1
	s_delay_alu instid0(VALU_DEP_1) | instskip(SKIP_1) | instid1(VALU_DEP_2)
	v_and_b32_e32 v5, 3, v3
	v_bfe_u32 v14, v3, 2, 5
	v_clz_i32_u32_e32 v12, v5
	s_delay_alu instid0(VALU_DEP_2) | instskip(NEXT) | instid1(VALU_DEP_2)
	v_cmp_eq_u32_e32 vcc_lo, 0, v14
	v_min_u32_e32 v12, 32, v12
	s_delay_alu instid0(VALU_DEP_1) | instskip(NEXT) | instid1(VALU_DEP_1)
	v_subrev_nc_u32_e32 v13, 29, v12
	v_dual_lshlrev_b32 v3, v13, v3 :: v_dual_sub_nc_u32 v12, 30, v12
	s_delay_alu instid0(VALU_DEP_1) | instskip(NEXT) | instid1(VALU_DEP_1)
	v_dual_lshlrev_b32 v1, 24, v1 :: v_dual_bitop2_b32 v3, 3, v3 bitop3:0x40
	v_dual_cndmask_b32 v12, v14, v12 :: v_dual_cndmask_b32 v3, v5, v3
	s_delay_alu instid0(VALU_DEP_2) | instskip(NEXT) | instid1(VALU_DEP_2)
	v_and_b32_e32 v1, 0x80000000, v1
	v_lshl_add_u32 v5, v12, 23, 0x37800000
	s_delay_alu instid0(VALU_DEP_3) | instskip(NEXT) | instid1(VALU_DEP_1)
	v_lshlrev_b32_e32 v3, 21, v3
	v_or3_b32 v1, v1, v5, v3
	s_delay_alu instid0(VALU_DEP_1)
	v_cvt_f16_f32_e32 v12, v1
.LBB190_2503:
	s_or_b32 exec_lo, exec_lo, s24
	s_mov_b32 s23, 0
	s_branch .LBB190_2509
.LBB190_2504:
	s_mov_b32 s23, -1
                                        ; implicit-def: $vgpr12
	s_branch .LBB190_2515
.LBB190_2505:
	s_or_saveexec_b32 s25, s25
	v_mov_b32_e32 v12, 0x7e00
	s_xor_b32 exec_lo, exec_lo, s25
	s_cbranch_execz .LBB190_2488
.LBB190_2506:
	v_cmp_ne_u16_e32 vcc_lo, 0, v1
	v_mov_b32_e32 v12, v1
	s_and_not1_b32 s24, s24, exec_lo
	s_and_b32 s26, vcc_lo, exec_lo
	s_delay_alu instid0(SALU_CYCLE_1)
	s_or_b32 s24, s24, s26
	s_or_b32 exec_lo, exec_lo, s25
	s_and_saveexec_b32 s25, s24
	s_cbranch_execnz .LBB190_2489
	s_branch .LBB190_2490
.LBB190_2507:
	s_mov_b32 s23, -1
                                        ; implicit-def: $vgpr12
	s_branch .LBB190_2512
.LBB190_2508:
	s_mov_b32 s23, -1
                                        ; implicit-def: $vgpr12
.LBB190_2509:
	s_delay_alu instid0(SALU_CYCLE_1)
	s_and_b32 vcc_lo, exec_lo, s23
	s_cbranch_vccz .LBB190_2511
; %bb.2510:
	global_load_u8 v1, v[6:7], off
	s_wait_loadcnt 0x0
	v_lshlrev_b32_e32 v1, 24, v1
	s_delay_alu instid0(VALU_DEP_1) | instskip(NEXT) | instid1(VALU_DEP_1)
	v_and_b32_e32 v3, 0x7f000000, v1
	v_clz_i32_u32_e32 v5, v3
	v_add_nc_u32_e32 v13, 0x1000000, v3
	v_cmp_ne_u32_e32 vcc_lo, 0, v3
	s_delay_alu instid0(VALU_DEP_3) | instskip(NEXT) | instid1(VALU_DEP_1)
	v_min_u32_e32 v5, 32, v5
	v_sub_nc_u32_e64 v5, v5, 4 clamp
	s_delay_alu instid0(VALU_DEP_1) | instskip(NEXT) | instid1(VALU_DEP_1)
	v_dual_lshlrev_b32 v12, v5, v3 :: v_dual_lshlrev_b32 v5, 23, v5
	v_lshrrev_b32_e32 v12, 4, v12
	s_delay_alu instid0(VALU_DEP_1) | instskip(SKIP_1) | instid1(VALU_DEP_2)
	v_sub_nc_u32_e32 v5, v12, v5
	v_ashrrev_i32_e32 v12, 8, v13
	v_add_nc_u32_e32 v5, 0x3c000000, v5
	s_delay_alu instid0(VALU_DEP_1) | instskip(NEXT) | instid1(VALU_DEP_1)
	v_and_or_b32 v5, 0x7f800000, v12, v5
	v_cndmask_b32_e32 v3, 0, v5, vcc_lo
	s_delay_alu instid0(VALU_DEP_1) | instskip(NEXT) | instid1(VALU_DEP_1)
	v_and_or_b32 v1, 0x80000000, v1, v3
	v_cvt_f16_f32_e32 v12, v1
.LBB190_2511:
	s_mov_b32 s23, 0
.LBB190_2512:
	s_delay_alu instid0(SALU_CYCLE_1)
	s_and_not1_b32 vcc_lo, exec_lo, s23
	s_cbranch_vccnz .LBB190_2514
; %bb.2513:
	global_load_u8 v1, v[6:7], off
	s_wait_loadcnt 0x0
	v_lshlrev_b32_e32 v3, 25, v1
	v_lshlrev_b16 v1, 8, v1
	s_delay_alu instid0(VALU_DEP_1) | instskip(SKIP_1) | instid1(VALU_DEP_2)
	v_and_or_b32 v12, 0x7f00, v1, 0.5
	v_bfe_i32 v1, v1, 0, 16
	v_dual_add_f32 v12, -0.5, v12 :: v_dual_lshrrev_b32 v5, 4, v3
	v_cmp_gt_u32_e32 vcc_lo, 0x8000000, v3
	s_delay_alu instid0(VALU_DEP_2) | instskip(NEXT) | instid1(VALU_DEP_1)
	v_or_b32_e32 v5, 0x70000000, v5
	v_mul_f32_e32 v5, 0x7800000, v5
	s_delay_alu instid0(VALU_DEP_1) | instskip(NEXT) | instid1(VALU_DEP_1)
	v_cndmask_b32_e32 v3, v5, v12, vcc_lo
	v_and_or_b32 v1, 0x80000000, v1, v3
	s_delay_alu instid0(VALU_DEP_1)
	v_cvt_f16_f32_e32 v12, v1
.LBB190_2514:
	s_mov_b32 s23, 0
	s_mov_b32 s24, -1
.LBB190_2515:
	s_and_not1_b32 vcc_lo, exec_lo, s23
	s_mov_b32 s23, 0
	s_cbranch_vccnz .LBB190_2526
; %bb.2516:
	s_cmp_gt_i32 s16, 14
	s_cbranch_scc0 .LBB190_2519
; %bb.2517:
	s_cmp_eq_u32 s16, 15
	s_cbranch_scc0 .LBB190_2522
; %bb.2518:
	global_load_u16 v1, v[6:7], off
	s_mov_b32 s22, 0
	s_mov_b32 s24, -1
	s_wait_loadcnt 0x0
	v_lshlrev_b32_e32 v1, 16, v1
	s_delay_alu instid0(VALU_DEP_1)
	v_cvt_f16_f32_e32 v12, v1
	s_branch .LBB190_2524
.LBB190_2519:
	s_mov_b32 s23, -1
	s_branch .LBB190_2523
.LBB190_2520:
	s_or_saveexec_b32 s24, s24
	v_mov_b32_e32 v12, 0x7e00
	s_xor_b32 exec_lo, exec_lo, s24
	s_cbranch_execz .LBB190_2501
.LBB190_2521:
	v_cmp_ne_u16_e32 vcc_lo, 0, v1
	v_mov_b32_e32 v12, v1
	s_and_not1_b32 s23, s23, exec_lo
	s_and_b32 s25, vcc_lo, exec_lo
	s_delay_alu instid0(SALU_CYCLE_1)
	s_or_b32 s23, s23, s25
	s_or_b32 exec_lo, exec_lo, s24
	s_and_saveexec_b32 s24, s23
	s_cbranch_execnz .LBB190_2502
	s_branch .LBB190_2503
.LBB190_2522:
	s_mov_b32 s22, -1
.LBB190_2523:
                                        ; implicit-def: $vgpr12
.LBB190_2524:
	s_and_b32 vcc_lo, exec_lo, s23
	s_mov_b32 s23, 0
	s_cbranch_vccz .LBB190_2526
; %bb.2525:
	s_cmp_lg_u32 s16, 11
	s_mov_b32 s23, -1
	s_cselect_b32 s22, -1, 0
.LBB190_2526:
	s_delay_alu instid0(SALU_CYCLE_1)
	s_and_b32 vcc_lo, exec_lo, s22
	s_cbranch_vccnz .LBB190_2591
; %bb.2527:
	s_and_not1_b32 vcc_lo, exec_lo, s23
	s_cbranch_vccnz .LBB190_2529
.LBB190_2528:
	global_load_u8 v1, v[6:7], off
	s_mov_b32 s24, -1
	s_wait_loadcnt 0x0
	v_cmp_ne_u16_e32 vcc_lo, 0, v1
	v_cndmask_b32_e64 v12, 0, 0x3c00, vcc_lo
.LBB190_2529:
	s_mov_b32 s16, 0
.LBB190_2530:
	s_delay_alu instid0(SALU_CYCLE_1)
	s_and_b32 vcc_lo, exec_lo, s16
	s_cbranch_vccz .LBB190_2579
; %bb.2531:
	s_and_b32 s16, 0xffff, s19
	s_delay_alu instid0(SALU_CYCLE_1)
	s_cmp_lt_i32 s16, 5
	s_cbranch_scc1 .LBB190_2536
; %bb.2532:
	s_cmp_lt_i32 s16, 8
	s_cbranch_scc1 .LBB190_2537
; %bb.2533:
	;; [unrolled: 3-line block ×3, first 2 shown]
	s_cmp_gt_i32 s16, 9
	s_cbranch_scc0 .LBB190_2539
; %bb.2535:
	global_load_b64 v[12:13], v[6:7], off
	s_mov_b32 s22, 0
	s_wait_loadcnt 0x0
	v_and_or_b32 v1, 0x1ff, v13, v12
	v_lshrrev_b32_e32 v3, 8, v13
	v_bfe_u32 v5, v13, 20, 11
	s_delay_alu instid0(VALU_DEP_3) | instskip(NEXT) | instid1(VALU_DEP_2)
	v_cmp_ne_u32_e32 vcc_lo, 0, v1
	v_sub_nc_u32_e32 v12, 0x3f1, v5
	v_add_nc_u32_e32 v5, 0xfffffc10, v5
	v_cndmask_b32_e64 v1, 0, 1, vcc_lo
	s_delay_alu instid0(VALU_DEP_1) | instskip(NEXT) | instid1(VALU_DEP_4)
	v_and_or_b32 v1, 0xffe, v3, v1
	v_med3_i32 v3, v12, 0, 13
	s_delay_alu instid0(VALU_DEP_2) | instskip(NEXT) | instid1(VALU_DEP_1)
	v_or_b32_e32 v12, 0x1000, v1
	v_lshrrev_b32_e32 v14, v3, v12
	s_delay_alu instid0(VALU_DEP_1) | instskip(NEXT) | instid1(VALU_DEP_1)
	v_lshlrev_b32_e32 v3, v3, v14
	v_cmp_ne_u32_e32 vcc_lo, v3, v12
	v_lshl_or_b32 v12, v5, 12, v1
	v_cndmask_b32_e64 v3, 0, 1, vcc_lo
	v_cmp_gt_i32_e32 vcc_lo, 1, v5
	s_delay_alu instid0(VALU_DEP_2) | instskip(NEXT) | instid1(VALU_DEP_1)
	v_or_b32_e32 v3, v14, v3
	v_cndmask_b32_e32 v3, v12, v3, vcc_lo
	s_delay_alu instid0(VALU_DEP_1) | instskip(NEXT) | instid1(VALU_DEP_1)
	v_dual_lshrrev_b32 v3, 2, v3 :: v_dual_bitop2_b32 v12, 7, v3 bitop3:0x40
	v_cmp_lt_i32_e32 vcc_lo, 5, v12
	v_cndmask_b32_e64 v14, 0, 1, vcc_lo
	v_cmp_eq_u32_e32 vcc_lo, 3, v12
	v_cndmask_b32_e64 v12, 0, 1, vcc_lo
	v_cmp_ne_u32_e32 vcc_lo, 0, v1
	s_delay_alu instid0(VALU_DEP_2) | instskip(NEXT) | instid1(VALU_DEP_1)
	v_or_b32_e32 v12, v12, v14
	v_dual_mov_b32 v14, 0x7e00 :: v_dual_add_nc_u32 v3, v3, v12
	s_delay_alu instid0(VALU_DEP_1) | instskip(SKIP_1) | instid1(VALU_DEP_3)
	v_cndmask_b32_e32 v1, 0x7c00, v14, vcc_lo
	v_cmp_gt_i32_e32 vcc_lo, 31, v5
	v_cndmask_b32_e32 v3, 0x7c00, v3, vcc_lo
	v_cmp_eq_u32_e32 vcc_lo, 0x40f, v5
	s_delay_alu instid0(VALU_DEP_2) | instskip(SKIP_1) | instid1(VALU_DEP_1)
	v_cndmask_b32_e32 v1, v3, v1, vcc_lo
	v_lshrrev_b32_e32 v3, 16, v13
	v_and_or_b32 v12, 0x8000, v3, v1
	s_branch .LBB190_2540
.LBB190_2536:
	s_mov_b32 s22, -1
                                        ; implicit-def: $vgpr12
	s_branch .LBB190_2558
.LBB190_2537:
	s_mov_b32 s22, -1
                                        ; implicit-def: $vgpr12
	s_branch .LBB190_2546
.LBB190_2538:
	s_mov_b32 s22, -1
                                        ; implicit-def: $vgpr12
	s_branch .LBB190_2543
.LBB190_2539:
	s_mov_b32 s22, -1
                                        ; implicit-def: $vgpr12
.LBB190_2540:
	s_delay_alu instid0(SALU_CYCLE_1)
	s_and_not1_b32 vcc_lo, exec_lo, s22
	s_cbranch_vccnz .LBB190_2542
; %bb.2541:
	global_load_b32 v1, v[6:7], off
	s_wait_loadcnt 0x0
	v_cvt_f16_f32_e32 v12, v1
.LBB190_2542:
	s_mov_b32 s22, 0
.LBB190_2543:
	s_delay_alu instid0(SALU_CYCLE_1)
	s_and_not1_b32 vcc_lo, exec_lo, s22
	s_cbranch_vccnz .LBB190_2545
; %bb.2544:
	global_load_b32 v12, v[6:7], off
.LBB190_2545:
	s_mov_b32 s22, 0
.LBB190_2546:
	s_delay_alu instid0(SALU_CYCLE_1)
	s_and_not1_b32 vcc_lo, exec_lo, s22
	s_cbranch_vccnz .LBB190_2557
; %bb.2547:
	s_cmp_lt_i32 s16, 6
	s_cbranch_scc1 .LBB190_2550
; %bb.2548:
	s_cmp_gt_i32 s16, 6
	s_cbranch_scc0 .LBB190_2551
; %bb.2549:
	s_wait_loadcnt 0x0
	global_load_b64 v[12:13], v[6:7], off
	s_mov_b32 s22, 0
	s_wait_loadcnt 0x0
	v_and_or_b32 v1, 0x1ff, v13, v12
	v_lshrrev_b32_e32 v3, 8, v13
	v_bfe_u32 v5, v13, 20, 11
	s_delay_alu instid0(VALU_DEP_3) | instskip(NEXT) | instid1(VALU_DEP_2)
	v_cmp_ne_u32_e32 vcc_lo, 0, v1
	v_sub_nc_u32_e32 v12, 0x3f1, v5
	v_add_nc_u32_e32 v5, 0xfffffc10, v5
	v_cndmask_b32_e64 v1, 0, 1, vcc_lo
	s_delay_alu instid0(VALU_DEP_1) | instskip(NEXT) | instid1(VALU_DEP_4)
	v_and_or_b32 v1, 0xffe, v3, v1
	v_med3_i32 v3, v12, 0, 13
	s_delay_alu instid0(VALU_DEP_2) | instskip(NEXT) | instid1(VALU_DEP_1)
	v_or_b32_e32 v12, 0x1000, v1
	v_lshrrev_b32_e32 v14, v3, v12
	s_delay_alu instid0(VALU_DEP_1) | instskip(NEXT) | instid1(VALU_DEP_1)
	v_lshlrev_b32_e32 v3, v3, v14
	v_cmp_ne_u32_e32 vcc_lo, v3, v12
	v_lshl_or_b32 v12, v5, 12, v1
	v_cndmask_b32_e64 v3, 0, 1, vcc_lo
	v_cmp_gt_i32_e32 vcc_lo, 1, v5
	s_delay_alu instid0(VALU_DEP_2) | instskip(NEXT) | instid1(VALU_DEP_1)
	v_or_b32_e32 v3, v14, v3
	v_cndmask_b32_e32 v3, v12, v3, vcc_lo
	s_delay_alu instid0(VALU_DEP_1) | instskip(NEXT) | instid1(VALU_DEP_1)
	v_dual_lshrrev_b32 v3, 2, v3 :: v_dual_bitop2_b32 v12, 7, v3 bitop3:0x40
	v_cmp_lt_i32_e32 vcc_lo, 5, v12
	v_cndmask_b32_e64 v14, 0, 1, vcc_lo
	v_cmp_eq_u32_e32 vcc_lo, 3, v12
	v_cndmask_b32_e64 v12, 0, 1, vcc_lo
	v_cmp_ne_u32_e32 vcc_lo, 0, v1
	s_delay_alu instid0(VALU_DEP_2) | instskip(NEXT) | instid1(VALU_DEP_1)
	v_or_b32_e32 v12, v12, v14
	v_dual_mov_b32 v14, 0x7e00 :: v_dual_add_nc_u32 v3, v3, v12
	s_delay_alu instid0(VALU_DEP_1) | instskip(SKIP_1) | instid1(VALU_DEP_3)
	v_cndmask_b32_e32 v1, 0x7c00, v14, vcc_lo
	v_cmp_gt_i32_e32 vcc_lo, 31, v5
	v_cndmask_b32_e32 v3, 0x7c00, v3, vcc_lo
	v_cmp_eq_u32_e32 vcc_lo, 0x40f, v5
	s_delay_alu instid0(VALU_DEP_2) | instskip(SKIP_1) | instid1(VALU_DEP_1)
	v_cndmask_b32_e32 v1, v3, v1, vcc_lo
	v_lshrrev_b32_e32 v3, 16, v13
	v_and_or_b32 v12, 0x8000, v3, v1
	s_branch .LBB190_2552
.LBB190_2550:
	s_mov_b32 s22, -1
                                        ; implicit-def: $vgpr12
	s_branch .LBB190_2555
.LBB190_2551:
	s_mov_b32 s22, -1
                                        ; implicit-def: $vgpr12
.LBB190_2552:
	s_delay_alu instid0(SALU_CYCLE_1)
	s_and_not1_b32 vcc_lo, exec_lo, s22
	s_cbranch_vccnz .LBB190_2554
; %bb.2553:
	global_load_b32 v1, v[6:7], off
	s_wait_loadcnt 0x0
	v_cvt_f16_f32_e32 v12, v1
.LBB190_2554:
	s_mov_b32 s22, 0
.LBB190_2555:
	s_delay_alu instid0(SALU_CYCLE_1)
	s_and_not1_b32 vcc_lo, exec_lo, s22
	s_cbranch_vccnz .LBB190_2557
; %bb.2556:
	s_wait_loadcnt 0x0
	global_load_u16 v12, v[6:7], off
.LBB190_2557:
	s_mov_b32 s22, 0
.LBB190_2558:
	s_delay_alu instid0(SALU_CYCLE_1)
	s_and_not1_b32 vcc_lo, exec_lo, s22
	s_cbranch_vccnz .LBB190_2578
; %bb.2559:
	s_cmp_lt_i32 s16, 2
	s_cbranch_scc1 .LBB190_2563
; %bb.2560:
	s_cmp_lt_i32 s16, 3
	s_cbranch_scc1 .LBB190_2564
; %bb.2561:
	s_cmp_gt_i32 s16, 3
	s_cbranch_scc0 .LBB190_2565
; %bb.2562:
	s_wait_loadcnt 0x0
	global_load_b64 v[12:13], v[6:7], off
	s_mov_b32 s22, 0
	s_wait_loadcnt 0x0
	v_xor_b32_e32 v1, v12, v13
	v_cls_i32_e32 v3, v13
	s_delay_alu instid0(VALU_DEP_2) | instskip(NEXT) | instid1(VALU_DEP_1)
	v_ashrrev_i32_e32 v1, 31, v1
	v_add_nc_u32_e32 v1, 32, v1
	s_delay_alu instid0(VALU_DEP_1) | instskip(NEXT) | instid1(VALU_DEP_1)
	v_add_min_u32_e64 v1, v3, -1, v1
	v_lshlrev_b64_e32 v[12:13], v1, v[12:13]
	v_sub_nc_u32_e32 v1, 32, v1
	s_delay_alu instid0(VALU_DEP_2) | instskip(NEXT) | instid1(VALU_DEP_1)
	v_min_u32_e32 v3, 1, v12
	v_or_b32_e32 v3, v13, v3
	s_delay_alu instid0(VALU_DEP_1) | instskip(NEXT) | instid1(VALU_DEP_1)
	v_cvt_f32_i32_e32 v3, v3
	v_ldexp_f32 v1, v3, v1
	s_delay_alu instid0(VALU_DEP_1)
	v_cvt_f16_f32_e32 v12, v1
	s_branch .LBB190_2566
.LBB190_2563:
	s_mov_b32 s22, -1
                                        ; implicit-def: $vgpr12
	s_branch .LBB190_2572
.LBB190_2564:
	s_mov_b32 s22, -1
                                        ; implicit-def: $vgpr12
	s_branch .LBB190_2569
.LBB190_2565:
	s_mov_b32 s22, -1
                                        ; implicit-def: $vgpr12
.LBB190_2566:
	s_delay_alu instid0(SALU_CYCLE_1)
	s_and_not1_b32 vcc_lo, exec_lo, s22
	s_cbranch_vccnz .LBB190_2568
; %bb.2567:
	global_load_b32 v1, v[6:7], off
	s_wait_loadcnt 0x0
	v_cvt_f32_i32_e32 v1, v1
	s_delay_alu instid0(VALU_DEP_1)
	v_cvt_f16_f32_e32 v12, v1
.LBB190_2568:
	s_mov_b32 s22, 0
.LBB190_2569:
	s_delay_alu instid0(SALU_CYCLE_1)
	s_and_not1_b32 vcc_lo, exec_lo, s22
	s_cbranch_vccnz .LBB190_2571
; %bb.2570:
	global_load_u16 v1, v[6:7], off
	s_wait_loadcnt 0x0
	v_cvt_f16_i16_e32 v12, v1
.LBB190_2571:
	s_mov_b32 s22, 0
.LBB190_2572:
	s_delay_alu instid0(SALU_CYCLE_1)
	s_and_not1_b32 vcc_lo, exec_lo, s22
	s_cbranch_vccnz .LBB190_2578
; %bb.2573:
	s_cmp_gt_i32 s16, 0
	s_mov_b32 s16, 0
	s_cbranch_scc0 .LBB190_2575
; %bb.2574:
	global_load_i8 v1, v[6:7], off
	s_wait_loadcnt 0x0
	v_cvt_f16_i16_e32 v12, v1
	s_branch .LBB190_2576
.LBB190_2575:
	s_mov_b32 s16, -1
                                        ; implicit-def: $vgpr12
.LBB190_2576:
	s_delay_alu instid0(SALU_CYCLE_1)
	s_and_not1_b32 vcc_lo, exec_lo, s16
	s_cbranch_vccnz .LBB190_2578
; %bb.2577:
	global_load_u8 v1, v[6:7], off
	s_wait_loadcnt 0x0
	v_cvt_f16_u16_e32 v12, v1
.LBB190_2578:
	s_mov_b32 s24, -1
.LBB190_2579:
	s_delay_alu instid0(SALU_CYCLE_1)
	s_and_not1_b32 vcc_lo, exec_lo, s24
	s_cbranch_vccnz .LBB190_4065
; %bb.2580:
	s_lshl_b32 s14, s14, 7
	s_cmp_lt_i32 s17, 11
	v_add_nc_u32_e32 v2, s14, v2
	s_delay_alu instid0(VALU_DEP_1) | instskip(SKIP_1) | instid1(VALU_DEP_1)
	v_ashrrev_i32_e32 v3, 31, v2
	s_wait_xcnt 0x0
	v_add_nc_u64_e32 v[6:7], s[8:9], v[2:3]
	s_cbranch_scc1 .LBB190_2587
; %bb.2581:
	s_and_b32 s16, 0xffff, s17
	s_mov_b32 s23, 0
	s_cmp_gt_i32 s16, 25
	s_cbranch_scc0 .LBB190_2588
; %bb.2582:
	s_cmp_gt_i32 s16, 28
	s_cbranch_scc0 .LBB190_2589
; %bb.2583:
	;; [unrolled: 3-line block ×4, first 2 shown]
	s_cmp_eq_u32 s16, 46
	s_mov_b32 s25, 0
	s_cbranch_scc0 .LBB190_2593
; %bb.2586:
	global_load_b32 v1, v[6:7], off
	s_mov_b32 s22, 0
	s_mov_b32 s24, -1
	s_wait_loadcnt 0x0
	v_lshlrev_b32_e32 v1, 16, v1
	s_delay_alu instid0(VALU_DEP_1)
	v_cvt_f16_f32_e32 v13, v1
	s_branch .LBB190_2595
.LBB190_2587:
	s_mov_b32 s16, -1
	s_mov_b32 s24, 0
                                        ; implicit-def: $vgpr13
	s_branch .LBB190_2661
.LBB190_2588:
	s_mov_b32 s25, -1
	s_mov_b32 s24, 0
	s_mov_b32 s22, 0
                                        ; implicit-def: $vgpr13
	s_branch .LBB190_2624
.LBB190_2589:
	s_mov_b32 s25, -1
	s_mov_b32 s24, 0
	s_mov_b32 s22, 0
                                        ; implicit-def: $vgpr13
	s_branch .LBB190_2605
.LBB190_2590:
	s_mov_b32 s25, -1
	s_mov_b32 s24, 0
	s_mov_b32 s22, 0
                                        ; implicit-def: $vgpr13
	s_branch .LBB190_2600
.LBB190_2591:
	s_or_b32 s18, s18, exec_lo
	s_trap 2
	s_cbranch_execz .LBB190_2528
	s_branch .LBB190_2529
.LBB190_2592:
	s_mov_b32 s25, -1
	s_mov_b32 s24, 0
	s_mov_b32 s22, 0
	s_branch .LBB190_2594
.LBB190_2593:
	s_mov_b32 s22, -1
	s_mov_b32 s24, 0
.LBB190_2594:
                                        ; implicit-def: $vgpr13
.LBB190_2595:
	s_and_b32 vcc_lo, exec_lo, s25
	s_cbranch_vccz .LBB190_2599
; %bb.2596:
	s_cmp_eq_u32 s16, 44
	s_cbranch_scc0 .LBB190_2598
; %bb.2597:
	global_load_u8 v1, v[6:7], off
	s_mov_b32 s22, 0
	s_mov_b32 s24, -1
	s_wait_loadcnt 0x0
	v_lshlrev_b32_e32 v3, 23, v1
	v_cmp_ne_u32_e32 vcc_lo, 0xff, v1
	s_delay_alu instid0(VALU_DEP_2) | instskip(NEXT) | instid1(VALU_DEP_1)
	v_cvt_f16_f32_e32 v3, v3
	v_cndmask_b32_e32 v3, 0x7e00, v3, vcc_lo
	v_cmp_ne_u32_e32 vcc_lo, 0, v1
	s_delay_alu instid0(VALU_DEP_2)
	v_cndmask_b32_e32 v13, 0, v3, vcc_lo
	s_branch .LBB190_2599
.LBB190_2598:
	s_mov_b32 s22, -1
                                        ; implicit-def: $vgpr13
.LBB190_2599:
	s_mov_b32 s25, 0
.LBB190_2600:
	s_delay_alu instid0(SALU_CYCLE_1)
	s_and_b32 vcc_lo, exec_lo, s25
	s_cbranch_vccz .LBB190_2604
; %bb.2601:
	s_cmp_eq_u32 s16, 29
	s_cbranch_scc0 .LBB190_2603
; %bb.2602:
	global_load_b64 v[14:15], v[6:7], off
	s_mov_b32 s22, 0
	s_mov_b32 s24, -1
	s_mov_b32 s25, 0
	s_wait_loadcnt 0x0
	v_clz_i32_u32_e32 v1, v15
	s_delay_alu instid0(VALU_DEP_1) | instskip(NEXT) | instid1(VALU_DEP_1)
	v_min_u32_e32 v1, 32, v1
	v_lshlrev_b64_e32 v[14:15], v1, v[14:15]
	v_sub_nc_u32_e32 v1, 32, v1
	s_delay_alu instid0(VALU_DEP_2) | instskip(NEXT) | instid1(VALU_DEP_1)
	v_min_u32_e32 v3, 1, v14
	v_or_b32_e32 v3, v15, v3
	s_delay_alu instid0(VALU_DEP_1) | instskip(NEXT) | instid1(VALU_DEP_1)
	v_cvt_f32_u32_e32 v3, v3
	v_ldexp_f32 v1, v3, v1
	s_delay_alu instid0(VALU_DEP_1)
	v_cvt_f16_f32_e32 v13, v1
	s_branch .LBB190_2605
.LBB190_2603:
	s_mov_b32 s22, -1
                                        ; implicit-def: $vgpr13
.LBB190_2604:
	s_mov_b32 s25, 0
.LBB190_2605:
	s_delay_alu instid0(SALU_CYCLE_1)
	s_and_b32 vcc_lo, exec_lo, s25
	s_cbranch_vccz .LBB190_2623
; %bb.2606:
	s_cmp_lt_i32 s16, 27
	s_cbranch_scc1 .LBB190_2609
; %bb.2607:
	s_cmp_gt_i32 s16, 27
	s_cbranch_scc0 .LBB190_2610
; %bb.2608:
	global_load_b32 v1, v[6:7], off
	s_mov_b32 s24, 0
	s_wait_loadcnt 0x0
	v_cvt_f32_u32_e32 v1, v1
	s_delay_alu instid0(VALU_DEP_1)
	v_cvt_f16_f32_e32 v13, v1
	s_branch .LBB190_2611
.LBB190_2609:
	s_mov_b32 s24, -1
                                        ; implicit-def: $vgpr13
	s_branch .LBB190_2614
.LBB190_2610:
	s_mov_b32 s24, -1
                                        ; implicit-def: $vgpr13
.LBB190_2611:
	s_delay_alu instid0(SALU_CYCLE_1)
	s_and_not1_b32 vcc_lo, exec_lo, s24
	s_cbranch_vccnz .LBB190_2613
; %bb.2612:
	global_load_u16 v1, v[6:7], off
	s_wait_loadcnt 0x0
	v_cvt_f16_u16_e32 v13, v1
.LBB190_2613:
	s_mov_b32 s24, 0
.LBB190_2614:
	s_delay_alu instid0(SALU_CYCLE_1)
	s_and_not1_b32 vcc_lo, exec_lo, s24
	s_cbranch_vccnz .LBB190_2622
; %bb.2615:
	global_load_u8 v1, v[6:7], off
	s_mov_b32 s24, 0
	s_mov_b32 s25, exec_lo
	s_wait_loadcnt 0x0
	v_cmpx_lt_i16_e32 0x7f, v1
	s_xor_b32 s25, exec_lo, s25
	s_cbranch_execz .LBB190_2636
; %bb.2616:
	s_mov_b32 s24, -1
	s_mov_b32 s26, exec_lo
	v_cmpx_eq_u16_e32 0x80, v1
; %bb.2617:
	s_xor_b32 s24, exec_lo, -1
; %bb.2618:
	s_or_b32 exec_lo, exec_lo, s26
	s_delay_alu instid0(SALU_CYCLE_1)
	s_and_b32 s24, s24, exec_lo
	s_or_saveexec_b32 s25, s25
	v_mov_b32_e32 v13, 0x7e00
	s_xor_b32 exec_lo, exec_lo, s25
	s_cbranch_execnz .LBB190_2637
.LBB190_2619:
	s_or_b32 exec_lo, exec_lo, s25
	s_and_saveexec_b32 s25, s24
	s_cbranch_execz .LBB190_2621
.LBB190_2620:
	v_and_b32_e32 v3, 0xffff, v1
	s_delay_alu instid0(VALU_DEP_1) | instskip(SKIP_1) | instid1(VALU_DEP_2)
	v_and_b32_e32 v5, 7, v3
	v_bfe_u32 v15, v3, 3, 4
	v_clz_i32_u32_e32 v13, v5
	s_delay_alu instid0(VALU_DEP_2) | instskip(NEXT) | instid1(VALU_DEP_2)
	v_cmp_eq_u32_e32 vcc_lo, 0, v15
	v_min_u32_e32 v13, 32, v13
	s_delay_alu instid0(VALU_DEP_1) | instskip(NEXT) | instid1(VALU_DEP_1)
	v_subrev_nc_u32_e32 v14, 28, v13
	v_dual_lshlrev_b32 v3, v14, v3 :: v_dual_sub_nc_u32 v13, 29, v13
	s_delay_alu instid0(VALU_DEP_1) | instskip(NEXT) | instid1(VALU_DEP_1)
	v_dual_lshlrev_b32 v1, 24, v1 :: v_dual_bitop2_b32 v3, 7, v3 bitop3:0x40
	v_dual_cndmask_b32 v3, v5, v3, vcc_lo :: v_dual_cndmask_b32 v13, v15, v13, vcc_lo
	s_delay_alu instid0(VALU_DEP_2) | instskip(NEXT) | instid1(VALU_DEP_2)
	v_and_b32_e32 v1, 0x80000000, v1
	v_lshlrev_b32_e32 v3, 20, v3
	s_delay_alu instid0(VALU_DEP_3) | instskip(NEXT) | instid1(VALU_DEP_1)
	v_lshl_add_u32 v5, v13, 23, 0x3b800000
	v_or3_b32 v1, v1, v5, v3
	s_delay_alu instid0(VALU_DEP_1)
	v_cvt_f16_f32_e32 v13, v1
.LBB190_2621:
	s_or_b32 exec_lo, exec_lo, s25
.LBB190_2622:
	s_mov_b32 s24, -1
.LBB190_2623:
	s_mov_b32 s25, 0
.LBB190_2624:
	s_delay_alu instid0(SALU_CYCLE_1)
	s_and_b32 vcc_lo, exec_lo, s25
	s_cbranch_vccz .LBB190_2657
; %bb.2625:
	s_cmp_gt_i32 s16, 22
	s_cbranch_scc0 .LBB190_2635
; %bb.2626:
	s_cmp_lt_i32 s16, 24
	s_cbranch_scc1 .LBB190_2638
; %bb.2627:
	s_cmp_gt_i32 s16, 24
	s_cbranch_scc0 .LBB190_2639
; %bb.2628:
	global_load_u8 v1, v[6:7], off
	s_mov_b32 s24, exec_lo
	s_wait_loadcnt 0x0
	v_cmpx_lt_i16_e32 0x7f, v1
	s_xor_b32 s24, exec_lo, s24
	s_cbranch_execz .LBB190_2651
; %bb.2629:
	s_mov_b32 s23, -1
	s_mov_b32 s25, exec_lo
	v_cmpx_eq_u16_e32 0x80, v1
; %bb.2630:
	s_xor_b32 s23, exec_lo, -1
; %bb.2631:
	s_or_b32 exec_lo, exec_lo, s25
	s_delay_alu instid0(SALU_CYCLE_1)
	s_and_b32 s23, s23, exec_lo
	s_or_saveexec_b32 s24, s24
	v_mov_b32_e32 v13, 0x7e00
	s_xor_b32 exec_lo, exec_lo, s24
	s_cbranch_execnz .LBB190_2652
.LBB190_2632:
	s_or_b32 exec_lo, exec_lo, s24
	s_and_saveexec_b32 s24, s23
	s_cbranch_execz .LBB190_2634
.LBB190_2633:
	v_and_b32_e32 v3, 0xffff, v1
	s_delay_alu instid0(VALU_DEP_1) | instskip(SKIP_1) | instid1(VALU_DEP_2)
	v_and_b32_e32 v5, 3, v3
	v_bfe_u32 v15, v3, 2, 5
	v_clz_i32_u32_e32 v13, v5
	s_delay_alu instid0(VALU_DEP_2) | instskip(NEXT) | instid1(VALU_DEP_2)
	v_cmp_eq_u32_e32 vcc_lo, 0, v15
	v_min_u32_e32 v13, 32, v13
	s_delay_alu instid0(VALU_DEP_1) | instskip(NEXT) | instid1(VALU_DEP_1)
	v_subrev_nc_u32_e32 v14, 29, v13
	v_dual_lshlrev_b32 v3, v14, v3 :: v_dual_sub_nc_u32 v13, 30, v13
	s_delay_alu instid0(VALU_DEP_1) | instskip(NEXT) | instid1(VALU_DEP_1)
	v_dual_lshlrev_b32 v1, 24, v1 :: v_dual_bitop2_b32 v3, 3, v3 bitop3:0x40
	v_dual_cndmask_b32 v3, v5, v3, vcc_lo :: v_dual_cndmask_b32 v13, v15, v13, vcc_lo
	s_delay_alu instid0(VALU_DEP_2) | instskip(NEXT) | instid1(VALU_DEP_2)
	v_and_b32_e32 v1, 0x80000000, v1
	v_lshlrev_b32_e32 v3, 21, v3
	s_delay_alu instid0(VALU_DEP_3) | instskip(NEXT) | instid1(VALU_DEP_1)
	v_lshl_add_u32 v5, v13, 23, 0x37800000
	v_or3_b32 v1, v1, v5, v3
	s_delay_alu instid0(VALU_DEP_1)
	v_cvt_f16_f32_e32 v13, v1
.LBB190_2634:
	s_or_b32 exec_lo, exec_lo, s24
	s_mov_b32 s23, 0
	s_branch .LBB190_2640
.LBB190_2635:
	s_mov_b32 s23, -1
                                        ; implicit-def: $vgpr13
	s_branch .LBB190_2646
.LBB190_2636:
	s_or_saveexec_b32 s25, s25
	v_mov_b32_e32 v13, 0x7e00
	s_xor_b32 exec_lo, exec_lo, s25
	s_cbranch_execz .LBB190_2619
.LBB190_2637:
	v_cmp_ne_u16_e32 vcc_lo, 0, v1
	v_mov_b32_e32 v13, v1
	s_and_not1_b32 s24, s24, exec_lo
	s_and_b32 s26, vcc_lo, exec_lo
	s_delay_alu instid0(SALU_CYCLE_1)
	s_or_b32 s24, s24, s26
	s_or_b32 exec_lo, exec_lo, s25
	s_and_saveexec_b32 s25, s24
	s_cbranch_execnz .LBB190_2620
	s_branch .LBB190_2621
.LBB190_2638:
	s_mov_b32 s23, -1
                                        ; implicit-def: $vgpr13
	s_branch .LBB190_2643
.LBB190_2639:
	s_mov_b32 s23, -1
                                        ; implicit-def: $vgpr13
.LBB190_2640:
	s_delay_alu instid0(SALU_CYCLE_1)
	s_and_b32 vcc_lo, exec_lo, s23
	s_cbranch_vccz .LBB190_2642
; %bb.2641:
	global_load_u8 v1, v[6:7], off
	s_wait_loadcnt 0x0
	v_lshlrev_b32_e32 v1, 24, v1
	s_delay_alu instid0(VALU_DEP_1) | instskip(NEXT) | instid1(VALU_DEP_1)
	v_and_b32_e32 v3, 0x7f000000, v1
	v_clz_i32_u32_e32 v5, v3
	v_cmp_ne_u32_e32 vcc_lo, 0, v3
	v_add_nc_u32_e32 v14, 0x1000000, v3
	s_delay_alu instid0(VALU_DEP_3) | instskip(NEXT) | instid1(VALU_DEP_1)
	v_min_u32_e32 v5, 32, v5
	v_sub_nc_u32_e64 v5, v5, 4 clamp
	s_delay_alu instid0(VALU_DEP_1) | instskip(NEXT) | instid1(VALU_DEP_1)
	v_dual_lshlrev_b32 v13, v5, v3 :: v_dual_lshlrev_b32 v5, 23, v5
	v_lshrrev_b32_e32 v13, 4, v13
	s_delay_alu instid0(VALU_DEP_1) | instskip(NEXT) | instid1(VALU_DEP_1)
	v_dual_sub_nc_u32 v5, v13, v5 :: v_dual_ashrrev_i32 v13, 8, v14
	v_add_nc_u32_e32 v5, 0x3c000000, v5
	s_delay_alu instid0(VALU_DEP_1) | instskip(NEXT) | instid1(VALU_DEP_1)
	v_and_or_b32 v5, 0x7f800000, v13, v5
	v_cndmask_b32_e32 v3, 0, v5, vcc_lo
	s_delay_alu instid0(VALU_DEP_1) | instskip(NEXT) | instid1(VALU_DEP_1)
	v_and_or_b32 v1, 0x80000000, v1, v3
	v_cvt_f16_f32_e32 v13, v1
.LBB190_2642:
	s_mov_b32 s23, 0
.LBB190_2643:
	s_delay_alu instid0(SALU_CYCLE_1)
	s_and_not1_b32 vcc_lo, exec_lo, s23
	s_cbranch_vccnz .LBB190_2645
; %bb.2644:
	global_load_u8 v1, v[6:7], off
	s_wait_loadcnt 0x0
	v_lshlrev_b32_e32 v3, 25, v1
	v_lshlrev_b16 v1, 8, v1
	s_delay_alu instid0(VALU_DEP_2) | instskip(NEXT) | instid1(VALU_DEP_2)
	v_cmp_gt_u32_e32 vcc_lo, 0x8000000, v3
	v_and_or_b32 v13, 0x7f00, v1, 0.5
	v_lshrrev_b32_e32 v5, 4, v3
	v_bfe_i32 v1, v1, 0, 16
	s_delay_alu instid0(VALU_DEP_3) | instskip(NEXT) | instid1(VALU_DEP_3)
	v_add_f32_e32 v13, -0.5, v13
	v_or_b32_e32 v5, 0x70000000, v5
	s_delay_alu instid0(VALU_DEP_1) | instskip(NEXT) | instid1(VALU_DEP_1)
	v_mul_f32_e32 v5, 0x7800000, v5
	v_cndmask_b32_e32 v3, v5, v13, vcc_lo
	s_delay_alu instid0(VALU_DEP_1) | instskip(NEXT) | instid1(VALU_DEP_1)
	v_and_or_b32 v1, 0x80000000, v1, v3
	v_cvt_f16_f32_e32 v13, v1
.LBB190_2645:
	s_mov_b32 s23, 0
	s_mov_b32 s24, -1
.LBB190_2646:
	s_and_not1_b32 vcc_lo, exec_lo, s23
	s_mov_b32 s23, 0
	s_cbranch_vccnz .LBB190_2657
; %bb.2647:
	s_cmp_gt_i32 s16, 14
	s_cbranch_scc0 .LBB190_2650
; %bb.2648:
	s_cmp_eq_u32 s16, 15
	s_cbranch_scc0 .LBB190_2653
; %bb.2649:
	global_load_u16 v1, v[6:7], off
	s_mov_b32 s22, 0
	s_mov_b32 s24, -1
	s_wait_loadcnt 0x0
	v_lshlrev_b32_e32 v1, 16, v1
	s_delay_alu instid0(VALU_DEP_1)
	v_cvt_f16_f32_e32 v13, v1
	s_branch .LBB190_2655
.LBB190_2650:
	s_mov_b32 s23, -1
	s_branch .LBB190_2654
.LBB190_2651:
	s_or_saveexec_b32 s24, s24
	v_mov_b32_e32 v13, 0x7e00
	s_xor_b32 exec_lo, exec_lo, s24
	s_cbranch_execz .LBB190_2632
.LBB190_2652:
	v_cmp_ne_u16_e32 vcc_lo, 0, v1
	v_mov_b32_e32 v13, v1
	s_and_not1_b32 s23, s23, exec_lo
	s_and_b32 s25, vcc_lo, exec_lo
	s_delay_alu instid0(SALU_CYCLE_1)
	s_or_b32 s23, s23, s25
	s_or_b32 exec_lo, exec_lo, s24
	s_and_saveexec_b32 s24, s23
	s_cbranch_execnz .LBB190_2633
	s_branch .LBB190_2634
.LBB190_2653:
	s_mov_b32 s22, -1
.LBB190_2654:
                                        ; implicit-def: $vgpr13
.LBB190_2655:
	s_and_b32 vcc_lo, exec_lo, s23
	s_mov_b32 s23, 0
	s_cbranch_vccz .LBB190_2657
; %bb.2656:
	s_cmp_lg_u32 s16, 11
	s_mov_b32 s23, -1
	s_cselect_b32 s22, -1, 0
.LBB190_2657:
	s_delay_alu instid0(SALU_CYCLE_1)
	s_and_b32 vcc_lo, exec_lo, s22
	s_cbranch_vccnz .LBB190_2722
; %bb.2658:
	s_and_not1_b32 vcc_lo, exec_lo, s23
	s_cbranch_vccnz .LBB190_2660
.LBB190_2659:
	global_load_u8 v1, v[6:7], off
	s_mov_b32 s24, -1
	s_wait_loadcnt 0x0
	v_cmp_ne_u16_e32 vcc_lo, 0, v1
	v_cndmask_b32_e64 v13, 0, 0x3c00, vcc_lo
.LBB190_2660:
	s_mov_b32 s16, 0
.LBB190_2661:
	s_delay_alu instid0(SALU_CYCLE_1)
	s_and_b32 vcc_lo, exec_lo, s16
	s_cbranch_vccz .LBB190_2710
; %bb.2662:
	s_and_b32 s16, 0xffff, s17
	s_delay_alu instid0(SALU_CYCLE_1)
	s_cmp_lt_i32 s16, 5
	s_cbranch_scc1 .LBB190_2667
; %bb.2663:
	s_cmp_lt_i32 s16, 8
	s_cbranch_scc1 .LBB190_2668
; %bb.2664:
	;; [unrolled: 3-line block ×3, first 2 shown]
	s_cmp_gt_i32 s16, 9
	s_cbranch_scc0 .LBB190_2670
; %bb.2666:
	global_load_b64 v[14:15], v[6:7], off
	s_mov_b32 s22, 0
	s_wait_loadcnt 0x0
	v_and_or_b32 v1, 0x1ff, v15, v14
	v_lshrrev_b32_e32 v3, 8, v15
	v_bfe_u32 v5, v15, 20, 11
	s_delay_alu instid0(VALU_DEP_3) | instskip(NEXT) | instid1(VALU_DEP_2)
	v_cmp_ne_u32_e32 vcc_lo, 0, v1
	v_sub_nc_u32_e32 v13, 0x3f1, v5
	v_add_nc_u32_e32 v5, 0xfffffc10, v5
	v_cndmask_b32_e64 v1, 0, 1, vcc_lo
	s_delay_alu instid0(VALU_DEP_1) | instskip(NEXT) | instid1(VALU_DEP_4)
	v_and_or_b32 v1, 0xffe, v3, v1
	v_med3_i32 v3, v13, 0, 13
	s_delay_alu instid0(VALU_DEP_2) | instskip(NEXT) | instid1(VALU_DEP_1)
	v_or_b32_e32 v13, 0x1000, v1
	v_lshrrev_b32_e32 v14, v3, v13
	s_delay_alu instid0(VALU_DEP_1) | instskip(NEXT) | instid1(VALU_DEP_1)
	v_lshlrev_b32_e32 v3, v3, v14
	v_cmp_ne_u32_e32 vcc_lo, v3, v13
	v_lshl_or_b32 v13, v5, 12, v1
	v_cndmask_b32_e64 v3, 0, 1, vcc_lo
	v_cmp_gt_i32_e32 vcc_lo, 1, v5
	s_delay_alu instid0(VALU_DEP_2) | instskip(NEXT) | instid1(VALU_DEP_1)
	v_or_b32_e32 v3, v14, v3
	v_cndmask_b32_e32 v3, v13, v3, vcc_lo
	s_delay_alu instid0(VALU_DEP_1) | instskip(NEXT) | instid1(VALU_DEP_1)
	v_dual_lshrrev_b32 v3, 2, v3 :: v_dual_bitop2_b32 v13, 7, v3 bitop3:0x40
	v_cmp_lt_i32_e32 vcc_lo, 5, v13
	v_cndmask_b32_e64 v14, 0, 1, vcc_lo
	v_cmp_eq_u32_e32 vcc_lo, 3, v13
	v_cndmask_b32_e64 v13, 0, 1, vcc_lo
	v_cmp_ne_u32_e32 vcc_lo, 0, v1
	s_delay_alu instid0(VALU_DEP_2) | instskip(NEXT) | instid1(VALU_DEP_1)
	v_or_b32_e32 v13, v13, v14
	v_dual_mov_b32 v14, 0x7e00 :: v_dual_add_nc_u32 v3, v3, v13
	s_delay_alu instid0(VALU_DEP_1) | instskip(SKIP_1) | instid1(VALU_DEP_3)
	v_cndmask_b32_e32 v1, 0x7c00, v14, vcc_lo
	v_cmp_gt_i32_e32 vcc_lo, 31, v5
	v_cndmask_b32_e32 v3, 0x7c00, v3, vcc_lo
	v_cmp_eq_u32_e32 vcc_lo, 0x40f, v5
	s_delay_alu instid0(VALU_DEP_2) | instskip(NEXT) | instid1(VALU_DEP_1)
	v_dual_cndmask_b32 v1, v3, v1, vcc_lo :: v_dual_lshrrev_b32 v3, 16, v15
	v_and_or_b32 v13, 0x8000, v3, v1
	s_branch .LBB190_2671
.LBB190_2667:
	s_mov_b32 s22, -1
                                        ; implicit-def: $vgpr13
	s_branch .LBB190_2689
.LBB190_2668:
	s_mov_b32 s22, -1
                                        ; implicit-def: $vgpr13
	s_branch .LBB190_2677
.LBB190_2669:
	s_mov_b32 s22, -1
                                        ; implicit-def: $vgpr13
	s_branch .LBB190_2674
.LBB190_2670:
	s_mov_b32 s22, -1
                                        ; implicit-def: $vgpr13
.LBB190_2671:
	s_delay_alu instid0(SALU_CYCLE_1)
	s_and_not1_b32 vcc_lo, exec_lo, s22
	s_cbranch_vccnz .LBB190_2673
; %bb.2672:
	global_load_b32 v1, v[6:7], off
	s_wait_loadcnt 0x0
	v_cvt_f16_f32_e32 v13, v1
.LBB190_2673:
	s_mov_b32 s22, 0
.LBB190_2674:
	s_delay_alu instid0(SALU_CYCLE_1)
	s_and_not1_b32 vcc_lo, exec_lo, s22
	s_cbranch_vccnz .LBB190_2676
; %bb.2675:
	global_load_b32 v13, v[6:7], off
.LBB190_2676:
	s_mov_b32 s22, 0
.LBB190_2677:
	s_delay_alu instid0(SALU_CYCLE_1)
	s_and_not1_b32 vcc_lo, exec_lo, s22
	s_cbranch_vccnz .LBB190_2688
; %bb.2678:
	s_cmp_lt_i32 s16, 6
	s_cbranch_scc1 .LBB190_2681
; %bb.2679:
	s_cmp_gt_i32 s16, 6
	s_cbranch_scc0 .LBB190_2682
; %bb.2680:
	global_load_b64 v[14:15], v[6:7], off
	s_mov_b32 s22, 0
	s_wait_loadcnt 0x0
	v_and_or_b32 v1, 0x1ff, v15, v14
	v_lshrrev_b32_e32 v3, 8, v15
	v_bfe_u32 v5, v15, 20, 11
	s_delay_alu instid0(VALU_DEP_3) | instskip(NEXT) | instid1(VALU_DEP_2)
	v_cmp_ne_u32_e32 vcc_lo, 0, v1
	v_sub_nc_u32_e32 v13, 0x3f1, v5
	v_add_nc_u32_e32 v5, 0xfffffc10, v5
	v_cndmask_b32_e64 v1, 0, 1, vcc_lo
	s_delay_alu instid0(VALU_DEP_1) | instskip(NEXT) | instid1(VALU_DEP_4)
	v_and_or_b32 v1, 0xffe, v3, v1
	v_med3_i32 v3, v13, 0, 13
	s_delay_alu instid0(VALU_DEP_2) | instskip(NEXT) | instid1(VALU_DEP_1)
	v_or_b32_e32 v13, 0x1000, v1
	v_lshrrev_b32_e32 v14, v3, v13
	s_delay_alu instid0(VALU_DEP_1) | instskip(NEXT) | instid1(VALU_DEP_1)
	v_lshlrev_b32_e32 v3, v3, v14
	v_cmp_ne_u32_e32 vcc_lo, v3, v13
	v_lshl_or_b32 v13, v5, 12, v1
	v_cndmask_b32_e64 v3, 0, 1, vcc_lo
	v_cmp_gt_i32_e32 vcc_lo, 1, v5
	s_delay_alu instid0(VALU_DEP_2) | instskip(NEXT) | instid1(VALU_DEP_1)
	v_or_b32_e32 v3, v14, v3
	v_cndmask_b32_e32 v3, v13, v3, vcc_lo
	s_delay_alu instid0(VALU_DEP_1) | instskip(NEXT) | instid1(VALU_DEP_1)
	v_dual_lshrrev_b32 v3, 2, v3 :: v_dual_bitop2_b32 v13, 7, v3 bitop3:0x40
	v_cmp_lt_i32_e32 vcc_lo, 5, v13
	v_cndmask_b32_e64 v14, 0, 1, vcc_lo
	v_cmp_eq_u32_e32 vcc_lo, 3, v13
	v_cndmask_b32_e64 v13, 0, 1, vcc_lo
	v_cmp_ne_u32_e32 vcc_lo, 0, v1
	s_delay_alu instid0(VALU_DEP_2) | instskip(NEXT) | instid1(VALU_DEP_1)
	v_or_b32_e32 v13, v13, v14
	v_dual_mov_b32 v14, 0x7e00 :: v_dual_add_nc_u32 v3, v3, v13
	s_delay_alu instid0(VALU_DEP_1) | instskip(SKIP_1) | instid1(VALU_DEP_3)
	v_cndmask_b32_e32 v1, 0x7c00, v14, vcc_lo
	v_cmp_gt_i32_e32 vcc_lo, 31, v5
	v_cndmask_b32_e32 v3, 0x7c00, v3, vcc_lo
	v_cmp_eq_u32_e32 vcc_lo, 0x40f, v5
	s_delay_alu instid0(VALU_DEP_2) | instskip(NEXT) | instid1(VALU_DEP_1)
	v_dual_cndmask_b32 v1, v3, v1, vcc_lo :: v_dual_lshrrev_b32 v3, 16, v15
	v_and_or_b32 v13, 0x8000, v3, v1
	s_branch .LBB190_2683
.LBB190_2681:
	s_mov_b32 s22, -1
                                        ; implicit-def: $vgpr13
	s_branch .LBB190_2686
.LBB190_2682:
	s_mov_b32 s22, -1
                                        ; implicit-def: $vgpr13
.LBB190_2683:
	s_delay_alu instid0(SALU_CYCLE_1)
	s_and_not1_b32 vcc_lo, exec_lo, s22
	s_cbranch_vccnz .LBB190_2685
; %bb.2684:
	global_load_b32 v1, v[6:7], off
	s_wait_loadcnt 0x0
	v_cvt_f16_f32_e32 v13, v1
.LBB190_2685:
	s_mov_b32 s22, 0
.LBB190_2686:
	s_delay_alu instid0(SALU_CYCLE_1)
	s_and_not1_b32 vcc_lo, exec_lo, s22
	s_cbranch_vccnz .LBB190_2688
; %bb.2687:
	s_wait_loadcnt 0x0
	global_load_u16 v13, v[6:7], off
.LBB190_2688:
	s_mov_b32 s22, 0
.LBB190_2689:
	s_delay_alu instid0(SALU_CYCLE_1)
	s_and_not1_b32 vcc_lo, exec_lo, s22
	s_cbranch_vccnz .LBB190_2709
; %bb.2690:
	s_cmp_lt_i32 s16, 2
	s_cbranch_scc1 .LBB190_2694
; %bb.2691:
	s_cmp_lt_i32 s16, 3
	s_cbranch_scc1 .LBB190_2695
; %bb.2692:
	s_cmp_gt_i32 s16, 3
	s_cbranch_scc0 .LBB190_2696
; %bb.2693:
	global_load_b64 v[14:15], v[6:7], off
	s_mov_b32 s22, 0
	s_wait_loadcnt 0x0
	v_xor_b32_e32 v1, v14, v15
	v_cls_i32_e32 v3, v15
	s_delay_alu instid0(VALU_DEP_2) | instskip(NEXT) | instid1(VALU_DEP_1)
	v_ashrrev_i32_e32 v1, 31, v1
	v_add_nc_u32_e32 v1, 32, v1
	s_delay_alu instid0(VALU_DEP_1) | instskip(NEXT) | instid1(VALU_DEP_1)
	v_add_min_u32_e64 v1, v3, -1, v1
	v_lshlrev_b64_e32 v[14:15], v1, v[14:15]
	v_sub_nc_u32_e32 v1, 32, v1
	s_delay_alu instid0(VALU_DEP_2) | instskip(NEXT) | instid1(VALU_DEP_1)
	v_min_u32_e32 v3, 1, v14
	v_or_b32_e32 v3, v15, v3
	s_delay_alu instid0(VALU_DEP_1) | instskip(NEXT) | instid1(VALU_DEP_1)
	v_cvt_f32_i32_e32 v3, v3
	v_ldexp_f32 v1, v3, v1
	s_delay_alu instid0(VALU_DEP_1)
	v_cvt_f16_f32_e32 v13, v1
	s_branch .LBB190_2697
.LBB190_2694:
	s_mov_b32 s22, -1
                                        ; implicit-def: $vgpr13
	s_branch .LBB190_2703
.LBB190_2695:
	s_mov_b32 s22, -1
                                        ; implicit-def: $vgpr13
	s_branch .LBB190_2700
.LBB190_2696:
	s_mov_b32 s22, -1
                                        ; implicit-def: $vgpr13
.LBB190_2697:
	s_delay_alu instid0(SALU_CYCLE_1)
	s_and_not1_b32 vcc_lo, exec_lo, s22
	s_cbranch_vccnz .LBB190_2699
; %bb.2698:
	global_load_b32 v1, v[6:7], off
	s_wait_loadcnt 0x0
	v_cvt_f32_i32_e32 v1, v1
	s_delay_alu instid0(VALU_DEP_1)
	v_cvt_f16_f32_e32 v13, v1
.LBB190_2699:
	s_mov_b32 s22, 0
.LBB190_2700:
	s_delay_alu instid0(SALU_CYCLE_1)
	s_and_not1_b32 vcc_lo, exec_lo, s22
	s_cbranch_vccnz .LBB190_2702
; %bb.2701:
	global_load_u16 v1, v[6:7], off
	s_wait_loadcnt 0x0
	v_cvt_f16_i16_e32 v13, v1
.LBB190_2702:
	s_mov_b32 s22, 0
.LBB190_2703:
	s_delay_alu instid0(SALU_CYCLE_1)
	s_and_not1_b32 vcc_lo, exec_lo, s22
	s_cbranch_vccnz .LBB190_2709
; %bb.2704:
	s_cmp_gt_i32 s16, 0
	s_mov_b32 s16, 0
	s_cbranch_scc0 .LBB190_2706
; %bb.2705:
	global_load_i8 v1, v[6:7], off
	s_wait_loadcnt 0x0
	v_cvt_f16_i16_e32 v13, v1
	s_branch .LBB190_2707
.LBB190_2706:
	s_mov_b32 s16, -1
                                        ; implicit-def: $vgpr13
.LBB190_2707:
	s_delay_alu instid0(SALU_CYCLE_1)
	s_and_not1_b32 vcc_lo, exec_lo, s16
	s_cbranch_vccnz .LBB190_2709
; %bb.2708:
	global_load_u8 v1, v[6:7], off
	s_wait_loadcnt 0x0
	v_cvt_f16_u16_e32 v13, v1
.LBB190_2709:
	s_mov_b32 s24, -1
.LBB190_2710:
	s_delay_alu instid0(SALU_CYCLE_1)
	s_and_not1_b32 vcc_lo, exec_lo, s24
	s_cbranch_vccnz .LBB190_4065
; %bb.2711:
	s_lshl_b32 s15, s15, 7
	s_cmp_lt_i32 s0, 11
	v_add_nc_u32_e32 v4, s15, v4
	s_delay_alu instid0(VALU_DEP_1) | instskip(SKIP_1) | instid1(VALU_DEP_1)
	v_ashrrev_i32_e32 v5, 31, v4
	s_wait_xcnt 0x0
	v_add_nc_u64_e32 v[6:7], s[10:11], v[4:5]
	s_cbranch_scc1 .LBB190_2718
; %bb.2712:
	s_cmp_gt_i32 s0, 25
	s_mov_b32 s22, 0
	s_cbranch_scc0 .LBB190_2719
; %bb.2713:
	s_cmp_gt_i32 s0, 28
	s_cbranch_scc0 .LBB190_2720
; %bb.2714:
	s_cmp_gt_i32 s0, 43
	;; [unrolled: 3-line block ×3, first 2 shown]
	s_cbranch_scc0 .LBB190_2723
; %bb.2716:
	s_cmp_eq_u32 s0, 46
	s_mov_b32 s24, 0
	s_cbranch_scc0 .LBB190_2726
; %bb.2717:
	global_load_b32 v1, v[6:7], off
	s_mov_b32 s16, 0
	s_mov_b32 s23, -1
	s_wait_loadcnt 0x0
	v_lshlrev_b32_e32 v1, 16, v1
	s_delay_alu instid0(VALU_DEP_1)
	v_cvt_f16_f32_e32 v14, v1
	s_branch .LBB190_2728
.LBB190_2718:
	s_mov_b32 s16, -1
	s_mov_b32 s23, 0
                                        ; implicit-def: $vgpr14
	s_branch .LBB190_2794
.LBB190_2719:
	s_mov_b32 s24, -1
	s_mov_b32 s23, 0
	s_mov_b32 s16, 0
                                        ; implicit-def: $vgpr14
	s_branch .LBB190_2757
.LBB190_2720:
	s_mov_b32 s24, -1
	s_mov_b32 s23, 0
	s_mov_b32 s16, 0
                                        ; implicit-def: $vgpr14
	s_branch .LBB190_2738
.LBB190_2721:
	s_mov_b32 s24, -1
	s_mov_b32 s23, 0
	s_mov_b32 s16, 0
                                        ; implicit-def: $vgpr14
	s_branch .LBB190_2733
.LBB190_2722:
	s_or_b32 s18, s18, exec_lo
	s_trap 2
	s_cbranch_execz .LBB190_2659
	s_branch .LBB190_2660
.LBB190_2723:
	s_mov_b32 s24, -1
	s_mov_b32 s23, 0
	s_mov_b32 s16, 0
	s_branch .LBB190_2727
.LBB190_2724:
	s_and_not1_saveexec_b32 s41, s41
	s_cbranch_execz .LBB190_1464
.LBB190_2725:
	v_add_f32_e64 v4, 0x46000000, |v2|
	s_and_not1_b32 s40, s40, exec_lo
	s_delay_alu instid0(VALU_DEP_1) | instskip(NEXT) | instid1(VALU_DEP_1)
	v_and_b32_e32 v4, 0xff, v4
	v_cmp_ne_u32_e32 vcc_lo, 0, v4
	s_and_b32 s42, vcc_lo, exec_lo
	s_delay_alu instid0(SALU_CYCLE_1)
	s_or_b32 s40, s40, s42
	s_or_b32 exec_lo, exec_lo, s41
	v_mov_b32_e32 v5, 0
	s_and_saveexec_b32 s41, s40
	s_cbranch_execnz .LBB190_1465
	s_branch .LBB190_1466
.LBB190_2726:
	s_mov_b32 s16, -1
	s_mov_b32 s23, 0
.LBB190_2727:
                                        ; implicit-def: $vgpr14
.LBB190_2728:
	s_and_b32 vcc_lo, exec_lo, s24
	s_cbranch_vccz .LBB190_2732
; %bb.2729:
	s_cmp_eq_u32 s0, 44
	s_cbranch_scc0 .LBB190_2731
; %bb.2730:
	global_load_u8 v1, v[6:7], off
	s_mov_b32 s16, 0
	s_mov_b32 s23, -1
	s_wait_loadcnt 0x0
	v_lshlrev_b32_e32 v3, 23, v1
	v_cmp_ne_u32_e32 vcc_lo, 0xff, v1
	s_delay_alu instid0(VALU_DEP_2) | instskip(NEXT) | instid1(VALU_DEP_1)
	v_cvt_f16_f32_e32 v3, v3
	v_cndmask_b32_e32 v3, 0x7e00, v3, vcc_lo
	v_cmp_ne_u32_e32 vcc_lo, 0, v1
	s_delay_alu instid0(VALU_DEP_2)
	v_cndmask_b32_e32 v14, 0, v3, vcc_lo
	s_branch .LBB190_2732
.LBB190_2731:
	s_mov_b32 s16, -1
                                        ; implicit-def: $vgpr14
.LBB190_2732:
	s_mov_b32 s24, 0
.LBB190_2733:
	s_delay_alu instid0(SALU_CYCLE_1)
	s_and_b32 vcc_lo, exec_lo, s24
	s_cbranch_vccz .LBB190_2737
; %bb.2734:
	s_cmp_eq_u32 s0, 29
	s_cbranch_scc0 .LBB190_2736
; %bb.2735:
	global_load_b64 v[14:15], v[6:7], off
	s_mov_b32 s16, 0
	s_mov_b32 s23, -1
	s_mov_b32 s24, 0
	s_wait_loadcnt 0x0
	v_clz_i32_u32_e32 v1, v15
	s_delay_alu instid0(VALU_DEP_1) | instskip(NEXT) | instid1(VALU_DEP_1)
	v_min_u32_e32 v1, 32, v1
	v_lshlrev_b64_e32 v[14:15], v1, v[14:15]
	v_sub_nc_u32_e32 v1, 32, v1
	s_delay_alu instid0(VALU_DEP_2) | instskip(NEXT) | instid1(VALU_DEP_1)
	v_min_u32_e32 v3, 1, v14
	v_or_b32_e32 v3, v15, v3
	s_delay_alu instid0(VALU_DEP_1) | instskip(NEXT) | instid1(VALU_DEP_1)
	v_cvt_f32_u32_e32 v3, v3
	v_ldexp_f32 v1, v3, v1
	s_delay_alu instid0(VALU_DEP_1)
	v_cvt_f16_f32_e32 v14, v1
	s_branch .LBB190_2738
.LBB190_2736:
	s_mov_b32 s16, -1
                                        ; implicit-def: $vgpr14
.LBB190_2737:
	s_mov_b32 s24, 0
.LBB190_2738:
	s_delay_alu instid0(SALU_CYCLE_1)
	s_and_b32 vcc_lo, exec_lo, s24
	s_cbranch_vccz .LBB190_2756
; %bb.2739:
	s_cmp_lt_i32 s0, 27
	s_cbranch_scc1 .LBB190_2742
; %bb.2740:
	s_cmp_gt_i32 s0, 27
	s_cbranch_scc0 .LBB190_2743
; %bb.2741:
	global_load_b32 v1, v[6:7], off
	s_mov_b32 s23, 0
	s_wait_loadcnt 0x0
	v_cvt_f32_u32_e32 v1, v1
	s_delay_alu instid0(VALU_DEP_1)
	v_cvt_f16_f32_e32 v14, v1
	s_branch .LBB190_2744
.LBB190_2742:
	s_mov_b32 s23, -1
                                        ; implicit-def: $vgpr14
	s_branch .LBB190_2747
.LBB190_2743:
	s_mov_b32 s23, -1
                                        ; implicit-def: $vgpr14
.LBB190_2744:
	s_delay_alu instid0(SALU_CYCLE_1)
	s_and_not1_b32 vcc_lo, exec_lo, s23
	s_cbranch_vccnz .LBB190_2746
; %bb.2745:
	global_load_u16 v1, v[6:7], off
	s_wait_loadcnt 0x0
	v_cvt_f16_u16_e32 v14, v1
.LBB190_2746:
	s_mov_b32 s23, 0
.LBB190_2747:
	s_delay_alu instid0(SALU_CYCLE_1)
	s_and_not1_b32 vcc_lo, exec_lo, s23
	s_cbranch_vccnz .LBB190_2755
; %bb.2748:
	global_load_u8 v1, v[6:7], off
	s_mov_b32 s23, 0
	s_mov_b32 s24, exec_lo
	s_wait_loadcnt 0x0
	v_cmpx_lt_i16_e32 0x7f, v1
	s_xor_b32 s24, exec_lo, s24
	s_cbranch_execz .LBB190_2769
; %bb.2749:
	s_mov_b32 s23, -1
	s_mov_b32 s25, exec_lo
	v_cmpx_eq_u16_e32 0x80, v1
; %bb.2750:
	s_xor_b32 s23, exec_lo, -1
; %bb.2751:
	s_or_b32 exec_lo, exec_lo, s25
	s_delay_alu instid0(SALU_CYCLE_1)
	s_and_b32 s23, s23, exec_lo
	s_or_saveexec_b32 s24, s24
	v_mov_b32_e32 v14, 0x7e00
	s_xor_b32 exec_lo, exec_lo, s24
	s_cbranch_execnz .LBB190_2770
.LBB190_2752:
	s_or_b32 exec_lo, exec_lo, s24
	s_and_saveexec_b32 s24, s23
	s_cbranch_execz .LBB190_2754
.LBB190_2753:
	v_and_b32_e32 v3, 0xffff, v1
	s_delay_alu instid0(VALU_DEP_1) | instskip(SKIP_1) | instid1(VALU_DEP_2)
	v_and_b32_e32 v5, 7, v3
	v_bfe_u32 v16, v3, 3, 4
	v_clz_i32_u32_e32 v14, v5
	s_delay_alu instid0(VALU_DEP_2) | instskip(NEXT) | instid1(VALU_DEP_2)
	v_cmp_eq_u32_e32 vcc_lo, 0, v16
	v_min_u32_e32 v14, 32, v14
	s_delay_alu instid0(VALU_DEP_1) | instskip(NEXT) | instid1(VALU_DEP_1)
	v_subrev_nc_u32_e32 v15, 28, v14
	v_dual_lshlrev_b32 v3, v15, v3 :: v_dual_sub_nc_u32 v14, 29, v14
	s_delay_alu instid0(VALU_DEP_1) | instskip(NEXT) | instid1(VALU_DEP_1)
	v_dual_lshlrev_b32 v1, 24, v1 :: v_dual_bitop2_b32 v3, 7, v3 bitop3:0x40
	v_dual_cndmask_b32 v14, v16, v14 :: v_dual_cndmask_b32 v3, v5, v3
	s_delay_alu instid0(VALU_DEP_2) | instskip(NEXT) | instid1(VALU_DEP_2)
	v_and_b32_e32 v1, 0x80000000, v1
	v_lshl_add_u32 v5, v14, 23, 0x3b800000
	s_delay_alu instid0(VALU_DEP_3) | instskip(NEXT) | instid1(VALU_DEP_1)
	v_lshlrev_b32_e32 v3, 20, v3
	v_or3_b32 v1, v1, v5, v3
	s_delay_alu instid0(VALU_DEP_1)
	v_cvt_f16_f32_e32 v14, v1
.LBB190_2754:
	s_or_b32 exec_lo, exec_lo, s24
.LBB190_2755:
	s_mov_b32 s23, -1
.LBB190_2756:
	s_mov_b32 s24, 0
.LBB190_2757:
	s_delay_alu instid0(SALU_CYCLE_1)
	s_and_b32 vcc_lo, exec_lo, s24
	s_cbranch_vccz .LBB190_2790
; %bb.2758:
	s_cmp_gt_i32 s0, 22
	s_cbranch_scc0 .LBB190_2768
; %bb.2759:
	s_cmp_lt_i32 s0, 24
	s_cbranch_scc1 .LBB190_2771
; %bb.2760:
	s_cmp_gt_i32 s0, 24
	s_cbranch_scc0 .LBB190_2772
; %bb.2761:
	global_load_u8 v1, v[6:7], off
	s_mov_b32 s23, exec_lo
	s_wait_loadcnt 0x0
	v_cmpx_lt_i16_e32 0x7f, v1
	s_xor_b32 s23, exec_lo, s23
	s_cbranch_execz .LBB190_2784
; %bb.2762:
	s_mov_b32 s22, -1
	s_mov_b32 s24, exec_lo
	v_cmpx_eq_u16_e32 0x80, v1
; %bb.2763:
	s_xor_b32 s22, exec_lo, -1
; %bb.2764:
	s_or_b32 exec_lo, exec_lo, s24
	s_delay_alu instid0(SALU_CYCLE_1)
	s_and_b32 s22, s22, exec_lo
	s_or_saveexec_b32 s23, s23
	v_mov_b32_e32 v14, 0x7e00
	s_xor_b32 exec_lo, exec_lo, s23
	s_cbranch_execnz .LBB190_2785
.LBB190_2765:
	s_or_b32 exec_lo, exec_lo, s23
	s_and_saveexec_b32 s23, s22
	s_cbranch_execz .LBB190_2767
.LBB190_2766:
	v_and_b32_e32 v3, 0xffff, v1
	s_delay_alu instid0(VALU_DEP_1) | instskip(SKIP_1) | instid1(VALU_DEP_2)
	v_and_b32_e32 v5, 3, v3
	v_bfe_u32 v16, v3, 2, 5
	v_clz_i32_u32_e32 v14, v5
	s_delay_alu instid0(VALU_DEP_2) | instskip(NEXT) | instid1(VALU_DEP_2)
	v_cmp_eq_u32_e32 vcc_lo, 0, v16
	v_min_u32_e32 v14, 32, v14
	s_delay_alu instid0(VALU_DEP_1) | instskip(NEXT) | instid1(VALU_DEP_1)
	v_subrev_nc_u32_e32 v15, 29, v14
	v_dual_lshlrev_b32 v3, v15, v3 :: v_dual_sub_nc_u32 v14, 30, v14
	s_delay_alu instid0(VALU_DEP_1) | instskip(NEXT) | instid1(VALU_DEP_1)
	v_dual_lshlrev_b32 v1, 24, v1 :: v_dual_bitop2_b32 v3, 3, v3 bitop3:0x40
	v_dual_cndmask_b32 v14, v16, v14 :: v_dual_cndmask_b32 v3, v5, v3
	s_delay_alu instid0(VALU_DEP_2) | instskip(NEXT) | instid1(VALU_DEP_2)
	v_and_b32_e32 v1, 0x80000000, v1
	v_lshl_add_u32 v5, v14, 23, 0x37800000
	s_delay_alu instid0(VALU_DEP_3) | instskip(NEXT) | instid1(VALU_DEP_1)
	v_lshlrev_b32_e32 v3, 21, v3
	v_or3_b32 v1, v1, v5, v3
	s_delay_alu instid0(VALU_DEP_1)
	v_cvt_f16_f32_e32 v14, v1
.LBB190_2767:
	s_or_b32 exec_lo, exec_lo, s23
	s_mov_b32 s22, 0
	s_branch .LBB190_2773
.LBB190_2768:
	s_mov_b32 s22, -1
                                        ; implicit-def: $vgpr14
	s_branch .LBB190_2779
.LBB190_2769:
	s_or_saveexec_b32 s24, s24
	v_mov_b32_e32 v14, 0x7e00
	s_xor_b32 exec_lo, exec_lo, s24
	s_cbranch_execz .LBB190_2752
.LBB190_2770:
	v_cmp_ne_u16_e32 vcc_lo, 0, v1
	v_mov_b32_e32 v14, v1
	s_and_not1_b32 s23, s23, exec_lo
	s_and_b32 s25, vcc_lo, exec_lo
	s_delay_alu instid0(SALU_CYCLE_1)
	s_or_b32 s23, s23, s25
	s_or_b32 exec_lo, exec_lo, s24
	s_and_saveexec_b32 s24, s23
	s_cbranch_execnz .LBB190_2753
	s_branch .LBB190_2754
.LBB190_2771:
	s_mov_b32 s22, -1
                                        ; implicit-def: $vgpr14
	s_branch .LBB190_2776
.LBB190_2772:
	s_mov_b32 s22, -1
                                        ; implicit-def: $vgpr14
.LBB190_2773:
	s_delay_alu instid0(SALU_CYCLE_1)
	s_and_b32 vcc_lo, exec_lo, s22
	s_cbranch_vccz .LBB190_2775
; %bb.2774:
	global_load_u8 v1, v[6:7], off
	s_wait_loadcnt 0x0
	v_lshlrev_b32_e32 v1, 24, v1
	s_delay_alu instid0(VALU_DEP_1) | instskip(NEXT) | instid1(VALU_DEP_1)
	v_and_b32_e32 v3, 0x7f000000, v1
	v_clz_i32_u32_e32 v5, v3
	v_add_nc_u32_e32 v15, 0x1000000, v3
	v_cmp_ne_u32_e32 vcc_lo, 0, v3
	s_delay_alu instid0(VALU_DEP_3) | instskip(NEXT) | instid1(VALU_DEP_1)
	v_min_u32_e32 v5, 32, v5
	v_sub_nc_u32_e64 v5, v5, 4 clamp
	s_delay_alu instid0(VALU_DEP_1) | instskip(NEXT) | instid1(VALU_DEP_1)
	v_dual_lshlrev_b32 v14, v5, v3 :: v_dual_lshlrev_b32 v5, 23, v5
	v_lshrrev_b32_e32 v14, 4, v14
	s_delay_alu instid0(VALU_DEP_1) | instskip(NEXT) | instid1(VALU_DEP_1)
	v_dual_sub_nc_u32 v5, v14, v5 :: v_dual_ashrrev_i32 v14, 8, v15
	v_add_nc_u32_e32 v5, 0x3c000000, v5
	s_delay_alu instid0(VALU_DEP_1) | instskip(NEXT) | instid1(VALU_DEP_1)
	v_and_or_b32 v5, 0x7f800000, v14, v5
	v_cndmask_b32_e32 v3, 0, v5, vcc_lo
	s_delay_alu instid0(VALU_DEP_1) | instskip(NEXT) | instid1(VALU_DEP_1)
	v_and_or_b32 v1, 0x80000000, v1, v3
	v_cvt_f16_f32_e32 v14, v1
.LBB190_2775:
	s_mov_b32 s22, 0
.LBB190_2776:
	s_delay_alu instid0(SALU_CYCLE_1)
	s_and_not1_b32 vcc_lo, exec_lo, s22
	s_cbranch_vccnz .LBB190_2778
; %bb.2777:
	global_load_u8 v1, v[6:7], off
	s_wait_loadcnt 0x0
	v_lshlrev_b32_e32 v3, 25, v1
	v_lshlrev_b16 v1, 8, v1
	s_delay_alu instid0(VALU_DEP_1) | instskip(SKIP_1) | instid1(VALU_DEP_2)
	v_and_or_b32 v14, 0x7f00, v1, 0.5
	v_bfe_i32 v1, v1, 0, 16
	v_dual_add_f32 v14, -0.5, v14 :: v_dual_lshrrev_b32 v5, 4, v3
	v_cmp_gt_u32_e32 vcc_lo, 0x8000000, v3
	s_delay_alu instid0(VALU_DEP_2) | instskip(NEXT) | instid1(VALU_DEP_1)
	v_or_b32_e32 v5, 0x70000000, v5
	v_mul_f32_e32 v5, 0x7800000, v5
	s_delay_alu instid0(VALU_DEP_1) | instskip(NEXT) | instid1(VALU_DEP_1)
	v_cndmask_b32_e32 v3, v5, v14, vcc_lo
	v_and_or_b32 v1, 0x80000000, v1, v3
	s_delay_alu instid0(VALU_DEP_1)
	v_cvt_f16_f32_e32 v14, v1
.LBB190_2778:
	s_mov_b32 s22, 0
	s_mov_b32 s23, -1
.LBB190_2779:
	s_and_not1_b32 vcc_lo, exec_lo, s22
	s_mov_b32 s22, 0
	s_cbranch_vccnz .LBB190_2790
; %bb.2780:
	s_cmp_gt_i32 s0, 14
	s_cbranch_scc0 .LBB190_2783
; %bb.2781:
	s_cmp_eq_u32 s0, 15
	s_cbranch_scc0 .LBB190_2786
; %bb.2782:
	global_load_u16 v1, v[6:7], off
	s_mov_b32 s16, 0
	s_mov_b32 s23, -1
	s_wait_loadcnt 0x0
	v_lshlrev_b32_e32 v1, 16, v1
	s_delay_alu instid0(VALU_DEP_1)
	v_cvt_f16_f32_e32 v14, v1
	s_branch .LBB190_2788
.LBB190_2783:
	s_mov_b32 s22, -1
	s_branch .LBB190_2787
.LBB190_2784:
	s_or_saveexec_b32 s23, s23
	v_mov_b32_e32 v14, 0x7e00
	s_xor_b32 exec_lo, exec_lo, s23
	s_cbranch_execz .LBB190_2765
.LBB190_2785:
	v_cmp_ne_u16_e32 vcc_lo, 0, v1
	v_mov_b32_e32 v14, v1
	s_and_not1_b32 s22, s22, exec_lo
	s_and_b32 s24, vcc_lo, exec_lo
	s_delay_alu instid0(SALU_CYCLE_1)
	s_or_b32 s22, s22, s24
	s_or_b32 exec_lo, exec_lo, s23
	s_and_saveexec_b32 s23, s22
	s_cbranch_execnz .LBB190_2766
	s_branch .LBB190_2767
.LBB190_2786:
	s_mov_b32 s16, -1
.LBB190_2787:
                                        ; implicit-def: $vgpr14
.LBB190_2788:
	s_and_b32 vcc_lo, exec_lo, s22
	s_mov_b32 s22, 0
	s_cbranch_vccz .LBB190_2790
; %bb.2789:
	s_cmp_lg_u32 s0, 11
	s_mov_b32 s22, -1
	s_cselect_b32 s16, -1, 0
.LBB190_2790:
	s_delay_alu instid0(SALU_CYCLE_1)
	s_and_b32 vcc_lo, exec_lo, s16
	s_cbranch_vccnz .LBB190_2855
; %bb.2791:
	s_and_not1_b32 vcc_lo, exec_lo, s22
	s_cbranch_vccnz .LBB190_2793
.LBB190_2792:
	global_load_u8 v1, v[6:7], off
	s_mov_b32 s23, -1
	s_wait_loadcnt 0x0
	v_cmp_ne_u16_e32 vcc_lo, 0, v1
	v_cndmask_b32_e64 v14, 0, 0x3c00, vcc_lo
.LBB190_2793:
	s_mov_b32 s16, 0
.LBB190_2794:
	s_delay_alu instid0(SALU_CYCLE_1)
	s_and_b32 vcc_lo, exec_lo, s16
	s_cbranch_vccz .LBB190_2843
; %bb.2795:
	s_cmp_lt_i32 s0, 5
	s_cbranch_scc1 .LBB190_2800
; %bb.2796:
	s_cmp_lt_i32 s0, 8
	s_cbranch_scc1 .LBB190_2801
	;; [unrolled: 3-line block ×3, first 2 shown]
; %bb.2798:
	s_cmp_gt_i32 s0, 9
	s_cbranch_scc0 .LBB190_2803
; %bb.2799:
	global_load_b64 v[14:15], v[6:7], off
	s_mov_b32 s16, 0
	s_wait_loadcnt 0x0
	v_and_or_b32 v1, 0x1ff, v15, v14
	v_lshrrev_b32_e32 v3, 8, v15
	v_bfe_u32 v5, v15, 20, 11
	s_delay_alu instid0(VALU_DEP_3) | instskip(NEXT) | instid1(VALU_DEP_2)
	v_cmp_ne_u32_e32 vcc_lo, 0, v1
	v_sub_nc_u32_e32 v14, 0x3f1, v5
	v_add_nc_u32_e32 v5, 0xfffffc10, v5
	v_cndmask_b32_e64 v1, 0, 1, vcc_lo
	s_delay_alu instid0(VALU_DEP_1) | instskip(NEXT) | instid1(VALU_DEP_4)
	v_and_or_b32 v1, 0xffe, v3, v1
	v_med3_i32 v3, v14, 0, 13
	s_delay_alu instid0(VALU_DEP_2) | instskip(NEXT) | instid1(VALU_DEP_1)
	v_or_b32_e32 v14, 0x1000, v1
	v_lshrrev_b32_e32 v16, v3, v14
	s_delay_alu instid0(VALU_DEP_1) | instskip(NEXT) | instid1(VALU_DEP_1)
	v_lshlrev_b32_e32 v3, v3, v16
	v_cmp_ne_u32_e32 vcc_lo, v3, v14
	v_lshl_or_b32 v14, v5, 12, v1
	v_cndmask_b32_e64 v3, 0, 1, vcc_lo
	v_cmp_gt_i32_e32 vcc_lo, 1, v5
	s_delay_alu instid0(VALU_DEP_2) | instskip(NEXT) | instid1(VALU_DEP_1)
	v_or_b32_e32 v3, v16, v3
	v_cndmask_b32_e32 v3, v14, v3, vcc_lo
	s_delay_alu instid0(VALU_DEP_1) | instskip(NEXT) | instid1(VALU_DEP_1)
	v_dual_lshrrev_b32 v3, 2, v3 :: v_dual_bitop2_b32 v14, 7, v3 bitop3:0x40
	v_cmp_lt_i32_e32 vcc_lo, 5, v14
	v_cndmask_b32_e64 v16, 0, 1, vcc_lo
	v_cmp_eq_u32_e32 vcc_lo, 3, v14
	v_cndmask_b32_e64 v14, 0, 1, vcc_lo
	v_cmp_ne_u32_e32 vcc_lo, 0, v1
	s_delay_alu instid0(VALU_DEP_2) | instskip(NEXT) | instid1(VALU_DEP_1)
	v_or_b32_e32 v14, v14, v16
	v_dual_mov_b32 v16, 0x7e00 :: v_dual_add_nc_u32 v3, v3, v14
	s_delay_alu instid0(VALU_DEP_1) | instskip(SKIP_1) | instid1(VALU_DEP_3)
	v_cndmask_b32_e32 v1, 0x7c00, v16, vcc_lo
	v_cmp_gt_i32_e32 vcc_lo, 31, v5
	v_cndmask_b32_e32 v3, 0x7c00, v3, vcc_lo
	v_cmp_eq_u32_e32 vcc_lo, 0x40f, v5
	s_delay_alu instid0(VALU_DEP_2) | instskip(NEXT) | instid1(VALU_DEP_1)
	v_dual_cndmask_b32 v1, v3, v1, vcc_lo :: v_dual_lshrrev_b32 v3, 16, v15
	v_and_or_b32 v14, 0x8000, v3, v1
	s_branch .LBB190_2804
.LBB190_2800:
	s_mov_b32 s16, -1
                                        ; implicit-def: $vgpr14
	s_branch .LBB190_2822
.LBB190_2801:
	s_mov_b32 s16, -1
                                        ; implicit-def: $vgpr14
	s_branch .LBB190_2810
.LBB190_2802:
	s_mov_b32 s16, -1
                                        ; implicit-def: $vgpr14
	s_branch .LBB190_2807
.LBB190_2803:
	s_mov_b32 s16, -1
                                        ; implicit-def: $vgpr14
.LBB190_2804:
	s_delay_alu instid0(SALU_CYCLE_1)
	s_and_not1_b32 vcc_lo, exec_lo, s16
	s_cbranch_vccnz .LBB190_2806
; %bb.2805:
	global_load_b32 v1, v[6:7], off
	s_wait_loadcnt 0x0
	v_cvt_f16_f32_e32 v14, v1
.LBB190_2806:
	s_mov_b32 s16, 0
.LBB190_2807:
	s_delay_alu instid0(SALU_CYCLE_1)
	s_and_not1_b32 vcc_lo, exec_lo, s16
	s_cbranch_vccnz .LBB190_2809
; %bb.2808:
	global_load_b32 v14, v[6:7], off
.LBB190_2809:
	s_mov_b32 s16, 0
.LBB190_2810:
	s_delay_alu instid0(SALU_CYCLE_1)
	s_and_not1_b32 vcc_lo, exec_lo, s16
	s_cbranch_vccnz .LBB190_2821
; %bb.2811:
	s_cmp_lt_i32 s0, 6
	s_cbranch_scc1 .LBB190_2814
; %bb.2812:
	s_cmp_gt_i32 s0, 6
	s_cbranch_scc0 .LBB190_2815
; %bb.2813:
	s_wait_loadcnt 0x0
	global_load_b64 v[14:15], v[6:7], off
	s_mov_b32 s16, 0
	s_wait_loadcnt 0x0
	v_and_or_b32 v1, 0x1ff, v15, v14
	v_lshrrev_b32_e32 v3, 8, v15
	v_bfe_u32 v5, v15, 20, 11
	s_delay_alu instid0(VALU_DEP_3) | instskip(NEXT) | instid1(VALU_DEP_2)
	v_cmp_ne_u32_e32 vcc_lo, 0, v1
	v_sub_nc_u32_e32 v14, 0x3f1, v5
	v_add_nc_u32_e32 v5, 0xfffffc10, v5
	v_cndmask_b32_e64 v1, 0, 1, vcc_lo
	s_delay_alu instid0(VALU_DEP_1) | instskip(NEXT) | instid1(VALU_DEP_4)
	v_and_or_b32 v1, 0xffe, v3, v1
	v_med3_i32 v3, v14, 0, 13
	s_delay_alu instid0(VALU_DEP_2) | instskip(NEXT) | instid1(VALU_DEP_1)
	v_or_b32_e32 v14, 0x1000, v1
	v_lshrrev_b32_e32 v16, v3, v14
	s_delay_alu instid0(VALU_DEP_1) | instskip(NEXT) | instid1(VALU_DEP_1)
	v_lshlrev_b32_e32 v3, v3, v16
	v_cmp_ne_u32_e32 vcc_lo, v3, v14
	v_lshl_or_b32 v14, v5, 12, v1
	v_cndmask_b32_e64 v3, 0, 1, vcc_lo
	v_cmp_gt_i32_e32 vcc_lo, 1, v5
	s_delay_alu instid0(VALU_DEP_2) | instskip(NEXT) | instid1(VALU_DEP_1)
	v_or_b32_e32 v3, v16, v3
	v_cndmask_b32_e32 v3, v14, v3, vcc_lo
	s_delay_alu instid0(VALU_DEP_1) | instskip(NEXT) | instid1(VALU_DEP_1)
	v_dual_lshrrev_b32 v3, 2, v3 :: v_dual_bitop2_b32 v14, 7, v3 bitop3:0x40
	v_cmp_lt_i32_e32 vcc_lo, 5, v14
	v_cndmask_b32_e64 v16, 0, 1, vcc_lo
	v_cmp_eq_u32_e32 vcc_lo, 3, v14
	v_cndmask_b32_e64 v14, 0, 1, vcc_lo
	v_cmp_ne_u32_e32 vcc_lo, 0, v1
	s_delay_alu instid0(VALU_DEP_2) | instskip(NEXT) | instid1(VALU_DEP_1)
	v_or_b32_e32 v14, v14, v16
	v_dual_mov_b32 v16, 0x7e00 :: v_dual_add_nc_u32 v3, v3, v14
	s_delay_alu instid0(VALU_DEP_1) | instskip(SKIP_1) | instid1(VALU_DEP_3)
	v_cndmask_b32_e32 v1, 0x7c00, v16, vcc_lo
	v_cmp_gt_i32_e32 vcc_lo, 31, v5
	v_cndmask_b32_e32 v3, 0x7c00, v3, vcc_lo
	v_cmp_eq_u32_e32 vcc_lo, 0x40f, v5
	s_delay_alu instid0(VALU_DEP_2) | instskip(NEXT) | instid1(VALU_DEP_1)
	v_dual_cndmask_b32 v1, v3, v1, vcc_lo :: v_dual_lshrrev_b32 v3, 16, v15
	v_and_or_b32 v14, 0x8000, v3, v1
	s_branch .LBB190_2816
.LBB190_2814:
	s_mov_b32 s16, -1
                                        ; implicit-def: $vgpr14
	s_branch .LBB190_2819
.LBB190_2815:
	s_mov_b32 s16, -1
                                        ; implicit-def: $vgpr14
.LBB190_2816:
	s_delay_alu instid0(SALU_CYCLE_1)
	s_and_not1_b32 vcc_lo, exec_lo, s16
	s_cbranch_vccnz .LBB190_2818
; %bb.2817:
	global_load_b32 v1, v[6:7], off
	s_wait_loadcnt 0x0
	v_cvt_f16_f32_e32 v14, v1
.LBB190_2818:
	s_mov_b32 s16, 0
.LBB190_2819:
	s_delay_alu instid0(SALU_CYCLE_1)
	s_and_not1_b32 vcc_lo, exec_lo, s16
	s_cbranch_vccnz .LBB190_2821
; %bb.2820:
	s_wait_loadcnt 0x0
	global_load_u16 v14, v[6:7], off
.LBB190_2821:
	s_mov_b32 s16, 0
.LBB190_2822:
	s_delay_alu instid0(SALU_CYCLE_1)
	s_and_not1_b32 vcc_lo, exec_lo, s16
	s_cbranch_vccnz .LBB190_2842
; %bb.2823:
	s_cmp_lt_i32 s0, 2
	s_cbranch_scc1 .LBB190_2827
; %bb.2824:
	s_cmp_lt_i32 s0, 3
	s_cbranch_scc1 .LBB190_2828
; %bb.2825:
	s_cmp_gt_i32 s0, 3
	s_cbranch_scc0 .LBB190_2829
; %bb.2826:
	s_wait_loadcnt 0x0
	global_load_b64 v[14:15], v[6:7], off
	s_mov_b32 s16, 0
	s_wait_loadcnt 0x0
	v_xor_b32_e32 v1, v14, v15
	v_cls_i32_e32 v3, v15
	s_delay_alu instid0(VALU_DEP_2) | instskip(NEXT) | instid1(VALU_DEP_1)
	v_ashrrev_i32_e32 v1, 31, v1
	v_add_nc_u32_e32 v1, 32, v1
	s_delay_alu instid0(VALU_DEP_1) | instskip(NEXT) | instid1(VALU_DEP_1)
	v_add_min_u32_e64 v1, v3, -1, v1
	v_lshlrev_b64_e32 v[14:15], v1, v[14:15]
	v_sub_nc_u32_e32 v1, 32, v1
	s_delay_alu instid0(VALU_DEP_2) | instskip(NEXT) | instid1(VALU_DEP_1)
	v_min_u32_e32 v3, 1, v14
	v_or_b32_e32 v3, v15, v3
	s_delay_alu instid0(VALU_DEP_1) | instskip(NEXT) | instid1(VALU_DEP_1)
	v_cvt_f32_i32_e32 v3, v3
	v_ldexp_f32 v1, v3, v1
	s_delay_alu instid0(VALU_DEP_1)
	v_cvt_f16_f32_e32 v14, v1
	s_branch .LBB190_2830
.LBB190_2827:
	s_mov_b32 s16, -1
                                        ; implicit-def: $vgpr14
	s_branch .LBB190_2836
.LBB190_2828:
	s_mov_b32 s16, -1
                                        ; implicit-def: $vgpr14
	s_branch .LBB190_2833
.LBB190_2829:
	s_mov_b32 s16, -1
                                        ; implicit-def: $vgpr14
.LBB190_2830:
	s_delay_alu instid0(SALU_CYCLE_1)
	s_and_not1_b32 vcc_lo, exec_lo, s16
	s_cbranch_vccnz .LBB190_2832
; %bb.2831:
	global_load_b32 v1, v[6:7], off
	s_wait_loadcnt 0x0
	v_cvt_f32_i32_e32 v1, v1
	s_delay_alu instid0(VALU_DEP_1)
	v_cvt_f16_f32_e32 v14, v1
.LBB190_2832:
	s_mov_b32 s16, 0
.LBB190_2833:
	s_delay_alu instid0(SALU_CYCLE_1)
	s_and_not1_b32 vcc_lo, exec_lo, s16
	s_cbranch_vccnz .LBB190_2835
; %bb.2834:
	global_load_u16 v1, v[6:7], off
	s_wait_loadcnt 0x0
	v_cvt_f16_i16_e32 v14, v1
.LBB190_2835:
	s_mov_b32 s16, 0
.LBB190_2836:
	s_delay_alu instid0(SALU_CYCLE_1)
	s_and_not1_b32 vcc_lo, exec_lo, s16
	s_cbranch_vccnz .LBB190_2842
; %bb.2837:
	s_cmp_gt_i32 s0, 0
	s_mov_b32 s16, 0
	s_cbranch_scc0 .LBB190_2839
; %bb.2838:
	global_load_i8 v1, v[6:7], off
	s_wait_loadcnt 0x0
	v_cvt_f16_i16_e32 v14, v1
	s_branch .LBB190_2840
.LBB190_2839:
	s_mov_b32 s16, -1
                                        ; implicit-def: $vgpr14
.LBB190_2840:
	s_delay_alu instid0(SALU_CYCLE_1)
	s_and_not1_b32 vcc_lo, exec_lo, s16
	s_cbranch_vccnz .LBB190_2842
; %bb.2841:
	global_load_u8 v1, v[6:7], off
	s_wait_loadcnt 0x0
	v_cvt_f16_u16_e32 v14, v1
.LBB190_2842:
	s_mov_b32 s23, -1
.LBB190_2843:
	s_delay_alu instid0(SALU_CYCLE_1)
	s_and_not1_b32 vcc_lo, exec_lo, s23
	s_cbranch_vccnz .LBB190_4065
; %bb.2844:
	v_add_nc_u32_e32 v0, s13, v0
	s_cmp_lt_i32 s19, 11
	s_delay_alu instid0(VALU_DEP_1) | instskip(SKIP_1) | instid1(VALU_DEP_1)
	v_ashrrev_i32_e32 v1, 31, v0
	s_wait_xcnt 0x0
	v_add_nc_u64_e32 v[6:7], s[6:7], v[0:1]
	s_cbranch_scc1 .LBB190_2851
; %bb.2845:
	s_and_b32 s16, 0xffff, s19
	s_mov_b32 s23, 0
	s_cmp_gt_i32 s16, 25
	s_cbranch_scc0 .LBB190_2852
; %bb.2846:
	s_cmp_gt_i32 s16, 28
	s_cbranch_scc0 .LBB190_2853
; %bb.2847:
	;; [unrolled: 3-line block ×4, first 2 shown]
	s_cmp_eq_u32 s16, 46
	s_mov_b32 s25, 0
	s_cbranch_scc0 .LBB190_2859
; %bb.2850:
	global_load_b32 v1, v[6:7], off
	s_mov_b32 s22, 0
	s_mov_b32 s24, -1
	s_wait_loadcnt 0x0
	v_lshlrev_b32_e32 v1, 16, v1
	s_delay_alu instid0(VALU_DEP_1)
	v_cvt_f16_f32_e32 v15, v1
	s_branch .LBB190_2861
.LBB190_2851:
	s_mov_b32 s16, -1
	s_mov_b32 s24, 0
                                        ; implicit-def: $vgpr15
	s_branch .LBB190_2927
.LBB190_2852:
	s_mov_b32 s25, -1
	s_mov_b32 s24, 0
	s_mov_b32 s22, 0
                                        ; implicit-def: $vgpr15
	s_branch .LBB190_2890
.LBB190_2853:
	s_mov_b32 s25, -1
	s_mov_b32 s24, 0
	s_mov_b32 s22, 0
                                        ; implicit-def: $vgpr15
	s_branch .LBB190_2871
.LBB190_2854:
	s_mov_b32 s25, -1
	s_mov_b32 s24, 0
	s_mov_b32 s22, 0
                                        ; implicit-def: $vgpr15
	s_branch .LBB190_2866
.LBB190_2855:
	s_or_b32 s18, s18, exec_lo
	s_trap 2
	s_cbranch_execz .LBB190_2792
	s_branch .LBB190_2793
.LBB190_2856:
	s_mov_b32 s25, -1
	s_mov_b32 s24, 0
	s_mov_b32 s22, 0
	s_branch .LBB190_2860
.LBB190_2857:
	s_and_not1_saveexec_b32 s41, s41
	s_cbranch_execz .LBB190_1477
.LBB190_2858:
	v_add_f32_e64 v4, 0x42800000, |v2|
	s_and_not1_b32 s40, s40, exec_lo
	s_delay_alu instid0(VALU_DEP_1) | instskip(NEXT) | instid1(VALU_DEP_1)
	v_and_b32_e32 v4, 0xff, v4
	v_cmp_ne_u32_e32 vcc_lo, 0, v4
	s_and_b32 s42, vcc_lo, exec_lo
	s_delay_alu instid0(SALU_CYCLE_1)
	s_or_b32 s40, s40, s42
	s_or_b32 exec_lo, exec_lo, s41
	v_mov_b32_e32 v5, 0
	s_and_saveexec_b32 s41, s40
	s_cbranch_execnz .LBB190_1478
	s_branch .LBB190_1479
.LBB190_2859:
	s_mov_b32 s22, -1
	s_mov_b32 s24, 0
.LBB190_2860:
                                        ; implicit-def: $vgpr15
.LBB190_2861:
	s_and_b32 vcc_lo, exec_lo, s25
	s_cbranch_vccz .LBB190_2865
; %bb.2862:
	s_cmp_eq_u32 s16, 44
	s_cbranch_scc0 .LBB190_2864
; %bb.2863:
	global_load_u8 v1, v[6:7], off
	s_mov_b32 s22, 0
	s_mov_b32 s24, -1
	s_wait_loadcnt 0x0
	v_lshlrev_b32_e32 v3, 23, v1
	v_cmp_ne_u32_e32 vcc_lo, 0xff, v1
	s_delay_alu instid0(VALU_DEP_2) | instskip(NEXT) | instid1(VALU_DEP_1)
	v_cvt_f16_f32_e32 v3, v3
	v_cndmask_b32_e32 v3, 0x7e00, v3, vcc_lo
	v_cmp_ne_u32_e32 vcc_lo, 0, v1
	s_delay_alu instid0(VALU_DEP_2)
	v_cndmask_b32_e32 v15, 0, v3, vcc_lo
	s_branch .LBB190_2865
.LBB190_2864:
	s_mov_b32 s22, -1
                                        ; implicit-def: $vgpr15
.LBB190_2865:
	s_mov_b32 s25, 0
.LBB190_2866:
	s_delay_alu instid0(SALU_CYCLE_1)
	s_and_b32 vcc_lo, exec_lo, s25
	s_cbranch_vccz .LBB190_2870
; %bb.2867:
	s_cmp_eq_u32 s16, 29
	s_cbranch_scc0 .LBB190_2869
; %bb.2868:
	global_load_b64 v[16:17], v[6:7], off
	s_mov_b32 s22, 0
	s_mov_b32 s24, -1
	s_mov_b32 s25, 0
	s_wait_loadcnt 0x0
	v_clz_i32_u32_e32 v1, v17
	s_delay_alu instid0(VALU_DEP_1) | instskip(NEXT) | instid1(VALU_DEP_1)
	v_min_u32_e32 v1, 32, v1
	v_lshlrev_b64_e32 v[16:17], v1, v[16:17]
	v_sub_nc_u32_e32 v1, 32, v1
	s_delay_alu instid0(VALU_DEP_2) | instskip(NEXT) | instid1(VALU_DEP_1)
	v_min_u32_e32 v3, 1, v16
	v_or_b32_e32 v3, v17, v3
	s_delay_alu instid0(VALU_DEP_1) | instskip(NEXT) | instid1(VALU_DEP_1)
	v_cvt_f32_u32_e32 v3, v3
	v_ldexp_f32 v1, v3, v1
	s_delay_alu instid0(VALU_DEP_1)
	v_cvt_f16_f32_e32 v15, v1
	s_branch .LBB190_2871
.LBB190_2869:
	s_mov_b32 s22, -1
                                        ; implicit-def: $vgpr15
.LBB190_2870:
	s_mov_b32 s25, 0
.LBB190_2871:
	s_delay_alu instid0(SALU_CYCLE_1)
	s_and_b32 vcc_lo, exec_lo, s25
	s_cbranch_vccz .LBB190_2889
; %bb.2872:
	s_cmp_lt_i32 s16, 27
	s_cbranch_scc1 .LBB190_2875
; %bb.2873:
	s_cmp_gt_i32 s16, 27
	s_cbranch_scc0 .LBB190_2876
; %bb.2874:
	global_load_b32 v1, v[6:7], off
	s_mov_b32 s24, 0
	s_wait_loadcnt 0x0
	v_cvt_f32_u32_e32 v1, v1
	s_delay_alu instid0(VALU_DEP_1)
	v_cvt_f16_f32_e32 v15, v1
	s_branch .LBB190_2877
.LBB190_2875:
	s_mov_b32 s24, -1
                                        ; implicit-def: $vgpr15
	s_branch .LBB190_2880
.LBB190_2876:
	s_mov_b32 s24, -1
                                        ; implicit-def: $vgpr15
.LBB190_2877:
	s_delay_alu instid0(SALU_CYCLE_1)
	s_and_not1_b32 vcc_lo, exec_lo, s24
	s_cbranch_vccnz .LBB190_2879
; %bb.2878:
	global_load_u16 v1, v[6:7], off
	s_wait_loadcnt 0x0
	v_cvt_f16_u16_e32 v15, v1
.LBB190_2879:
	s_mov_b32 s24, 0
.LBB190_2880:
	s_delay_alu instid0(SALU_CYCLE_1)
	s_and_not1_b32 vcc_lo, exec_lo, s24
	s_cbranch_vccnz .LBB190_2888
; %bb.2881:
	global_load_u8 v1, v[6:7], off
	s_mov_b32 s24, 0
	s_mov_b32 s25, exec_lo
	s_wait_loadcnt 0x0
	v_cmpx_lt_i16_e32 0x7f, v1
	s_xor_b32 s25, exec_lo, s25
	s_cbranch_execz .LBB190_2902
; %bb.2882:
	s_mov_b32 s24, -1
	s_mov_b32 s26, exec_lo
	v_cmpx_eq_u16_e32 0x80, v1
; %bb.2883:
	s_xor_b32 s24, exec_lo, -1
; %bb.2884:
	s_or_b32 exec_lo, exec_lo, s26
	s_delay_alu instid0(SALU_CYCLE_1)
	s_and_b32 s24, s24, exec_lo
	s_or_saveexec_b32 s25, s25
	v_mov_b32_e32 v15, 0x7e00
	s_xor_b32 exec_lo, exec_lo, s25
	s_cbranch_execnz .LBB190_2903
.LBB190_2885:
	s_or_b32 exec_lo, exec_lo, s25
	s_and_saveexec_b32 s25, s24
	s_cbranch_execz .LBB190_2887
.LBB190_2886:
	v_and_b32_e32 v3, 0xffff, v1
	s_delay_alu instid0(VALU_DEP_1) | instskip(SKIP_1) | instid1(VALU_DEP_2)
	v_dual_lshlrev_b32 v1, 24, v1 :: v_dual_bitop2_b32 v5, 7, v3 bitop3:0x40
	v_bfe_u32 v17, v3, 3, 4
	v_and_b32_e32 v1, 0x80000000, v1
	s_delay_alu instid0(VALU_DEP_3) | instskip(NEXT) | instid1(VALU_DEP_3)
	v_clz_i32_u32_e32 v15, v5
	v_cmp_eq_u32_e32 vcc_lo, 0, v17
	s_delay_alu instid0(VALU_DEP_2) | instskip(NEXT) | instid1(VALU_DEP_1)
	v_min_u32_e32 v15, 32, v15
	v_subrev_nc_u32_e32 v16, 28, v15
	v_sub_nc_u32_e32 v15, 29, v15
	s_delay_alu instid0(VALU_DEP_2) | instskip(NEXT) | instid1(VALU_DEP_2)
	v_lshlrev_b32_e32 v3, v16, v3
	v_cndmask_b32_e32 v15, v17, v15, vcc_lo
	s_delay_alu instid0(VALU_DEP_2) | instskip(NEXT) | instid1(VALU_DEP_1)
	v_and_b32_e32 v3, 7, v3
	v_cndmask_b32_e32 v3, v5, v3, vcc_lo
	s_delay_alu instid0(VALU_DEP_3) | instskip(NEXT) | instid1(VALU_DEP_2)
	v_lshl_add_u32 v5, v15, 23, 0x3b800000
	v_lshlrev_b32_e32 v3, 20, v3
	s_delay_alu instid0(VALU_DEP_1) | instskip(NEXT) | instid1(VALU_DEP_1)
	v_or3_b32 v1, v1, v5, v3
	v_cvt_f16_f32_e32 v15, v1
.LBB190_2887:
	s_or_b32 exec_lo, exec_lo, s25
.LBB190_2888:
	s_mov_b32 s24, -1
.LBB190_2889:
	s_mov_b32 s25, 0
.LBB190_2890:
	s_delay_alu instid0(SALU_CYCLE_1)
	s_and_b32 vcc_lo, exec_lo, s25
	s_cbranch_vccz .LBB190_2923
; %bb.2891:
	s_cmp_gt_i32 s16, 22
	s_cbranch_scc0 .LBB190_2901
; %bb.2892:
	s_cmp_lt_i32 s16, 24
	s_cbranch_scc1 .LBB190_2904
; %bb.2893:
	s_cmp_gt_i32 s16, 24
	s_cbranch_scc0 .LBB190_2905
; %bb.2894:
	global_load_u8 v1, v[6:7], off
	s_mov_b32 s24, exec_lo
	s_wait_loadcnt 0x0
	v_cmpx_lt_i16_e32 0x7f, v1
	s_xor_b32 s24, exec_lo, s24
	s_cbranch_execz .LBB190_2917
; %bb.2895:
	s_mov_b32 s23, -1
	s_mov_b32 s25, exec_lo
	v_cmpx_eq_u16_e32 0x80, v1
; %bb.2896:
	s_xor_b32 s23, exec_lo, -1
; %bb.2897:
	s_or_b32 exec_lo, exec_lo, s25
	s_delay_alu instid0(SALU_CYCLE_1)
	s_and_b32 s23, s23, exec_lo
	s_or_saveexec_b32 s24, s24
	v_mov_b32_e32 v15, 0x7e00
	s_xor_b32 exec_lo, exec_lo, s24
	s_cbranch_execnz .LBB190_2918
.LBB190_2898:
	s_or_b32 exec_lo, exec_lo, s24
	s_and_saveexec_b32 s24, s23
	s_cbranch_execz .LBB190_2900
.LBB190_2899:
	v_and_b32_e32 v3, 0xffff, v1
	s_delay_alu instid0(VALU_DEP_1) | instskip(SKIP_1) | instid1(VALU_DEP_2)
	v_dual_lshlrev_b32 v1, 24, v1 :: v_dual_bitop2_b32 v5, 3, v3 bitop3:0x40
	v_bfe_u32 v17, v3, 2, 5
	v_and_b32_e32 v1, 0x80000000, v1
	s_delay_alu instid0(VALU_DEP_3) | instskip(NEXT) | instid1(VALU_DEP_3)
	v_clz_i32_u32_e32 v15, v5
	v_cmp_eq_u32_e32 vcc_lo, 0, v17
	s_delay_alu instid0(VALU_DEP_2) | instskip(NEXT) | instid1(VALU_DEP_1)
	v_min_u32_e32 v15, 32, v15
	v_subrev_nc_u32_e32 v16, 29, v15
	v_sub_nc_u32_e32 v15, 30, v15
	s_delay_alu instid0(VALU_DEP_2) | instskip(NEXT) | instid1(VALU_DEP_2)
	v_lshlrev_b32_e32 v3, v16, v3
	v_cndmask_b32_e32 v15, v17, v15, vcc_lo
	s_delay_alu instid0(VALU_DEP_2) | instskip(NEXT) | instid1(VALU_DEP_1)
	v_and_b32_e32 v3, 3, v3
	v_cndmask_b32_e32 v3, v5, v3, vcc_lo
	s_delay_alu instid0(VALU_DEP_3) | instskip(NEXT) | instid1(VALU_DEP_2)
	v_lshl_add_u32 v5, v15, 23, 0x37800000
	v_lshlrev_b32_e32 v3, 21, v3
	s_delay_alu instid0(VALU_DEP_1) | instskip(NEXT) | instid1(VALU_DEP_1)
	v_or3_b32 v1, v1, v5, v3
	v_cvt_f16_f32_e32 v15, v1
.LBB190_2900:
	s_or_b32 exec_lo, exec_lo, s24
	s_mov_b32 s23, 0
	s_branch .LBB190_2906
.LBB190_2901:
	s_mov_b32 s23, -1
                                        ; implicit-def: $vgpr15
	s_branch .LBB190_2912
.LBB190_2902:
	s_or_saveexec_b32 s25, s25
	v_mov_b32_e32 v15, 0x7e00
	s_xor_b32 exec_lo, exec_lo, s25
	s_cbranch_execz .LBB190_2885
.LBB190_2903:
	v_cmp_ne_u16_e32 vcc_lo, 0, v1
	v_mov_b32_e32 v15, v1
	s_and_not1_b32 s24, s24, exec_lo
	s_and_b32 s26, vcc_lo, exec_lo
	s_delay_alu instid0(SALU_CYCLE_1)
	s_or_b32 s24, s24, s26
	s_or_b32 exec_lo, exec_lo, s25
	s_and_saveexec_b32 s25, s24
	s_cbranch_execnz .LBB190_2886
	s_branch .LBB190_2887
.LBB190_2904:
	s_mov_b32 s23, -1
                                        ; implicit-def: $vgpr15
	s_branch .LBB190_2909
.LBB190_2905:
	s_mov_b32 s23, -1
                                        ; implicit-def: $vgpr15
.LBB190_2906:
	s_delay_alu instid0(SALU_CYCLE_1)
	s_and_b32 vcc_lo, exec_lo, s23
	s_cbranch_vccz .LBB190_2908
; %bb.2907:
	global_load_u8 v1, v[6:7], off
	s_wait_loadcnt 0x0
	v_lshlrev_b32_e32 v1, 24, v1
	s_delay_alu instid0(VALU_DEP_1) | instskip(NEXT) | instid1(VALU_DEP_1)
	v_and_b32_e32 v3, 0x7f000000, v1
	v_clz_i32_u32_e32 v5, v3
	v_cmp_ne_u32_e32 vcc_lo, 0, v3
	v_add_nc_u32_e32 v16, 0x1000000, v3
	s_delay_alu instid0(VALU_DEP_3) | instskip(NEXT) | instid1(VALU_DEP_1)
	v_min_u32_e32 v5, 32, v5
	v_sub_nc_u32_e64 v5, v5, 4 clamp
	s_delay_alu instid0(VALU_DEP_1) | instskip(NEXT) | instid1(VALU_DEP_1)
	v_dual_lshlrev_b32 v15, v5, v3 :: v_dual_lshlrev_b32 v5, 23, v5
	v_lshrrev_b32_e32 v15, 4, v15
	s_delay_alu instid0(VALU_DEP_1) | instskip(NEXT) | instid1(VALU_DEP_1)
	v_dual_sub_nc_u32 v5, v15, v5 :: v_dual_ashrrev_i32 v15, 8, v16
	v_add_nc_u32_e32 v5, 0x3c000000, v5
	s_delay_alu instid0(VALU_DEP_1) | instskip(NEXT) | instid1(VALU_DEP_1)
	v_and_or_b32 v5, 0x7f800000, v15, v5
	v_cndmask_b32_e32 v3, 0, v5, vcc_lo
	s_delay_alu instid0(VALU_DEP_1) | instskip(NEXT) | instid1(VALU_DEP_1)
	v_and_or_b32 v1, 0x80000000, v1, v3
	v_cvt_f16_f32_e32 v15, v1
.LBB190_2908:
	s_mov_b32 s23, 0
.LBB190_2909:
	s_delay_alu instid0(SALU_CYCLE_1)
	s_and_not1_b32 vcc_lo, exec_lo, s23
	s_cbranch_vccnz .LBB190_2911
; %bb.2910:
	global_load_u8 v1, v[6:7], off
	s_wait_loadcnt 0x0
	v_lshlrev_b32_e32 v3, 25, v1
	v_lshlrev_b16 v1, 8, v1
	s_delay_alu instid0(VALU_DEP_1) | instskip(SKIP_1) | instid1(VALU_DEP_2)
	v_and_or_b32 v15, 0x7f00, v1, 0.5
	v_bfe_i32 v1, v1, 0, 16
	v_add_f32_e32 v15, -0.5, v15
	v_lshrrev_b32_e32 v5, 4, v3
	v_cmp_gt_u32_e32 vcc_lo, 0x8000000, v3
	s_delay_alu instid0(VALU_DEP_2) | instskip(NEXT) | instid1(VALU_DEP_1)
	v_or_b32_e32 v5, 0x70000000, v5
	v_mul_f32_e32 v5, 0x7800000, v5
	s_delay_alu instid0(VALU_DEP_1) | instskip(NEXT) | instid1(VALU_DEP_1)
	v_cndmask_b32_e32 v3, v5, v15, vcc_lo
	v_and_or_b32 v1, 0x80000000, v1, v3
	s_delay_alu instid0(VALU_DEP_1)
	v_cvt_f16_f32_e32 v15, v1
.LBB190_2911:
	s_mov_b32 s23, 0
	s_mov_b32 s24, -1
.LBB190_2912:
	s_and_not1_b32 vcc_lo, exec_lo, s23
	s_mov_b32 s23, 0
	s_cbranch_vccnz .LBB190_2923
; %bb.2913:
	s_cmp_gt_i32 s16, 14
	s_cbranch_scc0 .LBB190_2916
; %bb.2914:
	s_cmp_eq_u32 s16, 15
	s_cbranch_scc0 .LBB190_2919
; %bb.2915:
	global_load_u16 v1, v[6:7], off
	s_mov_b32 s22, 0
	s_mov_b32 s24, -1
	s_wait_loadcnt 0x0
	v_lshlrev_b32_e32 v1, 16, v1
	s_delay_alu instid0(VALU_DEP_1)
	v_cvt_f16_f32_e32 v15, v1
	s_branch .LBB190_2921
.LBB190_2916:
	s_mov_b32 s23, -1
	s_branch .LBB190_2920
.LBB190_2917:
	s_or_saveexec_b32 s24, s24
	v_mov_b32_e32 v15, 0x7e00
	s_xor_b32 exec_lo, exec_lo, s24
	s_cbranch_execz .LBB190_2898
.LBB190_2918:
	v_cmp_ne_u16_e32 vcc_lo, 0, v1
	v_mov_b32_e32 v15, v1
	s_and_not1_b32 s23, s23, exec_lo
	s_and_b32 s25, vcc_lo, exec_lo
	s_delay_alu instid0(SALU_CYCLE_1)
	s_or_b32 s23, s23, s25
	s_or_b32 exec_lo, exec_lo, s24
	s_and_saveexec_b32 s24, s23
	s_cbranch_execnz .LBB190_2899
	s_branch .LBB190_2900
.LBB190_2919:
	s_mov_b32 s22, -1
.LBB190_2920:
                                        ; implicit-def: $vgpr15
.LBB190_2921:
	s_and_b32 vcc_lo, exec_lo, s23
	s_mov_b32 s23, 0
	s_cbranch_vccz .LBB190_2923
; %bb.2922:
	s_cmp_lg_u32 s16, 11
	s_mov_b32 s23, -1
	s_cselect_b32 s22, -1, 0
.LBB190_2923:
	s_delay_alu instid0(SALU_CYCLE_1)
	s_and_b32 vcc_lo, exec_lo, s22
	s_cbranch_vccnz .LBB190_2988
; %bb.2924:
	s_and_not1_b32 vcc_lo, exec_lo, s23
	s_cbranch_vccnz .LBB190_2926
.LBB190_2925:
	global_load_u8 v1, v[6:7], off
	s_mov_b32 s24, -1
	s_wait_loadcnt 0x0
	v_cmp_ne_u16_e32 vcc_lo, 0, v1
	v_cndmask_b32_e64 v15, 0, 0x3c00, vcc_lo
.LBB190_2926:
	s_mov_b32 s16, 0
.LBB190_2927:
	s_delay_alu instid0(SALU_CYCLE_1)
	s_and_b32 vcc_lo, exec_lo, s16
	s_cbranch_vccz .LBB190_2976
; %bb.2928:
	s_and_b32 s16, 0xffff, s19
	s_delay_alu instid0(SALU_CYCLE_1)
	s_cmp_lt_i32 s16, 5
	s_cbranch_scc1 .LBB190_2933
; %bb.2929:
	s_cmp_lt_i32 s16, 8
	s_cbranch_scc1 .LBB190_2934
; %bb.2930:
	;; [unrolled: 3-line block ×3, first 2 shown]
	s_cmp_gt_i32 s16, 9
	s_cbranch_scc0 .LBB190_2936
; %bb.2932:
	global_load_b64 v[16:17], v[6:7], off
	s_mov_b32 s22, 0
	s_wait_loadcnt 0x0
	v_and_or_b32 v1, 0x1ff, v17, v16
	v_lshrrev_b32_e32 v3, 8, v17
	v_bfe_u32 v5, v17, 20, 11
	s_delay_alu instid0(VALU_DEP_3) | instskip(NEXT) | instid1(VALU_DEP_2)
	v_cmp_ne_u32_e32 vcc_lo, 0, v1
	v_sub_nc_u32_e32 v15, 0x3f1, v5
	v_add_nc_u32_e32 v5, 0xfffffc10, v5
	v_cndmask_b32_e64 v1, 0, 1, vcc_lo
	s_delay_alu instid0(VALU_DEP_1) | instskip(NEXT) | instid1(VALU_DEP_4)
	v_and_or_b32 v1, 0xffe, v3, v1
	v_med3_i32 v3, v15, 0, 13
	s_delay_alu instid0(VALU_DEP_2) | instskip(NEXT) | instid1(VALU_DEP_1)
	v_or_b32_e32 v15, 0x1000, v1
	v_lshrrev_b32_e32 v16, v3, v15
	s_delay_alu instid0(VALU_DEP_1) | instskip(NEXT) | instid1(VALU_DEP_1)
	v_lshlrev_b32_e32 v3, v3, v16
	v_cmp_ne_u32_e32 vcc_lo, v3, v15
	v_lshl_or_b32 v15, v5, 12, v1
	v_cndmask_b32_e64 v3, 0, 1, vcc_lo
	v_cmp_gt_i32_e32 vcc_lo, 1, v5
	s_delay_alu instid0(VALU_DEP_2) | instskip(NEXT) | instid1(VALU_DEP_1)
	v_or_b32_e32 v3, v16, v3
	v_cndmask_b32_e32 v3, v15, v3, vcc_lo
	s_delay_alu instid0(VALU_DEP_1) | instskip(NEXT) | instid1(VALU_DEP_1)
	v_dual_lshrrev_b32 v3, 2, v3 :: v_dual_bitop2_b32 v15, 7, v3 bitop3:0x40
	v_cmp_lt_i32_e32 vcc_lo, 5, v15
	v_cndmask_b32_e64 v16, 0, 1, vcc_lo
	v_cmp_eq_u32_e32 vcc_lo, 3, v15
	v_cndmask_b32_e64 v15, 0, 1, vcc_lo
	v_cmp_ne_u32_e32 vcc_lo, 0, v1
	s_delay_alu instid0(VALU_DEP_2) | instskip(NEXT) | instid1(VALU_DEP_1)
	v_or_b32_e32 v15, v15, v16
	v_dual_mov_b32 v16, 0x7e00 :: v_dual_add_nc_u32 v3, v3, v15
	s_delay_alu instid0(VALU_DEP_1) | instskip(SKIP_1) | instid1(VALU_DEP_3)
	v_cndmask_b32_e32 v1, 0x7c00, v16, vcc_lo
	v_cmp_gt_i32_e32 vcc_lo, 31, v5
	v_cndmask_b32_e32 v3, 0x7c00, v3, vcc_lo
	v_cmp_eq_u32_e32 vcc_lo, 0x40f, v5
	s_delay_alu instid0(VALU_DEP_2) | instskip(SKIP_1) | instid1(VALU_DEP_1)
	v_cndmask_b32_e32 v1, v3, v1, vcc_lo
	v_lshrrev_b32_e32 v3, 16, v17
	v_and_or_b32 v15, 0x8000, v3, v1
	s_branch .LBB190_2937
.LBB190_2933:
	s_mov_b32 s22, -1
                                        ; implicit-def: $vgpr15
	s_branch .LBB190_2955
.LBB190_2934:
	s_mov_b32 s22, -1
                                        ; implicit-def: $vgpr15
	s_branch .LBB190_2943
.LBB190_2935:
	s_mov_b32 s22, -1
                                        ; implicit-def: $vgpr15
	s_branch .LBB190_2940
.LBB190_2936:
	s_mov_b32 s22, -1
                                        ; implicit-def: $vgpr15
.LBB190_2937:
	s_delay_alu instid0(SALU_CYCLE_1)
	s_and_not1_b32 vcc_lo, exec_lo, s22
	s_cbranch_vccnz .LBB190_2939
; %bb.2938:
	global_load_b32 v1, v[6:7], off
	s_wait_loadcnt 0x0
	v_cvt_f16_f32_e32 v15, v1
.LBB190_2939:
	s_mov_b32 s22, 0
.LBB190_2940:
	s_delay_alu instid0(SALU_CYCLE_1)
	s_and_not1_b32 vcc_lo, exec_lo, s22
	s_cbranch_vccnz .LBB190_2942
; %bb.2941:
	global_load_b32 v15, v[6:7], off
.LBB190_2942:
	s_mov_b32 s22, 0
.LBB190_2943:
	s_delay_alu instid0(SALU_CYCLE_1)
	s_and_not1_b32 vcc_lo, exec_lo, s22
	s_cbranch_vccnz .LBB190_2954
; %bb.2944:
	s_cmp_lt_i32 s16, 6
	s_cbranch_scc1 .LBB190_2947
; %bb.2945:
	s_cmp_gt_i32 s16, 6
	s_cbranch_scc0 .LBB190_2948
; %bb.2946:
	global_load_b64 v[16:17], v[6:7], off
	s_mov_b32 s22, 0
	s_wait_loadcnt 0x0
	v_and_or_b32 v1, 0x1ff, v17, v16
	v_lshrrev_b32_e32 v3, 8, v17
	v_bfe_u32 v5, v17, 20, 11
	s_delay_alu instid0(VALU_DEP_3) | instskip(NEXT) | instid1(VALU_DEP_2)
	v_cmp_ne_u32_e32 vcc_lo, 0, v1
	v_sub_nc_u32_e32 v15, 0x3f1, v5
	v_add_nc_u32_e32 v5, 0xfffffc10, v5
	v_cndmask_b32_e64 v1, 0, 1, vcc_lo
	s_delay_alu instid0(VALU_DEP_1) | instskip(NEXT) | instid1(VALU_DEP_4)
	v_and_or_b32 v1, 0xffe, v3, v1
	v_med3_i32 v3, v15, 0, 13
	s_delay_alu instid0(VALU_DEP_2) | instskip(NEXT) | instid1(VALU_DEP_1)
	v_or_b32_e32 v15, 0x1000, v1
	v_lshrrev_b32_e32 v16, v3, v15
	s_delay_alu instid0(VALU_DEP_1) | instskip(NEXT) | instid1(VALU_DEP_1)
	v_lshlrev_b32_e32 v3, v3, v16
	v_cmp_ne_u32_e32 vcc_lo, v3, v15
	v_lshl_or_b32 v15, v5, 12, v1
	v_cndmask_b32_e64 v3, 0, 1, vcc_lo
	v_cmp_gt_i32_e32 vcc_lo, 1, v5
	s_delay_alu instid0(VALU_DEP_2) | instskip(NEXT) | instid1(VALU_DEP_1)
	v_or_b32_e32 v3, v16, v3
	v_cndmask_b32_e32 v3, v15, v3, vcc_lo
	s_delay_alu instid0(VALU_DEP_1) | instskip(NEXT) | instid1(VALU_DEP_1)
	v_dual_lshrrev_b32 v3, 2, v3 :: v_dual_bitop2_b32 v15, 7, v3 bitop3:0x40
	v_cmp_lt_i32_e32 vcc_lo, 5, v15
	v_cndmask_b32_e64 v16, 0, 1, vcc_lo
	v_cmp_eq_u32_e32 vcc_lo, 3, v15
	v_cndmask_b32_e64 v15, 0, 1, vcc_lo
	v_cmp_ne_u32_e32 vcc_lo, 0, v1
	s_delay_alu instid0(VALU_DEP_2) | instskip(NEXT) | instid1(VALU_DEP_1)
	v_or_b32_e32 v15, v15, v16
	v_dual_mov_b32 v16, 0x7e00 :: v_dual_add_nc_u32 v3, v3, v15
	s_delay_alu instid0(VALU_DEP_1) | instskip(SKIP_1) | instid1(VALU_DEP_3)
	v_cndmask_b32_e32 v1, 0x7c00, v16, vcc_lo
	v_cmp_gt_i32_e32 vcc_lo, 31, v5
	v_cndmask_b32_e32 v3, 0x7c00, v3, vcc_lo
	v_cmp_eq_u32_e32 vcc_lo, 0x40f, v5
	s_delay_alu instid0(VALU_DEP_2) | instskip(SKIP_1) | instid1(VALU_DEP_1)
	v_cndmask_b32_e32 v1, v3, v1, vcc_lo
	v_lshrrev_b32_e32 v3, 16, v17
	v_and_or_b32 v15, 0x8000, v3, v1
	s_branch .LBB190_2949
.LBB190_2947:
	s_mov_b32 s22, -1
                                        ; implicit-def: $vgpr15
	s_branch .LBB190_2952
.LBB190_2948:
	s_mov_b32 s22, -1
                                        ; implicit-def: $vgpr15
.LBB190_2949:
	s_delay_alu instid0(SALU_CYCLE_1)
	s_and_not1_b32 vcc_lo, exec_lo, s22
	s_cbranch_vccnz .LBB190_2951
; %bb.2950:
	global_load_b32 v1, v[6:7], off
	s_wait_loadcnt 0x0
	v_cvt_f16_f32_e32 v15, v1
.LBB190_2951:
	s_mov_b32 s22, 0
.LBB190_2952:
	s_delay_alu instid0(SALU_CYCLE_1)
	s_and_not1_b32 vcc_lo, exec_lo, s22
	s_cbranch_vccnz .LBB190_2954
; %bb.2953:
	s_wait_loadcnt 0x0
	global_load_u16 v15, v[6:7], off
.LBB190_2954:
	s_mov_b32 s22, 0
.LBB190_2955:
	s_delay_alu instid0(SALU_CYCLE_1)
	s_and_not1_b32 vcc_lo, exec_lo, s22
	s_cbranch_vccnz .LBB190_2975
; %bb.2956:
	s_cmp_lt_i32 s16, 2
	s_cbranch_scc1 .LBB190_2960
; %bb.2957:
	s_cmp_lt_i32 s16, 3
	s_cbranch_scc1 .LBB190_2961
; %bb.2958:
	s_cmp_gt_i32 s16, 3
	s_cbranch_scc0 .LBB190_2962
; %bb.2959:
	global_load_b64 v[16:17], v[6:7], off
	s_mov_b32 s22, 0
	s_wait_loadcnt 0x0
	v_xor_b32_e32 v1, v16, v17
	v_cls_i32_e32 v3, v17
	s_delay_alu instid0(VALU_DEP_2) | instskip(NEXT) | instid1(VALU_DEP_1)
	v_ashrrev_i32_e32 v1, 31, v1
	v_add_nc_u32_e32 v1, 32, v1
	s_delay_alu instid0(VALU_DEP_1) | instskip(NEXT) | instid1(VALU_DEP_1)
	v_add_min_u32_e64 v1, v3, -1, v1
	v_lshlrev_b64_e32 v[16:17], v1, v[16:17]
	v_sub_nc_u32_e32 v1, 32, v1
	s_delay_alu instid0(VALU_DEP_2) | instskip(NEXT) | instid1(VALU_DEP_1)
	v_min_u32_e32 v3, 1, v16
	v_or_b32_e32 v3, v17, v3
	s_delay_alu instid0(VALU_DEP_1) | instskip(NEXT) | instid1(VALU_DEP_1)
	v_cvt_f32_i32_e32 v3, v3
	v_ldexp_f32 v1, v3, v1
	s_delay_alu instid0(VALU_DEP_1)
	v_cvt_f16_f32_e32 v15, v1
	s_branch .LBB190_2963
.LBB190_2960:
	s_mov_b32 s22, -1
                                        ; implicit-def: $vgpr15
	s_branch .LBB190_2969
.LBB190_2961:
	s_mov_b32 s22, -1
                                        ; implicit-def: $vgpr15
	s_branch .LBB190_2966
.LBB190_2962:
	s_mov_b32 s22, -1
                                        ; implicit-def: $vgpr15
.LBB190_2963:
	s_delay_alu instid0(SALU_CYCLE_1)
	s_and_not1_b32 vcc_lo, exec_lo, s22
	s_cbranch_vccnz .LBB190_2965
; %bb.2964:
	global_load_b32 v1, v[6:7], off
	s_wait_loadcnt 0x0
	v_cvt_f32_i32_e32 v1, v1
	s_delay_alu instid0(VALU_DEP_1)
	v_cvt_f16_f32_e32 v15, v1
.LBB190_2965:
	s_mov_b32 s22, 0
.LBB190_2966:
	s_delay_alu instid0(SALU_CYCLE_1)
	s_and_not1_b32 vcc_lo, exec_lo, s22
	s_cbranch_vccnz .LBB190_2968
; %bb.2967:
	global_load_u16 v1, v[6:7], off
	s_wait_loadcnt 0x0
	v_cvt_f16_i16_e32 v15, v1
.LBB190_2968:
	s_mov_b32 s22, 0
.LBB190_2969:
	s_delay_alu instid0(SALU_CYCLE_1)
	s_and_not1_b32 vcc_lo, exec_lo, s22
	s_cbranch_vccnz .LBB190_2975
; %bb.2970:
	s_cmp_gt_i32 s16, 0
	s_mov_b32 s16, 0
	s_cbranch_scc0 .LBB190_2972
; %bb.2971:
	global_load_i8 v1, v[6:7], off
	s_wait_loadcnt 0x0
	v_cvt_f16_i16_e32 v15, v1
	s_branch .LBB190_2973
.LBB190_2972:
	s_mov_b32 s16, -1
                                        ; implicit-def: $vgpr15
.LBB190_2973:
	s_delay_alu instid0(SALU_CYCLE_1)
	s_and_not1_b32 vcc_lo, exec_lo, s16
	s_cbranch_vccnz .LBB190_2975
; %bb.2974:
	global_load_u8 v1, v[6:7], off
	s_wait_loadcnt 0x0
	v_cvt_f16_u16_e32 v15, v1
.LBB190_2975:
	s_mov_b32 s24, -1
.LBB190_2976:
	s_delay_alu instid0(SALU_CYCLE_1)
	s_and_not1_b32 vcc_lo, exec_lo, s24
	s_cbranch_vccnz .LBB190_4065
; %bb.2977:
	v_add_nc_u32_e32 v2, s14, v2
	s_cmp_lt_i32 s17, 11
	s_delay_alu instid0(VALU_DEP_1) | instskip(SKIP_1) | instid1(VALU_DEP_1)
	v_ashrrev_i32_e32 v3, 31, v2
	s_wait_xcnt 0x0
	v_add_nc_u64_e32 v[6:7], s[8:9], v[2:3]
	s_cbranch_scc1 .LBB190_2984
; %bb.2978:
	s_and_b32 s16, 0xffff, s17
	s_mov_b32 s23, 0
	s_cmp_gt_i32 s16, 25
	s_cbranch_scc0 .LBB190_2985
; %bb.2979:
	s_cmp_gt_i32 s16, 28
	s_cbranch_scc0 .LBB190_2986
; %bb.2980:
	;; [unrolled: 3-line block ×4, first 2 shown]
	s_cmp_eq_u32 s16, 46
	s_mov_b32 s25, 0
	s_cbranch_scc0 .LBB190_2990
; %bb.2983:
	global_load_b32 v1, v[6:7], off
	s_mov_b32 s22, 0
	s_mov_b32 s24, -1
	s_wait_loadcnt 0x0
	v_lshlrev_b32_e32 v1, 16, v1
	s_delay_alu instid0(VALU_DEP_1)
	v_cvt_f16_f32_e32 v16, v1
	s_branch .LBB190_2992
.LBB190_2984:
	s_mov_b32 s16, -1
	s_mov_b32 s24, 0
                                        ; implicit-def: $vgpr16
	s_branch .LBB190_3058
.LBB190_2985:
	s_mov_b32 s25, -1
	s_mov_b32 s24, 0
	s_mov_b32 s22, 0
                                        ; implicit-def: $vgpr16
	s_branch .LBB190_3021
.LBB190_2986:
	s_mov_b32 s25, -1
	s_mov_b32 s24, 0
	s_mov_b32 s22, 0
                                        ; implicit-def: $vgpr16
	s_branch .LBB190_3002
.LBB190_2987:
	s_mov_b32 s25, -1
	s_mov_b32 s24, 0
	s_mov_b32 s22, 0
                                        ; implicit-def: $vgpr16
	s_branch .LBB190_2997
.LBB190_2988:
	s_or_b32 s18, s18, exec_lo
	s_trap 2
	s_cbranch_execz .LBB190_2925
	s_branch .LBB190_2926
.LBB190_2989:
	s_mov_b32 s25, -1
	s_mov_b32 s24, 0
	s_mov_b32 s22, 0
	s_branch .LBB190_2991
.LBB190_2990:
	s_mov_b32 s22, -1
	s_mov_b32 s24, 0
.LBB190_2991:
                                        ; implicit-def: $vgpr16
.LBB190_2992:
	s_and_b32 vcc_lo, exec_lo, s25
	s_cbranch_vccz .LBB190_2996
; %bb.2993:
	s_cmp_eq_u32 s16, 44
	s_cbranch_scc0 .LBB190_2995
; %bb.2994:
	global_load_u8 v1, v[6:7], off
	s_mov_b32 s22, 0
	s_mov_b32 s24, -1
	s_wait_loadcnt 0x0
	v_lshlrev_b32_e32 v3, 23, v1
	v_cmp_ne_u32_e32 vcc_lo, 0xff, v1
	s_delay_alu instid0(VALU_DEP_2) | instskip(NEXT) | instid1(VALU_DEP_1)
	v_cvt_f16_f32_e32 v3, v3
	v_cndmask_b32_e32 v3, 0x7e00, v3, vcc_lo
	v_cmp_ne_u32_e32 vcc_lo, 0, v1
	s_delay_alu instid0(VALU_DEP_2)
	v_cndmask_b32_e32 v16, 0, v3, vcc_lo
	s_branch .LBB190_2996
.LBB190_2995:
	s_mov_b32 s22, -1
                                        ; implicit-def: $vgpr16
.LBB190_2996:
	s_mov_b32 s25, 0
.LBB190_2997:
	s_delay_alu instid0(SALU_CYCLE_1)
	s_and_b32 vcc_lo, exec_lo, s25
	s_cbranch_vccz .LBB190_3001
; %bb.2998:
	s_cmp_eq_u32 s16, 29
	s_cbranch_scc0 .LBB190_3000
; %bb.2999:
	global_load_b64 v[16:17], v[6:7], off
	s_mov_b32 s22, 0
	s_mov_b32 s24, -1
	s_mov_b32 s25, 0
	s_wait_loadcnt 0x0
	v_clz_i32_u32_e32 v1, v17
	s_delay_alu instid0(VALU_DEP_1) | instskip(NEXT) | instid1(VALU_DEP_1)
	v_min_u32_e32 v1, 32, v1
	v_lshlrev_b64_e32 v[16:17], v1, v[16:17]
	v_sub_nc_u32_e32 v1, 32, v1
	s_delay_alu instid0(VALU_DEP_2) | instskip(NEXT) | instid1(VALU_DEP_1)
	v_min_u32_e32 v3, 1, v16
	v_or_b32_e32 v3, v17, v3
	s_delay_alu instid0(VALU_DEP_1) | instskip(NEXT) | instid1(VALU_DEP_1)
	v_cvt_f32_u32_e32 v3, v3
	v_ldexp_f32 v1, v3, v1
	s_delay_alu instid0(VALU_DEP_1)
	v_cvt_f16_f32_e32 v16, v1
	s_branch .LBB190_3002
.LBB190_3000:
	s_mov_b32 s22, -1
                                        ; implicit-def: $vgpr16
.LBB190_3001:
	s_mov_b32 s25, 0
.LBB190_3002:
	s_delay_alu instid0(SALU_CYCLE_1)
	s_and_b32 vcc_lo, exec_lo, s25
	s_cbranch_vccz .LBB190_3020
; %bb.3003:
	s_cmp_lt_i32 s16, 27
	s_cbranch_scc1 .LBB190_3006
; %bb.3004:
	s_cmp_gt_i32 s16, 27
	s_cbranch_scc0 .LBB190_3007
; %bb.3005:
	global_load_b32 v1, v[6:7], off
	s_mov_b32 s24, 0
	s_wait_loadcnt 0x0
	v_cvt_f32_u32_e32 v1, v1
	s_delay_alu instid0(VALU_DEP_1)
	v_cvt_f16_f32_e32 v16, v1
	s_branch .LBB190_3008
.LBB190_3006:
	s_mov_b32 s24, -1
                                        ; implicit-def: $vgpr16
	s_branch .LBB190_3011
.LBB190_3007:
	s_mov_b32 s24, -1
                                        ; implicit-def: $vgpr16
.LBB190_3008:
	s_delay_alu instid0(SALU_CYCLE_1)
	s_and_not1_b32 vcc_lo, exec_lo, s24
	s_cbranch_vccnz .LBB190_3010
; %bb.3009:
	global_load_u16 v1, v[6:7], off
	s_wait_loadcnt 0x0
	v_cvt_f16_u16_e32 v16, v1
.LBB190_3010:
	s_mov_b32 s24, 0
.LBB190_3011:
	s_delay_alu instid0(SALU_CYCLE_1)
	s_and_not1_b32 vcc_lo, exec_lo, s24
	s_cbranch_vccnz .LBB190_3019
; %bb.3012:
	global_load_u8 v1, v[6:7], off
	s_mov_b32 s24, 0
	s_mov_b32 s25, exec_lo
	s_wait_loadcnt 0x0
	v_cmpx_lt_i16_e32 0x7f, v1
	s_xor_b32 s25, exec_lo, s25
	s_cbranch_execz .LBB190_3033
; %bb.3013:
	s_mov_b32 s24, -1
	s_mov_b32 s26, exec_lo
	v_cmpx_eq_u16_e32 0x80, v1
; %bb.3014:
	s_xor_b32 s24, exec_lo, -1
; %bb.3015:
	s_or_b32 exec_lo, exec_lo, s26
	s_delay_alu instid0(SALU_CYCLE_1)
	s_and_b32 s24, s24, exec_lo
	s_or_saveexec_b32 s25, s25
	v_mov_b32_e32 v16, 0x7e00
	s_xor_b32 exec_lo, exec_lo, s25
	s_cbranch_execnz .LBB190_3034
.LBB190_3016:
	s_or_b32 exec_lo, exec_lo, s25
	s_and_saveexec_b32 s25, s24
	s_cbranch_execz .LBB190_3018
.LBB190_3017:
	v_and_b32_e32 v3, 0xffff, v1
	s_delay_alu instid0(VALU_DEP_1) | instskip(SKIP_1) | instid1(VALU_DEP_2)
	v_and_b32_e32 v5, 7, v3
	v_bfe_u32 v18, v3, 3, 4
	v_clz_i32_u32_e32 v16, v5
	s_delay_alu instid0(VALU_DEP_2) | instskip(NEXT) | instid1(VALU_DEP_2)
	v_cmp_eq_u32_e32 vcc_lo, 0, v18
	v_min_u32_e32 v16, 32, v16
	s_delay_alu instid0(VALU_DEP_1) | instskip(NEXT) | instid1(VALU_DEP_1)
	v_subrev_nc_u32_e32 v17, 28, v16
	v_dual_lshlrev_b32 v3, v17, v3 :: v_dual_sub_nc_u32 v16, 29, v16
	s_delay_alu instid0(VALU_DEP_1) | instskip(NEXT) | instid1(VALU_DEP_1)
	v_dual_lshlrev_b32 v1, 24, v1 :: v_dual_bitop2_b32 v3, 7, v3 bitop3:0x40
	v_dual_cndmask_b32 v16, v18, v16 :: v_dual_cndmask_b32 v3, v5, v3
	s_delay_alu instid0(VALU_DEP_2) | instskip(NEXT) | instid1(VALU_DEP_2)
	v_and_b32_e32 v1, 0x80000000, v1
	v_lshl_add_u32 v5, v16, 23, 0x3b800000
	s_delay_alu instid0(VALU_DEP_3) | instskip(NEXT) | instid1(VALU_DEP_1)
	v_lshlrev_b32_e32 v3, 20, v3
	v_or3_b32 v1, v1, v5, v3
	s_delay_alu instid0(VALU_DEP_1)
	v_cvt_f16_f32_e32 v16, v1
.LBB190_3018:
	s_or_b32 exec_lo, exec_lo, s25
.LBB190_3019:
	s_mov_b32 s24, -1
.LBB190_3020:
	s_mov_b32 s25, 0
.LBB190_3021:
	s_delay_alu instid0(SALU_CYCLE_1)
	s_and_b32 vcc_lo, exec_lo, s25
	s_cbranch_vccz .LBB190_3054
; %bb.3022:
	s_cmp_gt_i32 s16, 22
	s_cbranch_scc0 .LBB190_3032
; %bb.3023:
	s_cmp_lt_i32 s16, 24
	s_cbranch_scc1 .LBB190_3035
; %bb.3024:
	s_cmp_gt_i32 s16, 24
	s_cbranch_scc0 .LBB190_3036
; %bb.3025:
	global_load_u8 v1, v[6:7], off
	s_mov_b32 s24, exec_lo
	s_wait_loadcnt 0x0
	v_cmpx_lt_i16_e32 0x7f, v1
	s_xor_b32 s24, exec_lo, s24
	s_cbranch_execz .LBB190_3048
; %bb.3026:
	s_mov_b32 s23, -1
	s_mov_b32 s25, exec_lo
	v_cmpx_eq_u16_e32 0x80, v1
; %bb.3027:
	s_xor_b32 s23, exec_lo, -1
; %bb.3028:
	s_or_b32 exec_lo, exec_lo, s25
	s_delay_alu instid0(SALU_CYCLE_1)
	s_and_b32 s23, s23, exec_lo
	s_or_saveexec_b32 s24, s24
	v_mov_b32_e32 v16, 0x7e00
	s_xor_b32 exec_lo, exec_lo, s24
	s_cbranch_execnz .LBB190_3049
.LBB190_3029:
	s_or_b32 exec_lo, exec_lo, s24
	s_and_saveexec_b32 s24, s23
	s_cbranch_execz .LBB190_3031
.LBB190_3030:
	v_and_b32_e32 v3, 0xffff, v1
	s_delay_alu instid0(VALU_DEP_1) | instskip(SKIP_1) | instid1(VALU_DEP_2)
	v_and_b32_e32 v5, 3, v3
	v_bfe_u32 v18, v3, 2, 5
	v_clz_i32_u32_e32 v16, v5
	s_delay_alu instid0(VALU_DEP_2) | instskip(NEXT) | instid1(VALU_DEP_2)
	v_cmp_eq_u32_e32 vcc_lo, 0, v18
	v_min_u32_e32 v16, 32, v16
	s_delay_alu instid0(VALU_DEP_1) | instskip(NEXT) | instid1(VALU_DEP_1)
	v_subrev_nc_u32_e32 v17, 29, v16
	v_dual_lshlrev_b32 v3, v17, v3 :: v_dual_sub_nc_u32 v16, 30, v16
	s_delay_alu instid0(VALU_DEP_1) | instskip(NEXT) | instid1(VALU_DEP_1)
	v_dual_lshlrev_b32 v1, 24, v1 :: v_dual_bitop2_b32 v3, 3, v3 bitop3:0x40
	v_dual_cndmask_b32 v16, v18, v16 :: v_dual_cndmask_b32 v3, v5, v3
	s_delay_alu instid0(VALU_DEP_2) | instskip(NEXT) | instid1(VALU_DEP_2)
	v_and_b32_e32 v1, 0x80000000, v1
	v_lshl_add_u32 v5, v16, 23, 0x37800000
	s_delay_alu instid0(VALU_DEP_3) | instskip(NEXT) | instid1(VALU_DEP_1)
	v_lshlrev_b32_e32 v3, 21, v3
	v_or3_b32 v1, v1, v5, v3
	s_delay_alu instid0(VALU_DEP_1)
	v_cvt_f16_f32_e32 v16, v1
.LBB190_3031:
	s_or_b32 exec_lo, exec_lo, s24
	s_mov_b32 s23, 0
	s_branch .LBB190_3037
.LBB190_3032:
	s_mov_b32 s23, -1
                                        ; implicit-def: $vgpr16
	s_branch .LBB190_3043
.LBB190_3033:
	s_or_saveexec_b32 s25, s25
	v_mov_b32_e32 v16, 0x7e00
	s_xor_b32 exec_lo, exec_lo, s25
	s_cbranch_execz .LBB190_3016
.LBB190_3034:
	v_cmp_ne_u16_e32 vcc_lo, 0, v1
	v_mov_b32_e32 v16, v1
	s_and_not1_b32 s24, s24, exec_lo
	s_and_b32 s26, vcc_lo, exec_lo
	s_delay_alu instid0(SALU_CYCLE_1)
	s_or_b32 s24, s24, s26
	s_or_b32 exec_lo, exec_lo, s25
	s_and_saveexec_b32 s25, s24
	s_cbranch_execnz .LBB190_3017
	s_branch .LBB190_3018
.LBB190_3035:
	s_mov_b32 s23, -1
                                        ; implicit-def: $vgpr16
	s_branch .LBB190_3040
.LBB190_3036:
	s_mov_b32 s23, -1
                                        ; implicit-def: $vgpr16
.LBB190_3037:
	s_delay_alu instid0(SALU_CYCLE_1)
	s_and_b32 vcc_lo, exec_lo, s23
	s_cbranch_vccz .LBB190_3039
; %bb.3038:
	global_load_u8 v1, v[6:7], off
	s_wait_loadcnt 0x0
	v_lshlrev_b32_e32 v1, 24, v1
	s_delay_alu instid0(VALU_DEP_1) | instskip(NEXT) | instid1(VALU_DEP_1)
	v_and_b32_e32 v3, 0x7f000000, v1
	v_clz_i32_u32_e32 v5, v3
	v_add_nc_u32_e32 v17, 0x1000000, v3
	v_cmp_ne_u32_e32 vcc_lo, 0, v3
	s_delay_alu instid0(VALU_DEP_3) | instskip(NEXT) | instid1(VALU_DEP_1)
	v_min_u32_e32 v5, 32, v5
	v_sub_nc_u32_e64 v5, v5, 4 clamp
	s_delay_alu instid0(VALU_DEP_1) | instskip(NEXT) | instid1(VALU_DEP_1)
	v_dual_lshlrev_b32 v16, v5, v3 :: v_dual_lshlrev_b32 v5, 23, v5
	v_lshrrev_b32_e32 v16, 4, v16
	s_delay_alu instid0(VALU_DEP_1) | instskip(SKIP_1) | instid1(VALU_DEP_2)
	v_sub_nc_u32_e32 v5, v16, v5
	v_ashrrev_i32_e32 v16, 8, v17
	v_add_nc_u32_e32 v5, 0x3c000000, v5
	s_delay_alu instid0(VALU_DEP_1) | instskip(NEXT) | instid1(VALU_DEP_1)
	v_and_or_b32 v5, 0x7f800000, v16, v5
	v_cndmask_b32_e32 v3, 0, v5, vcc_lo
	s_delay_alu instid0(VALU_DEP_1) | instskip(NEXT) | instid1(VALU_DEP_1)
	v_and_or_b32 v1, 0x80000000, v1, v3
	v_cvt_f16_f32_e32 v16, v1
.LBB190_3039:
	s_mov_b32 s23, 0
.LBB190_3040:
	s_delay_alu instid0(SALU_CYCLE_1)
	s_and_not1_b32 vcc_lo, exec_lo, s23
	s_cbranch_vccnz .LBB190_3042
; %bb.3041:
	global_load_u8 v1, v[6:7], off
	s_wait_loadcnt 0x0
	v_lshlrev_b32_e32 v3, 25, v1
	v_lshlrev_b16 v1, 8, v1
	s_delay_alu instid0(VALU_DEP_1) | instskip(SKIP_1) | instid1(VALU_DEP_2)
	v_and_or_b32 v16, 0x7f00, v1, 0.5
	v_bfe_i32 v1, v1, 0, 16
	v_dual_add_f32 v16, -0.5, v16 :: v_dual_lshrrev_b32 v5, 4, v3
	v_cmp_gt_u32_e32 vcc_lo, 0x8000000, v3
	s_delay_alu instid0(VALU_DEP_2) | instskip(NEXT) | instid1(VALU_DEP_1)
	v_or_b32_e32 v5, 0x70000000, v5
	v_mul_f32_e32 v5, 0x7800000, v5
	s_delay_alu instid0(VALU_DEP_1) | instskip(NEXT) | instid1(VALU_DEP_1)
	v_cndmask_b32_e32 v3, v5, v16, vcc_lo
	v_and_or_b32 v1, 0x80000000, v1, v3
	s_delay_alu instid0(VALU_DEP_1)
	v_cvt_f16_f32_e32 v16, v1
.LBB190_3042:
	s_mov_b32 s23, 0
	s_mov_b32 s24, -1
.LBB190_3043:
	s_and_not1_b32 vcc_lo, exec_lo, s23
	s_mov_b32 s23, 0
	s_cbranch_vccnz .LBB190_3054
; %bb.3044:
	s_cmp_gt_i32 s16, 14
	s_cbranch_scc0 .LBB190_3047
; %bb.3045:
	s_cmp_eq_u32 s16, 15
	s_cbranch_scc0 .LBB190_3050
; %bb.3046:
	global_load_u16 v1, v[6:7], off
	s_mov_b32 s22, 0
	s_mov_b32 s24, -1
	s_wait_loadcnt 0x0
	v_lshlrev_b32_e32 v1, 16, v1
	s_delay_alu instid0(VALU_DEP_1)
	v_cvt_f16_f32_e32 v16, v1
	s_branch .LBB190_3052
.LBB190_3047:
	s_mov_b32 s23, -1
	s_branch .LBB190_3051
.LBB190_3048:
	s_or_saveexec_b32 s24, s24
	v_mov_b32_e32 v16, 0x7e00
	s_xor_b32 exec_lo, exec_lo, s24
	s_cbranch_execz .LBB190_3029
.LBB190_3049:
	v_cmp_ne_u16_e32 vcc_lo, 0, v1
	v_mov_b32_e32 v16, v1
	s_and_not1_b32 s23, s23, exec_lo
	s_and_b32 s25, vcc_lo, exec_lo
	s_delay_alu instid0(SALU_CYCLE_1)
	s_or_b32 s23, s23, s25
	s_or_b32 exec_lo, exec_lo, s24
	s_and_saveexec_b32 s24, s23
	s_cbranch_execnz .LBB190_3030
	s_branch .LBB190_3031
.LBB190_3050:
	s_mov_b32 s22, -1
.LBB190_3051:
                                        ; implicit-def: $vgpr16
.LBB190_3052:
	s_and_b32 vcc_lo, exec_lo, s23
	s_mov_b32 s23, 0
	s_cbranch_vccz .LBB190_3054
; %bb.3053:
	s_cmp_lg_u32 s16, 11
	s_mov_b32 s23, -1
	s_cselect_b32 s22, -1, 0
.LBB190_3054:
	s_delay_alu instid0(SALU_CYCLE_1)
	s_and_b32 vcc_lo, exec_lo, s22
	s_cbranch_vccnz .LBB190_3119
; %bb.3055:
	s_and_not1_b32 vcc_lo, exec_lo, s23
	s_cbranch_vccnz .LBB190_3057
.LBB190_3056:
	global_load_u8 v1, v[6:7], off
	s_mov_b32 s24, -1
	s_wait_loadcnt 0x0
	v_cmp_ne_u16_e32 vcc_lo, 0, v1
	v_cndmask_b32_e64 v16, 0, 0x3c00, vcc_lo
.LBB190_3057:
	s_mov_b32 s16, 0
.LBB190_3058:
	s_delay_alu instid0(SALU_CYCLE_1)
	s_and_b32 vcc_lo, exec_lo, s16
	s_cbranch_vccz .LBB190_3107
; %bb.3059:
	s_and_b32 s16, 0xffff, s17
	s_delay_alu instid0(SALU_CYCLE_1)
	s_cmp_lt_i32 s16, 5
	s_cbranch_scc1 .LBB190_3064
; %bb.3060:
	s_cmp_lt_i32 s16, 8
	s_cbranch_scc1 .LBB190_3065
; %bb.3061:
	;; [unrolled: 3-line block ×3, first 2 shown]
	s_cmp_gt_i32 s16, 9
	s_cbranch_scc0 .LBB190_3067
; %bb.3063:
	global_load_b64 v[16:17], v[6:7], off
	s_mov_b32 s22, 0
	s_wait_loadcnt 0x0
	v_and_or_b32 v1, 0x1ff, v17, v16
	v_lshrrev_b32_e32 v3, 8, v17
	v_bfe_u32 v5, v17, 20, 11
	s_delay_alu instid0(VALU_DEP_3) | instskip(NEXT) | instid1(VALU_DEP_2)
	v_cmp_ne_u32_e32 vcc_lo, 0, v1
	v_sub_nc_u32_e32 v16, 0x3f1, v5
	v_add_nc_u32_e32 v5, 0xfffffc10, v5
	v_cndmask_b32_e64 v1, 0, 1, vcc_lo
	s_delay_alu instid0(VALU_DEP_1) | instskip(NEXT) | instid1(VALU_DEP_4)
	v_and_or_b32 v1, 0xffe, v3, v1
	v_med3_i32 v3, v16, 0, 13
	s_delay_alu instid0(VALU_DEP_2) | instskip(NEXT) | instid1(VALU_DEP_1)
	v_or_b32_e32 v16, 0x1000, v1
	v_lshrrev_b32_e32 v18, v3, v16
	s_delay_alu instid0(VALU_DEP_1) | instskip(NEXT) | instid1(VALU_DEP_1)
	v_lshlrev_b32_e32 v3, v3, v18
	v_cmp_ne_u32_e32 vcc_lo, v3, v16
	v_lshl_or_b32 v16, v5, 12, v1
	v_cndmask_b32_e64 v3, 0, 1, vcc_lo
	v_cmp_gt_i32_e32 vcc_lo, 1, v5
	s_delay_alu instid0(VALU_DEP_2) | instskip(NEXT) | instid1(VALU_DEP_1)
	v_or_b32_e32 v3, v18, v3
	v_cndmask_b32_e32 v3, v16, v3, vcc_lo
	s_delay_alu instid0(VALU_DEP_1) | instskip(NEXT) | instid1(VALU_DEP_1)
	v_dual_lshrrev_b32 v3, 2, v3 :: v_dual_bitop2_b32 v16, 7, v3 bitop3:0x40
	v_cmp_lt_i32_e32 vcc_lo, 5, v16
	v_cndmask_b32_e64 v18, 0, 1, vcc_lo
	v_cmp_eq_u32_e32 vcc_lo, 3, v16
	v_cndmask_b32_e64 v16, 0, 1, vcc_lo
	v_cmp_ne_u32_e32 vcc_lo, 0, v1
	s_delay_alu instid0(VALU_DEP_2) | instskip(NEXT) | instid1(VALU_DEP_1)
	v_or_b32_e32 v16, v16, v18
	v_dual_mov_b32 v18, 0x7e00 :: v_dual_add_nc_u32 v3, v3, v16
	s_delay_alu instid0(VALU_DEP_1) | instskip(SKIP_1) | instid1(VALU_DEP_3)
	v_cndmask_b32_e32 v1, 0x7c00, v18, vcc_lo
	v_cmp_gt_i32_e32 vcc_lo, 31, v5
	v_cndmask_b32_e32 v3, 0x7c00, v3, vcc_lo
	v_cmp_eq_u32_e32 vcc_lo, 0x40f, v5
	s_delay_alu instid0(VALU_DEP_2) | instskip(SKIP_1) | instid1(VALU_DEP_1)
	v_cndmask_b32_e32 v1, v3, v1, vcc_lo
	v_lshrrev_b32_e32 v3, 16, v17
	v_and_or_b32 v16, 0x8000, v3, v1
	s_branch .LBB190_3068
.LBB190_3064:
	s_mov_b32 s22, -1
                                        ; implicit-def: $vgpr16
	s_branch .LBB190_3086
.LBB190_3065:
	s_mov_b32 s22, -1
                                        ; implicit-def: $vgpr16
	s_branch .LBB190_3074
.LBB190_3066:
	s_mov_b32 s22, -1
                                        ; implicit-def: $vgpr16
	s_branch .LBB190_3071
.LBB190_3067:
	s_mov_b32 s22, -1
                                        ; implicit-def: $vgpr16
.LBB190_3068:
	s_delay_alu instid0(SALU_CYCLE_1)
	s_and_not1_b32 vcc_lo, exec_lo, s22
	s_cbranch_vccnz .LBB190_3070
; %bb.3069:
	global_load_b32 v1, v[6:7], off
	s_wait_loadcnt 0x0
	v_cvt_f16_f32_e32 v16, v1
.LBB190_3070:
	s_mov_b32 s22, 0
.LBB190_3071:
	s_delay_alu instid0(SALU_CYCLE_1)
	s_and_not1_b32 vcc_lo, exec_lo, s22
	s_cbranch_vccnz .LBB190_3073
; %bb.3072:
	global_load_b32 v16, v[6:7], off
.LBB190_3073:
	s_mov_b32 s22, 0
.LBB190_3074:
	s_delay_alu instid0(SALU_CYCLE_1)
	s_and_not1_b32 vcc_lo, exec_lo, s22
	s_cbranch_vccnz .LBB190_3085
; %bb.3075:
	s_cmp_lt_i32 s16, 6
	s_cbranch_scc1 .LBB190_3078
; %bb.3076:
	s_cmp_gt_i32 s16, 6
	s_cbranch_scc0 .LBB190_3079
; %bb.3077:
	s_wait_loadcnt 0x0
	global_load_b64 v[16:17], v[6:7], off
	s_mov_b32 s22, 0
	s_wait_loadcnt 0x0
	v_and_or_b32 v1, 0x1ff, v17, v16
	v_lshrrev_b32_e32 v3, 8, v17
	v_bfe_u32 v5, v17, 20, 11
	s_delay_alu instid0(VALU_DEP_3) | instskip(NEXT) | instid1(VALU_DEP_2)
	v_cmp_ne_u32_e32 vcc_lo, 0, v1
	v_sub_nc_u32_e32 v16, 0x3f1, v5
	v_add_nc_u32_e32 v5, 0xfffffc10, v5
	v_cndmask_b32_e64 v1, 0, 1, vcc_lo
	s_delay_alu instid0(VALU_DEP_1) | instskip(NEXT) | instid1(VALU_DEP_4)
	v_and_or_b32 v1, 0xffe, v3, v1
	v_med3_i32 v3, v16, 0, 13
	s_delay_alu instid0(VALU_DEP_2) | instskip(NEXT) | instid1(VALU_DEP_1)
	v_or_b32_e32 v16, 0x1000, v1
	v_lshrrev_b32_e32 v18, v3, v16
	s_delay_alu instid0(VALU_DEP_1) | instskip(NEXT) | instid1(VALU_DEP_1)
	v_lshlrev_b32_e32 v3, v3, v18
	v_cmp_ne_u32_e32 vcc_lo, v3, v16
	v_lshl_or_b32 v16, v5, 12, v1
	v_cndmask_b32_e64 v3, 0, 1, vcc_lo
	v_cmp_gt_i32_e32 vcc_lo, 1, v5
	s_delay_alu instid0(VALU_DEP_2) | instskip(NEXT) | instid1(VALU_DEP_1)
	v_or_b32_e32 v3, v18, v3
	v_cndmask_b32_e32 v3, v16, v3, vcc_lo
	s_delay_alu instid0(VALU_DEP_1) | instskip(NEXT) | instid1(VALU_DEP_1)
	v_dual_lshrrev_b32 v3, 2, v3 :: v_dual_bitop2_b32 v16, 7, v3 bitop3:0x40
	v_cmp_lt_i32_e32 vcc_lo, 5, v16
	v_cndmask_b32_e64 v18, 0, 1, vcc_lo
	v_cmp_eq_u32_e32 vcc_lo, 3, v16
	v_cndmask_b32_e64 v16, 0, 1, vcc_lo
	v_cmp_ne_u32_e32 vcc_lo, 0, v1
	s_delay_alu instid0(VALU_DEP_2) | instskip(NEXT) | instid1(VALU_DEP_1)
	v_or_b32_e32 v16, v16, v18
	v_dual_mov_b32 v18, 0x7e00 :: v_dual_add_nc_u32 v3, v3, v16
	s_delay_alu instid0(VALU_DEP_1) | instskip(SKIP_1) | instid1(VALU_DEP_3)
	v_cndmask_b32_e32 v1, 0x7c00, v18, vcc_lo
	v_cmp_gt_i32_e32 vcc_lo, 31, v5
	v_cndmask_b32_e32 v3, 0x7c00, v3, vcc_lo
	v_cmp_eq_u32_e32 vcc_lo, 0x40f, v5
	s_delay_alu instid0(VALU_DEP_2) | instskip(SKIP_1) | instid1(VALU_DEP_1)
	v_cndmask_b32_e32 v1, v3, v1, vcc_lo
	v_lshrrev_b32_e32 v3, 16, v17
	v_and_or_b32 v16, 0x8000, v3, v1
	s_branch .LBB190_3080
.LBB190_3078:
	s_mov_b32 s22, -1
                                        ; implicit-def: $vgpr16
	s_branch .LBB190_3083
.LBB190_3079:
	s_mov_b32 s22, -1
                                        ; implicit-def: $vgpr16
.LBB190_3080:
	s_delay_alu instid0(SALU_CYCLE_1)
	s_and_not1_b32 vcc_lo, exec_lo, s22
	s_cbranch_vccnz .LBB190_3082
; %bb.3081:
	global_load_b32 v1, v[6:7], off
	s_wait_loadcnt 0x0
	v_cvt_f16_f32_e32 v16, v1
.LBB190_3082:
	s_mov_b32 s22, 0
.LBB190_3083:
	s_delay_alu instid0(SALU_CYCLE_1)
	s_and_not1_b32 vcc_lo, exec_lo, s22
	s_cbranch_vccnz .LBB190_3085
; %bb.3084:
	s_wait_loadcnt 0x0
	global_load_u16 v16, v[6:7], off
.LBB190_3085:
	s_mov_b32 s22, 0
.LBB190_3086:
	s_delay_alu instid0(SALU_CYCLE_1)
	s_and_not1_b32 vcc_lo, exec_lo, s22
	s_cbranch_vccnz .LBB190_3106
; %bb.3087:
	s_cmp_lt_i32 s16, 2
	s_cbranch_scc1 .LBB190_3091
; %bb.3088:
	s_cmp_lt_i32 s16, 3
	s_cbranch_scc1 .LBB190_3092
; %bb.3089:
	s_cmp_gt_i32 s16, 3
	s_cbranch_scc0 .LBB190_3093
; %bb.3090:
	s_wait_loadcnt 0x0
	global_load_b64 v[16:17], v[6:7], off
	s_mov_b32 s22, 0
	s_wait_loadcnt 0x0
	v_xor_b32_e32 v1, v16, v17
	v_cls_i32_e32 v3, v17
	s_delay_alu instid0(VALU_DEP_2) | instskip(NEXT) | instid1(VALU_DEP_1)
	v_ashrrev_i32_e32 v1, 31, v1
	v_add_nc_u32_e32 v1, 32, v1
	s_delay_alu instid0(VALU_DEP_1) | instskip(NEXT) | instid1(VALU_DEP_1)
	v_add_min_u32_e64 v1, v3, -1, v1
	v_lshlrev_b64_e32 v[16:17], v1, v[16:17]
	v_sub_nc_u32_e32 v1, 32, v1
	s_delay_alu instid0(VALU_DEP_2) | instskip(NEXT) | instid1(VALU_DEP_1)
	v_min_u32_e32 v3, 1, v16
	v_or_b32_e32 v3, v17, v3
	s_delay_alu instid0(VALU_DEP_1) | instskip(NEXT) | instid1(VALU_DEP_1)
	v_cvt_f32_i32_e32 v3, v3
	v_ldexp_f32 v1, v3, v1
	s_delay_alu instid0(VALU_DEP_1)
	v_cvt_f16_f32_e32 v16, v1
	s_branch .LBB190_3094
.LBB190_3091:
	s_mov_b32 s22, -1
                                        ; implicit-def: $vgpr16
	s_branch .LBB190_3100
.LBB190_3092:
	s_mov_b32 s22, -1
                                        ; implicit-def: $vgpr16
	s_branch .LBB190_3097
.LBB190_3093:
	s_mov_b32 s22, -1
                                        ; implicit-def: $vgpr16
.LBB190_3094:
	s_delay_alu instid0(SALU_CYCLE_1)
	s_and_not1_b32 vcc_lo, exec_lo, s22
	s_cbranch_vccnz .LBB190_3096
; %bb.3095:
	global_load_b32 v1, v[6:7], off
	s_wait_loadcnt 0x0
	v_cvt_f32_i32_e32 v1, v1
	s_delay_alu instid0(VALU_DEP_1)
	v_cvt_f16_f32_e32 v16, v1
.LBB190_3096:
	s_mov_b32 s22, 0
.LBB190_3097:
	s_delay_alu instid0(SALU_CYCLE_1)
	s_and_not1_b32 vcc_lo, exec_lo, s22
	s_cbranch_vccnz .LBB190_3099
; %bb.3098:
	global_load_u16 v1, v[6:7], off
	s_wait_loadcnt 0x0
	v_cvt_f16_i16_e32 v16, v1
.LBB190_3099:
	s_mov_b32 s22, 0
.LBB190_3100:
	s_delay_alu instid0(SALU_CYCLE_1)
	s_and_not1_b32 vcc_lo, exec_lo, s22
	s_cbranch_vccnz .LBB190_3106
; %bb.3101:
	s_cmp_gt_i32 s16, 0
	s_mov_b32 s16, 0
	s_cbranch_scc0 .LBB190_3103
; %bb.3102:
	global_load_i8 v1, v[6:7], off
	s_wait_loadcnt 0x0
	v_cvt_f16_i16_e32 v16, v1
	s_branch .LBB190_3104
.LBB190_3103:
	s_mov_b32 s16, -1
                                        ; implicit-def: $vgpr16
.LBB190_3104:
	s_delay_alu instid0(SALU_CYCLE_1)
	s_and_not1_b32 vcc_lo, exec_lo, s16
	s_cbranch_vccnz .LBB190_3106
; %bb.3105:
	global_load_u8 v1, v[6:7], off
	s_wait_loadcnt 0x0
	v_cvt_f16_u16_e32 v16, v1
.LBB190_3106:
	s_mov_b32 s24, -1
.LBB190_3107:
	s_delay_alu instid0(SALU_CYCLE_1)
	s_and_not1_b32 vcc_lo, exec_lo, s24
	s_cbranch_vccnz .LBB190_4065
; %bb.3108:
	v_add_nc_u32_e32 v4, s15, v4
	s_cmp_lt_i32 s0, 11
	s_delay_alu instid0(VALU_DEP_1) | instskip(SKIP_1) | instid1(VALU_DEP_1)
	v_ashrrev_i32_e32 v5, 31, v4
	s_wait_xcnt 0x0
	v_add_nc_u64_e32 v[6:7], s[10:11], v[4:5]
	s_cbranch_scc1 .LBB190_3115
; %bb.3109:
	s_cmp_gt_i32 s0, 25
	s_mov_b32 s22, 0
	s_cbranch_scc0 .LBB190_3116
; %bb.3110:
	s_cmp_gt_i32 s0, 28
	s_cbranch_scc0 .LBB190_3117
; %bb.3111:
	s_cmp_gt_i32 s0, 43
	;; [unrolled: 3-line block ×3, first 2 shown]
	s_cbranch_scc0 .LBB190_3120
; %bb.3113:
	s_cmp_eq_u32 s0, 46
	s_mov_b32 s24, 0
	s_cbranch_scc0 .LBB190_3121
; %bb.3114:
	global_load_b32 v1, v[6:7], off
	s_mov_b32 s16, 0
	s_mov_b32 s23, -1
	s_wait_loadcnt 0x0
	v_lshlrev_b32_e32 v1, 16, v1
	s_delay_alu instid0(VALU_DEP_1)
	v_cvt_f16_f32_e32 v5, v1
	s_branch .LBB190_3123
.LBB190_3115:
	s_mov_b32 s16, -1
	s_mov_b32 s23, 0
                                        ; implicit-def: $vgpr5
	s_branch .LBB190_3189
.LBB190_3116:
	s_mov_b32 s24, -1
	s_mov_b32 s23, 0
	s_mov_b32 s16, 0
                                        ; implicit-def: $vgpr5
	s_branch .LBB190_3152
.LBB190_3117:
	s_mov_b32 s24, -1
	s_mov_b32 s23, 0
	s_mov_b32 s16, 0
                                        ; implicit-def: $vgpr5
	s_branch .LBB190_3133
.LBB190_3118:
	s_mov_b32 s24, -1
	s_mov_b32 s23, 0
	s_mov_b32 s16, 0
                                        ; implicit-def: $vgpr5
	s_branch .LBB190_3128
.LBB190_3119:
	s_or_b32 s18, s18, exec_lo
	s_trap 2
	s_cbranch_execz .LBB190_3056
	s_branch .LBB190_3057
.LBB190_3120:
	s_mov_b32 s24, -1
	s_mov_b32 s23, 0
	s_mov_b32 s16, 0
	s_branch .LBB190_3122
.LBB190_3121:
	s_mov_b32 s16, -1
	s_mov_b32 s23, 0
.LBB190_3122:
                                        ; implicit-def: $vgpr5
.LBB190_3123:
	s_and_b32 vcc_lo, exec_lo, s24
	s_cbranch_vccz .LBB190_3127
; %bb.3124:
	s_cmp_eq_u32 s0, 44
	s_cbranch_scc0 .LBB190_3126
; %bb.3125:
	global_load_u8 v1, v[6:7], off
	s_mov_b32 s16, 0
	s_mov_b32 s23, -1
	s_wait_loadcnt 0x0
	v_lshlrev_b32_e32 v3, 23, v1
	v_cmp_ne_u32_e32 vcc_lo, 0xff, v1
	s_delay_alu instid0(VALU_DEP_2) | instskip(NEXT) | instid1(VALU_DEP_1)
	v_cvt_f16_f32_e32 v3, v3
	v_cndmask_b32_e32 v3, 0x7e00, v3, vcc_lo
	v_cmp_ne_u32_e32 vcc_lo, 0, v1
	s_delay_alu instid0(VALU_DEP_2)
	v_cndmask_b32_e32 v5, 0, v3, vcc_lo
	s_branch .LBB190_3127
.LBB190_3126:
	s_mov_b32 s16, -1
                                        ; implicit-def: $vgpr5
.LBB190_3127:
	s_mov_b32 s24, 0
.LBB190_3128:
	s_delay_alu instid0(SALU_CYCLE_1)
	s_and_b32 vcc_lo, exec_lo, s24
	s_cbranch_vccz .LBB190_3132
; %bb.3129:
	s_cmp_eq_u32 s0, 29
	s_cbranch_scc0 .LBB190_3131
; %bb.3130:
	global_load_b64 v[18:19], v[6:7], off
	s_mov_b32 s16, 0
	s_mov_b32 s23, -1
	s_mov_b32 s24, 0
	s_wait_loadcnt 0x0
	v_clz_i32_u32_e32 v1, v19
	s_delay_alu instid0(VALU_DEP_1) | instskip(NEXT) | instid1(VALU_DEP_1)
	v_min_u32_e32 v1, 32, v1
	v_lshlrev_b64_e32 v[18:19], v1, v[18:19]
	v_sub_nc_u32_e32 v1, 32, v1
	s_delay_alu instid0(VALU_DEP_2) | instskip(NEXT) | instid1(VALU_DEP_1)
	v_min_u32_e32 v3, 1, v18
	v_or_b32_e32 v3, v19, v3
	s_delay_alu instid0(VALU_DEP_1) | instskip(NEXT) | instid1(VALU_DEP_1)
	v_cvt_f32_u32_e32 v3, v3
	v_ldexp_f32 v1, v3, v1
	s_delay_alu instid0(VALU_DEP_1)
	v_cvt_f16_f32_e32 v5, v1
	s_branch .LBB190_3133
.LBB190_3131:
	s_mov_b32 s16, -1
                                        ; implicit-def: $vgpr5
.LBB190_3132:
	s_mov_b32 s24, 0
.LBB190_3133:
	s_delay_alu instid0(SALU_CYCLE_1)
	s_and_b32 vcc_lo, exec_lo, s24
	s_cbranch_vccz .LBB190_3151
; %bb.3134:
	s_cmp_lt_i32 s0, 27
	s_cbranch_scc1 .LBB190_3137
; %bb.3135:
	s_cmp_gt_i32 s0, 27
	s_cbranch_scc0 .LBB190_3138
; %bb.3136:
	global_load_b32 v1, v[6:7], off
	s_mov_b32 s23, 0
	s_wait_loadcnt 0x0
	v_cvt_f32_u32_e32 v1, v1
	s_delay_alu instid0(VALU_DEP_1)
	v_cvt_f16_f32_e32 v5, v1
	s_branch .LBB190_3139
.LBB190_3137:
	s_mov_b32 s23, -1
                                        ; implicit-def: $vgpr5
	s_branch .LBB190_3142
.LBB190_3138:
	s_mov_b32 s23, -1
                                        ; implicit-def: $vgpr5
.LBB190_3139:
	s_delay_alu instid0(SALU_CYCLE_1)
	s_and_not1_b32 vcc_lo, exec_lo, s23
	s_cbranch_vccnz .LBB190_3141
; %bb.3140:
	global_load_u16 v1, v[6:7], off
	s_wait_loadcnt 0x0
	v_cvt_f16_u16_e32 v5, v1
.LBB190_3141:
	s_mov_b32 s23, 0
.LBB190_3142:
	s_delay_alu instid0(SALU_CYCLE_1)
	s_and_not1_b32 vcc_lo, exec_lo, s23
	s_cbranch_vccnz .LBB190_3150
; %bb.3143:
	global_load_u8 v1, v[6:7], off
	s_mov_b32 s23, 0
	s_mov_b32 s24, exec_lo
	s_wait_loadcnt 0x0
	v_cmpx_lt_i16_e32 0x7f, v1
	s_xor_b32 s24, exec_lo, s24
	s_cbranch_execz .LBB190_3164
; %bb.3144:
	s_mov_b32 s23, -1
	s_mov_b32 s25, exec_lo
	v_cmpx_eq_u16_e32 0x80, v1
; %bb.3145:
	s_xor_b32 s23, exec_lo, -1
; %bb.3146:
	s_or_b32 exec_lo, exec_lo, s25
	s_delay_alu instid0(SALU_CYCLE_1)
	s_and_b32 s23, s23, exec_lo
	s_or_saveexec_b32 s24, s24
	v_mov_b32_e32 v5, 0x7e00
	s_xor_b32 exec_lo, exec_lo, s24
	s_cbranch_execnz .LBB190_3165
.LBB190_3147:
	s_or_b32 exec_lo, exec_lo, s24
	s_and_saveexec_b32 s24, s23
	s_cbranch_execz .LBB190_3149
.LBB190_3148:
	v_and_b32_e32 v3, 0xffff, v1
	s_delay_alu instid0(VALU_DEP_1) | instskip(SKIP_1) | instid1(VALU_DEP_2)
	v_and_b32_e32 v5, 7, v3
	v_bfe_u32 v19, v3, 3, 4
	v_clz_i32_u32_e32 v17, v5
	s_delay_alu instid0(VALU_DEP_2) | instskip(NEXT) | instid1(VALU_DEP_2)
	v_cmp_eq_u32_e32 vcc_lo, 0, v19
	v_min_u32_e32 v17, 32, v17
	s_delay_alu instid0(VALU_DEP_1) | instskip(NEXT) | instid1(VALU_DEP_1)
	v_subrev_nc_u32_e32 v18, 28, v17
	v_dual_lshlrev_b32 v3, v18, v3 :: v_dual_sub_nc_u32 v17, 29, v17
	s_delay_alu instid0(VALU_DEP_1) | instskip(NEXT) | instid1(VALU_DEP_1)
	v_dual_lshlrev_b32 v1, 24, v1 :: v_dual_bitop2_b32 v3, 7, v3 bitop3:0x40
	v_dual_cndmask_b32 v3, v5, v3, vcc_lo :: v_dual_cndmask_b32 v17, v19, v17, vcc_lo
	s_delay_alu instid0(VALU_DEP_2) | instskip(NEXT) | instid1(VALU_DEP_2)
	v_and_b32_e32 v1, 0x80000000, v1
	v_lshlrev_b32_e32 v3, 20, v3
	s_delay_alu instid0(VALU_DEP_3) | instskip(NEXT) | instid1(VALU_DEP_1)
	v_lshl_add_u32 v5, v17, 23, 0x3b800000
	v_or3_b32 v1, v1, v5, v3
	s_delay_alu instid0(VALU_DEP_1)
	v_cvt_f16_f32_e32 v5, v1
.LBB190_3149:
	s_or_b32 exec_lo, exec_lo, s24
.LBB190_3150:
	s_mov_b32 s23, -1
.LBB190_3151:
	s_mov_b32 s24, 0
.LBB190_3152:
	s_delay_alu instid0(SALU_CYCLE_1)
	s_and_b32 vcc_lo, exec_lo, s24
	s_cbranch_vccz .LBB190_3185
; %bb.3153:
	s_cmp_gt_i32 s0, 22
	s_cbranch_scc0 .LBB190_3163
; %bb.3154:
	s_cmp_lt_i32 s0, 24
	s_cbranch_scc1 .LBB190_3166
; %bb.3155:
	s_cmp_gt_i32 s0, 24
	s_cbranch_scc0 .LBB190_3167
; %bb.3156:
	global_load_u8 v1, v[6:7], off
	s_mov_b32 s23, exec_lo
	s_wait_loadcnt 0x0
	v_cmpx_lt_i16_e32 0x7f, v1
	s_xor_b32 s23, exec_lo, s23
	s_cbranch_execz .LBB190_3179
; %bb.3157:
	s_mov_b32 s22, -1
	s_mov_b32 s24, exec_lo
	v_cmpx_eq_u16_e32 0x80, v1
; %bb.3158:
	s_xor_b32 s22, exec_lo, -1
; %bb.3159:
	s_or_b32 exec_lo, exec_lo, s24
	s_delay_alu instid0(SALU_CYCLE_1)
	s_and_b32 s22, s22, exec_lo
	s_or_saveexec_b32 s23, s23
	v_mov_b32_e32 v5, 0x7e00
	s_xor_b32 exec_lo, exec_lo, s23
	s_cbranch_execnz .LBB190_3180
.LBB190_3160:
	s_or_b32 exec_lo, exec_lo, s23
	s_and_saveexec_b32 s23, s22
	s_cbranch_execz .LBB190_3162
.LBB190_3161:
	v_and_b32_e32 v3, 0xffff, v1
	s_delay_alu instid0(VALU_DEP_1) | instskip(SKIP_1) | instid1(VALU_DEP_2)
	v_and_b32_e32 v5, 3, v3
	v_bfe_u32 v19, v3, 2, 5
	v_clz_i32_u32_e32 v17, v5
	s_delay_alu instid0(VALU_DEP_2) | instskip(NEXT) | instid1(VALU_DEP_2)
	v_cmp_eq_u32_e32 vcc_lo, 0, v19
	v_min_u32_e32 v17, 32, v17
	s_delay_alu instid0(VALU_DEP_1) | instskip(NEXT) | instid1(VALU_DEP_1)
	v_subrev_nc_u32_e32 v18, 29, v17
	v_dual_lshlrev_b32 v3, v18, v3 :: v_dual_sub_nc_u32 v17, 30, v17
	s_delay_alu instid0(VALU_DEP_1) | instskip(NEXT) | instid1(VALU_DEP_1)
	v_dual_lshlrev_b32 v1, 24, v1 :: v_dual_bitop2_b32 v3, 3, v3 bitop3:0x40
	v_dual_cndmask_b32 v3, v5, v3, vcc_lo :: v_dual_cndmask_b32 v17, v19, v17, vcc_lo
	s_delay_alu instid0(VALU_DEP_2) | instskip(NEXT) | instid1(VALU_DEP_2)
	v_and_b32_e32 v1, 0x80000000, v1
	v_lshlrev_b32_e32 v3, 21, v3
	s_delay_alu instid0(VALU_DEP_3) | instskip(NEXT) | instid1(VALU_DEP_1)
	v_lshl_add_u32 v5, v17, 23, 0x37800000
	v_or3_b32 v1, v1, v5, v3
	s_delay_alu instid0(VALU_DEP_1)
	v_cvt_f16_f32_e32 v5, v1
.LBB190_3162:
	s_or_b32 exec_lo, exec_lo, s23
	s_mov_b32 s22, 0
	s_branch .LBB190_3168
.LBB190_3163:
	s_mov_b32 s22, -1
                                        ; implicit-def: $vgpr5
	s_branch .LBB190_3174
.LBB190_3164:
	s_or_saveexec_b32 s24, s24
	v_mov_b32_e32 v5, 0x7e00
	s_xor_b32 exec_lo, exec_lo, s24
	s_cbranch_execz .LBB190_3147
.LBB190_3165:
	v_cmp_ne_u16_e32 vcc_lo, 0, v1
	v_mov_b32_e32 v5, v1
	s_and_not1_b32 s23, s23, exec_lo
	s_and_b32 s25, vcc_lo, exec_lo
	s_delay_alu instid0(SALU_CYCLE_1)
	s_or_b32 s23, s23, s25
	s_or_b32 exec_lo, exec_lo, s24
	s_and_saveexec_b32 s24, s23
	s_cbranch_execnz .LBB190_3148
	s_branch .LBB190_3149
.LBB190_3166:
	s_mov_b32 s22, -1
                                        ; implicit-def: $vgpr5
	s_branch .LBB190_3171
.LBB190_3167:
	s_mov_b32 s22, -1
                                        ; implicit-def: $vgpr5
.LBB190_3168:
	s_delay_alu instid0(SALU_CYCLE_1)
	s_and_b32 vcc_lo, exec_lo, s22
	s_cbranch_vccz .LBB190_3170
; %bb.3169:
	global_load_u8 v1, v[6:7], off
	s_wait_loadcnt 0x0
	v_lshlrev_b32_e32 v1, 24, v1
	s_delay_alu instid0(VALU_DEP_1) | instskip(NEXT) | instid1(VALU_DEP_1)
	v_and_b32_e32 v3, 0x7f000000, v1
	v_clz_i32_u32_e32 v5, v3
	v_cmp_ne_u32_e32 vcc_lo, 0, v3
	v_add_nc_u32_e32 v18, 0x1000000, v3
	s_delay_alu instid0(VALU_DEP_3) | instskip(NEXT) | instid1(VALU_DEP_1)
	v_min_u32_e32 v5, 32, v5
	v_sub_nc_u32_e64 v5, v5, 4 clamp
	s_delay_alu instid0(VALU_DEP_1) | instskip(NEXT) | instid1(VALU_DEP_1)
	v_dual_lshlrev_b32 v17, v5, v3 :: v_dual_lshlrev_b32 v5, 23, v5
	v_lshrrev_b32_e32 v17, 4, v17
	s_delay_alu instid0(VALU_DEP_1) | instskip(NEXT) | instid1(VALU_DEP_1)
	v_dual_sub_nc_u32 v5, v17, v5 :: v_dual_ashrrev_i32 v17, 8, v18
	v_add_nc_u32_e32 v5, 0x3c000000, v5
	s_delay_alu instid0(VALU_DEP_1) | instskip(NEXT) | instid1(VALU_DEP_1)
	v_and_or_b32 v5, 0x7f800000, v17, v5
	v_cndmask_b32_e32 v3, 0, v5, vcc_lo
	s_delay_alu instid0(VALU_DEP_1) | instskip(NEXT) | instid1(VALU_DEP_1)
	v_and_or_b32 v1, 0x80000000, v1, v3
	v_cvt_f16_f32_e32 v5, v1
.LBB190_3170:
	s_mov_b32 s22, 0
.LBB190_3171:
	s_delay_alu instid0(SALU_CYCLE_1)
	s_and_not1_b32 vcc_lo, exec_lo, s22
	s_cbranch_vccnz .LBB190_3173
; %bb.3172:
	global_load_u8 v1, v[6:7], off
	s_wait_loadcnt 0x0
	v_lshlrev_b32_e32 v3, 25, v1
	v_lshlrev_b16 v1, 8, v1
	s_delay_alu instid0(VALU_DEP_2) | instskip(NEXT) | instid1(VALU_DEP_2)
	v_cmp_gt_u32_e32 vcc_lo, 0x8000000, v3
	v_and_or_b32 v17, 0x7f00, v1, 0.5
	v_lshrrev_b32_e32 v5, 4, v3
	v_bfe_i32 v1, v1, 0, 16
	s_delay_alu instid0(VALU_DEP_3) | instskip(NEXT) | instid1(VALU_DEP_3)
	v_add_f32_e32 v17, -0.5, v17
	v_or_b32_e32 v5, 0x70000000, v5
	s_delay_alu instid0(VALU_DEP_1) | instskip(NEXT) | instid1(VALU_DEP_1)
	v_mul_f32_e32 v5, 0x7800000, v5
	v_cndmask_b32_e32 v3, v5, v17, vcc_lo
	s_delay_alu instid0(VALU_DEP_1) | instskip(NEXT) | instid1(VALU_DEP_1)
	v_and_or_b32 v1, 0x80000000, v1, v3
	v_cvt_f16_f32_e32 v5, v1
.LBB190_3173:
	s_mov_b32 s22, 0
	s_mov_b32 s23, -1
.LBB190_3174:
	s_and_not1_b32 vcc_lo, exec_lo, s22
	s_mov_b32 s22, 0
	s_cbranch_vccnz .LBB190_3185
; %bb.3175:
	s_cmp_gt_i32 s0, 14
	s_cbranch_scc0 .LBB190_3178
; %bb.3176:
	s_cmp_eq_u32 s0, 15
	s_cbranch_scc0 .LBB190_3181
; %bb.3177:
	global_load_u16 v1, v[6:7], off
	s_mov_b32 s16, 0
	s_mov_b32 s23, -1
	s_wait_loadcnt 0x0
	v_lshlrev_b32_e32 v1, 16, v1
	s_delay_alu instid0(VALU_DEP_1)
	v_cvt_f16_f32_e32 v5, v1
	s_branch .LBB190_3183
.LBB190_3178:
	s_mov_b32 s22, -1
	s_branch .LBB190_3182
.LBB190_3179:
	s_or_saveexec_b32 s23, s23
	v_mov_b32_e32 v5, 0x7e00
	s_xor_b32 exec_lo, exec_lo, s23
	s_cbranch_execz .LBB190_3160
.LBB190_3180:
	v_cmp_ne_u16_e32 vcc_lo, 0, v1
	v_mov_b32_e32 v5, v1
	s_and_not1_b32 s22, s22, exec_lo
	s_and_b32 s24, vcc_lo, exec_lo
	s_delay_alu instid0(SALU_CYCLE_1)
	s_or_b32 s22, s22, s24
	s_or_b32 exec_lo, exec_lo, s23
	s_and_saveexec_b32 s23, s22
	s_cbranch_execnz .LBB190_3161
	s_branch .LBB190_3162
.LBB190_3181:
	s_mov_b32 s16, -1
.LBB190_3182:
                                        ; implicit-def: $vgpr5
.LBB190_3183:
	s_and_b32 vcc_lo, exec_lo, s22
	s_mov_b32 s22, 0
	s_cbranch_vccz .LBB190_3185
; %bb.3184:
	s_cmp_lg_u32 s0, 11
	s_mov_b32 s22, -1
	s_cselect_b32 s16, -1, 0
.LBB190_3185:
	s_delay_alu instid0(SALU_CYCLE_1)
	s_and_b32 vcc_lo, exec_lo, s16
	s_cbranch_vccnz .LBB190_3250
; %bb.3186:
	s_and_not1_b32 vcc_lo, exec_lo, s22
	s_cbranch_vccnz .LBB190_3188
.LBB190_3187:
	global_load_u8 v1, v[6:7], off
	s_mov_b32 s23, -1
	s_wait_loadcnt 0x0
	v_cmp_ne_u16_e32 vcc_lo, 0, v1
	v_cndmask_b32_e64 v5, 0, 0x3c00, vcc_lo
.LBB190_3188:
	s_mov_b32 s16, 0
.LBB190_3189:
	s_delay_alu instid0(SALU_CYCLE_1)
	s_and_b32 vcc_lo, exec_lo, s16
	s_cbranch_vccz .LBB190_3238
; %bb.3190:
	s_cmp_lt_i32 s0, 5
	s_cbranch_scc1 .LBB190_3195
; %bb.3191:
	s_cmp_lt_i32 s0, 8
	s_cbranch_scc1 .LBB190_3196
; %bb.3192:
	s_cmp_lt_i32 s0, 9
	s_cbranch_scc1 .LBB190_3197
; %bb.3193:
	s_cmp_gt_i32 s0, 9
	s_cbranch_scc0 .LBB190_3198
; %bb.3194:
	global_load_b64 v[18:19], v[6:7], off
	s_mov_b32 s16, 0
	s_wait_loadcnt 0x0
	v_and_or_b32 v1, 0x1ff, v19, v18
	v_lshrrev_b32_e32 v3, 8, v19
	v_bfe_u32 v5, v19, 20, 11
	s_delay_alu instid0(VALU_DEP_3) | instskip(NEXT) | instid1(VALU_DEP_2)
	v_cmp_ne_u32_e32 vcc_lo, 0, v1
	v_sub_nc_u32_e32 v17, 0x3f1, v5
	v_add_nc_u32_e32 v5, 0xfffffc10, v5
	v_cndmask_b32_e64 v1, 0, 1, vcc_lo
	s_delay_alu instid0(VALU_DEP_1) | instskip(NEXT) | instid1(VALU_DEP_4)
	v_and_or_b32 v1, 0xffe, v3, v1
	v_med3_i32 v3, v17, 0, 13
	s_delay_alu instid0(VALU_DEP_2) | instskip(NEXT) | instid1(VALU_DEP_1)
	v_or_b32_e32 v17, 0x1000, v1
	v_lshrrev_b32_e32 v18, v3, v17
	s_delay_alu instid0(VALU_DEP_1) | instskip(NEXT) | instid1(VALU_DEP_1)
	v_lshlrev_b32_e32 v3, v3, v18
	v_cmp_ne_u32_e32 vcc_lo, v3, v17
	v_lshl_or_b32 v17, v5, 12, v1
	v_cndmask_b32_e64 v3, 0, 1, vcc_lo
	v_cmp_gt_i32_e32 vcc_lo, 1, v5
	s_delay_alu instid0(VALU_DEP_2) | instskip(NEXT) | instid1(VALU_DEP_1)
	v_or_b32_e32 v3, v18, v3
	v_cndmask_b32_e32 v3, v17, v3, vcc_lo
	s_delay_alu instid0(VALU_DEP_1) | instskip(NEXT) | instid1(VALU_DEP_1)
	v_dual_lshrrev_b32 v3, 2, v3 :: v_dual_bitop2_b32 v17, 7, v3 bitop3:0x40
	v_cmp_lt_i32_e32 vcc_lo, 5, v17
	v_cndmask_b32_e64 v18, 0, 1, vcc_lo
	v_cmp_eq_u32_e32 vcc_lo, 3, v17
	v_cndmask_b32_e64 v17, 0, 1, vcc_lo
	v_cmp_ne_u32_e32 vcc_lo, 0, v1
	s_delay_alu instid0(VALU_DEP_2) | instskip(NEXT) | instid1(VALU_DEP_1)
	v_or_b32_e32 v17, v17, v18
	v_dual_mov_b32 v18, 0x7e00 :: v_dual_add_nc_u32 v3, v3, v17
	s_delay_alu instid0(VALU_DEP_1) | instskip(SKIP_1) | instid1(VALU_DEP_3)
	v_cndmask_b32_e32 v1, 0x7c00, v18, vcc_lo
	v_cmp_gt_i32_e32 vcc_lo, 31, v5
	v_cndmask_b32_e32 v3, 0x7c00, v3, vcc_lo
	v_cmp_eq_u32_e32 vcc_lo, 0x40f, v5
	s_delay_alu instid0(VALU_DEP_2) | instskip(NEXT) | instid1(VALU_DEP_1)
	v_dual_cndmask_b32 v1, v3, v1, vcc_lo :: v_dual_lshrrev_b32 v3, 16, v19
	v_and_or_b32 v5, 0x8000, v3, v1
	s_branch .LBB190_3199
.LBB190_3195:
	s_mov_b32 s16, -1
                                        ; implicit-def: $vgpr5
	s_branch .LBB190_3217
.LBB190_3196:
	s_mov_b32 s16, -1
                                        ; implicit-def: $vgpr5
	s_branch .LBB190_3205
.LBB190_3197:
	s_mov_b32 s16, -1
                                        ; implicit-def: $vgpr5
	s_branch .LBB190_3202
.LBB190_3198:
	s_mov_b32 s16, -1
                                        ; implicit-def: $vgpr5
.LBB190_3199:
	s_delay_alu instid0(SALU_CYCLE_1)
	s_and_not1_b32 vcc_lo, exec_lo, s16
	s_cbranch_vccnz .LBB190_3201
; %bb.3200:
	global_load_b32 v1, v[6:7], off
	s_wait_loadcnt 0x0
	v_cvt_f16_f32_e32 v5, v1
.LBB190_3201:
	s_mov_b32 s16, 0
.LBB190_3202:
	s_delay_alu instid0(SALU_CYCLE_1)
	s_and_not1_b32 vcc_lo, exec_lo, s16
	s_cbranch_vccnz .LBB190_3204
; %bb.3203:
	global_load_b32 v5, v[6:7], off
.LBB190_3204:
	s_mov_b32 s16, 0
.LBB190_3205:
	s_delay_alu instid0(SALU_CYCLE_1)
	s_and_not1_b32 vcc_lo, exec_lo, s16
	s_cbranch_vccnz .LBB190_3216
; %bb.3206:
	s_cmp_lt_i32 s0, 6
	s_cbranch_scc1 .LBB190_3209
; %bb.3207:
	s_cmp_gt_i32 s0, 6
	s_cbranch_scc0 .LBB190_3210
; %bb.3208:
	global_load_b64 v[18:19], v[6:7], off
	s_mov_b32 s16, 0
	s_wait_loadcnt 0x0
	v_and_or_b32 v1, 0x1ff, v19, v18
	v_lshrrev_b32_e32 v3, 8, v19
	v_bfe_u32 v5, v19, 20, 11
	s_delay_alu instid0(VALU_DEP_3) | instskip(NEXT) | instid1(VALU_DEP_2)
	v_cmp_ne_u32_e32 vcc_lo, 0, v1
	v_sub_nc_u32_e32 v17, 0x3f1, v5
	v_add_nc_u32_e32 v5, 0xfffffc10, v5
	v_cndmask_b32_e64 v1, 0, 1, vcc_lo
	s_delay_alu instid0(VALU_DEP_1) | instskip(NEXT) | instid1(VALU_DEP_4)
	v_and_or_b32 v1, 0xffe, v3, v1
	v_med3_i32 v3, v17, 0, 13
	s_delay_alu instid0(VALU_DEP_2) | instskip(NEXT) | instid1(VALU_DEP_1)
	v_or_b32_e32 v17, 0x1000, v1
	v_lshrrev_b32_e32 v18, v3, v17
	s_delay_alu instid0(VALU_DEP_1) | instskip(NEXT) | instid1(VALU_DEP_1)
	v_lshlrev_b32_e32 v3, v3, v18
	v_cmp_ne_u32_e32 vcc_lo, v3, v17
	v_lshl_or_b32 v17, v5, 12, v1
	v_cndmask_b32_e64 v3, 0, 1, vcc_lo
	v_cmp_gt_i32_e32 vcc_lo, 1, v5
	s_delay_alu instid0(VALU_DEP_2) | instskip(NEXT) | instid1(VALU_DEP_1)
	v_or_b32_e32 v3, v18, v3
	v_cndmask_b32_e32 v3, v17, v3, vcc_lo
	s_delay_alu instid0(VALU_DEP_1) | instskip(NEXT) | instid1(VALU_DEP_1)
	v_dual_lshrrev_b32 v3, 2, v3 :: v_dual_bitop2_b32 v17, 7, v3 bitop3:0x40
	v_cmp_lt_i32_e32 vcc_lo, 5, v17
	v_cndmask_b32_e64 v18, 0, 1, vcc_lo
	v_cmp_eq_u32_e32 vcc_lo, 3, v17
	v_cndmask_b32_e64 v17, 0, 1, vcc_lo
	v_cmp_ne_u32_e32 vcc_lo, 0, v1
	s_delay_alu instid0(VALU_DEP_2) | instskip(NEXT) | instid1(VALU_DEP_1)
	v_or_b32_e32 v17, v17, v18
	v_dual_mov_b32 v18, 0x7e00 :: v_dual_add_nc_u32 v3, v3, v17
	s_delay_alu instid0(VALU_DEP_1) | instskip(SKIP_1) | instid1(VALU_DEP_3)
	v_cndmask_b32_e32 v1, 0x7c00, v18, vcc_lo
	v_cmp_gt_i32_e32 vcc_lo, 31, v5
	v_cndmask_b32_e32 v3, 0x7c00, v3, vcc_lo
	v_cmp_eq_u32_e32 vcc_lo, 0x40f, v5
	s_delay_alu instid0(VALU_DEP_2) | instskip(NEXT) | instid1(VALU_DEP_1)
	v_dual_cndmask_b32 v1, v3, v1, vcc_lo :: v_dual_lshrrev_b32 v3, 16, v19
	v_and_or_b32 v5, 0x8000, v3, v1
	s_branch .LBB190_3211
.LBB190_3209:
	s_mov_b32 s16, -1
                                        ; implicit-def: $vgpr5
	s_branch .LBB190_3214
.LBB190_3210:
	s_mov_b32 s16, -1
                                        ; implicit-def: $vgpr5
.LBB190_3211:
	s_delay_alu instid0(SALU_CYCLE_1)
	s_and_not1_b32 vcc_lo, exec_lo, s16
	s_cbranch_vccnz .LBB190_3213
; %bb.3212:
	global_load_b32 v1, v[6:7], off
	s_wait_loadcnt 0x0
	v_cvt_f16_f32_e32 v5, v1
.LBB190_3213:
	s_mov_b32 s16, 0
.LBB190_3214:
	s_delay_alu instid0(SALU_CYCLE_1)
	s_and_not1_b32 vcc_lo, exec_lo, s16
	s_cbranch_vccnz .LBB190_3216
; %bb.3215:
	s_wait_loadcnt 0x0
	global_load_u16 v5, v[6:7], off
.LBB190_3216:
	s_mov_b32 s16, 0
.LBB190_3217:
	s_delay_alu instid0(SALU_CYCLE_1)
	s_and_not1_b32 vcc_lo, exec_lo, s16
	s_cbranch_vccnz .LBB190_3237
; %bb.3218:
	s_cmp_lt_i32 s0, 2
	s_cbranch_scc1 .LBB190_3222
; %bb.3219:
	s_cmp_lt_i32 s0, 3
	s_cbranch_scc1 .LBB190_3223
; %bb.3220:
	s_cmp_gt_i32 s0, 3
	s_cbranch_scc0 .LBB190_3224
; %bb.3221:
	global_load_b64 v[18:19], v[6:7], off
	s_mov_b32 s16, 0
	s_wait_loadcnt 0x0
	v_xor_b32_e32 v1, v18, v19
	v_cls_i32_e32 v3, v19
	s_delay_alu instid0(VALU_DEP_2) | instskip(NEXT) | instid1(VALU_DEP_1)
	v_ashrrev_i32_e32 v1, 31, v1
	v_add_nc_u32_e32 v1, 32, v1
	s_delay_alu instid0(VALU_DEP_1) | instskip(NEXT) | instid1(VALU_DEP_1)
	v_add_min_u32_e64 v1, v3, -1, v1
	v_lshlrev_b64_e32 v[18:19], v1, v[18:19]
	v_sub_nc_u32_e32 v1, 32, v1
	s_delay_alu instid0(VALU_DEP_2) | instskip(NEXT) | instid1(VALU_DEP_1)
	v_min_u32_e32 v3, 1, v18
	v_or_b32_e32 v3, v19, v3
	s_delay_alu instid0(VALU_DEP_1) | instskip(NEXT) | instid1(VALU_DEP_1)
	v_cvt_f32_i32_e32 v3, v3
	v_ldexp_f32 v1, v3, v1
	s_delay_alu instid0(VALU_DEP_1)
	v_cvt_f16_f32_e32 v5, v1
	s_branch .LBB190_3225
.LBB190_3222:
	s_mov_b32 s16, -1
                                        ; implicit-def: $vgpr5
	s_branch .LBB190_3231
.LBB190_3223:
	s_mov_b32 s16, -1
                                        ; implicit-def: $vgpr5
	s_branch .LBB190_3228
.LBB190_3224:
	s_mov_b32 s16, -1
                                        ; implicit-def: $vgpr5
.LBB190_3225:
	s_delay_alu instid0(SALU_CYCLE_1)
	s_and_not1_b32 vcc_lo, exec_lo, s16
	s_cbranch_vccnz .LBB190_3227
; %bb.3226:
	global_load_b32 v1, v[6:7], off
	s_wait_loadcnt 0x0
	v_cvt_f32_i32_e32 v1, v1
	s_delay_alu instid0(VALU_DEP_1)
	v_cvt_f16_f32_e32 v5, v1
.LBB190_3227:
	s_mov_b32 s16, 0
.LBB190_3228:
	s_delay_alu instid0(SALU_CYCLE_1)
	s_and_not1_b32 vcc_lo, exec_lo, s16
	s_cbranch_vccnz .LBB190_3230
; %bb.3229:
	global_load_u16 v1, v[6:7], off
	s_wait_loadcnt 0x0
	v_cvt_f16_i16_e32 v5, v1
.LBB190_3230:
	s_mov_b32 s16, 0
.LBB190_3231:
	s_delay_alu instid0(SALU_CYCLE_1)
	s_and_not1_b32 vcc_lo, exec_lo, s16
	s_cbranch_vccnz .LBB190_3237
; %bb.3232:
	s_cmp_gt_i32 s0, 0
	s_mov_b32 s16, 0
	s_cbranch_scc0 .LBB190_3234
; %bb.3233:
	global_load_i8 v1, v[6:7], off
	s_wait_loadcnt 0x0
	v_cvt_f16_i16_e32 v5, v1
	s_branch .LBB190_3235
.LBB190_3234:
	s_mov_b32 s16, -1
                                        ; implicit-def: $vgpr5
.LBB190_3235:
	s_delay_alu instid0(SALU_CYCLE_1)
	s_and_not1_b32 vcc_lo, exec_lo, s16
	s_cbranch_vccnz .LBB190_3237
; %bb.3236:
	global_load_u8 v1, v[6:7], off
	s_wait_loadcnt 0x0
	v_cvt_f16_u16_e32 v5, v1
.LBB190_3237:
	s_mov_b32 s23, -1
.LBB190_3238:
	s_delay_alu instid0(SALU_CYCLE_1)
	s_and_not1_b32 vcc_lo, exec_lo, s23
	s_cbranch_vccnz .LBB190_4065
; %bb.3239:
	v_add_nc_u32_e32 v0, s13, v0
	s_cmp_lt_i32 s19, 11
	s_delay_alu instid0(VALU_DEP_1) | instskip(NEXT) | instid1(VALU_DEP_1)
	v_ashrrev_i32_e32 v1, 31, v0
	v_add_nc_u64_e32 v[0:1], s[6:7], v[0:1]
	s_cbranch_scc1 .LBB190_3246
; %bb.3240:
	s_and_b32 s6, 0xffff, s19
	s_mov_b32 s13, 0
	s_cmp_gt_i32 s6, 25
	s_cbranch_scc0 .LBB190_3247
; %bb.3241:
	s_cmp_gt_i32 s6, 28
	s_cbranch_scc0 .LBB190_3248
; %bb.3242:
	;; [unrolled: 3-line block ×4, first 2 shown]
	s_cmp_eq_u32 s6, 46
	s_mov_b32 s22, 0
	s_cbranch_scc0 .LBB190_3252
; %bb.3245:
	global_load_b32 v3, v[0:1], off
	s_mov_b32 s7, 0
	s_mov_b32 s16, -1
	s_wait_loadcnt 0x0
	v_lshlrev_b32_e32 v3, 16, v3
	s_wait_xcnt 0x1
	s_delay_alu instid0(VALU_DEP_1)
	v_cvt_f16_f32_e32 v6, v3
	s_branch .LBB190_3254
.LBB190_3246:
	s_mov_b32 s6, -1
	s_mov_b32 s16, 0
                                        ; implicit-def: $vgpr6
	s_branch .LBB190_3320
.LBB190_3247:
	s_mov_b32 s22, -1
	s_mov_b32 s16, 0
	s_mov_b32 s7, 0
                                        ; implicit-def: $vgpr6
	s_branch .LBB190_3283
.LBB190_3248:
	s_mov_b32 s22, -1
	s_mov_b32 s16, 0
	s_mov_b32 s7, 0
                                        ; implicit-def: $vgpr6
	s_branch .LBB190_3264
.LBB190_3249:
	s_mov_b32 s22, -1
	s_mov_b32 s16, 0
	s_mov_b32 s7, 0
                                        ; implicit-def: $vgpr6
	s_branch .LBB190_3259
.LBB190_3250:
	s_or_b32 s18, s18, exec_lo
	s_trap 2
	s_cbranch_execz .LBB190_3187
	s_branch .LBB190_3188
.LBB190_3251:
	s_mov_b32 s22, -1
	s_mov_b32 s16, 0
	s_mov_b32 s7, 0
	s_branch .LBB190_3253
.LBB190_3252:
	s_mov_b32 s7, -1
	s_mov_b32 s16, 0
.LBB190_3253:
                                        ; implicit-def: $vgpr6
.LBB190_3254:
	s_and_b32 vcc_lo, exec_lo, s22
	s_cbranch_vccz .LBB190_3258
; %bb.3255:
	s_cmp_eq_u32 s6, 44
	s_cbranch_scc0 .LBB190_3257
; %bb.3256:
	global_load_u8 v3, v[0:1], off
	s_mov_b32 s7, 0
	s_mov_b32 s16, -1
	s_wait_loadcnt 0x0
	s_wait_xcnt 0x1
	v_lshlrev_b32_e32 v6, 23, v3
	v_cmp_ne_u32_e32 vcc_lo, 0xff, v3
	s_delay_alu instid0(VALU_DEP_2) | instskip(NEXT) | instid1(VALU_DEP_1)
	v_cvt_f16_f32_e32 v6, v6
	v_cndmask_b32_e32 v6, 0x7e00, v6, vcc_lo
	v_cmp_ne_u32_e32 vcc_lo, 0, v3
	s_delay_alu instid0(VALU_DEP_2)
	v_cndmask_b32_e32 v6, 0, v6, vcc_lo
	s_branch .LBB190_3258
.LBB190_3257:
	s_mov_b32 s7, -1
                                        ; implicit-def: $vgpr6
.LBB190_3258:
	s_mov_b32 s22, 0
.LBB190_3259:
	s_delay_alu instid0(SALU_CYCLE_1)
	s_and_b32 vcc_lo, exec_lo, s22
	s_cbranch_vccz .LBB190_3263
; %bb.3260:
	s_cmp_eq_u32 s6, 29
	s_cbranch_scc0 .LBB190_3262
; %bb.3261:
	global_load_b64 v[6:7], v[0:1], off
	s_mov_b32 s7, 0
	s_mov_b32 s16, -1
	s_mov_b32 s22, 0
	s_wait_loadcnt 0x0
	v_clz_i32_u32_e32 v3, v7
	s_delay_alu instid0(VALU_DEP_1) | instskip(NEXT) | instid1(VALU_DEP_1)
	v_min_u32_e32 v3, 32, v3
	v_lshlrev_b64_e32 v[6:7], v3, v[6:7]
	v_sub_nc_u32_e32 v3, 32, v3
	s_delay_alu instid0(VALU_DEP_2) | instskip(NEXT) | instid1(VALU_DEP_1)
	v_min_u32_e32 v6, 1, v6
	v_or_b32_e32 v6, v7, v6
	s_delay_alu instid0(VALU_DEP_1) | instskip(NEXT) | instid1(VALU_DEP_1)
	v_cvt_f32_u32_e32 v6, v6
	v_ldexp_f32 v3, v6, v3
	s_delay_alu instid0(VALU_DEP_1)
	v_cvt_f16_f32_e32 v6, v3
	s_branch .LBB190_3264
.LBB190_3262:
	s_mov_b32 s7, -1
                                        ; implicit-def: $vgpr6
.LBB190_3263:
	s_mov_b32 s22, 0
.LBB190_3264:
	s_delay_alu instid0(SALU_CYCLE_1)
	s_and_b32 vcc_lo, exec_lo, s22
	s_cbranch_vccz .LBB190_3282
; %bb.3265:
	s_cmp_lt_i32 s6, 27
	s_cbranch_scc1 .LBB190_3268
; %bb.3266:
	s_cmp_gt_i32 s6, 27
	s_cbranch_scc0 .LBB190_3269
; %bb.3267:
	global_load_b32 v3, v[0:1], off
	s_mov_b32 s16, 0
	s_wait_loadcnt 0x0
	v_cvt_f32_u32_e32 v3, v3
	s_wait_xcnt 0x1
	s_delay_alu instid0(VALU_DEP_1)
	v_cvt_f16_f32_e32 v6, v3
	s_branch .LBB190_3270
.LBB190_3268:
	s_mov_b32 s16, -1
                                        ; implicit-def: $vgpr6
	s_branch .LBB190_3273
.LBB190_3269:
	s_mov_b32 s16, -1
                                        ; implicit-def: $vgpr6
.LBB190_3270:
	s_delay_alu instid0(SALU_CYCLE_1)
	s_and_not1_b32 vcc_lo, exec_lo, s16
	s_cbranch_vccnz .LBB190_3272
; %bb.3271:
	global_load_u16 v3, v[0:1], off
	s_wait_loadcnt 0x0
	s_wait_xcnt 0x1
	v_cvt_f16_u16_e32 v6, v3
.LBB190_3272:
	s_mov_b32 s16, 0
.LBB190_3273:
	s_delay_alu instid0(SALU_CYCLE_1)
	s_and_not1_b32 vcc_lo, exec_lo, s16
	s_cbranch_vccnz .LBB190_3281
; %bb.3274:
	global_load_u8 v3, v[0:1], off
	s_mov_b32 s16, 0
	s_mov_b32 s22, exec_lo
	s_wait_loadcnt 0x0
	v_cmpx_lt_i16_e32 0x7f, v3
	s_xor_b32 s22, exec_lo, s22
	s_cbranch_execz .LBB190_3295
; %bb.3275:
	s_mov_b32 s16, -1
	s_mov_b32 s23, exec_lo
	v_cmpx_eq_u16_e32 0x80, v3
; %bb.3276:
	s_xor_b32 s16, exec_lo, -1
; %bb.3277:
	s_or_b32 exec_lo, exec_lo, s23
	s_delay_alu instid0(SALU_CYCLE_1)
	s_and_b32 s16, s16, exec_lo
	s_or_saveexec_b32 s22, s22
	v_mov_b32_e32 v6, 0x7e00
	s_xor_b32 exec_lo, exec_lo, s22
	s_cbranch_execnz .LBB190_3296
.LBB190_3278:
	s_or_b32 exec_lo, exec_lo, s22
	s_and_saveexec_b32 s22, s16
	s_cbranch_execz .LBB190_3280
.LBB190_3279:
	v_and_b32_e32 v6, 0xffff, v3
	s_delay_alu instid0(VALU_DEP_1) | instskip(SKIP_1) | instid1(VALU_DEP_2)
	v_and_b32_e32 v7, 7, v6
	v_bfe_u32 v19, v6, 3, 4
	v_clz_i32_u32_e32 v17, v7
	s_delay_alu instid0(VALU_DEP_2) | instskip(NEXT) | instid1(VALU_DEP_2)
	v_cmp_eq_u32_e32 vcc_lo, 0, v19
	v_min_u32_e32 v17, 32, v17
	s_delay_alu instid0(VALU_DEP_1) | instskip(NEXT) | instid1(VALU_DEP_1)
	v_subrev_nc_u32_e32 v18, 28, v17
	v_dual_lshlrev_b32 v6, v18, v6 :: v_dual_sub_nc_u32 v17, 29, v17
	s_delay_alu instid0(VALU_DEP_1) | instskip(NEXT) | instid1(VALU_DEP_2)
	v_dual_lshlrev_b32 v3, 24, v3 :: v_dual_bitop2_b32 v6, 7, v6 bitop3:0x40
	v_cndmask_b32_e32 v17, v19, v17, vcc_lo
	s_delay_alu instid0(VALU_DEP_2) | instskip(NEXT) | instid1(VALU_DEP_3)
	v_cndmask_b32_e32 v6, v7, v6, vcc_lo
	v_and_b32_e32 v3, 0x80000000, v3
	s_delay_alu instid0(VALU_DEP_3) | instskip(NEXT) | instid1(VALU_DEP_3)
	v_lshl_add_u32 v7, v17, 23, 0x3b800000
	v_lshlrev_b32_e32 v6, 20, v6
	s_delay_alu instid0(VALU_DEP_1) | instskip(NEXT) | instid1(VALU_DEP_1)
	v_or3_b32 v3, v3, v7, v6
	v_cvt_f16_f32_e32 v6, v3
.LBB190_3280:
	s_or_b32 exec_lo, exec_lo, s22
.LBB190_3281:
	s_mov_b32 s16, -1
.LBB190_3282:
	s_mov_b32 s22, 0
.LBB190_3283:
	s_delay_alu instid0(SALU_CYCLE_1)
	s_and_b32 vcc_lo, exec_lo, s22
	s_cbranch_vccz .LBB190_3316
; %bb.3284:
	s_cmp_gt_i32 s6, 22
	s_cbranch_scc0 .LBB190_3294
; %bb.3285:
	s_cmp_lt_i32 s6, 24
	s_cbranch_scc1 .LBB190_3297
; %bb.3286:
	s_cmp_gt_i32 s6, 24
	s_cbranch_scc0 .LBB190_3298
; %bb.3287:
	global_load_u8 v3, v[0:1], off
	s_mov_b32 s16, exec_lo
	s_wait_loadcnt 0x0
	v_cmpx_lt_i16_e32 0x7f, v3
	s_xor_b32 s16, exec_lo, s16
	s_cbranch_execz .LBB190_3310
; %bb.3288:
	s_mov_b32 s13, -1
	s_mov_b32 s22, exec_lo
	v_cmpx_eq_u16_e32 0x80, v3
; %bb.3289:
	s_xor_b32 s13, exec_lo, -1
; %bb.3290:
	s_or_b32 exec_lo, exec_lo, s22
	s_delay_alu instid0(SALU_CYCLE_1)
	s_and_b32 s13, s13, exec_lo
	s_or_saveexec_b32 s16, s16
	v_mov_b32_e32 v6, 0x7e00
	s_xor_b32 exec_lo, exec_lo, s16
	s_cbranch_execnz .LBB190_3311
.LBB190_3291:
	s_or_b32 exec_lo, exec_lo, s16
	s_and_saveexec_b32 s16, s13
	s_cbranch_execz .LBB190_3293
.LBB190_3292:
	v_and_b32_e32 v6, 0xffff, v3
	s_delay_alu instid0(VALU_DEP_1) | instskip(SKIP_1) | instid1(VALU_DEP_2)
	v_and_b32_e32 v7, 3, v6
	v_bfe_u32 v19, v6, 2, 5
	v_clz_i32_u32_e32 v17, v7
	s_delay_alu instid0(VALU_DEP_2) | instskip(NEXT) | instid1(VALU_DEP_2)
	v_cmp_eq_u32_e32 vcc_lo, 0, v19
	v_min_u32_e32 v17, 32, v17
	s_delay_alu instid0(VALU_DEP_1) | instskip(NEXT) | instid1(VALU_DEP_1)
	v_subrev_nc_u32_e32 v18, 29, v17
	v_dual_lshlrev_b32 v6, v18, v6 :: v_dual_sub_nc_u32 v17, 30, v17
	s_delay_alu instid0(VALU_DEP_1) | instskip(NEXT) | instid1(VALU_DEP_2)
	v_dual_lshlrev_b32 v3, 24, v3 :: v_dual_bitop2_b32 v6, 3, v6 bitop3:0x40
	v_cndmask_b32_e32 v17, v19, v17, vcc_lo
	s_delay_alu instid0(VALU_DEP_2) | instskip(NEXT) | instid1(VALU_DEP_3)
	v_cndmask_b32_e32 v6, v7, v6, vcc_lo
	v_and_b32_e32 v3, 0x80000000, v3
	s_delay_alu instid0(VALU_DEP_3) | instskip(NEXT) | instid1(VALU_DEP_3)
	v_lshl_add_u32 v7, v17, 23, 0x37800000
	v_lshlrev_b32_e32 v6, 21, v6
	s_delay_alu instid0(VALU_DEP_1) | instskip(NEXT) | instid1(VALU_DEP_1)
	v_or3_b32 v3, v3, v7, v6
	v_cvt_f16_f32_e32 v6, v3
.LBB190_3293:
	s_or_b32 exec_lo, exec_lo, s16
	s_mov_b32 s13, 0
	s_branch .LBB190_3299
.LBB190_3294:
	s_mov_b32 s13, -1
                                        ; implicit-def: $vgpr6
	s_branch .LBB190_3305
.LBB190_3295:
	s_or_saveexec_b32 s22, s22
	v_mov_b32_e32 v6, 0x7e00
	s_xor_b32 exec_lo, exec_lo, s22
	s_cbranch_execz .LBB190_3278
.LBB190_3296:
	v_cmp_ne_u16_e32 vcc_lo, 0, v3
	v_mov_b32_e32 v6, v3
	s_and_not1_b32 s16, s16, exec_lo
	s_and_b32 s23, vcc_lo, exec_lo
	s_delay_alu instid0(SALU_CYCLE_1)
	s_or_b32 s16, s16, s23
	s_or_b32 exec_lo, exec_lo, s22
	s_and_saveexec_b32 s22, s16
	s_cbranch_execnz .LBB190_3279
	s_branch .LBB190_3280
.LBB190_3297:
	s_mov_b32 s13, -1
                                        ; implicit-def: $vgpr6
	s_branch .LBB190_3302
.LBB190_3298:
	s_mov_b32 s13, -1
                                        ; implicit-def: $vgpr6
.LBB190_3299:
	s_delay_alu instid0(SALU_CYCLE_1)
	s_and_b32 vcc_lo, exec_lo, s13
	s_cbranch_vccz .LBB190_3301
; %bb.3300:
	global_load_u8 v3, v[0:1], off
	s_wait_loadcnt 0x0
	v_lshlrev_b32_e32 v3, 24, v3
	s_wait_xcnt 0x1
	s_delay_alu instid0(VALU_DEP_1) | instskip(NEXT) | instid1(VALU_DEP_1)
	v_and_b32_e32 v6, 0x7f000000, v3
	v_clz_i32_u32_e32 v7, v6
	v_add_nc_u32_e32 v18, 0x1000000, v6
	v_cmp_ne_u32_e32 vcc_lo, 0, v6
	s_delay_alu instid0(VALU_DEP_3) | instskip(NEXT) | instid1(VALU_DEP_1)
	v_min_u32_e32 v7, 32, v7
	v_sub_nc_u32_e64 v7, v7, 4 clamp
	s_delay_alu instid0(VALU_DEP_1) | instskip(NEXT) | instid1(VALU_DEP_1)
	v_dual_lshlrev_b32 v17, v7, v6 :: v_dual_lshlrev_b32 v7, 23, v7
	v_lshrrev_b32_e32 v17, 4, v17
	s_delay_alu instid0(VALU_DEP_1) | instskip(NEXT) | instid1(VALU_DEP_1)
	v_dual_sub_nc_u32 v7, v17, v7 :: v_dual_ashrrev_i32 v17, 8, v18
	v_add_nc_u32_e32 v7, 0x3c000000, v7
	s_delay_alu instid0(VALU_DEP_1) | instskip(NEXT) | instid1(VALU_DEP_1)
	v_and_or_b32 v7, 0x7f800000, v17, v7
	v_cndmask_b32_e32 v6, 0, v7, vcc_lo
	s_delay_alu instid0(VALU_DEP_1) | instskip(NEXT) | instid1(VALU_DEP_1)
	v_and_or_b32 v3, 0x80000000, v3, v6
	v_cvt_f16_f32_e32 v6, v3
.LBB190_3301:
	s_mov_b32 s13, 0
.LBB190_3302:
	s_delay_alu instid0(SALU_CYCLE_1)
	s_and_not1_b32 vcc_lo, exec_lo, s13
	s_cbranch_vccnz .LBB190_3304
; %bb.3303:
	global_load_u8 v3, v[0:1], off
	s_wait_loadcnt 0x0
	s_wait_xcnt 0x1
	v_lshlrev_b32_e32 v6, 25, v3
	v_lshlrev_b16 v3, 8, v3
	s_delay_alu instid0(VALU_DEP_1) | instskip(SKIP_1) | instid1(VALU_DEP_2)
	v_and_or_b32 v17, 0x7f00, v3, 0.5
	v_bfe_i32 v3, v3, 0, 16
	v_dual_add_f32 v17, -0.5, v17 :: v_dual_lshrrev_b32 v7, 4, v6
	v_cmp_gt_u32_e32 vcc_lo, 0x8000000, v6
	s_delay_alu instid0(VALU_DEP_2) | instskip(NEXT) | instid1(VALU_DEP_1)
	v_or_b32_e32 v7, 0x70000000, v7
	v_mul_f32_e32 v7, 0x7800000, v7
	s_delay_alu instid0(VALU_DEP_1) | instskip(NEXT) | instid1(VALU_DEP_1)
	v_cndmask_b32_e32 v6, v7, v17, vcc_lo
	v_and_or_b32 v3, 0x80000000, v3, v6
	s_delay_alu instid0(VALU_DEP_1)
	v_cvt_f16_f32_e32 v6, v3
.LBB190_3304:
	s_mov_b32 s13, 0
	s_mov_b32 s16, -1
.LBB190_3305:
	s_and_not1_b32 vcc_lo, exec_lo, s13
	s_mov_b32 s13, 0
	s_cbranch_vccnz .LBB190_3316
; %bb.3306:
	s_cmp_gt_i32 s6, 14
	s_cbranch_scc0 .LBB190_3309
; %bb.3307:
	s_cmp_eq_u32 s6, 15
	s_cbranch_scc0 .LBB190_3312
; %bb.3308:
	global_load_u16 v3, v[0:1], off
	s_mov_b32 s7, 0
	s_mov_b32 s16, -1
	s_wait_loadcnt 0x0
	v_lshlrev_b32_e32 v3, 16, v3
	s_wait_xcnt 0x1
	s_delay_alu instid0(VALU_DEP_1)
	v_cvt_f16_f32_e32 v6, v3
	s_branch .LBB190_3314
.LBB190_3309:
	s_mov_b32 s13, -1
	s_branch .LBB190_3313
.LBB190_3310:
	s_or_saveexec_b32 s16, s16
	v_mov_b32_e32 v6, 0x7e00
	s_xor_b32 exec_lo, exec_lo, s16
	s_cbranch_execz .LBB190_3291
.LBB190_3311:
	v_cmp_ne_u16_e32 vcc_lo, 0, v3
	v_mov_b32_e32 v6, v3
	s_and_not1_b32 s13, s13, exec_lo
	s_and_b32 s22, vcc_lo, exec_lo
	s_delay_alu instid0(SALU_CYCLE_1)
	s_or_b32 s13, s13, s22
	s_or_b32 exec_lo, exec_lo, s16
	s_and_saveexec_b32 s16, s13
	s_cbranch_execnz .LBB190_3292
	s_branch .LBB190_3293
.LBB190_3312:
	s_mov_b32 s7, -1
.LBB190_3313:
                                        ; implicit-def: $vgpr6
.LBB190_3314:
	s_and_b32 vcc_lo, exec_lo, s13
	s_mov_b32 s13, 0
	s_cbranch_vccz .LBB190_3316
; %bb.3315:
	s_cmp_lg_u32 s6, 11
	s_mov_b32 s13, -1
	s_cselect_b32 s7, -1, 0
.LBB190_3316:
	s_delay_alu instid0(SALU_CYCLE_1)
	s_and_b32 vcc_lo, exec_lo, s7
	s_cbranch_vccnz .LBB190_3381
; %bb.3317:
	s_and_not1_b32 vcc_lo, exec_lo, s13
	s_cbranch_vccnz .LBB190_3319
.LBB190_3318:
	global_load_u8 v3, v[0:1], off
	s_mov_b32 s16, -1
	s_wait_loadcnt 0x0
	v_cmp_ne_u16_e32 vcc_lo, 0, v3
	s_wait_xcnt 0x1
	v_cndmask_b32_e64 v6, 0, 0x3c00, vcc_lo
.LBB190_3319:
	s_mov_b32 s6, 0
.LBB190_3320:
	s_delay_alu instid0(SALU_CYCLE_1)
	s_and_b32 vcc_lo, exec_lo, s6
	s_cbranch_vccz .LBB190_3369
; %bb.3321:
	s_and_b32 s6, 0xffff, s19
	s_delay_alu instid0(SALU_CYCLE_1)
	s_cmp_lt_i32 s6, 5
	s_cbranch_scc1 .LBB190_3326
; %bb.3322:
	s_cmp_lt_i32 s6, 8
	s_cbranch_scc1 .LBB190_3327
; %bb.3323:
	;; [unrolled: 3-line block ×3, first 2 shown]
	s_cmp_gt_i32 s6, 9
	s_cbranch_scc0 .LBB190_3329
; %bb.3325:
	global_load_b64 v[6:7], v[0:1], off
	s_mov_b32 s7, 0
	s_wait_loadcnt 0x0
	v_and_or_b32 v3, 0x1ff, v7, v6
	v_lshrrev_b32_e32 v6, 8, v7
	v_bfe_u32 v17, v7, 20, 11
	s_delay_alu instid0(VALU_DEP_3) | instskip(NEXT) | instid1(VALU_DEP_2)
	v_cmp_ne_u32_e32 vcc_lo, 0, v3
	v_sub_nc_u32_e32 v18, 0x3f1, v17
	v_cndmask_b32_e64 v3, 0, 1, vcc_lo
	s_delay_alu instid0(VALU_DEP_1) | instskip(NEXT) | instid1(VALU_DEP_3)
	v_and_or_b32 v3, 0xffe, v6, v3
	v_med3_i32 v6, v18, 0, 13
	s_delay_alu instid0(VALU_DEP_2) | instskip(NEXT) | instid1(VALU_DEP_1)
	v_or_b32_e32 v18, 0x1000, v3
	v_lshrrev_b32_e32 v19, v6, v18
	s_delay_alu instid0(VALU_DEP_1) | instskip(NEXT) | instid1(VALU_DEP_1)
	v_lshlrev_b32_e32 v6, v6, v19
	v_cmp_ne_u32_e32 vcc_lo, v6, v18
	v_cndmask_b32_e64 v6, 0, 1, vcc_lo
	s_delay_alu instid0(VALU_DEP_1) | instskip(SKIP_1) | instid1(VALU_DEP_1)
	v_or_b32_e32 v6, v19, v6
	v_add_nc_u32_e32 v17, 0xfffffc10, v17
	v_lshl_or_b32 v18, v17, 12, v3
	v_cmp_gt_i32_e32 vcc_lo, 1, v17
	s_delay_alu instid0(VALU_DEP_2) | instskip(NEXT) | instid1(VALU_DEP_1)
	v_cndmask_b32_e32 v6, v18, v6, vcc_lo
	v_dual_lshrrev_b32 v6, 2, v6 :: v_dual_bitop2_b32 v18, 7, v6 bitop3:0x40
	s_delay_alu instid0(VALU_DEP_1) | instskip(SKIP_4) | instid1(VALU_DEP_2)
	v_cmp_lt_i32_e32 vcc_lo, 5, v18
	v_cndmask_b32_e64 v19, 0, 1, vcc_lo
	v_cmp_eq_u32_e32 vcc_lo, 3, v18
	v_cndmask_b32_e64 v18, 0, 1, vcc_lo
	v_cmp_ne_u32_e32 vcc_lo, 0, v3
	v_or_b32_e32 v18, v18, v19
	s_delay_alu instid0(VALU_DEP_1) | instskip(NEXT) | instid1(VALU_DEP_1)
	v_dual_mov_b32 v19, 0x7e00 :: v_dual_add_nc_u32 v6, v6, v18
	v_cndmask_b32_e32 v3, 0x7c00, v19, vcc_lo
	v_cmp_gt_i32_e32 vcc_lo, 31, v17
	s_delay_alu instid0(VALU_DEP_3) | instskip(SKIP_1) | instid1(VALU_DEP_2)
	v_cndmask_b32_e32 v6, 0x7c00, v6, vcc_lo
	v_cmp_eq_u32_e32 vcc_lo, 0x40f, v17
	v_cndmask_b32_e32 v3, v6, v3, vcc_lo
	v_lshrrev_b32_e32 v6, 16, v7
	s_delay_alu instid0(VALU_DEP_1)
	v_and_or_b32 v6, 0x8000, v6, v3
	s_branch .LBB190_3330
.LBB190_3326:
	s_mov_b32 s7, -1
                                        ; implicit-def: $vgpr6
	s_branch .LBB190_3348
.LBB190_3327:
	s_mov_b32 s7, -1
                                        ; implicit-def: $vgpr6
	s_branch .LBB190_3336
.LBB190_3328:
	s_mov_b32 s7, -1
                                        ; implicit-def: $vgpr6
	s_branch .LBB190_3333
.LBB190_3329:
	s_mov_b32 s7, -1
                                        ; implicit-def: $vgpr6
.LBB190_3330:
	s_delay_alu instid0(SALU_CYCLE_1)
	s_and_not1_b32 vcc_lo, exec_lo, s7
	s_cbranch_vccnz .LBB190_3332
; %bb.3331:
	global_load_b32 v3, v[0:1], off
	s_wait_loadcnt 0x0
	s_wait_xcnt 0x1
	v_cvt_f16_f32_e32 v6, v3
.LBB190_3332:
	s_mov_b32 s7, 0
.LBB190_3333:
	s_delay_alu instid0(SALU_CYCLE_1)
	s_and_not1_b32 vcc_lo, exec_lo, s7
	s_cbranch_vccnz .LBB190_3335
; %bb.3334:
	global_load_b32 v6, v[0:1], off
.LBB190_3335:
	s_mov_b32 s7, 0
.LBB190_3336:
	s_delay_alu instid0(SALU_CYCLE_1)
	s_and_not1_b32 vcc_lo, exec_lo, s7
	s_cbranch_vccnz .LBB190_3347
; %bb.3337:
	s_cmp_lt_i32 s6, 6
	s_cbranch_scc1 .LBB190_3340
; %bb.3338:
	s_cmp_gt_i32 s6, 6
	s_cbranch_scc0 .LBB190_3341
; %bb.3339:
	s_wait_loadcnt 0x0
	global_load_b64 v[6:7], v[0:1], off
	s_mov_b32 s7, 0
	s_wait_loadcnt 0x0
	v_and_or_b32 v3, 0x1ff, v7, v6
	v_lshrrev_b32_e32 v6, 8, v7
	v_bfe_u32 v17, v7, 20, 11
	s_delay_alu instid0(VALU_DEP_3) | instskip(NEXT) | instid1(VALU_DEP_2)
	v_cmp_ne_u32_e32 vcc_lo, 0, v3
	v_sub_nc_u32_e32 v18, 0x3f1, v17
	v_cndmask_b32_e64 v3, 0, 1, vcc_lo
	s_delay_alu instid0(VALU_DEP_1) | instskip(NEXT) | instid1(VALU_DEP_3)
	v_and_or_b32 v3, 0xffe, v6, v3
	v_med3_i32 v6, v18, 0, 13
	s_delay_alu instid0(VALU_DEP_2) | instskip(NEXT) | instid1(VALU_DEP_1)
	v_or_b32_e32 v18, 0x1000, v3
	v_lshrrev_b32_e32 v19, v6, v18
	s_delay_alu instid0(VALU_DEP_1) | instskip(NEXT) | instid1(VALU_DEP_1)
	v_lshlrev_b32_e32 v6, v6, v19
	v_cmp_ne_u32_e32 vcc_lo, v6, v18
	v_cndmask_b32_e64 v6, 0, 1, vcc_lo
	s_delay_alu instid0(VALU_DEP_1) | instskip(SKIP_1) | instid1(VALU_DEP_1)
	v_or_b32_e32 v6, v19, v6
	v_add_nc_u32_e32 v17, 0xfffffc10, v17
	v_lshl_or_b32 v18, v17, 12, v3
	v_cmp_gt_i32_e32 vcc_lo, 1, v17
	s_delay_alu instid0(VALU_DEP_2) | instskip(NEXT) | instid1(VALU_DEP_1)
	v_cndmask_b32_e32 v6, v18, v6, vcc_lo
	v_dual_lshrrev_b32 v6, 2, v6 :: v_dual_bitop2_b32 v18, 7, v6 bitop3:0x40
	s_delay_alu instid0(VALU_DEP_1) | instskip(SKIP_4) | instid1(VALU_DEP_2)
	v_cmp_lt_i32_e32 vcc_lo, 5, v18
	v_cndmask_b32_e64 v19, 0, 1, vcc_lo
	v_cmp_eq_u32_e32 vcc_lo, 3, v18
	v_cndmask_b32_e64 v18, 0, 1, vcc_lo
	v_cmp_ne_u32_e32 vcc_lo, 0, v3
	v_or_b32_e32 v18, v18, v19
	s_delay_alu instid0(VALU_DEP_1) | instskip(NEXT) | instid1(VALU_DEP_1)
	v_dual_mov_b32 v19, 0x7e00 :: v_dual_add_nc_u32 v6, v6, v18
	v_cndmask_b32_e32 v3, 0x7c00, v19, vcc_lo
	v_cmp_gt_i32_e32 vcc_lo, 31, v17
	s_delay_alu instid0(VALU_DEP_3) | instskip(SKIP_1) | instid1(VALU_DEP_2)
	v_cndmask_b32_e32 v6, 0x7c00, v6, vcc_lo
	v_cmp_eq_u32_e32 vcc_lo, 0x40f, v17
	v_cndmask_b32_e32 v3, v6, v3, vcc_lo
	v_lshrrev_b32_e32 v6, 16, v7
	s_delay_alu instid0(VALU_DEP_1)
	v_and_or_b32 v6, 0x8000, v6, v3
	s_branch .LBB190_3342
.LBB190_3340:
	s_mov_b32 s7, -1
                                        ; implicit-def: $vgpr6
	s_branch .LBB190_3345
.LBB190_3341:
	s_mov_b32 s7, -1
                                        ; implicit-def: $vgpr6
.LBB190_3342:
	s_delay_alu instid0(SALU_CYCLE_1)
	s_and_not1_b32 vcc_lo, exec_lo, s7
	s_cbranch_vccnz .LBB190_3344
; %bb.3343:
	global_load_b32 v3, v[0:1], off
	s_wait_loadcnt 0x0
	s_wait_xcnt 0x1
	v_cvt_f16_f32_e32 v6, v3
.LBB190_3344:
	s_mov_b32 s7, 0
.LBB190_3345:
	s_delay_alu instid0(SALU_CYCLE_1)
	s_and_not1_b32 vcc_lo, exec_lo, s7
	s_cbranch_vccnz .LBB190_3347
; %bb.3346:
	s_wait_loadcnt 0x0
	global_load_u16 v6, v[0:1], off
.LBB190_3347:
	s_mov_b32 s7, 0
.LBB190_3348:
	s_delay_alu instid0(SALU_CYCLE_1)
	s_and_not1_b32 vcc_lo, exec_lo, s7
	s_cbranch_vccnz .LBB190_3368
; %bb.3349:
	s_cmp_lt_i32 s6, 2
	s_cbranch_scc1 .LBB190_3353
; %bb.3350:
	s_cmp_lt_i32 s6, 3
	s_cbranch_scc1 .LBB190_3354
; %bb.3351:
	s_cmp_gt_i32 s6, 3
	s_cbranch_scc0 .LBB190_3355
; %bb.3352:
	s_wait_loadcnt 0x0
	global_load_b64 v[6:7], v[0:1], off
	s_mov_b32 s7, 0
	s_wait_loadcnt 0x0
	v_xor_b32_e32 v3, v6, v7
	v_cls_i32_e32 v17, v7
	s_delay_alu instid0(VALU_DEP_2) | instskip(NEXT) | instid1(VALU_DEP_1)
	v_ashrrev_i32_e32 v3, 31, v3
	v_add_nc_u32_e32 v3, 32, v3
	s_delay_alu instid0(VALU_DEP_1) | instskip(NEXT) | instid1(VALU_DEP_1)
	v_add_min_u32_e64 v3, v17, -1, v3
	v_lshlrev_b64_e32 v[6:7], v3, v[6:7]
	v_sub_nc_u32_e32 v3, 32, v3
	s_delay_alu instid0(VALU_DEP_2) | instskip(NEXT) | instid1(VALU_DEP_1)
	v_min_u32_e32 v6, 1, v6
	v_or_b32_e32 v6, v7, v6
	s_delay_alu instid0(VALU_DEP_1) | instskip(NEXT) | instid1(VALU_DEP_1)
	v_cvt_f32_i32_e32 v6, v6
	v_ldexp_f32 v3, v6, v3
	s_delay_alu instid0(VALU_DEP_1)
	v_cvt_f16_f32_e32 v6, v3
	s_branch .LBB190_3356
.LBB190_3353:
	s_mov_b32 s7, -1
                                        ; implicit-def: $vgpr6
	s_branch .LBB190_3362
.LBB190_3354:
	s_mov_b32 s7, -1
                                        ; implicit-def: $vgpr6
	s_branch .LBB190_3359
.LBB190_3355:
	s_mov_b32 s7, -1
                                        ; implicit-def: $vgpr6
.LBB190_3356:
	s_delay_alu instid0(SALU_CYCLE_1)
	s_and_not1_b32 vcc_lo, exec_lo, s7
	s_cbranch_vccnz .LBB190_3358
; %bb.3357:
	global_load_b32 v3, v[0:1], off
	s_wait_loadcnt 0x0
	v_cvt_f32_i32_e32 v3, v3
	s_wait_xcnt 0x1
	s_delay_alu instid0(VALU_DEP_1)
	v_cvt_f16_f32_e32 v6, v3
.LBB190_3358:
	s_mov_b32 s7, 0
.LBB190_3359:
	s_delay_alu instid0(SALU_CYCLE_1)
	s_and_not1_b32 vcc_lo, exec_lo, s7
	s_cbranch_vccnz .LBB190_3361
; %bb.3360:
	global_load_u16 v3, v[0:1], off
	s_wait_loadcnt 0x0
	s_wait_xcnt 0x1
	v_cvt_f16_i16_e32 v6, v3
.LBB190_3361:
	s_mov_b32 s7, 0
.LBB190_3362:
	s_delay_alu instid0(SALU_CYCLE_1)
	s_and_not1_b32 vcc_lo, exec_lo, s7
	s_cbranch_vccnz .LBB190_3368
; %bb.3363:
	s_cmp_gt_i32 s6, 0
	s_mov_b32 s6, 0
	s_cbranch_scc0 .LBB190_3365
; %bb.3364:
	global_load_i8 v3, v[0:1], off
	s_wait_loadcnt 0x0
	s_wait_xcnt 0x1
	v_cvt_f16_i16_e32 v6, v3
	s_branch .LBB190_3366
.LBB190_3365:
	s_mov_b32 s6, -1
                                        ; implicit-def: $vgpr6
.LBB190_3366:
	s_delay_alu instid0(SALU_CYCLE_1)
	s_and_not1_b32 vcc_lo, exec_lo, s6
	s_cbranch_vccnz .LBB190_3368
; %bb.3367:
	global_load_u8 v0, v[0:1], off
	s_wait_loadcnt 0x0
	v_cvt_f16_u16_e32 v6, v0
.LBB190_3368:
	s_mov_b32 s16, -1
.LBB190_3369:
	s_delay_alu instid0(SALU_CYCLE_1)
	s_and_not1_b32 vcc_lo, exec_lo, s16
	s_cbranch_vccnz .LBB190_4065
; %bb.3370:
	s_wait_xcnt 0x0
	v_add_nc_u32_e32 v0, s14, v2
	s_cmp_lt_i32 s17, 11
	s_delay_alu instid0(VALU_DEP_1) | instskip(NEXT) | instid1(VALU_DEP_1)
	v_ashrrev_i32_e32 v1, 31, v0
	v_add_nc_u64_e32 v[0:1], s[8:9], v[0:1]
	s_cbranch_scc1 .LBB190_3377
; %bb.3371:
	s_and_b32 s6, 0xffff, s17
	s_mov_b32 s8, 0
	s_cmp_gt_i32 s6, 25
	s_cbranch_scc0 .LBB190_3378
; %bb.3372:
	s_cmp_gt_i32 s6, 28
	s_cbranch_scc0 .LBB190_3379
; %bb.3373:
	;; [unrolled: 3-line block ×4, first 2 shown]
	s_cmp_eq_u32 s6, 46
	s_mov_b32 s13, 0
	s_cbranch_scc0 .LBB190_3383
; %bb.3376:
	global_load_b32 v2, v[0:1], off
	s_mov_b32 s7, 0
	s_mov_b32 s9, -1
	s_wait_loadcnt 0x0
	v_lshlrev_b32_e32 v2, 16, v2
	s_delay_alu instid0(VALU_DEP_1)
	v_cvt_f16_f32_e32 v7, v2
	s_branch .LBB190_3385
.LBB190_3377:
	s_mov_b32 s6, -1
	s_mov_b32 s9, 0
                                        ; implicit-def: $vgpr7
	s_branch .LBB190_3451
.LBB190_3378:
	s_mov_b32 s13, -1
	s_mov_b32 s9, 0
	s_mov_b32 s7, 0
                                        ; implicit-def: $vgpr7
	s_branch .LBB190_3414
.LBB190_3379:
	s_mov_b32 s13, -1
	s_mov_b32 s9, 0
	s_mov_b32 s7, 0
                                        ; implicit-def: $vgpr7
	s_branch .LBB190_3395
.LBB190_3380:
	s_mov_b32 s13, -1
	s_mov_b32 s9, 0
	s_mov_b32 s7, 0
                                        ; implicit-def: $vgpr7
	s_branch .LBB190_3390
.LBB190_3381:
	s_or_b32 s18, s18, exec_lo
	s_trap 2
	s_cbranch_execz .LBB190_3318
	s_branch .LBB190_3319
.LBB190_3382:
	s_mov_b32 s13, -1
	s_mov_b32 s9, 0
	s_mov_b32 s7, 0
	s_branch .LBB190_3384
.LBB190_3383:
	s_mov_b32 s7, -1
	s_mov_b32 s9, 0
.LBB190_3384:
                                        ; implicit-def: $vgpr7
.LBB190_3385:
	s_and_b32 vcc_lo, exec_lo, s13
	s_cbranch_vccz .LBB190_3389
; %bb.3386:
	s_cmp_eq_u32 s6, 44
	s_cbranch_scc0 .LBB190_3388
; %bb.3387:
	global_load_u8 v2, v[0:1], off
	s_mov_b32 s7, 0
	s_mov_b32 s9, -1
	s_wait_loadcnt 0x0
	v_lshlrev_b32_e32 v3, 23, v2
	v_cmp_ne_u32_e32 vcc_lo, 0xff, v2
	s_delay_alu instid0(VALU_DEP_2) | instskip(NEXT) | instid1(VALU_DEP_1)
	v_cvt_f16_f32_e32 v3, v3
	v_cndmask_b32_e32 v3, 0x7e00, v3, vcc_lo
	v_cmp_ne_u32_e32 vcc_lo, 0, v2
	s_delay_alu instid0(VALU_DEP_2)
	v_cndmask_b32_e32 v7, 0, v3, vcc_lo
	s_branch .LBB190_3389
.LBB190_3388:
	s_mov_b32 s7, -1
                                        ; implicit-def: $vgpr7
.LBB190_3389:
	s_mov_b32 s13, 0
.LBB190_3390:
	s_delay_alu instid0(SALU_CYCLE_1)
	s_and_b32 vcc_lo, exec_lo, s13
	s_cbranch_vccz .LBB190_3394
; %bb.3391:
	s_cmp_eq_u32 s6, 29
	s_cbranch_scc0 .LBB190_3393
; %bb.3392:
	global_load_b64 v[2:3], v[0:1], off
	s_mov_b32 s7, 0
	s_mov_b32 s9, -1
	s_mov_b32 s13, 0
	s_wait_loadcnt 0x0
	v_clz_i32_u32_e32 v7, v3
	s_delay_alu instid0(VALU_DEP_1) | instskip(NEXT) | instid1(VALU_DEP_1)
	v_min_u32_e32 v7, 32, v7
	v_lshlrev_b64_e32 v[2:3], v7, v[2:3]
	s_delay_alu instid0(VALU_DEP_1) | instskip(NEXT) | instid1(VALU_DEP_1)
	v_min_u32_e32 v2, 1, v2
	v_dual_sub_nc_u32 v3, 32, v7 :: v_dual_bitop2_b32 v2, v3, v2 bitop3:0x54
	s_delay_alu instid0(VALU_DEP_1) | instskip(NEXT) | instid1(VALU_DEP_1)
	v_cvt_f32_u32_e32 v2, v2
	v_ldexp_f32 v2, v2, v3
	s_delay_alu instid0(VALU_DEP_1)
	v_cvt_f16_f32_e32 v7, v2
	s_branch .LBB190_3395
.LBB190_3393:
	s_mov_b32 s7, -1
                                        ; implicit-def: $vgpr7
.LBB190_3394:
	s_mov_b32 s13, 0
.LBB190_3395:
	s_delay_alu instid0(SALU_CYCLE_1)
	s_and_b32 vcc_lo, exec_lo, s13
	s_cbranch_vccz .LBB190_3413
; %bb.3396:
	s_cmp_lt_i32 s6, 27
	s_cbranch_scc1 .LBB190_3399
; %bb.3397:
	s_cmp_gt_i32 s6, 27
	s_cbranch_scc0 .LBB190_3400
; %bb.3398:
	global_load_b32 v2, v[0:1], off
	s_mov_b32 s9, 0
	s_wait_loadcnt 0x0
	v_cvt_f32_u32_e32 v2, v2
	s_delay_alu instid0(VALU_DEP_1)
	v_cvt_f16_f32_e32 v7, v2
	s_branch .LBB190_3401
.LBB190_3399:
	s_mov_b32 s9, -1
                                        ; implicit-def: $vgpr7
	s_branch .LBB190_3404
.LBB190_3400:
	s_mov_b32 s9, -1
                                        ; implicit-def: $vgpr7
.LBB190_3401:
	s_delay_alu instid0(SALU_CYCLE_1)
	s_and_not1_b32 vcc_lo, exec_lo, s9
	s_cbranch_vccnz .LBB190_3403
; %bb.3402:
	global_load_u16 v2, v[0:1], off
	s_wait_loadcnt 0x0
	v_cvt_f16_u16_e32 v7, v2
.LBB190_3403:
	s_mov_b32 s9, 0
.LBB190_3404:
	s_delay_alu instid0(SALU_CYCLE_1)
	s_and_not1_b32 vcc_lo, exec_lo, s9
	s_cbranch_vccnz .LBB190_3412
; %bb.3405:
	global_load_u8 v2, v[0:1], off
	s_mov_b32 s9, 0
	s_mov_b32 s13, exec_lo
	s_wait_loadcnt 0x0
	v_cmpx_lt_i16_e32 0x7f, v2
	s_xor_b32 s13, exec_lo, s13
	s_cbranch_execz .LBB190_3426
; %bb.3406:
	s_mov_b32 s9, -1
	s_mov_b32 s14, exec_lo
	v_cmpx_eq_u16_e32 0x80, v2
; %bb.3407:
	s_xor_b32 s9, exec_lo, -1
; %bb.3408:
	s_or_b32 exec_lo, exec_lo, s14
	s_delay_alu instid0(SALU_CYCLE_1)
	s_and_b32 s9, s9, exec_lo
	s_or_saveexec_b32 s13, s13
	v_mov_b32_e32 v7, 0x7e00
	s_xor_b32 exec_lo, exec_lo, s13
	s_cbranch_execnz .LBB190_3427
.LBB190_3409:
	s_or_b32 exec_lo, exec_lo, s13
	s_and_saveexec_b32 s13, s9
	s_cbranch_execz .LBB190_3411
.LBB190_3410:
	v_and_b32_e32 v3, 0xffff, v2
	s_delay_alu instid0(VALU_DEP_1) | instskip(SKIP_1) | instid1(VALU_DEP_2)
	v_and_b32_e32 v7, 7, v3
	v_bfe_u32 v19, v3, 3, 4
	v_clz_i32_u32_e32 v17, v7
	s_delay_alu instid0(VALU_DEP_2) | instskip(NEXT) | instid1(VALU_DEP_2)
	v_cmp_eq_u32_e32 vcc_lo, 0, v19
	v_min_u32_e32 v17, 32, v17
	s_delay_alu instid0(VALU_DEP_1) | instskip(NEXT) | instid1(VALU_DEP_1)
	v_subrev_nc_u32_e32 v18, 28, v17
	v_dual_lshlrev_b32 v3, v18, v3 :: v_dual_sub_nc_u32 v17, 29, v17
	s_delay_alu instid0(VALU_DEP_1) | instskip(NEXT) | instid1(VALU_DEP_2)
	v_dual_lshlrev_b32 v2, 24, v2 :: v_dual_bitop2_b32 v3, 7, v3 bitop3:0x40
	v_cndmask_b32_e32 v17, v19, v17, vcc_lo
	s_delay_alu instid0(VALU_DEP_2) | instskip(NEXT) | instid1(VALU_DEP_3)
	v_cndmask_b32_e32 v3, v7, v3, vcc_lo
	v_and_b32_e32 v2, 0x80000000, v2
	s_delay_alu instid0(VALU_DEP_3) | instskip(NEXT) | instid1(VALU_DEP_3)
	v_lshl_add_u32 v7, v17, 23, 0x3b800000
	v_lshlrev_b32_e32 v3, 20, v3
	s_delay_alu instid0(VALU_DEP_1) | instskip(NEXT) | instid1(VALU_DEP_1)
	v_or3_b32 v2, v2, v7, v3
	v_cvt_f16_f32_e32 v7, v2
.LBB190_3411:
	s_or_b32 exec_lo, exec_lo, s13
.LBB190_3412:
	s_mov_b32 s9, -1
.LBB190_3413:
	s_mov_b32 s13, 0
.LBB190_3414:
	s_delay_alu instid0(SALU_CYCLE_1)
	s_and_b32 vcc_lo, exec_lo, s13
	s_cbranch_vccz .LBB190_3447
; %bb.3415:
	s_cmp_gt_i32 s6, 22
	s_cbranch_scc0 .LBB190_3425
; %bb.3416:
	s_cmp_lt_i32 s6, 24
	s_cbranch_scc1 .LBB190_3428
; %bb.3417:
	s_cmp_gt_i32 s6, 24
	s_cbranch_scc0 .LBB190_3429
; %bb.3418:
	global_load_u8 v2, v[0:1], off
	s_mov_b32 s9, exec_lo
	s_wait_loadcnt 0x0
	v_cmpx_lt_i16_e32 0x7f, v2
	s_xor_b32 s9, exec_lo, s9
	s_cbranch_execz .LBB190_3441
; %bb.3419:
	s_mov_b32 s8, -1
	s_mov_b32 s13, exec_lo
	v_cmpx_eq_u16_e32 0x80, v2
; %bb.3420:
	s_xor_b32 s8, exec_lo, -1
; %bb.3421:
	s_or_b32 exec_lo, exec_lo, s13
	s_delay_alu instid0(SALU_CYCLE_1)
	s_and_b32 s8, s8, exec_lo
	s_or_saveexec_b32 s9, s9
	v_mov_b32_e32 v7, 0x7e00
	s_xor_b32 exec_lo, exec_lo, s9
	s_cbranch_execnz .LBB190_3442
.LBB190_3422:
	s_or_b32 exec_lo, exec_lo, s9
	s_and_saveexec_b32 s9, s8
	s_cbranch_execz .LBB190_3424
.LBB190_3423:
	v_and_b32_e32 v3, 0xffff, v2
	s_delay_alu instid0(VALU_DEP_1) | instskip(SKIP_1) | instid1(VALU_DEP_2)
	v_and_b32_e32 v7, 3, v3
	v_bfe_u32 v19, v3, 2, 5
	v_clz_i32_u32_e32 v17, v7
	s_delay_alu instid0(VALU_DEP_2) | instskip(NEXT) | instid1(VALU_DEP_2)
	v_cmp_eq_u32_e32 vcc_lo, 0, v19
	v_min_u32_e32 v17, 32, v17
	s_delay_alu instid0(VALU_DEP_1) | instskip(NEXT) | instid1(VALU_DEP_1)
	v_subrev_nc_u32_e32 v18, 29, v17
	v_dual_lshlrev_b32 v3, v18, v3 :: v_dual_sub_nc_u32 v17, 30, v17
	s_delay_alu instid0(VALU_DEP_1) | instskip(NEXT) | instid1(VALU_DEP_2)
	v_dual_lshlrev_b32 v2, 24, v2 :: v_dual_bitop2_b32 v3, 3, v3 bitop3:0x40
	v_cndmask_b32_e32 v17, v19, v17, vcc_lo
	s_delay_alu instid0(VALU_DEP_2) | instskip(NEXT) | instid1(VALU_DEP_3)
	v_cndmask_b32_e32 v3, v7, v3, vcc_lo
	v_and_b32_e32 v2, 0x80000000, v2
	s_delay_alu instid0(VALU_DEP_3) | instskip(NEXT) | instid1(VALU_DEP_3)
	v_lshl_add_u32 v7, v17, 23, 0x37800000
	v_lshlrev_b32_e32 v3, 21, v3
	s_delay_alu instid0(VALU_DEP_1) | instskip(NEXT) | instid1(VALU_DEP_1)
	v_or3_b32 v2, v2, v7, v3
	v_cvt_f16_f32_e32 v7, v2
.LBB190_3424:
	s_or_b32 exec_lo, exec_lo, s9
	s_mov_b32 s8, 0
	s_branch .LBB190_3430
.LBB190_3425:
	s_mov_b32 s8, -1
                                        ; implicit-def: $vgpr7
	s_branch .LBB190_3436
.LBB190_3426:
	s_or_saveexec_b32 s13, s13
	v_mov_b32_e32 v7, 0x7e00
	s_xor_b32 exec_lo, exec_lo, s13
	s_cbranch_execz .LBB190_3409
.LBB190_3427:
	v_cmp_ne_u16_e32 vcc_lo, 0, v2
	v_mov_b32_e32 v7, v2
	s_and_not1_b32 s9, s9, exec_lo
	s_and_b32 s14, vcc_lo, exec_lo
	s_delay_alu instid0(SALU_CYCLE_1)
	s_or_b32 s9, s9, s14
	s_or_b32 exec_lo, exec_lo, s13
	s_and_saveexec_b32 s13, s9
	s_cbranch_execnz .LBB190_3410
	s_branch .LBB190_3411
.LBB190_3428:
	s_mov_b32 s8, -1
                                        ; implicit-def: $vgpr7
	s_branch .LBB190_3433
.LBB190_3429:
	s_mov_b32 s8, -1
                                        ; implicit-def: $vgpr7
.LBB190_3430:
	s_delay_alu instid0(SALU_CYCLE_1)
	s_and_b32 vcc_lo, exec_lo, s8
	s_cbranch_vccz .LBB190_3432
; %bb.3431:
	global_load_u8 v2, v[0:1], off
	s_wait_loadcnt 0x0
	v_lshlrev_b32_e32 v2, 24, v2
	s_delay_alu instid0(VALU_DEP_1) | instskip(NEXT) | instid1(VALU_DEP_1)
	v_and_b32_e32 v3, 0x7f000000, v2
	v_clz_i32_u32_e32 v7, v3
	v_add_nc_u32_e32 v18, 0x1000000, v3
	v_cmp_ne_u32_e32 vcc_lo, 0, v3
	s_delay_alu instid0(VALU_DEP_3) | instskip(NEXT) | instid1(VALU_DEP_1)
	v_min_u32_e32 v7, 32, v7
	v_sub_nc_u32_e64 v7, v7, 4 clamp
	s_delay_alu instid0(VALU_DEP_1) | instskip(NEXT) | instid1(VALU_DEP_1)
	v_lshlrev_b32_e32 v17, v7, v3
	v_dual_lshlrev_b32 v7, 23, v7 :: v_dual_lshrrev_b32 v17, 4, v17
	s_delay_alu instid0(VALU_DEP_1) | instskip(NEXT) | instid1(VALU_DEP_1)
	v_dual_sub_nc_u32 v7, v17, v7 :: v_dual_ashrrev_i32 v17, 8, v18
	v_add_nc_u32_e32 v7, 0x3c000000, v7
	s_delay_alu instid0(VALU_DEP_1) | instskip(NEXT) | instid1(VALU_DEP_1)
	v_and_or_b32 v7, 0x7f800000, v17, v7
	v_cndmask_b32_e32 v3, 0, v7, vcc_lo
	s_delay_alu instid0(VALU_DEP_1) | instskip(NEXT) | instid1(VALU_DEP_1)
	v_and_or_b32 v2, 0x80000000, v2, v3
	v_cvt_f16_f32_e32 v7, v2
.LBB190_3432:
	s_mov_b32 s8, 0
.LBB190_3433:
	s_delay_alu instid0(SALU_CYCLE_1)
	s_and_not1_b32 vcc_lo, exec_lo, s8
	s_cbranch_vccnz .LBB190_3435
; %bb.3434:
	global_load_u8 v2, v[0:1], off
	s_wait_loadcnt 0x0
	v_lshlrev_b32_e32 v3, 25, v2
	v_lshlrev_b16 v2, 8, v2
	s_delay_alu instid0(VALU_DEP_1) | instskip(SKIP_1) | instid1(VALU_DEP_2)
	v_and_or_b32 v17, 0x7f00, v2, 0.5
	v_bfe_i32 v2, v2, 0, 16
	v_dual_add_f32 v17, -0.5, v17 :: v_dual_lshrrev_b32 v7, 4, v3
	v_cmp_gt_u32_e32 vcc_lo, 0x8000000, v3
	s_delay_alu instid0(VALU_DEP_2) | instskip(NEXT) | instid1(VALU_DEP_1)
	v_or_b32_e32 v7, 0x70000000, v7
	v_mul_f32_e32 v7, 0x7800000, v7
	s_delay_alu instid0(VALU_DEP_1) | instskip(NEXT) | instid1(VALU_DEP_1)
	v_cndmask_b32_e32 v3, v7, v17, vcc_lo
	v_and_or_b32 v2, 0x80000000, v2, v3
	s_delay_alu instid0(VALU_DEP_1)
	v_cvt_f16_f32_e32 v7, v2
.LBB190_3435:
	s_mov_b32 s8, 0
	s_mov_b32 s9, -1
.LBB190_3436:
	s_and_not1_b32 vcc_lo, exec_lo, s8
	s_mov_b32 s8, 0
	s_cbranch_vccnz .LBB190_3447
; %bb.3437:
	s_cmp_gt_i32 s6, 14
	s_cbranch_scc0 .LBB190_3440
; %bb.3438:
	s_cmp_eq_u32 s6, 15
	s_cbranch_scc0 .LBB190_3443
; %bb.3439:
	global_load_u16 v2, v[0:1], off
	s_mov_b32 s7, 0
	s_mov_b32 s9, -1
	s_wait_loadcnt 0x0
	v_lshlrev_b32_e32 v2, 16, v2
	s_delay_alu instid0(VALU_DEP_1)
	v_cvt_f16_f32_e32 v7, v2
	s_branch .LBB190_3445
.LBB190_3440:
	s_mov_b32 s8, -1
	s_branch .LBB190_3444
.LBB190_3441:
	s_or_saveexec_b32 s9, s9
	v_mov_b32_e32 v7, 0x7e00
	s_xor_b32 exec_lo, exec_lo, s9
	s_cbranch_execz .LBB190_3422
.LBB190_3442:
	v_cmp_ne_u16_e32 vcc_lo, 0, v2
	v_mov_b32_e32 v7, v2
	s_and_not1_b32 s8, s8, exec_lo
	s_and_b32 s13, vcc_lo, exec_lo
	s_delay_alu instid0(SALU_CYCLE_1)
	s_or_b32 s8, s8, s13
	s_or_b32 exec_lo, exec_lo, s9
	s_and_saveexec_b32 s9, s8
	s_cbranch_execnz .LBB190_3423
	s_branch .LBB190_3424
.LBB190_3443:
	s_mov_b32 s7, -1
.LBB190_3444:
                                        ; implicit-def: $vgpr7
.LBB190_3445:
	s_and_b32 vcc_lo, exec_lo, s8
	s_mov_b32 s8, 0
	s_cbranch_vccz .LBB190_3447
; %bb.3446:
	s_cmp_lg_u32 s6, 11
	s_mov_b32 s8, -1
	s_cselect_b32 s7, -1, 0
.LBB190_3447:
	s_delay_alu instid0(SALU_CYCLE_1)
	s_and_b32 vcc_lo, exec_lo, s7
	s_cbranch_vccnz .LBB190_3512
; %bb.3448:
	s_and_not1_b32 vcc_lo, exec_lo, s8
	s_cbranch_vccnz .LBB190_3450
.LBB190_3449:
	global_load_u8 v2, v[0:1], off
	s_mov_b32 s9, -1
	s_wait_loadcnt 0x0
	v_cmp_ne_u16_e32 vcc_lo, 0, v2
	v_cndmask_b32_e64 v7, 0, 0x3c00, vcc_lo
.LBB190_3450:
	s_mov_b32 s6, 0
.LBB190_3451:
	s_delay_alu instid0(SALU_CYCLE_1)
	s_and_b32 vcc_lo, exec_lo, s6
	s_cbranch_vccz .LBB190_3500
; %bb.3452:
	s_and_b32 s6, 0xffff, s17
	s_delay_alu instid0(SALU_CYCLE_1)
	s_cmp_lt_i32 s6, 5
	s_cbranch_scc1 .LBB190_3457
; %bb.3453:
	s_cmp_lt_i32 s6, 8
	s_cbranch_scc1 .LBB190_3458
; %bb.3454:
	;; [unrolled: 3-line block ×3, first 2 shown]
	s_cmp_gt_i32 s6, 9
	s_cbranch_scc0 .LBB190_3460
; %bb.3456:
	global_load_b64 v[2:3], v[0:1], off
	s_mov_b32 s7, 0
	s_wait_loadcnt 0x0
	v_and_or_b32 v2, 0x1ff, v3, v2
	v_lshrrev_b32_e32 v7, 8, v3
	v_bfe_u32 v17, v3, 20, 11
	v_lshrrev_b32_e32 v3, 16, v3
	s_delay_alu instid0(VALU_DEP_4) | instskip(NEXT) | instid1(VALU_DEP_3)
	v_cmp_ne_u32_e32 vcc_lo, 0, v2
	v_sub_nc_u32_e32 v18, 0x3f1, v17
	v_add_nc_u32_e32 v17, 0xfffffc10, v17
	v_cndmask_b32_e64 v2, 0, 1, vcc_lo
	s_delay_alu instid0(VALU_DEP_1) | instskip(NEXT) | instid1(VALU_DEP_4)
	v_and_or_b32 v2, 0xffe, v7, v2
	v_med3_i32 v7, v18, 0, 13
	s_delay_alu instid0(VALU_DEP_2) | instskip(NEXT) | instid1(VALU_DEP_1)
	v_or_b32_e32 v18, 0x1000, v2
	v_lshrrev_b32_e32 v19, v7, v18
	s_delay_alu instid0(VALU_DEP_1) | instskip(NEXT) | instid1(VALU_DEP_1)
	v_lshlrev_b32_e32 v7, v7, v19
	v_cmp_ne_u32_e32 vcc_lo, v7, v18
	v_lshl_or_b32 v18, v17, 12, v2
	v_cndmask_b32_e64 v7, 0, 1, vcc_lo
	v_cmp_gt_i32_e32 vcc_lo, 1, v17
	s_delay_alu instid0(VALU_DEP_2) | instskip(NEXT) | instid1(VALU_DEP_1)
	v_or_b32_e32 v7, v19, v7
	v_cndmask_b32_e32 v7, v18, v7, vcc_lo
	s_delay_alu instid0(VALU_DEP_1) | instskip(NEXT) | instid1(VALU_DEP_1)
	v_dual_lshrrev_b32 v7, 2, v7 :: v_dual_bitop2_b32 v18, 7, v7 bitop3:0x40
	v_cmp_lt_i32_e32 vcc_lo, 5, v18
	v_cndmask_b32_e64 v19, 0, 1, vcc_lo
	v_cmp_eq_u32_e32 vcc_lo, 3, v18
	v_cndmask_b32_e64 v18, 0, 1, vcc_lo
	v_cmp_ne_u32_e32 vcc_lo, 0, v2
	s_delay_alu instid0(VALU_DEP_2) | instskip(SKIP_1) | instid1(VALU_DEP_1)
	v_or_b32_e32 v18, v18, v19
	v_mov_b32_e32 v19, 0x7e00
	v_dual_cndmask_b32 v2, 0x7c00, v19 :: v_dual_add_nc_u32 v7, v7, v18
	v_cmp_gt_i32_e32 vcc_lo, 31, v17
	s_delay_alu instid0(VALU_DEP_2) | instskip(SKIP_1) | instid1(VALU_DEP_2)
	v_cndmask_b32_e32 v7, 0x7c00, v7, vcc_lo
	v_cmp_eq_u32_e32 vcc_lo, 0x40f, v17
	v_cndmask_b32_e32 v2, v7, v2, vcc_lo
	s_delay_alu instid0(VALU_DEP_1)
	v_and_or_b32 v7, 0x8000, v3, v2
	s_branch .LBB190_3461
.LBB190_3457:
	s_mov_b32 s7, -1
                                        ; implicit-def: $vgpr7
	s_branch .LBB190_3479
.LBB190_3458:
	s_mov_b32 s7, -1
                                        ; implicit-def: $vgpr7
	s_branch .LBB190_3467
.LBB190_3459:
	s_mov_b32 s7, -1
                                        ; implicit-def: $vgpr7
	s_branch .LBB190_3464
.LBB190_3460:
	s_mov_b32 s7, -1
                                        ; implicit-def: $vgpr7
.LBB190_3461:
	s_delay_alu instid0(SALU_CYCLE_1)
	s_and_not1_b32 vcc_lo, exec_lo, s7
	s_cbranch_vccnz .LBB190_3463
; %bb.3462:
	global_load_b32 v2, v[0:1], off
	s_wait_loadcnt 0x0
	v_cvt_f16_f32_e32 v7, v2
.LBB190_3463:
	s_mov_b32 s7, 0
.LBB190_3464:
	s_delay_alu instid0(SALU_CYCLE_1)
	s_and_not1_b32 vcc_lo, exec_lo, s7
	s_cbranch_vccnz .LBB190_3466
; %bb.3465:
	global_load_b32 v7, v[0:1], off
.LBB190_3466:
	s_mov_b32 s7, 0
.LBB190_3467:
	s_delay_alu instid0(SALU_CYCLE_1)
	s_and_not1_b32 vcc_lo, exec_lo, s7
	s_cbranch_vccnz .LBB190_3478
; %bb.3468:
	s_cmp_lt_i32 s6, 6
	s_cbranch_scc1 .LBB190_3471
; %bb.3469:
	s_cmp_gt_i32 s6, 6
	s_cbranch_scc0 .LBB190_3472
; %bb.3470:
	global_load_b64 v[2:3], v[0:1], off
	s_mov_b32 s7, 0
	s_wait_loadcnt 0x0
	v_and_or_b32 v2, 0x1ff, v3, v2
	v_lshrrev_b32_e32 v7, 8, v3
	v_bfe_u32 v17, v3, 20, 11
	v_lshrrev_b32_e32 v3, 16, v3
	s_delay_alu instid0(VALU_DEP_4) | instskip(NEXT) | instid1(VALU_DEP_3)
	v_cmp_ne_u32_e32 vcc_lo, 0, v2
	v_sub_nc_u32_e32 v18, 0x3f1, v17
	v_add_nc_u32_e32 v17, 0xfffffc10, v17
	v_cndmask_b32_e64 v2, 0, 1, vcc_lo
	s_delay_alu instid0(VALU_DEP_1) | instskip(NEXT) | instid1(VALU_DEP_4)
	v_and_or_b32 v2, 0xffe, v7, v2
	v_med3_i32 v7, v18, 0, 13
	s_delay_alu instid0(VALU_DEP_2) | instskip(NEXT) | instid1(VALU_DEP_1)
	v_or_b32_e32 v18, 0x1000, v2
	v_lshrrev_b32_e32 v19, v7, v18
	s_delay_alu instid0(VALU_DEP_1) | instskip(NEXT) | instid1(VALU_DEP_1)
	v_lshlrev_b32_e32 v7, v7, v19
	v_cmp_ne_u32_e32 vcc_lo, v7, v18
	v_lshl_or_b32 v18, v17, 12, v2
	v_cndmask_b32_e64 v7, 0, 1, vcc_lo
	v_cmp_gt_i32_e32 vcc_lo, 1, v17
	s_delay_alu instid0(VALU_DEP_2) | instskip(NEXT) | instid1(VALU_DEP_1)
	v_or_b32_e32 v7, v19, v7
	v_cndmask_b32_e32 v7, v18, v7, vcc_lo
	s_delay_alu instid0(VALU_DEP_1) | instskip(NEXT) | instid1(VALU_DEP_1)
	v_dual_lshrrev_b32 v7, 2, v7 :: v_dual_bitop2_b32 v18, 7, v7 bitop3:0x40
	v_cmp_lt_i32_e32 vcc_lo, 5, v18
	v_cndmask_b32_e64 v19, 0, 1, vcc_lo
	v_cmp_eq_u32_e32 vcc_lo, 3, v18
	v_cndmask_b32_e64 v18, 0, 1, vcc_lo
	v_cmp_ne_u32_e32 vcc_lo, 0, v2
	s_delay_alu instid0(VALU_DEP_2) | instskip(SKIP_1) | instid1(VALU_DEP_1)
	v_or_b32_e32 v18, v18, v19
	v_mov_b32_e32 v19, 0x7e00
	v_dual_cndmask_b32 v2, 0x7c00, v19 :: v_dual_add_nc_u32 v7, v7, v18
	v_cmp_gt_i32_e32 vcc_lo, 31, v17
	s_delay_alu instid0(VALU_DEP_2) | instskip(SKIP_1) | instid1(VALU_DEP_2)
	v_cndmask_b32_e32 v7, 0x7c00, v7, vcc_lo
	v_cmp_eq_u32_e32 vcc_lo, 0x40f, v17
	v_cndmask_b32_e32 v2, v7, v2, vcc_lo
	s_delay_alu instid0(VALU_DEP_1)
	v_and_or_b32 v7, 0x8000, v3, v2
	s_branch .LBB190_3473
.LBB190_3471:
	s_mov_b32 s7, -1
                                        ; implicit-def: $vgpr7
	s_branch .LBB190_3476
.LBB190_3472:
	s_mov_b32 s7, -1
                                        ; implicit-def: $vgpr7
.LBB190_3473:
	s_delay_alu instid0(SALU_CYCLE_1)
	s_and_not1_b32 vcc_lo, exec_lo, s7
	s_cbranch_vccnz .LBB190_3475
; %bb.3474:
	global_load_b32 v2, v[0:1], off
	s_wait_loadcnt 0x0
	v_cvt_f16_f32_e32 v7, v2
.LBB190_3475:
	s_mov_b32 s7, 0
.LBB190_3476:
	s_delay_alu instid0(SALU_CYCLE_1)
	s_and_not1_b32 vcc_lo, exec_lo, s7
	s_cbranch_vccnz .LBB190_3478
; %bb.3477:
	s_wait_loadcnt 0x0
	global_load_u16 v7, v[0:1], off
.LBB190_3478:
	s_mov_b32 s7, 0
.LBB190_3479:
	s_delay_alu instid0(SALU_CYCLE_1)
	s_and_not1_b32 vcc_lo, exec_lo, s7
	s_cbranch_vccnz .LBB190_3499
; %bb.3480:
	s_cmp_lt_i32 s6, 2
	s_cbranch_scc1 .LBB190_3484
; %bb.3481:
	s_cmp_lt_i32 s6, 3
	s_cbranch_scc1 .LBB190_3485
; %bb.3482:
	s_cmp_gt_i32 s6, 3
	s_cbranch_scc0 .LBB190_3486
; %bb.3483:
	global_load_b64 v[2:3], v[0:1], off
	s_mov_b32 s7, 0
	s_wait_loadcnt 0x0
	v_xor_b32_e32 v7, v2, v3
	v_cls_i32_e32 v17, v3
	s_delay_alu instid0(VALU_DEP_2) | instskip(NEXT) | instid1(VALU_DEP_1)
	v_ashrrev_i32_e32 v7, 31, v7
	v_add_nc_u32_e32 v7, 32, v7
	s_delay_alu instid0(VALU_DEP_1) | instskip(NEXT) | instid1(VALU_DEP_1)
	v_add_min_u32_e64 v7, v17, -1, v7
	v_lshlrev_b64_e32 v[2:3], v7, v[2:3]
	s_delay_alu instid0(VALU_DEP_1) | instskip(NEXT) | instid1(VALU_DEP_1)
	v_min_u32_e32 v2, 1, v2
	v_dual_sub_nc_u32 v3, 32, v7 :: v_dual_bitop2_b32 v2, v3, v2 bitop3:0x54
	s_delay_alu instid0(VALU_DEP_1) | instskip(NEXT) | instid1(VALU_DEP_1)
	v_cvt_f32_i32_e32 v2, v2
	v_ldexp_f32 v2, v2, v3
	s_delay_alu instid0(VALU_DEP_1)
	v_cvt_f16_f32_e32 v7, v2
	s_branch .LBB190_3487
.LBB190_3484:
	s_mov_b32 s7, -1
                                        ; implicit-def: $vgpr7
	s_branch .LBB190_3493
.LBB190_3485:
	s_mov_b32 s7, -1
                                        ; implicit-def: $vgpr7
	s_branch .LBB190_3490
.LBB190_3486:
	s_mov_b32 s7, -1
                                        ; implicit-def: $vgpr7
.LBB190_3487:
	s_delay_alu instid0(SALU_CYCLE_1)
	s_and_not1_b32 vcc_lo, exec_lo, s7
	s_cbranch_vccnz .LBB190_3489
; %bb.3488:
	global_load_b32 v2, v[0:1], off
	s_wait_loadcnt 0x0
	v_cvt_f32_i32_e32 v2, v2
	s_delay_alu instid0(VALU_DEP_1)
	v_cvt_f16_f32_e32 v7, v2
.LBB190_3489:
	s_mov_b32 s7, 0
.LBB190_3490:
	s_delay_alu instid0(SALU_CYCLE_1)
	s_and_not1_b32 vcc_lo, exec_lo, s7
	s_cbranch_vccnz .LBB190_3492
; %bb.3491:
	global_load_u16 v2, v[0:1], off
	s_wait_loadcnt 0x0
	v_cvt_f16_i16_e32 v7, v2
.LBB190_3492:
	s_mov_b32 s7, 0
.LBB190_3493:
	s_delay_alu instid0(SALU_CYCLE_1)
	s_and_not1_b32 vcc_lo, exec_lo, s7
	s_cbranch_vccnz .LBB190_3499
; %bb.3494:
	s_cmp_gt_i32 s6, 0
	s_mov_b32 s6, 0
	s_cbranch_scc0 .LBB190_3496
; %bb.3495:
	global_load_i8 v2, v[0:1], off
	s_wait_loadcnt 0x0
	v_cvt_f16_i16_e32 v7, v2
	s_branch .LBB190_3497
.LBB190_3496:
	s_mov_b32 s6, -1
                                        ; implicit-def: $vgpr7
.LBB190_3497:
	s_delay_alu instid0(SALU_CYCLE_1)
	s_and_not1_b32 vcc_lo, exec_lo, s6
	s_cbranch_vccnz .LBB190_3499
; %bb.3498:
	global_load_u8 v0, v[0:1], off
	s_wait_loadcnt 0x0
	v_cvt_f16_u16_e32 v7, v0
.LBB190_3499:
	s_mov_b32 s9, -1
.LBB190_3500:
	s_delay_alu instid0(SALU_CYCLE_1)
	s_and_not1_b32 vcc_lo, exec_lo, s9
	s_cbranch_vccnz .LBB190_4065
; %bb.3501:
	s_wait_xcnt 0x0
	v_add_nc_u32_e32 v0, s15, v4
	s_cmp_lt_i32 s0, 11
	s_delay_alu instid0(VALU_DEP_1) | instskip(NEXT) | instid1(VALU_DEP_1)
	v_ashrrev_i32_e32 v1, 31, v0
	v_add_nc_u64_e32 v[0:1], s[10:11], v[0:1]
	s_cbranch_scc1 .LBB190_3508
; %bb.3502:
	s_cmp_gt_i32 s0, 25
	s_mov_b32 s7, 0
	s_cbranch_scc0 .LBB190_3509
; %bb.3503:
	s_cmp_gt_i32 s0, 28
	s_cbranch_scc0 .LBB190_3510
; %bb.3504:
	s_cmp_gt_i32 s0, 43
	s_cbranch_scc0 .LBB190_3511
; %bb.3505:
	s_cmp_gt_i32 s0, 45
	s_cbranch_scc0 .LBB190_3513
; %bb.3506:
	s_cmp_eq_u32 s0, 46
	s_mov_b32 s9, 0
	s_cbranch_scc0 .LBB190_3514
; %bb.3507:
	global_load_b32 v2, v[0:1], off
	s_mov_b32 s6, 0
	s_mov_b32 s8, -1
	s_wait_loadcnt 0x0
	v_lshlrev_b32_e32 v2, 16, v2
	s_delay_alu instid0(VALU_DEP_1)
	v_cvt_f16_f32_e32 v4, v2
	s_branch .LBB190_3516
.LBB190_3508:
	s_mov_b32 s6, -1
	s_mov_b32 s8, 0
                                        ; implicit-def: $vgpr4
	s_branch .LBB190_3582
.LBB190_3509:
	s_mov_b32 s9, -1
	s_mov_b32 s8, 0
	s_mov_b32 s6, 0
                                        ; implicit-def: $vgpr4
	s_branch .LBB190_3545
.LBB190_3510:
	s_mov_b32 s9, -1
	s_mov_b32 s8, 0
	s_mov_b32 s6, 0
                                        ; implicit-def: $vgpr4
	s_branch .LBB190_3526
.LBB190_3511:
	s_mov_b32 s9, -1
	s_mov_b32 s8, 0
	s_mov_b32 s6, 0
                                        ; implicit-def: $vgpr4
	s_branch .LBB190_3521
.LBB190_3512:
	s_or_b32 s18, s18, exec_lo
	s_trap 2
	s_cbranch_execz .LBB190_3449
	s_branch .LBB190_3450
.LBB190_3513:
	s_mov_b32 s9, -1
	s_mov_b32 s8, 0
	s_mov_b32 s6, 0
	s_branch .LBB190_3515
.LBB190_3514:
	s_mov_b32 s6, -1
	s_mov_b32 s8, 0
.LBB190_3515:
                                        ; implicit-def: $vgpr4
.LBB190_3516:
	s_and_b32 vcc_lo, exec_lo, s9
	s_cbranch_vccz .LBB190_3520
; %bb.3517:
	s_cmp_eq_u32 s0, 44
	s_cbranch_scc0 .LBB190_3519
; %bb.3518:
	global_load_u8 v2, v[0:1], off
	s_mov_b32 s6, 0
	s_mov_b32 s8, -1
	s_wait_loadcnt 0x0
	v_lshlrev_b32_e32 v3, 23, v2
	v_cmp_ne_u32_e32 vcc_lo, 0xff, v2
	s_delay_alu instid0(VALU_DEP_2) | instskip(NEXT) | instid1(VALU_DEP_1)
	v_cvt_f16_f32_e32 v3, v3
	v_cndmask_b32_e32 v3, 0x7e00, v3, vcc_lo
	v_cmp_ne_u32_e32 vcc_lo, 0, v2
	s_delay_alu instid0(VALU_DEP_2)
	v_cndmask_b32_e32 v4, 0, v3, vcc_lo
	s_branch .LBB190_3520
.LBB190_3519:
	s_mov_b32 s6, -1
                                        ; implicit-def: $vgpr4
.LBB190_3520:
	s_mov_b32 s9, 0
.LBB190_3521:
	s_delay_alu instid0(SALU_CYCLE_1)
	s_and_b32 vcc_lo, exec_lo, s9
	s_cbranch_vccz .LBB190_3525
; %bb.3522:
	s_cmp_eq_u32 s0, 29
	s_cbranch_scc0 .LBB190_3524
; %bb.3523:
	global_load_b64 v[2:3], v[0:1], off
	s_mov_b32 s6, 0
	s_mov_b32 s8, -1
	s_mov_b32 s9, 0
	s_wait_loadcnt 0x0
	v_clz_i32_u32_e32 v4, v3
	s_delay_alu instid0(VALU_DEP_1) | instskip(NEXT) | instid1(VALU_DEP_1)
	v_min_u32_e32 v4, 32, v4
	v_lshlrev_b64_e32 v[2:3], v4, v[2:3]
	s_delay_alu instid0(VALU_DEP_1) | instskip(NEXT) | instid1(VALU_DEP_1)
	v_min_u32_e32 v2, 1, v2
	v_dual_sub_nc_u32 v3, 32, v4 :: v_dual_bitop2_b32 v2, v3, v2 bitop3:0x54
	s_delay_alu instid0(VALU_DEP_1) | instskip(NEXT) | instid1(VALU_DEP_1)
	v_cvt_f32_u32_e32 v2, v2
	v_ldexp_f32 v2, v2, v3
	s_delay_alu instid0(VALU_DEP_1)
	v_cvt_f16_f32_e32 v4, v2
	s_branch .LBB190_3526
.LBB190_3524:
	s_mov_b32 s6, -1
                                        ; implicit-def: $vgpr4
.LBB190_3525:
	s_mov_b32 s9, 0
.LBB190_3526:
	s_delay_alu instid0(SALU_CYCLE_1)
	s_and_b32 vcc_lo, exec_lo, s9
	s_cbranch_vccz .LBB190_3544
; %bb.3527:
	s_cmp_lt_i32 s0, 27
	s_cbranch_scc1 .LBB190_3530
; %bb.3528:
	s_cmp_gt_i32 s0, 27
	s_cbranch_scc0 .LBB190_3531
; %bb.3529:
	global_load_b32 v2, v[0:1], off
	s_mov_b32 s8, 0
	s_wait_loadcnt 0x0
	v_cvt_f32_u32_e32 v2, v2
	s_delay_alu instid0(VALU_DEP_1)
	v_cvt_f16_f32_e32 v4, v2
	s_branch .LBB190_3532
.LBB190_3530:
	s_mov_b32 s8, -1
                                        ; implicit-def: $vgpr4
	s_branch .LBB190_3535
.LBB190_3531:
	s_mov_b32 s8, -1
                                        ; implicit-def: $vgpr4
.LBB190_3532:
	s_delay_alu instid0(SALU_CYCLE_1)
	s_and_not1_b32 vcc_lo, exec_lo, s8
	s_cbranch_vccnz .LBB190_3534
; %bb.3533:
	global_load_u16 v2, v[0:1], off
	s_wait_loadcnt 0x0
	v_cvt_f16_u16_e32 v4, v2
.LBB190_3534:
	s_mov_b32 s8, 0
.LBB190_3535:
	s_delay_alu instid0(SALU_CYCLE_1)
	s_and_not1_b32 vcc_lo, exec_lo, s8
	s_cbranch_vccnz .LBB190_3543
; %bb.3536:
	global_load_u8 v2, v[0:1], off
	s_mov_b32 s8, 0
	s_mov_b32 s9, exec_lo
	s_wait_loadcnt 0x0
	v_cmpx_lt_i16_e32 0x7f, v2
	s_xor_b32 s9, exec_lo, s9
	s_cbranch_execz .LBB190_3557
; %bb.3537:
	s_mov_b32 s8, -1
	s_mov_b32 s10, exec_lo
	v_cmpx_eq_u16_e32 0x80, v2
; %bb.3538:
	s_xor_b32 s8, exec_lo, -1
; %bb.3539:
	s_or_b32 exec_lo, exec_lo, s10
	s_delay_alu instid0(SALU_CYCLE_1)
	s_and_b32 s8, s8, exec_lo
	s_or_saveexec_b32 s9, s9
	v_mov_b32_e32 v4, 0x7e00
	s_xor_b32 exec_lo, exec_lo, s9
	s_cbranch_execnz .LBB190_3558
.LBB190_3540:
	s_or_b32 exec_lo, exec_lo, s9
	s_and_saveexec_b32 s9, s8
	s_cbranch_execz .LBB190_3542
.LBB190_3541:
	v_and_b32_e32 v3, 0xffff, v2
	s_delay_alu instid0(VALU_DEP_1) | instskip(SKIP_1) | instid1(VALU_DEP_2)
	v_and_b32_e32 v4, 7, v3
	v_bfe_u32 v19, v3, 3, 4
	v_clz_i32_u32_e32 v17, v4
	s_delay_alu instid0(VALU_DEP_2) | instskip(NEXT) | instid1(VALU_DEP_2)
	v_cmp_eq_u32_e32 vcc_lo, 0, v19
	v_min_u32_e32 v17, 32, v17
	s_delay_alu instid0(VALU_DEP_1) | instskip(NEXT) | instid1(VALU_DEP_1)
	v_subrev_nc_u32_e32 v18, 28, v17
	v_dual_lshlrev_b32 v3, v18, v3 :: v_dual_sub_nc_u32 v17, 29, v17
	s_delay_alu instid0(VALU_DEP_1) | instskip(NEXT) | instid1(VALU_DEP_1)
	v_dual_lshlrev_b32 v2, 24, v2 :: v_dual_bitop2_b32 v3, 7, v3 bitop3:0x40
	v_dual_cndmask_b32 v17, v19, v17, vcc_lo :: v_dual_cndmask_b32 v3, v4, v3, vcc_lo
	s_delay_alu instid0(VALU_DEP_2) | instskip(NEXT) | instid1(VALU_DEP_2)
	v_and_b32_e32 v2, 0x80000000, v2
	v_lshl_add_u32 v4, v17, 23, 0x3b800000
	s_delay_alu instid0(VALU_DEP_3) | instskip(NEXT) | instid1(VALU_DEP_1)
	v_lshlrev_b32_e32 v3, 20, v3
	v_or3_b32 v2, v2, v4, v3
	s_delay_alu instid0(VALU_DEP_1)
	v_cvt_f16_f32_e32 v4, v2
.LBB190_3542:
	s_or_b32 exec_lo, exec_lo, s9
.LBB190_3543:
	s_mov_b32 s8, -1
.LBB190_3544:
	s_mov_b32 s9, 0
.LBB190_3545:
	s_delay_alu instid0(SALU_CYCLE_1)
	s_and_b32 vcc_lo, exec_lo, s9
	s_cbranch_vccz .LBB190_3578
; %bb.3546:
	s_cmp_gt_i32 s0, 22
	s_cbranch_scc0 .LBB190_3556
; %bb.3547:
	s_cmp_lt_i32 s0, 24
	s_cbranch_scc1 .LBB190_3559
; %bb.3548:
	s_cmp_gt_i32 s0, 24
	s_cbranch_scc0 .LBB190_3560
; %bb.3549:
	global_load_u8 v2, v[0:1], off
	s_mov_b32 s8, exec_lo
	s_wait_loadcnt 0x0
	v_cmpx_lt_i16_e32 0x7f, v2
	s_xor_b32 s8, exec_lo, s8
	s_cbranch_execz .LBB190_3572
; %bb.3550:
	s_mov_b32 s7, -1
	s_mov_b32 s9, exec_lo
	v_cmpx_eq_u16_e32 0x80, v2
; %bb.3551:
	s_xor_b32 s7, exec_lo, -1
; %bb.3552:
	s_or_b32 exec_lo, exec_lo, s9
	s_delay_alu instid0(SALU_CYCLE_1)
	s_and_b32 s7, s7, exec_lo
	s_or_saveexec_b32 s8, s8
	v_mov_b32_e32 v4, 0x7e00
	s_xor_b32 exec_lo, exec_lo, s8
	s_cbranch_execnz .LBB190_3573
.LBB190_3553:
	s_or_b32 exec_lo, exec_lo, s8
	s_and_saveexec_b32 s8, s7
	s_cbranch_execz .LBB190_3555
.LBB190_3554:
	v_and_b32_e32 v3, 0xffff, v2
	s_delay_alu instid0(VALU_DEP_1) | instskip(SKIP_1) | instid1(VALU_DEP_2)
	v_and_b32_e32 v4, 3, v3
	v_bfe_u32 v19, v3, 2, 5
	v_clz_i32_u32_e32 v17, v4
	s_delay_alu instid0(VALU_DEP_2) | instskip(NEXT) | instid1(VALU_DEP_2)
	v_cmp_eq_u32_e32 vcc_lo, 0, v19
	v_min_u32_e32 v17, 32, v17
	s_delay_alu instid0(VALU_DEP_1) | instskip(NEXT) | instid1(VALU_DEP_1)
	v_subrev_nc_u32_e32 v18, 29, v17
	v_dual_lshlrev_b32 v3, v18, v3 :: v_dual_sub_nc_u32 v17, 30, v17
	s_delay_alu instid0(VALU_DEP_1) | instskip(NEXT) | instid1(VALU_DEP_1)
	v_dual_lshlrev_b32 v2, 24, v2 :: v_dual_bitop2_b32 v3, 3, v3 bitop3:0x40
	v_dual_cndmask_b32 v17, v19, v17, vcc_lo :: v_dual_cndmask_b32 v3, v4, v3, vcc_lo
	s_delay_alu instid0(VALU_DEP_2) | instskip(NEXT) | instid1(VALU_DEP_2)
	v_and_b32_e32 v2, 0x80000000, v2
	v_lshl_add_u32 v4, v17, 23, 0x37800000
	s_delay_alu instid0(VALU_DEP_3) | instskip(NEXT) | instid1(VALU_DEP_1)
	v_lshlrev_b32_e32 v3, 21, v3
	v_or3_b32 v2, v2, v4, v3
	s_delay_alu instid0(VALU_DEP_1)
	v_cvt_f16_f32_e32 v4, v2
.LBB190_3555:
	s_or_b32 exec_lo, exec_lo, s8
	s_mov_b32 s7, 0
	s_branch .LBB190_3561
.LBB190_3556:
	s_mov_b32 s7, -1
                                        ; implicit-def: $vgpr4
	s_branch .LBB190_3567
.LBB190_3557:
	s_or_saveexec_b32 s9, s9
	v_mov_b32_e32 v4, 0x7e00
	s_xor_b32 exec_lo, exec_lo, s9
	s_cbranch_execz .LBB190_3540
.LBB190_3558:
	v_cmp_ne_u16_e32 vcc_lo, 0, v2
	v_mov_b32_e32 v4, v2
	s_and_not1_b32 s8, s8, exec_lo
	s_and_b32 s10, vcc_lo, exec_lo
	s_delay_alu instid0(SALU_CYCLE_1)
	s_or_b32 s8, s8, s10
	s_or_b32 exec_lo, exec_lo, s9
	s_and_saveexec_b32 s9, s8
	s_cbranch_execnz .LBB190_3541
	s_branch .LBB190_3542
.LBB190_3559:
	s_mov_b32 s7, -1
                                        ; implicit-def: $vgpr4
	s_branch .LBB190_3564
.LBB190_3560:
	s_mov_b32 s7, -1
                                        ; implicit-def: $vgpr4
.LBB190_3561:
	s_delay_alu instid0(SALU_CYCLE_1)
	s_and_b32 vcc_lo, exec_lo, s7
	s_cbranch_vccz .LBB190_3563
; %bb.3562:
	global_load_u8 v2, v[0:1], off
	s_wait_loadcnt 0x0
	v_lshlrev_b32_e32 v2, 24, v2
	s_delay_alu instid0(VALU_DEP_1) | instskip(NEXT) | instid1(VALU_DEP_1)
	v_and_b32_e32 v3, 0x7f000000, v2
	v_clz_i32_u32_e32 v4, v3
	v_cmp_ne_u32_e32 vcc_lo, 0, v3
	v_add_nc_u32_e32 v18, 0x1000000, v3
	s_delay_alu instid0(VALU_DEP_3) | instskip(NEXT) | instid1(VALU_DEP_1)
	v_min_u32_e32 v4, 32, v4
	v_sub_nc_u32_e64 v4, v4, 4 clamp
	s_delay_alu instid0(VALU_DEP_1) | instskip(NEXT) | instid1(VALU_DEP_1)
	v_dual_lshlrev_b32 v17, v4, v3 :: v_dual_lshlrev_b32 v4, 23, v4
	v_lshrrev_b32_e32 v17, 4, v17
	s_delay_alu instid0(VALU_DEP_1) | instskip(NEXT) | instid1(VALU_DEP_1)
	v_dual_sub_nc_u32 v4, v17, v4 :: v_dual_ashrrev_i32 v17, 8, v18
	v_add_nc_u32_e32 v4, 0x3c000000, v4
	s_delay_alu instid0(VALU_DEP_1) | instskip(NEXT) | instid1(VALU_DEP_1)
	v_and_or_b32 v4, 0x7f800000, v17, v4
	v_cndmask_b32_e32 v3, 0, v4, vcc_lo
	s_delay_alu instid0(VALU_DEP_1) | instskip(NEXT) | instid1(VALU_DEP_1)
	v_and_or_b32 v2, 0x80000000, v2, v3
	v_cvt_f16_f32_e32 v4, v2
.LBB190_3563:
	s_mov_b32 s7, 0
.LBB190_3564:
	s_delay_alu instid0(SALU_CYCLE_1)
	s_and_not1_b32 vcc_lo, exec_lo, s7
	s_cbranch_vccnz .LBB190_3566
; %bb.3565:
	global_load_u8 v2, v[0:1], off
	s_wait_loadcnt 0x0
	v_lshlrev_b32_e32 v3, 25, v2
	v_lshlrev_b16 v2, 8, v2
	s_delay_alu instid0(VALU_DEP_1) | instskip(SKIP_1) | instid1(VALU_DEP_2)
	v_and_or_b32 v17, 0x7f00, v2, 0.5
	v_bfe_i32 v2, v2, 0, 16
	v_dual_add_f32 v17, -0.5, v17 :: v_dual_lshrrev_b32 v4, 4, v3
	v_cmp_gt_u32_e32 vcc_lo, 0x8000000, v3
	s_delay_alu instid0(VALU_DEP_2) | instskip(NEXT) | instid1(VALU_DEP_1)
	v_or_b32_e32 v4, 0x70000000, v4
	v_mul_f32_e32 v4, 0x7800000, v4
	s_delay_alu instid0(VALU_DEP_1) | instskip(NEXT) | instid1(VALU_DEP_1)
	v_cndmask_b32_e32 v3, v4, v17, vcc_lo
	v_and_or_b32 v2, 0x80000000, v2, v3
	s_delay_alu instid0(VALU_DEP_1)
	v_cvt_f16_f32_e32 v4, v2
.LBB190_3566:
	s_mov_b32 s7, 0
	s_mov_b32 s8, -1
.LBB190_3567:
	s_and_not1_b32 vcc_lo, exec_lo, s7
	s_mov_b32 s7, 0
	s_cbranch_vccnz .LBB190_3578
; %bb.3568:
	s_cmp_gt_i32 s0, 14
	s_cbranch_scc0 .LBB190_3571
; %bb.3569:
	s_cmp_eq_u32 s0, 15
	s_cbranch_scc0 .LBB190_3574
; %bb.3570:
	global_load_u16 v2, v[0:1], off
	s_mov_b32 s6, 0
	s_mov_b32 s8, -1
	s_wait_loadcnt 0x0
	v_lshlrev_b32_e32 v2, 16, v2
	s_delay_alu instid0(VALU_DEP_1)
	v_cvt_f16_f32_e32 v4, v2
	s_branch .LBB190_3576
.LBB190_3571:
	s_mov_b32 s7, -1
	s_branch .LBB190_3575
.LBB190_3572:
	s_or_saveexec_b32 s8, s8
	v_mov_b32_e32 v4, 0x7e00
	s_xor_b32 exec_lo, exec_lo, s8
	s_cbranch_execz .LBB190_3553
.LBB190_3573:
	v_cmp_ne_u16_e32 vcc_lo, 0, v2
	v_mov_b32_e32 v4, v2
	s_and_not1_b32 s7, s7, exec_lo
	s_and_b32 s9, vcc_lo, exec_lo
	s_delay_alu instid0(SALU_CYCLE_1)
	s_or_b32 s7, s7, s9
	s_or_b32 exec_lo, exec_lo, s8
	s_and_saveexec_b32 s8, s7
	s_cbranch_execnz .LBB190_3554
	s_branch .LBB190_3555
.LBB190_3574:
	s_mov_b32 s6, -1
.LBB190_3575:
                                        ; implicit-def: $vgpr4
.LBB190_3576:
	s_and_b32 vcc_lo, exec_lo, s7
	s_mov_b32 s7, 0
	s_cbranch_vccz .LBB190_3578
; %bb.3577:
	s_cmp_lg_u32 s0, 11
	s_mov_b32 s7, -1
	s_cselect_b32 s6, -1, 0
.LBB190_3578:
	s_delay_alu instid0(SALU_CYCLE_1)
	s_and_b32 vcc_lo, exec_lo, s6
	s_cbranch_vccnz .LBB190_4111
; %bb.3579:
	s_and_not1_b32 vcc_lo, exec_lo, s7
	s_cbranch_vccnz .LBB190_3581
.LBB190_3580:
	global_load_u8 v2, v[0:1], off
	s_mov_b32 s8, -1
	s_wait_loadcnt 0x0
	v_cmp_ne_u16_e32 vcc_lo, 0, v2
	v_cndmask_b32_e64 v4, 0, 0x3c00, vcc_lo
.LBB190_3581:
	s_mov_b32 s6, 0
.LBB190_3582:
	s_delay_alu instid0(SALU_CYCLE_1)
	s_and_b32 vcc_lo, exec_lo, s6
	s_cbranch_vccz .LBB190_3631
; %bb.3583:
	s_cmp_lt_i32 s0, 5
	s_cbranch_scc1 .LBB190_3588
; %bb.3584:
	s_cmp_lt_i32 s0, 8
	s_cbranch_scc1 .LBB190_3589
	;; [unrolled: 3-line block ×3, first 2 shown]
; %bb.3586:
	s_cmp_gt_i32 s0, 9
	s_cbranch_scc0 .LBB190_3591
; %bb.3587:
	global_load_b64 v[2:3], v[0:1], off
	s_mov_b32 s6, 0
	s_wait_loadcnt 0x0
	v_and_or_b32 v2, 0x1ff, v3, v2
	v_lshrrev_b32_e32 v4, 8, v3
	v_bfe_u32 v17, v3, 20, 11
	v_lshrrev_b32_e32 v3, 16, v3
	s_delay_alu instid0(VALU_DEP_4) | instskip(NEXT) | instid1(VALU_DEP_3)
	v_cmp_ne_u32_e32 vcc_lo, 0, v2
	v_sub_nc_u32_e32 v18, 0x3f1, v17
	v_add_nc_u32_e32 v17, 0xfffffc10, v17
	v_cndmask_b32_e64 v2, 0, 1, vcc_lo
	s_delay_alu instid0(VALU_DEP_1) | instskip(NEXT) | instid1(VALU_DEP_4)
	v_and_or_b32 v2, 0xffe, v4, v2
	v_med3_i32 v4, v18, 0, 13
	s_delay_alu instid0(VALU_DEP_2) | instskip(NEXT) | instid1(VALU_DEP_1)
	v_or_b32_e32 v18, 0x1000, v2
	v_lshrrev_b32_e32 v19, v4, v18
	s_delay_alu instid0(VALU_DEP_1) | instskip(NEXT) | instid1(VALU_DEP_1)
	v_lshlrev_b32_e32 v4, v4, v19
	v_cmp_ne_u32_e32 vcc_lo, v4, v18
	v_lshl_or_b32 v18, v17, 12, v2
	v_cndmask_b32_e64 v4, 0, 1, vcc_lo
	v_cmp_gt_i32_e32 vcc_lo, 1, v17
	s_delay_alu instid0(VALU_DEP_2) | instskip(NEXT) | instid1(VALU_DEP_1)
	v_or_b32_e32 v4, v19, v4
	v_cndmask_b32_e32 v4, v18, v4, vcc_lo
	s_delay_alu instid0(VALU_DEP_1) | instskip(NEXT) | instid1(VALU_DEP_1)
	v_dual_lshrrev_b32 v4, 2, v4 :: v_dual_bitop2_b32 v18, 7, v4 bitop3:0x40
	v_cmp_lt_i32_e32 vcc_lo, 5, v18
	v_cndmask_b32_e64 v19, 0, 1, vcc_lo
	v_cmp_eq_u32_e32 vcc_lo, 3, v18
	v_cndmask_b32_e64 v18, 0, 1, vcc_lo
	v_cmp_ne_u32_e32 vcc_lo, 0, v2
	s_delay_alu instid0(VALU_DEP_2) | instskip(NEXT) | instid1(VALU_DEP_1)
	v_or_b32_e32 v18, v18, v19
	v_dual_mov_b32 v19, 0x7e00 :: v_dual_add_nc_u32 v4, v4, v18
	s_delay_alu instid0(VALU_DEP_1) | instskip(SKIP_1) | instid1(VALU_DEP_3)
	v_cndmask_b32_e32 v2, 0x7c00, v19, vcc_lo
	v_cmp_gt_i32_e32 vcc_lo, 31, v17
	v_cndmask_b32_e32 v4, 0x7c00, v4, vcc_lo
	v_cmp_eq_u32_e32 vcc_lo, 0x40f, v17
	s_delay_alu instid0(VALU_DEP_2) | instskip(NEXT) | instid1(VALU_DEP_1)
	v_cndmask_b32_e32 v2, v4, v2, vcc_lo
	v_and_or_b32 v4, 0x8000, v3, v2
	s_branch .LBB190_3592
.LBB190_3588:
	s_mov_b32 s6, -1
                                        ; implicit-def: $vgpr4
	s_branch .LBB190_3610
.LBB190_3589:
	s_mov_b32 s6, -1
                                        ; implicit-def: $vgpr4
	s_branch .LBB190_3598
.LBB190_3590:
	s_mov_b32 s6, -1
                                        ; implicit-def: $vgpr4
	s_branch .LBB190_3595
.LBB190_3591:
	s_mov_b32 s6, -1
                                        ; implicit-def: $vgpr4
.LBB190_3592:
	s_delay_alu instid0(SALU_CYCLE_1)
	s_and_not1_b32 vcc_lo, exec_lo, s6
	s_cbranch_vccnz .LBB190_3594
; %bb.3593:
	global_load_b32 v2, v[0:1], off
	s_wait_loadcnt 0x0
	v_cvt_f16_f32_e32 v4, v2
.LBB190_3594:
	s_mov_b32 s6, 0
.LBB190_3595:
	s_delay_alu instid0(SALU_CYCLE_1)
	s_and_not1_b32 vcc_lo, exec_lo, s6
	s_cbranch_vccnz .LBB190_3597
; %bb.3596:
	global_load_b32 v4, v[0:1], off
.LBB190_3597:
	s_mov_b32 s6, 0
.LBB190_3598:
	s_delay_alu instid0(SALU_CYCLE_1)
	s_and_not1_b32 vcc_lo, exec_lo, s6
	s_cbranch_vccnz .LBB190_3609
; %bb.3599:
	s_cmp_lt_i32 s0, 6
	s_cbranch_scc1 .LBB190_3602
; %bb.3600:
	s_cmp_gt_i32 s0, 6
	s_cbranch_scc0 .LBB190_3603
; %bb.3601:
	global_load_b64 v[2:3], v[0:1], off
	s_mov_b32 s6, 0
	s_wait_loadcnt 0x0
	v_and_or_b32 v2, 0x1ff, v3, v2
	v_lshrrev_b32_e32 v4, 8, v3
	v_bfe_u32 v17, v3, 20, 11
	v_lshrrev_b32_e32 v3, 16, v3
	s_delay_alu instid0(VALU_DEP_4) | instskip(NEXT) | instid1(VALU_DEP_3)
	v_cmp_ne_u32_e32 vcc_lo, 0, v2
	v_sub_nc_u32_e32 v18, 0x3f1, v17
	v_add_nc_u32_e32 v17, 0xfffffc10, v17
	v_cndmask_b32_e64 v2, 0, 1, vcc_lo
	s_delay_alu instid0(VALU_DEP_1) | instskip(NEXT) | instid1(VALU_DEP_4)
	v_and_or_b32 v2, 0xffe, v4, v2
	v_med3_i32 v4, v18, 0, 13
	s_delay_alu instid0(VALU_DEP_2) | instskip(NEXT) | instid1(VALU_DEP_1)
	v_or_b32_e32 v18, 0x1000, v2
	v_lshrrev_b32_e32 v19, v4, v18
	s_delay_alu instid0(VALU_DEP_1) | instskip(NEXT) | instid1(VALU_DEP_1)
	v_lshlrev_b32_e32 v4, v4, v19
	v_cmp_ne_u32_e32 vcc_lo, v4, v18
	v_lshl_or_b32 v18, v17, 12, v2
	v_cndmask_b32_e64 v4, 0, 1, vcc_lo
	v_cmp_gt_i32_e32 vcc_lo, 1, v17
	s_delay_alu instid0(VALU_DEP_2) | instskip(NEXT) | instid1(VALU_DEP_1)
	v_or_b32_e32 v4, v19, v4
	v_cndmask_b32_e32 v4, v18, v4, vcc_lo
	s_delay_alu instid0(VALU_DEP_1) | instskip(NEXT) | instid1(VALU_DEP_1)
	v_dual_lshrrev_b32 v4, 2, v4 :: v_dual_bitop2_b32 v18, 7, v4 bitop3:0x40
	v_cmp_lt_i32_e32 vcc_lo, 5, v18
	v_cndmask_b32_e64 v19, 0, 1, vcc_lo
	v_cmp_eq_u32_e32 vcc_lo, 3, v18
	v_cndmask_b32_e64 v18, 0, 1, vcc_lo
	v_cmp_ne_u32_e32 vcc_lo, 0, v2
	s_delay_alu instid0(VALU_DEP_2) | instskip(NEXT) | instid1(VALU_DEP_1)
	v_or_b32_e32 v18, v18, v19
	v_dual_mov_b32 v19, 0x7e00 :: v_dual_add_nc_u32 v4, v4, v18
	s_delay_alu instid0(VALU_DEP_1) | instskip(SKIP_1) | instid1(VALU_DEP_3)
	v_cndmask_b32_e32 v2, 0x7c00, v19, vcc_lo
	v_cmp_gt_i32_e32 vcc_lo, 31, v17
	v_cndmask_b32_e32 v4, 0x7c00, v4, vcc_lo
	v_cmp_eq_u32_e32 vcc_lo, 0x40f, v17
	s_delay_alu instid0(VALU_DEP_2) | instskip(NEXT) | instid1(VALU_DEP_1)
	v_cndmask_b32_e32 v2, v4, v2, vcc_lo
	v_and_or_b32 v4, 0x8000, v3, v2
	s_branch .LBB190_3604
.LBB190_3602:
	s_mov_b32 s6, -1
                                        ; implicit-def: $vgpr4
	s_branch .LBB190_3607
.LBB190_3603:
	s_mov_b32 s6, -1
                                        ; implicit-def: $vgpr4
.LBB190_3604:
	s_delay_alu instid0(SALU_CYCLE_1)
	s_and_not1_b32 vcc_lo, exec_lo, s6
	s_cbranch_vccnz .LBB190_3606
; %bb.3605:
	global_load_b32 v2, v[0:1], off
	s_wait_loadcnt 0x0
	v_cvt_f16_f32_e32 v4, v2
.LBB190_3606:
	s_mov_b32 s6, 0
.LBB190_3607:
	s_delay_alu instid0(SALU_CYCLE_1)
	s_and_not1_b32 vcc_lo, exec_lo, s6
	s_cbranch_vccnz .LBB190_3609
; %bb.3608:
	s_wait_loadcnt 0x0
	global_load_u16 v4, v[0:1], off
.LBB190_3609:
	s_mov_b32 s6, 0
.LBB190_3610:
	s_delay_alu instid0(SALU_CYCLE_1)
	s_and_not1_b32 vcc_lo, exec_lo, s6
	s_cbranch_vccnz .LBB190_3630
; %bb.3611:
	s_cmp_lt_i32 s0, 2
	s_cbranch_scc1 .LBB190_3615
; %bb.3612:
	s_cmp_lt_i32 s0, 3
	s_cbranch_scc1 .LBB190_3616
; %bb.3613:
	s_cmp_gt_i32 s0, 3
	s_cbranch_scc0 .LBB190_3617
; %bb.3614:
	global_load_b64 v[2:3], v[0:1], off
	s_mov_b32 s6, 0
	s_wait_loadcnt 0x0
	v_xor_b32_e32 v4, v2, v3
	v_cls_i32_e32 v17, v3
	s_delay_alu instid0(VALU_DEP_2) | instskip(NEXT) | instid1(VALU_DEP_1)
	v_ashrrev_i32_e32 v4, 31, v4
	v_add_nc_u32_e32 v4, 32, v4
	s_delay_alu instid0(VALU_DEP_1) | instskip(NEXT) | instid1(VALU_DEP_1)
	v_add_min_u32_e64 v4, v17, -1, v4
	v_lshlrev_b64_e32 v[2:3], v4, v[2:3]
	s_delay_alu instid0(VALU_DEP_1) | instskip(NEXT) | instid1(VALU_DEP_1)
	v_min_u32_e32 v2, 1, v2
	v_dual_sub_nc_u32 v3, 32, v4 :: v_dual_bitop2_b32 v2, v3, v2 bitop3:0x54
	s_delay_alu instid0(VALU_DEP_1) | instskip(NEXT) | instid1(VALU_DEP_1)
	v_cvt_f32_i32_e32 v2, v2
	v_ldexp_f32 v2, v2, v3
	s_delay_alu instid0(VALU_DEP_1)
	v_cvt_f16_f32_e32 v4, v2
	s_branch .LBB190_3618
.LBB190_3615:
	s_mov_b32 s6, -1
                                        ; implicit-def: $vgpr4
	s_branch .LBB190_3624
.LBB190_3616:
	s_mov_b32 s6, -1
                                        ; implicit-def: $vgpr4
	s_branch .LBB190_3621
.LBB190_3617:
	s_mov_b32 s6, -1
                                        ; implicit-def: $vgpr4
.LBB190_3618:
	s_delay_alu instid0(SALU_CYCLE_1)
	s_and_not1_b32 vcc_lo, exec_lo, s6
	s_cbranch_vccnz .LBB190_3620
; %bb.3619:
	global_load_b32 v2, v[0:1], off
	s_wait_loadcnt 0x0
	v_cvt_f32_i32_e32 v2, v2
	s_delay_alu instid0(VALU_DEP_1)
	v_cvt_f16_f32_e32 v4, v2
.LBB190_3620:
	s_mov_b32 s6, 0
.LBB190_3621:
	s_delay_alu instid0(SALU_CYCLE_1)
	s_and_not1_b32 vcc_lo, exec_lo, s6
	s_cbranch_vccnz .LBB190_3623
; %bb.3622:
	global_load_u16 v2, v[0:1], off
	s_wait_loadcnt 0x0
	v_cvt_f16_i16_e32 v4, v2
.LBB190_3623:
	s_mov_b32 s6, 0
.LBB190_3624:
	s_delay_alu instid0(SALU_CYCLE_1)
	s_and_not1_b32 vcc_lo, exec_lo, s6
	s_cbranch_vccnz .LBB190_3630
; %bb.3625:
	s_cmp_gt_i32 s0, 0
	s_mov_b32 s0, 0
	s_cbranch_scc0 .LBB190_3627
; %bb.3626:
	global_load_i8 v2, v[0:1], off
	s_wait_loadcnt 0x0
	v_cvt_f16_i16_e32 v4, v2
	s_branch .LBB190_3628
.LBB190_3627:
	s_mov_b32 s0, -1
                                        ; implicit-def: $vgpr4
.LBB190_3628:
	s_delay_alu instid0(SALU_CYCLE_1)
	s_and_not1_b32 vcc_lo, exec_lo, s0
	s_cbranch_vccnz .LBB190_3630
; %bb.3629:
	global_load_u8 v0, v[0:1], off
	s_wait_loadcnt 0x0
	v_cvt_f16_u16_e32 v4, v0
.LBB190_3630:
	s_mov_b32 s8, -1
.LBB190_3631:
	s_delay_alu instid0(SALU_CYCLE_1)
	s_and_not1_b32 vcc_lo, exec_lo, s8
	s_cbranch_vccnz .LBB190_4065
; %bb.3632:
	s_wait_xcnt 0x0
	v_mul_lo_u32 v0, s12, v8
	s_wait_loadcnt 0x0
	v_mul_f16_e32 v2, s1, v10
	s_and_b32 s22, s3, 0xff
	s_delay_alu instid0(SALU_CYCLE_1) | instskip(NEXT) | instid1(VALU_DEP_1)
	s_cmp_lt_i32 s22, 11
	v_mul_f16_e32 v8, v2, v11
	s_delay_alu instid0(VALU_DEP_1) | instskip(NEXT) | instid1(VALU_DEP_4)
	v_fmac_f16_e32 v8, s2, v9
	v_ashrrev_i32_e32 v1, 31, v0
	s_delay_alu instid0(VALU_DEP_1)
	v_add_nc_u64_e32 v[2:3], s[4:5], v[0:1]
	s_cbranch_scc1 .LBB190_3710
; %bb.3633:
	s_and_b32 s3, 0xffff, s22
	s_mov_b32 s8, -1
	s_mov_b32 s6, 0
	s_cmp_gt_i32 s3, 25
	s_mov_b32 s7, 0
	s_mov_b32 s0, 0
	s_cbranch_scc0 .LBB190_3666
; %bb.3634:
	s_cmp_gt_i32 s3, 28
	s_cbranch_scc0 .LBB190_3649
; %bb.3635:
	s_cmp_gt_i32 s3, 43
	;; [unrolled: 3-line block ×3, first 2 shown]
	s_cbranch_scc0 .LBB190_3639
; %bb.3637:
	s_mov_b32 s0, -1
	s_mov_b32 s8, 0
	s_cmp_eq_u32 s3, 46
	s_cbranch_scc0 .LBB190_3639
; %bb.3638:
	v_cvt_f32_f16_e32 v1, v8
	v_cmp_o_f16_e32 vcc_lo, v8, v8
	s_mov_b32 s0, 0
	s_mov_b32 s7, -1
	s_delay_alu instid0(VALU_DEP_2) | instskip(NEXT) | instid1(VALU_DEP_1)
	v_bfe_u32 v9, v1, 16, 1
	v_add3_u32 v1, v1, v9, 0x7fff
	s_delay_alu instid0(VALU_DEP_1) | instskip(NEXT) | instid1(VALU_DEP_1)
	v_lshrrev_b32_e32 v1, 16, v1
	v_cndmask_b32_e32 v1, 0x7fc0, v1, vcc_lo
	global_store_b32 v[2:3], v1, off
.LBB190_3639:
	s_and_b32 vcc_lo, exec_lo, s8
	s_cbranch_vccz .LBB190_3644
; %bb.3640:
	s_cmp_eq_u32 s3, 44
	s_mov_b32 s0, -1
	s_cbranch_scc0 .LBB190_3644
; %bb.3641:
	s_wait_xcnt 0x0
	v_cvt_f32_f16_e32 v1, v8
	v_mov_b32_e32 v9, 0xff
	s_mov_b32 s7, exec_lo
	s_delay_alu instid0(VALU_DEP_2) | instskip(NEXT) | instid1(VALU_DEP_1)
	v_bfe_u32 v10, v1, 23, 8
	v_cmpx_ne_u32_e32 0xff, v10
	s_cbranch_execz .LBB190_3643
; %bb.3642:
	v_and_b32_e32 v9, 0x400000, v1
	v_and_or_b32 v10, 0x3fffff, v1, v10
	v_lshrrev_b32_e32 v1, 23, v1
	s_delay_alu instid0(VALU_DEP_3) | instskip(NEXT) | instid1(VALU_DEP_3)
	v_cmp_ne_u32_e32 vcc_lo, 0, v9
	v_cmp_ne_u32_e64 s0, 0, v10
	s_and_b32 s0, vcc_lo, s0
	s_delay_alu instid0(SALU_CYCLE_1) | instskip(NEXT) | instid1(VALU_DEP_1)
	v_cndmask_b32_e64 v9, 0, 1, s0
	v_add_nc_u32_e32 v9, v1, v9
.LBB190_3643:
	s_or_b32 exec_lo, exec_lo, s7
	s_mov_b32 s0, 0
	s_mov_b32 s7, -1
	global_store_b8 v[2:3], v9, off
.LBB190_3644:
	s_mov_b32 s8, 0
.LBB190_3645:
	s_delay_alu instid0(SALU_CYCLE_1)
	s_and_b32 vcc_lo, exec_lo, s8
	s_cbranch_vccz .LBB190_3648
; %bb.3646:
	s_cmp_eq_u32 s3, 29
	s_mov_b32 s0, -1
	s_cbranch_scc0 .LBB190_3648
; %bb.3647:
	s_wait_xcnt 0x0
	v_cvt_f32_f16_e32 v1, v8
	v_mov_b32_e32 v11, 0
	s_mov_b32 s0, 0
	s_mov_b32 s7, -1
	s_delay_alu instid0(VALU_DEP_2)
	v_cvt_u32_f32_e32 v10, v1
	global_store_b64 v[2:3], v[10:11], off
.LBB190_3648:
	s_mov_b32 s8, 0
.LBB190_3649:
	s_delay_alu instid0(SALU_CYCLE_1)
	s_and_b32 vcc_lo, exec_lo, s8
	s_cbranch_vccz .LBB190_3665
; %bb.3650:
	s_cmp_lt_i32 s3, 27
	s_mov_b32 s7, -1
	s_cbranch_scc1 .LBB190_3656
; %bb.3651:
	s_cmp_gt_i32 s3, 27
	s_cbranch_scc0 .LBB190_3653
; %bb.3652:
	s_wait_xcnt 0x0
	v_cvt_f32_f16_e32 v1, v8
	s_mov_b32 s7, 0
	s_delay_alu instid0(VALU_DEP_1)
	v_cvt_u32_f32_e32 v1, v1
	global_store_b32 v[2:3], v1, off
.LBB190_3653:
	s_and_not1_b32 vcc_lo, exec_lo, s7
	s_cbranch_vccnz .LBB190_3655
; %bb.3654:
	s_wait_xcnt 0x0
	v_cvt_u16_f16_e32 v1, v8
	global_store_b16 v[2:3], v1, off
.LBB190_3655:
	s_mov_b32 s7, 0
.LBB190_3656:
	s_delay_alu instid0(SALU_CYCLE_1)
	s_and_not1_b32 vcc_lo, exec_lo, s7
	s_cbranch_vccnz .LBB190_3664
; %bb.3657:
	s_wait_xcnt 0x0
	v_cvt_f32_f16_e32 v1, v8
	v_mov_b32_e32 v10, 0x80
	s_mov_b32 s7, exec_lo
	s_delay_alu instid0(VALU_DEP_2) | instskip(NEXT) | instid1(VALU_DEP_1)
	v_and_b32_e32 v9, 0x7fffffff, v1
	v_cmpx_gt_u32_e32 0x43800000, v9
	s_cbranch_execz .LBB190_3663
; %bb.3658:
	v_cmp_lt_u32_e32 vcc_lo, 0x3bffffff, v9
	s_mov_b32 s8, 0
                                        ; implicit-def: $vgpr9
	s_and_saveexec_b32 s9, vcc_lo
	s_delay_alu instid0(SALU_CYCLE_1)
	s_xor_b32 s9, exec_lo, s9
	s_cbranch_execz .LBB190_4112
; %bb.3659:
	v_bfe_u32 v9, v1, 20, 1
	s_mov_b32 s8, exec_lo
	s_delay_alu instid0(VALU_DEP_1) | instskip(NEXT) | instid1(VALU_DEP_1)
	v_add3_u32 v9, v1, v9, 0x487ffff
	v_lshrrev_b32_e32 v9, 20, v9
	s_and_not1_saveexec_b32 s9, s9
	s_cbranch_execnz .LBB190_4113
.LBB190_3660:
	s_or_b32 exec_lo, exec_lo, s9
	v_mov_b32_e32 v10, 0
	s_and_saveexec_b32 s9, s8
.LBB190_3661:
	v_lshrrev_b32_e32 v1, 24, v1
	s_delay_alu instid0(VALU_DEP_1)
	v_and_or_b32 v10, 0x80, v1, v9
.LBB190_3662:
	s_or_b32 exec_lo, exec_lo, s9
.LBB190_3663:
	s_delay_alu instid0(SALU_CYCLE_1)
	s_or_b32 exec_lo, exec_lo, s7
	global_store_b8 v[2:3], v10, off
.LBB190_3664:
	s_mov_b32 s7, -1
.LBB190_3665:
	s_mov_b32 s8, 0
.LBB190_3666:
	s_delay_alu instid0(SALU_CYCLE_1)
	s_and_b32 vcc_lo, exec_lo, s8
	s_cbranch_vccz .LBB190_3706
; %bb.3667:
	s_cmp_gt_i32 s3, 22
	s_mov_b32 s6, -1
	s_cbranch_scc0 .LBB190_3699
; %bb.3668:
	s_cmp_lt_i32 s3, 24
	s_cbranch_scc1 .LBB190_3688
; %bb.3669:
	s_cmp_gt_i32 s3, 24
	s_cbranch_scc0 .LBB190_3677
; %bb.3670:
	s_wait_xcnt 0x0
	v_cvt_f32_f16_e32 v1, v8
	v_mov_b32_e32 v10, 0x80
	s_mov_b32 s6, exec_lo
	s_delay_alu instid0(VALU_DEP_2) | instskip(NEXT) | instid1(VALU_DEP_1)
	v_and_b32_e32 v9, 0x7fffffff, v1
	v_cmpx_gt_u32_e32 0x47800000, v9
	s_cbranch_execz .LBB190_3676
; %bb.3671:
	v_cmp_lt_u32_e32 vcc_lo, 0x37ffffff, v9
	s_mov_b32 s7, 0
                                        ; implicit-def: $vgpr9
	s_and_saveexec_b32 s8, vcc_lo
	s_delay_alu instid0(SALU_CYCLE_1)
	s_xor_b32 s8, exec_lo, s8
	s_cbranch_execz .LBB190_4115
; %bb.3672:
	v_bfe_u32 v9, v1, 21, 1
	s_mov_b32 s7, exec_lo
	s_delay_alu instid0(VALU_DEP_1) | instskip(NEXT) | instid1(VALU_DEP_1)
	v_add3_u32 v9, v1, v9, 0x88fffff
	v_lshrrev_b32_e32 v9, 21, v9
	s_and_not1_saveexec_b32 s8, s8
	s_cbranch_execnz .LBB190_4116
.LBB190_3673:
	s_or_b32 exec_lo, exec_lo, s8
	v_mov_b32_e32 v10, 0
	s_and_saveexec_b32 s8, s7
.LBB190_3674:
	v_lshrrev_b32_e32 v1, 24, v1
	s_delay_alu instid0(VALU_DEP_1)
	v_and_or_b32 v10, 0x80, v1, v9
.LBB190_3675:
	s_or_b32 exec_lo, exec_lo, s8
.LBB190_3676:
	s_delay_alu instid0(SALU_CYCLE_1)
	s_or_b32 exec_lo, exec_lo, s6
	s_mov_b32 s6, 0
	global_store_b8 v[2:3], v10, off
.LBB190_3677:
	s_and_b32 vcc_lo, exec_lo, s6
	s_cbranch_vccz .LBB190_3687
; %bb.3678:
	s_wait_xcnt 0x0
	v_cvt_f32_f16_e32 v1, v8
	s_mov_b32 s6, exec_lo
                                        ; implicit-def: $vgpr9
	s_delay_alu instid0(VALU_DEP_1) | instskip(NEXT) | instid1(VALU_DEP_1)
	v_and_b32_e32 v10, 0x7fffffff, v1
	v_cmpx_gt_u32_e32 0x43f00000, v10
	s_xor_b32 s6, exec_lo, s6
	s_cbranch_execz .LBB190_3684
; %bb.3679:
	s_mov_b32 s7, exec_lo
                                        ; implicit-def: $vgpr9
	v_cmpx_lt_u32_e32 0x3c7fffff, v10
	s_xor_b32 s7, exec_lo, s7
; %bb.3680:
	v_bfe_u32 v9, v1, 20, 1
	s_delay_alu instid0(VALU_DEP_1) | instskip(NEXT) | instid1(VALU_DEP_1)
	v_add3_u32 v9, v1, v9, 0x407ffff
	v_and_b32_e32 v10, 0xff00000, v9
	v_lshrrev_b32_e32 v9, 20, v9
	s_delay_alu instid0(VALU_DEP_2) | instskip(NEXT) | instid1(VALU_DEP_2)
	v_cmp_ne_u32_e32 vcc_lo, 0x7f00000, v10
	v_cndmask_b32_e32 v9, 0x7e, v9, vcc_lo
; %bb.3681:
	s_and_not1_saveexec_b32 s7, s7
; %bb.3682:
	v_add_f32_e64 v9, 0x46800000, |v1|
; %bb.3683:
	s_or_b32 exec_lo, exec_lo, s7
                                        ; implicit-def: $vgpr10
.LBB190_3684:
	s_and_not1_saveexec_b32 s6, s6
; %bb.3685:
	v_mov_b32_e32 v9, 0x7f
	v_cmp_lt_u32_e32 vcc_lo, 0x7f800000, v10
	s_delay_alu instid0(VALU_DEP_2)
	v_cndmask_b32_e32 v9, 0x7e, v9, vcc_lo
; %bb.3686:
	s_or_b32 exec_lo, exec_lo, s6
	v_lshrrev_b32_e32 v1, 24, v1
	s_delay_alu instid0(VALU_DEP_1)
	v_and_or_b32 v1, 0x80, v1, v9
	global_store_b8 v[2:3], v1, off
.LBB190_3687:
	s_mov_b32 s6, 0
.LBB190_3688:
	s_delay_alu instid0(SALU_CYCLE_1)
	s_and_not1_b32 vcc_lo, exec_lo, s6
	s_cbranch_vccnz .LBB190_3698
; %bb.3689:
	s_wait_xcnt 0x0
	v_cvt_f32_f16_e32 v1, v8
	s_mov_b32 s6, exec_lo
                                        ; implicit-def: $vgpr9
	s_delay_alu instid0(VALU_DEP_1) | instskip(NEXT) | instid1(VALU_DEP_1)
	v_and_b32_e32 v10, 0x7fffffff, v1
	v_cmpx_gt_u32_e32 0x47800000, v10
	s_xor_b32 s6, exec_lo, s6
	s_cbranch_execz .LBB190_3695
; %bb.3690:
	s_mov_b32 s7, exec_lo
                                        ; implicit-def: $vgpr9
	v_cmpx_lt_u32_e32 0x387fffff, v10
	s_xor_b32 s7, exec_lo, s7
; %bb.3691:
	v_bfe_u32 v9, v1, 21, 1
	s_delay_alu instid0(VALU_DEP_1) | instskip(NEXT) | instid1(VALU_DEP_1)
	v_add3_u32 v9, v1, v9, 0x80fffff
	v_lshrrev_b32_e32 v9, 21, v9
; %bb.3692:
	s_and_not1_saveexec_b32 s7, s7
; %bb.3693:
	v_add_f32_e64 v9, 0x43000000, |v1|
; %bb.3694:
	s_or_b32 exec_lo, exec_lo, s7
                                        ; implicit-def: $vgpr10
.LBB190_3695:
	s_and_not1_saveexec_b32 s6, s6
; %bb.3696:
	v_mov_b32_e32 v9, 0x7f
	v_cmp_lt_u32_e32 vcc_lo, 0x7f800000, v10
	s_delay_alu instid0(VALU_DEP_2)
	v_cndmask_b32_e32 v9, 0x7c, v9, vcc_lo
; %bb.3697:
	s_or_b32 exec_lo, exec_lo, s6
	v_lshrrev_b32_e32 v1, 24, v1
	s_delay_alu instid0(VALU_DEP_1)
	v_and_or_b32 v1, 0x80, v1, v9
	global_store_b8 v[2:3], v1, off
.LBB190_3698:
	s_mov_b32 s6, 0
	s_mov_b32 s7, -1
.LBB190_3699:
	s_and_not1_b32 vcc_lo, exec_lo, s6
	s_mov_b32 s6, 0
	s_cbranch_vccnz .LBB190_3706
; %bb.3700:
	s_cmp_gt_i32 s3, 14
	s_mov_b32 s6, -1
	s_cbranch_scc0 .LBB190_3704
; %bb.3701:
	s_cmp_eq_u32 s3, 15
	s_mov_b32 s0, -1
	s_cbranch_scc0 .LBB190_3703
; %bb.3702:
	s_wait_xcnt 0x0
	v_cvt_f32_f16_e32 v1, v8
	v_cmp_o_f16_e32 vcc_lo, v8, v8
	s_mov_b32 s0, 0
	s_mov_b32 s7, -1
	s_delay_alu instid0(VALU_DEP_2) | instskip(NEXT) | instid1(VALU_DEP_1)
	v_bfe_u32 v9, v1, 16, 1
	v_add3_u32 v1, v1, v9, 0x7fff
	s_delay_alu instid0(VALU_DEP_1) | instskip(NEXT) | instid1(VALU_DEP_1)
	v_lshrrev_b32_e32 v1, 16, v1
	v_cndmask_b32_e32 v1, 0x7fc0, v1, vcc_lo
	global_store_b16 v[2:3], v1, off
.LBB190_3703:
	s_mov_b32 s6, 0
.LBB190_3704:
	s_delay_alu instid0(SALU_CYCLE_1)
	s_and_b32 vcc_lo, exec_lo, s6
	s_mov_b32 s6, 0
	s_cbranch_vccz .LBB190_3706
; %bb.3705:
	s_cmp_lg_u32 s3, 11
	s_mov_b32 s6, -1
	s_cselect_b32 s0, -1, 0
.LBB190_3706:
	s_delay_alu instid0(SALU_CYCLE_1)
	s_and_b32 vcc_lo, exec_lo, s0
	s_cbranch_vccnz .LBB190_4114
; %bb.3707:
	s_and_not1_b32 vcc_lo, exec_lo, s6
	s_cbranch_vccnz .LBB190_3709
.LBB190_3708:
	v_cmp_neq_f16_e32 vcc_lo, 0, v8
	s_mov_b32 s7, -1
	s_wait_xcnt 0x0
	v_cndmask_b32_e64 v1, 0, 1, vcc_lo
	global_store_b8 v[2:3], v1, off
.LBB190_3709:
	s_mov_b32 s0, 0
	s_branch .LBB190_3711
.LBB190_3710:
	s_mov_b32 s0, -1
	s_mov_b32 s7, 0
.LBB190_3711:
	s_and_b32 vcc_lo, exec_lo, s0
	s_cbranch_vccz .LBB190_3750
; %bb.3712:
	s_and_b32 s0, 0xffff, s22
	s_mov_b32 s3, -1
	s_cmp_lt_i32 s0, 5
	s_cbranch_scc1 .LBB190_3733
; %bb.3713:
	s_cmp_lt_i32 s0, 8
	s_cbranch_scc1 .LBB190_3723
; %bb.3714:
	;; [unrolled: 3-line block ×3, first 2 shown]
	s_cmp_gt_i32 s0, 9
	s_cbranch_scc0 .LBB190_3717
; %bb.3716:
	s_wait_xcnt 0x0
	v_cvt_f32_f16_e32 v1, v8
	v_mov_b32_e32 v20, 0
	s_mov_b32 s3, 0
	s_delay_alu instid0(VALU_DEP_2) | instskip(NEXT) | instid1(VALU_DEP_2)
	v_cvt_f64_f32_e32 v[18:19], v1
	v_mov_b32_e32 v21, v20
	global_store_b128 v[2:3], v[18:21], off
.LBB190_3717:
	s_and_not1_b32 vcc_lo, exec_lo, s3
	s_cbranch_vccnz .LBB190_3719
; %bb.3718:
	s_wait_xcnt 0x0
	v_cvt_f32_f16_e32 v10, v8
	v_mov_b32_e32 v11, 0
	global_store_b64 v[2:3], v[10:11], off
.LBB190_3719:
	s_mov_b32 s3, 0
.LBB190_3720:
	s_delay_alu instid0(SALU_CYCLE_1)
	s_and_not1_b32 vcc_lo, exec_lo, s3
	s_cbranch_vccnz .LBB190_3722
; %bb.3721:
	s_wait_xcnt 0x0
	v_and_b32_e32 v1, 0xffff, v8
	global_store_b32 v[2:3], v1, off
.LBB190_3722:
	s_mov_b32 s3, 0
.LBB190_3723:
	s_delay_alu instid0(SALU_CYCLE_1)
	s_and_not1_b32 vcc_lo, exec_lo, s3
	s_cbranch_vccnz .LBB190_3732
; %bb.3724:
	s_cmp_lt_i32 s0, 6
	s_mov_b32 s3, -1
	s_cbranch_scc1 .LBB190_3730
; %bb.3725:
	s_cmp_gt_i32 s0, 6
	s_cbranch_scc0 .LBB190_3727
; %bb.3726:
	s_wait_xcnt 0x0
	v_cvt_f32_f16_e32 v1, v8
	s_mov_b32 s3, 0
	s_delay_alu instid0(VALU_DEP_1)
	v_cvt_f64_f32_e32 v[10:11], v1
	global_store_b64 v[2:3], v[10:11], off
.LBB190_3727:
	s_and_not1_b32 vcc_lo, exec_lo, s3
	s_cbranch_vccnz .LBB190_3729
; %bb.3728:
	s_wait_xcnt 0x0
	v_cvt_f32_f16_e32 v1, v8
	global_store_b32 v[2:3], v1, off
.LBB190_3729:
	s_mov_b32 s3, 0
.LBB190_3730:
	s_delay_alu instid0(SALU_CYCLE_1)
	s_and_not1_b32 vcc_lo, exec_lo, s3
	s_cbranch_vccnz .LBB190_3732
; %bb.3731:
	global_store_b16 v[2:3], v8, off
.LBB190_3732:
	s_mov_b32 s3, 0
.LBB190_3733:
	s_delay_alu instid0(SALU_CYCLE_1)
	s_and_not1_b32 vcc_lo, exec_lo, s3
	s_cbranch_vccnz .LBB190_3749
; %bb.3734:
	s_cmp_lt_i32 s0, 2
	s_mov_b32 s3, -1
	s_cbranch_scc1 .LBB190_3744
; %bb.3735:
	s_cmp_lt_i32 s0, 3
	s_cbranch_scc1 .LBB190_3741
; %bb.3736:
	s_cmp_gt_i32 s0, 3
	s_cbranch_scc0 .LBB190_3738
; %bb.3737:
	s_wait_xcnt 0x0
	v_cvt_f32_f16_e32 v1, v8
	s_mov_b32 s3, 0
	s_delay_alu instid0(VALU_DEP_1) | instskip(NEXT) | instid1(VALU_DEP_1)
	v_cvt_i32_f32_e32 v10, v1
	v_ashrrev_i32_e32 v11, 31, v10
	global_store_b64 v[2:3], v[10:11], off
.LBB190_3738:
	s_and_not1_b32 vcc_lo, exec_lo, s3
	s_cbranch_vccnz .LBB190_3740
; %bb.3739:
	s_wait_xcnt 0x0
	v_cvt_f32_f16_e32 v1, v8
	s_delay_alu instid0(VALU_DEP_1)
	v_cvt_i32_f32_e32 v1, v1
	global_store_b32 v[2:3], v1, off
.LBB190_3740:
	s_mov_b32 s3, 0
.LBB190_3741:
	s_delay_alu instid0(SALU_CYCLE_1)
	s_and_not1_b32 vcc_lo, exec_lo, s3
	s_cbranch_vccnz .LBB190_3743
; %bb.3742:
	s_wait_xcnt 0x0
	v_cvt_i16_f16_e32 v1, v8
	global_store_b16 v[2:3], v1, off
.LBB190_3743:
	s_mov_b32 s3, 0
.LBB190_3744:
	s_delay_alu instid0(SALU_CYCLE_1)
	s_and_not1_b32 vcc_lo, exec_lo, s3
	s_cbranch_vccnz .LBB190_3749
; %bb.3745:
	s_cmp_gt_i32 s0, 0
	s_mov_b32 s0, -1
	s_cbranch_scc0 .LBB190_3747
; %bb.3746:
	s_wait_xcnt 0x0
	v_cvt_i16_f16_e32 v1, v8
	s_mov_b32 s0, 0
	global_store_b8 v[2:3], v1, off
.LBB190_3747:
	s_and_not1_b32 vcc_lo, exec_lo, s0
	s_cbranch_vccnz .LBB190_3749
; %bb.3748:
	s_wait_xcnt 0x0
	v_cvt_f32_f16_e32 v1, v8
	s_delay_alu instid0(VALU_DEP_1)
	v_cvt_i32_f32_e32 v1, v1
	global_store_b8 v[2:3], v1, off
.LBB190_3749:
	s_mov_b32 s7, -1
.LBB190_3750:
	s_delay_alu instid0(SALU_CYCLE_1)
	s_and_not1_b32 vcc_lo, exec_lo, s7
	s_cbranch_vccnz .LBB190_4065
; %bb.3751:
	s_lshl_b32 s3, s12, 7
	s_wait_xcnt 0x0
	v_mul_f16_e32 v2, s1, v13
	v_add_nc_u32_e32 v0, s3, v0
	s_cmp_lt_i32 s22, 11
	s_delay_alu instid0(VALU_DEP_2) | instskip(NEXT) | instid1(VALU_DEP_2)
	v_mul_f16_e32 v8, v2, v14
	v_ashrrev_i32_e32 v1, 31, v0
	s_delay_alu instid0(VALU_DEP_2) | instskip(NEXT) | instid1(VALU_DEP_2)
	v_fmac_f16_e32 v8, s2, v12
	v_add_nc_u64_e32 v[2:3], s[4:5], v[0:1]
	s_cbranch_scc1 .LBB190_3829
; %bb.3752:
	s_and_b32 s6, 0xffff, s22
	s_mov_b32 s9, -1
	s_mov_b32 s7, 0
	s_cmp_gt_i32 s6, 25
	s_mov_b32 s8, 0
	s_mov_b32 s0, 0
	s_cbranch_scc0 .LBB190_3785
; %bb.3753:
	s_cmp_gt_i32 s6, 28
	s_cbranch_scc0 .LBB190_3768
; %bb.3754:
	s_cmp_gt_i32 s6, 43
	;; [unrolled: 3-line block ×3, first 2 shown]
	s_cbranch_scc0 .LBB190_3758
; %bb.3756:
	s_mov_b32 s0, -1
	s_mov_b32 s9, 0
	s_cmp_eq_u32 s6, 46
	s_cbranch_scc0 .LBB190_3758
; %bb.3757:
	v_cvt_f32_f16_e32 v1, v8
	v_cmp_o_f16_e32 vcc_lo, v8, v8
	s_mov_b32 s0, 0
	s_mov_b32 s8, -1
	s_delay_alu instid0(VALU_DEP_2) | instskip(NEXT) | instid1(VALU_DEP_1)
	v_bfe_u32 v9, v1, 16, 1
	v_add3_u32 v1, v1, v9, 0x7fff
	s_delay_alu instid0(VALU_DEP_1) | instskip(NEXT) | instid1(VALU_DEP_1)
	v_lshrrev_b32_e32 v1, 16, v1
	v_cndmask_b32_e32 v1, 0x7fc0, v1, vcc_lo
	global_store_b32 v[2:3], v1, off
.LBB190_3758:
	s_and_b32 vcc_lo, exec_lo, s9
	s_cbranch_vccz .LBB190_3763
; %bb.3759:
	s_cmp_eq_u32 s6, 44
	s_mov_b32 s0, -1
	s_cbranch_scc0 .LBB190_3763
; %bb.3760:
	s_wait_xcnt 0x0
	v_cvt_f32_f16_e32 v1, v8
	v_mov_b32_e32 v9, 0xff
	s_mov_b32 s8, exec_lo
	s_delay_alu instid0(VALU_DEP_2) | instskip(NEXT) | instid1(VALU_DEP_1)
	v_bfe_u32 v10, v1, 23, 8
	v_cmpx_ne_u32_e32 0xff, v10
	s_cbranch_execz .LBB190_3762
; %bb.3761:
	v_and_b32_e32 v9, 0x400000, v1
	v_and_or_b32 v10, 0x3fffff, v1, v10
	v_lshrrev_b32_e32 v1, 23, v1
	s_delay_alu instid0(VALU_DEP_3) | instskip(NEXT) | instid1(VALU_DEP_3)
	v_cmp_ne_u32_e32 vcc_lo, 0, v9
	v_cmp_ne_u32_e64 s0, 0, v10
	s_and_b32 s0, vcc_lo, s0
	s_delay_alu instid0(SALU_CYCLE_1) | instskip(NEXT) | instid1(VALU_DEP_1)
	v_cndmask_b32_e64 v9, 0, 1, s0
	v_add_nc_u32_e32 v9, v1, v9
.LBB190_3762:
	s_or_b32 exec_lo, exec_lo, s8
	s_mov_b32 s0, 0
	s_mov_b32 s8, -1
	global_store_b8 v[2:3], v9, off
.LBB190_3763:
	s_mov_b32 s9, 0
.LBB190_3764:
	s_delay_alu instid0(SALU_CYCLE_1)
	s_and_b32 vcc_lo, exec_lo, s9
	s_cbranch_vccz .LBB190_3767
; %bb.3765:
	s_cmp_eq_u32 s6, 29
	s_mov_b32 s0, -1
	s_cbranch_scc0 .LBB190_3767
; %bb.3766:
	s_wait_xcnt 0x0
	v_cvt_f32_f16_e32 v1, v8
	v_mov_b32_e32 v11, 0
	s_mov_b32 s0, 0
	s_mov_b32 s8, -1
	s_delay_alu instid0(VALU_DEP_2)
	v_cvt_u32_f32_e32 v10, v1
	global_store_b64 v[2:3], v[10:11], off
.LBB190_3767:
	s_mov_b32 s9, 0
.LBB190_3768:
	s_delay_alu instid0(SALU_CYCLE_1)
	s_and_b32 vcc_lo, exec_lo, s9
	s_cbranch_vccz .LBB190_3784
; %bb.3769:
	s_cmp_lt_i32 s6, 27
	s_mov_b32 s8, -1
	s_cbranch_scc1 .LBB190_3775
; %bb.3770:
	s_cmp_gt_i32 s6, 27
	s_cbranch_scc0 .LBB190_3772
; %bb.3771:
	s_wait_xcnt 0x0
	v_cvt_f32_f16_e32 v1, v8
	s_mov_b32 s8, 0
	s_delay_alu instid0(VALU_DEP_1)
	v_cvt_u32_f32_e32 v1, v1
	global_store_b32 v[2:3], v1, off
.LBB190_3772:
	s_and_not1_b32 vcc_lo, exec_lo, s8
	s_cbranch_vccnz .LBB190_3774
; %bb.3773:
	s_wait_xcnt 0x0
	v_cvt_u16_f16_e32 v1, v8
	global_store_b16 v[2:3], v1, off
.LBB190_3774:
	s_mov_b32 s8, 0
.LBB190_3775:
	s_delay_alu instid0(SALU_CYCLE_1)
	s_and_not1_b32 vcc_lo, exec_lo, s8
	s_cbranch_vccnz .LBB190_3783
; %bb.3776:
	s_wait_xcnt 0x0
	v_cvt_f32_f16_e32 v1, v8
	v_mov_b32_e32 v10, 0x80
	s_mov_b32 s8, exec_lo
	s_delay_alu instid0(VALU_DEP_2) | instskip(NEXT) | instid1(VALU_DEP_1)
	v_and_b32_e32 v9, 0x7fffffff, v1
	v_cmpx_gt_u32_e32 0x43800000, v9
	s_cbranch_execz .LBB190_3782
; %bb.3777:
	v_cmp_lt_u32_e32 vcc_lo, 0x3bffffff, v9
	s_mov_b32 s9, 0
                                        ; implicit-def: $vgpr9
	s_and_saveexec_b32 s10, vcc_lo
	s_delay_alu instid0(SALU_CYCLE_1)
	s_xor_b32 s10, exec_lo, s10
	s_cbranch_execz .LBB190_4117
; %bb.3778:
	v_bfe_u32 v9, v1, 20, 1
	s_mov_b32 s9, exec_lo
	s_delay_alu instid0(VALU_DEP_1) | instskip(NEXT) | instid1(VALU_DEP_1)
	v_add3_u32 v9, v1, v9, 0x487ffff
	v_lshrrev_b32_e32 v9, 20, v9
	s_and_not1_saveexec_b32 s10, s10
	s_cbranch_execnz .LBB190_4118
.LBB190_3779:
	s_or_b32 exec_lo, exec_lo, s10
	v_mov_b32_e32 v10, 0
	s_and_saveexec_b32 s10, s9
.LBB190_3780:
	v_lshrrev_b32_e32 v1, 24, v1
	s_delay_alu instid0(VALU_DEP_1)
	v_and_or_b32 v10, 0x80, v1, v9
.LBB190_3781:
	s_or_b32 exec_lo, exec_lo, s10
.LBB190_3782:
	s_delay_alu instid0(SALU_CYCLE_1)
	s_or_b32 exec_lo, exec_lo, s8
	global_store_b8 v[2:3], v10, off
.LBB190_3783:
	s_mov_b32 s8, -1
.LBB190_3784:
	s_mov_b32 s9, 0
.LBB190_3785:
	s_delay_alu instid0(SALU_CYCLE_1)
	s_and_b32 vcc_lo, exec_lo, s9
	s_cbranch_vccz .LBB190_3825
; %bb.3786:
	s_cmp_gt_i32 s6, 22
	s_mov_b32 s7, -1
	s_cbranch_scc0 .LBB190_3818
; %bb.3787:
	s_cmp_lt_i32 s6, 24
	s_cbranch_scc1 .LBB190_3807
; %bb.3788:
	s_cmp_gt_i32 s6, 24
	s_cbranch_scc0 .LBB190_3796
; %bb.3789:
	s_wait_xcnt 0x0
	v_cvt_f32_f16_e32 v1, v8
	v_mov_b32_e32 v10, 0x80
	s_mov_b32 s7, exec_lo
	s_delay_alu instid0(VALU_DEP_2) | instskip(NEXT) | instid1(VALU_DEP_1)
	v_and_b32_e32 v9, 0x7fffffff, v1
	v_cmpx_gt_u32_e32 0x47800000, v9
	s_cbranch_execz .LBB190_3795
; %bb.3790:
	v_cmp_lt_u32_e32 vcc_lo, 0x37ffffff, v9
	s_mov_b32 s8, 0
                                        ; implicit-def: $vgpr9
	s_and_saveexec_b32 s9, vcc_lo
	s_delay_alu instid0(SALU_CYCLE_1)
	s_xor_b32 s9, exec_lo, s9
	s_cbranch_execz .LBB190_4120
; %bb.3791:
	v_bfe_u32 v9, v1, 21, 1
	s_mov_b32 s8, exec_lo
	s_delay_alu instid0(VALU_DEP_1) | instskip(NEXT) | instid1(VALU_DEP_1)
	v_add3_u32 v9, v1, v9, 0x88fffff
	v_lshrrev_b32_e32 v9, 21, v9
	s_and_not1_saveexec_b32 s9, s9
	s_cbranch_execnz .LBB190_4121
.LBB190_3792:
	s_or_b32 exec_lo, exec_lo, s9
	v_mov_b32_e32 v10, 0
	s_and_saveexec_b32 s9, s8
.LBB190_3793:
	v_lshrrev_b32_e32 v1, 24, v1
	s_delay_alu instid0(VALU_DEP_1)
	v_and_or_b32 v10, 0x80, v1, v9
.LBB190_3794:
	s_or_b32 exec_lo, exec_lo, s9
.LBB190_3795:
	s_delay_alu instid0(SALU_CYCLE_1)
	s_or_b32 exec_lo, exec_lo, s7
	s_mov_b32 s7, 0
	global_store_b8 v[2:3], v10, off
.LBB190_3796:
	s_and_b32 vcc_lo, exec_lo, s7
	s_cbranch_vccz .LBB190_3806
; %bb.3797:
	s_wait_xcnt 0x0
	v_cvt_f32_f16_e32 v1, v8
	s_mov_b32 s7, exec_lo
                                        ; implicit-def: $vgpr9
	s_delay_alu instid0(VALU_DEP_1) | instskip(NEXT) | instid1(VALU_DEP_1)
	v_and_b32_e32 v10, 0x7fffffff, v1
	v_cmpx_gt_u32_e32 0x43f00000, v10
	s_xor_b32 s7, exec_lo, s7
	s_cbranch_execz .LBB190_3803
; %bb.3798:
	s_mov_b32 s8, exec_lo
                                        ; implicit-def: $vgpr9
	v_cmpx_lt_u32_e32 0x3c7fffff, v10
	s_xor_b32 s8, exec_lo, s8
; %bb.3799:
	v_bfe_u32 v9, v1, 20, 1
	s_delay_alu instid0(VALU_DEP_1) | instskip(NEXT) | instid1(VALU_DEP_1)
	v_add3_u32 v9, v1, v9, 0x407ffff
	v_and_b32_e32 v10, 0xff00000, v9
	v_lshrrev_b32_e32 v9, 20, v9
	s_delay_alu instid0(VALU_DEP_2) | instskip(NEXT) | instid1(VALU_DEP_2)
	v_cmp_ne_u32_e32 vcc_lo, 0x7f00000, v10
	v_cndmask_b32_e32 v9, 0x7e, v9, vcc_lo
; %bb.3800:
	s_and_not1_saveexec_b32 s8, s8
; %bb.3801:
	v_add_f32_e64 v9, 0x46800000, |v1|
; %bb.3802:
	s_or_b32 exec_lo, exec_lo, s8
                                        ; implicit-def: $vgpr10
.LBB190_3803:
	s_and_not1_saveexec_b32 s7, s7
; %bb.3804:
	v_mov_b32_e32 v9, 0x7f
	v_cmp_lt_u32_e32 vcc_lo, 0x7f800000, v10
	s_delay_alu instid0(VALU_DEP_2)
	v_cndmask_b32_e32 v9, 0x7e, v9, vcc_lo
; %bb.3805:
	s_or_b32 exec_lo, exec_lo, s7
	v_lshrrev_b32_e32 v1, 24, v1
	s_delay_alu instid0(VALU_DEP_1)
	v_and_or_b32 v1, 0x80, v1, v9
	global_store_b8 v[2:3], v1, off
.LBB190_3806:
	s_mov_b32 s7, 0
.LBB190_3807:
	s_delay_alu instid0(SALU_CYCLE_1)
	s_and_not1_b32 vcc_lo, exec_lo, s7
	s_cbranch_vccnz .LBB190_3817
; %bb.3808:
	s_wait_xcnt 0x0
	v_cvt_f32_f16_e32 v1, v8
	s_mov_b32 s7, exec_lo
                                        ; implicit-def: $vgpr9
	s_delay_alu instid0(VALU_DEP_1) | instskip(NEXT) | instid1(VALU_DEP_1)
	v_and_b32_e32 v10, 0x7fffffff, v1
	v_cmpx_gt_u32_e32 0x47800000, v10
	s_xor_b32 s7, exec_lo, s7
	s_cbranch_execz .LBB190_3814
; %bb.3809:
	s_mov_b32 s8, exec_lo
                                        ; implicit-def: $vgpr9
	v_cmpx_lt_u32_e32 0x387fffff, v10
	s_xor_b32 s8, exec_lo, s8
; %bb.3810:
	v_bfe_u32 v9, v1, 21, 1
	s_delay_alu instid0(VALU_DEP_1) | instskip(NEXT) | instid1(VALU_DEP_1)
	v_add3_u32 v9, v1, v9, 0x80fffff
	v_lshrrev_b32_e32 v9, 21, v9
; %bb.3811:
	s_and_not1_saveexec_b32 s8, s8
; %bb.3812:
	v_add_f32_e64 v9, 0x43000000, |v1|
; %bb.3813:
	s_or_b32 exec_lo, exec_lo, s8
                                        ; implicit-def: $vgpr10
.LBB190_3814:
	s_and_not1_saveexec_b32 s7, s7
; %bb.3815:
	v_mov_b32_e32 v9, 0x7f
	v_cmp_lt_u32_e32 vcc_lo, 0x7f800000, v10
	s_delay_alu instid0(VALU_DEP_2)
	v_cndmask_b32_e32 v9, 0x7c, v9, vcc_lo
; %bb.3816:
	s_or_b32 exec_lo, exec_lo, s7
	v_lshrrev_b32_e32 v1, 24, v1
	s_delay_alu instid0(VALU_DEP_1)
	v_and_or_b32 v1, 0x80, v1, v9
	global_store_b8 v[2:3], v1, off
.LBB190_3817:
	s_mov_b32 s7, 0
	s_mov_b32 s8, -1
.LBB190_3818:
	s_and_not1_b32 vcc_lo, exec_lo, s7
	s_mov_b32 s7, 0
	s_cbranch_vccnz .LBB190_3825
; %bb.3819:
	s_cmp_gt_i32 s6, 14
	s_mov_b32 s7, -1
	s_cbranch_scc0 .LBB190_3823
; %bb.3820:
	s_cmp_eq_u32 s6, 15
	s_mov_b32 s0, -1
	s_cbranch_scc0 .LBB190_3822
; %bb.3821:
	s_wait_xcnt 0x0
	v_cvt_f32_f16_e32 v1, v8
	v_cmp_o_f16_e32 vcc_lo, v8, v8
	s_mov_b32 s0, 0
	s_mov_b32 s8, -1
	s_delay_alu instid0(VALU_DEP_2) | instskip(NEXT) | instid1(VALU_DEP_1)
	v_bfe_u32 v9, v1, 16, 1
	v_add3_u32 v1, v1, v9, 0x7fff
	s_delay_alu instid0(VALU_DEP_1) | instskip(NEXT) | instid1(VALU_DEP_1)
	v_lshrrev_b32_e32 v1, 16, v1
	v_cndmask_b32_e32 v1, 0x7fc0, v1, vcc_lo
	global_store_b16 v[2:3], v1, off
.LBB190_3822:
	s_mov_b32 s7, 0
.LBB190_3823:
	s_delay_alu instid0(SALU_CYCLE_1)
	s_and_b32 vcc_lo, exec_lo, s7
	s_mov_b32 s7, 0
	s_cbranch_vccz .LBB190_3825
; %bb.3824:
	s_cmp_lg_u32 s6, 11
	s_mov_b32 s7, -1
	s_cselect_b32 s0, -1, 0
.LBB190_3825:
	s_delay_alu instid0(SALU_CYCLE_1)
	s_and_b32 vcc_lo, exec_lo, s0
	s_cbranch_vccnz .LBB190_4119
; %bb.3826:
	s_and_not1_b32 vcc_lo, exec_lo, s7
	s_cbranch_vccnz .LBB190_3828
.LBB190_3827:
	v_cmp_neq_f16_e32 vcc_lo, 0, v8
	s_mov_b32 s8, -1
	s_wait_xcnt 0x0
	v_cndmask_b32_e64 v1, 0, 1, vcc_lo
	global_store_b8 v[2:3], v1, off
.LBB190_3828:
	s_mov_b32 s0, 0
	s_branch .LBB190_3830
.LBB190_3829:
	s_mov_b32 s0, -1
	s_mov_b32 s8, 0
.LBB190_3830:
	s_and_b32 vcc_lo, exec_lo, s0
	s_cbranch_vccz .LBB190_3869
; %bb.3831:
	s_and_b32 s0, 0xffff, s22
	s_mov_b32 s6, -1
	s_cmp_lt_i32 s0, 5
	s_cbranch_scc1 .LBB190_3852
; %bb.3832:
	s_cmp_lt_i32 s0, 8
	s_cbranch_scc1 .LBB190_3842
; %bb.3833:
	;; [unrolled: 3-line block ×3, first 2 shown]
	s_cmp_gt_i32 s0, 9
	s_cbranch_scc0 .LBB190_3836
; %bb.3835:
	s_wait_xcnt 0x0
	v_cvt_f32_f16_e32 v1, v8
	v_mov_b32_e32 v12, 0
	s_mov_b32 s6, 0
	s_delay_alu instid0(VALU_DEP_2) | instskip(NEXT) | instid1(VALU_DEP_2)
	v_cvt_f64_f32_e32 v[10:11], v1
	v_mov_b32_e32 v13, v12
	global_store_b128 v[2:3], v[10:13], off
.LBB190_3836:
	s_and_not1_b32 vcc_lo, exec_lo, s6
	s_cbranch_vccnz .LBB190_3838
; %bb.3837:
	s_wait_xcnt 0x0
	v_cvt_f32_f16_e32 v10, v8
	v_mov_b32_e32 v11, 0
	global_store_b64 v[2:3], v[10:11], off
.LBB190_3838:
	s_mov_b32 s6, 0
.LBB190_3839:
	s_delay_alu instid0(SALU_CYCLE_1)
	s_and_not1_b32 vcc_lo, exec_lo, s6
	s_cbranch_vccnz .LBB190_3841
; %bb.3840:
	s_wait_xcnt 0x0
	v_and_b32_e32 v1, 0xffff, v8
	global_store_b32 v[2:3], v1, off
.LBB190_3841:
	s_mov_b32 s6, 0
.LBB190_3842:
	s_delay_alu instid0(SALU_CYCLE_1)
	s_and_not1_b32 vcc_lo, exec_lo, s6
	s_cbranch_vccnz .LBB190_3851
; %bb.3843:
	s_cmp_lt_i32 s0, 6
	s_mov_b32 s6, -1
	s_cbranch_scc1 .LBB190_3849
; %bb.3844:
	s_cmp_gt_i32 s0, 6
	s_cbranch_scc0 .LBB190_3846
; %bb.3845:
	s_wait_xcnt 0x0
	v_cvt_f32_f16_e32 v1, v8
	s_mov_b32 s6, 0
	s_delay_alu instid0(VALU_DEP_1)
	v_cvt_f64_f32_e32 v[10:11], v1
	global_store_b64 v[2:3], v[10:11], off
.LBB190_3846:
	s_and_not1_b32 vcc_lo, exec_lo, s6
	s_cbranch_vccnz .LBB190_3848
; %bb.3847:
	s_wait_xcnt 0x0
	v_cvt_f32_f16_e32 v1, v8
	global_store_b32 v[2:3], v1, off
.LBB190_3848:
	s_mov_b32 s6, 0
.LBB190_3849:
	s_delay_alu instid0(SALU_CYCLE_1)
	s_and_not1_b32 vcc_lo, exec_lo, s6
	s_cbranch_vccnz .LBB190_3851
; %bb.3850:
	global_store_b16 v[2:3], v8, off
.LBB190_3851:
	s_mov_b32 s6, 0
.LBB190_3852:
	s_delay_alu instid0(SALU_CYCLE_1)
	s_and_not1_b32 vcc_lo, exec_lo, s6
	s_cbranch_vccnz .LBB190_3868
; %bb.3853:
	s_cmp_lt_i32 s0, 2
	s_mov_b32 s6, -1
	s_cbranch_scc1 .LBB190_3863
; %bb.3854:
	s_cmp_lt_i32 s0, 3
	s_cbranch_scc1 .LBB190_3860
; %bb.3855:
	s_cmp_gt_i32 s0, 3
	s_cbranch_scc0 .LBB190_3857
; %bb.3856:
	s_wait_xcnt 0x0
	v_cvt_f32_f16_e32 v1, v8
	s_mov_b32 s6, 0
	s_delay_alu instid0(VALU_DEP_1) | instskip(NEXT) | instid1(VALU_DEP_1)
	v_cvt_i32_f32_e32 v10, v1
	v_ashrrev_i32_e32 v11, 31, v10
	global_store_b64 v[2:3], v[10:11], off
.LBB190_3857:
	s_and_not1_b32 vcc_lo, exec_lo, s6
	s_cbranch_vccnz .LBB190_3859
; %bb.3858:
	s_wait_xcnt 0x0
	v_cvt_f32_f16_e32 v1, v8
	s_delay_alu instid0(VALU_DEP_1)
	v_cvt_i32_f32_e32 v1, v1
	global_store_b32 v[2:3], v1, off
.LBB190_3859:
	s_mov_b32 s6, 0
.LBB190_3860:
	s_delay_alu instid0(SALU_CYCLE_1)
	s_and_not1_b32 vcc_lo, exec_lo, s6
	s_cbranch_vccnz .LBB190_3862
; %bb.3861:
	s_wait_xcnt 0x0
	v_cvt_i16_f16_e32 v1, v8
	global_store_b16 v[2:3], v1, off
.LBB190_3862:
	s_mov_b32 s6, 0
.LBB190_3863:
	s_delay_alu instid0(SALU_CYCLE_1)
	s_and_not1_b32 vcc_lo, exec_lo, s6
	s_cbranch_vccnz .LBB190_3868
; %bb.3864:
	s_cmp_gt_i32 s0, 0
	s_mov_b32 s0, -1
	s_cbranch_scc0 .LBB190_3866
; %bb.3865:
	s_wait_xcnt 0x0
	v_cvt_i16_f16_e32 v1, v8
	s_mov_b32 s0, 0
	global_store_b8 v[2:3], v1, off
.LBB190_3866:
	s_and_not1_b32 vcc_lo, exec_lo, s0
	s_cbranch_vccnz .LBB190_3868
; %bb.3867:
	s_wait_xcnt 0x0
	v_cvt_f32_f16_e32 v1, v8
	s_delay_alu instid0(VALU_DEP_1)
	v_cvt_i32_f32_e32 v1, v1
	global_store_b8 v[2:3], v1, off
.LBB190_3868:
	s_mov_b32 s8, -1
.LBB190_3869:
	s_delay_alu instid0(SALU_CYCLE_1)
	s_and_not1_b32 vcc_lo, exec_lo, s8
	s_cbranch_vccnz .LBB190_4065
; %bb.3870:
	v_add_nc_u32_e32 v0, s3, v0
	s_wait_xcnt 0x0
	v_mul_f16_e32 v2, s1, v16
	s_cmp_lt_i32 s22, 11
	s_delay_alu instid0(VALU_DEP_2) | instskip(NEXT) | instid1(VALU_DEP_2)
	v_ashrrev_i32_e32 v1, 31, v0
	v_mul_f16_e32 v5, v2, v5
	s_delay_alu instid0(VALU_DEP_2) | instskip(NEXT) | instid1(VALU_DEP_2)
	v_add_nc_u64_e32 v[2:3], s[4:5], v[0:1]
	v_fmac_f16_e32 v5, s2, v15
	s_cbranch_scc1 .LBB190_3948
; %bb.3871:
	s_and_b32 s6, 0xffff, s22
	s_mov_b32 s9, -1
	s_mov_b32 s7, 0
	s_cmp_gt_i32 s6, 25
	s_mov_b32 s8, 0
	s_mov_b32 s0, 0
	s_cbranch_scc0 .LBB190_3904
; %bb.3872:
	s_cmp_gt_i32 s6, 28
	s_cbranch_scc0 .LBB190_3887
; %bb.3873:
	s_cmp_gt_i32 s6, 43
	s_cbranch_scc0 .LBB190_3883
; %bb.3874:
	s_cmp_gt_i32 s6, 45
	s_cbranch_scc0 .LBB190_3877
; %bb.3875:
	s_mov_b32 s0, -1
	s_mov_b32 s9, 0
	s_cmp_eq_u32 s6, 46
	s_cbranch_scc0 .LBB190_3877
; %bb.3876:
	v_cvt_f32_f16_e32 v1, v5
	v_cmp_o_f16_e32 vcc_lo, v5, v5
	s_mov_b32 s0, 0
	s_mov_b32 s8, -1
	s_delay_alu instid0(VALU_DEP_2) | instskip(NEXT) | instid1(VALU_DEP_1)
	v_bfe_u32 v8, v1, 16, 1
	v_add3_u32 v1, v1, v8, 0x7fff
	s_delay_alu instid0(VALU_DEP_1) | instskip(NEXT) | instid1(VALU_DEP_1)
	v_lshrrev_b32_e32 v1, 16, v1
	v_cndmask_b32_e32 v1, 0x7fc0, v1, vcc_lo
	global_store_b32 v[2:3], v1, off
.LBB190_3877:
	s_and_b32 vcc_lo, exec_lo, s9
	s_cbranch_vccz .LBB190_3882
; %bb.3878:
	s_cmp_eq_u32 s6, 44
	s_mov_b32 s0, -1
	s_cbranch_scc0 .LBB190_3882
; %bb.3879:
	s_wait_xcnt 0x0
	v_cvt_f32_f16_e32 v1, v5
	v_mov_b32_e32 v8, 0xff
	s_mov_b32 s8, exec_lo
	s_delay_alu instid0(VALU_DEP_2) | instskip(NEXT) | instid1(VALU_DEP_1)
	v_bfe_u32 v9, v1, 23, 8
	v_cmpx_ne_u32_e32 0xff, v9
	s_cbranch_execz .LBB190_3881
; %bb.3880:
	v_and_b32_e32 v8, 0x400000, v1
	v_and_or_b32 v9, 0x3fffff, v1, v9
	v_lshrrev_b32_e32 v1, 23, v1
	s_delay_alu instid0(VALU_DEP_3) | instskip(NEXT) | instid1(VALU_DEP_3)
	v_cmp_ne_u32_e32 vcc_lo, 0, v8
	v_cmp_ne_u32_e64 s0, 0, v9
	s_and_b32 s0, vcc_lo, s0
	s_delay_alu instid0(SALU_CYCLE_1) | instskip(NEXT) | instid1(VALU_DEP_1)
	v_cndmask_b32_e64 v8, 0, 1, s0
	v_add_nc_u32_e32 v8, v1, v8
.LBB190_3881:
	s_or_b32 exec_lo, exec_lo, s8
	s_mov_b32 s0, 0
	s_mov_b32 s8, -1
	global_store_b8 v[2:3], v8, off
.LBB190_3882:
	s_mov_b32 s9, 0
.LBB190_3883:
	s_delay_alu instid0(SALU_CYCLE_1)
	s_and_b32 vcc_lo, exec_lo, s9
	s_cbranch_vccz .LBB190_3886
; %bb.3884:
	s_cmp_eq_u32 s6, 29
	s_mov_b32 s0, -1
	s_cbranch_scc0 .LBB190_3886
; %bb.3885:
	s_wait_xcnt 0x0
	v_cvt_f32_f16_e32 v1, v5
	v_mov_b32_e32 v9, 0
	s_mov_b32 s0, 0
	s_mov_b32 s8, -1
	s_delay_alu instid0(VALU_DEP_2)
	v_cvt_u32_f32_e32 v8, v1
	global_store_b64 v[2:3], v[8:9], off
.LBB190_3886:
	s_mov_b32 s9, 0
.LBB190_3887:
	s_delay_alu instid0(SALU_CYCLE_1)
	s_and_b32 vcc_lo, exec_lo, s9
	s_cbranch_vccz .LBB190_3903
; %bb.3888:
	s_cmp_lt_i32 s6, 27
	s_mov_b32 s8, -1
	s_cbranch_scc1 .LBB190_3894
; %bb.3889:
	s_cmp_gt_i32 s6, 27
	s_cbranch_scc0 .LBB190_3891
; %bb.3890:
	s_wait_xcnt 0x0
	v_cvt_f32_f16_e32 v1, v5
	s_mov_b32 s8, 0
	s_delay_alu instid0(VALU_DEP_1)
	v_cvt_u32_f32_e32 v1, v1
	global_store_b32 v[2:3], v1, off
.LBB190_3891:
	s_and_not1_b32 vcc_lo, exec_lo, s8
	s_cbranch_vccnz .LBB190_3893
; %bb.3892:
	s_wait_xcnt 0x0
	v_cvt_u16_f16_e32 v1, v5
	global_store_b16 v[2:3], v1, off
.LBB190_3893:
	s_mov_b32 s8, 0
.LBB190_3894:
	s_delay_alu instid0(SALU_CYCLE_1)
	s_and_not1_b32 vcc_lo, exec_lo, s8
	s_cbranch_vccnz .LBB190_3902
; %bb.3895:
	s_wait_xcnt 0x0
	v_cvt_f32_f16_e32 v1, v5
	v_mov_b32_e32 v9, 0x80
	s_mov_b32 s8, exec_lo
	s_delay_alu instid0(VALU_DEP_2) | instskip(NEXT) | instid1(VALU_DEP_1)
	v_and_b32_e32 v8, 0x7fffffff, v1
	v_cmpx_gt_u32_e32 0x43800000, v8
	s_cbranch_execz .LBB190_3901
; %bb.3896:
	v_cmp_lt_u32_e32 vcc_lo, 0x3bffffff, v8
	s_mov_b32 s9, 0
                                        ; implicit-def: $vgpr8
	s_and_saveexec_b32 s10, vcc_lo
	s_delay_alu instid0(SALU_CYCLE_1)
	s_xor_b32 s10, exec_lo, s10
	s_cbranch_execz .LBB190_4122
; %bb.3897:
	v_bfe_u32 v8, v1, 20, 1
	s_mov_b32 s9, exec_lo
	s_delay_alu instid0(VALU_DEP_1) | instskip(NEXT) | instid1(VALU_DEP_1)
	v_add3_u32 v8, v1, v8, 0x487ffff
	v_lshrrev_b32_e32 v8, 20, v8
	s_and_not1_saveexec_b32 s10, s10
	s_cbranch_execnz .LBB190_4123
.LBB190_3898:
	s_or_b32 exec_lo, exec_lo, s10
	v_mov_b32_e32 v9, 0
	s_and_saveexec_b32 s10, s9
.LBB190_3899:
	v_lshrrev_b32_e32 v1, 24, v1
	s_delay_alu instid0(VALU_DEP_1)
	v_and_or_b32 v9, 0x80, v1, v8
.LBB190_3900:
	s_or_b32 exec_lo, exec_lo, s10
.LBB190_3901:
	s_delay_alu instid0(SALU_CYCLE_1)
	s_or_b32 exec_lo, exec_lo, s8
	global_store_b8 v[2:3], v9, off
.LBB190_3902:
	s_mov_b32 s8, -1
.LBB190_3903:
	s_mov_b32 s9, 0
.LBB190_3904:
	s_delay_alu instid0(SALU_CYCLE_1)
	s_and_b32 vcc_lo, exec_lo, s9
	s_cbranch_vccz .LBB190_3944
; %bb.3905:
	s_cmp_gt_i32 s6, 22
	s_mov_b32 s7, -1
	s_cbranch_scc0 .LBB190_3937
; %bb.3906:
	s_cmp_lt_i32 s6, 24
	s_cbranch_scc1 .LBB190_3926
; %bb.3907:
	s_cmp_gt_i32 s6, 24
	s_cbranch_scc0 .LBB190_3915
; %bb.3908:
	s_wait_xcnt 0x0
	v_cvt_f32_f16_e32 v1, v5
	v_mov_b32_e32 v9, 0x80
	s_mov_b32 s7, exec_lo
	s_delay_alu instid0(VALU_DEP_2) | instskip(NEXT) | instid1(VALU_DEP_1)
	v_and_b32_e32 v8, 0x7fffffff, v1
	v_cmpx_gt_u32_e32 0x47800000, v8
	s_cbranch_execz .LBB190_3914
; %bb.3909:
	v_cmp_lt_u32_e32 vcc_lo, 0x37ffffff, v8
	s_mov_b32 s8, 0
                                        ; implicit-def: $vgpr8
	s_and_saveexec_b32 s9, vcc_lo
	s_delay_alu instid0(SALU_CYCLE_1)
	s_xor_b32 s9, exec_lo, s9
	s_cbranch_execz .LBB190_4125
; %bb.3910:
	v_bfe_u32 v8, v1, 21, 1
	s_mov_b32 s8, exec_lo
	s_delay_alu instid0(VALU_DEP_1) | instskip(NEXT) | instid1(VALU_DEP_1)
	v_add3_u32 v8, v1, v8, 0x88fffff
	v_lshrrev_b32_e32 v8, 21, v8
	s_and_not1_saveexec_b32 s9, s9
	s_cbranch_execnz .LBB190_4126
.LBB190_3911:
	s_or_b32 exec_lo, exec_lo, s9
	v_mov_b32_e32 v9, 0
	s_and_saveexec_b32 s9, s8
.LBB190_3912:
	v_lshrrev_b32_e32 v1, 24, v1
	s_delay_alu instid0(VALU_DEP_1)
	v_and_or_b32 v9, 0x80, v1, v8
.LBB190_3913:
	s_or_b32 exec_lo, exec_lo, s9
.LBB190_3914:
	s_delay_alu instid0(SALU_CYCLE_1)
	s_or_b32 exec_lo, exec_lo, s7
	s_mov_b32 s7, 0
	global_store_b8 v[2:3], v9, off
.LBB190_3915:
	s_and_b32 vcc_lo, exec_lo, s7
	s_cbranch_vccz .LBB190_3925
; %bb.3916:
	s_wait_xcnt 0x0
	v_cvt_f32_f16_e32 v1, v5
	s_mov_b32 s7, exec_lo
                                        ; implicit-def: $vgpr8
	s_delay_alu instid0(VALU_DEP_1) | instskip(NEXT) | instid1(VALU_DEP_1)
	v_and_b32_e32 v9, 0x7fffffff, v1
	v_cmpx_gt_u32_e32 0x43f00000, v9
	s_xor_b32 s7, exec_lo, s7
	s_cbranch_execz .LBB190_3922
; %bb.3917:
	s_mov_b32 s8, exec_lo
                                        ; implicit-def: $vgpr8
	v_cmpx_lt_u32_e32 0x3c7fffff, v9
	s_xor_b32 s8, exec_lo, s8
; %bb.3918:
	v_bfe_u32 v8, v1, 20, 1
	s_delay_alu instid0(VALU_DEP_1) | instskip(NEXT) | instid1(VALU_DEP_1)
	v_add3_u32 v8, v1, v8, 0x407ffff
	v_and_b32_e32 v9, 0xff00000, v8
	v_lshrrev_b32_e32 v8, 20, v8
	s_delay_alu instid0(VALU_DEP_2) | instskip(NEXT) | instid1(VALU_DEP_2)
	v_cmp_ne_u32_e32 vcc_lo, 0x7f00000, v9
	v_cndmask_b32_e32 v8, 0x7e, v8, vcc_lo
; %bb.3919:
	s_and_not1_saveexec_b32 s8, s8
; %bb.3920:
	v_add_f32_e64 v8, 0x46800000, |v1|
; %bb.3921:
	s_or_b32 exec_lo, exec_lo, s8
                                        ; implicit-def: $vgpr9
.LBB190_3922:
	s_and_not1_saveexec_b32 s7, s7
; %bb.3923:
	v_mov_b32_e32 v8, 0x7f
	v_cmp_lt_u32_e32 vcc_lo, 0x7f800000, v9
	s_delay_alu instid0(VALU_DEP_2)
	v_cndmask_b32_e32 v8, 0x7e, v8, vcc_lo
; %bb.3924:
	s_or_b32 exec_lo, exec_lo, s7
	v_lshrrev_b32_e32 v1, 24, v1
	s_delay_alu instid0(VALU_DEP_1)
	v_and_or_b32 v1, 0x80, v1, v8
	global_store_b8 v[2:3], v1, off
.LBB190_3925:
	s_mov_b32 s7, 0
.LBB190_3926:
	s_delay_alu instid0(SALU_CYCLE_1)
	s_and_not1_b32 vcc_lo, exec_lo, s7
	s_cbranch_vccnz .LBB190_3936
; %bb.3927:
	s_wait_xcnt 0x0
	v_cvt_f32_f16_e32 v1, v5
	s_mov_b32 s7, exec_lo
                                        ; implicit-def: $vgpr8
	s_delay_alu instid0(VALU_DEP_1) | instskip(NEXT) | instid1(VALU_DEP_1)
	v_and_b32_e32 v9, 0x7fffffff, v1
	v_cmpx_gt_u32_e32 0x47800000, v9
	s_xor_b32 s7, exec_lo, s7
	s_cbranch_execz .LBB190_3933
; %bb.3928:
	s_mov_b32 s8, exec_lo
                                        ; implicit-def: $vgpr8
	v_cmpx_lt_u32_e32 0x387fffff, v9
	s_xor_b32 s8, exec_lo, s8
; %bb.3929:
	v_bfe_u32 v8, v1, 21, 1
	s_delay_alu instid0(VALU_DEP_1) | instskip(NEXT) | instid1(VALU_DEP_1)
	v_add3_u32 v8, v1, v8, 0x80fffff
	v_lshrrev_b32_e32 v8, 21, v8
; %bb.3930:
	s_and_not1_saveexec_b32 s8, s8
; %bb.3931:
	v_add_f32_e64 v8, 0x43000000, |v1|
; %bb.3932:
	s_or_b32 exec_lo, exec_lo, s8
                                        ; implicit-def: $vgpr9
.LBB190_3933:
	s_and_not1_saveexec_b32 s7, s7
; %bb.3934:
	v_mov_b32_e32 v8, 0x7f
	v_cmp_lt_u32_e32 vcc_lo, 0x7f800000, v9
	s_delay_alu instid0(VALU_DEP_2)
	v_cndmask_b32_e32 v8, 0x7c, v8, vcc_lo
; %bb.3935:
	s_or_b32 exec_lo, exec_lo, s7
	v_lshrrev_b32_e32 v1, 24, v1
	s_delay_alu instid0(VALU_DEP_1)
	v_and_or_b32 v1, 0x80, v1, v8
	global_store_b8 v[2:3], v1, off
.LBB190_3936:
	s_mov_b32 s7, 0
	s_mov_b32 s8, -1
.LBB190_3937:
	s_and_not1_b32 vcc_lo, exec_lo, s7
	s_mov_b32 s7, 0
	s_cbranch_vccnz .LBB190_3944
; %bb.3938:
	s_cmp_gt_i32 s6, 14
	s_mov_b32 s7, -1
	s_cbranch_scc0 .LBB190_3942
; %bb.3939:
	s_cmp_eq_u32 s6, 15
	s_mov_b32 s0, -1
	s_cbranch_scc0 .LBB190_3941
; %bb.3940:
	s_wait_xcnt 0x0
	v_cvt_f32_f16_e32 v1, v5
	v_cmp_o_f16_e32 vcc_lo, v5, v5
	s_mov_b32 s0, 0
	s_mov_b32 s8, -1
	s_delay_alu instid0(VALU_DEP_2) | instskip(NEXT) | instid1(VALU_DEP_1)
	v_bfe_u32 v8, v1, 16, 1
	v_add3_u32 v1, v1, v8, 0x7fff
	s_delay_alu instid0(VALU_DEP_1) | instskip(NEXT) | instid1(VALU_DEP_1)
	v_lshrrev_b32_e32 v1, 16, v1
	v_cndmask_b32_e32 v1, 0x7fc0, v1, vcc_lo
	global_store_b16 v[2:3], v1, off
.LBB190_3941:
	s_mov_b32 s7, 0
.LBB190_3942:
	s_delay_alu instid0(SALU_CYCLE_1)
	s_and_b32 vcc_lo, exec_lo, s7
	s_mov_b32 s7, 0
	s_cbranch_vccz .LBB190_3944
; %bb.3943:
	s_cmp_lg_u32 s6, 11
	s_mov_b32 s7, -1
	s_cselect_b32 s0, -1, 0
.LBB190_3944:
	s_delay_alu instid0(SALU_CYCLE_1)
	s_and_b32 vcc_lo, exec_lo, s0
	s_cbranch_vccnz .LBB190_4124
; %bb.3945:
	s_and_not1_b32 vcc_lo, exec_lo, s7
	s_cbranch_vccnz .LBB190_3947
.LBB190_3946:
	v_cmp_neq_f16_e32 vcc_lo, 0, v5
	s_mov_b32 s8, -1
	s_wait_xcnt 0x0
	v_cndmask_b32_e64 v1, 0, 1, vcc_lo
	global_store_b8 v[2:3], v1, off
.LBB190_3947:
	s_mov_b32 s0, 0
	s_branch .LBB190_3949
.LBB190_3948:
	s_mov_b32 s0, -1
	s_mov_b32 s8, 0
.LBB190_3949:
	s_and_b32 vcc_lo, exec_lo, s0
	s_cbranch_vccz .LBB190_3988
; %bb.3950:
	s_and_b32 s0, 0xffff, s22
	s_mov_b32 s6, -1
	s_cmp_lt_i32 s0, 5
	s_cbranch_scc1 .LBB190_3971
; %bb.3951:
	s_cmp_lt_i32 s0, 8
	s_cbranch_scc1 .LBB190_3961
; %bb.3952:
	;; [unrolled: 3-line block ×3, first 2 shown]
	s_cmp_gt_i32 s0, 9
	s_cbranch_scc0 .LBB190_3955
; %bb.3954:
	s_wait_xcnt 0x0
	v_cvt_f32_f16_e32 v1, v5
	v_mov_b32_e32 v10, 0
	s_mov_b32 s6, 0
	s_delay_alu instid0(VALU_DEP_2) | instskip(NEXT) | instid1(VALU_DEP_2)
	v_cvt_f64_f32_e32 v[8:9], v1
	v_mov_b32_e32 v11, v10
	global_store_b128 v[2:3], v[8:11], off
.LBB190_3955:
	s_and_not1_b32 vcc_lo, exec_lo, s6
	s_cbranch_vccnz .LBB190_3957
; %bb.3956:
	s_wait_xcnt 0x0
	v_cvt_f32_f16_e32 v8, v5
	v_mov_b32_e32 v9, 0
	global_store_b64 v[2:3], v[8:9], off
.LBB190_3957:
	s_mov_b32 s6, 0
.LBB190_3958:
	s_delay_alu instid0(SALU_CYCLE_1)
	s_and_not1_b32 vcc_lo, exec_lo, s6
	s_cbranch_vccnz .LBB190_3960
; %bb.3959:
	s_wait_xcnt 0x0
	v_and_b32_e32 v1, 0xffff, v5
	global_store_b32 v[2:3], v1, off
.LBB190_3960:
	s_mov_b32 s6, 0
.LBB190_3961:
	s_delay_alu instid0(SALU_CYCLE_1)
	s_and_not1_b32 vcc_lo, exec_lo, s6
	s_cbranch_vccnz .LBB190_3970
; %bb.3962:
	s_cmp_lt_i32 s0, 6
	s_mov_b32 s6, -1
	s_cbranch_scc1 .LBB190_3968
; %bb.3963:
	s_cmp_gt_i32 s0, 6
	s_cbranch_scc0 .LBB190_3965
; %bb.3964:
	s_wait_xcnt 0x0
	v_cvt_f32_f16_e32 v1, v5
	s_mov_b32 s6, 0
	s_delay_alu instid0(VALU_DEP_1)
	v_cvt_f64_f32_e32 v[8:9], v1
	global_store_b64 v[2:3], v[8:9], off
.LBB190_3965:
	s_and_not1_b32 vcc_lo, exec_lo, s6
	s_cbranch_vccnz .LBB190_3967
; %bb.3966:
	s_wait_xcnt 0x0
	v_cvt_f32_f16_e32 v1, v5
	global_store_b32 v[2:3], v1, off
.LBB190_3967:
	s_mov_b32 s6, 0
.LBB190_3968:
	s_delay_alu instid0(SALU_CYCLE_1)
	s_and_not1_b32 vcc_lo, exec_lo, s6
	s_cbranch_vccnz .LBB190_3970
; %bb.3969:
	global_store_b16 v[2:3], v5, off
.LBB190_3970:
	s_mov_b32 s6, 0
.LBB190_3971:
	s_delay_alu instid0(SALU_CYCLE_1)
	s_and_not1_b32 vcc_lo, exec_lo, s6
	s_cbranch_vccnz .LBB190_3987
; %bb.3972:
	s_cmp_lt_i32 s0, 2
	s_mov_b32 s6, -1
	s_cbranch_scc1 .LBB190_3982
; %bb.3973:
	s_cmp_lt_i32 s0, 3
	s_cbranch_scc1 .LBB190_3979
; %bb.3974:
	s_cmp_gt_i32 s0, 3
	s_cbranch_scc0 .LBB190_3976
; %bb.3975:
	s_wait_xcnt 0x0
	v_cvt_f32_f16_e32 v1, v5
	s_mov_b32 s6, 0
	s_delay_alu instid0(VALU_DEP_1) | instskip(NEXT) | instid1(VALU_DEP_1)
	v_cvt_i32_f32_e32 v8, v1
	v_ashrrev_i32_e32 v9, 31, v8
	global_store_b64 v[2:3], v[8:9], off
.LBB190_3976:
	s_and_not1_b32 vcc_lo, exec_lo, s6
	s_cbranch_vccnz .LBB190_3978
; %bb.3977:
	s_wait_xcnt 0x0
	v_cvt_f32_f16_e32 v1, v5
	s_delay_alu instid0(VALU_DEP_1)
	v_cvt_i32_f32_e32 v1, v1
	global_store_b32 v[2:3], v1, off
.LBB190_3978:
	s_mov_b32 s6, 0
.LBB190_3979:
	s_delay_alu instid0(SALU_CYCLE_1)
	s_and_not1_b32 vcc_lo, exec_lo, s6
	s_cbranch_vccnz .LBB190_3981
; %bb.3980:
	s_wait_xcnt 0x0
	v_cvt_i16_f16_e32 v1, v5
	global_store_b16 v[2:3], v1, off
.LBB190_3981:
	s_mov_b32 s6, 0
.LBB190_3982:
	s_delay_alu instid0(SALU_CYCLE_1)
	s_and_not1_b32 vcc_lo, exec_lo, s6
	s_cbranch_vccnz .LBB190_3987
; %bb.3983:
	s_cmp_gt_i32 s0, 0
	s_mov_b32 s0, -1
	s_cbranch_scc0 .LBB190_3985
; %bb.3984:
	s_wait_xcnt 0x0
	v_cvt_i16_f16_e32 v1, v5
	s_mov_b32 s0, 0
	global_store_b8 v[2:3], v1, off
.LBB190_3985:
	s_and_not1_b32 vcc_lo, exec_lo, s0
	s_cbranch_vccnz .LBB190_3987
; %bb.3986:
	s_wait_xcnt 0x0
	v_cvt_f32_f16_e32 v1, v5
	s_delay_alu instid0(VALU_DEP_1)
	v_cvt_i32_f32_e32 v1, v1
	global_store_b8 v[2:3], v1, off
.LBB190_3987:
	s_mov_b32 s8, -1
.LBB190_3988:
	s_delay_alu instid0(SALU_CYCLE_1)
	s_and_not1_b32 vcc_lo, exec_lo, s8
	s_cbranch_vccnz .LBB190_4065
; %bb.3989:
	v_add_nc_u32_e32 v0, s3, v0
	s_wait_xcnt 0x0
	v_mul_f16_e32 v2, s1, v7
	s_cmp_lt_i32 s22, 11
	s_delay_alu instid0(VALU_DEP_2) | instskip(NEXT) | instid1(VALU_DEP_2)
	v_ashrrev_i32_e32 v1, 31, v0
	v_mul_f16_e32 v4, v2, v4
	s_delay_alu instid0(VALU_DEP_2) | instskip(NEXT) | instid1(VALU_DEP_2)
	v_add_nc_u64_e32 v[0:1], s[4:5], v[0:1]
	v_fmac_f16_e32 v4, s2, v6
	s_cbranch_scc1 .LBB190_4110
; %bb.3990:
	s_and_b32 s2, 0xffff, s22
	s_mov_b32 s3, -1
	s_mov_b32 s1, 0
	s_cmp_gt_i32 s2, 25
	s_mov_b32 s0, 0
	s_cbranch_scc0 .LBB190_4023
; %bb.3991:
	s_cmp_gt_i32 s2, 28
	s_cbranch_scc0 .LBB190_4007
; %bb.3992:
	s_cmp_gt_i32 s2, 43
	;; [unrolled: 3-line block ×3, first 2 shown]
	s_cbranch_scc0 .LBB190_3997
; %bb.3994:
	s_cmp_eq_u32 s2, 46
	s_mov_b32 s0, -1
	s_cbranch_scc0 .LBB190_3996
; %bb.3995:
	v_cvt_f32_f16_e32 v2, v4
	v_cmp_o_f16_e32 vcc_lo, v4, v4
	s_mov_b32 s0, 0
	s_delay_alu instid0(VALU_DEP_2) | instskip(NEXT) | instid1(VALU_DEP_1)
	v_bfe_u32 v3, v2, 16, 1
	v_add3_u32 v2, v2, v3, 0x7fff
	s_delay_alu instid0(VALU_DEP_1) | instskip(NEXT) | instid1(VALU_DEP_1)
	v_lshrrev_b32_e32 v2, 16, v2
	v_cndmask_b32_e32 v2, 0x7fc0, v2, vcc_lo
	global_store_b32 v[0:1], v2, off
.LBB190_3996:
	s_mov_b32 s3, 0
.LBB190_3997:
	s_delay_alu instid0(SALU_CYCLE_1)
	s_and_b32 vcc_lo, exec_lo, s3
	s_cbranch_vccz .LBB190_4002
; %bb.3998:
	s_cmp_eq_u32 s2, 44
	s_mov_b32 s0, -1
	s_cbranch_scc0 .LBB190_4002
; %bb.3999:
	s_wait_xcnt 0x0
	v_cvt_f32_f16_e32 v2, v4
	v_mov_b32_e32 v3, 0xff
	s_mov_b32 s3, exec_lo
	s_delay_alu instid0(VALU_DEP_2) | instskip(NEXT) | instid1(VALU_DEP_1)
	v_bfe_u32 v5, v2, 23, 8
	v_cmpx_ne_u32_e32 0xff, v5
	s_cbranch_execz .LBB190_4001
; %bb.4000:
	v_and_b32_e32 v3, 0x400000, v2
	v_and_or_b32 v5, 0x3fffff, v2, v5
	v_lshrrev_b32_e32 v2, 23, v2
	s_delay_alu instid0(VALU_DEP_3) | instskip(NEXT) | instid1(VALU_DEP_3)
	v_cmp_ne_u32_e32 vcc_lo, 0, v3
	v_cmp_ne_u32_e64 s0, 0, v5
	s_and_b32 s0, vcc_lo, s0
	s_delay_alu instid0(SALU_CYCLE_1) | instskip(NEXT) | instid1(VALU_DEP_1)
	v_cndmask_b32_e64 v3, 0, 1, s0
	v_add_nc_u32_e32 v3, v2, v3
.LBB190_4001:
	s_or_b32 exec_lo, exec_lo, s3
	s_mov_b32 s0, 0
	global_store_b8 v[0:1], v3, off
.LBB190_4002:
	s_mov_b32 s3, 0
.LBB190_4003:
	s_delay_alu instid0(SALU_CYCLE_1)
	s_and_b32 vcc_lo, exec_lo, s3
	s_cbranch_vccz .LBB190_4006
; %bb.4004:
	s_cmp_eq_u32 s2, 29
	s_mov_b32 s0, -1
	s_cbranch_scc0 .LBB190_4006
; %bb.4005:
	s_wait_xcnt 0x0
	v_cvt_f32_f16_e32 v2, v4
	v_mov_b32_e32 v3, 0
	s_mov_b32 s0, 0
	s_delay_alu instid0(VALU_DEP_2)
	v_cvt_u32_f32_e32 v2, v2
	global_store_b64 v[0:1], v[2:3], off
.LBB190_4006:
	s_mov_b32 s3, 0
.LBB190_4007:
	s_delay_alu instid0(SALU_CYCLE_1)
	s_and_b32 vcc_lo, exec_lo, s3
	s_cbranch_vccz .LBB190_4022
; %bb.4008:
	s_cmp_lt_i32 s2, 27
	s_mov_b32 s3, -1
	s_cbranch_scc1 .LBB190_4014
; %bb.4009:
	s_cmp_gt_i32 s2, 27
	s_cbranch_scc0 .LBB190_4011
; %bb.4010:
	s_wait_xcnt 0x0
	v_cvt_f32_f16_e32 v2, v4
	s_mov_b32 s3, 0
	s_delay_alu instid0(VALU_DEP_1)
	v_cvt_u32_f32_e32 v2, v2
	global_store_b32 v[0:1], v2, off
.LBB190_4011:
	s_and_not1_b32 vcc_lo, exec_lo, s3
	s_cbranch_vccnz .LBB190_4013
; %bb.4012:
	s_wait_xcnt 0x0
	v_cvt_u16_f16_e32 v2, v4
	global_store_b16 v[0:1], v2, off
.LBB190_4013:
	s_mov_b32 s3, 0
.LBB190_4014:
	s_delay_alu instid0(SALU_CYCLE_1)
	s_and_not1_b32 vcc_lo, exec_lo, s3
	s_cbranch_vccnz .LBB190_4022
; %bb.4015:
	s_wait_xcnt 0x0
	v_cvt_f32_f16_e32 v2, v4
	v_mov_b32_e32 v5, 0x80
	s_mov_b32 s3, exec_lo
	s_delay_alu instid0(VALU_DEP_2) | instskip(NEXT) | instid1(VALU_DEP_1)
	v_and_b32_e32 v3, 0x7fffffff, v2
	v_cmpx_gt_u32_e32 0x43800000, v3
	s_cbranch_execz .LBB190_4021
; %bb.4016:
	v_cmp_lt_u32_e32 vcc_lo, 0x3bffffff, v3
	s_mov_b32 s4, 0
                                        ; implicit-def: $vgpr3
	s_and_saveexec_b32 s5, vcc_lo
	s_delay_alu instid0(SALU_CYCLE_1)
	s_xor_b32 s5, exec_lo, s5
	s_cbranch_execz .LBB190_4127
; %bb.4017:
	v_bfe_u32 v3, v2, 20, 1
	s_mov_b32 s4, exec_lo
	s_delay_alu instid0(VALU_DEP_1) | instskip(NEXT) | instid1(VALU_DEP_1)
	v_add3_u32 v3, v2, v3, 0x487ffff
	v_lshrrev_b32_e32 v3, 20, v3
	s_and_not1_saveexec_b32 s5, s5
	s_cbranch_execnz .LBB190_4128
.LBB190_4018:
	s_or_b32 exec_lo, exec_lo, s5
	v_mov_b32_e32 v5, 0
	s_and_saveexec_b32 s5, s4
.LBB190_4019:
	v_lshrrev_b32_e32 v2, 24, v2
	s_delay_alu instid0(VALU_DEP_1)
	v_and_or_b32 v5, 0x80, v2, v3
.LBB190_4020:
	s_or_b32 exec_lo, exec_lo, s5
.LBB190_4021:
	s_delay_alu instid0(SALU_CYCLE_1)
	s_or_b32 exec_lo, exec_lo, s3
	global_store_b8 v[0:1], v5, off
.LBB190_4022:
	s_mov_b32 s3, 0
.LBB190_4023:
	s_delay_alu instid0(SALU_CYCLE_1)
	s_and_b32 vcc_lo, exec_lo, s3
	s_cbranch_vccz .LBB190_4063
; %bb.4024:
	s_cmp_gt_i32 s2, 22
	s_mov_b32 s1, -1
	s_cbranch_scc0 .LBB190_4056
; %bb.4025:
	s_cmp_lt_i32 s2, 24
	s_cbranch_scc1 .LBB190_4045
; %bb.4026:
	s_cmp_gt_i32 s2, 24
	s_cbranch_scc0 .LBB190_4034
; %bb.4027:
	s_wait_xcnt 0x0
	v_cvt_f32_f16_e32 v2, v4
	v_mov_b32_e32 v5, 0x80
	s_mov_b32 s1, exec_lo
	s_delay_alu instid0(VALU_DEP_2) | instskip(NEXT) | instid1(VALU_DEP_1)
	v_and_b32_e32 v3, 0x7fffffff, v2
	v_cmpx_gt_u32_e32 0x47800000, v3
	s_cbranch_execz .LBB190_4033
; %bb.4028:
	v_cmp_lt_u32_e32 vcc_lo, 0x37ffffff, v3
	s_mov_b32 s3, 0
                                        ; implicit-def: $vgpr3
	s_and_saveexec_b32 s4, vcc_lo
	s_delay_alu instid0(SALU_CYCLE_1)
	s_xor_b32 s4, exec_lo, s4
	s_cbranch_execz .LBB190_4130
; %bb.4029:
	v_bfe_u32 v3, v2, 21, 1
	s_mov_b32 s3, exec_lo
	s_delay_alu instid0(VALU_DEP_1) | instskip(NEXT) | instid1(VALU_DEP_1)
	v_add3_u32 v3, v2, v3, 0x88fffff
	v_lshrrev_b32_e32 v3, 21, v3
	s_and_not1_saveexec_b32 s4, s4
	s_cbranch_execnz .LBB190_4131
.LBB190_4030:
	s_or_b32 exec_lo, exec_lo, s4
	v_mov_b32_e32 v5, 0
	s_and_saveexec_b32 s4, s3
.LBB190_4031:
	v_lshrrev_b32_e32 v2, 24, v2
	s_delay_alu instid0(VALU_DEP_1)
	v_and_or_b32 v5, 0x80, v2, v3
.LBB190_4032:
	s_or_b32 exec_lo, exec_lo, s4
.LBB190_4033:
	s_delay_alu instid0(SALU_CYCLE_1)
	s_or_b32 exec_lo, exec_lo, s1
	s_mov_b32 s1, 0
	global_store_b8 v[0:1], v5, off
.LBB190_4034:
	s_and_b32 vcc_lo, exec_lo, s1
	s_cbranch_vccz .LBB190_4044
; %bb.4035:
	s_wait_xcnt 0x0
	v_cvt_f32_f16_e32 v2, v4
	s_mov_b32 s1, exec_lo
                                        ; implicit-def: $vgpr3
	s_delay_alu instid0(VALU_DEP_1) | instskip(NEXT) | instid1(VALU_DEP_1)
	v_and_b32_e32 v5, 0x7fffffff, v2
	v_cmpx_gt_u32_e32 0x43f00000, v5
	s_xor_b32 s1, exec_lo, s1
	s_cbranch_execz .LBB190_4041
; %bb.4036:
	s_mov_b32 s3, exec_lo
                                        ; implicit-def: $vgpr3
	v_cmpx_lt_u32_e32 0x3c7fffff, v5
	s_xor_b32 s3, exec_lo, s3
; %bb.4037:
	v_bfe_u32 v3, v2, 20, 1
	s_delay_alu instid0(VALU_DEP_1) | instskip(NEXT) | instid1(VALU_DEP_1)
	v_add3_u32 v3, v2, v3, 0x407ffff
	v_and_b32_e32 v5, 0xff00000, v3
	v_lshrrev_b32_e32 v3, 20, v3
	s_delay_alu instid0(VALU_DEP_2) | instskip(NEXT) | instid1(VALU_DEP_2)
	v_cmp_ne_u32_e32 vcc_lo, 0x7f00000, v5
	v_cndmask_b32_e32 v3, 0x7e, v3, vcc_lo
; %bb.4038:
	s_and_not1_saveexec_b32 s3, s3
; %bb.4039:
	v_add_f32_e64 v3, 0x46800000, |v2|
; %bb.4040:
	s_or_b32 exec_lo, exec_lo, s3
                                        ; implicit-def: $vgpr5
.LBB190_4041:
	s_and_not1_saveexec_b32 s1, s1
; %bb.4042:
	v_mov_b32_e32 v3, 0x7f
	v_cmp_lt_u32_e32 vcc_lo, 0x7f800000, v5
	s_delay_alu instid0(VALU_DEP_2)
	v_cndmask_b32_e32 v3, 0x7e, v3, vcc_lo
; %bb.4043:
	s_or_b32 exec_lo, exec_lo, s1
	v_lshrrev_b32_e32 v2, 24, v2
	s_delay_alu instid0(VALU_DEP_1)
	v_and_or_b32 v2, 0x80, v2, v3
	global_store_b8 v[0:1], v2, off
.LBB190_4044:
	s_mov_b32 s1, 0
.LBB190_4045:
	s_delay_alu instid0(SALU_CYCLE_1)
	s_and_not1_b32 vcc_lo, exec_lo, s1
	s_cbranch_vccnz .LBB190_4055
; %bb.4046:
	s_wait_xcnt 0x0
	v_cvt_f32_f16_e32 v2, v4
	s_mov_b32 s1, exec_lo
                                        ; implicit-def: $vgpr3
	s_delay_alu instid0(VALU_DEP_1) | instskip(NEXT) | instid1(VALU_DEP_1)
	v_and_b32_e32 v5, 0x7fffffff, v2
	v_cmpx_gt_u32_e32 0x47800000, v5
	s_xor_b32 s1, exec_lo, s1
	s_cbranch_execz .LBB190_4052
; %bb.4047:
	s_mov_b32 s3, exec_lo
                                        ; implicit-def: $vgpr3
	v_cmpx_lt_u32_e32 0x387fffff, v5
	s_xor_b32 s3, exec_lo, s3
; %bb.4048:
	v_bfe_u32 v3, v2, 21, 1
	s_delay_alu instid0(VALU_DEP_1) | instskip(NEXT) | instid1(VALU_DEP_1)
	v_add3_u32 v3, v2, v3, 0x80fffff
	v_lshrrev_b32_e32 v3, 21, v3
; %bb.4049:
	s_and_not1_saveexec_b32 s3, s3
; %bb.4050:
	v_add_f32_e64 v3, 0x43000000, |v2|
; %bb.4051:
	s_or_b32 exec_lo, exec_lo, s3
                                        ; implicit-def: $vgpr5
.LBB190_4052:
	s_and_not1_saveexec_b32 s1, s1
; %bb.4053:
	v_mov_b32_e32 v3, 0x7f
	v_cmp_lt_u32_e32 vcc_lo, 0x7f800000, v5
	s_delay_alu instid0(VALU_DEP_2)
	v_cndmask_b32_e32 v3, 0x7c, v3, vcc_lo
; %bb.4054:
	s_or_b32 exec_lo, exec_lo, s1
	v_lshrrev_b32_e32 v2, 24, v2
	s_delay_alu instid0(VALU_DEP_1)
	v_and_or_b32 v2, 0x80, v2, v3
	global_store_b8 v[0:1], v2, off
.LBB190_4055:
	s_mov_b32 s1, 0
.LBB190_4056:
	s_delay_alu instid0(SALU_CYCLE_1)
	s_and_not1_b32 vcc_lo, exec_lo, s1
	s_mov_b32 s1, 0
	s_cbranch_vccnz .LBB190_4063
; %bb.4057:
	s_cmp_gt_i32 s2, 14
	s_mov_b32 s1, -1
	s_cbranch_scc0 .LBB190_4061
; %bb.4058:
	s_cmp_eq_u32 s2, 15
	s_mov_b32 s0, -1
	s_cbranch_scc0 .LBB190_4060
; %bb.4059:
	s_wait_xcnt 0x0
	v_cvt_f32_f16_e32 v2, v4
	v_cmp_o_f16_e32 vcc_lo, v4, v4
	s_mov_b32 s0, 0
	s_delay_alu instid0(VALU_DEP_2) | instskip(NEXT) | instid1(VALU_DEP_1)
	v_bfe_u32 v3, v2, 16, 1
	v_add3_u32 v2, v2, v3, 0x7fff
	s_delay_alu instid0(VALU_DEP_1) | instskip(NEXT) | instid1(VALU_DEP_1)
	v_lshrrev_b32_e32 v2, 16, v2
	v_cndmask_b32_e32 v2, 0x7fc0, v2, vcc_lo
	global_store_b16 v[0:1], v2, off
.LBB190_4060:
	s_mov_b32 s1, 0
.LBB190_4061:
	s_delay_alu instid0(SALU_CYCLE_1)
	s_and_b32 vcc_lo, exec_lo, s1
	s_mov_b32 s1, 0
	s_cbranch_vccz .LBB190_4063
; %bb.4062:
	s_cmp_lg_u32 s2, 11
	s_mov_b32 s1, -1
	s_cselect_b32 s0, -1, 0
.LBB190_4063:
	s_delay_alu instid0(SALU_CYCLE_1)
	s_and_b32 vcc_lo, exec_lo, s0
	s_cbranch_vccnz .LBB190_4129
.LBB190_4064:
	s_mov_b32 s0, 0
	s_branch .LBB190_4066
.LBB190_4065:
	s_mov_b32 s0, 0
	s_mov_b32 s1, 0
                                        ; implicit-def: $sgpr22
                                        ; implicit-def: $vgpr0_vgpr1
                                        ; implicit-def: $vgpr4
.LBB190_4066:
	s_and_not1_b32 s2, s21, exec_lo
	s_and_b32 s3, s18, exec_lo
	s_and_b32 s0, s0, exec_lo
	;; [unrolled: 1-line block ×3, first 2 shown]
	s_or_b32 s21, s2, s3
.LBB190_4067:
	s_wait_xcnt 0x0
	s_or_b32 exec_lo, exec_lo, s20
	s_and_saveexec_b32 s1, s21
	s_cbranch_execz .LBB190_4070
; %bb.4068:
	; divergent unreachable
	s_or_b32 exec_lo, exec_lo, s1
	s_and_saveexec_b32 s1, s18
	s_delay_alu instid0(SALU_CYCLE_1)
	s_xor_b32 s1, exec_lo, s1
	s_cbranch_execnz .LBB190_4071
.LBB190_4069:
	s_or_b32 exec_lo, exec_lo, s1
	s_and_saveexec_b32 s1, s0
	s_cbranch_execnz .LBB190_4072
	s_branch .LBB190_4109
.LBB190_4070:
	s_or_b32 exec_lo, exec_lo, s1
	s_and_saveexec_b32 s1, s18
	s_delay_alu instid0(SALU_CYCLE_1)
	s_xor_b32 s1, exec_lo, s1
	s_cbranch_execz .LBB190_4069
.LBB190_4071:
	s_wait_loadcnt 0x0
	v_cmp_neq_f16_e32 vcc_lo, 0, v4
	v_cndmask_b32_e64 v2, 0, 1, vcc_lo
	global_store_b8 v[0:1], v2, off
	s_wait_xcnt 0x0
	s_or_b32 exec_lo, exec_lo, s1
	s_and_saveexec_b32 s1, s0
	s_cbranch_execz .LBB190_4109
.LBB190_4072:
	s_sext_i32_i16 s1, s22
	s_mov_b32 s0, -1
	s_cmp_lt_i32 s1, 5
	s_cbranch_scc1 .LBB190_4093
; %bb.4073:
	s_cmp_lt_i32 s1, 8
	s_cbranch_scc1 .LBB190_4083
; %bb.4074:
	;; [unrolled: 3-line block ×3, first 2 shown]
	s_cmp_gt_i32 s1, 9
	s_cbranch_scc0 .LBB190_4077
; %bb.4076:
	s_wait_loadcnt 0x0
	v_cvt_f32_f16_e32 v2, v4
	v_mov_b32_e32 v8, 0
	s_mov_b32 s0, 0
	s_delay_alu instid0(VALU_DEP_2) | instskip(NEXT) | instid1(VALU_DEP_2)
	v_cvt_f64_f32_e32 v[6:7], v2
	v_mov_b32_e32 v9, v8
	global_store_b128 v[0:1], v[6:9], off
.LBB190_4077:
	s_and_not1_b32 vcc_lo, exec_lo, s0
	s_cbranch_vccnz .LBB190_4079
; %bb.4078:
	s_wait_loadcnt 0x0
	v_cvt_f32_f16_e32 v2, v4
	v_mov_b32_e32 v3, 0
	global_store_b64 v[0:1], v[2:3], off
.LBB190_4079:
	s_mov_b32 s0, 0
.LBB190_4080:
	s_delay_alu instid0(SALU_CYCLE_1)
	s_and_not1_b32 vcc_lo, exec_lo, s0
	s_cbranch_vccnz .LBB190_4082
; %bb.4081:
	s_wait_loadcnt 0x0
	v_and_b32_e32 v2, 0xffff, v4
	global_store_b32 v[0:1], v2, off
.LBB190_4082:
	s_mov_b32 s0, 0
.LBB190_4083:
	s_delay_alu instid0(SALU_CYCLE_1)
	s_and_not1_b32 vcc_lo, exec_lo, s0
	s_cbranch_vccnz .LBB190_4092
; %bb.4084:
	s_sext_i32_i16 s1, s22
	s_mov_b32 s0, -1
	s_cmp_lt_i32 s1, 6
	s_cbranch_scc1 .LBB190_4090
; %bb.4085:
	s_wait_loadcnt 0x0
	v_cvt_f32_f16_e32 v2, v4
	s_cmp_gt_i32 s1, 6
	s_cbranch_scc0 .LBB190_4087
; %bb.4086:
	s_delay_alu instid0(VALU_DEP_1)
	v_cvt_f64_f32_e32 v[6:7], v2
	s_mov_b32 s0, 0
	global_store_b64 v[0:1], v[6:7], off
.LBB190_4087:
	s_and_not1_b32 vcc_lo, exec_lo, s0
	s_cbranch_vccnz .LBB190_4089
; %bb.4088:
	global_store_b32 v[0:1], v2, off
.LBB190_4089:
	s_mov_b32 s0, 0
.LBB190_4090:
	s_delay_alu instid0(SALU_CYCLE_1)
	s_and_not1_b32 vcc_lo, exec_lo, s0
	s_cbranch_vccnz .LBB190_4092
; %bb.4091:
	s_wait_loadcnt 0x0
	global_store_b16 v[0:1], v4, off
.LBB190_4092:
	s_mov_b32 s0, 0
.LBB190_4093:
	s_delay_alu instid0(SALU_CYCLE_1)
	s_and_not1_b32 vcc_lo, exec_lo, s0
	s_cbranch_vccnz .LBB190_4109
; %bb.4094:
	s_sext_i32_i16 s1, s22
	s_mov_b32 s0, -1
	s_cmp_lt_i32 s1, 2
	s_cbranch_scc1 .LBB190_4104
; %bb.4095:
	s_cmp_lt_i32 s1, 3
	s_cbranch_scc1 .LBB190_4101
; %bb.4096:
	s_wait_loadcnt 0x0
	v_cvt_f32_f16_e32 v2, v4
	s_cmp_gt_i32 s1, 3
	s_delay_alu instid0(VALU_DEP_1)
	v_cvt_i32_f32_e32 v2, v2
	s_cbranch_scc0 .LBB190_4098
; %bb.4097:
	s_delay_alu instid0(VALU_DEP_1)
	v_ashrrev_i32_e32 v3, 31, v2
	s_mov_b32 s0, 0
	global_store_b64 v[0:1], v[2:3], off
.LBB190_4098:
	s_and_not1_b32 vcc_lo, exec_lo, s0
	s_cbranch_vccnz .LBB190_4100
; %bb.4099:
	global_store_b32 v[0:1], v2, off
.LBB190_4100:
	s_mov_b32 s0, 0
.LBB190_4101:
	s_delay_alu instid0(SALU_CYCLE_1)
	s_and_not1_b32 vcc_lo, exec_lo, s0
	s_cbranch_vccnz .LBB190_4103
; %bb.4102:
	s_wait_loadcnt 0x0
	v_cvt_i16_f16_e32 v2, v4
	global_store_b16 v[0:1], v2, off
.LBB190_4103:
	s_mov_b32 s0, 0
.LBB190_4104:
	s_delay_alu instid0(SALU_CYCLE_1)
	s_and_not1_b32 vcc_lo, exec_lo, s0
	s_cbranch_vccnz .LBB190_4109
; %bb.4105:
	s_sext_i32_i16 s0, s22
	s_delay_alu instid0(SALU_CYCLE_1)
	s_cmp_gt_i32 s0, 0
	s_mov_b32 s0, -1
	s_cbranch_scc0 .LBB190_4107
; %bb.4106:
	s_wait_loadcnt 0x0
	v_cvt_i16_f16_e32 v2, v4
	s_mov_b32 s0, 0
	global_store_b8 v[0:1], v2, off
.LBB190_4107:
	s_and_not1_b32 vcc_lo, exec_lo, s0
	s_cbranch_vccnz .LBB190_4109
; %bb.4108:
	s_wait_loadcnt 0x0
	v_cvt_f32_f16_e32 v2, v4
	s_delay_alu instid0(VALU_DEP_1)
	v_cvt_i32_f32_e32 v2, v2
	global_store_b8 v[0:1], v2, off
	s_endpgm
.LBB190_4109:
	s_endpgm
.LBB190_4110:
	s_mov_b32 s1, 0
	s_mov_b32 s0, -1
	s_branch .LBB190_4066
.LBB190_4111:
	s_or_b32 s18, s18, exec_lo
	s_trap 2
	s_cbranch_execz .LBB190_3580
	s_branch .LBB190_3581
.LBB190_4112:
	s_and_not1_saveexec_b32 s9, s9
	s_cbranch_execz .LBB190_3660
.LBB190_4113:
	v_add_f32_e64 v9, 0x46000000, |v1|
	s_and_not1_b32 s8, s8, exec_lo
	s_delay_alu instid0(VALU_DEP_1) | instskip(NEXT) | instid1(VALU_DEP_1)
	v_and_b32_e32 v9, 0xff, v9
	v_cmp_ne_u32_e32 vcc_lo, 0, v9
	s_and_b32 s10, vcc_lo, exec_lo
	s_delay_alu instid0(SALU_CYCLE_1)
	s_or_b32 s8, s8, s10
	s_or_b32 exec_lo, exec_lo, s9
	v_mov_b32_e32 v10, 0
	s_and_saveexec_b32 s9, s8
	s_cbranch_execnz .LBB190_3661
	s_branch .LBB190_3662
.LBB190_4114:
	s_or_b32 s18, s18, exec_lo
	s_trap 2
	s_cbranch_execz .LBB190_3708
	s_branch .LBB190_3709
.LBB190_4115:
	s_and_not1_saveexec_b32 s8, s8
	s_cbranch_execz .LBB190_3673
.LBB190_4116:
	v_add_f32_e64 v9, 0x42800000, |v1|
	s_and_not1_b32 s7, s7, exec_lo
	s_delay_alu instid0(VALU_DEP_1) | instskip(NEXT) | instid1(VALU_DEP_1)
	v_and_b32_e32 v9, 0xff, v9
	v_cmp_ne_u32_e32 vcc_lo, 0, v9
	s_and_b32 s9, vcc_lo, exec_lo
	s_delay_alu instid0(SALU_CYCLE_1)
	s_or_b32 s7, s7, s9
	s_or_b32 exec_lo, exec_lo, s8
	v_mov_b32_e32 v10, 0
	s_and_saveexec_b32 s8, s7
	s_cbranch_execnz .LBB190_3674
	s_branch .LBB190_3675
.LBB190_4117:
	s_and_not1_saveexec_b32 s10, s10
	s_cbranch_execz .LBB190_3779
.LBB190_4118:
	v_add_f32_e64 v9, 0x46000000, |v1|
	s_and_not1_b32 s9, s9, exec_lo
	s_delay_alu instid0(VALU_DEP_1) | instskip(NEXT) | instid1(VALU_DEP_1)
	v_and_b32_e32 v9, 0xff, v9
	v_cmp_ne_u32_e32 vcc_lo, 0, v9
	s_and_b32 s11, vcc_lo, exec_lo
	s_delay_alu instid0(SALU_CYCLE_1)
	s_or_b32 s9, s9, s11
	s_or_b32 exec_lo, exec_lo, s10
	v_mov_b32_e32 v10, 0
	s_and_saveexec_b32 s10, s9
	s_cbranch_execnz .LBB190_3780
	s_branch .LBB190_3781
.LBB190_4119:
	s_or_b32 s18, s18, exec_lo
	s_trap 2
	s_cbranch_execz .LBB190_3827
	s_branch .LBB190_3828
.LBB190_4120:
	s_and_not1_saveexec_b32 s9, s9
	s_cbranch_execz .LBB190_3792
.LBB190_4121:
	v_add_f32_e64 v9, 0x42800000, |v1|
	s_and_not1_b32 s8, s8, exec_lo
	s_delay_alu instid0(VALU_DEP_1) | instskip(NEXT) | instid1(VALU_DEP_1)
	v_and_b32_e32 v9, 0xff, v9
	v_cmp_ne_u32_e32 vcc_lo, 0, v9
	s_and_b32 s10, vcc_lo, exec_lo
	s_delay_alu instid0(SALU_CYCLE_1)
	s_or_b32 s8, s8, s10
	s_or_b32 exec_lo, exec_lo, s9
	v_mov_b32_e32 v10, 0
	s_and_saveexec_b32 s9, s8
	s_cbranch_execnz .LBB190_3793
	s_branch .LBB190_3794
.LBB190_4122:
	s_and_not1_saveexec_b32 s10, s10
	s_cbranch_execz .LBB190_3898
.LBB190_4123:
	v_add_f32_e64 v8, 0x46000000, |v1|
	s_and_not1_b32 s9, s9, exec_lo
	s_delay_alu instid0(VALU_DEP_1) | instskip(NEXT) | instid1(VALU_DEP_1)
	v_and_b32_e32 v8, 0xff, v8
	v_cmp_ne_u32_e32 vcc_lo, 0, v8
	s_and_b32 s11, vcc_lo, exec_lo
	s_delay_alu instid0(SALU_CYCLE_1)
	s_or_b32 s9, s9, s11
	s_or_b32 exec_lo, exec_lo, s10
	v_mov_b32_e32 v9, 0
	s_and_saveexec_b32 s10, s9
	s_cbranch_execnz .LBB190_3899
	s_branch .LBB190_3900
.LBB190_4124:
	s_or_b32 s18, s18, exec_lo
	s_trap 2
	s_cbranch_execz .LBB190_3946
	s_branch .LBB190_3947
.LBB190_4125:
	s_and_not1_saveexec_b32 s9, s9
	s_cbranch_execz .LBB190_3911
.LBB190_4126:
	v_add_f32_e64 v8, 0x42800000, |v1|
	s_and_not1_b32 s8, s8, exec_lo
	s_delay_alu instid0(VALU_DEP_1) | instskip(NEXT) | instid1(VALU_DEP_1)
	v_and_b32_e32 v8, 0xff, v8
	v_cmp_ne_u32_e32 vcc_lo, 0, v8
	s_and_b32 s10, vcc_lo, exec_lo
	s_delay_alu instid0(SALU_CYCLE_1)
	s_or_b32 s8, s8, s10
	s_or_b32 exec_lo, exec_lo, s9
	v_mov_b32_e32 v9, 0
	s_and_saveexec_b32 s9, s8
	s_cbranch_execnz .LBB190_3912
	s_branch .LBB190_3913
.LBB190_4127:
	s_and_not1_saveexec_b32 s5, s5
	s_cbranch_execz .LBB190_4018
.LBB190_4128:
	v_add_f32_e64 v3, 0x46000000, |v2|
	s_and_not1_b32 s4, s4, exec_lo
	s_delay_alu instid0(VALU_DEP_1) | instskip(NEXT) | instid1(VALU_DEP_1)
	v_and_b32_e32 v3, 0xff, v3
	v_cmp_ne_u32_e32 vcc_lo, 0, v3
	s_and_b32 s6, vcc_lo, exec_lo
	s_delay_alu instid0(SALU_CYCLE_1)
	s_or_b32 s4, s4, s6
	s_or_b32 exec_lo, exec_lo, s5
	v_mov_b32_e32 v5, 0
	s_and_saveexec_b32 s5, s4
	s_cbranch_execnz .LBB190_4019
	s_branch .LBB190_4020
.LBB190_4129:
	s_mov_b32 s1, 0
	s_or_b32 s18, s18, exec_lo
	s_trap 2
	s_branch .LBB190_4064
.LBB190_4130:
	s_and_not1_saveexec_b32 s4, s4
	s_cbranch_execz .LBB190_4030
.LBB190_4131:
	v_add_f32_e64 v3, 0x42800000, |v2|
	s_and_not1_b32 s3, s3, exec_lo
	s_delay_alu instid0(VALU_DEP_1) | instskip(NEXT) | instid1(VALU_DEP_1)
	v_and_b32_e32 v3, 0xff, v3
	v_cmp_ne_u32_e32 vcc_lo, 0, v3
	s_and_b32 s5, vcc_lo, exec_lo
	s_delay_alu instid0(SALU_CYCLE_1)
	s_or_b32 s3, s3, s5
	s_or_b32 exec_lo, exec_lo, s4
	v_mov_b32_e32 v5, 0
	s_and_saveexec_b32 s4, s3
	s_cbranch_execnz .LBB190_4031
	s_branch .LBB190_4032
	.section	.rodata,"a",@progbits
	.p2align	6, 0x0
	.amdhsa_kernel _ZN2at6native32elementwise_kernel_manual_unrollILi128ELi4EZNS0_15gpu_kernel_implIZZZNS0_12_GLOBAL__N_116addr_kernel_cudaERNS_14TensorIteratorERKN3c106ScalarES9_ENKUlvE_clEvENKUlvE9_clEvEUlNS6_4HalfESC_SC_E0_EEvRNS_18TensorIteratorBaseERKT_EUlibE_EEviT1_
		.amdhsa_group_segment_fixed_size 0
		.amdhsa_private_segment_fixed_size 0
		.amdhsa_kernarg_size 64
		.amdhsa_user_sgpr_count 2
		.amdhsa_user_sgpr_dispatch_ptr 0
		.amdhsa_user_sgpr_queue_ptr 0
		.amdhsa_user_sgpr_kernarg_segment_ptr 1
		.amdhsa_user_sgpr_dispatch_id 0
		.amdhsa_user_sgpr_kernarg_preload_length 0
		.amdhsa_user_sgpr_kernarg_preload_offset 0
		.amdhsa_user_sgpr_private_segment_size 0
		.amdhsa_wavefront_size32 1
		.amdhsa_uses_dynamic_stack 0
		.amdhsa_enable_private_segment 0
		.amdhsa_system_sgpr_workgroup_id_x 1
		.amdhsa_system_sgpr_workgroup_id_y 0
		.amdhsa_system_sgpr_workgroup_id_z 0
		.amdhsa_system_sgpr_workgroup_info 0
		.amdhsa_system_vgpr_workitem_id 0
		.amdhsa_next_free_vgpr 22
		.amdhsa_next_free_sgpr 44
		.amdhsa_named_barrier_count 0
		.amdhsa_reserve_vcc 1
		.amdhsa_float_round_mode_32 0
		.amdhsa_float_round_mode_16_64 0
		.amdhsa_float_denorm_mode_32 3
		.amdhsa_float_denorm_mode_16_64 3
		.amdhsa_fp16_overflow 0
		.amdhsa_memory_ordered 1
		.amdhsa_forward_progress 1
		.amdhsa_inst_pref_size 255
		.amdhsa_round_robin_scheduling 0
		.amdhsa_exception_fp_ieee_invalid_op 0
		.amdhsa_exception_fp_denorm_src 0
		.amdhsa_exception_fp_ieee_div_zero 0
		.amdhsa_exception_fp_ieee_overflow 0
		.amdhsa_exception_fp_ieee_underflow 0
		.amdhsa_exception_fp_ieee_inexact 0
		.amdhsa_exception_int_div_zero 0
	.end_amdhsa_kernel
	.section	.text._ZN2at6native32elementwise_kernel_manual_unrollILi128ELi4EZNS0_15gpu_kernel_implIZZZNS0_12_GLOBAL__N_116addr_kernel_cudaERNS_14TensorIteratorERKN3c106ScalarES9_ENKUlvE_clEvENKUlvE9_clEvEUlNS6_4HalfESC_SC_E0_EEvRNS_18TensorIteratorBaseERKT_EUlibE_EEviT1_,"axG",@progbits,_ZN2at6native32elementwise_kernel_manual_unrollILi128ELi4EZNS0_15gpu_kernel_implIZZZNS0_12_GLOBAL__N_116addr_kernel_cudaERNS_14TensorIteratorERKN3c106ScalarES9_ENKUlvE_clEvENKUlvE9_clEvEUlNS6_4HalfESC_SC_E0_EEvRNS_18TensorIteratorBaseERKT_EUlibE_EEviT1_,comdat
.Lfunc_end190:
	.size	_ZN2at6native32elementwise_kernel_manual_unrollILi128ELi4EZNS0_15gpu_kernel_implIZZZNS0_12_GLOBAL__N_116addr_kernel_cudaERNS_14TensorIteratorERKN3c106ScalarES9_ENKUlvE_clEvENKUlvE9_clEvEUlNS6_4HalfESC_SC_E0_EEvRNS_18TensorIteratorBaseERKT_EUlibE_EEviT1_, .Lfunc_end190-_ZN2at6native32elementwise_kernel_manual_unrollILi128ELi4EZNS0_15gpu_kernel_implIZZZNS0_12_GLOBAL__N_116addr_kernel_cudaERNS_14TensorIteratorERKN3c106ScalarES9_ENKUlvE_clEvENKUlvE9_clEvEUlNS6_4HalfESC_SC_E0_EEvRNS_18TensorIteratorBaseERKT_EUlibE_EEviT1_
                                        ; -- End function
	.set _ZN2at6native32elementwise_kernel_manual_unrollILi128ELi4EZNS0_15gpu_kernel_implIZZZNS0_12_GLOBAL__N_116addr_kernel_cudaERNS_14TensorIteratorERKN3c106ScalarES9_ENKUlvE_clEvENKUlvE9_clEvEUlNS6_4HalfESC_SC_E0_EEvRNS_18TensorIteratorBaseERKT_EUlibE_EEviT1_.num_vgpr, 22
	.set _ZN2at6native32elementwise_kernel_manual_unrollILi128ELi4EZNS0_15gpu_kernel_implIZZZNS0_12_GLOBAL__N_116addr_kernel_cudaERNS_14TensorIteratorERKN3c106ScalarES9_ENKUlvE_clEvENKUlvE9_clEvEUlNS6_4HalfESC_SC_E0_EEvRNS_18TensorIteratorBaseERKT_EUlibE_EEviT1_.num_agpr, 0
	.set _ZN2at6native32elementwise_kernel_manual_unrollILi128ELi4EZNS0_15gpu_kernel_implIZZZNS0_12_GLOBAL__N_116addr_kernel_cudaERNS_14TensorIteratorERKN3c106ScalarES9_ENKUlvE_clEvENKUlvE9_clEvEUlNS6_4HalfESC_SC_E0_EEvRNS_18TensorIteratorBaseERKT_EUlibE_EEviT1_.numbered_sgpr, 44
	.set _ZN2at6native32elementwise_kernel_manual_unrollILi128ELi4EZNS0_15gpu_kernel_implIZZZNS0_12_GLOBAL__N_116addr_kernel_cudaERNS_14TensorIteratorERKN3c106ScalarES9_ENKUlvE_clEvENKUlvE9_clEvEUlNS6_4HalfESC_SC_E0_EEvRNS_18TensorIteratorBaseERKT_EUlibE_EEviT1_.num_named_barrier, 0
	.set _ZN2at6native32elementwise_kernel_manual_unrollILi128ELi4EZNS0_15gpu_kernel_implIZZZNS0_12_GLOBAL__N_116addr_kernel_cudaERNS_14TensorIteratorERKN3c106ScalarES9_ENKUlvE_clEvENKUlvE9_clEvEUlNS6_4HalfESC_SC_E0_EEvRNS_18TensorIteratorBaseERKT_EUlibE_EEviT1_.private_seg_size, 0
	.set _ZN2at6native32elementwise_kernel_manual_unrollILi128ELi4EZNS0_15gpu_kernel_implIZZZNS0_12_GLOBAL__N_116addr_kernel_cudaERNS_14TensorIteratorERKN3c106ScalarES9_ENKUlvE_clEvENKUlvE9_clEvEUlNS6_4HalfESC_SC_E0_EEvRNS_18TensorIteratorBaseERKT_EUlibE_EEviT1_.uses_vcc, 1
	.set _ZN2at6native32elementwise_kernel_manual_unrollILi128ELi4EZNS0_15gpu_kernel_implIZZZNS0_12_GLOBAL__N_116addr_kernel_cudaERNS_14TensorIteratorERKN3c106ScalarES9_ENKUlvE_clEvENKUlvE9_clEvEUlNS6_4HalfESC_SC_E0_EEvRNS_18TensorIteratorBaseERKT_EUlibE_EEviT1_.uses_flat_scratch, 0
	.set _ZN2at6native32elementwise_kernel_manual_unrollILi128ELi4EZNS0_15gpu_kernel_implIZZZNS0_12_GLOBAL__N_116addr_kernel_cudaERNS_14TensorIteratorERKN3c106ScalarES9_ENKUlvE_clEvENKUlvE9_clEvEUlNS6_4HalfESC_SC_E0_EEvRNS_18TensorIteratorBaseERKT_EUlibE_EEviT1_.has_dyn_sized_stack, 0
	.set _ZN2at6native32elementwise_kernel_manual_unrollILi128ELi4EZNS0_15gpu_kernel_implIZZZNS0_12_GLOBAL__N_116addr_kernel_cudaERNS_14TensorIteratorERKN3c106ScalarES9_ENKUlvE_clEvENKUlvE9_clEvEUlNS6_4HalfESC_SC_E0_EEvRNS_18TensorIteratorBaseERKT_EUlibE_EEviT1_.has_recursion, 0
	.set _ZN2at6native32elementwise_kernel_manual_unrollILi128ELi4EZNS0_15gpu_kernel_implIZZZNS0_12_GLOBAL__N_116addr_kernel_cudaERNS_14TensorIteratorERKN3c106ScalarES9_ENKUlvE_clEvENKUlvE9_clEvEUlNS6_4HalfESC_SC_E0_EEvRNS_18TensorIteratorBaseERKT_EUlibE_EEviT1_.has_indirect_call, 0
	.section	.AMDGPU.csdata,"",@progbits
; Kernel info:
; codeLenInByte = 88040
; TotalNumSgprs: 46
; NumVgprs: 22
; ScratchSize: 0
; MemoryBound: 0
; FloatMode: 240
; IeeeMode: 1
; LDSByteSize: 0 bytes/workgroup (compile time only)
; SGPRBlocks: 0
; VGPRBlocks: 1
; NumSGPRsForWavesPerEU: 46
; NumVGPRsForWavesPerEU: 22
; NamedBarCnt: 0
; Occupancy: 16
; WaveLimiterHint : 0
; COMPUTE_PGM_RSRC2:SCRATCH_EN: 0
; COMPUTE_PGM_RSRC2:USER_SGPR: 2
; COMPUTE_PGM_RSRC2:TRAP_HANDLER: 0
; COMPUTE_PGM_RSRC2:TGID_X_EN: 1
; COMPUTE_PGM_RSRC2:TGID_Y_EN: 0
; COMPUTE_PGM_RSRC2:TGID_Z_EN: 0
; COMPUTE_PGM_RSRC2:TIDIG_COMP_CNT: 0
	.section	.text._ZN2at6native32elementwise_kernel_manual_unrollILi128ELi4EZNS0_15gpu_kernel_implIZZZNS0_12_GLOBAL__N_116addr_kernel_cudaERNS_14TensorIteratorERKN3c106ScalarES9_ENKUlvE_clEvENKUlvE9_clEvEUlNS6_4HalfESC_SC_E0_EEvRNS_18TensorIteratorBaseERKT_EUlibE0_EEviT1_,"axG",@progbits,_ZN2at6native32elementwise_kernel_manual_unrollILi128ELi4EZNS0_15gpu_kernel_implIZZZNS0_12_GLOBAL__N_116addr_kernel_cudaERNS_14TensorIteratorERKN3c106ScalarES9_ENKUlvE_clEvENKUlvE9_clEvEUlNS6_4HalfESC_SC_E0_EEvRNS_18TensorIteratorBaseERKT_EUlibE0_EEviT1_,comdat
	.globl	_ZN2at6native32elementwise_kernel_manual_unrollILi128ELi4EZNS0_15gpu_kernel_implIZZZNS0_12_GLOBAL__N_116addr_kernel_cudaERNS_14TensorIteratorERKN3c106ScalarES9_ENKUlvE_clEvENKUlvE9_clEvEUlNS6_4HalfESC_SC_E0_EEvRNS_18TensorIteratorBaseERKT_EUlibE0_EEviT1_ ; -- Begin function _ZN2at6native32elementwise_kernel_manual_unrollILi128ELi4EZNS0_15gpu_kernel_implIZZZNS0_12_GLOBAL__N_116addr_kernel_cudaERNS_14TensorIteratorERKN3c106ScalarES9_ENKUlvE_clEvENKUlvE9_clEvEUlNS6_4HalfESC_SC_E0_EEvRNS_18TensorIteratorBaseERKT_EUlibE0_EEviT1_
	.p2align	8
	.type	_ZN2at6native32elementwise_kernel_manual_unrollILi128ELi4EZNS0_15gpu_kernel_implIZZZNS0_12_GLOBAL__N_116addr_kernel_cudaERNS_14TensorIteratorERKN3c106ScalarES9_ENKUlvE_clEvENKUlvE9_clEvEUlNS6_4HalfESC_SC_E0_EEvRNS_18TensorIteratorBaseERKT_EUlibE0_EEviT1_,@function
_ZN2at6native32elementwise_kernel_manual_unrollILi128ELi4EZNS0_15gpu_kernel_implIZZZNS0_12_GLOBAL__N_116addr_kernel_cudaERNS_14TensorIteratorERKN3c106ScalarES9_ENKUlvE_clEvENKUlvE9_clEvEUlNS6_4HalfESC_SC_E0_EEvRNS_18TensorIteratorBaseERKT_EUlibE0_EEviT1_: ; @_ZN2at6native32elementwise_kernel_manual_unrollILi128ELi4EZNS0_15gpu_kernel_implIZZZNS0_12_GLOBAL__N_116addr_kernel_cudaERNS_14TensorIteratorERKN3c106ScalarES9_ENKUlvE_clEvENKUlvE9_clEvEUlNS6_4HalfESC_SC_E0_EEvRNS_18TensorIteratorBaseERKT_EUlibE0_EEviT1_
; %bb.0:
	s_clause 0x1
	s_load_b32 s33, s[0:1], 0x8
	s_load_b32 s46, s[0:1], 0x0
	s_bfe_u32 s2, ttmp6, 0x4000c
	s_and_b32 s3, ttmp6, 15
	s_add_co_i32 s2, s2, 1
	s_getreg_b32 s4, hwreg(HW_REG_IB_STS2, 6, 4)
	s_mul_i32 s2, ttmp9, s2
	s_mov_b32 s37, 0
	s_add_co_i32 s3, s3, s2
	s_cmp_eq_u32 s4, 0
	s_mov_b32 s31, -1
	s_cselect_b32 s2, ttmp9, s3
	s_mov_b32 s10, 0
	v_lshl_or_b32 v0, s2, 9, v0
	s_add_nc_u64 s[2:3], s[0:1], 8
	s_wait_xcnt 0x0
	s_mov_b32 s0, exec_lo
	s_delay_alu instid0(VALU_DEP_1) | instskip(SKIP_2) | instid1(SALU_CYCLE_1)
	v_or_b32_e32 v1, 0x180, v0
	s_wait_kmcnt 0x0
	s_add_co_i32 s36, s33, -1
	s_cmp_gt_u32 s36, 1
	s_cselect_b32 s38, -1, 0
	v_cmpx_le_i32_e64 s46, v1
	s_xor_b32 s39, exec_lo, s0
	s_cbranch_execz .LBB191_2109
; %bb.1:
	s_clause 0x4
	s_load_b128 s[20:23], s[2:3], 0x4
	s_load_b64 s[0:1], s[2:3], 0x14
	s_load_b64 s[24:25], s[2:3], 0x1e8
	s_load_b256 s[12:19], s[2:3], 0xc4
	s_load_b256 s[4:11], s[2:3], 0x1c8
	s_cmp_lg_u32 s33, 0
	s_mov_b32 s27, 0
	s_cselect_b32 s47, -1, 0
	s_min_u32 s45, s36, 15
	s_cmp_gt_u32 s33, 1
	s_mov_b32 s29, s27
	s_mov_b32 s50, s27
	;; [unrolled: 1-line block ×3, first 2 shown]
	s_cselect_b32 s43, -1, 0
	s_mov_b32 s48, s27
	s_mov_b32 s44, s27
	s_mov_b32 s51, exec_lo
	s_wait_kmcnt 0x0
	s_mov_b32 s26, s21
	s_mov_b32 s28, s0
	s_lshr_b32 s21, s24, 16
	s_lshr_b32 s41, s25, 16
	;; [unrolled: 1-line block ×4, first 2 shown]
	v_cmpx_gt_i32_e64 s46, v0
	s_cbranch_execz .LBB191_523
; %bb.2:
	s_and_not1_b32 vcc_lo, exec_lo, s38
	s_cbranch_vccnz .LBB191_8
; %bb.3:
	s_and_not1_b32 vcc_lo, exec_lo, s47
	s_cbranch_vccnz .LBB191_9
; %bb.4:
	v_dual_mov_b32 v6, 0 :: v_dual_mov_b32 v1, v0
	v_dual_mov_b32 v4, 0 :: v_dual_mov_b32 v2, 0
	v_mov_b32_e32 v8, 0
	s_add_co_i32 s0, s45, 1
	s_mov_b64 s[30:31], 0xffffffffffffffe0
	s_and_b32 s0, s0, 30
	s_add_nc_u64 s[30:31], s[2:3], s[30:31]
	s_mov_b64 s[34:35], s[2:3]
.LBB191_5:                              ; =>This Inner Loop Header: Depth=1
	s_clause 0x1
	s_load_b128 s[60:63], s[34:35], 0x4
	s_load_b64 s[48:49], s[34:35], 0x14
	s_load_b256 s[52:59], s[30:31], 0xe4
	s_add_co_i32 s0, s0, -2
	s_wait_xcnt 0x0
	s_add_nc_u64 s[34:35], s[34:35], 24
	s_cmp_lg_u32 s0, 0
	s_add_nc_u64 s[30:31], s[30:31], 32
	s_wait_kmcnt 0x0
	v_mul_hi_u32 v3, s61, v1
	s_delay_alu instid0(VALU_DEP_1) | instskip(NEXT) | instid1(VALU_DEP_1)
	v_add_nc_u32_e32 v3, v1, v3
	v_lshrrev_b32_e32 v3, s62, v3
	s_delay_alu instid0(VALU_DEP_1) | instskip(SKIP_1) | instid1(VALU_DEP_1)
	v_mul_hi_u32 v5, s48, v3
	v_mul_lo_u32 v7, v3, s60
	v_dual_add_nc_u32 v5, v3, v5 :: v_dual_sub_nc_u32 v7, v1, v7
	s_delay_alu instid0(VALU_DEP_1) | instskip(NEXT) | instid1(VALU_DEP_2)
	v_lshrrev_b32_e32 v1, s49, v5
	v_mad_u32 v8, v7, s53, v8
	v_mad_u32 v2, v7, s52, v2
	;; [unrolled: 1-line block ×4, first 2 shown]
	v_mul_lo_u32 v5, v1, s63
	s_delay_alu instid0(VALU_DEP_1) | instskip(NEXT) | instid1(VALU_DEP_1)
	v_sub_nc_u32_e32 v3, v3, v5
	v_mad_u32 v8, v3, s57, v8
	v_mad_u32 v2, v3, s56, v2
	;; [unrolled: 1-line block ×4, first 2 shown]
	s_cbranch_scc1 .LBB191_5
; %bb.6:
	s_bitcmp1_b32 s45, 0
	s_cselect_b32 s0, -1, 0
	s_delay_alu instid0(SALU_CYCLE_1)
	s_and_b32 vcc_lo, exec_lo, s0
	s_cbranch_vccnz .LBB191_10
; %bb.7:
	s_load_b96 s[48:50], s[34:35], 0x4
	s_load_b128 s[52:55], s[30:31], 0xe4
	s_wait_kmcnt 0x0
	v_mul_hi_u32 v3, s49, v1
	s_delay_alu instid0(VALU_DEP_1) | instskip(NEXT) | instid1(VALU_DEP_1)
	v_add_nc_u32_e32 v3, v1, v3
	v_lshrrev_b32_e32 v3, s50, v3
	s_delay_alu instid0(VALU_DEP_1) | instskip(NEXT) | instid1(VALU_DEP_1)
	v_mul_lo_u32 v3, v3, s48
	v_sub_nc_u32_e32 v1, v1, v3
	s_delay_alu instid0(VALU_DEP_1)
	v_mad_u32 v2, v1, s52, v2
	v_mad_u32 v8, v1, s53, v8
	v_mad_u32 v6, v1, s54, v6
	v_mad_u32 v4, v1, s55, v4
	s_cbranch_execz .LBB191_11
	s_branch .LBB191_13
.LBB191_8:
                                        ; implicit-def: $vgpr8
                                        ; implicit-def: $vgpr2
                                        ; implicit-def: $vgpr4
                                        ; implicit-def: $vgpr6
	s_branch .LBB191_11
.LBB191_9:
	v_dual_mov_b32 v8, 0 :: v_dual_mov_b32 v2, 0
	v_dual_mov_b32 v4, 0 :: v_dual_mov_b32 v6, 0
.LBB191_10:
	s_cbranch_execnz .LBB191_13
.LBB191_11:
	v_mov_b32_e32 v1, 0
	s_and_not1_b32 vcc_lo, exec_lo, s43
	s_delay_alu instid0(VALU_DEP_1) | instskip(NEXT) | instid1(VALU_DEP_1)
	v_mul_u64_e32 v[2:3], s[26:27], v[0:1]
	v_add_nc_u32_e32 v2, v0, v3
	s_delay_alu instid0(VALU_DEP_1) | instskip(NEXT) | instid1(VALU_DEP_1)
	v_lshrrev_b32_e32 v10, s22, v2
	v_mul_lo_u32 v2, v10, s20
	s_delay_alu instid0(VALU_DEP_1) | instskip(NEXT) | instid1(VALU_DEP_1)
	v_sub_nc_u32_e32 v3, v0, v2
	v_mul_lo_u32 v8, v3, s13
	v_mul_lo_u32 v2, v3, s12
	;; [unrolled: 1-line block ×4, first 2 shown]
	s_cbranch_vccnz .LBB191_13
; %bb.12:
	v_mov_b32_e32 v11, v1
	s_delay_alu instid0(VALU_DEP_1) | instskip(NEXT) | instid1(VALU_DEP_1)
	v_mul_u64_e32 v[12:13], s[28:29], v[10:11]
	v_add_nc_u32_e32 v1, v10, v13
	s_delay_alu instid0(VALU_DEP_1) | instskip(NEXT) | instid1(VALU_DEP_1)
	v_lshrrev_b32_e32 v1, s1, v1
	v_mul_lo_u32 v1, v1, s23
	s_delay_alu instid0(VALU_DEP_1) | instskip(NEXT) | instid1(VALU_DEP_1)
	v_sub_nc_u32_e32 v1, v10, v1
	v_mad_u32 v2, v1, s16, v2
	v_mad_u32 v8, v1, s17, v8
	;; [unrolled: 1-line block ×4, first 2 shown]
.LBB191_13:
	v_mov_b32_e32 v9, 0
	s_and_b32 s0, s42, 0xff
	s_delay_alu instid0(SALU_CYCLE_1) | instskip(NEXT) | instid1(VALU_DEP_1)
	s_cmp_lt_i32 s0, 11
	v_add_nc_u64_e32 v[8:9], s[6:7], v[8:9]
	s_cbranch_scc1 .LBB191_20
; %bb.14:
	s_and_b32 s31, 0xffff, s0
	s_delay_alu instid0(SALU_CYCLE_1)
	s_cmp_gt_i32 s31, 25
	s_cbranch_scc0 .LBB191_29
; %bb.15:
	s_cmp_gt_i32 s31, 28
	s_cbranch_scc0 .LBB191_39
; %bb.16:
	;; [unrolled: 3-line block ×4, first 2 shown]
	s_cmp_eq_u32 s31, 46
	s_mov_b32 s35, 0
	s_cbranch_scc0 .LBB191_48
; %bb.19:
	global_load_b32 v1, v[8:9], off
	s_mov_b32 s34, -1
	s_mov_b32 s30, 0
	s_wait_loadcnt 0x0
	v_lshlrev_b32_e32 v1, 16, v1
	s_delay_alu instid0(VALU_DEP_1)
	v_cvt_f16_f32_e32 v1, v1
	s_branch .LBB191_50
.LBB191_20:
	s_mov_b32 s30, 0
	s_mov_b32 s34, 0
                                        ; implicit-def: $vgpr1
	s_cbranch_execnz .LBB191_116
.LBB191_21:
	s_and_not1_b32 vcc_lo, exec_lo, s34
	s_cbranch_vccnz .LBB191_163
.LBB191_22:
	v_mov_b32_e32 v7, 0
	s_and_b32 s0, s41, 0xff
	s_delay_alu instid0(SALU_CYCLE_1) | instskip(NEXT) | instid1(VALU_DEP_1)
	s_cmp_lt_i32 s0, 11
	v_add_nc_u64_e32 v[6:7], s[8:9], v[6:7]
	s_cbranch_scc1 .LBB191_30
; %bb.23:
	s_and_b32 s34, 0xffff, s0
	s_delay_alu instid0(SALU_CYCLE_1)
	s_cmp_gt_i32 s34, 25
	s_cbranch_scc0 .LBB191_40
; %bb.24:
	s_cmp_gt_i32 s34, 28
	s_cbranch_scc0 .LBB191_43
; %bb.25:
	;; [unrolled: 3-line block ×4, first 2 shown]
	s_cmp_eq_u32 s34, 46
	s_mov_b32 s44, 0
	s_cbranch_scc0 .LBB191_164
; %bb.28:
	global_load_b32 v3, v[6:7], off
	s_mov_b32 s35, -1
	s_mov_b32 s31, 0
	s_wait_loadcnt 0x0
	v_lshlrev_b32_e32 v3, 16, v3
	s_delay_alu instid0(VALU_DEP_1)
	v_cvt_f16_f32_e32 v3, v3
	s_branch .LBB191_166
.LBB191_29:
	s_mov_b32 s30, 0
	s_mov_b32 s34, 0
                                        ; implicit-def: $vgpr1
	s_cbranch_execnz .LBB191_81
	s_branch .LBB191_115
.LBB191_30:
	s_mov_b32 s31, 0
	s_mov_b32 s35, 0
                                        ; implicit-def: $vgpr3
	s_cbranch_execnz .LBB191_232
.LBB191_31:
	s_and_not1_b32 vcc_lo, exec_lo, s35
	s_cbranch_vccnz .LBB191_280
.LBB191_32:
	v_mov_b32_e32 v5, 0
	s_and_b32 s0, 0xffff, s40
	s_delay_alu instid0(SALU_CYCLE_1) | instskip(NEXT) | instid1(VALU_DEP_1)
	s_cmp_lt_i32 s0, 11
	v_add_nc_u64_e32 v[4:5], s[10:11], v[4:5]
	s_cbranch_scc1 .LBB191_41
; %bb.33:
	s_cmp_gt_i32 s0, 25
	s_cbranch_scc0 .LBB191_44
; %bb.34:
	s_cmp_gt_i32 s0, 28
	s_cbranch_scc0 .LBB191_47
	;; [unrolled: 3-line block ×4, first 2 shown]
; %bb.37:
	s_cmp_eq_u32 s0, 46
	s_mov_b32 s44, 0
	s_cbranch_scc0 .LBB191_281
; %bb.38:
	global_load_b32 v6, v[4:5], off
	s_mov_b32 s35, -1
	s_mov_b32 s34, 0
	s_wait_loadcnt 0x0
	v_lshlrev_b32_e32 v6, 16, v6
	s_delay_alu instid0(VALU_DEP_1)
	v_cvt_f16_f32_e32 v6, v6
	s_branch .LBB191_283
.LBB191_39:
	s_mov_b32 s35, -1
	s_mov_b32 s30, 0
	s_mov_b32 s34, 0
                                        ; implicit-def: $vgpr1
	s_branch .LBB191_62
.LBB191_40:
	s_mov_b32 s44, -1
	s_mov_b32 s31, 0
	s_mov_b32 s35, 0
                                        ; implicit-def: $vgpr3
	s_branch .LBB191_196
.LBB191_41:
	s_mov_b32 s44, -1
	s_mov_b32 s34, 0
	s_mov_b32 s35, 0
                                        ; implicit-def: $vgpr6
	s_branch .LBB191_348
.LBB191_42:
	s_mov_b32 s35, -1
	s_mov_b32 s30, 0
	s_mov_b32 s34, 0
                                        ; implicit-def: $vgpr1
	s_branch .LBB191_57
.LBB191_43:
	s_mov_b32 s44, -1
	s_mov_b32 s31, 0
	s_mov_b32 s35, 0
                                        ; implicit-def: $vgpr3
	s_branch .LBB191_177
.LBB191_44:
	s_mov_b32 s44, -1
	s_mov_b32 s34, 0
	s_mov_b32 s35, 0
                                        ; implicit-def: $vgpr6
	s_branch .LBB191_312
.LBB191_45:
	s_mov_b32 s35, -1
	s_mov_b32 s30, 0
	s_branch .LBB191_49
.LBB191_46:
	s_mov_b32 s44, -1
	s_mov_b32 s31, 0
	s_mov_b32 s35, 0
                                        ; implicit-def: $vgpr3
	s_branch .LBB191_172
.LBB191_47:
	s_mov_b32 s44, -1
	s_mov_b32 s34, 0
	s_mov_b32 s35, 0
                                        ; implicit-def: $vgpr6
	s_branch .LBB191_293
.LBB191_48:
	s_mov_b32 s30, -1
.LBB191_49:
	s_mov_b32 s34, 0
                                        ; implicit-def: $vgpr1
.LBB191_50:
	s_and_b32 vcc_lo, exec_lo, s35
	s_cbranch_vccz .LBB191_56
; %bb.51:
	s_cmp_eq_u32 s31, 44
	s_cbranch_scc0 .LBB191_55
; %bb.52:
	global_load_u8 v1, v[8:9], off
	s_mov_b32 s30, 0
	s_mov_b32 s34, -1
	s_wait_loadcnt 0x0
	v_lshlrev_b32_e32 v3, 23, v1
	v_cmp_ne_u32_e32 vcc_lo, 0xff, v1
	s_delay_alu instid0(VALU_DEP_2) | instskip(NEXT) | instid1(VALU_DEP_1)
	v_cvt_f16_f32_e32 v3, v3
	v_cndmask_b32_e32 v3, 0x7e00, v3, vcc_lo
	v_cmp_ne_u32_e32 vcc_lo, 0, v1
	s_delay_alu instid0(VALU_DEP_2)
	v_cndmask_b32_e32 v1, 0, v3, vcc_lo
	s_branch .LBB191_56
.LBB191_53:
	s_mov_b32 s44, -1
	s_mov_b32 s31, 0
	s_branch .LBB191_165
.LBB191_54:
	s_mov_b32 s44, -1
	s_mov_b32 s34, 0
	s_mov_b32 s35, 0
                                        ; implicit-def: $vgpr6
	s_branch .LBB191_288
.LBB191_55:
	s_mov_b32 s30, -1
                                        ; implicit-def: $vgpr1
.LBB191_56:
	s_mov_b32 s35, 0
.LBB191_57:
	s_delay_alu instid0(SALU_CYCLE_1)
	s_and_b32 vcc_lo, exec_lo, s35
	s_cbranch_vccz .LBB191_61
; %bb.58:
	s_cmp_eq_u32 s31, 29
	s_cbranch_scc0 .LBB191_60
; %bb.59:
	global_load_b64 v[10:11], v[8:9], off
	s_mov_b32 s34, -1
	s_mov_b32 s30, 0
	s_mov_b32 s35, 0
	s_wait_loadcnt 0x0
	v_clz_i32_u32_e32 v1, v11
	s_delay_alu instid0(VALU_DEP_1) | instskip(NEXT) | instid1(VALU_DEP_1)
	v_min_u32_e32 v1, 32, v1
	v_lshlrev_b64_e32 v[10:11], v1, v[10:11]
	v_sub_nc_u32_e32 v1, 32, v1
	s_delay_alu instid0(VALU_DEP_2) | instskip(NEXT) | instid1(VALU_DEP_1)
	v_min_u32_e32 v3, 1, v10
	v_or_b32_e32 v3, v11, v3
	s_delay_alu instid0(VALU_DEP_1) | instskip(NEXT) | instid1(VALU_DEP_1)
	v_cvt_f32_u32_e32 v3, v3
	v_ldexp_f32 v1, v3, v1
	s_delay_alu instid0(VALU_DEP_1)
	v_cvt_f16_f32_e32 v1, v1
	s_branch .LBB191_62
.LBB191_60:
	s_mov_b32 s30, -1
                                        ; implicit-def: $vgpr1
.LBB191_61:
	s_mov_b32 s35, 0
.LBB191_62:
	s_delay_alu instid0(SALU_CYCLE_1)
	s_and_b32 vcc_lo, exec_lo, s35
	s_cbranch_vccz .LBB191_80
; %bb.63:
	s_cmp_lt_i32 s31, 27
	s_cbranch_scc1 .LBB191_66
; %bb.64:
	s_cmp_gt_i32 s31, 27
	s_cbranch_scc0 .LBB191_67
; %bb.65:
	global_load_b32 v1, v[8:9], off
	s_mov_b32 s34, 0
	s_wait_loadcnt 0x0
	v_cvt_f32_u32_e32 v1, v1
	s_delay_alu instid0(VALU_DEP_1)
	v_cvt_f16_f32_e32 v1, v1
	s_branch .LBB191_68
.LBB191_66:
	s_mov_b32 s34, -1
                                        ; implicit-def: $vgpr1
	s_branch .LBB191_71
.LBB191_67:
	s_mov_b32 s34, -1
                                        ; implicit-def: $vgpr1
.LBB191_68:
	s_delay_alu instid0(SALU_CYCLE_1)
	s_and_not1_b32 vcc_lo, exec_lo, s34
	s_cbranch_vccnz .LBB191_70
; %bb.69:
	global_load_u16 v1, v[8:9], off
	s_wait_loadcnt 0x0
	v_cvt_f16_u16_e32 v1, v1
.LBB191_70:
	s_mov_b32 s34, 0
.LBB191_71:
	s_delay_alu instid0(SALU_CYCLE_1)
	s_and_not1_b32 vcc_lo, exec_lo, s34
	s_cbranch_vccnz .LBB191_79
; %bb.72:
	global_load_u8 v3, v[8:9], off
	s_mov_b32 s34, 0
	s_mov_b32 s35, exec_lo
	s_wait_loadcnt 0x0
	v_cmpx_lt_i16_e32 0x7f, v3
	s_xor_b32 s35, exec_lo, s35
	s_cbranch_execz .LBB191_92
; %bb.73:
	s_mov_b32 s34, -1
	s_mov_b32 s44, exec_lo
	v_cmpx_eq_u16_e32 0x80, v3
; %bb.74:
	s_xor_b32 s34, exec_lo, -1
; %bb.75:
	s_or_b32 exec_lo, exec_lo, s44
	s_delay_alu instid0(SALU_CYCLE_1)
	s_and_b32 s34, s34, exec_lo
	s_or_saveexec_b32 s35, s35
	v_mov_b32_e32 v1, 0x7e00
	s_xor_b32 exec_lo, exec_lo, s35
	s_cbranch_execnz .LBB191_93
.LBB191_76:
	s_or_b32 exec_lo, exec_lo, s35
	s_and_saveexec_b32 s35, s34
	s_cbranch_execz .LBB191_78
.LBB191_77:
	v_and_b32_e32 v1, 0xffff, v3
	s_delay_alu instid0(VALU_DEP_1) | instskip(SKIP_1) | instid1(VALU_DEP_2)
	v_and_b32_e32 v5, 7, v1
	v_bfe_u32 v11, v1, 3, 4
	v_clz_i32_u32_e32 v7, v5
	s_delay_alu instid0(VALU_DEP_2) | instskip(NEXT) | instid1(VALU_DEP_2)
	v_cmp_eq_u32_e32 vcc_lo, 0, v11
	v_min_u32_e32 v7, 32, v7
	s_delay_alu instid0(VALU_DEP_1) | instskip(NEXT) | instid1(VALU_DEP_1)
	v_subrev_nc_u32_e32 v10, 28, v7
	v_dual_lshlrev_b32 v1, v10, v1 :: v_dual_sub_nc_u32 v7, 29, v7
	s_delay_alu instid0(VALU_DEP_1) | instskip(NEXT) | instid1(VALU_DEP_1)
	v_dual_lshlrev_b32 v3, 24, v3 :: v_dual_bitop2_b32 v1, 7, v1 bitop3:0x40
	v_dual_cndmask_b32 v1, v5, v1, vcc_lo :: v_dual_cndmask_b32 v7, v11, v7, vcc_lo
	s_delay_alu instid0(VALU_DEP_2) | instskip(NEXT) | instid1(VALU_DEP_2)
	v_and_b32_e32 v3, 0x80000000, v3
	v_lshlrev_b32_e32 v1, 20, v1
	s_delay_alu instid0(VALU_DEP_3) | instskip(NEXT) | instid1(VALU_DEP_1)
	v_lshl_add_u32 v5, v7, 23, 0x3b800000
	v_or3_b32 v1, v3, v5, v1
	s_delay_alu instid0(VALU_DEP_1)
	v_cvt_f16_f32_e32 v1, v1
.LBB191_78:
	s_or_b32 exec_lo, exec_lo, s35
.LBB191_79:
	s_mov_b32 s34, -1
.LBB191_80:
	s_branch .LBB191_115
.LBB191_81:
	s_cmp_gt_i32 s31, 22
	s_cbranch_scc0 .LBB191_91
; %bb.82:
	s_cmp_lt_i32 s31, 24
	s_cbranch_scc1 .LBB191_94
; %bb.83:
	s_cmp_gt_i32 s31, 24
	s_cbranch_scc0 .LBB191_95
; %bb.84:
	global_load_u8 v3, v[8:9], off
	s_mov_b32 s34, 0
	s_mov_b32 s35, exec_lo
	s_wait_loadcnt 0x0
	v_cmpx_lt_i16_e32 0x7f, v3
	s_xor_b32 s35, exec_lo, s35
	s_cbranch_execz .LBB191_107
; %bb.85:
	s_mov_b32 s34, -1
	s_mov_b32 s44, exec_lo
	v_cmpx_eq_u16_e32 0x80, v3
; %bb.86:
	s_xor_b32 s34, exec_lo, -1
; %bb.87:
	s_or_b32 exec_lo, exec_lo, s44
	s_delay_alu instid0(SALU_CYCLE_1)
	s_and_b32 s34, s34, exec_lo
	s_or_saveexec_b32 s35, s35
	v_mov_b32_e32 v1, 0x7e00
	s_xor_b32 exec_lo, exec_lo, s35
	s_cbranch_execnz .LBB191_108
.LBB191_88:
	s_or_b32 exec_lo, exec_lo, s35
	s_and_saveexec_b32 s35, s34
	s_cbranch_execz .LBB191_90
.LBB191_89:
	v_and_b32_e32 v1, 0xffff, v3
	s_delay_alu instid0(VALU_DEP_1) | instskip(SKIP_1) | instid1(VALU_DEP_2)
	v_and_b32_e32 v5, 3, v1
	v_bfe_u32 v11, v1, 2, 5
	v_clz_i32_u32_e32 v7, v5
	s_delay_alu instid0(VALU_DEP_2) | instskip(NEXT) | instid1(VALU_DEP_2)
	v_cmp_eq_u32_e32 vcc_lo, 0, v11
	v_min_u32_e32 v7, 32, v7
	s_delay_alu instid0(VALU_DEP_1) | instskip(NEXT) | instid1(VALU_DEP_1)
	v_subrev_nc_u32_e32 v10, 29, v7
	v_dual_lshlrev_b32 v1, v10, v1 :: v_dual_sub_nc_u32 v7, 30, v7
	s_delay_alu instid0(VALU_DEP_1) | instskip(NEXT) | instid1(VALU_DEP_1)
	v_dual_lshlrev_b32 v3, 24, v3 :: v_dual_bitop2_b32 v1, 3, v1 bitop3:0x40
	v_dual_cndmask_b32 v1, v5, v1, vcc_lo :: v_dual_cndmask_b32 v7, v11, v7, vcc_lo
	s_delay_alu instid0(VALU_DEP_2) | instskip(NEXT) | instid1(VALU_DEP_2)
	v_and_b32_e32 v3, 0x80000000, v3
	v_lshlrev_b32_e32 v1, 21, v1
	s_delay_alu instid0(VALU_DEP_3) | instskip(NEXT) | instid1(VALU_DEP_1)
	v_lshl_add_u32 v5, v7, 23, 0x37800000
	v_or3_b32 v1, v3, v5, v1
	s_delay_alu instid0(VALU_DEP_1)
	v_cvt_f16_f32_e32 v1, v1
.LBB191_90:
	s_or_b32 exec_lo, exec_lo, s35
	s_mov_b32 s34, 0
	s_branch .LBB191_96
.LBB191_91:
	s_mov_b32 s35, -1
                                        ; implicit-def: $vgpr1
	s_branch .LBB191_102
.LBB191_92:
	s_or_saveexec_b32 s35, s35
	v_mov_b32_e32 v1, 0x7e00
	s_xor_b32 exec_lo, exec_lo, s35
	s_cbranch_execz .LBB191_76
.LBB191_93:
	v_cmp_ne_u16_e32 vcc_lo, 0, v3
	v_mov_b32_e32 v1, v3
	s_and_not1_b32 s34, s34, exec_lo
	s_and_b32 s44, vcc_lo, exec_lo
	s_delay_alu instid0(SALU_CYCLE_1)
	s_or_b32 s34, s34, s44
	s_or_b32 exec_lo, exec_lo, s35
	s_and_saveexec_b32 s35, s34
	s_cbranch_execnz .LBB191_77
	s_branch .LBB191_78
.LBB191_94:
	s_mov_b32 s34, -1
                                        ; implicit-def: $vgpr1
	s_branch .LBB191_99
.LBB191_95:
	s_mov_b32 s34, -1
                                        ; implicit-def: $vgpr1
.LBB191_96:
	s_delay_alu instid0(SALU_CYCLE_1)
	s_and_b32 vcc_lo, exec_lo, s34
	s_cbranch_vccz .LBB191_98
; %bb.97:
	global_load_u8 v1, v[8:9], off
	s_wait_loadcnt 0x0
	v_lshlrev_b32_e32 v1, 24, v1
	s_delay_alu instid0(VALU_DEP_1) | instskip(NEXT) | instid1(VALU_DEP_1)
	v_and_b32_e32 v3, 0x7f000000, v1
	v_clz_i32_u32_e32 v5, v3
	v_cmp_ne_u32_e32 vcc_lo, 0, v3
	v_add_nc_u32_e32 v10, 0x1000000, v3
	s_delay_alu instid0(VALU_DEP_3) | instskip(NEXT) | instid1(VALU_DEP_1)
	v_min_u32_e32 v5, 32, v5
	v_sub_nc_u32_e64 v5, v5, 4 clamp
	s_delay_alu instid0(VALU_DEP_1) | instskip(NEXT) | instid1(VALU_DEP_1)
	v_dual_lshlrev_b32 v7, v5, v3 :: v_dual_lshlrev_b32 v5, 23, v5
	v_lshrrev_b32_e32 v7, 4, v7
	s_delay_alu instid0(VALU_DEP_1) | instskip(NEXT) | instid1(VALU_DEP_1)
	v_dual_sub_nc_u32 v5, v7, v5 :: v_dual_ashrrev_i32 v7, 8, v10
	v_add_nc_u32_e32 v5, 0x3c000000, v5
	s_delay_alu instid0(VALU_DEP_1) | instskip(NEXT) | instid1(VALU_DEP_1)
	v_and_or_b32 v5, 0x7f800000, v7, v5
	v_cndmask_b32_e32 v3, 0, v5, vcc_lo
	s_delay_alu instid0(VALU_DEP_1) | instskip(NEXT) | instid1(VALU_DEP_1)
	v_and_or_b32 v1, 0x80000000, v1, v3
	v_cvt_f16_f32_e32 v1, v1
.LBB191_98:
	s_mov_b32 s34, 0
.LBB191_99:
	s_delay_alu instid0(SALU_CYCLE_1)
	s_and_not1_b32 vcc_lo, exec_lo, s34
	s_cbranch_vccnz .LBB191_101
; %bb.100:
	global_load_u8 v1, v[8:9], off
	s_wait_loadcnt 0x0
	v_lshlrev_b32_e32 v3, 25, v1
	v_lshlrev_b16 v1, 8, v1
	s_delay_alu instid0(VALU_DEP_1) | instskip(SKIP_1) | instid1(VALU_DEP_2)
	v_and_or_b32 v7, 0x7f00, v1, 0.5
	v_bfe_i32 v1, v1, 0, 16
	v_add_f32_e32 v7, -0.5, v7
	v_lshrrev_b32_e32 v5, 4, v3
	v_cmp_gt_u32_e32 vcc_lo, 0x8000000, v3
	s_delay_alu instid0(VALU_DEP_2) | instskip(NEXT) | instid1(VALU_DEP_1)
	v_or_b32_e32 v5, 0x70000000, v5
	v_mul_f32_e32 v5, 0x7800000, v5
	s_delay_alu instid0(VALU_DEP_1) | instskip(NEXT) | instid1(VALU_DEP_1)
	v_cndmask_b32_e32 v3, v5, v7, vcc_lo
	v_and_or_b32 v1, 0x80000000, v1, v3
	s_delay_alu instid0(VALU_DEP_1)
	v_cvt_f16_f32_e32 v1, v1
.LBB191_101:
	s_mov_b32 s35, 0
	s_mov_b32 s34, -1
.LBB191_102:
	s_and_not1_b32 vcc_lo, exec_lo, s35
	s_cbranch_vccnz .LBB191_115
; %bb.103:
	s_cmp_gt_i32 s31, 14
	s_cbranch_scc0 .LBB191_106
; %bb.104:
	s_cmp_eq_u32 s31, 15
	s_cbranch_scc0 .LBB191_109
; %bb.105:
	global_load_u16 v1, v[8:9], off
	s_mov_b32 s34, -1
	s_mov_b32 s30, 0
	s_wait_loadcnt 0x0
	v_lshlrev_b32_e32 v1, 16, v1
	s_delay_alu instid0(VALU_DEP_1)
	v_cvt_f16_f32_e32 v1, v1
	s_branch .LBB191_110
.LBB191_106:
	s_mov_b32 s35, -1
                                        ; implicit-def: $vgpr1
	s_branch .LBB191_111
.LBB191_107:
	s_or_saveexec_b32 s35, s35
	v_mov_b32_e32 v1, 0x7e00
	s_xor_b32 exec_lo, exec_lo, s35
	s_cbranch_execz .LBB191_88
.LBB191_108:
	v_cmp_ne_u16_e32 vcc_lo, 0, v3
	v_mov_b32_e32 v1, v3
	s_and_not1_b32 s34, s34, exec_lo
	s_and_b32 s44, vcc_lo, exec_lo
	s_delay_alu instid0(SALU_CYCLE_1)
	s_or_b32 s34, s34, s44
	s_or_b32 exec_lo, exec_lo, s35
	s_and_saveexec_b32 s35, s34
	s_cbranch_execnz .LBB191_89
	s_branch .LBB191_90
.LBB191_109:
	s_mov_b32 s30, -1
                                        ; implicit-def: $vgpr1
.LBB191_110:
	s_mov_b32 s35, 0
.LBB191_111:
	s_delay_alu instid0(SALU_CYCLE_1)
	s_and_b32 vcc_lo, exec_lo, s35
	s_cbranch_vccz .LBB191_115
; %bb.112:
	s_cmp_eq_u32 s31, 11
	s_cbranch_scc0 .LBB191_114
; %bb.113:
	global_load_u8 v1, v[8:9], off
	s_mov_b32 s30, 0
	s_mov_b32 s34, -1
	s_wait_loadcnt 0x0
	v_cmp_ne_u16_e32 vcc_lo, 0, v1
	v_cndmask_b32_e64 v1, 0, 0x3c00, vcc_lo
	s_branch .LBB191_115
.LBB191_114:
	s_mov_b32 s30, -1
                                        ; implicit-def: $vgpr1
.LBB191_115:
	s_branch .LBB191_21
.LBB191_116:
	s_and_b32 s0, 0xffff, s0
	s_delay_alu instid0(SALU_CYCLE_1)
	s_cmp_lt_i32 s0, 5
	s_cbranch_scc1 .LBB191_121
; %bb.117:
	s_cmp_lt_i32 s0, 8
	s_cbranch_scc1 .LBB191_122
; %bb.118:
	;; [unrolled: 3-line block ×3, first 2 shown]
	s_cmp_gt_i32 s0, 9
	s_cbranch_scc0 .LBB191_124
; %bb.120:
	global_load_b64 v[10:11], v[8:9], off
	s_mov_b32 s31, 0
	s_wait_loadcnt 0x0
	v_and_or_b32 v1, 0x1ff, v11, v10
	v_lshrrev_b32_e32 v3, 8, v11
	v_bfe_u32 v5, v11, 20, 11
	s_delay_alu instid0(VALU_DEP_3) | instskip(NEXT) | instid1(VALU_DEP_2)
	v_cmp_ne_u32_e32 vcc_lo, 0, v1
	v_sub_nc_u32_e32 v7, 0x3f1, v5
	v_add_nc_u32_e32 v5, 0xfffffc10, v5
	v_cndmask_b32_e64 v1, 0, 1, vcc_lo
	s_delay_alu instid0(VALU_DEP_1) | instskip(NEXT) | instid1(VALU_DEP_4)
	v_and_or_b32 v1, 0xffe, v3, v1
	v_med3_i32 v3, v7, 0, 13
	s_delay_alu instid0(VALU_DEP_2) | instskip(NEXT) | instid1(VALU_DEP_1)
	v_or_b32_e32 v7, 0x1000, v1
	v_lshrrev_b32_e32 v10, v3, v7
	s_delay_alu instid0(VALU_DEP_1) | instskip(NEXT) | instid1(VALU_DEP_1)
	v_lshlrev_b32_e32 v3, v3, v10
	v_cmp_ne_u32_e32 vcc_lo, v3, v7
	v_lshl_or_b32 v7, v5, 12, v1
	v_cndmask_b32_e64 v3, 0, 1, vcc_lo
	v_cmp_gt_i32_e32 vcc_lo, 1, v5
	s_delay_alu instid0(VALU_DEP_2) | instskip(NEXT) | instid1(VALU_DEP_1)
	v_or_b32_e32 v3, v10, v3
	v_cndmask_b32_e32 v3, v7, v3, vcc_lo
	s_delay_alu instid0(VALU_DEP_1) | instskip(NEXT) | instid1(VALU_DEP_1)
	v_dual_lshrrev_b32 v3, 2, v3 :: v_dual_bitop2_b32 v7, 7, v3 bitop3:0x40
	v_cmp_lt_i32_e32 vcc_lo, 5, v7
	v_cndmask_b32_e64 v10, 0, 1, vcc_lo
	v_cmp_eq_u32_e32 vcc_lo, 3, v7
	v_cndmask_b32_e64 v7, 0, 1, vcc_lo
	v_cmp_ne_u32_e32 vcc_lo, 0, v1
	s_delay_alu instid0(VALU_DEP_2) | instskip(NEXT) | instid1(VALU_DEP_1)
	v_or_b32_e32 v7, v7, v10
	v_dual_mov_b32 v10, 0x7e00 :: v_dual_add_nc_u32 v3, v3, v7
	s_delay_alu instid0(VALU_DEP_1) | instskip(SKIP_1) | instid1(VALU_DEP_3)
	v_cndmask_b32_e32 v1, 0x7c00, v10, vcc_lo
	v_cmp_gt_i32_e32 vcc_lo, 31, v5
	v_cndmask_b32_e32 v3, 0x7c00, v3, vcc_lo
	v_cmp_eq_u32_e32 vcc_lo, 0x40f, v5
	s_delay_alu instid0(VALU_DEP_2) | instskip(NEXT) | instid1(VALU_DEP_1)
	v_dual_cndmask_b32 v1, v3, v1, vcc_lo :: v_dual_lshrrev_b32 v3, 16, v11
	v_and_or_b32 v1, 0x8000, v3, v1
	s_branch .LBB191_125
.LBB191_121:
                                        ; implicit-def: $vgpr1
	s_branch .LBB191_143
.LBB191_122:
	s_mov_b32 s31, -1
                                        ; implicit-def: $vgpr1
	s_branch .LBB191_131
.LBB191_123:
	s_mov_b32 s31, -1
                                        ; implicit-def: $vgpr1
	s_branch .LBB191_128
.LBB191_124:
	s_mov_b32 s31, -1
                                        ; implicit-def: $vgpr1
.LBB191_125:
	s_delay_alu instid0(SALU_CYCLE_1)
	s_and_not1_b32 vcc_lo, exec_lo, s31
	s_cbranch_vccnz .LBB191_127
; %bb.126:
	global_load_b32 v1, v[8:9], off
	s_wait_loadcnt 0x0
	v_cvt_f16_f32_e32 v1, v1
.LBB191_127:
	s_mov_b32 s31, 0
.LBB191_128:
	s_delay_alu instid0(SALU_CYCLE_1)
	s_and_not1_b32 vcc_lo, exec_lo, s31
	s_cbranch_vccnz .LBB191_130
; %bb.129:
	global_load_b32 v1, v[8:9], off
.LBB191_130:
	s_mov_b32 s31, 0
.LBB191_131:
	s_delay_alu instid0(SALU_CYCLE_1)
	s_and_not1_b32 vcc_lo, exec_lo, s31
	s_cbranch_vccnz .LBB191_142
; %bb.132:
	s_cmp_lt_i32 s0, 6
	s_cbranch_scc1 .LBB191_135
; %bb.133:
	s_cmp_gt_i32 s0, 6
	s_cbranch_scc0 .LBB191_136
; %bb.134:
	global_load_b64 v[10:11], v[8:9], off
	s_mov_b32 s31, 0
	s_wait_loadcnt 0x0
	v_and_or_b32 v1, 0x1ff, v11, v10
	v_lshrrev_b32_e32 v3, 8, v11
	v_bfe_u32 v5, v11, 20, 11
	s_delay_alu instid0(VALU_DEP_3) | instskip(NEXT) | instid1(VALU_DEP_2)
	v_cmp_ne_u32_e32 vcc_lo, 0, v1
	v_sub_nc_u32_e32 v7, 0x3f1, v5
	v_add_nc_u32_e32 v5, 0xfffffc10, v5
	v_cndmask_b32_e64 v1, 0, 1, vcc_lo
	s_delay_alu instid0(VALU_DEP_1) | instskip(NEXT) | instid1(VALU_DEP_4)
	v_and_or_b32 v1, 0xffe, v3, v1
	v_med3_i32 v3, v7, 0, 13
	s_delay_alu instid0(VALU_DEP_2) | instskip(NEXT) | instid1(VALU_DEP_1)
	v_or_b32_e32 v7, 0x1000, v1
	v_lshrrev_b32_e32 v10, v3, v7
	s_delay_alu instid0(VALU_DEP_1) | instskip(NEXT) | instid1(VALU_DEP_1)
	v_lshlrev_b32_e32 v3, v3, v10
	v_cmp_ne_u32_e32 vcc_lo, v3, v7
	v_lshl_or_b32 v7, v5, 12, v1
	v_cndmask_b32_e64 v3, 0, 1, vcc_lo
	v_cmp_gt_i32_e32 vcc_lo, 1, v5
	s_delay_alu instid0(VALU_DEP_2) | instskip(NEXT) | instid1(VALU_DEP_1)
	v_or_b32_e32 v3, v10, v3
	v_cndmask_b32_e32 v3, v7, v3, vcc_lo
	s_delay_alu instid0(VALU_DEP_1) | instskip(NEXT) | instid1(VALU_DEP_1)
	v_dual_lshrrev_b32 v3, 2, v3 :: v_dual_bitop2_b32 v7, 7, v3 bitop3:0x40
	v_cmp_lt_i32_e32 vcc_lo, 5, v7
	v_cndmask_b32_e64 v10, 0, 1, vcc_lo
	v_cmp_eq_u32_e32 vcc_lo, 3, v7
	v_cndmask_b32_e64 v7, 0, 1, vcc_lo
	v_cmp_ne_u32_e32 vcc_lo, 0, v1
	s_delay_alu instid0(VALU_DEP_2) | instskip(NEXT) | instid1(VALU_DEP_1)
	v_or_b32_e32 v7, v7, v10
	v_dual_mov_b32 v10, 0x7e00 :: v_dual_add_nc_u32 v3, v3, v7
	s_delay_alu instid0(VALU_DEP_1) | instskip(SKIP_1) | instid1(VALU_DEP_3)
	v_cndmask_b32_e32 v1, 0x7c00, v10, vcc_lo
	v_cmp_gt_i32_e32 vcc_lo, 31, v5
	v_cndmask_b32_e32 v3, 0x7c00, v3, vcc_lo
	v_cmp_eq_u32_e32 vcc_lo, 0x40f, v5
	s_delay_alu instid0(VALU_DEP_2) | instskip(NEXT) | instid1(VALU_DEP_1)
	v_dual_cndmask_b32 v1, v3, v1, vcc_lo :: v_dual_lshrrev_b32 v3, 16, v11
	v_and_or_b32 v1, 0x8000, v3, v1
	s_branch .LBB191_137
.LBB191_135:
	s_mov_b32 s31, -1
                                        ; implicit-def: $vgpr1
	s_branch .LBB191_140
.LBB191_136:
	s_mov_b32 s31, -1
                                        ; implicit-def: $vgpr1
.LBB191_137:
	s_delay_alu instid0(SALU_CYCLE_1)
	s_and_not1_b32 vcc_lo, exec_lo, s31
	s_cbranch_vccnz .LBB191_139
; %bb.138:
	s_wait_loadcnt 0x0
	global_load_b32 v1, v[8:9], off
	s_wait_loadcnt 0x0
	v_cvt_f16_f32_e32 v1, v1
.LBB191_139:
	s_mov_b32 s31, 0
.LBB191_140:
	s_delay_alu instid0(SALU_CYCLE_1)
	s_and_not1_b32 vcc_lo, exec_lo, s31
	s_cbranch_vccnz .LBB191_142
; %bb.141:
	s_wait_loadcnt 0x0
	global_load_u16 v1, v[8:9], off
.LBB191_142:
	s_cbranch_execnz .LBB191_162
.LBB191_143:
	s_cmp_lt_i32 s0, 2
	s_cbranch_scc1 .LBB191_147
; %bb.144:
	s_cmp_lt_i32 s0, 3
	s_cbranch_scc1 .LBB191_148
; %bb.145:
	s_cmp_gt_i32 s0, 3
	s_cbranch_scc0 .LBB191_149
; %bb.146:
	global_load_b64 v[10:11], v[8:9], off
	s_mov_b32 s31, 0
	s_wait_loadcnt 0x0
	v_xor_b32_e32 v1, v10, v11
	v_cls_i32_e32 v3, v11
	s_delay_alu instid0(VALU_DEP_2) | instskip(NEXT) | instid1(VALU_DEP_1)
	v_ashrrev_i32_e32 v1, 31, v1
	v_add_nc_u32_e32 v1, 32, v1
	s_delay_alu instid0(VALU_DEP_1) | instskip(NEXT) | instid1(VALU_DEP_1)
	v_add_min_u32_e64 v1, v3, -1, v1
	v_lshlrev_b64_e32 v[10:11], v1, v[10:11]
	v_sub_nc_u32_e32 v1, 32, v1
	s_delay_alu instid0(VALU_DEP_2) | instskip(NEXT) | instid1(VALU_DEP_1)
	v_min_u32_e32 v3, 1, v10
	v_or_b32_e32 v3, v11, v3
	s_delay_alu instid0(VALU_DEP_1) | instskip(NEXT) | instid1(VALU_DEP_1)
	v_cvt_f32_i32_e32 v3, v3
	v_ldexp_f32 v1, v3, v1
	s_delay_alu instid0(VALU_DEP_1)
	v_cvt_f16_f32_e32 v1, v1
	s_branch .LBB191_150
.LBB191_147:
	s_mov_b32 s31, -1
                                        ; implicit-def: $vgpr1
	s_branch .LBB191_156
.LBB191_148:
	s_mov_b32 s31, -1
                                        ; implicit-def: $vgpr1
	s_branch .LBB191_153
.LBB191_149:
	s_mov_b32 s31, -1
                                        ; implicit-def: $vgpr1
.LBB191_150:
	s_delay_alu instid0(SALU_CYCLE_1)
	s_and_not1_b32 vcc_lo, exec_lo, s31
	s_cbranch_vccnz .LBB191_152
; %bb.151:
	s_wait_loadcnt 0x0
	global_load_b32 v1, v[8:9], off
	s_wait_loadcnt 0x0
	v_cvt_f32_i32_e32 v1, v1
	s_delay_alu instid0(VALU_DEP_1)
	v_cvt_f16_f32_e32 v1, v1
.LBB191_152:
	s_mov_b32 s31, 0
.LBB191_153:
	s_delay_alu instid0(SALU_CYCLE_1)
	s_and_not1_b32 vcc_lo, exec_lo, s31
	s_cbranch_vccnz .LBB191_155
; %bb.154:
	s_wait_loadcnt 0x0
	global_load_u16 v1, v[8:9], off
	s_wait_loadcnt 0x0
	v_cvt_f16_i16_e32 v1, v1
.LBB191_155:
	s_mov_b32 s31, 0
.LBB191_156:
	s_delay_alu instid0(SALU_CYCLE_1)
	s_and_not1_b32 vcc_lo, exec_lo, s31
	s_cbranch_vccnz .LBB191_162
; %bb.157:
	s_cmp_gt_i32 s0, 0
	s_mov_b32 s0, 0
	s_cbranch_scc0 .LBB191_159
; %bb.158:
	s_wait_loadcnt 0x0
	global_load_i8 v1, v[8:9], off
	s_wait_loadcnt 0x0
	v_cvt_f16_i16_e32 v1, v1
	s_branch .LBB191_160
.LBB191_159:
	s_mov_b32 s0, -1
                                        ; implicit-def: $vgpr1
.LBB191_160:
	s_delay_alu instid0(SALU_CYCLE_1)
	s_and_not1_b32 vcc_lo, exec_lo, s0
	s_cbranch_vccnz .LBB191_162
; %bb.161:
	s_wait_loadcnt 0x0
	global_load_u8 v1, v[8:9], off
	s_wait_loadcnt 0x0
	v_cvt_f16_u16_e32 v1, v1
.LBB191_162:
	s_branch .LBB191_22
.LBB191_163:
	s_mov_b32 s0, 0
	s_mov_b32 s34, 0
	;; [unrolled: 1-line block ×3, first 2 shown]
	s_branch .LBB191_521
.LBB191_164:
	s_mov_b32 s31, -1
.LBB191_165:
	s_mov_b32 s35, 0
                                        ; implicit-def: $vgpr3
.LBB191_166:
	s_and_b32 vcc_lo, exec_lo, s44
	s_cbranch_vccz .LBB191_171
; %bb.167:
	s_cmp_eq_u32 s34, 44
	s_cbranch_scc0 .LBB191_170
; %bb.168:
	global_load_u8 v3, v[6:7], off
	s_mov_b32 s31, 0
	s_mov_b32 s35, -1
	s_wait_loadcnt 0x0
	v_lshlrev_b32_e32 v5, 23, v3
	v_cmp_ne_u32_e32 vcc_lo, 0xff, v3
	s_delay_alu instid0(VALU_DEP_2) | instskip(NEXT) | instid1(VALU_DEP_1)
	v_cvt_f16_f32_e32 v5, v5
	v_cndmask_b32_e32 v5, 0x7e00, v5, vcc_lo
	v_cmp_ne_u32_e32 vcc_lo, 0, v3
	s_delay_alu instid0(VALU_DEP_2)
	v_cndmask_b32_e32 v3, 0, v5, vcc_lo
	s_branch .LBB191_171
.LBB191_169:
	s_mov_b32 s44, -1
	s_mov_b32 s34, 0
	s_branch .LBB191_282
.LBB191_170:
	s_mov_b32 s31, -1
                                        ; implicit-def: $vgpr3
.LBB191_171:
	s_mov_b32 s44, 0
.LBB191_172:
	s_delay_alu instid0(SALU_CYCLE_1)
	s_and_b32 vcc_lo, exec_lo, s44
	s_cbranch_vccz .LBB191_176
; %bb.173:
	s_cmp_eq_u32 s34, 29
	s_cbranch_scc0 .LBB191_175
; %bb.174:
	global_load_b64 v[8:9], v[6:7], off
	s_mov_b32 s35, -1
	s_mov_b32 s31, 0
	s_mov_b32 s44, 0
	s_wait_loadcnt 0x0
	v_clz_i32_u32_e32 v3, v9
	s_delay_alu instid0(VALU_DEP_1) | instskip(NEXT) | instid1(VALU_DEP_1)
	v_min_u32_e32 v3, 32, v3
	v_lshlrev_b64_e32 v[8:9], v3, v[8:9]
	v_sub_nc_u32_e32 v3, 32, v3
	s_delay_alu instid0(VALU_DEP_2) | instskip(NEXT) | instid1(VALU_DEP_1)
	v_min_u32_e32 v5, 1, v8
	v_or_b32_e32 v5, v9, v5
	s_delay_alu instid0(VALU_DEP_1) | instskip(NEXT) | instid1(VALU_DEP_1)
	v_cvt_f32_u32_e32 v5, v5
	v_ldexp_f32 v3, v5, v3
	s_delay_alu instid0(VALU_DEP_1)
	v_cvt_f16_f32_e32 v3, v3
	s_branch .LBB191_177
.LBB191_175:
	s_mov_b32 s31, -1
                                        ; implicit-def: $vgpr3
.LBB191_176:
	s_mov_b32 s44, 0
.LBB191_177:
	s_delay_alu instid0(SALU_CYCLE_1)
	s_and_b32 vcc_lo, exec_lo, s44
	s_cbranch_vccz .LBB191_195
; %bb.178:
	s_cmp_lt_i32 s34, 27
	s_cbranch_scc1 .LBB191_181
; %bb.179:
	s_cmp_gt_i32 s34, 27
	s_cbranch_scc0 .LBB191_182
; %bb.180:
	global_load_b32 v3, v[6:7], off
	s_mov_b32 s35, 0
	s_wait_loadcnt 0x0
	v_cvt_f32_u32_e32 v3, v3
	s_delay_alu instid0(VALU_DEP_1)
	v_cvt_f16_f32_e32 v3, v3
	s_branch .LBB191_183
.LBB191_181:
	s_mov_b32 s35, -1
                                        ; implicit-def: $vgpr3
	s_branch .LBB191_186
.LBB191_182:
	s_mov_b32 s35, -1
                                        ; implicit-def: $vgpr3
.LBB191_183:
	s_delay_alu instid0(SALU_CYCLE_1)
	s_and_not1_b32 vcc_lo, exec_lo, s35
	s_cbranch_vccnz .LBB191_185
; %bb.184:
	global_load_u16 v3, v[6:7], off
	s_wait_loadcnt 0x0
	v_cvt_f16_u16_e32 v3, v3
.LBB191_185:
	s_mov_b32 s35, 0
.LBB191_186:
	s_delay_alu instid0(SALU_CYCLE_1)
	s_and_not1_b32 vcc_lo, exec_lo, s35
	s_cbranch_vccnz .LBB191_194
; %bb.187:
	global_load_u8 v5, v[6:7], off
	s_mov_b32 s35, 0
	s_mov_b32 s44, exec_lo
	s_wait_loadcnt 0x0
	v_cmpx_lt_i16_e32 0x7f, v5
	s_xor_b32 s44, exec_lo, s44
	s_cbranch_execz .LBB191_208
; %bb.188:
	s_mov_b32 s35, -1
	s_mov_b32 s48, exec_lo
	v_cmpx_eq_u16_e32 0x80, v5
; %bb.189:
	s_xor_b32 s35, exec_lo, -1
; %bb.190:
	s_or_b32 exec_lo, exec_lo, s48
	s_delay_alu instid0(SALU_CYCLE_1)
	s_and_b32 s35, s35, exec_lo
	s_or_saveexec_b32 s44, s44
	v_mov_b32_e32 v3, 0x7e00
	s_xor_b32 exec_lo, exec_lo, s44
	s_cbranch_execnz .LBB191_209
.LBB191_191:
	s_or_b32 exec_lo, exec_lo, s44
	s_and_saveexec_b32 s44, s35
	s_cbranch_execz .LBB191_193
.LBB191_192:
	v_and_b32_e32 v3, 0xffff, v5
	s_delay_alu instid0(VALU_DEP_1) | instskip(SKIP_1) | instid1(VALU_DEP_2)
	v_and_b32_e32 v8, 7, v3
	v_bfe_u32 v11, v3, 3, 4
	v_clz_i32_u32_e32 v9, v8
	s_delay_alu instid0(VALU_DEP_2) | instskip(NEXT) | instid1(VALU_DEP_2)
	v_cmp_eq_u32_e32 vcc_lo, 0, v11
	v_min_u32_e32 v9, 32, v9
	s_delay_alu instid0(VALU_DEP_1) | instskip(NEXT) | instid1(VALU_DEP_1)
	v_subrev_nc_u32_e32 v10, 28, v9
	v_dual_lshlrev_b32 v3, v10, v3 :: v_dual_sub_nc_u32 v9, 29, v9
	s_delay_alu instid0(VALU_DEP_1) | instskip(NEXT) | instid1(VALU_DEP_1)
	v_dual_lshlrev_b32 v5, 24, v5 :: v_dual_bitop2_b32 v3, 7, v3 bitop3:0x40
	v_dual_cndmask_b32 v3, v8, v3, vcc_lo :: v_dual_cndmask_b32 v9, v11, v9, vcc_lo
	s_delay_alu instid0(VALU_DEP_2) | instskip(NEXT) | instid1(VALU_DEP_2)
	v_and_b32_e32 v5, 0x80000000, v5
	v_lshlrev_b32_e32 v3, 20, v3
	s_delay_alu instid0(VALU_DEP_3) | instskip(NEXT) | instid1(VALU_DEP_1)
	v_lshl_add_u32 v8, v9, 23, 0x3b800000
	v_or3_b32 v3, v5, v8, v3
	s_delay_alu instid0(VALU_DEP_1)
	v_cvt_f16_f32_e32 v3, v3
.LBB191_193:
	s_or_b32 exec_lo, exec_lo, s44
.LBB191_194:
	s_mov_b32 s35, -1
.LBB191_195:
	s_mov_b32 s44, 0
.LBB191_196:
	s_delay_alu instid0(SALU_CYCLE_1)
	s_and_b32 vcc_lo, exec_lo, s44
	s_cbranch_vccz .LBB191_231
; %bb.197:
	s_cmp_gt_i32 s34, 22
	s_cbranch_scc0 .LBB191_207
; %bb.198:
	s_cmp_lt_i32 s34, 24
	s_cbranch_scc1 .LBB191_210
; %bb.199:
	s_cmp_gt_i32 s34, 24
	s_cbranch_scc0 .LBB191_211
; %bb.200:
	global_load_u8 v5, v[6:7], off
	s_mov_b32 s35, 0
	s_mov_b32 s44, exec_lo
	s_wait_loadcnt 0x0
	v_cmpx_lt_i16_e32 0x7f, v5
	s_xor_b32 s44, exec_lo, s44
	s_cbranch_execz .LBB191_223
; %bb.201:
	s_mov_b32 s35, -1
	s_mov_b32 s48, exec_lo
	v_cmpx_eq_u16_e32 0x80, v5
; %bb.202:
	s_xor_b32 s35, exec_lo, -1
; %bb.203:
	s_or_b32 exec_lo, exec_lo, s48
	s_delay_alu instid0(SALU_CYCLE_1)
	s_and_b32 s35, s35, exec_lo
	s_or_saveexec_b32 s44, s44
	v_mov_b32_e32 v3, 0x7e00
	s_xor_b32 exec_lo, exec_lo, s44
	s_cbranch_execnz .LBB191_224
.LBB191_204:
	s_or_b32 exec_lo, exec_lo, s44
	s_and_saveexec_b32 s44, s35
	s_cbranch_execz .LBB191_206
.LBB191_205:
	v_and_b32_e32 v3, 0xffff, v5
	s_delay_alu instid0(VALU_DEP_1) | instskip(SKIP_1) | instid1(VALU_DEP_2)
	v_and_b32_e32 v8, 3, v3
	v_bfe_u32 v11, v3, 2, 5
	v_clz_i32_u32_e32 v9, v8
	s_delay_alu instid0(VALU_DEP_2) | instskip(NEXT) | instid1(VALU_DEP_2)
	v_cmp_eq_u32_e32 vcc_lo, 0, v11
	v_min_u32_e32 v9, 32, v9
	s_delay_alu instid0(VALU_DEP_1) | instskip(NEXT) | instid1(VALU_DEP_1)
	v_subrev_nc_u32_e32 v10, 29, v9
	v_dual_lshlrev_b32 v3, v10, v3 :: v_dual_sub_nc_u32 v9, 30, v9
	s_delay_alu instid0(VALU_DEP_1) | instskip(NEXT) | instid1(VALU_DEP_1)
	v_dual_lshlrev_b32 v5, 24, v5 :: v_dual_bitop2_b32 v3, 3, v3 bitop3:0x40
	v_dual_cndmask_b32 v3, v8, v3, vcc_lo :: v_dual_cndmask_b32 v9, v11, v9, vcc_lo
	s_delay_alu instid0(VALU_DEP_2) | instskip(NEXT) | instid1(VALU_DEP_2)
	v_and_b32_e32 v5, 0x80000000, v5
	v_lshlrev_b32_e32 v3, 21, v3
	s_delay_alu instid0(VALU_DEP_3) | instskip(NEXT) | instid1(VALU_DEP_1)
	v_lshl_add_u32 v8, v9, 23, 0x37800000
	v_or3_b32 v3, v5, v8, v3
	s_delay_alu instid0(VALU_DEP_1)
	v_cvt_f16_f32_e32 v3, v3
.LBB191_206:
	s_or_b32 exec_lo, exec_lo, s44
	s_mov_b32 s35, 0
	s_branch .LBB191_212
.LBB191_207:
	s_mov_b32 s44, -1
                                        ; implicit-def: $vgpr3
	s_branch .LBB191_218
.LBB191_208:
	s_or_saveexec_b32 s44, s44
	v_mov_b32_e32 v3, 0x7e00
	s_xor_b32 exec_lo, exec_lo, s44
	s_cbranch_execz .LBB191_191
.LBB191_209:
	v_cmp_ne_u16_e32 vcc_lo, 0, v5
	v_mov_b32_e32 v3, v5
	s_and_not1_b32 s35, s35, exec_lo
	s_and_b32 s48, vcc_lo, exec_lo
	s_delay_alu instid0(SALU_CYCLE_1)
	s_or_b32 s35, s35, s48
	s_or_b32 exec_lo, exec_lo, s44
	s_and_saveexec_b32 s44, s35
	s_cbranch_execnz .LBB191_192
	s_branch .LBB191_193
.LBB191_210:
	s_mov_b32 s35, -1
                                        ; implicit-def: $vgpr3
	s_branch .LBB191_215
.LBB191_211:
	s_mov_b32 s35, -1
                                        ; implicit-def: $vgpr3
.LBB191_212:
	s_delay_alu instid0(SALU_CYCLE_1)
	s_and_b32 vcc_lo, exec_lo, s35
	s_cbranch_vccz .LBB191_214
; %bb.213:
	global_load_u8 v3, v[6:7], off
	s_wait_loadcnt 0x0
	v_lshlrev_b32_e32 v3, 24, v3
	s_delay_alu instid0(VALU_DEP_1) | instskip(NEXT) | instid1(VALU_DEP_1)
	v_and_b32_e32 v5, 0x7f000000, v3
	v_clz_i32_u32_e32 v8, v5
	v_cmp_ne_u32_e32 vcc_lo, 0, v5
	v_add_nc_u32_e32 v10, 0x1000000, v5
	s_delay_alu instid0(VALU_DEP_3) | instskip(NEXT) | instid1(VALU_DEP_1)
	v_min_u32_e32 v8, 32, v8
	v_sub_nc_u32_e64 v8, v8, 4 clamp
	s_delay_alu instid0(VALU_DEP_1) | instskip(NEXT) | instid1(VALU_DEP_1)
	v_dual_lshlrev_b32 v9, v8, v5 :: v_dual_lshlrev_b32 v8, 23, v8
	v_lshrrev_b32_e32 v9, 4, v9
	s_delay_alu instid0(VALU_DEP_1) | instskip(NEXT) | instid1(VALU_DEP_1)
	v_dual_sub_nc_u32 v8, v9, v8 :: v_dual_ashrrev_i32 v9, 8, v10
	v_add_nc_u32_e32 v8, 0x3c000000, v8
	s_delay_alu instid0(VALU_DEP_1) | instskip(NEXT) | instid1(VALU_DEP_1)
	v_and_or_b32 v8, 0x7f800000, v9, v8
	v_cndmask_b32_e32 v5, 0, v8, vcc_lo
	s_delay_alu instid0(VALU_DEP_1) | instskip(NEXT) | instid1(VALU_DEP_1)
	v_and_or_b32 v3, 0x80000000, v3, v5
	v_cvt_f16_f32_e32 v3, v3
.LBB191_214:
	s_mov_b32 s35, 0
.LBB191_215:
	s_delay_alu instid0(SALU_CYCLE_1)
	s_and_not1_b32 vcc_lo, exec_lo, s35
	s_cbranch_vccnz .LBB191_217
; %bb.216:
	global_load_u8 v3, v[6:7], off
	s_wait_loadcnt 0x0
	v_lshlrev_b32_e32 v5, 25, v3
	v_lshlrev_b16 v3, 8, v3
	s_delay_alu instid0(VALU_DEP_1) | instskip(SKIP_1) | instid1(VALU_DEP_2)
	v_and_or_b32 v9, 0x7f00, v3, 0.5
	v_bfe_i32 v3, v3, 0, 16
	v_add_f32_e32 v9, -0.5, v9
	v_lshrrev_b32_e32 v8, 4, v5
	v_cmp_gt_u32_e32 vcc_lo, 0x8000000, v5
	s_delay_alu instid0(VALU_DEP_2) | instskip(NEXT) | instid1(VALU_DEP_1)
	v_or_b32_e32 v8, 0x70000000, v8
	v_mul_f32_e32 v8, 0x7800000, v8
	s_delay_alu instid0(VALU_DEP_1) | instskip(NEXT) | instid1(VALU_DEP_1)
	v_cndmask_b32_e32 v5, v8, v9, vcc_lo
	v_and_or_b32 v3, 0x80000000, v3, v5
	s_delay_alu instid0(VALU_DEP_1)
	v_cvt_f16_f32_e32 v3, v3
.LBB191_217:
	s_mov_b32 s44, 0
	s_mov_b32 s35, -1
.LBB191_218:
	s_and_not1_b32 vcc_lo, exec_lo, s44
	s_cbranch_vccnz .LBB191_231
; %bb.219:
	s_cmp_gt_i32 s34, 14
	s_cbranch_scc0 .LBB191_222
; %bb.220:
	s_cmp_eq_u32 s34, 15
	s_cbranch_scc0 .LBB191_225
; %bb.221:
	global_load_u16 v3, v[6:7], off
	s_mov_b32 s35, -1
	s_mov_b32 s31, 0
	s_wait_loadcnt 0x0
	v_lshlrev_b32_e32 v3, 16, v3
	s_delay_alu instid0(VALU_DEP_1)
	v_cvt_f16_f32_e32 v3, v3
	s_branch .LBB191_226
.LBB191_222:
	s_mov_b32 s44, -1
                                        ; implicit-def: $vgpr3
	s_branch .LBB191_227
.LBB191_223:
	s_or_saveexec_b32 s44, s44
	v_mov_b32_e32 v3, 0x7e00
	s_xor_b32 exec_lo, exec_lo, s44
	s_cbranch_execz .LBB191_204
.LBB191_224:
	v_cmp_ne_u16_e32 vcc_lo, 0, v5
	v_mov_b32_e32 v3, v5
	s_and_not1_b32 s35, s35, exec_lo
	s_and_b32 s48, vcc_lo, exec_lo
	s_delay_alu instid0(SALU_CYCLE_1)
	s_or_b32 s35, s35, s48
	s_or_b32 exec_lo, exec_lo, s44
	s_and_saveexec_b32 s44, s35
	s_cbranch_execnz .LBB191_205
	s_branch .LBB191_206
.LBB191_225:
	s_mov_b32 s31, -1
                                        ; implicit-def: $vgpr3
.LBB191_226:
	s_mov_b32 s44, 0
.LBB191_227:
	s_delay_alu instid0(SALU_CYCLE_1)
	s_and_b32 vcc_lo, exec_lo, s44
	s_cbranch_vccz .LBB191_231
; %bb.228:
	s_cmp_eq_u32 s34, 11
	s_cbranch_scc0 .LBB191_230
; %bb.229:
	global_load_u8 v3, v[6:7], off
	s_mov_b32 s31, 0
	s_mov_b32 s35, -1
	s_wait_loadcnt 0x0
	v_cmp_ne_u16_e32 vcc_lo, 0, v3
	v_cndmask_b32_e64 v3, 0, 0x3c00, vcc_lo
	s_branch .LBB191_231
.LBB191_230:
	s_mov_b32 s31, -1
                                        ; implicit-def: $vgpr3
.LBB191_231:
	s_branch .LBB191_31
.LBB191_232:
	s_and_b32 s0, 0xffff, s0
	s_delay_alu instid0(SALU_CYCLE_1)
	s_cmp_lt_i32 s0, 5
	s_cbranch_scc1 .LBB191_237
; %bb.233:
	s_cmp_lt_i32 s0, 8
	s_cbranch_scc1 .LBB191_238
; %bb.234:
	;; [unrolled: 3-line block ×3, first 2 shown]
	s_cmp_gt_i32 s0, 9
	s_cbranch_scc0 .LBB191_240
; %bb.236:
	global_load_b64 v[8:9], v[6:7], off
	s_mov_b32 s34, 0
	s_wait_loadcnt 0x0
	v_and_or_b32 v3, 0x1ff, v9, v8
	v_lshrrev_b32_e32 v5, 8, v9
	v_bfe_u32 v8, v9, 20, 11
	s_delay_alu instid0(VALU_DEP_3) | instskip(NEXT) | instid1(VALU_DEP_2)
	v_cmp_ne_u32_e32 vcc_lo, 0, v3
	v_sub_nc_u32_e32 v10, 0x3f1, v8
	v_add_nc_u32_e32 v8, 0xfffffc10, v8
	v_cndmask_b32_e64 v3, 0, 1, vcc_lo
	s_delay_alu instid0(VALU_DEP_1) | instskip(NEXT) | instid1(VALU_DEP_4)
	v_and_or_b32 v3, 0xffe, v5, v3
	v_med3_i32 v5, v10, 0, 13
	s_delay_alu instid0(VALU_DEP_2) | instskip(NEXT) | instid1(VALU_DEP_1)
	v_or_b32_e32 v10, 0x1000, v3
	v_lshrrev_b32_e32 v11, v5, v10
	s_delay_alu instid0(VALU_DEP_1) | instskip(NEXT) | instid1(VALU_DEP_1)
	v_lshlrev_b32_e32 v5, v5, v11
	v_cmp_ne_u32_e32 vcc_lo, v5, v10
	v_lshl_or_b32 v10, v8, 12, v3
	v_cndmask_b32_e64 v5, 0, 1, vcc_lo
	v_cmp_gt_i32_e32 vcc_lo, 1, v8
	s_delay_alu instid0(VALU_DEP_2) | instskip(NEXT) | instid1(VALU_DEP_1)
	v_or_b32_e32 v5, v11, v5
	v_cndmask_b32_e32 v5, v10, v5, vcc_lo
	s_delay_alu instid0(VALU_DEP_1) | instskip(NEXT) | instid1(VALU_DEP_1)
	v_dual_lshrrev_b32 v5, 2, v5 :: v_dual_bitop2_b32 v10, 7, v5 bitop3:0x40
	v_cmp_lt_i32_e32 vcc_lo, 5, v10
	v_cndmask_b32_e64 v11, 0, 1, vcc_lo
	v_cmp_eq_u32_e32 vcc_lo, 3, v10
	v_cndmask_b32_e64 v10, 0, 1, vcc_lo
	v_cmp_ne_u32_e32 vcc_lo, 0, v3
	s_delay_alu instid0(VALU_DEP_2) | instskip(SKIP_1) | instid1(VALU_DEP_2)
	v_or_b32_e32 v10, v10, v11
	v_mov_b32_e32 v11, 0x7e00
	v_add_nc_u32_e32 v5, v5, v10
	s_delay_alu instid0(VALU_DEP_2) | instskip(SKIP_1) | instid1(VALU_DEP_3)
	v_cndmask_b32_e32 v3, 0x7c00, v11, vcc_lo
	v_cmp_gt_i32_e32 vcc_lo, 31, v8
	v_cndmask_b32_e32 v5, 0x7c00, v5, vcc_lo
	v_cmp_eq_u32_e32 vcc_lo, 0x40f, v8
	s_delay_alu instid0(VALU_DEP_2) | instskip(NEXT) | instid1(VALU_DEP_1)
	v_dual_cndmask_b32 v3, v5, v3, vcc_lo :: v_dual_lshrrev_b32 v5, 16, v9
	v_and_or_b32 v3, 0x8000, v5, v3
	s_branch .LBB191_241
.LBB191_237:
	s_mov_b32 s34, -1
                                        ; implicit-def: $vgpr3
	s_branch .LBB191_259
.LBB191_238:
	s_mov_b32 s34, -1
                                        ; implicit-def: $vgpr3
	s_branch .LBB191_247
.LBB191_239:
	s_mov_b32 s34, -1
                                        ; implicit-def: $vgpr3
	s_branch .LBB191_244
.LBB191_240:
	s_mov_b32 s34, -1
                                        ; implicit-def: $vgpr3
.LBB191_241:
	s_delay_alu instid0(SALU_CYCLE_1)
	s_and_not1_b32 vcc_lo, exec_lo, s34
	s_cbranch_vccnz .LBB191_243
; %bb.242:
	global_load_b32 v3, v[6:7], off
	s_wait_loadcnt 0x0
	v_cvt_f16_f32_e32 v3, v3
.LBB191_243:
	s_mov_b32 s34, 0
.LBB191_244:
	s_delay_alu instid0(SALU_CYCLE_1)
	s_and_not1_b32 vcc_lo, exec_lo, s34
	s_cbranch_vccnz .LBB191_246
; %bb.245:
	global_load_b32 v3, v[6:7], off
.LBB191_246:
	s_mov_b32 s34, 0
.LBB191_247:
	s_delay_alu instid0(SALU_CYCLE_1)
	s_and_not1_b32 vcc_lo, exec_lo, s34
	s_cbranch_vccnz .LBB191_258
; %bb.248:
	s_cmp_lt_i32 s0, 6
	s_cbranch_scc1 .LBB191_251
; %bb.249:
	s_cmp_gt_i32 s0, 6
	s_cbranch_scc0 .LBB191_252
; %bb.250:
	global_load_b64 v[8:9], v[6:7], off
	s_mov_b32 s34, 0
	s_wait_loadcnt 0x0
	v_and_or_b32 v3, 0x1ff, v9, v8
	v_lshrrev_b32_e32 v5, 8, v9
	v_bfe_u32 v8, v9, 20, 11
	s_delay_alu instid0(VALU_DEP_3) | instskip(NEXT) | instid1(VALU_DEP_2)
	v_cmp_ne_u32_e32 vcc_lo, 0, v3
	v_sub_nc_u32_e32 v10, 0x3f1, v8
	v_add_nc_u32_e32 v8, 0xfffffc10, v8
	v_cndmask_b32_e64 v3, 0, 1, vcc_lo
	s_delay_alu instid0(VALU_DEP_1) | instskip(NEXT) | instid1(VALU_DEP_4)
	v_and_or_b32 v3, 0xffe, v5, v3
	v_med3_i32 v5, v10, 0, 13
	s_delay_alu instid0(VALU_DEP_2) | instskip(NEXT) | instid1(VALU_DEP_1)
	v_or_b32_e32 v10, 0x1000, v3
	v_lshrrev_b32_e32 v11, v5, v10
	s_delay_alu instid0(VALU_DEP_1) | instskip(NEXT) | instid1(VALU_DEP_1)
	v_lshlrev_b32_e32 v5, v5, v11
	v_cmp_ne_u32_e32 vcc_lo, v5, v10
	v_lshl_or_b32 v10, v8, 12, v3
	v_cndmask_b32_e64 v5, 0, 1, vcc_lo
	v_cmp_gt_i32_e32 vcc_lo, 1, v8
	s_delay_alu instid0(VALU_DEP_2) | instskip(NEXT) | instid1(VALU_DEP_1)
	v_or_b32_e32 v5, v11, v5
	v_cndmask_b32_e32 v5, v10, v5, vcc_lo
	s_delay_alu instid0(VALU_DEP_1) | instskip(NEXT) | instid1(VALU_DEP_1)
	v_dual_lshrrev_b32 v5, 2, v5 :: v_dual_bitop2_b32 v10, 7, v5 bitop3:0x40
	v_cmp_lt_i32_e32 vcc_lo, 5, v10
	v_cndmask_b32_e64 v11, 0, 1, vcc_lo
	v_cmp_eq_u32_e32 vcc_lo, 3, v10
	v_cndmask_b32_e64 v10, 0, 1, vcc_lo
	v_cmp_ne_u32_e32 vcc_lo, 0, v3
	s_delay_alu instid0(VALU_DEP_2) | instskip(SKIP_1) | instid1(VALU_DEP_2)
	v_or_b32_e32 v10, v10, v11
	v_mov_b32_e32 v11, 0x7e00
	v_add_nc_u32_e32 v5, v5, v10
	s_delay_alu instid0(VALU_DEP_2) | instskip(SKIP_1) | instid1(VALU_DEP_3)
	v_cndmask_b32_e32 v3, 0x7c00, v11, vcc_lo
	v_cmp_gt_i32_e32 vcc_lo, 31, v8
	v_cndmask_b32_e32 v5, 0x7c00, v5, vcc_lo
	v_cmp_eq_u32_e32 vcc_lo, 0x40f, v8
	s_delay_alu instid0(VALU_DEP_2) | instskip(NEXT) | instid1(VALU_DEP_1)
	v_dual_cndmask_b32 v3, v5, v3, vcc_lo :: v_dual_lshrrev_b32 v5, 16, v9
	v_and_or_b32 v3, 0x8000, v5, v3
	s_branch .LBB191_253
.LBB191_251:
	s_mov_b32 s34, -1
                                        ; implicit-def: $vgpr3
	s_branch .LBB191_256
.LBB191_252:
	s_mov_b32 s34, -1
                                        ; implicit-def: $vgpr3
.LBB191_253:
	s_delay_alu instid0(SALU_CYCLE_1)
	s_and_not1_b32 vcc_lo, exec_lo, s34
	s_cbranch_vccnz .LBB191_255
; %bb.254:
	s_wait_loadcnt 0x0
	global_load_b32 v3, v[6:7], off
	s_wait_loadcnt 0x0
	v_cvt_f16_f32_e32 v3, v3
.LBB191_255:
	s_mov_b32 s34, 0
.LBB191_256:
	s_delay_alu instid0(SALU_CYCLE_1)
	s_and_not1_b32 vcc_lo, exec_lo, s34
	s_cbranch_vccnz .LBB191_258
; %bb.257:
	s_wait_loadcnt 0x0
	global_load_u16 v3, v[6:7], off
.LBB191_258:
	s_mov_b32 s34, 0
.LBB191_259:
	s_delay_alu instid0(SALU_CYCLE_1)
	s_and_not1_b32 vcc_lo, exec_lo, s34
	s_cbranch_vccnz .LBB191_279
; %bb.260:
	s_cmp_lt_i32 s0, 2
	s_cbranch_scc1 .LBB191_264
; %bb.261:
	s_cmp_lt_i32 s0, 3
	s_cbranch_scc1 .LBB191_265
; %bb.262:
	s_cmp_gt_i32 s0, 3
	s_cbranch_scc0 .LBB191_266
; %bb.263:
	global_load_b64 v[8:9], v[6:7], off
	s_mov_b32 s34, 0
	s_wait_loadcnt 0x0
	v_xor_b32_e32 v3, v8, v9
	v_cls_i32_e32 v5, v9
	s_delay_alu instid0(VALU_DEP_2) | instskip(NEXT) | instid1(VALU_DEP_1)
	v_ashrrev_i32_e32 v3, 31, v3
	v_add_nc_u32_e32 v3, 32, v3
	s_delay_alu instid0(VALU_DEP_1) | instskip(NEXT) | instid1(VALU_DEP_1)
	v_add_min_u32_e64 v3, v5, -1, v3
	v_lshlrev_b64_e32 v[8:9], v3, v[8:9]
	v_sub_nc_u32_e32 v3, 32, v3
	s_delay_alu instid0(VALU_DEP_2) | instskip(NEXT) | instid1(VALU_DEP_1)
	v_min_u32_e32 v5, 1, v8
	v_or_b32_e32 v5, v9, v5
	s_delay_alu instid0(VALU_DEP_1) | instskip(NEXT) | instid1(VALU_DEP_1)
	v_cvt_f32_i32_e32 v5, v5
	v_ldexp_f32 v3, v5, v3
	s_delay_alu instid0(VALU_DEP_1)
	v_cvt_f16_f32_e32 v3, v3
	s_branch .LBB191_267
.LBB191_264:
	s_mov_b32 s34, -1
                                        ; implicit-def: $vgpr3
	s_branch .LBB191_273
.LBB191_265:
	s_mov_b32 s34, -1
                                        ; implicit-def: $vgpr3
	s_branch .LBB191_270
.LBB191_266:
	s_mov_b32 s34, -1
                                        ; implicit-def: $vgpr3
.LBB191_267:
	s_delay_alu instid0(SALU_CYCLE_1)
	s_and_not1_b32 vcc_lo, exec_lo, s34
	s_cbranch_vccnz .LBB191_269
; %bb.268:
	s_wait_loadcnt 0x0
	global_load_b32 v3, v[6:7], off
	s_wait_loadcnt 0x0
	v_cvt_f32_i32_e32 v3, v3
	s_delay_alu instid0(VALU_DEP_1)
	v_cvt_f16_f32_e32 v3, v3
.LBB191_269:
	s_mov_b32 s34, 0
.LBB191_270:
	s_delay_alu instid0(SALU_CYCLE_1)
	s_and_not1_b32 vcc_lo, exec_lo, s34
	s_cbranch_vccnz .LBB191_272
; %bb.271:
	s_wait_loadcnt 0x0
	global_load_u16 v3, v[6:7], off
	s_wait_loadcnt 0x0
	v_cvt_f16_i16_e32 v3, v3
.LBB191_272:
	s_mov_b32 s34, 0
.LBB191_273:
	s_delay_alu instid0(SALU_CYCLE_1)
	s_and_not1_b32 vcc_lo, exec_lo, s34
	s_cbranch_vccnz .LBB191_279
; %bb.274:
	s_cmp_gt_i32 s0, 0
	s_mov_b32 s0, 0
	s_cbranch_scc0 .LBB191_276
; %bb.275:
	s_wait_loadcnt 0x0
	global_load_i8 v3, v[6:7], off
	s_wait_loadcnt 0x0
	v_cvt_f16_i16_e32 v3, v3
	s_branch .LBB191_277
.LBB191_276:
	s_mov_b32 s0, -1
                                        ; implicit-def: $vgpr3
.LBB191_277:
	s_delay_alu instid0(SALU_CYCLE_1)
	s_and_not1_b32 vcc_lo, exec_lo, s0
	s_cbranch_vccnz .LBB191_279
; %bb.278:
	s_wait_loadcnt 0x0
	global_load_u8 v3, v[6:7], off
	s_wait_loadcnt 0x0
	v_cvt_f16_u16_e32 v3, v3
.LBB191_279:
	s_branch .LBB191_32
.LBB191_280:
	s_mov_b32 s0, 0
	s_mov_b32 s34, 0
	s_branch .LBB191_521
.LBB191_281:
	s_mov_b32 s34, -1
.LBB191_282:
	s_mov_b32 s35, 0
                                        ; implicit-def: $vgpr6
.LBB191_283:
	s_and_b32 vcc_lo, exec_lo, s44
	s_cbranch_vccz .LBB191_287
; %bb.284:
	s_cmp_eq_u32 s0, 44
	s_cbranch_scc0 .LBB191_286
; %bb.285:
	global_load_u8 v6, v[4:5], off
	s_mov_b32 s34, 0
	s_mov_b32 s35, -1
	s_wait_loadcnt 0x0
	v_lshlrev_b32_e32 v7, 23, v6
	v_cmp_ne_u32_e32 vcc_lo, 0xff, v6
	s_delay_alu instid0(VALU_DEP_2) | instskip(NEXT) | instid1(VALU_DEP_1)
	v_cvt_f16_f32_e32 v7, v7
	v_cndmask_b32_e32 v7, 0x7e00, v7, vcc_lo
	v_cmp_ne_u32_e32 vcc_lo, 0, v6
	s_delay_alu instid0(VALU_DEP_2)
	v_cndmask_b32_e32 v6, 0, v7, vcc_lo
	s_branch .LBB191_287
.LBB191_286:
	s_mov_b32 s34, -1
                                        ; implicit-def: $vgpr6
.LBB191_287:
	s_mov_b32 s44, 0
.LBB191_288:
	s_delay_alu instid0(SALU_CYCLE_1)
	s_and_b32 vcc_lo, exec_lo, s44
	s_cbranch_vccz .LBB191_292
; %bb.289:
	s_cmp_eq_u32 s0, 29
	s_cbranch_scc0 .LBB191_291
; %bb.290:
	global_load_b64 v[6:7], v[4:5], off
	s_mov_b32 s35, -1
	s_mov_b32 s34, 0
	s_mov_b32 s44, 0
	s_wait_loadcnt 0x0
	v_clz_i32_u32_e32 v8, v7
	s_delay_alu instid0(VALU_DEP_1) | instskip(NEXT) | instid1(VALU_DEP_1)
	v_min_u32_e32 v8, 32, v8
	v_lshlrev_b64_e32 v[6:7], v8, v[6:7]
	s_delay_alu instid0(VALU_DEP_1) | instskip(NEXT) | instid1(VALU_DEP_1)
	v_min_u32_e32 v6, 1, v6
	v_dual_sub_nc_u32 v7, 32, v8 :: v_dual_bitop2_b32 v6, v7, v6 bitop3:0x54
	s_delay_alu instid0(VALU_DEP_1) | instskip(NEXT) | instid1(VALU_DEP_1)
	v_cvt_f32_u32_e32 v6, v6
	v_ldexp_f32 v6, v6, v7
	s_delay_alu instid0(VALU_DEP_1)
	v_cvt_f16_f32_e32 v6, v6
	s_branch .LBB191_293
.LBB191_291:
	s_mov_b32 s34, -1
                                        ; implicit-def: $vgpr6
.LBB191_292:
	s_mov_b32 s44, 0
.LBB191_293:
	s_delay_alu instid0(SALU_CYCLE_1)
	s_and_b32 vcc_lo, exec_lo, s44
	s_cbranch_vccz .LBB191_311
; %bb.294:
	s_cmp_lt_i32 s0, 27
	s_cbranch_scc1 .LBB191_297
; %bb.295:
	s_cmp_gt_i32 s0, 27
	s_cbranch_scc0 .LBB191_298
; %bb.296:
	global_load_b32 v6, v[4:5], off
	s_mov_b32 s35, 0
	s_wait_loadcnt 0x0
	v_cvt_f32_u32_e32 v6, v6
	s_delay_alu instid0(VALU_DEP_1)
	v_cvt_f16_f32_e32 v6, v6
	s_branch .LBB191_299
.LBB191_297:
	s_mov_b32 s35, -1
                                        ; implicit-def: $vgpr6
	s_branch .LBB191_302
.LBB191_298:
	s_mov_b32 s35, -1
                                        ; implicit-def: $vgpr6
.LBB191_299:
	s_delay_alu instid0(SALU_CYCLE_1)
	s_and_not1_b32 vcc_lo, exec_lo, s35
	s_cbranch_vccnz .LBB191_301
; %bb.300:
	global_load_u16 v6, v[4:5], off
	s_wait_loadcnt 0x0
	v_cvt_f16_u16_e32 v6, v6
.LBB191_301:
	s_mov_b32 s35, 0
.LBB191_302:
	s_delay_alu instid0(SALU_CYCLE_1)
	s_and_not1_b32 vcc_lo, exec_lo, s35
	s_cbranch_vccnz .LBB191_310
; %bb.303:
	global_load_u8 v7, v[4:5], off
	s_mov_b32 s35, 0
	s_mov_b32 s44, exec_lo
	s_wait_loadcnt 0x0
	v_cmpx_lt_i16_e32 0x7f, v7
	s_xor_b32 s44, exec_lo, s44
	s_cbranch_execz .LBB191_324
; %bb.304:
	s_mov_b32 s35, -1
	s_mov_b32 s48, exec_lo
	v_cmpx_eq_u16_e32 0x80, v7
; %bb.305:
	s_xor_b32 s35, exec_lo, -1
; %bb.306:
	s_or_b32 exec_lo, exec_lo, s48
	s_delay_alu instid0(SALU_CYCLE_1)
	s_and_b32 s35, s35, exec_lo
	s_or_saveexec_b32 s44, s44
	v_mov_b32_e32 v6, 0x7e00
	s_xor_b32 exec_lo, exec_lo, s44
	s_cbranch_execnz .LBB191_325
.LBB191_307:
	s_or_b32 exec_lo, exec_lo, s44
	s_and_saveexec_b32 s44, s35
	s_cbranch_execz .LBB191_309
.LBB191_308:
	v_and_b32_e32 v6, 0xffff, v7
	s_delay_alu instid0(VALU_DEP_1) | instskip(SKIP_1) | instid1(VALU_DEP_2)
	v_and_b32_e32 v8, 7, v6
	v_bfe_u32 v11, v6, 3, 4
	v_clz_i32_u32_e32 v9, v8
	s_delay_alu instid0(VALU_DEP_2) | instskip(NEXT) | instid1(VALU_DEP_2)
	v_cmp_eq_u32_e32 vcc_lo, 0, v11
	v_min_u32_e32 v9, 32, v9
	s_delay_alu instid0(VALU_DEP_1) | instskip(NEXT) | instid1(VALU_DEP_1)
	v_subrev_nc_u32_e32 v10, 28, v9
	v_dual_lshlrev_b32 v6, v10, v6 :: v_dual_sub_nc_u32 v9, 29, v9
	s_delay_alu instid0(VALU_DEP_1) | instskip(NEXT) | instid1(VALU_DEP_1)
	v_dual_lshlrev_b32 v7, 24, v7 :: v_dual_bitop2_b32 v6, 7, v6 bitop3:0x40
	v_dual_cndmask_b32 v9, v11, v9 :: v_dual_cndmask_b32 v6, v8, v6
	s_delay_alu instid0(VALU_DEP_2) | instskip(NEXT) | instid1(VALU_DEP_2)
	v_and_b32_e32 v7, 0x80000000, v7
	v_lshl_add_u32 v8, v9, 23, 0x3b800000
	s_delay_alu instid0(VALU_DEP_3) | instskip(NEXT) | instid1(VALU_DEP_1)
	v_lshlrev_b32_e32 v6, 20, v6
	v_or3_b32 v6, v7, v8, v6
	s_delay_alu instid0(VALU_DEP_1)
	v_cvt_f16_f32_e32 v6, v6
.LBB191_309:
	s_or_b32 exec_lo, exec_lo, s44
.LBB191_310:
	s_mov_b32 s35, -1
.LBB191_311:
	s_mov_b32 s44, 0
.LBB191_312:
	s_delay_alu instid0(SALU_CYCLE_1)
	s_and_b32 vcc_lo, exec_lo, s44
	s_cbranch_vccz .LBB191_347
; %bb.313:
	s_cmp_gt_i32 s0, 22
	s_cbranch_scc0 .LBB191_323
; %bb.314:
	s_cmp_lt_i32 s0, 24
	s_cbranch_scc1 .LBB191_326
; %bb.315:
	s_cmp_gt_i32 s0, 24
	s_cbranch_scc0 .LBB191_327
; %bb.316:
	global_load_u8 v7, v[4:5], off
	s_mov_b32 s35, 0
	s_mov_b32 s44, exec_lo
	s_wait_loadcnt 0x0
	v_cmpx_lt_i16_e32 0x7f, v7
	s_xor_b32 s44, exec_lo, s44
	s_cbranch_execz .LBB191_339
; %bb.317:
	s_mov_b32 s35, -1
	s_mov_b32 s48, exec_lo
	v_cmpx_eq_u16_e32 0x80, v7
; %bb.318:
	s_xor_b32 s35, exec_lo, -1
; %bb.319:
	s_or_b32 exec_lo, exec_lo, s48
	s_delay_alu instid0(SALU_CYCLE_1)
	s_and_b32 s35, s35, exec_lo
	s_or_saveexec_b32 s44, s44
	v_mov_b32_e32 v6, 0x7e00
	s_xor_b32 exec_lo, exec_lo, s44
	s_cbranch_execnz .LBB191_340
.LBB191_320:
	s_or_b32 exec_lo, exec_lo, s44
	s_and_saveexec_b32 s44, s35
	s_cbranch_execz .LBB191_322
.LBB191_321:
	v_and_b32_e32 v6, 0xffff, v7
	s_delay_alu instid0(VALU_DEP_1) | instskip(SKIP_1) | instid1(VALU_DEP_2)
	v_and_b32_e32 v8, 3, v6
	v_bfe_u32 v11, v6, 2, 5
	v_clz_i32_u32_e32 v9, v8
	s_delay_alu instid0(VALU_DEP_2) | instskip(NEXT) | instid1(VALU_DEP_2)
	v_cmp_eq_u32_e32 vcc_lo, 0, v11
	v_min_u32_e32 v9, 32, v9
	s_delay_alu instid0(VALU_DEP_1) | instskip(NEXT) | instid1(VALU_DEP_1)
	v_subrev_nc_u32_e32 v10, 29, v9
	v_dual_lshlrev_b32 v6, v10, v6 :: v_dual_sub_nc_u32 v9, 30, v9
	s_delay_alu instid0(VALU_DEP_1) | instskip(NEXT) | instid1(VALU_DEP_1)
	v_dual_lshlrev_b32 v7, 24, v7 :: v_dual_bitop2_b32 v6, 3, v6 bitop3:0x40
	v_dual_cndmask_b32 v9, v11, v9 :: v_dual_cndmask_b32 v6, v8, v6
	s_delay_alu instid0(VALU_DEP_2) | instskip(NEXT) | instid1(VALU_DEP_2)
	v_and_b32_e32 v7, 0x80000000, v7
	v_lshl_add_u32 v8, v9, 23, 0x37800000
	s_delay_alu instid0(VALU_DEP_3) | instskip(NEXT) | instid1(VALU_DEP_1)
	v_lshlrev_b32_e32 v6, 21, v6
	v_or3_b32 v6, v7, v8, v6
	s_delay_alu instid0(VALU_DEP_1)
	v_cvt_f16_f32_e32 v6, v6
.LBB191_322:
	s_or_b32 exec_lo, exec_lo, s44
	s_mov_b32 s35, 0
	s_branch .LBB191_328
.LBB191_323:
	s_mov_b32 s44, -1
                                        ; implicit-def: $vgpr6
	s_branch .LBB191_334
.LBB191_324:
	s_or_saveexec_b32 s44, s44
	v_mov_b32_e32 v6, 0x7e00
	s_xor_b32 exec_lo, exec_lo, s44
	s_cbranch_execz .LBB191_307
.LBB191_325:
	v_cmp_ne_u16_e32 vcc_lo, 0, v7
	v_mov_b32_e32 v6, v7
	s_and_not1_b32 s35, s35, exec_lo
	s_and_b32 s48, vcc_lo, exec_lo
	s_delay_alu instid0(SALU_CYCLE_1)
	s_or_b32 s35, s35, s48
	s_or_b32 exec_lo, exec_lo, s44
	s_and_saveexec_b32 s44, s35
	s_cbranch_execnz .LBB191_308
	s_branch .LBB191_309
.LBB191_326:
	s_mov_b32 s35, -1
                                        ; implicit-def: $vgpr6
	s_branch .LBB191_331
.LBB191_327:
	s_mov_b32 s35, -1
                                        ; implicit-def: $vgpr6
.LBB191_328:
	s_delay_alu instid0(SALU_CYCLE_1)
	s_and_b32 vcc_lo, exec_lo, s35
	s_cbranch_vccz .LBB191_330
; %bb.329:
	global_load_u8 v6, v[4:5], off
	s_wait_loadcnt 0x0
	v_lshlrev_b32_e32 v6, 24, v6
	s_delay_alu instid0(VALU_DEP_1) | instskip(NEXT) | instid1(VALU_DEP_1)
	v_and_b32_e32 v7, 0x7f000000, v6
	v_clz_i32_u32_e32 v8, v7
	v_cmp_ne_u32_e32 vcc_lo, 0, v7
	v_add_nc_u32_e32 v10, 0x1000000, v7
	s_delay_alu instid0(VALU_DEP_3) | instskip(NEXT) | instid1(VALU_DEP_1)
	v_min_u32_e32 v8, 32, v8
	v_sub_nc_u32_e64 v8, v8, 4 clamp
	s_delay_alu instid0(VALU_DEP_1) | instskip(NEXT) | instid1(VALU_DEP_1)
	v_dual_lshlrev_b32 v9, v8, v7 :: v_dual_lshlrev_b32 v8, 23, v8
	v_lshrrev_b32_e32 v9, 4, v9
	s_delay_alu instid0(VALU_DEP_1) | instskip(NEXT) | instid1(VALU_DEP_1)
	v_dual_sub_nc_u32 v8, v9, v8 :: v_dual_ashrrev_i32 v9, 8, v10
	v_add_nc_u32_e32 v8, 0x3c000000, v8
	s_delay_alu instid0(VALU_DEP_1) | instskip(NEXT) | instid1(VALU_DEP_1)
	v_and_or_b32 v8, 0x7f800000, v9, v8
	v_cndmask_b32_e32 v7, 0, v8, vcc_lo
	s_delay_alu instid0(VALU_DEP_1) | instskip(NEXT) | instid1(VALU_DEP_1)
	v_and_or_b32 v6, 0x80000000, v6, v7
	v_cvt_f16_f32_e32 v6, v6
.LBB191_330:
	s_mov_b32 s35, 0
.LBB191_331:
	s_delay_alu instid0(SALU_CYCLE_1)
	s_and_not1_b32 vcc_lo, exec_lo, s35
	s_cbranch_vccnz .LBB191_333
; %bb.332:
	global_load_u8 v6, v[4:5], off
	s_wait_loadcnt 0x0
	v_lshlrev_b32_e32 v7, 25, v6
	v_lshlrev_b16 v6, 8, v6
	s_delay_alu instid0(VALU_DEP_1) | instskip(SKIP_1) | instid1(VALU_DEP_2)
	v_and_or_b32 v9, 0x7f00, v6, 0.5
	v_bfe_i32 v6, v6, 0, 16
	v_dual_add_f32 v9, -0.5, v9 :: v_dual_lshrrev_b32 v8, 4, v7
	v_cmp_gt_u32_e32 vcc_lo, 0x8000000, v7
	s_delay_alu instid0(VALU_DEP_2) | instskip(NEXT) | instid1(VALU_DEP_1)
	v_or_b32_e32 v8, 0x70000000, v8
	v_mul_f32_e32 v8, 0x7800000, v8
	s_delay_alu instid0(VALU_DEP_1) | instskip(NEXT) | instid1(VALU_DEP_1)
	v_cndmask_b32_e32 v7, v8, v9, vcc_lo
	v_and_or_b32 v6, 0x80000000, v6, v7
	s_delay_alu instid0(VALU_DEP_1)
	v_cvt_f16_f32_e32 v6, v6
.LBB191_333:
	s_mov_b32 s44, 0
	s_mov_b32 s35, -1
.LBB191_334:
	s_and_not1_b32 vcc_lo, exec_lo, s44
	s_cbranch_vccnz .LBB191_347
; %bb.335:
	s_cmp_gt_i32 s0, 14
	s_cbranch_scc0 .LBB191_338
; %bb.336:
	s_cmp_eq_u32 s0, 15
	s_cbranch_scc0 .LBB191_341
; %bb.337:
	global_load_u16 v6, v[4:5], off
	s_mov_b32 s35, -1
	s_mov_b32 s34, 0
	s_wait_loadcnt 0x0
	v_lshlrev_b32_e32 v6, 16, v6
	s_delay_alu instid0(VALU_DEP_1)
	v_cvt_f16_f32_e32 v6, v6
	s_branch .LBB191_342
.LBB191_338:
	s_mov_b32 s44, -1
                                        ; implicit-def: $vgpr6
	s_branch .LBB191_343
.LBB191_339:
	s_or_saveexec_b32 s44, s44
	v_mov_b32_e32 v6, 0x7e00
	s_xor_b32 exec_lo, exec_lo, s44
	s_cbranch_execz .LBB191_320
.LBB191_340:
	v_cmp_ne_u16_e32 vcc_lo, 0, v7
	v_mov_b32_e32 v6, v7
	s_and_not1_b32 s35, s35, exec_lo
	s_and_b32 s48, vcc_lo, exec_lo
	s_delay_alu instid0(SALU_CYCLE_1)
	s_or_b32 s35, s35, s48
	s_or_b32 exec_lo, exec_lo, s44
	s_and_saveexec_b32 s44, s35
	s_cbranch_execnz .LBB191_321
	s_branch .LBB191_322
.LBB191_341:
	s_mov_b32 s34, -1
                                        ; implicit-def: $vgpr6
.LBB191_342:
	s_mov_b32 s44, 0
.LBB191_343:
	s_delay_alu instid0(SALU_CYCLE_1)
	s_and_b32 vcc_lo, exec_lo, s44
	s_cbranch_vccz .LBB191_347
; %bb.344:
	s_cmp_eq_u32 s0, 11
	s_cbranch_scc0 .LBB191_346
; %bb.345:
	global_load_u8 v6, v[4:5], off
	s_mov_b32 s34, 0
	s_mov_b32 s35, -1
	s_wait_loadcnt 0x0
	v_cmp_ne_u16_e32 vcc_lo, 0, v6
	v_cndmask_b32_e64 v6, 0, 0x3c00, vcc_lo
	s_branch .LBB191_347
.LBB191_346:
	s_mov_b32 s34, -1
                                        ; implicit-def: $vgpr6
.LBB191_347:
	s_mov_b32 s44, 0
.LBB191_348:
	s_delay_alu instid0(SALU_CYCLE_1)
	s_and_b32 vcc_lo, exec_lo, s44
	s_cbranch_vccz .LBB191_397
; %bb.349:
	s_cmp_lt_i32 s0, 5
	s_cbranch_scc1 .LBB191_354
; %bb.350:
	s_cmp_lt_i32 s0, 8
	s_cbranch_scc1 .LBB191_355
	;; [unrolled: 3-line block ×3, first 2 shown]
; %bb.352:
	s_cmp_gt_i32 s0, 9
	s_cbranch_scc0 .LBB191_357
; %bb.353:
	global_load_b64 v[6:7], v[4:5], off
	s_mov_b32 s35, 0
	s_wait_loadcnt 0x0
	v_and_or_b32 v6, 0x1ff, v7, v6
	v_lshrrev_b32_e32 v8, 8, v7
	v_bfe_u32 v9, v7, 20, 11
	v_lshrrev_b32_e32 v7, 16, v7
	s_delay_alu instid0(VALU_DEP_4) | instskip(NEXT) | instid1(VALU_DEP_3)
	v_cmp_ne_u32_e32 vcc_lo, 0, v6
	v_sub_nc_u32_e32 v10, 0x3f1, v9
	v_add_nc_u32_e32 v9, 0xfffffc10, v9
	v_cndmask_b32_e64 v6, 0, 1, vcc_lo
	s_delay_alu instid0(VALU_DEP_1) | instskip(NEXT) | instid1(VALU_DEP_4)
	v_and_or_b32 v6, 0xffe, v8, v6
	v_med3_i32 v8, v10, 0, 13
	s_delay_alu instid0(VALU_DEP_2) | instskip(NEXT) | instid1(VALU_DEP_1)
	v_or_b32_e32 v10, 0x1000, v6
	v_lshrrev_b32_e32 v11, v8, v10
	s_delay_alu instid0(VALU_DEP_1) | instskip(NEXT) | instid1(VALU_DEP_1)
	v_lshlrev_b32_e32 v8, v8, v11
	v_cmp_ne_u32_e32 vcc_lo, v8, v10
	v_lshl_or_b32 v10, v9, 12, v6
	v_cndmask_b32_e64 v8, 0, 1, vcc_lo
	v_cmp_gt_i32_e32 vcc_lo, 1, v9
	s_delay_alu instid0(VALU_DEP_2) | instskip(NEXT) | instid1(VALU_DEP_1)
	v_or_b32_e32 v8, v11, v8
	v_cndmask_b32_e32 v8, v10, v8, vcc_lo
	s_delay_alu instid0(VALU_DEP_1) | instskip(NEXT) | instid1(VALU_DEP_1)
	v_dual_lshrrev_b32 v8, 2, v8 :: v_dual_bitop2_b32 v10, 7, v8 bitop3:0x40
	v_cmp_lt_i32_e32 vcc_lo, 5, v10
	v_cndmask_b32_e64 v11, 0, 1, vcc_lo
	v_cmp_eq_u32_e32 vcc_lo, 3, v10
	v_cndmask_b32_e64 v10, 0, 1, vcc_lo
	v_cmp_ne_u32_e32 vcc_lo, 0, v6
	s_delay_alu instid0(VALU_DEP_2) | instskip(NEXT) | instid1(VALU_DEP_1)
	v_or_b32_e32 v10, v10, v11
	v_dual_mov_b32 v11, 0x7e00 :: v_dual_add_nc_u32 v8, v8, v10
	s_delay_alu instid0(VALU_DEP_1) | instskip(SKIP_1) | instid1(VALU_DEP_3)
	v_cndmask_b32_e32 v6, 0x7c00, v11, vcc_lo
	v_cmp_gt_i32_e32 vcc_lo, 31, v9
	v_cndmask_b32_e32 v8, 0x7c00, v8, vcc_lo
	v_cmp_eq_u32_e32 vcc_lo, 0x40f, v9
	s_delay_alu instid0(VALU_DEP_2) | instskip(NEXT) | instid1(VALU_DEP_1)
	v_cndmask_b32_e32 v6, v8, v6, vcc_lo
	v_and_or_b32 v6, 0x8000, v7, v6
	s_branch .LBB191_358
.LBB191_354:
	s_mov_b32 s35, -1
                                        ; implicit-def: $vgpr6
	s_branch .LBB191_376
.LBB191_355:
	s_mov_b32 s35, -1
                                        ; implicit-def: $vgpr6
	s_branch .LBB191_364
.LBB191_356:
	s_mov_b32 s35, -1
                                        ; implicit-def: $vgpr6
	s_branch .LBB191_361
.LBB191_357:
	s_mov_b32 s35, -1
                                        ; implicit-def: $vgpr6
.LBB191_358:
	s_delay_alu instid0(SALU_CYCLE_1)
	s_and_not1_b32 vcc_lo, exec_lo, s35
	s_cbranch_vccnz .LBB191_360
; %bb.359:
	global_load_b32 v6, v[4:5], off
	s_wait_loadcnt 0x0
	v_cvt_f16_f32_e32 v6, v6
.LBB191_360:
	s_mov_b32 s35, 0
.LBB191_361:
	s_delay_alu instid0(SALU_CYCLE_1)
	s_and_not1_b32 vcc_lo, exec_lo, s35
	s_cbranch_vccnz .LBB191_363
; %bb.362:
	global_load_b32 v6, v[4:5], off
.LBB191_363:
	s_mov_b32 s35, 0
.LBB191_364:
	s_delay_alu instid0(SALU_CYCLE_1)
	s_and_not1_b32 vcc_lo, exec_lo, s35
	s_cbranch_vccnz .LBB191_375
; %bb.365:
	s_cmp_lt_i32 s0, 6
	s_cbranch_scc1 .LBB191_368
; %bb.366:
	s_cmp_gt_i32 s0, 6
	s_cbranch_scc0 .LBB191_369
; %bb.367:
	s_wait_loadcnt 0x0
	global_load_b64 v[6:7], v[4:5], off
	s_mov_b32 s35, 0
	s_wait_loadcnt 0x0
	v_and_or_b32 v6, 0x1ff, v7, v6
	v_lshrrev_b32_e32 v8, 8, v7
	v_bfe_u32 v9, v7, 20, 11
	v_lshrrev_b32_e32 v7, 16, v7
	s_delay_alu instid0(VALU_DEP_4) | instskip(NEXT) | instid1(VALU_DEP_3)
	v_cmp_ne_u32_e32 vcc_lo, 0, v6
	v_sub_nc_u32_e32 v10, 0x3f1, v9
	v_add_nc_u32_e32 v9, 0xfffffc10, v9
	v_cndmask_b32_e64 v6, 0, 1, vcc_lo
	s_delay_alu instid0(VALU_DEP_1) | instskip(NEXT) | instid1(VALU_DEP_4)
	v_and_or_b32 v6, 0xffe, v8, v6
	v_med3_i32 v8, v10, 0, 13
	s_delay_alu instid0(VALU_DEP_2) | instskip(NEXT) | instid1(VALU_DEP_1)
	v_or_b32_e32 v10, 0x1000, v6
	v_lshrrev_b32_e32 v11, v8, v10
	s_delay_alu instid0(VALU_DEP_1) | instskip(NEXT) | instid1(VALU_DEP_1)
	v_lshlrev_b32_e32 v8, v8, v11
	v_cmp_ne_u32_e32 vcc_lo, v8, v10
	v_lshl_or_b32 v10, v9, 12, v6
	v_cndmask_b32_e64 v8, 0, 1, vcc_lo
	v_cmp_gt_i32_e32 vcc_lo, 1, v9
	s_delay_alu instid0(VALU_DEP_2) | instskip(NEXT) | instid1(VALU_DEP_1)
	v_or_b32_e32 v8, v11, v8
	v_cndmask_b32_e32 v8, v10, v8, vcc_lo
	s_delay_alu instid0(VALU_DEP_1) | instskip(NEXT) | instid1(VALU_DEP_1)
	v_dual_lshrrev_b32 v8, 2, v8 :: v_dual_bitop2_b32 v10, 7, v8 bitop3:0x40
	v_cmp_lt_i32_e32 vcc_lo, 5, v10
	v_cndmask_b32_e64 v11, 0, 1, vcc_lo
	v_cmp_eq_u32_e32 vcc_lo, 3, v10
	v_cndmask_b32_e64 v10, 0, 1, vcc_lo
	v_cmp_ne_u32_e32 vcc_lo, 0, v6
	s_delay_alu instid0(VALU_DEP_2) | instskip(NEXT) | instid1(VALU_DEP_1)
	v_or_b32_e32 v10, v10, v11
	v_dual_mov_b32 v11, 0x7e00 :: v_dual_add_nc_u32 v8, v8, v10
	s_delay_alu instid0(VALU_DEP_1) | instskip(SKIP_1) | instid1(VALU_DEP_3)
	v_cndmask_b32_e32 v6, 0x7c00, v11, vcc_lo
	v_cmp_gt_i32_e32 vcc_lo, 31, v9
	v_cndmask_b32_e32 v8, 0x7c00, v8, vcc_lo
	v_cmp_eq_u32_e32 vcc_lo, 0x40f, v9
	s_delay_alu instid0(VALU_DEP_2) | instskip(NEXT) | instid1(VALU_DEP_1)
	v_cndmask_b32_e32 v6, v8, v6, vcc_lo
	v_and_or_b32 v6, 0x8000, v7, v6
	s_branch .LBB191_370
.LBB191_368:
	s_mov_b32 s35, -1
                                        ; implicit-def: $vgpr6
	s_branch .LBB191_373
.LBB191_369:
	s_mov_b32 s35, -1
                                        ; implicit-def: $vgpr6
.LBB191_370:
	s_delay_alu instid0(SALU_CYCLE_1)
	s_and_not1_b32 vcc_lo, exec_lo, s35
	s_cbranch_vccnz .LBB191_372
; %bb.371:
	s_wait_loadcnt 0x0
	global_load_b32 v6, v[4:5], off
	s_wait_loadcnt 0x0
	v_cvt_f16_f32_e32 v6, v6
.LBB191_372:
	s_mov_b32 s35, 0
.LBB191_373:
	s_delay_alu instid0(SALU_CYCLE_1)
	s_and_not1_b32 vcc_lo, exec_lo, s35
	s_cbranch_vccnz .LBB191_375
; %bb.374:
	s_wait_loadcnt 0x0
	global_load_u16 v6, v[4:5], off
.LBB191_375:
	s_mov_b32 s35, 0
.LBB191_376:
	s_delay_alu instid0(SALU_CYCLE_1)
	s_and_not1_b32 vcc_lo, exec_lo, s35
	s_cbranch_vccnz .LBB191_396
; %bb.377:
	s_cmp_lt_i32 s0, 2
	s_cbranch_scc1 .LBB191_381
; %bb.378:
	s_cmp_lt_i32 s0, 3
	s_cbranch_scc1 .LBB191_382
; %bb.379:
	s_cmp_gt_i32 s0, 3
	s_cbranch_scc0 .LBB191_383
; %bb.380:
	s_wait_loadcnt 0x0
	global_load_b64 v[6:7], v[4:5], off
	s_mov_b32 s35, 0
	s_wait_loadcnt 0x0
	v_xor_b32_e32 v8, v6, v7
	v_cls_i32_e32 v9, v7
	s_delay_alu instid0(VALU_DEP_2) | instskip(NEXT) | instid1(VALU_DEP_1)
	v_ashrrev_i32_e32 v8, 31, v8
	v_add_nc_u32_e32 v8, 32, v8
	s_delay_alu instid0(VALU_DEP_1) | instskip(NEXT) | instid1(VALU_DEP_1)
	v_add_min_u32_e64 v8, v9, -1, v8
	v_lshlrev_b64_e32 v[6:7], v8, v[6:7]
	s_delay_alu instid0(VALU_DEP_1) | instskip(NEXT) | instid1(VALU_DEP_1)
	v_min_u32_e32 v6, 1, v6
	v_dual_sub_nc_u32 v7, 32, v8 :: v_dual_bitop2_b32 v6, v7, v6 bitop3:0x54
	s_delay_alu instid0(VALU_DEP_1) | instskip(NEXT) | instid1(VALU_DEP_1)
	v_cvt_f32_i32_e32 v6, v6
	v_ldexp_f32 v6, v6, v7
	s_delay_alu instid0(VALU_DEP_1)
	v_cvt_f16_f32_e32 v6, v6
	s_branch .LBB191_384
.LBB191_381:
	s_mov_b32 s35, -1
                                        ; implicit-def: $vgpr6
	s_branch .LBB191_390
.LBB191_382:
	s_mov_b32 s35, -1
                                        ; implicit-def: $vgpr6
	s_branch .LBB191_387
.LBB191_383:
	s_mov_b32 s35, -1
                                        ; implicit-def: $vgpr6
.LBB191_384:
	s_delay_alu instid0(SALU_CYCLE_1)
	s_and_not1_b32 vcc_lo, exec_lo, s35
	s_cbranch_vccnz .LBB191_386
; %bb.385:
	s_wait_loadcnt 0x0
	global_load_b32 v6, v[4:5], off
	s_wait_loadcnt 0x0
	v_cvt_f32_i32_e32 v6, v6
	s_delay_alu instid0(VALU_DEP_1)
	v_cvt_f16_f32_e32 v6, v6
.LBB191_386:
	s_mov_b32 s35, 0
.LBB191_387:
	s_delay_alu instid0(SALU_CYCLE_1)
	s_and_not1_b32 vcc_lo, exec_lo, s35
	s_cbranch_vccnz .LBB191_389
; %bb.388:
	s_wait_loadcnt 0x0
	global_load_u16 v6, v[4:5], off
	s_wait_loadcnt 0x0
	v_cvt_f16_i16_e32 v6, v6
.LBB191_389:
	s_mov_b32 s35, 0
.LBB191_390:
	s_delay_alu instid0(SALU_CYCLE_1)
	s_and_not1_b32 vcc_lo, exec_lo, s35
	s_cbranch_vccnz .LBB191_396
; %bb.391:
	s_cmp_gt_i32 s0, 0
	s_mov_b32 s0, 0
	s_cbranch_scc0 .LBB191_393
; %bb.392:
	s_wait_loadcnt 0x0
	global_load_i8 v6, v[4:5], off
	s_wait_loadcnt 0x0
	v_cvt_f16_i16_e32 v6, v6
	s_branch .LBB191_394
.LBB191_393:
	s_mov_b32 s0, -1
                                        ; implicit-def: $vgpr6
.LBB191_394:
	s_delay_alu instid0(SALU_CYCLE_1)
	s_and_not1_b32 vcc_lo, exec_lo, s0
	s_cbranch_vccnz .LBB191_396
; %bb.395:
	global_load_u8 v4, v[4:5], off
	s_wait_loadcnt 0x0
	v_cvt_f16_u16_e32 v6, v4
.LBB191_396:
	s_mov_b32 s35, -1
.LBB191_397:
	s_delay_alu instid0(SALU_CYCLE_1)
	s_and_not1_b32 vcc_lo, exec_lo, s35
	s_cbranch_vccnz .LBB191_405
; %bb.398:
	s_wait_loadcnt 0x0
	v_mul_f16_e32 v4, s21, v3
	v_mov_b32_e32 v3, 0
	s_and_b32 s35, s25, 0xff
	s_delay_alu instid0(SALU_CYCLE_1) | instskip(NEXT) | instid1(VALU_DEP_2)
	s_cmp_lt_i32 s35, 11
	v_mul_f16_e32 v4, v4, v6
	s_delay_alu instid0(VALU_DEP_2) | instskip(NEXT) | instid1(VALU_DEP_2)
	v_add_nc_u64_e32 v[2:3], s[4:5], v[2:3]
	v_fmac_f16_e32 v4, s24, v1
	s_cbranch_scc1 .LBB191_406
; %bb.399:
	s_and_b32 s44, 0xffff, s35
	s_delay_alu instid0(SALU_CYCLE_1)
	s_cmp_gt_i32 s44, 25
	s_cbranch_scc0 .LBB191_407
; %bb.400:
	s_cmp_gt_i32 s44, 28
	s_cbranch_scc0 .LBB191_408
; %bb.401:
	;; [unrolled: 3-line block ×4, first 2 shown]
	s_mov_b32 s49, 0
	s_mov_b32 s0, -1
	s_cmp_eq_u32 s44, 46
	s_mov_b32 s48, 0
	s_cbranch_scc0 .LBB191_411
; %bb.404:
	v_cvt_f32_f16_e32 v1, v4
	v_cmp_o_f16_e32 vcc_lo, v4, v4
	s_mov_b32 s48, -1
	s_mov_b32 s0, 0
	s_delay_alu instid0(VALU_DEP_2) | instskip(NEXT) | instid1(VALU_DEP_1)
	v_bfe_u32 v5, v1, 16, 1
	v_add3_u32 v1, v1, v5, 0x7fff
	s_delay_alu instid0(VALU_DEP_1) | instskip(NEXT) | instid1(VALU_DEP_1)
	v_lshrrev_b32_e32 v1, 16, v1
	v_cndmask_b32_e32 v1, 0x7fc0, v1, vcc_lo
	global_store_b32 v[2:3], v1, off
	s_branch .LBB191_411
.LBB191_405:
	s_mov_b32 s0, 0
	s_branch .LBB191_521
.LBB191_406:
	s_mov_b32 s44, -1
	s_mov_b32 s0, 0
	s_mov_b32 s48, 0
	s_branch .LBB191_480
.LBB191_407:
	s_mov_b32 s49, -1
	s_mov_b32 s0, 0
	s_mov_b32 s48, 0
	s_branch .LBB191_438
.LBB191_408:
	s_mov_b32 s49, -1
	s_mov_b32 s0, 0
	s_mov_b32 s48, 0
	s_branch .LBB191_421
.LBB191_409:
	s_mov_b32 s49, -1
	s_mov_b32 s0, 0
	s_mov_b32 s48, 0
	s_branch .LBB191_417
.LBB191_410:
	s_mov_b32 s49, -1
	s_mov_b32 s0, 0
	s_mov_b32 s48, 0
.LBB191_411:
	s_and_b32 vcc_lo, exec_lo, s49
	s_cbranch_vccz .LBB191_416
; %bb.412:
	s_cmp_eq_u32 s44, 44
	s_mov_b32 s0, -1
	s_cbranch_scc0 .LBB191_416
; %bb.413:
	s_wait_xcnt 0x0
	v_cvt_f32_f16_e32 v1, v4
	v_mov_b32_e32 v5, 0xff
	s_mov_b32 s48, exec_lo
	s_delay_alu instid0(VALU_DEP_2) | instskip(NEXT) | instid1(VALU_DEP_1)
	v_bfe_u32 v6, v1, 23, 8
	v_cmpx_ne_u32_e32 0xff, v6
	s_cbranch_execz .LBB191_415
; %bb.414:
	v_and_b32_e32 v5, 0x400000, v1
	v_and_or_b32 v6, 0x3fffff, v1, v6
	v_lshrrev_b32_e32 v1, 23, v1
	s_delay_alu instid0(VALU_DEP_3) | instskip(NEXT) | instid1(VALU_DEP_3)
	v_cmp_ne_u32_e32 vcc_lo, 0, v5
	v_cmp_ne_u32_e64 s0, 0, v6
	s_and_b32 s0, vcc_lo, s0
	s_delay_alu instid0(SALU_CYCLE_1) | instskip(NEXT) | instid1(VALU_DEP_1)
	v_cndmask_b32_e64 v5, 0, 1, s0
	v_add_nc_u32_e32 v5, v1, v5
.LBB191_415:
	s_or_b32 exec_lo, exec_lo, s48
	s_mov_b32 s48, -1
	s_mov_b32 s0, 0
	global_store_b8 v[2:3], v5, off
.LBB191_416:
	s_mov_b32 s49, 0
.LBB191_417:
	s_delay_alu instid0(SALU_CYCLE_1)
	s_and_b32 vcc_lo, exec_lo, s49
	s_cbranch_vccz .LBB191_420
; %bb.418:
	s_cmp_eq_u32 s44, 29
	s_mov_b32 s0, -1
	s_cbranch_scc0 .LBB191_420
; %bb.419:
	s_wait_xcnt 0x0
	v_cvt_f32_f16_e32 v1, v4
	v_mov_b32_e32 v7, 0
	s_mov_b32 s48, -1
	s_mov_b32 s0, 0
	s_mov_b32 s49, 0
	v_cvt_u32_f32_e32 v6, v1
	global_store_b64 v[2:3], v[6:7], off
	s_branch .LBB191_421
.LBB191_420:
	s_mov_b32 s49, 0
.LBB191_421:
	s_delay_alu instid0(SALU_CYCLE_1)
	s_and_b32 vcc_lo, exec_lo, s49
	s_cbranch_vccz .LBB191_437
; %bb.422:
	s_cmp_lt_i32 s44, 27
	s_mov_b32 s48, -1
	s_cbranch_scc1 .LBB191_428
; %bb.423:
	s_cmp_gt_i32 s44, 27
	s_cbranch_scc0 .LBB191_425
; %bb.424:
	s_wait_xcnt 0x0
	v_cvt_f32_f16_e32 v1, v4
	s_mov_b32 s48, 0
	s_delay_alu instid0(VALU_DEP_1)
	v_cvt_u32_f32_e32 v1, v1
	global_store_b32 v[2:3], v1, off
.LBB191_425:
	s_and_not1_b32 vcc_lo, exec_lo, s48
	s_cbranch_vccnz .LBB191_427
; %bb.426:
	s_wait_xcnt 0x0
	v_cvt_u16_f16_e32 v1, v4
	global_store_b16 v[2:3], v1, off
.LBB191_427:
	s_mov_b32 s48, 0
.LBB191_428:
	s_delay_alu instid0(SALU_CYCLE_1)
	s_and_not1_b32 vcc_lo, exec_lo, s48
	s_cbranch_vccnz .LBB191_436
; %bb.429:
	s_wait_xcnt 0x0
	v_cvt_f32_f16_e32 v1, v4
	v_mov_b32_e32 v6, 0x80
	s_mov_b32 s48, exec_lo
	s_delay_alu instid0(VALU_DEP_2) | instskip(NEXT) | instid1(VALU_DEP_1)
	v_and_b32_e32 v5, 0x7fffffff, v1
	v_cmpx_gt_u32_e32 0x43800000, v5
	s_cbranch_execz .LBB191_435
; %bb.430:
	v_cmp_lt_u32_e32 vcc_lo, 0x3bffffff, v5
	s_mov_b32 s49, 0
                                        ; implicit-def: $vgpr5
	s_and_saveexec_b32 s50, vcc_lo
	s_delay_alu instid0(SALU_CYCLE_1)
	s_xor_b32 s50, exec_lo, s50
	s_cbranch_execz .LBB191_680
; %bb.431:
	v_bfe_u32 v5, v1, 20, 1
	s_mov_b32 s49, exec_lo
	s_delay_alu instid0(VALU_DEP_1) | instskip(NEXT) | instid1(VALU_DEP_1)
	v_add3_u32 v5, v1, v5, 0x487ffff
	v_lshrrev_b32_e32 v5, 20, v5
	s_and_not1_saveexec_b32 s50, s50
	s_cbranch_execnz .LBB191_681
.LBB191_432:
	s_or_b32 exec_lo, exec_lo, s50
	v_mov_b32_e32 v6, 0
	s_and_saveexec_b32 s50, s49
.LBB191_433:
	v_lshrrev_b32_e32 v1, 24, v1
	s_delay_alu instid0(VALU_DEP_1)
	v_and_or_b32 v6, 0x80, v1, v5
.LBB191_434:
	s_or_b32 exec_lo, exec_lo, s50
.LBB191_435:
	s_delay_alu instid0(SALU_CYCLE_1)
	s_or_b32 exec_lo, exec_lo, s48
	global_store_b8 v[2:3], v6, off
.LBB191_436:
	s_mov_b32 s48, -1
.LBB191_437:
	s_mov_b32 s49, 0
.LBB191_438:
	s_delay_alu instid0(SALU_CYCLE_1)
	s_and_b32 vcc_lo, exec_lo, s49
	s_cbranch_vccz .LBB191_479
; %bb.439:
	s_cmp_gt_i32 s44, 22
	s_mov_b32 s49, -1
	s_cbranch_scc0 .LBB191_471
; %bb.440:
	s_cmp_lt_i32 s44, 24
	s_mov_b32 s48, -1
	s_cbranch_scc1 .LBB191_460
; %bb.441:
	s_cmp_gt_i32 s44, 24
	s_cbranch_scc0 .LBB191_449
; %bb.442:
	s_wait_xcnt 0x0
	v_cvt_f32_f16_e32 v1, v4
	v_mov_b32_e32 v6, 0x80
	s_mov_b32 s48, exec_lo
	s_delay_alu instid0(VALU_DEP_2) | instskip(NEXT) | instid1(VALU_DEP_1)
	v_and_b32_e32 v5, 0x7fffffff, v1
	v_cmpx_gt_u32_e32 0x47800000, v5
	s_cbranch_execz .LBB191_448
; %bb.443:
	v_cmp_lt_u32_e32 vcc_lo, 0x37ffffff, v5
	s_mov_b32 s49, 0
                                        ; implicit-def: $vgpr5
	s_and_saveexec_b32 s50, vcc_lo
	s_delay_alu instid0(SALU_CYCLE_1)
	s_xor_b32 s50, exec_lo, s50
	s_cbranch_execz .LBB191_812
; %bb.444:
	v_bfe_u32 v5, v1, 21, 1
	s_mov_b32 s49, exec_lo
	s_delay_alu instid0(VALU_DEP_1) | instskip(NEXT) | instid1(VALU_DEP_1)
	v_add3_u32 v5, v1, v5, 0x88fffff
	v_lshrrev_b32_e32 v5, 21, v5
	s_and_not1_saveexec_b32 s50, s50
	s_cbranch_execnz .LBB191_813
.LBB191_445:
	s_or_b32 exec_lo, exec_lo, s50
	v_mov_b32_e32 v6, 0
	s_and_saveexec_b32 s50, s49
.LBB191_446:
	v_lshrrev_b32_e32 v1, 24, v1
	s_delay_alu instid0(VALU_DEP_1)
	v_and_or_b32 v6, 0x80, v1, v5
.LBB191_447:
	s_or_b32 exec_lo, exec_lo, s50
.LBB191_448:
	s_delay_alu instid0(SALU_CYCLE_1)
	s_or_b32 exec_lo, exec_lo, s48
	s_mov_b32 s48, 0
	global_store_b8 v[2:3], v6, off
.LBB191_449:
	s_and_b32 vcc_lo, exec_lo, s48
	s_cbranch_vccz .LBB191_459
; %bb.450:
	s_wait_xcnt 0x0
	v_cvt_f32_f16_e32 v1, v4
	s_mov_b32 s48, exec_lo
                                        ; implicit-def: $vgpr5
	s_delay_alu instid0(VALU_DEP_1) | instskip(NEXT) | instid1(VALU_DEP_1)
	v_and_b32_e32 v6, 0x7fffffff, v1
	v_cmpx_gt_u32_e32 0x43f00000, v6
	s_xor_b32 s48, exec_lo, s48
	s_cbranch_execz .LBB191_456
; %bb.451:
	s_mov_b32 s49, exec_lo
                                        ; implicit-def: $vgpr5
	v_cmpx_lt_u32_e32 0x3c7fffff, v6
	s_xor_b32 s49, exec_lo, s49
; %bb.452:
	v_bfe_u32 v5, v1, 20, 1
	s_delay_alu instid0(VALU_DEP_1) | instskip(NEXT) | instid1(VALU_DEP_1)
	v_add3_u32 v5, v1, v5, 0x407ffff
	v_and_b32_e32 v6, 0xff00000, v5
	v_lshrrev_b32_e32 v5, 20, v5
	s_delay_alu instid0(VALU_DEP_2) | instskip(NEXT) | instid1(VALU_DEP_2)
	v_cmp_ne_u32_e32 vcc_lo, 0x7f00000, v6
	v_cndmask_b32_e32 v5, 0x7e, v5, vcc_lo
; %bb.453:
	s_and_not1_saveexec_b32 s49, s49
; %bb.454:
	v_add_f32_e64 v5, 0x46800000, |v1|
; %bb.455:
	s_or_b32 exec_lo, exec_lo, s49
                                        ; implicit-def: $vgpr6
.LBB191_456:
	s_and_not1_saveexec_b32 s48, s48
; %bb.457:
	v_mov_b32_e32 v5, 0x7f
	v_cmp_lt_u32_e32 vcc_lo, 0x7f800000, v6
	s_delay_alu instid0(VALU_DEP_2)
	v_cndmask_b32_e32 v5, 0x7e, v5, vcc_lo
; %bb.458:
	s_or_b32 exec_lo, exec_lo, s48
	v_lshrrev_b32_e32 v1, 24, v1
	s_delay_alu instid0(VALU_DEP_1)
	v_and_or_b32 v1, 0x80, v1, v5
	global_store_b8 v[2:3], v1, off
.LBB191_459:
	s_mov_b32 s48, 0
.LBB191_460:
	s_delay_alu instid0(SALU_CYCLE_1)
	s_and_not1_b32 vcc_lo, exec_lo, s48
	s_cbranch_vccnz .LBB191_470
; %bb.461:
	s_wait_xcnt 0x0
	v_cvt_f32_f16_e32 v1, v4
	s_mov_b32 s48, exec_lo
                                        ; implicit-def: $vgpr5
	s_delay_alu instid0(VALU_DEP_1) | instskip(NEXT) | instid1(VALU_DEP_1)
	v_and_b32_e32 v6, 0x7fffffff, v1
	v_cmpx_gt_u32_e32 0x47800000, v6
	s_xor_b32 s48, exec_lo, s48
	s_cbranch_execz .LBB191_467
; %bb.462:
	s_mov_b32 s49, exec_lo
                                        ; implicit-def: $vgpr5
	v_cmpx_lt_u32_e32 0x387fffff, v6
	s_xor_b32 s49, exec_lo, s49
; %bb.463:
	v_bfe_u32 v5, v1, 21, 1
	s_delay_alu instid0(VALU_DEP_1) | instskip(NEXT) | instid1(VALU_DEP_1)
	v_add3_u32 v5, v1, v5, 0x80fffff
	v_lshrrev_b32_e32 v5, 21, v5
; %bb.464:
	s_and_not1_saveexec_b32 s49, s49
; %bb.465:
	v_add_f32_e64 v5, 0x43000000, |v1|
; %bb.466:
	s_or_b32 exec_lo, exec_lo, s49
                                        ; implicit-def: $vgpr6
.LBB191_467:
	s_and_not1_saveexec_b32 s48, s48
; %bb.468:
	v_mov_b32_e32 v5, 0x7f
	v_cmp_lt_u32_e32 vcc_lo, 0x7f800000, v6
	s_delay_alu instid0(VALU_DEP_2)
	v_cndmask_b32_e32 v5, 0x7c, v5, vcc_lo
; %bb.469:
	s_or_b32 exec_lo, exec_lo, s48
	v_lshrrev_b32_e32 v1, 24, v1
	s_delay_alu instid0(VALU_DEP_1)
	v_and_or_b32 v1, 0x80, v1, v5
	global_store_b8 v[2:3], v1, off
.LBB191_470:
	s_mov_b32 s49, 0
	s_mov_b32 s48, -1
.LBB191_471:
	s_and_not1_b32 vcc_lo, exec_lo, s49
	s_cbranch_vccnz .LBB191_479
; %bb.472:
	s_cmp_gt_i32 s44, 14
	s_mov_b32 s49, -1
	s_cbranch_scc0 .LBB191_476
; %bb.473:
	s_cmp_eq_u32 s44, 15
	s_mov_b32 s0, -1
	s_cbranch_scc0 .LBB191_475
; %bb.474:
	s_wait_xcnt 0x0
	v_cvt_f32_f16_e32 v1, v4
	v_cmp_o_f16_e32 vcc_lo, v4, v4
	s_mov_b32 s48, -1
	s_mov_b32 s0, 0
	s_delay_alu instid0(VALU_DEP_2) | instskip(NEXT) | instid1(VALU_DEP_1)
	v_bfe_u32 v5, v1, 16, 1
	v_add3_u32 v1, v1, v5, 0x7fff
	s_delay_alu instid0(VALU_DEP_1) | instskip(NEXT) | instid1(VALU_DEP_1)
	v_lshrrev_b32_e32 v1, 16, v1
	v_cndmask_b32_e32 v1, 0x7fc0, v1, vcc_lo
	global_store_b16 v[2:3], v1, off
.LBB191_475:
	s_mov_b32 s49, 0
.LBB191_476:
	s_delay_alu instid0(SALU_CYCLE_1)
	s_and_b32 vcc_lo, exec_lo, s49
	s_cbranch_vccz .LBB191_479
; %bb.477:
	s_cmp_eq_u32 s44, 11
	s_mov_b32 s0, -1
	s_cbranch_scc0 .LBB191_479
; %bb.478:
	v_cmp_neq_f16_e32 vcc_lo, 0, v4
	s_mov_b32 s0, 0
	s_mov_b32 s48, -1
	s_wait_xcnt 0x0
	v_cndmask_b32_e64 v1, 0, 1, vcc_lo
	global_store_b8 v[2:3], v1, off
.LBB191_479:
	s_mov_b32 s44, 0
.LBB191_480:
	s_delay_alu instid0(SALU_CYCLE_1)
	s_and_b32 vcc_lo, exec_lo, s44
	s_cbranch_vccz .LBB191_519
; %bb.481:
	s_and_b32 s35, 0xffff, s35
	s_mov_b32 s44, -1
	s_cmp_lt_i32 s35, 5
	s_cbranch_scc1 .LBB191_502
; %bb.482:
	s_cmp_lt_i32 s35, 8
	s_cbranch_scc1 .LBB191_492
; %bb.483:
	;; [unrolled: 3-line block ×3, first 2 shown]
	s_cmp_gt_i32 s35, 9
	s_cbranch_scc0 .LBB191_486
; %bb.485:
	s_wait_xcnt 0x0
	v_cvt_f32_f16_e32 v1, v4
	v_mov_b32_e32 v8, 0
	s_mov_b32 s44, 0
	s_delay_alu instid0(VALU_DEP_2) | instskip(NEXT) | instid1(VALU_DEP_2)
	v_cvt_f64_f32_e32 v[6:7], v1
	v_mov_b32_e32 v9, v8
	global_store_b128 v[2:3], v[6:9], off
.LBB191_486:
	s_and_not1_b32 vcc_lo, exec_lo, s44
	s_cbranch_vccnz .LBB191_488
; %bb.487:
	s_wait_xcnt 0x0
	v_cvt_f32_f16_e32 v6, v4
	v_mov_b32_e32 v7, 0
	global_store_b64 v[2:3], v[6:7], off
.LBB191_488:
	s_mov_b32 s44, 0
.LBB191_489:
	s_delay_alu instid0(SALU_CYCLE_1)
	s_and_not1_b32 vcc_lo, exec_lo, s44
	s_cbranch_vccnz .LBB191_491
; %bb.490:
	s_wait_xcnt 0x0
	v_and_b32_e32 v1, 0xffff, v4
	global_store_b32 v[2:3], v1, off
.LBB191_491:
	s_mov_b32 s44, 0
.LBB191_492:
	s_delay_alu instid0(SALU_CYCLE_1)
	s_and_not1_b32 vcc_lo, exec_lo, s44
	s_cbranch_vccnz .LBB191_501
; %bb.493:
	s_cmp_lt_i32 s35, 6
	s_mov_b32 s44, -1
	s_cbranch_scc1 .LBB191_499
; %bb.494:
	s_cmp_gt_i32 s35, 6
	s_cbranch_scc0 .LBB191_496
; %bb.495:
	s_wait_xcnt 0x0
	v_cvt_f32_f16_e32 v1, v4
	s_mov_b32 s44, 0
	s_delay_alu instid0(VALU_DEP_1)
	v_cvt_f64_f32_e32 v[6:7], v1
	global_store_b64 v[2:3], v[6:7], off
.LBB191_496:
	s_and_not1_b32 vcc_lo, exec_lo, s44
	s_cbranch_vccnz .LBB191_498
; %bb.497:
	s_wait_xcnt 0x0
	v_cvt_f32_f16_e32 v1, v4
	global_store_b32 v[2:3], v1, off
.LBB191_498:
	s_mov_b32 s44, 0
.LBB191_499:
	s_delay_alu instid0(SALU_CYCLE_1)
	s_and_not1_b32 vcc_lo, exec_lo, s44
	s_cbranch_vccnz .LBB191_501
; %bb.500:
	global_store_b16 v[2:3], v4, off
.LBB191_501:
	s_mov_b32 s44, 0
.LBB191_502:
	s_delay_alu instid0(SALU_CYCLE_1)
	s_and_not1_b32 vcc_lo, exec_lo, s44
	s_cbranch_vccnz .LBB191_518
; %bb.503:
	s_cmp_lt_i32 s35, 2
	s_mov_b32 s44, -1
	s_cbranch_scc1 .LBB191_513
; %bb.504:
	s_cmp_lt_i32 s35, 3
	s_cbranch_scc1 .LBB191_510
; %bb.505:
	s_cmp_gt_i32 s35, 3
	s_cbranch_scc0 .LBB191_507
; %bb.506:
	s_wait_xcnt 0x0
	v_cvt_f32_f16_e32 v1, v4
	s_mov_b32 s44, 0
	s_delay_alu instid0(VALU_DEP_1) | instskip(NEXT) | instid1(VALU_DEP_1)
	v_cvt_i32_f32_e32 v6, v1
	v_ashrrev_i32_e32 v7, 31, v6
	global_store_b64 v[2:3], v[6:7], off
.LBB191_507:
	s_and_not1_b32 vcc_lo, exec_lo, s44
	s_cbranch_vccnz .LBB191_509
; %bb.508:
	s_wait_xcnt 0x0
	v_cvt_f32_f16_e32 v1, v4
	s_delay_alu instid0(VALU_DEP_1)
	v_cvt_i32_f32_e32 v1, v1
	global_store_b32 v[2:3], v1, off
.LBB191_509:
	s_mov_b32 s44, 0
.LBB191_510:
	s_delay_alu instid0(SALU_CYCLE_1)
	s_and_not1_b32 vcc_lo, exec_lo, s44
	s_cbranch_vccnz .LBB191_512
; %bb.511:
	s_wait_xcnt 0x0
	v_cvt_i16_f16_e32 v1, v4
	global_store_b16 v[2:3], v1, off
.LBB191_512:
	s_mov_b32 s44, 0
.LBB191_513:
	s_delay_alu instid0(SALU_CYCLE_1)
	s_and_not1_b32 vcc_lo, exec_lo, s44
	s_cbranch_vccnz .LBB191_518
; %bb.514:
	s_cmp_gt_i32 s35, 0
	s_mov_b32 s35, -1
	s_cbranch_scc0 .LBB191_516
; %bb.515:
	s_wait_xcnt 0x0
	v_cvt_i16_f16_e32 v1, v4
	s_mov_b32 s35, 0
	global_store_b8 v[2:3], v1, off
.LBB191_516:
	s_and_not1_b32 vcc_lo, exec_lo, s35
	s_cbranch_vccnz .LBB191_518
; %bb.517:
	s_wait_xcnt 0x0
	v_cvt_f32_f16_e32 v1, v4
	s_delay_alu instid0(VALU_DEP_1)
	v_cvt_i32_f32_e32 v1, v1
	global_store_b8 v[2:3], v1, off
.LBB191_518:
	s_mov_b32 s48, -1
.LBB191_519:
	s_delay_alu instid0(SALU_CYCLE_1)
	s_and_not1_b32 vcc_lo, exec_lo, s48
	s_cbranch_vccnz .LBB191_521
; %bb.520:
	v_add_nc_u32_e32 v0, 0x80, v0
	s_mov_b32 s35, -1
	s_branch .LBB191_522
.LBB191_521:
	s_mov_b32 s35, 0
                                        ; implicit-def: $vgpr0
.LBB191_522:
	s_and_b32 s44, s0, exec_lo
	s_and_b32 s48, s34, exec_lo
	;; [unrolled: 1-line block ×4, first 2 shown]
	s_or_not1_b32 s31, s35, exec_lo
.LBB191_523:
	s_wait_xcnt 0x0
	s_or_b32 exec_lo, exec_lo, s51
	s_mov_b32 s34, 0
	s_mov_b32 s30, 0
                                        ; implicit-def: $sgpr0
                                        ; implicit-def: $vgpr8_vgpr9
                                        ; implicit-def: $vgpr2
                                        ; implicit-def: $vgpr4
                                        ; implicit-def: $vgpr6
                                        ; implicit-def: $vgpr10
	s_and_saveexec_b32 s51, s31
	s_cbranch_execz .LBB191_531
; %bb.524:
	s_mov_b32 s35, -1
	s_mov_b32 s52, s50
	s_mov_b32 s55, s49
	s_mov_b32 s54, s48
	s_mov_b32 s53, s44
	s_mov_b32 s56, exec_lo
	v_cmpx_gt_i32_e64 s46, v0
	s_cbranch_execz .LBB191_1057
; %bb.525:
	s_and_not1_b32 vcc_lo, exec_lo, s38
	s_cbranch_vccnz .LBB191_534
; %bb.526:
	s_and_not1_b32 vcc_lo, exec_lo, s47
	s_cbranch_vccnz .LBB191_535
; %bb.527:
	s_wait_loadcnt 0x0
	v_dual_mov_b32 v6, 0 :: v_dual_mov_b32 v1, v0
	v_dual_mov_b32 v4, 0 :: v_dual_mov_b32 v2, 0
	v_mov_b32_e32 v8, 0
	s_add_co_i32 s0, s45, 1
	s_mov_b64 s[30:31], 0xffffffffffffffe0
	s_and_b32 s0, s0, 30
	s_add_nc_u64 s[30:31], s[2:3], s[30:31]
	s_mov_b64 s[34:35], s[2:3]
.LBB191_528:                            ; =>This Inner Loop Header: Depth=1
	s_clause 0x1
	s_load_b128 s[52:55], s[34:35], 0x4
	s_load_b64 s[58:59], s[34:35], 0x14
	s_load_b256 s[60:67], s[30:31], 0xe4
	s_add_co_i32 s0, s0, -2
	s_wait_xcnt 0x0
	s_add_nc_u64 s[34:35], s[34:35], 24
	s_cmp_eq_u32 s0, 0
	s_add_nc_u64 s[30:31], s[30:31], 32
	s_wait_kmcnt 0x0
	v_mul_hi_u32 v3, s53, v1
	s_delay_alu instid0(VALU_DEP_1) | instskip(NEXT) | instid1(VALU_DEP_1)
	v_add_nc_u32_e32 v3, v1, v3
	v_lshrrev_b32_e32 v3, s54, v3
	s_delay_alu instid0(VALU_DEP_1) | instskip(SKIP_1) | instid1(VALU_DEP_1)
	v_mul_hi_u32 v5, s58, v3
	v_mul_lo_u32 v7, v3, s52
	v_dual_add_nc_u32 v5, v3, v5 :: v_dual_sub_nc_u32 v7, v1, v7
	s_delay_alu instid0(VALU_DEP_1) | instskip(NEXT) | instid1(VALU_DEP_2)
	v_lshrrev_b32_e32 v1, s59, v5
	v_mad_u32 v8, v7, s61, v8
	v_mad_u32 v2, v7, s60, v2
	;; [unrolled: 1-line block ×4, first 2 shown]
	v_mul_lo_u32 v5, v1, s55
	s_delay_alu instid0(VALU_DEP_1) | instskip(NEXT) | instid1(VALU_DEP_1)
	v_sub_nc_u32_e32 v3, v3, v5
	v_mad_u32 v8, v3, s65, v8
	v_mad_u32 v2, v3, s64, v2
	;; [unrolled: 1-line block ×4, first 2 shown]
	s_cbranch_scc0 .LBB191_528
; %bb.529:
	s_bitcmp1_b32 s45, 0
	s_cselect_b32 s0, -1, 0
	s_delay_alu instid0(SALU_CYCLE_1)
	s_and_b32 vcc_lo, exec_lo, s0
	s_cbranch_vccnz .LBB191_536
; %bb.530:
	s_load_b96 s[60:62], s[34:35], 0x4
	s_load_b128 s[52:55], s[30:31], 0xe4
	s_wait_kmcnt 0x0
	v_mul_hi_u32 v3, s61, v1
	s_delay_alu instid0(VALU_DEP_1) | instskip(NEXT) | instid1(VALU_DEP_1)
	v_add_nc_u32_e32 v3, v1, v3
	v_lshrrev_b32_e32 v3, s62, v3
	s_delay_alu instid0(VALU_DEP_1) | instskip(NEXT) | instid1(VALU_DEP_1)
	v_mul_lo_u32 v3, v3, s60
	v_sub_nc_u32_e32 v1, v1, v3
	s_delay_alu instid0(VALU_DEP_1)
	v_mad_u32 v2, v1, s52, v2
	v_mad_u32 v8, v1, s53, v8
	;; [unrolled: 1-line block ×4, first 2 shown]
	s_branch .LBB191_536
.LBB191_531:
	s_or_b32 exec_lo, exec_lo, s51
	s_mov_b32 s1, 0
	s_and_saveexec_b32 s6, s50
	s_cbranch_execnz .LBB191_1685
.LBB191_532:
	s_or_b32 exec_lo, exec_lo, s6
	s_and_saveexec_b32 s6, s27
	s_delay_alu instid0(SALU_CYCLE_1)
	s_xor_b32 s6, exec_lo, s6
	s_cbranch_execz .LBB191_1686
.LBB191_533:
	global_load_u8 v0, v[8:9], off
	s_or_b32 s30, s30, exec_lo
	s_wait_loadcnt 0x0
	v_cmp_ne_u16_e32 vcc_lo, 0, v0
	v_cndmask_b32_e64 v10, 0, 0x3c00, vcc_lo
	s_wait_xcnt 0x0
	s_or_b32 exec_lo, exec_lo, s6
	s_and_saveexec_b32 s6, s34
	s_cbranch_execz .LBB191_1732
	s_branch .LBB191_1687
.LBB191_534:
                                        ; implicit-def: $vgpr8
                                        ; implicit-def: $vgpr2
                                        ; implicit-def: $vgpr4
                                        ; implicit-def: $vgpr6
	s_branch .LBB191_537
.LBB191_535:
	v_dual_mov_b32 v8, 0 :: v_dual_mov_b32 v2, 0
	s_wait_loadcnt 0x0
	v_dual_mov_b32 v4, 0 :: v_dual_mov_b32 v6, 0
.LBB191_536:
	s_cbranch_execnz .LBB191_539
.LBB191_537:
	s_wait_loadcnt 0x0
	v_mov_b32_e32 v1, 0
	s_and_not1_b32 vcc_lo, exec_lo, s43
	s_delay_alu instid0(VALU_DEP_1) | instskip(NEXT) | instid1(VALU_DEP_1)
	v_mul_u64_e32 v[2:3], s[26:27], v[0:1]
	v_add_nc_u32_e32 v2, v0, v3
	s_delay_alu instid0(VALU_DEP_1) | instskip(NEXT) | instid1(VALU_DEP_1)
	v_lshrrev_b32_e32 v10, s22, v2
	v_mul_lo_u32 v2, v10, s20
	s_delay_alu instid0(VALU_DEP_1) | instskip(NEXT) | instid1(VALU_DEP_1)
	v_sub_nc_u32_e32 v3, v0, v2
	v_mul_lo_u32 v8, v3, s13
	v_mul_lo_u32 v2, v3, s12
	;; [unrolled: 1-line block ×4, first 2 shown]
	s_cbranch_vccnz .LBB191_539
; %bb.538:
	v_mov_b32_e32 v11, v1
	s_delay_alu instid0(VALU_DEP_1) | instskip(NEXT) | instid1(VALU_DEP_1)
	v_mul_u64_e32 v[12:13], s[28:29], v[10:11]
	v_add_nc_u32_e32 v1, v10, v13
	s_delay_alu instid0(VALU_DEP_1) | instskip(NEXT) | instid1(VALU_DEP_1)
	v_lshrrev_b32_e32 v1, s1, v1
	v_mul_lo_u32 v1, v1, s23
	s_delay_alu instid0(VALU_DEP_1) | instskip(NEXT) | instid1(VALU_DEP_1)
	v_sub_nc_u32_e32 v1, v10, v1
	v_mad_u32 v2, v1, s16, v2
	v_mad_u32 v8, v1, s17, v8
	;; [unrolled: 1-line block ×4, first 2 shown]
.LBB191_539:
	v_mov_b32_e32 v9, 0
	s_and_b32 s0, s42, 0xff
	s_delay_alu instid0(SALU_CYCLE_1) | instskip(NEXT) | instid1(VALU_DEP_1)
	s_cmp_lt_i32 s0, 11
	v_add_nc_u64_e32 v[8:9], s[6:7], v[8:9]
	s_cbranch_scc1 .LBB191_546
; %bb.540:
	s_and_b32 s31, 0xffff, s0
	s_delay_alu instid0(SALU_CYCLE_1)
	s_cmp_gt_i32 s31, 25
	s_cbranch_scc0 .LBB191_555
; %bb.541:
	s_cmp_gt_i32 s31, 28
	s_cbranch_scc0 .LBB191_557
; %bb.542:
	;; [unrolled: 3-line block ×4, first 2 shown]
	s_cmp_eq_u32 s31, 46
	s_mov_b32 s35, 0
	s_cbranch_scc0 .LBB191_563
; %bb.545:
	s_wait_loadcnt 0x0
	global_load_b32 v1, v[8:9], off
	s_mov_b32 s34, -1
	s_mov_b32 s30, 0
	s_wait_loadcnt 0x0
	v_lshlrev_b32_e32 v1, 16, v1
	s_delay_alu instid0(VALU_DEP_1)
	v_cvt_f16_f32_e32 v1, v1
	s_branch .LBB191_565
.LBB191_546:
	s_mov_b32 s34, 0
	s_mov_b32 s30, s50
                                        ; implicit-def: $vgpr1
	s_cbranch_execnz .LBB191_631
.LBB191_547:
	s_and_not1_b32 vcc_lo, exec_lo, s34
	s_cbranch_vccnz .LBB191_679
.LBB191_548:
	v_mov_b32_e32 v7, 0
	s_and_b32 s0, s41, 0xff
	s_delay_alu instid0(SALU_CYCLE_1) | instskip(SKIP_1) | instid1(VALU_DEP_1)
	s_cmp_lt_i32 s0, 11
	s_wait_loadcnt 0x0
	v_add_nc_u64_e32 v[6:7], s[8:9], v[6:7]
	s_cbranch_scc1 .LBB191_556
; %bb.549:
	s_and_b32 s34, 0xffff, s0
	s_delay_alu instid0(SALU_CYCLE_1)
	s_cmp_gt_i32 s34, 25
	s_cbranch_scc0 .LBB191_558
; %bb.550:
	s_cmp_gt_i32 s34, 28
	s_cbranch_scc0 .LBB191_560
; %bb.551:
	s_cmp_gt_i32 s34, 43
	s_cbranch_scc0 .LBB191_562
; %bb.552:
	s_cmp_gt_i32 s34, 45
	s_cbranch_scc0 .LBB191_568
; %bb.553:
	s_cmp_eq_u32 s34, 46
	s_mov_b32 s52, 0
	s_cbranch_scc0 .LBB191_682
; %bb.554:
	global_load_b32 v3, v[6:7], off
	s_mov_b32 s35, -1
	s_mov_b32 s31, 0
	s_wait_loadcnt 0x0
	v_lshlrev_b32_e32 v3, 16, v3
	s_delay_alu instid0(VALU_DEP_1)
	v_cvt_f16_f32_e32 v3, v3
	s_branch .LBB191_684
.LBB191_555:
	s_mov_b32 s35, -1
	s_mov_b32 s34, 0
	s_mov_b32 s30, s50
                                        ; implicit-def: $vgpr1
	s_branch .LBB191_595
.LBB191_556:
	s_mov_b32 s34, -1
	s_mov_b32 s35, 0
	s_mov_b32 s31, s49
                                        ; implicit-def: $vgpr3
	s_branch .LBB191_749
.LBB191_557:
	s_mov_b32 s35, -1
	s_mov_b32 s34, 0
	s_mov_b32 s30, s50
                                        ; implicit-def: $vgpr1
	s_branch .LBB191_576
.LBB191_558:
	s_mov_b32 s52, -1
	s_mov_b32 s35, 0
	s_mov_b32 s31, s49
                                        ; implicit-def: $vgpr3
	s_branch .LBB191_713
.LBB191_559:
	s_mov_b32 s35, -1
	s_mov_b32 s34, 0
	s_mov_b32 s30, s50
                                        ; implicit-def: $vgpr1
	s_branch .LBB191_571
.LBB191_560:
	s_mov_b32 s52, -1
	s_mov_b32 s35, 0
	s_mov_b32 s31, s49
                                        ; implicit-def: $vgpr3
	s_branch .LBB191_694
.LBB191_561:
	s_mov_b32 s35, -1
	s_mov_b32 s34, 0
	s_mov_b32 s30, s50
	s_branch .LBB191_564
.LBB191_562:
	s_mov_b32 s52, -1
	s_mov_b32 s35, 0
	s_mov_b32 s31, s49
                                        ; implicit-def: $vgpr3
	s_branch .LBB191_689
.LBB191_563:
	s_mov_b32 s30, -1
	s_mov_b32 s34, 0
.LBB191_564:
                                        ; implicit-def: $vgpr1
.LBB191_565:
	s_and_b32 vcc_lo, exec_lo, s35
	s_cbranch_vccz .LBB191_570
; %bb.566:
	s_cmp_eq_u32 s31, 44
	s_cbranch_scc0 .LBB191_569
; %bb.567:
	s_wait_loadcnt 0x0
	global_load_u8 v1, v[8:9], off
	s_mov_b32 s30, 0
	s_mov_b32 s34, -1
	s_wait_loadcnt 0x0
	v_lshlrev_b32_e32 v3, 23, v1
	v_cmp_ne_u32_e32 vcc_lo, 0xff, v1
	s_delay_alu instid0(VALU_DEP_2) | instskip(NEXT) | instid1(VALU_DEP_1)
	v_cvt_f16_f32_e32 v3, v3
	v_cndmask_b32_e32 v3, 0x7e00, v3, vcc_lo
	v_cmp_ne_u32_e32 vcc_lo, 0, v1
	s_delay_alu instid0(VALU_DEP_2)
	v_cndmask_b32_e32 v1, 0, v3, vcc_lo
	s_branch .LBB191_570
.LBB191_568:
	s_mov_b32 s52, -1
	s_mov_b32 s35, 0
	s_mov_b32 s31, s49
	s_branch .LBB191_683
.LBB191_569:
	s_mov_b32 s30, -1
                                        ; implicit-def: $vgpr1
.LBB191_570:
	s_mov_b32 s35, 0
.LBB191_571:
	s_delay_alu instid0(SALU_CYCLE_1)
	s_and_b32 vcc_lo, exec_lo, s35
	s_cbranch_vccz .LBB191_575
; %bb.572:
	s_cmp_eq_u32 s31, 29
	s_cbranch_scc0 .LBB191_574
; %bb.573:
	global_load_b64 v[10:11], v[8:9], off
	s_mov_b32 s34, -1
	s_mov_b32 s30, 0
	s_mov_b32 s35, 0
	s_wait_loadcnt 0x0
	v_clz_i32_u32_e32 v1, v11
	s_delay_alu instid0(VALU_DEP_1) | instskip(NEXT) | instid1(VALU_DEP_1)
	v_min_u32_e32 v1, 32, v1
	v_lshlrev_b64_e32 v[10:11], v1, v[10:11]
	v_sub_nc_u32_e32 v1, 32, v1
	s_delay_alu instid0(VALU_DEP_2) | instskip(NEXT) | instid1(VALU_DEP_1)
	v_min_u32_e32 v3, 1, v10
	v_or_b32_e32 v3, v11, v3
	s_delay_alu instid0(VALU_DEP_1) | instskip(NEXT) | instid1(VALU_DEP_1)
	v_cvt_f32_u32_e32 v3, v3
	v_ldexp_f32 v1, v3, v1
	s_delay_alu instid0(VALU_DEP_1)
	v_cvt_f16_f32_e32 v1, v1
	s_branch .LBB191_576
.LBB191_574:
	s_mov_b32 s30, -1
                                        ; implicit-def: $vgpr1
.LBB191_575:
	s_mov_b32 s35, 0
.LBB191_576:
	s_delay_alu instid0(SALU_CYCLE_1)
	s_and_b32 vcc_lo, exec_lo, s35
	s_cbranch_vccz .LBB191_594
; %bb.577:
	s_cmp_lt_i32 s31, 27
	s_cbranch_scc1 .LBB191_580
; %bb.578:
	s_cmp_gt_i32 s31, 27
	s_cbranch_scc0 .LBB191_581
; %bb.579:
	s_wait_loadcnt 0x0
	global_load_b32 v1, v[8:9], off
	s_mov_b32 s34, 0
	s_wait_loadcnt 0x0
	v_cvt_f32_u32_e32 v1, v1
	s_delay_alu instid0(VALU_DEP_1)
	v_cvt_f16_f32_e32 v1, v1
	s_branch .LBB191_582
.LBB191_580:
	s_mov_b32 s34, -1
                                        ; implicit-def: $vgpr1
	s_branch .LBB191_585
.LBB191_581:
	s_mov_b32 s34, -1
                                        ; implicit-def: $vgpr1
.LBB191_582:
	s_delay_alu instid0(SALU_CYCLE_1)
	s_and_not1_b32 vcc_lo, exec_lo, s34
	s_cbranch_vccnz .LBB191_584
; %bb.583:
	s_wait_loadcnt 0x0
	global_load_u16 v1, v[8:9], off
	s_wait_loadcnt 0x0
	v_cvt_f16_u16_e32 v1, v1
.LBB191_584:
	s_mov_b32 s34, 0
.LBB191_585:
	s_delay_alu instid0(SALU_CYCLE_1)
	s_and_not1_b32 vcc_lo, exec_lo, s34
	s_cbranch_vccnz .LBB191_593
; %bb.586:
	s_wait_loadcnt 0x0
	global_load_u8 v3, v[8:9], off
	s_mov_b32 s34, 0
	s_mov_b32 s35, exec_lo
	s_wait_loadcnt 0x0
	v_cmpx_lt_i16_e32 0x7f, v3
	s_xor_b32 s35, exec_lo, s35
	s_cbranch_execz .LBB191_607
; %bb.587:
	s_mov_b32 s34, -1
	s_mov_b32 s52, exec_lo
	v_cmpx_eq_u16_e32 0x80, v3
; %bb.588:
	s_xor_b32 s34, exec_lo, -1
; %bb.589:
	s_or_b32 exec_lo, exec_lo, s52
	s_delay_alu instid0(SALU_CYCLE_1)
	s_and_b32 s34, s34, exec_lo
	s_or_saveexec_b32 s35, s35
	v_mov_b32_e32 v1, 0x7e00
	s_xor_b32 exec_lo, exec_lo, s35
	s_cbranch_execnz .LBB191_608
.LBB191_590:
	s_or_b32 exec_lo, exec_lo, s35
	s_and_saveexec_b32 s35, s34
	s_cbranch_execz .LBB191_592
.LBB191_591:
	v_and_b32_e32 v1, 0xffff, v3
	s_delay_alu instid0(VALU_DEP_1) | instskip(SKIP_1) | instid1(VALU_DEP_2)
	v_and_b32_e32 v5, 7, v1
	v_bfe_u32 v11, v1, 3, 4
	v_clz_i32_u32_e32 v7, v5
	s_delay_alu instid0(VALU_DEP_2) | instskip(NEXT) | instid1(VALU_DEP_2)
	v_cmp_eq_u32_e32 vcc_lo, 0, v11
	v_min_u32_e32 v7, 32, v7
	s_delay_alu instid0(VALU_DEP_1) | instskip(NEXT) | instid1(VALU_DEP_1)
	v_subrev_nc_u32_e32 v10, 28, v7
	v_dual_lshlrev_b32 v1, v10, v1 :: v_dual_sub_nc_u32 v7, 29, v7
	s_delay_alu instid0(VALU_DEP_1) | instskip(NEXT) | instid1(VALU_DEP_1)
	v_dual_lshlrev_b32 v3, 24, v3 :: v_dual_bitop2_b32 v1, 7, v1 bitop3:0x40
	v_dual_cndmask_b32 v1, v5, v1, vcc_lo :: v_dual_cndmask_b32 v7, v11, v7, vcc_lo
	s_delay_alu instid0(VALU_DEP_2) | instskip(NEXT) | instid1(VALU_DEP_2)
	v_and_b32_e32 v3, 0x80000000, v3
	v_lshlrev_b32_e32 v1, 20, v1
	s_delay_alu instid0(VALU_DEP_3) | instskip(NEXT) | instid1(VALU_DEP_1)
	v_lshl_add_u32 v5, v7, 23, 0x3b800000
	v_or3_b32 v1, v3, v5, v1
	s_delay_alu instid0(VALU_DEP_1)
	v_cvt_f16_f32_e32 v1, v1
.LBB191_592:
	s_or_b32 exec_lo, exec_lo, s35
.LBB191_593:
	s_mov_b32 s34, -1
.LBB191_594:
	s_mov_b32 s35, 0
.LBB191_595:
	s_delay_alu instid0(SALU_CYCLE_1)
	s_and_b32 vcc_lo, exec_lo, s35
	s_cbranch_vccz .LBB191_630
; %bb.596:
	s_cmp_gt_i32 s31, 22
	s_cbranch_scc0 .LBB191_606
; %bb.597:
	s_cmp_lt_i32 s31, 24
	s_cbranch_scc1 .LBB191_609
; %bb.598:
	s_cmp_gt_i32 s31, 24
	s_cbranch_scc0 .LBB191_610
; %bb.599:
	s_wait_loadcnt 0x0
	global_load_u8 v3, v[8:9], off
	s_mov_b32 s34, 0
	s_mov_b32 s35, exec_lo
	s_wait_loadcnt 0x0
	v_cmpx_lt_i16_e32 0x7f, v3
	s_xor_b32 s35, exec_lo, s35
	s_cbranch_execz .LBB191_622
; %bb.600:
	s_mov_b32 s34, -1
	s_mov_b32 s52, exec_lo
	v_cmpx_eq_u16_e32 0x80, v3
; %bb.601:
	s_xor_b32 s34, exec_lo, -1
; %bb.602:
	s_or_b32 exec_lo, exec_lo, s52
	s_delay_alu instid0(SALU_CYCLE_1)
	s_and_b32 s34, s34, exec_lo
	s_or_saveexec_b32 s35, s35
	v_mov_b32_e32 v1, 0x7e00
	s_xor_b32 exec_lo, exec_lo, s35
	s_cbranch_execnz .LBB191_623
.LBB191_603:
	s_or_b32 exec_lo, exec_lo, s35
	s_and_saveexec_b32 s35, s34
	s_cbranch_execz .LBB191_605
.LBB191_604:
	v_and_b32_e32 v1, 0xffff, v3
	s_delay_alu instid0(VALU_DEP_1) | instskip(SKIP_1) | instid1(VALU_DEP_2)
	v_and_b32_e32 v5, 3, v1
	v_bfe_u32 v11, v1, 2, 5
	v_clz_i32_u32_e32 v7, v5
	s_delay_alu instid0(VALU_DEP_2) | instskip(NEXT) | instid1(VALU_DEP_2)
	v_cmp_eq_u32_e32 vcc_lo, 0, v11
	v_min_u32_e32 v7, 32, v7
	s_delay_alu instid0(VALU_DEP_1) | instskip(NEXT) | instid1(VALU_DEP_1)
	v_subrev_nc_u32_e32 v10, 29, v7
	v_dual_lshlrev_b32 v1, v10, v1 :: v_dual_sub_nc_u32 v7, 30, v7
	s_delay_alu instid0(VALU_DEP_1) | instskip(NEXT) | instid1(VALU_DEP_1)
	v_dual_lshlrev_b32 v3, 24, v3 :: v_dual_bitop2_b32 v1, 3, v1 bitop3:0x40
	v_dual_cndmask_b32 v1, v5, v1, vcc_lo :: v_dual_cndmask_b32 v7, v11, v7, vcc_lo
	s_delay_alu instid0(VALU_DEP_2) | instskip(NEXT) | instid1(VALU_DEP_2)
	v_and_b32_e32 v3, 0x80000000, v3
	v_lshlrev_b32_e32 v1, 21, v1
	s_delay_alu instid0(VALU_DEP_3) | instskip(NEXT) | instid1(VALU_DEP_1)
	v_lshl_add_u32 v5, v7, 23, 0x37800000
	v_or3_b32 v1, v3, v5, v1
	s_delay_alu instid0(VALU_DEP_1)
	v_cvt_f16_f32_e32 v1, v1
.LBB191_605:
	s_or_b32 exec_lo, exec_lo, s35
	s_mov_b32 s34, 0
	s_branch .LBB191_611
.LBB191_606:
	s_mov_b32 s35, -1
                                        ; implicit-def: $vgpr1
	s_branch .LBB191_617
.LBB191_607:
	s_or_saveexec_b32 s35, s35
	v_mov_b32_e32 v1, 0x7e00
	s_xor_b32 exec_lo, exec_lo, s35
	s_cbranch_execz .LBB191_590
.LBB191_608:
	v_cmp_ne_u16_e32 vcc_lo, 0, v3
	v_mov_b32_e32 v1, v3
	s_and_not1_b32 s34, s34, exec_lo
	s_and_b32 s52, vcc_lo, exec_lo
	s_delay_alu instid0(SALU_CYCLE_1)
	s_or_b32 s34, s34, s52
	s_or_b32 exec_lo, exec_lo, s35
	s_and_saveexec_b32 s35, s34
	s_cbranch_execnz .LBB191_591
	s_branch .LBB191_592
.LBB191_609:
	s_mov_b32 s34, -1
                                        ; implicit-def: $vgpr1
	s_branch .LBB191_614
.LBB191_610:
	s_mov_b32 s34, -1
                                        ; implicit-def: $vgpr1
.LBB191_611:
	s_delay_alu instid0(SALU_CYCLE_1)
	s_and_b32 vcc_lo, exec_lo, s34
	s_cbranch_vccz .LBB191_613
; %bb.612:
	s_wait_loadcnt 0x0
	global_load_u8 v1, v[8:9], off
	s_wait_loadcnt 0x0
	v_lshlrev_b32_e32 v1, 24, v1
	s_delay_alu instid0(VALU_DEP_1) | instskip(NEXT) | instid1(VALU_DEP_1)
	v_and_b32_e32 v3, 0x7f000000, v1
	v_clz_i32_u32_e32 v5, v3
	v_cmp_ne_u32_e32 vcc_lo, 0, v3
	v_add_nc_u32_e32 v10, 0x1000000, v3
	s_delay_alu instid0(VALU_DEP_3) | instskip(NEXT) | instid1(VALU_DEP_1)
	v_min_u32_e32 v5, 32, v5
	v_sub_nc_u32_e64 v5, v5, 4 clamp
	s_delay_alu instid0(VALU_DEP_1) | instskip(NEXT) | instid1(VALU_DEP_1)
	v_dual_lshlrev_b32 v7, v5, v3 :: v_dual_lshlrev_b32 v5, 23, v5
	v_lshrrev_b32_e32 v7, 4, v7
	s_delay_alu instid0(VALU_DEP_1) | instskip(NEXT) | instid1(VALU_DEP_1)
	v_dual_sub_nc_u32 v5, v7, v5 :: v_dual_ashrrev_i32 v7, 8, v10
	v_add_nc_u32_e32 v5, 0x3c000000, v5
	s_delay_alu instid0(VALU_DEP_1) | instskip(NEXT) | instid1(VALU_DEP_1)
	v_and_or_b32 v5, 0x7f800000, v7, v5
	v_cndmask_b32_e32 v3, 0, v5, vcc_lo
	s_delay_alu instid0(VALU_DEP_1) | instskip(NEXT) | instid1(VALU_DEP_1)
	v_and_or_b32 v1, 0x80000000, v1, v3
	v_cvt_f16_f32_e32 v1, v1
.LBB191_613:
	s_mov_b32 s34, 0
.LBB191_614:
	s_delay_alu instid0(SALU_CYCLE_1)
	s_and_not1_b32 vcc_lo, exec_lo, s34
	s_cbranch_vccnz .LBB191_616
; %bb.615:
	s_wait_loadcnt 0x0
	global_load_u8 v1, v[8:9], off
	s_wait_loadcnt 0x0
	v_lshlrev_b32_e32 v3, 25, v1
	v_lshlrev_b16 v1, 8, v1
	s_delay_alu instid0(VALU_DEP_1) | instskip(SKIP_1) | instid1(VALU_DEP_2)
	v_and_or_b32 v7, 0x7f00, v1, 0.5
	v_bfe_i32 v1, v1, 0, 16
	v_add_f32_e32 v7, -0.5, v7
	v_lshrrev_b32_e32 v5, 4, v3
	v_cmp_gt_u32_e32 vcc_lo, 0x8000000, v3
	s_delay_alu instid0(VALU_DEP_2) | instskip(NEXT) | instid1(VALU_DEP_1)
	v_or_b32_e32 v5, 0x70000000, v5
	v_mul_f32_e32 v5, 0x7800000, v5
	s_delay_alu instid0(VALU_DEP_1) | instskip(NEXT) | instid1(VALU_DEP_1)
	v_cndmask_b32_e32 v3, v5, v7, vcc_lo
	v_and_or_b32 v1, 0x80000000, v1, v3
	s_delay_alu instid0(VALU_DEP_1)
	v_cvt_f16_f32_e32 v1, v1
.LBB191_616:
	s_mov_b32 s35, 0
	s_mov_b32 s34, -1
.LBB191_617:
	s_and_not1_b32 vcc_lo, exec_lo, s35
	s_cbranch_vccnz .LBB191_630
; %bb.618:
	s_cmp_gt_i32 s31, 14
	s_cbranch_scc0 .LBB191_621
; %bb.619:
	s_cmp_eq_u32 s31, 15
	s_cbranch_scc0 .LBB191_624
; %bb.620:
	s_wait_loadcnt 0x0
	global_load_u16 v1, v[8:9], off
	s_mov_b32 s34, -1
	s_mov_b32 s30, 0
	s_wait_loadcnt 0x0
	v_lshlrev_b32_e32 v1, 16, v1
	s_delay_alu instid0(VALU_DEP_1)
	v_cvt_f16_f32_e32 v1, v1
	s_branch .LBB191_625
.LBB191_621:
	s_mov_b32 s35, -1
                                        ; implicit-def: $vgpr1
	s_branch .LBB191_626
.LBB191_622:
	s_or_saveexec_b32 s35, s35
	v_mov_b32_e32 v1, 0x7e00
	s_xor_b32 exec_lo, exec_lo, s35
	s_cbranch_execz .LBB191_603
.LBB191_623:
	v_cmp_ne_u16_e32 vcc_lo, 0, v3
	v_mov_b32_e32 v1, v3
	s_and_not1_b32 s34, s34, exec_lo
	s_and_b32 s52, vcc_lo, exec_lo
	s_delay_alu instid0(SALU_CYCLE_1)
	s_or_b32 s34, s34, s52
	s_or_b32 exec_lo, exec_lo, s35
	s_and_saveexec_b32 s35, s34
	s_cbranch_execnz .LBB191_604
	s_branch .LBB191_605
.LBB191_624:
	s_mov_b32 s30, -1
                                        ; implicit-def: $vgpr1
.LBB191_625:
	s_mov_b32 s35, 0
.LBB191_626:
	s_delay_alu instid0(SALU_CYCLE_1)
	s_and_b32 vcc_lo, exec_lo, s35
	s_cbranch_vccz .LBB191_630
; %bb.627:
	s_cmp_eq_u32 s31, 11
	s_cbranch_scc0 .LBB191_629
; %bb.628:
	s_wait_loadcnt 0x0
	global_load_u8 v1, v[8:9], off
	s_mov_b32 s30, 0
	s_mov_b32 s34, -1
	s_wait_loadcnt 0x0
	v_cmp_ne_u16_e32 vcc_lo, 0, v1
	v_cndmask_b32_e64 v1, 0, 0x3c00, vcc_lo
	s_branch .LBB191_630
.LBB191_629:
	s_mov_b32 s30, -1
                                        ; implicit-def: $vgpr1
.LBB191_630:
	s_branch .LBB191_547
.LBB191_631:
	s_and_b32 s0, 0xffff, s0
	s_delay_alu instid0(SALU_CYCLE_1)
	s_cmp_lt_i32 s0, 5
	s_cbranch_scc1 .LBB191_636
; %bb.632:
	s_cmp_lt_i32 s0, 8
	s_cbranch_scc1 .LBB191_637
; %bb.633:
	;; [unrolled: 3-line block ×3, first 2 shown]
	s_cmp_gt_i32 s0, 9
	s_cbranch_scc0 .LBB191_639
; %bb.635:
	global_load_b64 v[10:11], v[8:9], off
	s_mov_b32 s31, 0
	s_wait_loadcnt 0x0
	v_and_or_b32 v1, 0x1ff, v11, v10
	v_lshrrev_b32_e32 v3, 8, v11
	v_bfe_u32 v5, v11, 20, 11
	s_delay_alu instid0(VALU_DEP_3) | instskip(NEXT) | instid1(VALU_DEP_2)
	v_cmp_ne_u32_e32 vcc_lo, 0, v1
	v_sub_nc_u32_e32 v7, 0x3f1, v5
	v_add_nc_u32_e32 v5, 0xfffffc10, v5
	v_cndmask_b32_e64 v1, 0, 1, vcc_lo
	s_delay_alu instid0(VALU_DEP_1) | instskip(NEXT) | instid1(VALU_DEP_4)
	v_and_or_b32 v1, 0xffe, v3, v1
	v_med3_i32 v3, v7, 0, 13
	s_delay_alu instid0(VALU_DEP_2) | instskip(NEXT) | instid1(VALU_DEP_1)
	v_or_b32_e32 v7, 0x1000, v1
	v_lshrrev_b32_e32 v10, v3, v7
	s_delay_alu instid0(VALU_DEP_1) | instskip(NEXT) | instid1(VALU_DEP_1)
	v_lshlrev_b32_e32 v3, v3, v10
	v_cmp_ne_u32_e32 vcc_lo, v3, v7
	v_lshl_or_b32 v7, v5, 12, v1
	v_cndmask_b32_e64 v3, 0, 1, vcc_lo
	v_cmp_gt_i32_e32 vcc_lo, 1, v5
	s_delay_alu instid0(VALU_DEP_2) | instskip(NEXT) | instid1(VALU_DEP_1)
	v_or_b32_e32 v3, v10, v3
	v_cndmask_b32_e32 v3, v7, v3, vcc_lo
	s_delay_alu instid0(VALU_DEP_1) | instskip(NEXT) | instid1(VALU_DEP_1)
	v_dual_lshrrev_b32 v3, 2, v3 :: v_dual_bitop2_b32 v7, 7, v3 bitop3:0x40
	v_cmp_lt_i32_e32 vcc_lo, 5, v7
	v_cndmask_b32_e64 v10, 0, 1, vcc_lo
	v_cmp_eq_u32_e32 vcc_lo, 3, v7
	v_cndmask_b32_e64 v7, 0, 1, vcc_lo
	v_cmp_ne_u32_e32 vcc_lo, 0, v1
	s_delay_alu instid0(VALU_DEP_2) | instskip(NEXT) | instid1(VALU_DEP_1)
	v_or_b32_e32 v7, v7, v10
	v_dual_mov_b32 v10, 0x7e00 :: v_dual_add_nc_u32 v3, v3, v7
	s_delay_alu instid0(VALU_DEP_1) | instskip(SKIP_1) | instid1(VALU_DEP_3)
	v_cndmask_b32_e32 v1, 0x7c00, v10, vcc_lo
	v_cmp_gt_i32_e32 vcc_lo, 31, v5
	v_cndmask_b32_e32 v3, 0x7c00, v3, vcc_lo
	v_cmp_eq_u32_e32 vcc_lo, 0x40f, v5
	s_delay_alu instid0(VALU_DEP_2) | instskip(NEXT) | instid1(VALU_DEP_1)
	v_dual_cndmask_b32 v1, v3, v1, vcc_lo :: v_dual_lshrrev_b32 v3, 16, v11
	v_and_or_b32 v1, 0x8000, v3, v1
	s_branch .LBB191_640
.LBB191_636:
	s_mov_b32 s31, -1
                                        ; implicit-def: $vgpr1
	s_branch .LBB191_658
.LBB191_637:
	s_mov_b32 s31, -1
                                        ; implicit-def: $vgpr1
	s_branch .LBB191_646
.LBB191_638:
	s_mov_b32 s31, -1
                                        ; implicit-def: $vgpr1
	s_branch .LBB191_643
.LBB191_639:
	s_mov_b32 s31, -1
                                        ; implicit-def: $vgpr1
.LBB191_640:
	s_delay_alu instid0(SALU_CYCLE_1)
	s_and_not1_b32 vcc_lo, exec_lo, s31
	s_cbranch_vccnz .LBB191_642
; %bb.641:
	s_wait_loadcnt 0x0
	global_load_b32 v1, v[8:9], off
	s_wait_loadcnt 0x0
	v_cvt_f16_f32_e32 v1, v1
.LBB191_642:
	s_mov_b32 s31, 0
.LBB191_643:
	s_delay_alu instid0(SALU_CYCLE_1)
	s_and_not1_b32 vcc_lo, exec_lo, s31
	s_cbranch_vccnz .LBB191_645
; %bb.644:
	s_wait_loadcnt 0x0
	global_load_b32 v1, v[8:9], off
.LBB191_645:
	s_mov_b32 s31, 0
.LBB191_646:
	s_delay_alu instid0(SALU_CYCLE_1)
	s_and_not1_b32 vcc_lo, exec_lo, s31
	s_cbranch_vccnz .LBB191_657
; %bb.647:
	s_cmp_lt_i32 s0, 6
	s_cbranch_scc1 .LBB191_650
; %bb.648:
	s_cmp_gt_i32 s0, 6
	s_cbranch_scc0 .LBB191_651
; %bb.649:
	global_load_b64 v[10:11], v[8:9], off
	s_mov_b32 s31, 0
	s_wait_loadcnt 0x0
	v_and_or_b32 v1, 0x1ff, v11, v10
	v_lshrrev_b32_e32 v3, 8, v11
	v_bfe_u32 v5, v11, 20, 11
	s_delay_alu instid0(VALU_DEP_3) | instskip(NEXT) | instid1(VALU_DEP_2)
	v_cmp_ne_u32_e32 vcc_lo, 0, v1
	v_sub_nc_u32_e32 v7, 0x3f1, v5
	v_add_nc_u32_e32 v5, 0xfffffc10, v5
	v_cndmask_b32_e64 v1, 0, 1, vcc_lo
	s_delay_alu instid0(VALU_DEP_1) | instskip(NEXT) | instid1(VALU_DEP_4)
	v_and_or_b32 v1, 0xffe, v3, v1
	v_med3_i32 v3, v7, 0, 13
	s_delay_alu instid0(VALU_DEP_2) | instskip(NEXT) | instid1(VALU_DEP_1)
	v_or_b32_e32 v7, 0x1000, v1
	v_lshrrev_b32_e32 v10, v3, v7
	s_delay_alu instid0(VALU_DEP_1) | instskip(NEXT) | instid1(VALU_DEP_1)
	v_lshlrev_b32_e32 v3, v3, v10
	v_cmp_ne_u32_e32 vcc_lo, v3, v7
	v_lshl_or_b32 v7, v5, 12, v1
	v_cndmask_b32_e64 v3, 0, 1, vcc_lo
	v_cmp_gt_i32_e32 vcc_lo, 1, v5
	s_delay_alu instid0(VALU_DEP_2) | instskip(NEXT) | instid1(VALU_DEP_1)
	v_or_b32_e32 v3, v10, v3
	v_cndmask_b32_e32 v3, v7, v3, vcc_lo
	s_delay_alu instid0(VALU_DEP_1) | instskip(NEXT) | instid1(VALU_DEP_1)
	v_dual_lshrrev_b32 v3, 2, v3 :: v_dual_bitop2_b32 v7, 7, v3 bitop3:0x40
	v_cmp_lt_i32_e32 vcc_lo, 5, v7
	v_cndmask_b32_e64 v10, 0, 1, vcc_lo
	v_cmp_eq_u32_e32 vcc_lo, 3, v7
	v_cndmask_b32_e64 v7, 0, 1, vcc_lo
	v_cmp_ne_u32_e32 vcc_lo, 0, v1
	s_delay_alu instid0(VALU_DEP_2) | instskip(NEXT) | instid1(VALU_DEP_1)
	v_or_b32_e32 v7, v7, v10
	v_dual_mov_b32 v10, 0x7e00 :: v_dual_add_nc_u32 v3, v3, v7
	s_delay_alu instid0(VALU_DEP_1) | instskip(SKIP_1) | instid1(VALU_DEP_3)
	v_cndmask_b32_e32 v1, 0x7c00, v10, vcc_lo
	v_cmp_gt_i32_e32 vcc_lo, 31, v5
	v_cndmask_b32_e32 v3, 0x7c00, v3, vcc_lo
	v_cmp_eq_u32_e32 vcc_lo, 0x40f, v5
	s_delay_alu instid0(VALU_DEP_2) | instskip(NEXT) | instid1(VALU_DEP_1)
	v_dual_cndmask_b32 v1, v3, v1, vcc_lo :: v_dual_lshrrev_b32 v3, 16, v11
	v_and_or_b32 v1, 0x8000, v3, v1
	s_branch .LBB191_652
.LBB191_650:
	s_mov_b32 s31, -1
                                        ; implicit-def: $vgpr1
	s_branch .LBB191_655
.LBB191_651:
	s_mov_b32 s31, -1
                                        ; implicit-def: $vgpr1
.LBB191_652:
	s_delay_alu instid0(SALU_CYCLE_1)
	s_and_not1_b32 vcc_lo, exec_lo, s31
	s_cbranch_vccnz .LBB191_654
; %bb.653:
	s_wait_loadcnt 0x0
	global_load_b32 v1, v[8:9], off
	s_wait_loadcnt 0x0
	v_cvt_f16_f32_e32 v1, v1
.LBB191_654:
	s_mov_b32 s31, 0
.LBB191_655:
	s_delay_alu instid0(SALU_CYCLE_1)
	s_and_not1_b32 vcc_lo, exec_lo, s31
	s_cbranch_vccnz .LBB191_657
; %bb.656:
	s_wait_loadcnt 0x0
	global_load_u16 v1, v[8:9], off
.LBB191_657:
	s_mov_b32 s31, 0
.LBB191_658:
	s_delay_alu instid0(SALU_CYCLE_1)
	s_and_not1_b32 vcc_lo, exec_lo, s31
	s_cbranch_vccnz .LBB191_678
; %bb.659:
	s_cmp_lt_i32 s0, 2
	s_cbranch_scc1 .LBB191_663
; %bb.660:
	s_cmp_lt_i32 s0, 3
	s_cbranch_scc1 .LBB191_664
; %bb.661:
	s_cmp_gt_i32 s0, 3
	s_cbranch_scc0 .LBB191_665
; %bb.662:
	global_load_b64 v[10:11], v[8:9], off
	s_mov_b32 s31, 0
	s_wait_loadcnt 0x0
	v_xor_b32_e32 v1, v10, v11
	v_cls_i32_e32 v3, v11
	s_delay_alu instid0(VALU_DEP_2) | instskip(NEXT) | instid1(VALU_DEP_1)
	v_ashrrev_i32_e32 v1, 31, v1
	v_add_nc_u32_e32 v1, 32, v1
	s_delay_alu instid0(VALU_DEP_1) | instskip(NEXT) | instid1(VALU_DEP_1)
	v_add_min_u32_e64 v1, v3, -1, v1
	v_lshlrev_b64_e32 v[10:11], v1, v[10:11]
	v_sub_nc_u32_e32 v1, 32, v1
	s_delay_alu instid0(VALU_DEP_2) | instskip(NEXT) | instid1(VALU_DEP_1)
	v_min_u32_e32 v3, 1, v10
	v_or_b32_e32 v3, v11, v3
	s_delay_alu instid0(VALU_DEP_1) | instskip(NEXT) | instid1(VALU_DEP_1)
	v_cvt_f32_i32_e32 v3, v3
	v_ldexp_f32 v1, v3, v1
	s_delay_alu instid0(VALU_DEP_1)
	v_cvt_f16_f32_e32 v1, v1
	s_branch .LBB191_666
.LBB191_663:
	s_mov_b32 s31, -1
                                        ; implicit-def: $vgpr1
	s_branch .LBB191_672
.LBB191_664:
	s_mov_b32 s31, -1
                                        ; implicit-def: $vgpr1
	s_branch .LBB191_669
.LBB191_665:
	s_mov_b32 s31, -1
                                        ; implicit-def: $vgpr1
.LBB191_666:
	s_delay_alu instid0(SALU_CYCLE_1)
	s_and_not1_b32 vcc_lo, exec_lo, s31
	s_cbranch_vccnz .LBB191_668
; %bb.667:
	s_wait_loadcnt 0x0
	global_load_b32 v1, v[8:9], off
	s_wait_loadcnt 0x0
	v_cvt_f32_i32_e32 v1, v1
	s_delay_alu instid0(VALU_DEP_1)
	v_cvt_f16_f32_e32 v1, v1
.LBB191_668:
	s_mov_b32 s31, 0
.LBB191_669:
	s_delay_alu instid0(SALU_CYCLE_1)
	s_and_not1_b32 vcc_lo, exec_lo, s31
	s_cbranch_vccnz .LBB191_671
; %bb.670:
	s_wait_loadcnt 0x0
	global_load_u16 v1, v[8:9], off
	s_wait_loadcnt 0x0
	v_cvt_f16_i16_e32 v1, v1
.LBB191_671:
	s_mov_b32 s31, 0
.LBB191_672:
	s_delay_alu instid0(SALU_CYCLE_1)
	s_and_not1_b32 vcc_lo, exec_lo, s31
	s_cbranch_vccnz .LBB191_678
; %bb.673:
	s_cmp_gt_i32 s0, 0
	s_mov_b32 s0, 0
	s_cbranch_scc0 .LBB191_675
; %bb.674:
	s_wait_loadcnt 0x0
	global_load_i8 v1, v[8:9], off
	s_wait_loadcnt 0x0
	v_cvt_f16_i16_e32 v1, v1
	s_branch .LBB191_676
.LBB191_675:
	s_mov_b32 s0, -1
                                        ; implicit-def: $vgpr1
.LBB191_676:
	s_delay_alu instid0(SALU_CYCLE_1)
	s_and_not1_b32 vcc_lo, exec_lo, s0
	s_cbranch_vccnz .LBB191_678
; %bb.677:
	s_wait_loadcnt 0x0
	global_load_u8 v1, v[8:9], off
	s_wait_loadcnt 0x0
	v_cvt_f16_u16_e32 v1, v1
.LBB191_678:
	s_branch .LBB191_548
.LBB191_679:
	s_mov_b32 s35, 0
	s_mov_b32 s0, s44
	;; [unrolled: 1-line block ×4, first 2 shown]
	s_branch .LBB191_1055
.LBB191_680:
	s_and_not1_saveexec_b32 s50, s50
	s_cbranch_execz .LBB191_432
.LBB191_681:
	v_add_f32_e64 v5, 0x46000000, |v1|
	s_and_not1_b32 s49, s49, exec_lo
	s_delay_alu instid0(VALU_DEP_1) | instskip(NEXT) | instid1(VALU_DEP_1)
	v_and_b32_e32 v5, 0xff, v5
	v_cmp_ne_u32_e32 vcc_lo, 0, v5
	s_and_b32 s52, vcc_lo, exec_lo
	s_delay_alu instid0(SALU_CYCLE_1)
	s_or_b32 s49, s49, s52
	s_or_b32 exec_lo, exec_lo, s50
	v_mov_b32_e32 v6, 0
	s_and_saveexec_b32 s50, s49
	s_cbranch_execnz .LBB191_433
	s_branch .LBB191_434
.LBB191_682:
	s_mov_b32 s31, -1
	s_mov_b32 s35, 0
.LBB191_683:
                                        ; implicit-def: $vgpr3
.LBB191_684:
	s_and_b32 vcc_lo, exec_lo, s52
	s_cbranch_vccz .LBB191_688
; %bb.685:
	s_cmp_eq_u32 s34, 44
	s_cbranch_scc0 .LBB191_687
; %bb.686:
	global_load_u8 v3, v[6:7], off
	s_mov_b32 s31, 0
	s_mov_b32 s35, -1
	s_wait_loadcnt 0x0
	v_lshlrev_b32_e32 v5, 23, v3
	v_cmp_ne_u32_e32 vcc_lo, 0xff, v3
	s_delay_alu instid0(VALU_DEP_2) | instskip(NEXT) | instid1(VALU_DEP_1)
	v_cvt_f16_f32_e32 v5, v5
	v_cndmask_b32_e32 v5, 0x7e00, v5, vcc_lo
	v_cmp_ne_u32_e32 vcc_lo, 0, v3
	s_delay_alu instid0(VALU_DEP_2)
	v_cndmask_b32_e32 v3, 0, v5, vcc_lo
	s_branch .LBB191_688
.LBB191_687:
	s_mov_b32 s31, -1
                                        ; implicit-def: $vgpr3
.LBB191_688:
	s_mov_b32 s52, 0
.LBB191_689:
	s_delay_alu instid0(SALU_CYCLE_1)
	s_and_b32 vcc_lo, exec_lo, s52
	s_cbranch_vccz .LBB191_693
; %bb.690:
	s_cmp_eq_u32 s34, 29
	s_cbranch_scc0 .LBB191_692
; %bb.691:
	global_load_b64 v[8:9], v[6:7], off
	s_mov_b32 s35, -1
	s_mov_b32 s31, 0
	s_mov_b32 s52, 0
	s_wait_loadcnt 0x0
	v_clz_i32_u32_e32 v3, v9
	s_delay_alu instid0(VALU_DEP_1) | instskip(NEXT) | instid1(VALU_DEP_1)
	v_min_u32_e32 v3, 32, v3
	v_lshlrev_b64_e32 v[8:9], v3, v[8:9]
	v_sub_nc_u32_e32 v3, 32, v3
	s_delay_alu instid0(VALU_DEP_2) | instskip(NEXT) | instid1(VALU_DEP_1)
	v_min_u32_e32 v5, 1, v8
	v_or_b32_e32 v5, v9, v5
	s_delay_alu instid0(VALU_DEP_1) | instskip(NEXT) | instid1(VALU_DEP_1)
	v_cvt_f32_u32_e32 v5, v5
	v_ldexp_f32 v3, v5, v3
	s_delay_alu instid0(VALU_DEP_1)
	v_cvt_f16_f32_e32 v3, v3
	s_branch .LBB191_694
.LBB191_692:
	s_mov_b32 s31, -1
                                        ; implicit-def: $vgpr3
.LBB191_693:
	s_mov_b32 s52, 0
.LBB191_694:
	s_delay_alu instid0(SALU_CYCLE_1)
	s_and_b32 vcc_lo, exec_lo, s52
	s_cbranch_vccz .LBB191_712
; %bb.695:
	s_cmp_lt_i32 s34, 27
	s_cbranch_scc1 .LBB191_698
; %bb.696:
	s_cmp_gt_i32 s34, 27
	s_cbranch_scc0 .LBB191_699
; %bb.697:
	global_load_b32 v3, v[6:7], off
	s_mov_b32 s35, 0
	s_wait_loadcnt 0x0
	v_cvt_f32_u32_e32 v3, v3
	s_delay_alu instid0(VALU_DEP_1)
	v_cvt_f16_f32_e32 v3, v3
	s_branch .LBB191_700
.LBB191_698:
	s_mov_b32 s35, -1
                                        ; implicit-def: $vgpr3
	s_branch .LBB191_703
.LBB191_699:
	s_mov_b32 s35, -1
                                        ; implicit-def: $vgpr3
.LBB191_700:
	s_delay_alu instid0(SALU_CYCLE_1)
	s_and_not1_b32 vcc_lo, exec_lo, s35
	s_cbranch_vccnz .LBB191_702
; %bb.701:
	global_load_u16 v3, v[6:7], off
	s_wait_loadcnt 0x0
	v_cvt_f16_u16_e32 v3, v3
.LBB191_702:
	s_mov_b32 s35, 0
.LBB191_703:
	s_delay_alu instid0(SALU_CYCLE_1)
	s_and_not1_b32 vcc_lo, exec_lo, s35
	s_cbranch_vccnz .LBB191_711
; %bb.704:
	global_load_u8 v5, v[6:7], off
	s_mov_b32 s35, 0
	s_mov_b32 s52, exec_lo
	s_wait_loadcnt 0x0
	v_cmpx_lt_i16_e32 0x7f, v5
	s_xor_b32 s52, exec_lo, s52
	s_cbranch_execz .LBB191_725
; %bb.705:
	s_mov_b32 s35, -1
	s_mov_b32 s53, exec_lo
	v_cmpx_eq_u16_e32 0x80, v5
; %bb.706:
	s_xor_b32 s35, exec_lo, -1
; %bb.707:
	s_or_b32 exec_lo, exec_lo, s53
	s_delay_alu instid0(SALU_CYCLE_1)
	s_and_b32 s35, s35, exec_lo
	s_or_saveexec_b32 s52, s52
	v_mov_b32_e32 v3, 0x7e00
	s_xor_b32 exec_lo, exec_lo, s52
	s_cbranch_execnz .LBB191_726
.LBB191_708:
	s_or_b32 exec_lo, exec_lo, s52
	s_and_saveexec_b32 s52, s35
	s_cbranch_execz .LBB191_710
.LBB191_709:
	v_and_b32_e32 v3, 0xffff, v5
	s_delay_alu instid0(VALU_DEP_1) | instskip(SKIP_1) | instid1(VALU_DEP_2)
	v_and_b32_e32 v8, 7, v3
	v_bfe_u32 v11, v3, 3, 4
	v_clz_i32_u32_e32 v9, v8
	s_delay_alu instid0(VALU_DEP_2) | instskip(NEXT) | instid1(VALU_DEP_2)
	v_cmp_eq_u32_e32 vcc_lo, 0, v11
	v_min_u32_e32 v9, 32, v9
	s_delay_alu instid0(VALU_DEP_1) | instskip(NEXT) | instid1(VALU_DEP_1)
	v_subrev_nc_u32_e32 v10, 28, v9
	v_dual_lshlrev_b32 v3, v10, v3 :: v_dual_sub_nc_u32 v9, 29, v9
	s_delay_alu instid0(VALU_DEP_1) | instskip(NEXT) | instid1(VALU_DEP_1)
	v_dual_lshlrev_b32 v5, 24, v5 :: v_dual_bitop2_b32 v3, 7, v3 bitop3:0x40
	v_dual_cndmask_b32 v3, v8, v3, vcc_lo :: v_dual_cndmask_b32 v9, v11, v9, vcc_lo
	s_delay_alu instid0(VALU_DEP_2) | instskip(NEXT) | instid1(VALU_DEP_2)
	v_and_b32_e32 v5, 0x80000000, v5
	v_lshlrev_b32_e32 v3, 20, v3
	s_delay_alu instid0(VALU_DEP_3) | instskip(NEXT) | instid1(VALU_DEP_1)
	v_lshl_add_u32 v8, v9, 23, 0x3b800000
	v_or3_b32 v3, v5, v8, v3
	s_delay_alu instid0(VALU_DEP_1)
	v_cvt_f16_f32_e32 v3, v3
.LBB191_710:
	s_or_b32 exec_lo, exec_lo, s52
.LBB191_711:
	s_mov_b32 s35, -1
.LBB191_712:
	s_mov_b32 s52, 0
.LBB191_713:
	s_delay_alu instid0(SALU_CYCLE_1)
	s_and_b32 vcc_lo, exec_lo, s52
	s_cbranch_vccz .LBB191_748
; %bb.714:
	s_cmp_gt_i32 s34, 22
	s_cbranch_scc0 .LBB191_724
; %bb.715:
	s_cmp_lt_i32 s34, 24
	s_cbranch_scc1 .LBB191_727
; %bb.716:
	s_cmp_gt_i32 s34, 24
	s_cbranch_scc0 .LBB191_728
; %bb.717:
	global_load_u8 v5, v[6:7], off
	s_mov_b32 s35, 0
	s_mov_b32 s52, exec_lo
	s_wait_loadcnt 0x0
	v_cmpx_lt_i16_e32 0x7f, v5
	s_xor_b32 s52, exec_lo, s52
	s_cbranch_execz .LBB191_740
; %bb.718:
	s_mov_b32 s35, -1
	s_mov_b32 s53, exec_lo
	v_cmpx_eq_u16_e32 0x80, v5
; %bb.719:
	s_xor_b32 s35, exec_lo, -1
; %bb.720:
	s_or_b32 exec_lo, exec_lo, s53
	s_delay_alu instid0(SALU_CYCLE_1)
	s_and_b32 s35, s35, exec_lo
	s_or_saveexec_b32 s52, s52
	v_mov_b32_e32 v3, 0x7e00
	s_xor_b32 exec_lo, exec_lo, s52
	s_cbranch_execnz .LBB191_741
.LBB191_721:
	s_or_b32 exec_lo, exec_lo, s52
	s_and_saveexec_b32 s52, s35
	s_cbranch_execz .LBB191_723
.LBB191_722:
	v_and_b32_e32 v3, 0xffff, v5
	s_delay_alu instid0(VALU_DEP_1) | instskip(SKIP_1) | instid1(VALU_DEP_2)
	v_and_b32_e32 v8, 3, v3
	v_bfe_u32 v11, v3, 2, 5
	v_clz_i32_u32_e32 v9, v8
	s_delay_alu instid0(VALU_DEP_2) | instskip(NEXT) | instid1(VALU_DEP_2)
	v_cmp_eq_u32_e32 vcc_lo, 0, v11
	v_min_u32_e32 v9, 32, v9
	s_delay_alu instid0(VALU_DEP_1) | instskip(NEXT) | instid1(VALU_DEP_1)
	v_subrev_nc_u32_e32 v10, 29, v9
	v_dual_lshlrev_b32 v3, v10, v3 :: v_dual_sub_nc_u32 v9, 30, v9
	s_delay_alu instid0(VALU_DEP_1) | instskip(NEXT) | instid1(VALU_DEP_1)
	v_dual_lshlrev_b32 v5, 24, v5 :: v_dual_bitop2_b32 v3, 3, v3 bitop3:0x40
	v_dual_cndmask_b32 v3, v8, v3, vcc_lo :: v_dual_cndmask_b32 v9, v11, v9, vcc_lo
	s_delay_alu instid0(VALU_DEP_2) | instskip(NEXT) | instid1(VALU_DEP_2)
	v_and_b32_e32 v5, 0x80000000, v5
	v_lshlrev_b32_e32 v3, 21, v3
	s_delay_alu instid0(VALU_DEP_3) | instskip(NEXT) | instid1(VALU_DEP_1)
	v_lshl_add_u32 v8, v9, 23, 0x37800000
	v_or3_b32 v3, v5, v8, v3
	s_delay_alu instid0(VALU_DEP_1)
	v_cvt_f16_f32_e32 v3, v3
.LBB191_723:
	s_or_b32 exec_lo, exec_lo, s52
	s_mov_b32 s35, 0
	s_branch .LBB191_729
.LBB191_724:
	s_mov_b32 s52, -1
                                        ; implicit-def: $vgpr3
	s_branch .LBB191_735
.LBB191_725:
	s_or_saveexec_b32 s52, s52
	v_mov_b32_e32 v3, 0x7e00
	s_xor_b32 exec_lo, exec_lo, s52
	s_cbranch_execz .LBB191_708
.LBB191_726:
	v_cmp_ne_u16_e32 vcc_lo, 0, v5
	v_mov_b32_e32 v3, v5
	s_and_not1_b32 s35, s35, exec_lo
	s_and_b32 s53, vcc_lo, exec_lo
	s_delay_alu instid0(SALU_CYCLE_1)
	s_or_b32 s35, s35, s53
	s_or_b32 exec_lo, exec_lo, s52
	s_and_saveexec_b32 s52, s35
	s_cbranch_execnz .LBB191_709
	s_branch .LBB191_710
.LBB191_727:
	s_mov_b32 s35, -1
                                        ; implicit-def: $vgpr3
	s_branch .LBB191_732
.LBB191_728:
	s_mov_b32 s35, -1
                                        ; implicit-def: $vgpr3
.LBB191_729:
	s_delay_alu instid0(SALU_CYCLE_1)
	s_and_b32 vcc_lo, exec_lo, s35
	s_cbranch_vccz .LBB191_731
; %bb.730:
	global_load_u8 v3, v[6:7], off
	s_wait_loadcnt 0x0
	v_lshlrev_b32_e32 v3, 24, v3
	s_delay_alu instid0(VALU_DEP_1) | instskip(SKIP_1) | instid1(VALU_DEP_1)
	v_and_b32_e32 v5, 0x7f000000, v3
	s_wait_xcnt 0x1
	v_clz_i32_u32_e32 v8, v5
	v_cmp_ne_u32_e32 vcc_lo, 0, v5
	v_add_nc_u32_e32 v10, 0x1000000, v5
	s_delay_alu instid0(VALU_DEP_3) | instskip(NEXT) | instid1(VALU_DEP_1)
	v_min_u32_e32 v8, 32, v8
	v_sub_nc_u32_e64 v8, v8, 4 clamp
	s_delay_alu instid0(VALU_DEP_1) | instskip(NEXT) | instid1(VALU_DEP_1)
	v_dual_lshlrev_b32 v9, v8, v5 :: v_dual_lshlrev_b32 v8, 23, v8
	v_lshrrev_b32_e32 v9, 4, v9
	s_delay_alu instid0(VALU_DEP_1) | instskip(NEXT) | instid1(VALU_DEP_1)
	v_dual_sub_nc_u32 v8, v9, v8 :: v_dual_ashrrev_i32 v9, 8, v10
	v_add_nc_u32_e32 v8, 0x3c000000, v8
	s_delay_alu instid0(VALU_DEP_1) | instskip(NEXT) | instid1(VALU_DEP_1)
	v_and_or_b32 v8, 0x7f800000, v9, v8
	v_cndmask_b32_e32 v5, 0, v8, vcc_lo
	s_delay_alu instid0(VALU_DEP_1) | instskip(NEXT) | instid1(VALU_DEP_1)
	v_and_or_b32 v3, 0x80000000, v3, v5
	v_cvt_f16_f32_e32 v3, v3
.LBB191_731:
	s_mov_b32 s35, 0
.LBB191_732:
	s_delay_alu instid0(SALU_CYCLE_1)
	s_and_not1_b32 vcc_lo, exec_lo, s35
	s_cbranch_vccnz .LBB191_734
; %bb.733:
	global_load_u8 v3, v[6:7], off
	s_wait_loadcnt 0x0
	v_lshlrev_b32_e32 v5, 25, v3
	v_lshlrev_b16 v3, 8, v3
	s_wait_xcnt 0x1
	s_delay_alu instid0(VALU_DEP_1) | instskip(SKIP_1) | instid1(VALU_DEP_2)
	v_and_or_b32 v9, 0x7f00, v3, 0.5
	v_bfe_i32 v3, v3, 0, 16
	v_add_f32_e32 v9, -0.5, v9
	v_lshrrev_b32_e32 v8, 4, v5
	v_cmp_gt_u32_e32 vcc_lo, 0x8000000, v5
	s_delay_alu instid0(VALU_DEP_2) | instskip(NEXT) | instid1(VALU_DEP_1)
	v_or_b32_e32 v8, 0x70000000, v8
	v_mul_f32_e32 v8, 0x7800000, v8
	s_delay_alu instid0(VALU_DEP_1) | instskip(NEXT) | instid1(VALU_DEP_1)
	v_cndmask_b32_e32 v5, v8, v9, vcc_lo
	v_and_or_b32 v3, 0x80000000, v3, v5
	s_delay_alu instid0(VALU_DEP_1)
	v_cvt_f16_f32_e32 v3, v3
.LBB191_734:
	s_mov_b32 s52, 0
	s_mov_b32 s35, -1
.LBB191_735:
	s_and_not1_b32 vcc_lo, exec_lo, s52
	s_cbranch_vccnz .LBB191_748
; %bb.736:
	s_cmp_gt_i32 s34, 14
	s_cbranch_scc0 .LBB191_739
; %bb.737:
	s_cmp_eq_u32 s34, 15
	s_cbranch_scc0 .LBB191_742
; %bb.738:
	global_load_u16 v3, v[6:7], off
	s_mov_b32 s35, -1
	s_mov_b32 s31, 0
	s_wait_loadcnt 0x0
	v_lshlrev_b32_e32 v3, 16, v3
	s_delay_alu instid0(VALU_DEP_1)
	v_cvt_f16_f32_e32 v3, v3
	s_branch .LBB191_743
.LBB191_739:
	s_mov_b32 s52, -1
                                        ; implicit-def: $vgpr3
	s_branch .LBB191_744
.LBB191_740:
	s_or_saveexec_b32 s52, s52
	v_mov_b32_e32 v3, 0x7e00
	s_xor_b32 exec_lo, exec_lo, s52
	s_cbranch_execz .LBB191_721
.LBB191_741:
	v_cmp_ne_u16_e32 vcc_lo, 0, v5
	v_mov_b32_e32 v3, v5
	s_and_not1_b32 s35, s35, exec_lo
	s_and_b32 s53, vcc_lo, exec_lo
	s_delay_alu instid0(SALU_CYCLE_1)
	s_or_b32 s35, s35, s53
	s_or_b32 exec_lo, exec_lo, s52
	s_and_saveexec_b32 s52, s35
	s_cbranch_execnz .LBB191_722
	s_branch .LBB191_723
.LBB191_742:
	s_mov_b32 s31, -1
                                        ; implicit-def: $vgpr3
.LBB191_743:
	s_mov_b32 s52, 0
.LBB191_744:
	s_delay_alu instid0(SALU_CYCLE_1)
	s_and_b32 vcc_lo, exec_lo, s52
	s_cbranch_vccz .LBB191_748
; %bb.745:
	s_cmp_eq_u32 s34, 11
	s_cbranch_scc0 .LBB191_747
; %bb.746:
	global_load_u8 v3, v[6:7], off
	s_mov_b32 s31, 0
	s_mov_b32 s35, -1
	s_wait_loadcnt 0x0
	v_cmp_ne_u16_e32 vcc_lo, 0, v3
	v_cndmask_b32_e64 v3, 0, 0x3c00, vcc_lo
	s_branch .LBB191_748
.LBB191_747:
	s_mov_b32 s31, -1
                                        ; implicit-def: $vgpr3
.LBB191_748:
	s_mov_b32 s34, 0
.LBB191_749:
	s_delay_alu instid0(SALU_CYCLE_1)
	s_and_b32 vcc_lo, exec_lo, s34
	s_cbranch_vccz .LBB191_798
; %bb.750:
	s_and_b32 s0, 0xffff, s0
	s_delay_alu instid0(SALU_CYCLE_1)
	s_cmp_lt_i32 s0, 5
	s_cbranch_scc1 .LBB191_755
; %bb.751:
	s_cmp_lt_i32 s0, 8
	s_cbranch_scc1 .LBB191_756
; %bb.752:
	s_cmp_lt_i32 s0, 9
	s_cbranch_scc1 .LBB191_757
; %bb.753:
	s_cmp_gt_i32 s0, 9
	s_cbranch_scc0 .LBB191_758
; %bb.754:
	global_load_b64 v[8:9], v[6:7], off
	s_mov_b32 s34, 0
	s_wait_loadcnt 0x0
	v_and_or_b32 v3, 0x1ff, v9, v8
	v_lshrrev_b32_e32 v5, 8, v9
	v_bfe_u32 v8, v9, 20, 11
	s_delay_alu instid0(VALU_DEP_3) | instskip(NEXT) | instid1(VALU_DEP_2)
	v_cmp_ne_u32_e32 vcc_lo, 0, v3
	v_sub_nc_u32_e32 v10, 0x3f1, v8
	v_add_nc_u32_e32 v8, 0xfffffc10, v8
	v_cndmask_b32_e64 v3, 0, 1, vcc_lo
	s_delay_alu instid0(VALU_DEP_1) | instskip(NEXT) | instid1(VALU_DEP_4)
	v_and_or_b32 v3, 0xffe, v5, v3
	v_med3_i32 v5, v10, 0, 13
	s_delay_alu instid0(VALU_DEP_2) | instskip(NEXT) | instid1(VALU_DEP_1)
	v_or_b32_e32 v10, 0x1000, v3
	v_lshrrev_b32_e32 v11, v5, v10
	s_delay_alu instid0(VALU_DEP_1) | instskip(NEXT) | instid1(VALU_DEP_1)
	v_lshlrev_b32_e32 v5, v5, v11
	v_cmp_ne_u32_e32 vcc_lo, v5, v10
	v_lshl_or_b32 v10, v8, 12, v3
	v_cndmask_b32_e64 v5, 0, 1, vcc_lo
	v_cmp_gt_i32_e32 vcc_lo, 1, v8
	s_delay_alu instid0(VALU_DEP_2) | instskip(NEXT) | instid1(VALU_DEP_1)
	v_or_b32_e32 v5, v11, v5
	v_cndmask_b32_e32 v5, v10, v5, vcc_lo
	s_delay_alu instid0(VALU_DEP_1) | instskip(NEXT) | instid1(VALU_DEP_1)
	v_dual_lshrrev_b32 v5, 2, v5 :: v_dual_bitop2_b32 v10, 7, v5 bitop3:0x40
	v_cmp_lt_i32_e32 vcc_lo, 5, v10
	v_cndmask_b32_e64 v11, 0, 1, vcc_lo
	v_cmp_eq_u32_e32 vcc_lo, 3, v10
	v_cndmask_b32_e64 v10, 0, 1, vcc_lo
	v_cmp_ne_u32_e32 vcc_lo, 0, v3
	s_delay_alu instid0(VALU_DEP_2) | instskip(SKIP_1) | instid1(VALU_DEP_2)
	v_or_b32_e32 v10, v10, v11
	v_mov_b32_e32 v11, 0x7e00
	v_add_nc_u32_e32 v5, v5, v10
	s_delay_alu instid0(VALU_DEP_2) | instskip(SKIP_1) | instid1(VALU_DEP_3)
	v_cndmask_b32_e32 v3, 0x7c00, v11, vcc_lo
	v_cmp_gt_i32_e32 vcc_lo, 31, v8
	v_cndmask_b32_e32 v5, 0x7c00, v5, vcc_lo
	v_cmp_eq_u32_e32 vcc_lo, 0x40f, v8
	s_delay_alu instid0(VALU_DEP_2) | instskip(NEXT) | instid1(VALU_DEP_1)
	v_dual_cndmask_b32 v3, v5, v3, vcc_lo :: v_dual_lshrrev_b32 v5, 16, v9
	v_and_or_b32 v3, 0x8000, v5, v3
	s_branch .LBB191_759
.LBB191_755:
	s_mov_b32 s34, -1
                                        ; implicit-def: $vgpr3
	s_branch .LBB191_777
.LBB191_756:
	s_mov_b32 s34, -1
                                        ; implicit-def: $vgpr3
	s_branch .LBB191_765
.LBB191_757:
	s_mov_b32 s34, -1
                                        ; implicit-def: $vgpr3
	s_branch .LBB191_762
.LBB191_758:
	s_mov_b32 s34, -1
                                        ; implicit-def: $vgpr3
.LBB191_759:
	s_delay_alu instid0(SALU_CYCLE_1)
	s_and_not1_b32 vcc_lo, exec_lo, s34
	s_cbranch_vccnz .LBB191_761
; %bb.760:
	global_load_b32 v3, v[6:7], off
	s_wait_loadcnt 0x0
	v_cvt_f16_f32_e32 v3, v3
.LBB191_761:
	s_mov_b32 s34, 0
.LBB191_762:
	s_delay_alu instid0(SALU_CYCLE_1)
	s_and_not1_b32 vcc_lo, exec_lo, s34
	s_cbranch_vccnz .LBB191_764
; %bb.763:
	global_load_b32 v3, v[6:7], off
.LBB191_764:
	s_mov_b32 s34, 0
.LBB191_765:
	s_delay_alu instid0(SALU_CYCLE_1)
	s_and_not1_b32 vcc_lo, exec_lo, s34
	s_cbranch_vccnz .LBB191_776
; %bb.766:
	s_cmp_lt_i32 s0, 6
	s_cbranch_scc1 .LBB191_769
; %bb.767:
	s_cmp_gt_i32 s0, 6
	s_cbranch_scc0 .LBB191_770
; %bb.768:
	global_load_b64 v[8:9], v[6:7], off
	s_mov_b32 s34, 0
	s_wait_loadcnt 0x0
	v_and_or_b32 v3, 0x1ff, v9, v8
	v_lshrrev_b32_e32 v5, 8, v9
	v_bfe_u32 v8, v9, 20, 11
	s_delay_alu instid0(VALU_DEP_3) | instskip(NEXT) | instid1(VALU_DEP_2)
	v_cmp_ne_u32_e32 vcc_lo, 0, v3
	v_sub_nc_u32_e32 v10, 0x3f1, v8
	v_add_nc_u32_e32 v8, 0xfffffc10, v8
	v_cndmask_b32_e64 v3, 0, 1, vcc_lo
	s_delay_alu instid0(VALU_DEP_1) | instskip(NEXT) | instid1(VALU_DEP_4)
	v_and_or_b32 v3, 0xffe, v5, v3
	v_med3_i32 v5, v10, 0, 13
	s_delay_alu instid0(VALU_DEP_2) | instskip(NEXT) | instid1(VALU_DEP_1)
	v_or_b32_e32 v10, 0x1000, v3
	v_lshrrev_b32_e32 v11, v5, v10
	s_delay_alu instid0(VALU_DEP_1) | instskip(NEXT) | instid1(VALU_DEP_1)
	v_lshlrev_b32_e32 v5, v5, v11
	v_cmp_ne_u32_e32 vcc_lo, v5, v10
	v_lshl_or_b32 v10, v8, 12, v3
	v_cndmask_b32_e64 v5, 0, 1, vcc_lo
	v_cmp_gt_i32_e32 vcc_lo, 1, v8
	s_delay_alu instid0(VALU_DEP_2) | instskip(NEXT) | instid1(VALU_DEP_1)
	v_or_b32_e32 v5, v11, v5
	v_cndmask_b32_e32 v5, v10, v5, vcc_lo
	s_delay_alu instid0(VALU_DEP_1) | instskip(NEXT) | instid1(VALU_DEP_1)
	v_dual_lshrrev_b32 v5, 2, v5 :: v_dual_bitop2_b32 v10, 7, v5 bitop3:0x40
	v_cmp_lt_i32_e32 vcc_lo, 5, v10
	v_cndmask_b32_e64 v11, 0, 1, vcc_lo
	v_cmp_eq_u32_e32 vcc_lo, 3, v10
	v_cndmask_b32_e64 v10, 0, 1, vcc_lo
	v_cmp_ne_u32_e32 vcc_lo, 0, v3
	s_delay_alu instid0(VALU_DEP_2) | instskip(SKIP_1) | instid1(VALU_DEP_2)
	v_or_b32_e32 v10, v10, v11
	v_mov_b32_e32 v11, 0x7e00
	v_add_nc_u32_e32 v5, v5, v10
	s_delay_alu instid0(VALU_DEP_2) | instskip(SKIP_1) | instid1(VALU_DEP_3)
	v_cndmask_b32_e32 v3, 0x7c00, v11, vcc_lo
	v_cmp_gt_i32_e32 vcc_lo, 31, v8
	v_cndmask_b32_e32 v5, 0x7c00, v5, vcc_lo
	v_cmp_eq_u32_e32 vcc_lo, 0x40f, v8
	s_delay_alu instid0(VALU_DEP_2) | instskip(NEXT) | instid1(VALU_DEP_1)
	v_dual_cndmask_b32 v3, v5, v3, vcc_lo :: v_dual_lshrrev_b32 v5, 16, v9
	v_and_or_b32 v3, 0x8000, v5, v3
	s_branch .LBB191_771
.LBB191_769:
	s_mov_b32 s34, -1
                                        ; implicit-def: $vgpr3
	s_branch .LBB191_774
.LBB191_770:
	s_mov_b32 s34, -1
                                        ; implicit-def: $vgpr3
.LBB191_771:
	s_delay_alu instid0(SALU_CYCLE_1)
	s_and_not1_b32 vcc_lo, exec_lo, s34
	s_cbranch_vccnz .LBB191_773
; %bb.772:
	s_wait_loadcnt 0x0
	global_load_b32 v3, v[6:7], off
	s_wait_loadcnt 0x0
	v_cvt_f16_f32_e32 v3, v3
.LBB191_773:
	s_mov_b32 s34, 0
.LBB191_774:
	s_delay_alu instid0(SALU_CYCLE_1)
	s_and_not1_b32 vcc_lo, exec_lo, s34
	s_cbranch_vccnz .LBB191_776
; %bb.775:
	s_wait_loadcnt 0x0
	global_load_u16 v3, v[6:7], off
.LBB191_776:
	s_mov_b32 s34, 0
.LBB191_777:
	s_delay_alu instid0(SALU_CYCLE_1)
	s_and_not1_b32 vcc_lo, exec_lo, s34
	s_cbranch_vccnz .LBB191_797
; %bb.778:
	s_cmp_lt_i32 s0, 2
	s_cbranch_scc1 .LBB191_782
; %bb.779:
	s_cmp_lt_i32 s0, 3
	s_cbranch_scc1 .LBB191_783
; %bb.780:
	s_cmp_gt_i32 s0, 3
	s_cbranch_scc0 .LBB191_784
; %bb.781:
	global_load_b64 v[8:9], v[6:7], off
	s_mov_b32 s34, 0
	s_wait_loadcnt 0x0
	v_xor_b32_e32 v3, v8, v9
	v_cls_i32_e32 v5, v9
	s_delay_alu instid0(VALU_DEP_2) | instskip(NEXT) | instid1(VALU_DEP_1)
	v_ashrrev_i32_e32 v3, 31, v3
	v_add_nc_u32_e32 v3, 32, v3
	s_delay_alu instid0(VALU_DEP_1) | instskip(NEXT) | instid1(VALU_DEP_1)
	v_add_min_u32_e64 v3, v5, -1, v3
	v_lshlrev_b64_e32 v[8:9], v3, v[8:9]
	v_sub_nc_u32_e32 v3, 32, v3
	s_delay_alu instid0(VALU_DEP_2) | instskip(NEXT) | instid1(VALU_DEP_1)
	v_min_u32_e32 v5, 1, v8
	v_or_b32_e32 v5, v9, v5
	s_delay_alu instid0(VALU_DEP_1) | instskip(NEXT) | instid1(VALU_DEP_1)
	v_cvt_f32_i32_e32 v5, v5
	v_ldexp_f32 v3, v5, v3
	s_delay_alu instid0(VALU_DEP_1)
	v_cvt_f16_f32_e32 v3, v3
	s_branch .LBB191_785
.LBB191_782:
	s_mov_b32 s34, -1
                                        ; implicit-def: $vgpr3
	s_branch .LBB191_791
.LBB191_783:
	s_mov_b32 s34, -1
                                        ; implicit-def: $vgpr3
	s_branch .LBB191_788
.LBB191_784:
	s_mov_b32 s34, -1
                                        ; implicit-def: $vgpr3
.LBB191_785:
	s_delay_alu instid0(SALU_CYCLE_1)
	s_and_not1_b32 vcc_lo, exec_lo, s34
	s_cbranch_vccnz .LBB191_787
; %bb.786:
	s_wait_loadcnt 0x0
	global_load_b32 v3, v[6:7], off
	s_wait_loadcnt 0x0
	v_cvt_f32_i32_e32 v3, v3
	s_delay_alu instid0(VALU_DEP_1)
	v_cvt_f16_f32_e32 v3, v3
.LBB191_787:
	s_mov_b32 s34, 0
.LBB191_788:
	s_delay_alu instid0(SALU_CYCLE_1)
	s_and_not1_b32 vcc_lo, exec_lo, s34
	s_cbranch_vccnz .LBB191_790
; %bb.789:
	s_wait_loadcnt 0x0
	global_load_u16 v3, v[6:7], off
	s_wait_loadcnt 0x0
	v_cvt_f16_i16_e32 v3, v3
.LBB191_790:
	s_mov_b32 s34, 0
.LBB191_791:
	s_delay_alu instid0(SALU_CYCLE_1)
	s_and_not1_b32 vcc_lo, exec_lo, s34
	s_cbranch_vccnz .LBB191_797
; %bb.792:
	s_cmp_gt_i32 s0, 0
	s_mov_b32 s0, 0
	s_cbranch_scc0 .LBB191_794
; %bb.793:
	s_wait_loadcnt 0x0
	global_load_i8 v3, v[6:7], off
	s_wait_loadcnt 0x0
	v_cvt_f16_i16_e32 v3, v3
	s_branch .LBB191_795
.LBB191_794:
	s_mov_b32 s0, -1
                                        ; implicit-def: $vgpr3
.LBB191_795:
	s_delay_alu instid0(SALU_CYCLE_1)
	s_and_not1_b32 vcc_lo, exec_lo, s0
	s_cbranch_vccnz .LBB191_797
; %bb.796:
	s_wait_loadcnt 0x0
	global_load_u8 v3, v[6:7], off
	s_wait_loadcnt 0x0
	v_cvt_f16_u16_e32 v3, v3
.LBB191_797:
	s_mov_b32 s35, -1
.LBB191_798:
	s_delay_alu instid0(SALU_CYCLE_1)
	s_and_not1_b32 vcc_lo, exec_lo, s35
	s_cbranch_vccnz .LBB191_806
; %bb.799:
	v_mov_b32_e32 v5, 0
	s_and_b32 s0, 0xffff, s40
	s_delay_alu instid0(SALU_CYCLE_1) | instskip(NEXT) | instid1(VALU_DEP_1)
	s_cmp_lt_i32 s0, 11
	v_add_nc_u64_e32 v[4:5], s[10:11], v[4:5]
	s_cbranch_scc1 .LBB191_807
; %bb.800:
	s_cmp_gt_i32 s0, 25
	s_cbranch_scc0 .LBB191_808
; %bb.801:
	s_cmp_gt_i32 s0, 28
	s_cbranch_scc0 .LBB191_809
	;; [unrolled: 3-line block ×4, first 2 shown]
; %bb.804:
	s_cmp_eq_u32 s0, 46
	s_mov_b32 s52, 0
	s_cbranch_scc0 .LBB191_814
; %bb.805:
	global_load_b32 v6, v[4:5], off
	s_mov_b32 s35, -1
	s_mov_b32 s34, 0
	s_wait_loadcnt 0x0
	v_lshlrev_b32_e32 v6, 16, v6
	s_delay_alu instid0(VALU_DEP_1)
	v_cvt_f16_f32_e32 v6, v6
	s_branch .LBB191_816
.LBB191_806:
	s_mov_b32 s35, 0
	s_mov_b32 s0, s44
	;; [unrolled: 1-line block ×3, first 2 shown]
	s_branch .LBB191_1055
.LBB191_807:
	s_mov_b32 s52, -1
	s_mov_b32 s35, 0
	s_mov_b32 s34, s48
                                        ; implicit-def: $vgpr6
	s_branch .LBB191_881
.LBB191_808:
	s_mov_b32 s52, -1
	s_mov_b32 s35, 0
	s_mov_b32 s34, s48
                                        ; implicit-def: $vgpr6
	s_branch .LBB191_845
.LBB191_809:
	s_mov_b32 s52, -1
	s_mov_b32 s35, 0
	s_mov_b32 s34, s48
                                        ; implicit-def: $vgpr6
	s_branch .LBB191_826
.LBB191_810:
	s_mov_b32 s52, -1
	s_mov_b32 s35, 0
	s_mov_b32 s34, s48
                                        ; implicit-def: $vgpr6
	s_branch .LBB191_821
.LBB191_811:
	s_mov_b32 s52, -1
	s_mov_b32 s35, 0
	s_mov_b32 s34, s48
	s_branch .LBB191_815
.LBB191_812:
	s_and_not1_saveexec_b32 s50, s50
	s_cbranch_execz .LBB191_445
.LBB191_813:
	v_add_f32_e64 v5, 0x42800000, |v1|
	s_and_not1_b32 s49, s49, exec_lo
	s_delay_alu instid0(VALU_DEP_1) | instskip(NEXT) | instid1(VALU_DEP_1)
	v_and_b32_e32 v5, 0xff, v5
	v_cmp_ne_u32_e32 vcc_lo, 0, v5
	s_and_b32 s52, vcc_lo, exec_lo
	s_delay_alu instid0(SALU_CYCLE_1)
	s_or_b32 s49, s49, s52
	s_or_b32 exec_lo, exec_lo, s50
	v_mov_b32_e32 v6, 0
	s_and_saveexec_b32 s50, s49
	s_cbranch_execnz .LBB191_446
	s_branch .LBB191_447
.LBB191_814:
	s_mov_b32 s34, -1
	s_mov_b32 s35, 0
.LBB191_815:
                                        ; implicit-def: $vgpr6
.LBB191_816:
	s_and_b32 vcc_lo, exec_lo, s52
	s_cbranch_vccz .LBB191_820
; %bb.817:
	s_cmp_eq_u32 s0, 44
	s_cbranch_scc0 .LBB191_819
; %bb.818:
	global_load_u8 v6, v[4:5], off
	s_mov_b32 s34, 0
	s_mov_b32 s35, -1
	s_wait_loadcnt 0x0
	v_lshlrev_b32_e32 v7, 23, v6
	v_cmp_ne_u32_e32 vcc_lo, 0xff, v6
	s_delay_alu instid0(VALU_DEP_2) | instskip(NEXT) | instid1(VALU_DEP_1)
	v_cvt_f16_f32_e32 v7, v7
	v_cndmask_b32_e32 v7, 0x7e00, v7, vcc_lo
	v_cmp_ne_u32_e32 vcc_lo, 0, v6
	s_delay_alu instid0(VALU_DEP_2)
	v_cndmask_b32_e32 v6, 0, v7, vcc_lo
	s_branch .LBB191_820
.LBB191_819:
	s_mov_b32 s34, -1
                                        ; implicit-def: $vgpr6
.LBB191_820:
	s_mov_b32 s52, 0
.LBB191_821:
	s_delay_alu instid0(SALU_CYCLE_1)
	s_and_b32 vcc_lo, exec_lo, s52
	s_cbranch_vccz .LBB191_825
; %bb.822:
	s_cmp_eq_u32 s0, 29
	s_cbranch_scc0 .LBB191_824
; %bb.823:
	global_load_b64 v[6:7], v[4:5], off
	s_mov_b32 s35, -1
	s_mov_b32 s34, 0
	s_mov_b32 s52, 0
	s_wait_loadcnt 0x0
	v_clz_i32_u32_e32 v8, v7
	s_delay_alu instid0(VALU_DEP_1) | instskip(NEXT) | instid1(VALU_DEP_1)
	v_min_u32_e32 v8, 32, v8
	v_lshlrev_b64_e32 v[6:7], v8, v[6:7]
	s_delay_alu instid0(VALU_DEP_1) | instskip(NEXT) | instid1(VALU_DEP_1)
	v_min_u32_e32 v6, 1, v6
	v_dual_sub_nc_u32 v7, 32, v8 :: v_dual_bitop2_b32 v6, v7, v6 bitop3:0x54
	s_delay_alu instid0(VALU_DEP_1) | instskip(NEXT) | instid1(VALU_DEP_1)
	v_cvt_f32_u32_e32 v6, v6
	v_ldexp_f32 v6, v6, v7
	s_delay_alu instid0(VALU_DEP_1)
	v_cvt_f16_f32_e32 v6, v6
	s_branch .LBB191_826
.LBB191_824:
	s_mov_b32 s34, -1
                                        ; implicit-def: $vgpr6
.LBB191_825:
	s_mov_b32 s52, 0
.LBB191_826:
	s_delay_alu instid0(SALU_CYCLE_1)
	s_and_b32 vcc_lo, exec_lo, s52
	s_cbranch_vccz .LBB191_844
; %bb.827:
	s_cmp_lt_i32 s0, 27
	s_cbranch_scc1 .LBB191_830
; %bb.828:
	s_cmp_gt_i32 s0, 27
	s_cbranch_scc0 .LBB191_831
; %bb.829:
	global_load_b32 v6, v[4:5], off
	s_mov_b32 s35, 0
	s_wait_loadcnt 0x0
	v_cvt_f32_u32_e32 v6, v6
	s_delay_alu instid0(VALU_DEP_1)
	v_cvt_f16_f32_e32 v6, v6
	s_branch .LBB191_832
.LBB191_830:
	s_mov_b32 s35, -1
                                        ; implicit-def: $vgpr6
	s_branch .LBB191_835
.LBB191_831:
	s_mov_b32 s35, -1
                                        ; implicit-def: $vgpr6
.LBB191_832:
	s_delay_alu instid0(SALU_CYCLE_1)
	s_and_not1_b32 vcc_lo, exec_lo, s35
	s_cbranch_vccnz .LBB191_834
; %bb.833:
	global_load_u16 v6, v[4:5], off
	s_wait_loadcnt 0x0
	v_cvt_f16_u16_e32 v6, v6
.LBB191_834:
	s_mov_b32 s35, 0
.LBB191_835:
	s_delay_alu instid0(SALU_CYCLE_1)
	s_and_not1_b32 vcc_lo, exec_lo, s35
	s_cbranch_vccnz .LBB191_843
; %bb.836:
	global_load_u8 v7, v[4:5], off
	s_mov_b32 s35, 0
	s_mov_b32 s52, exec_lo
	s_wait_loadcnt 0x0
	v_cmpx_lt_i16_e32 0x7f, v7
	s_xor_b32 s52, exec_lo, s52
	s_cbranch_execz .LBB191_857
; %bb.837:
	s_mov_b32 s35, -1
	s_mov_b32 s53, exec_lo
	v_cmpx_eq_u16_e32 0x80, v7
; %bb.838:
	s_xor_b32 s35, exec_lo, -1
; %bb.839:
	s_or_b32 exec_lo, exec_lo, s53
	s_delay_alu instid0(SALU_CYCLE_1)
	s_and_b32 s35, s35, exec_lo
	s_or_saveexec_b32 s52, s52
	v_mov_b32_e32 v6, 0x7e00
	s_xor_b32 exec_lo, exec_lo, s52
	s_cbranch_execnz .LBB191_858
.LBB191_840:
	s_or_b32 exec_lo, exec_lo, s52
	s_and_saveexec_b32 s52, s35
	s_cbranch_execz .LBB191_842
.LBB191_841:
	v_and_b32_e32 v6, 0xffff, v7
	s_delay_alu instid0(VALU_DEP_1) | instskip(SKIP_1) | instid1(VALU_DEP_2)
	v_and_b32_e32 v8, 7, v6
	v_bfe_u32 v11, v6, 3, 4
	v_clz_i32_u32_e32 v9, v8
	s_delay_alu instid0(VALU_DEP_2) | instskip(NEXT) | instid1(VALU_DEP_2)
	v_cmp_eq_u32_e32 vcc_lo, 0, v11
	v_min_u32_e32 v9, 32, v9
	s_delay_alu instid0(VALU_DEP_1) | instskip(NEXT) | instid1(VALU_DEP_1)
	v_subrev_nc_u32_e32 v10, 28, v9
	v_dual_lshlrev_b32 v6, v10, v6 :: v_dual_sub_nc_u32 v9, 29, v9
	s_delay_alu instid0(VALU_DEP_1) | instskip(NEXT) | instid1(VALU_DEP_1)
	v_dual_lshlrev_b32 v7, 24, v7 :: v_dual_bitop2_b32 v6, 7, v6 bitop3:0x40
	v_dual_cndmask_b32 v9, v11, v9 :: v_dual_cndmask_b32 v6, v8, v6
	s_delay_alu instid0(VALU_DEP_2) | instskip(NEXT) | instid1(VALU_DEP_2)
	v_and_b32_e32 v7, 0x80000000, v7
	v_lshl_add_u32 v8, v9, 23, 0x3b800000
	s_delay_alu instid0(VALU_DEP_3) | instskip(NEXT) | instid1(VALU_DEP_1)
	v_lshlrev_b32_e32 v6, 20, v6
	v_or3_b32 v6, v7, v8, v6
	s_delay_alu instid0(VALU_DEP_1)
	v_cvt_f16_f32_e32 v6, v6
.LBB191_842:
	s_or_b32 exec_lo, exec_lo, s52
.LBB191_843:
	s_mov_b32 s35, -1
.LBB191_844:
	s_mov_b32 s52, 0
.LBB191_845:
	s_delay_alu instid0(SALU_CYCLE_1)
	s_and_b32 vcc_lo, exec_lo, s52
	s_cbranch_vccz .LBB191_880
; %bb.846:
	s_cmp_gt_i32 s0, 22
	s_cbranch_scc0 .LBB191_856
; %bb.847:
	s_cmp_lt_i32 s0, 24
	s_cbranch_scc1 .LBB191_859
; %bb.848:
	s_cmp_gt_i32 s0, 24
	s_cbranch_scc0 .LBB191_860
; %bb.849:
	global_load_u8 v7, v[4:5], off
	s_mov_b32 s35, 0
	s_mov_b32 s52, exec_lo
	s_wait_loadcnt 0x0
	v_cmpx_lt_i16_e32 0x7f, v7
	s_xor_b32 s52, exec_lo, s52
	s_cbranch_execz .LBB191_872
; %bb.850:
	s_mov_b32 s35, -1
	s_mov_b32 s53, exec_lo
	v_cmpx_eq_u16_e32 0x80, v7
; %bb.851:
	s_xor_b32 s35, exec_lo, -1
; %bb.852:
	s_or_b32 exec_lo, exec_lo, s53
	s_delay_alu instid0(SALU_CYCLE_1)
	s_and_b32 s35, s35, exec_lo
	s_or_saveexec_b32 s52, s52
	v_mov_b32_e32 v6, 0x7e00
	s_xor_b32 exec_lo, exec_lo, s52
	s_cbranch_execnz .LBB191_873
.LBB191_853:
	s_or_b32 exec_lo, exec_lo, s52
	s_and_saveexec_b32 s52, s35
	s_cbranch_execz .LBB191_855
.LBB191_854:
	v_and_b32_e32 v6, 0xffff, v7
	s_delay_alu instid0(VALU_DEP_1) | instskip(SKIP_1) | instid1(VALU_DEP_2)
	v_and_b32_e32 v8, 3, v6
	v_bfe_u32 v11, v6, 2, 5
	v_clz_i32_u32_e32 v9, v8
	s_delay_alu instid0(VALU_DEP_2) | instskip(NEXT) | instid1(VALU_DEP_2)
	v_cmp_eq_u32_e32 vcc_lo, 0, v11
	v_min_u32_e32 v9, 32, v9
	s_delay_alu instid0(VALU_DEP_1) | instskip(NEXT) | instid1(VALU_DEP_1)
	v_subrev_nc_u32_e32 v10, 29, v9
	v_dual_lshlrev_b32 v6, v10, v6 :: v_dual_sub_nc_u32 v9, 30, v9
	s_delay_alu instid0(VALU_DEP_1) | instskip(NEXT) | instid1(VALU_DEP_1)
	v_dual_lshlrev_b32 v7, 24, v7 :: v_dual_bitop2_b32 v6, 3, v6 bitop3:0x40
	v_dual_cndmask_b32 v9, v11, v9 :: v_dual_cndmask_b32 v6, v8, v6
	s_delay_alu instid0(VALU_DEP_2) | instskip(NEXT) | instid1(VALU_DEP_2)
	v_and_b32_e32 v7, 0x80000000, v7
	v_lshl_add_u32 v8, v9, 23, 0x37800000
	s_delay_alu instid0(VALU_DEP_3) | instskip(NEXT) | instid1(VALU_DEP_1)
	v_lshlrev_b32_e32 v6, 21, v6
	v_or3_b32 v6, v7, v8, v6
	s_delay_alu instid0(VALU_DEP_1)
	v_cvt_f16_f32_e32 v6, v6
.LBB191_855:
	s_or_b32 exec_lo, exec_lo, s52
	s_mov_b32 s35, 0
	s_branch .LBB191_861
.LBB191_856:
	s_mov_b32 s52, -1
                                        ; implicit-def: $vgpr6
	s_branch .LBB191_867
.LBB191_857:
	s_or_saveexec_b32 s52, s52
	v_mov_b32_e32 v6, 0x7e00
	s_xor_b32 exec_lo, exec_lo, s52
	s_cbranch_execz .LBB191_840
.LBB191_858:
	v_cmp_ne_u16_e32 vcc_lo, 0, v7
	v_mov_b32_e32 v6, v7
	s_and_not1_b32 s35, s35, exec_lo
	s_and_b32 s53, vcc_lo, exec_lo
	s_delay_alu instid0(SALU_CYCLE_1)
	s_or_b32 s35, s35, s53
	s_or_b32 exec_lo, exec_lo, s52
	s_and_saveexec_b32 s52, s35
	s_cbranch_execnz .LBB191_841
	s_branch .LBB191_842
.LBB191_859:
	s_mov_b32 s35, -1
                                        ; implicit-def: $vgpr6
	s_branch .LBB191_864
.LBB191_860:
	s_mov_b32 s35, -1
                                        ; implicit-def: $vgpr6
.LBB191_861:
	s_delay_alu instid0(SALU_CYCLE_1)
	s_and_b32 vcc_lo, exec_lo, s35
	s_cbranch_vccz .LBB191_863
; %bb.862:
	global_load_u8 v6, v[4:5], off
	s_wait_loadcnt 0x0
	v_lshlrev_b32_e32 v6, 24, v6
	s_delay_alu instid0(VALU_DEP_1) | instskip(NEXT) | instid1(VALU_DEP_1)
	v_and_b32_e32 v7, 0x7f000000, v6
	v_clz_i32_u32_e32 v8, v7
	v_cmp_ne_u32_e32 vcc_lo, 0, v7
	v_add_nc_u32_e32 v10, 0x1000000, v7
	s_delay_alu instid0(VALU_DEP_3) | instskip(NEXT) | instid1(VALU_DEP_1)
	v_min_u32_e32 v8, 32, v8
	v_sub_nc_u32_e64 v8, v8, 4 clamp
	s_delay_alu instid0(VALU_DEP_1) | instskip(NEXT) | instid1(VALU_DEP_1)
	v_dual_lshlrev_b32 v9, v8, v7 :: v_dual_lshlrev_b32 v8, 23, v8
	v_lshrrev_b32_e32 v9, 4, v9
	s_delay_alu instid0(VALU_DEP_1) | instskip(NEXT) | instid1(VALU_DEP_1)
	v_dual_sub_nc_u32 v8, v9, v8 :: v_dual_ashrrev_i32 v9, 8, v10
	v_add_nc_u32_e32 v8, 0x3c000000, v8
	s_delay_alu instid0(VALU_DEP_1) | instskip(NEXT) | instid1(VALU_DEP_1)
	v_and_or_b32 v8, 0x7f800000, v9, v8
	v_cndmask_b32_e32 v7, 0, v8, vcc_lo
	s_delay_alu instid0(VALU_DEP_1) | instskip(NEXT) | instid1(VALU_DEP_1)
	v_and_or_b32 v6, 0x80000000, v6, v7
	v_cvt_f16_f32_e32 v6, v6
.LBB191_863:
	s_mov_b32 s35, 0
.LBB191_864:
	s_delay_alu instid0(SALU_CYCLE_1)
	s_and_not1_b32 vcc_lo, exec_lo, s35
	s_cbranch_vccnz .LBB191_866
; %bb.865:
	global_load_u8 v6, v[4:5], off
	s_wait_loadcnt 0x0
	v_lshlrev_b32_e32 v7, 25, v6
	v_lshlrev_b16 v6, 8, v6
	s_delay_alu instid0(VALU_DEP_1) | instskip(SKIP_1) | instid1(VALU_DEP_2)
	v_and_or_b32 v9, 0x7f00, v6, 0.5
	v_bfe_i32 v6, v6, 0, 16
	v_dual_add_f32 v9, -0.5, v9 :: v_dual_lshrrev_b32 v8, 4, v7
	v_cmp_gt_u32_e32 vcc_lo, 0x8000000, v7
	s_delay_alu instid0(VALU_DEP_2) | instskip(NEXT) | instid1(VALU_DEP_1)
	v_or_b32_e32 v8, 0x70000000, v8
	v_mul_f32_e32 v8, 0x7800000, v8
	s_delay_alu instid0(VALU_DEP_1) | instskip(NEXT) | instid1(VALU_DEP_1)
	v_cndmask_b32_e32 v7, v8, v9, vcc_lo
	v_and_or_b32 v6, 0x80000000, v6, v7
	s_delay_alu instid0(VALU_DEP_1)
	v_cvt_f16_f32_e32 v6, v6
.LBB191_866:
	s_mov_b32 s52, 0
	s_mov_b32 s35, -1
.LBB191_867:
	s_and_not1_b32 vcc_lo, exec_lo, s52
	s_cbranch_vccnz .LBB191_880
; %bb.868:
	s_cmp_gt_i32 s0, 14
	s_cbranch_scc0 .LBB191_871
; %bb.869:
	s_cmp_eq_u32 s0, 15
	s_cbranch_scc0 .LBB191_874
; %bb.870:
	global_load_u16 v6, v[4:5], off
	s_mov_b32 s35, -1
	s_mov_b32 s34, 0
	s_wait_loadcnt 0x0
	v_lshlrev_b32_e32 v6, 16, v6
	s_delay_alu instid0(VALU_DEP_1)
	v_cvt_f16_f32_e32 v6, v6
	s_branch .LBB191_875
.LBB191_871:
	s_mov_b32 s52, -1
                                        ; implicit-def: $vgpr6
	s_branch .LBB191_876
.LBB191_872:
	s_or_saveexec_b32 s52, s52
	v_mov_b32_e32 v6, 0x7e00
	s_xor_b32 exec_lo, exec_lo, s52
	s_cbranch_execz .LBB191_853
.LBB191_873:
	v_cmp_ne_u16_e32 vcc_lo, 0, v7
	v_mov_b32_e32 v6, v7
	s_and_not1_b32 s35, s35, exec_lo
	s_and_b32 s53, vcc_lo, exec_lo
	s_delay_alu instid0(SALU_CYCLE_1)
	s_or_b32 s35, s35, s53
	s_or_b32 exec_lo, exec_lo, s52
	s_and_saveexec_b32 s52, s35
	s_cbranch_execnz .LBB191_854
	s_branch .LBB191_855
.LBB191_874:
	s_mov_b32 s34, -1
                                        ; implicit-def: $vgpr6
.LBB191_875:
	s_mov_b32 s52, 0
.LBB191_876:
	s_delay_alu instid0(SALU_CYCLE_1)
	s_and_b32 vcc_lo, exec_lo, s52
	s_cbranch_vccz .LBB191_880
; %bb.877:
	s_cmp_eq_u32 s0, 11
	s_cbranch_scc0 .LBB191_879
; %bb.878:
	global_load_u8 v6, v[4:5], off
	s_mov_b32 s34, 0
	s_mov_b32 s35, -1
	s_wait_loadcnt 0x0
	v_cmp_ne_u16_e32 vcc_lo, 0, v6
	v_cndmask_b32_e64 v6, 0, 0x3c00, vcc_lo
	s_branch .LBB191_880
.LBB191_879:
	s_mov_b32 s34, -1
                                        ; implicit-def: $vgpr6
.LBB191_880:
	s_mov_b32 s52, 0
.LBB191_881:
	s_delay_alu instid0(SALU_CYCLE_1)
	s_and_b32 vcc_lo, exec_lo, s52
	s_cbranch_vccz .LBB191_930
; %bb.882:
	s_cmp_lt_i32 s0, 5
	s_cbranch_scc1 .LBB191_887
; %bb.883:
	s_cmp_lt_i32 s0, 8
	s_cbranch_scc1 .LBB191_888
	;; [unrolled: 3-line block ×3, first 2 shown]
; %bb.885:
	s_cmp_gt_i32 s0, 9
	s_cbranch_scc0 .LBB191_890
; %bb.886:
	global_load_b64 v[6:7], v[4:5], off
	s_mov_b32 s35, 0
	s_wait_loadcnt 0x0
	v_and_or_b32 v6, 0x1ff, v7, v6
	v_lshrrev_b32_e32 v8, 8, v7
	v_bfe_u32 v9, v7, 20, 11
	v_lshrrev_b32_e32 v7, 16, v7
	s_delay_alu instid0(VALU_DEP_4) | instskip(NEXT) | instid1(VALU_DEP_3)
	v_cmp_ne_u32_e32 vcc_lo, 0, v6
	v_sub_nc_u32_e32 v10, 0x3f1, v9
	v_add_nc_u32_e32 v9, 0xfffffc10, v9
	v_cndmask_b32_e64 v6, 0, 1, vcc_lo
	s_delay_alu instid0(VALU_DEP_1) | instskip(NEXT) | instid1(VALU_DEP_4)
	v_and_or_b32 v6, 0xffe, v8, v6
	v_med3_i32 v8, v10, 0, 13
	s_delay_alu instid0(VALU_DEP_2) | instskip(NEXT) | instid1(VALU_DEP_1)
	v_or_b32_e32 v10, 0x1000, v6
	v_lshrrev_b32_e32 v11, v8, v10
	s_delay_alu instid0(VALU_DEP_1) | instskip(NEXT) | instid1(VALU_DEP_1)
	v_lshlrev_b32_e32 v8, v8, v11
	v_cmp_ne_u32_e32 vcc_lo, v8, v10
	v_lshl_or_b32 v10, v9, 12, v6
	v_cndmask_b32_e64 v8, 0, 1, vcc_lo
	v_cmp_gt_i32_e32 vcc_lo, 1, v9
	s_delay_alu instid0(VALU_DEP_2) | instskip(NEXT) | instid1(VALU_DEP_1)
	v_or_b32_e32 v8, v11, v8
	v_cndmask_b32_e32 v8, v10, v8, vcc_lo
	s_delay_alu instid0(VALU_DEP_1) | instskip(NEXT) | instid1(VALU_DEP_1)
	v_dual_lshrrev_b32 v8, 2, v8 :: v_dual_bitop2_b32 v10, 7, v8 bitop3:0x40
	v_cmp_lt_i32_e32 vcc_lo, 5, v10
	v_cndmask_b32_e64 v11, 0, 1, vcc_lo
	v_cmp_eq_u32_e32 vcc_lo, 3, v10
	v_cndmask_b32_e64 v10, 0, 1, vcc_lo
	v_cmp_ne_u32_e32 vcc_lo, 0, v6
	s_delay_alu instid0(VALU_DEP_2) | instskip(NEXT) | instid1(VALU_DEP_1)
	v_or_b32_e32 v10, v10, v11
	v_dual_mov_b32 v11, 0x7e00 :: v_dual_add_nc_u32 v8, v8, v10
	s_delay_alu instid0(VALU_DEP_1) | instskip(SKIP_1) | instid1(VALU_DEP_3)
	v_cndmask_b32_e32 v6, 0x7c00, v11, vcc_lo
	v_cmp_gt_i32_e32 vcc_lo, 31, v9
	v_cndmask_b32_e32 v8, 0x7c00, v8, vcc_lo
	v_cmp_eq_u32_e32 vcc_lo, 0x40f, v9
	s_delay_alu instid0(VALU_DEP_2) | instskip(NEXT) | instid1(VALU_DEP_1)
	v_cndmask_b32_e32 v6, v8, v6, vcc_lo
	v_and_or_b32 v6, 0x8000, v7, v6
	s_branch .LBB191_891
.LBB191_887:
	s_mov_b32 s35, -1
                                        ; implicit-def: $vgpr6
	s_branch .LBB191_909
.LBB191_888:
	s_mov_b32 s35, -1
                                        ; implicit-def: $vgpr6
	s_branch .LBB191_897
.LBB191_889:
	s_mov_b32 s35, -1
                                        ; implicit-def: $vgpr6
	s_branch .LBB191_894
.LBB191_890:
	s_mov_b32 s35, -1
                                        ; implicit-def: $vgpr6
.LBB191_891:
	s_delay_alu instid0(SALU_CYCLE_1)
	s_and_not1_b32 vcc_lo, exec_lo, s35
	s_cbranch_vccnz .LBB191_893
; %bb.892:
	global_load_b32 v6, v[4:5], off
	s_wait_loadcnt 0x0
	v_cvt_f16_f32_e32 v6, v6
.LBB191_893:
	s_mov_b32 s35, 0
.LBB191_894:
	s_delay_alu instid0(SALU_CYCLE_1)
	s_and_not1_b32 vcc_lo, exec_lo, s35
	s_cbranch_vccnz .LBB191_896
; %bb.895:
	global_load_b32 v6, v[4:5], off
.LBB191_896:
	s_mov_b32 s35, 0
.LBB191_897:
	s_delay_alu instid0(SALU_CYCLE_1)
	s_and_not1_b32 vcc_lo, exec_lo, s35
	s_cbranch_vccnz .LBB191_908
; %bb.898:
	s_cmp_lt_i32 s0, 6
	s_cbranch_scc1 .LBB191_901
; %bb.899:
	s_cmp_gt_i32 s0, 6
	s_cbranch_scc0 .LBB191_902
; %bb.900:
	s_wait_loadcnt 0x0
	global_load_b64 v[6:7], v[4:5], off
	s_mov_b32 s35, 0
	s_wait_loadcnt 0x0
	v_and_or_b32 v6, 0x1ff, v7, v6
	v_lshrrev_b32_e32 v8, 8, v7
	v_bfe_u32 v9, v7, 20, 11
	v_lshrrev_b32_e32 v7, 16, v7
	s_delay_alu instid0(VALU_DEP_4) | instskip(NEXT) | instid1(VALU_DEP_3)
	v_cmp_ne_u32_e32 vcc_lo, 0, v6
	v_sub_nc_u32_e32 v10, 0x3f1, v9
	v_add_nc_u32_e32 v9, 0xfffffc10, v9
	v_cndmask_b32_e64 v6, 0, 1, vcc_lo
	s_delay_alu instid0(VALU_DEP_1) | instskip(NEXT) | instid1(VALU_DEP_4)
	v_and_or_b32 v6, 0xffe, v8, v6
	v_med3_i32 v8, v10, 0, 13
	s_delay_alu instid0(VALU_DEP_2) | instskip(NEXT) | instid1(VALU_DEP_1)
	v_or_b32_e32 v10, 0x1000, v6
	v_lshrrev_b32_e32 v11, v8, v10
	s_delay_alu instid0(VALU_DEP_1) | instskip(NEXT) | instid1(VALU_DEP_1)
	v_lshlrev_b32_e32 v8, v8, v11
	v_cmp_ne_u32_e32 vcc_lo, v8, v10
	v_lshl_or_b32 v10, v9, 12, v6
	v_cndmask_b32_e64 v8, 0, 1, vcc_lo
	v_cmp_gt_i32_e32 vcc_lo, 1, v9
	s_delay_alu instid0(VALU_DEP_2) | instskip(NEXT) | instid1(VALU_DEP_1)
	v_or_b32_e32 v8, v11, v8
	v_cndmask_b32_e32 v8, v10, v8, vcc_lo
	s_delay_alu instid0(VALU_DEP_1) | instskip(NEXT) | instid1(VALU_DEP_1)
	v_dual_lshrrev_b32 v8, 2, v8 :: v_dual_bitop2_b32 v10, 7, v8 bitop3:0x40
	v_cmp_lt_i32_e32 vcc_lo, 5, v10
	v_cndmask_b32_e64 v11, 0, 1, vcc_lo
	v_cmp_eq_u32_e32 vcc_lo, 3, v10
	v_cndmask_b32_e64 v10, 0, 1, vcc_lo
	v_cmp_ne_u32_e32 vcc_lo, 0, v6
	s_delay_alu instid0(VALU_DEP_2) | instskip(NEXT) | instid1(VALU_DEP_1)
	v_or_b32_e32 v10, v10, v11
	v_dual_mov_b32 v11, 0x7e00 :: v_dual_add_nc_u32 v8, v8, v10
	s_delay_alu instid0(VALU_DEP_1) | instskip(SKIP_1) | instid1(VALU_DEP_3)
	v_cndmask_b32_e32 v6, 0x7c00, v11, vcc_lo
	v_cmp_gt_i32_e32 vcc_lo, 31, v9
	v_cndmask_b32_e32 v8, 0x7c00, v8, vcc_lo
	v_cmp_eq_u32_e32 vcc_lo, 0x40f, v9
	s_delay_alu instid0(VALU_DEP_2) | instskip(NEXT) | instid1(VALU_DEP_1)
	v_cndmask_b32_e32 v6, v8, v6, vcc_lo
	v_and_or_b32 v6, 0x8000, v7, v6
	s_branch .LBB191_903
.LBB191_901:
	s_mov_b32 s35, -1
                                        ; implicit-def: $vgpr6
	s_branch .LBB191_906
.LBB191_902:
	s_mov_b32 s35, -1
                                        ; implicit-def: $vgpr6
.LBB191_903:
	s_delay_alu instid0(SALU_CYCLE_1)
	s_and_not1_b32 vcc_lo, exec_lo, s35
	s_cbranch_vccnz .LBB191_905
; %bb.904:
	s_wait_loadcnt 0x0
	global_load_b32 v6, v[4:5], off
	s_wait_loadcnt 0x0
	v_cvt_f16_f32_e32 v6, v6
.LBB191_905:
	s_mov_b32 s35, 0
.LBB191_906:
	s_delay_alu instid0(SALU_CYCLE_1)
	s_and_not1_b32 vcc_lo, exec_lo, s35
	s_cbranch_vccnz .LBB191_908
; %bb.907:
	s_wait_loadcnt 0x0
	global_load_u16 v6, v[4:5], off
.LBB191_908:
	s_mov_b32 s35, 0
.LBB191_909:
	s_delay_alu instid0(SALU_CYCLE_1)
	s_and_not1_b32 vcc_lo, exec_lo, s35
	s_cbranch_vccnz .LBB191_929
; %bb.910:
	s_cmp_lt_i32 s0, 2
	s_cbranch_scc1 .LBB191_914
; %bb.911:
	s_cmp_lt_i32 s0, 3
	s_cbranch_scc1 .LBB191_915
; %bb.912:
	s_cmp_gt_i32 s0, 3
	s_cbranch_scc0 .LBB191_916
; %bb.913:
	s_wait_loadcnt 0x0
	global_load_b64 v[6:7], v[4:5], off
	s_mov_b32 s35, 0
	s_wait_loadcnt 0x0
	v_xor_b32_e32 v8, v6, v7
	v_cls_i32_e32 v9, v7
	s_delay_alu instid0(VALU_DEP_2) | instskip(NEXT) | instid1(VALU_DEP_1)
	v_ashrrev_i32_e32 v8, 31, v8
	v_add_nc_u32_e32 v8, 32, v8
	s_delay_alu instid0(VALU_DEP_1) | instskip(NEXT) | instid1(VALU_DEP_1)
	v_add_min_u32_e64 v8, v9, -1, v8
	v_lshlrev_b64_e32 v[6:7], v8, v[6:7]
	s_delay_alu instid0(VALU_DEP_1) | instskip(NEXT) | instid1(VALU_DEP_1)
	v_min_u32_e32 v6, 1, v6
	v_dual_sub_nc_u32 v7, 32, v8 :: v_dual_bitop2_b32 v6, v7, v6 bitop3:0x54
	s_delay_alu instid0(VALU_DEP_1) | instskip(NEXT) | instid1(VALU_DEP_1)
	v_cvt_f32_i32_e32 v6, v6
	v_ldexp_f32 v6, v6, v7
	s_delay_alu instid0(VALU_DEP_1)
	v_cvt_f16_f32_e32 v6, v6
	s_branch .LBB191_917
.LBB191_914:
	s_mov_b32 s35, -1
                                        ; implicit-def: $vgpr6
	s_branch .LBB191_923
.LBB191_915:
	s_mov_b32 s35, -1
                                        ; implicit-def: $vgpr6
	s_branch .LBB191_920
.LBB191_916:
	s_mov_b32 s35, -1
                                        ; implicit-def: $vgpr6
.LBB191_917:
	s_delay_alu instid0(SALU_CYCLE_1)
	s_and_not1_b32 vcc_lo, exec_lo, s35
	s_cbranch_vccnz .LBB191_919
; %bb.918:
	s_wait_loadcnt 0x0
	global_load_b32 v6, v[4:5], off
	s_wait_loadcnt 0x0
	v_cvt_f32_i32_e32 v6, v6
	s_delay_alu instid0(VALU_DEP_1)
	v_cvt_f16_f32_e32 v6, v6
.LBB191_919:
	s_mov_b32 s35, 0
.LBB191_920:
	s_delay_alu instid0(SALU_CYCLE_1)
	s_and_not1_b32 vcc_lo, exec_lo, s35
	s_cbranch_vccnz .LBB191_922
; %bb.921:
	s_wait_loadcnt 0x0
	global_load_u16 v6, v[4:5], off
	s_wait_loadcnt 0x0
	v_cvt_f16_i16_e32 v6, v6
.LBB191_922:
	s_mov_b32 s35, 0
.LBB191_923:
	s_delay_alu instid0(SALU_CYCLE_1)
	s_and_not1_b32 vcc_lo, exec_lo, s35
	s_cbranch_vccnz .LBB191_929
; %bb.924:
	s_cmp_gt_i32 s0, 0
	s_mov_b32 s0, 0
	s_cbranch_scc0 .LBB191_926
; %bb.925:
	s_wait_loadcnt 0x0
	global_load_i8 v6, v[4:5], off
	s_wait_loadcnt 0x0
	v_cvt_f16_i16_e32 v6, v6
	s_branch .LBB191_927
.LBB191_926:
	s_mov_b32 s0, -1
                                        ; implicit-def: $vgpr6
.LBB191_927:
	s_delay_alu instid0(SALU_CYCLE_1)
	s_and_not1_b32 vcc_lo, exec_lo, s0
	s_cbranch_vccnz .LBB191_929
; %bb.928:
	global_load_u8 v4, v[4:5], off
	s_wait_loadcnt 0x0
	v_cvt_f16_u16_e32 v6, v4
.LBB191_929:
	s_mov_b32 s35, -1
.LBB191_930:
	s_delay_alu instid0(SALU_CYCLE_1)
	s_and_not1_b32 vcc_lo, exec_lo, s35
	s_cbranch_vccnz .LBB191_938
; %bb.931:
	s_wait_loadcnt 0x0
	v_mul_f16_e32 v4, s21, v3
	v_mov_b32_e32 v3, 0
	s_and_b32 s35, s25, 0xff
	s_delay_alu instid0(SALU_CYCLE_1) | instskip(NEXT) | instid1(VALU_DEP_2)
	s_cmp_lt_i32 s35, 11
	v_mul_f16_e32 v4, v4, v6
	s_delay_alu instid0(VALU_DEP_2) | instskip(NEXT) | instid1(VALU_DEP_2)
	v_add_nc_u64_e32 v[2:3], s[4:5], v[2:3]
	v_fmac_f16_e32 v4, s24, v1
	s_cbranch_scc1 .LBB191_939
; %bb.932:
	s_and_b32 s52, 0xffff, s35
	s_delay_alu instid0(SALU_CYCLE_1)
	s_cmp_gt_i32 s52, 25
	s_cbranch_scc0 .LBB191_940
; %bb.933:
	s_cmp_gt_i32 s52, 28
	s_cbranch_scc0 .LBB191_941
; %bb.934:
	;; [unrolled: 3-line block ×4, first 2 shown]
	s_mov_b32 s54, 0
	s_mov_b32 s0, -1
	s_cmp_eq_u32 s52, 46
	s_mov_b32 s53, 0
	s_cbranch_scc0 .LBB191_944
; %bb.937:
	v_cvt_f32_f16_e32 v1, v4
	v_cmp_o_f16_e32 vcc_lo, v4, v4
	s_mov_b32 s53, -1
	s_mov_b32 s0, 0
	s_delay_alu instid0(VALU_DEP_2) | instskip(NEXT) | instid1(VALU_DEP_1)
	v_bfe_u32 v5, v1, 16, 1
	v_add3_u32 v1, v1, v5, 0x7fff
	s_delay_alu instid0(VALU_DEP_1) | instskip(NEXT) | instid1(VALU_DEP_1)
	v_lshrrev_b32_e32 v1, 16, v1
	v_cndmask_b32_e32 v1, 0x7fc0, v1, vcc_lo
	global_store_b32 v[2:3], v1, off
	s_branch .LBB191_944
.LBB191_938:
	s_mov_b32 s35, 0
	s_mov_b32 s0, s44
	s_branch .LBB191_1055
.LBB191_939:
	s_mov_b32 s52, -1
	s_mov_b32 s53, 0
	s_mov_b32 s0, s44
	s_branch .LBB191_1013
.LBB191_940:
	s_mov_b32 s54, -1
	s_mov_b32 s53, 0
	s_mov_b32 s0, s44
	s_branch .LBB191_971
.LBB191_941:
	s_mov_b32 s54, -1
	s_mov_b32 s53, 0
	s_mov_b32 s0, s44
	s_branch .LBB191_954
.LBB191_942:
	s_mov_b32 s54, -1
	s_mov_b32 s53, 0
	s_mov_b32 s0, s44
	s_branch .LBB191_950
.LBB191_943:
	s_mov_b32 s54, -1
	s_mov_b32 s53, 0
	s_mov_b32 s0, s44
.LBB191_944:
	s_and_b32 vcc_lo, exec_lo, s54
	s_cbranch_vccz .LBB191_949
; %bb.945:
	s_cmp_eq_u32 s52, 44
	s_mov_b32 s0, -1
	s_cbranch_scc0 .LBB191_949
; %bb.946:
	s_wait_xcnt 0x0
	v_cvt_f32_f16_e32 v1, v4
	v_mov_b32_e32 v5, 0xff
	s_mov_b32 s53, exec_lo
	s_delay_alu instid0(VALU_DEP_2) | instskip(NEXT) | instid1(VALU_DEP_1)
	v_bfe_u32 v6, v1, 23, 8
	v_cmpx_ne_u32_e32 0xff, v6
	s_cbranch_execz .LBB191_948
; %bb.947:
	v_and_b32_e32 v5, 0x400000, v1
	v_and_or_b32 v6, 0x3fffff, v1, v6
	v_lshrrev_b32_e32 v1, 23, v1
	s_delay_alu instid0(VALU_DEP_3) | instskip(NEXT) | instid1(VALU_DEP_3)
	v_cmp_ne_u32_e32 vcc_lo, 0, v5
	v_cmp_ne_u32_e64 s0, 0, v6
	s_and_b32 s0, vcc_lo, s0
	s_delay_alu instid0(SALU_CYCLE_1) | instskip(NEXT) | instid1(VALU_DEP_1)
	v_cndmask_b32_e64 v5, 0, 1, s0
	v_add_nc_u32_e32 v5, v1, v5
.LBB191_948:
	s_or_b32 exec_lo, exec_lo, s53
	s_mov_b32 s53, -1
	s_mov_b32 s0, 0
	global_store_b8 v[2:3], v5, off
.LBB191_949:
	s_mov_b32 s54, 0
.LBB191_950:
	s_delay_alu instid0(SALU_CYCLE_1)
	s_and_b32 vcc_lo, exec_lo, s54
	s_cbranch_vccz .LBB191_953
; %bb.951:
	s_cmp_eq_u32 s52, 29
	s_mov_b32 s0, -1
	s_cbranch_scc0 .LBB191_953
; %bb.952:
	s_wait_xcnt 0x0
	v_cvt_f32_f16_e32 v1, v4
	v_mov_b32_e32 v7, 0
	s_mov_b32 s53, -1
	s_mov_b32 s0, 0
	s_mov_b32 s54, 0
	v_cvt_u32_f32_e32 v6, v1
	global_store_b64 v[2:3], v[6:7], off
	s_branch .LBB191_954
.LBB191_953:
	s_mov_b32 s54, 0
.LBB191_954:
	s_delay_alu instid0(SALU_CYCLE_1)
	s_and_b32 vcc_lo, exec_lo, s54
	s_cbranch_vccz .LBB191_970
; %bb.955:
	s_cmp_lt_i32 s52, 27
	s_mov_b32 s53, -1
	s_cbranch_scc1 .LBB191_961
; %bb.956:
	s_cmp_gt_i32 s52, 27
	s_cbranch_scc0 .LBB191_958
; %bb.957:
	s_wait_xcnt 0x0
	v_cvt_f32_f16_e32 v1, v4
	s_mov_b32 s53, 0
	s_delay_alu instid0(VALU_DEP_1)
	v_cvt_u32_f32_e32 v1, v1
	global_store_b32 v[2:3], v1, off
.LBB191_958:
	s_and_not1_b32 vcc_lo, exec_lo, s53
	s_cbranch_vccnz .LBB191_960
; %bb.959:
	s_wait_xcnt 0x0
	v_cvt_u16_f16_e32 v1, v4
	global_store_b16 v[2:3], v1, off
.LBB191_960:
	s_mov_b32 s53, 0
.LBB191_961:
	s_delay_alu instid0(SALU_CYCLE_1)
	s_and_not1_b32 vcc_lo, exec_lo, s53
	s_cbranch_vccnz .LBB191_969
; %bb.962:
	s_wait_xcnt 0x0
	v_cvt_f32_f16_e32 v1, v4
	v_mov_b32_e32 v6, 0x80
	s_mov_b32 s53, exec_lo
	s_delay_alu instid0(VALU_DEP_2) | instskip(NEXT) | instid1(VALU_DEP_1)
	v_and_b32_e32 v5, 0x7fffffff, v1
	v_cmpx_gt_u32_e32 0x43800000, v5
	s_cbranch_execz .LBB191_968
; %bb.963:
	v_cmp_lt_u32_e32 vcc_lo, 0x3bffffff, v5
	s_mov_b32 s54, 0
                                        ; implicit-def: $vgpr5
	s_and_saveexec_b32 s55, vcc_lo
	s_delay_alu instid0(SALU_CYCLE_1)
	s_xor_b32 s55, exec_lo, s55
	s_cbranch_execz .LBB191_1213
; %bb.964:
	v_bfe_u32 v5, v1, 20, 1
	s_mov_b32 s54, exec_lo
	s_delay_alu instid0(VALU_DEP_1) | instskip(NEXT) | instid1(VALU_DEP_1)
	v_add3_u32 v5, v1, v5, 0x487ffff
	v_lshrrev_b32_e32 v5, 20, v5
	s_and_not1_saveexec_b32 s55, s55
	s_cbranch_execnz .LBB191_1214
.LBB191_965:
	s_or_b32 exec_lo, exec_lo, s55
	v_mov_b32_e32 v6, 0
	s_and_saveexec_b32 s55, s54
.LBB191_966:
	v_lshrrev_b32_e32 v1, 24, v1
	s_delay_alu instid0(VALU_DEP_1)
	v_and_or_b32 v6, 0x80, v1, v5
.LBB191_967:
	s_or_b32 exec_lo, exec_lo, s55
.LBB191_968:
	s_delay_alu instid0(SALU_CYCLE_1)
	s_or_b32 exec_lo, exec_lo, s53
	global_store_b8 v[2:3], v6, off
.LBB191_969:
	s_mov_b32 s53, -1
.LBB191_970:
	s_mov_b32 s54, 0
.LBB191_971:
	s_delay_alu instid0(SALU_CYCLE_1)
	s_and_b32 vcc_lo, exec_lo, s54
	s_cbranch_vccz .LBB191_1012
; %bb.972:
	s_cmp_gt_i32 s52, 22
	s_mov_b32 s54, -1
	s_cbranch_scc0 .LBB191_1004
; %bb.973:
	s_cmp_lt_i32 s52, 24
	s_mov_b32 s53, -1
	s_cbranch_scc1 .LBB191_993
; %bb.974:
	s_cmp_gt_i32 s52, 24
	s_cbranch_scc0 .LBB191_982
; %bb.975:
	s_wait_xcnt 0x0
	v_cvt_f32_f16_e32 v1, v4
	v_mov_b32_e32 v6, 0x80
	s_mov_b32 s53, exec_lo
	s_delay_alu instid0(VALU_DEP_2) | instskip(NEXT) | instid1(VALU_DEP_1)
	v_and_b32_e32 v5, 0x7fffffff, v1
	v_cmpx_gt_u32_e32 0x47800000, v5
	s_cbranch_execz .LBB191_981
; %bb.976:
	v_cmp_lt_u32_e32 vcc_lo, 0x37ffffff, v5
	s_mov_b32 s54, 0
                                        ; implicit-def: $vgpr5
	s_and_saveexec_b32 s55, vcc_lo
	s_delay_alu instid0(SALU_CYCLE_1)
	s_xor_b32 s55, exec_lo, s55
	s_cbranch_execz .LBB191_1345
; %bb.977:
	v_bfe_u32 v5, v1, 21, 1
	s_mov_b32 s54, exec_lo
	s_delay_alu instid0(VALU_DEP_1) | instskip(NEXT) | instid1(VALU_DEP_1)
	v_add3_u32 v5, v1, v5, 0x88fffff
	v_lshrrev_b32_e32 v5, 21, v5
	s_and_not1_saveexec_b32 s55, s55
	s_cbranch_execnz .LBB191_1346
.LBB191_978:
	s_or_b32 exec_lo, exec_lo, s55
	v_mov_b32_e32 v6, 0
	s_and_saveexec_b32 s55, s54
.LBB191_979:
	v_lshrrev_b32_e32 v1, 24, v1
	s_delay_alu instid0(VALU_DEP_1)
	v_and_or_b32 v6, 0x80, v1, v5
.LBB191_980:
	s_or_b32 exec_lo, exec_lo, s55
.LBB191_981:
	s_delay_alu instid0(SALU_CYCLE_1)
	s_or_b32 exec_lo, exec_lo, s53
	s_mov_b32 s53, 0
	global_store_b8 v[2:3], v6, off
.LBB191_982:
	s_and_b32 vcc_lo, exec_lo, s53
	s_cbranch_vccz .LBB191_992
; %bb.983:
	s_wait_xcnt 0x0
	v_cvt_f32_f16_e32 v1, v4
	s_mov_b32 s53, exec_lo
                                        ; implicit-def: $vgpr5
	s_delay_alu instid0(VALU_DEP_1) | instskip(NEXT) | instid1(VALU_DEP_1)
	v_and_b32_e32 v6, 0x7fffffff, v1
	v_cmpx_gt_u32_e32 0x43f00000, v6
	s_xor_b32 s53, exec_lo, s53
	s_cbranch_execz .LBB191_989
; %bb.984:
	s_mov_b32 s54, exec_lo
                                        ; implicit-def: $vgpr5
	v_cmpx_lt_u32_e32 0x3c7fffff, v6
	s_xor_b32 s54, exec_lo, s54
; %bb.985:
	v_bfe_u32 v5, v1, 20, 1
	s_delay_alu instid0(VALU_DEP_1) | instskip(NEXT) | instid1(VALU_DEP_1)
	v_add3_u32 v5, v1, v5, 0x407ffff
	v_and_b32_e32 v6, 0xff00000, v5
	v_lshrrev_b32_e32 v5, 20, v5
	s_delay_alu instid0(VALU_DEP_2) | instskip(NEXT) | instid1(VALU_DEP_2)
	v_cmp_ne_u32_e32 vcc_lo, 0x7f00000, v6
	v_cndmask_b32_e32 v5, 0x7e, v5, vcc_lo
; %bb.986:
	s_and_not1_saveexec_b32 s54, s54
; %bb.987:
	v_add_f32_e64 v5, 0x46800000, |v1|
; %bb.988:
	s_or_b32 exec_lo, exec_lo, s54
                                        ; implicit-def: $vgpr6
.LBB191_989:
	s_and_not1_saveexec_b32 s53, s53
; %bb.990:
	v_mov_b32_e32 v5, 0x7f
	v_cmp_lt_u32_e32 vcc_lo, 0x7f800000, v6
	s_delay_alu instid0(VALU_DEP_2)
	v_cndmask_b32_e32 v5, 0x7e, v5, vcc_lo
; %bb.991:
	s_or_b32 exec_lo, exec_lo, s53
	v_lshrrev_b32_e32 v1, 24, v1
	s_delay_alu instid0(VALU_DEP_1)
	v_and_or_b32 v1, 0x80, v1, v5
	global_store_b8 v[2:3], v1, off
.LBB191_992:
	s_mov_b32 s53, 0
.LBB191_993:
	s_delay_alu instid0(SALU_CYCLE_1)
	s_and_not1_b32 vcc_lo, exec_lo, s53
	s_cbranch_vccnz .LBB191_1003
; %bb.994:
	s_wait_xcnt 0x0
	v_cvt_f32_f16_e32 v1, v4
	s_mov_b32 s53, exec_lo
                                        ; implicit-def: $vgpr5
	s_delay_alu instid0(VALU_DEP_1) | instskip(NEXT) | instid1(VALU_DEP_1)
	v_and_b32_e32 v6, 0x7fffffff, v1
	v_cmpx_gt_u32_e32 0x47800000, v6
	s_xor_b32 s53, exec_lo, s53
	s_cbranch_execz .LBB191_1000
; %bb.995:
	s_mov_b32 s54, exec_lo
                                        ; implicit-def: $vgpr5
	v_cmpx_lt_u32_e32 0x387fffff, v6
	s_xor_b32 s54, exec_lo, s54
; %bb.996:
	v_bfe_u32 v5, v1, 21, 1
	s_delay_alu instid0(VALU_DEP_1) | instskip(NEXT) | instid1(VALU_DEP_1)
	v_add3_u32 v5, v1, v5, 0x80fffff
	v_lshrrev_b32_e32 v5, 21, v5
; %bb.997:
	s_and_not1_saveexec_b32 s54, s54
; %bb.998:
	v_add_f32_e64 v5, 0x43000000, |v1|
; %bb.999:
	s_or_b32 exec_lo, exec_lo, s54
                                        ; implicit-def: $vgpr6
.LBB191_1000:
	s_and_not1_saveexec_b32 s53, s53
; %bb.1001:
	v_mov_b32_e32 v5, 0x7f
	v_cmp_lt_u32_e32 vcc_lo, 0x7f800000, v6
	s_delay_alu instid0(VALU_DEP_2)
	v_cndmask_b32_e32 v5, 0x7c, v5, vcc_lo
; %bb.1002:
	s_or_b32 exec_lo, exec_lo, s53
	v_lshrrev_b32_e32 v1, 24, v1
	s_delay_alu instid0(VALU_DEP_1)
	v_and_or_b32 v1, 0x80, v1, v5
	global_store_b8 v[2:3], v1, off
.LBB191_1003:
	s_mov_b32 s54, 0
	s_mov_b32 s53, -1
.LBB191_1004:
	s_and_not1_b32 vcc_lo, exec_lo, s54
	s_cbranch_vccnz .LBB191_1012
; %bb.1005:
	s_cmp_gt_i32 s52, 14
	s_mov_b32 s54, -1
	s_cbranch_scc0 .LBB191_1009
; %bb.1006:
	s_cmp_eq_u32 s52, 15
	s_mov_b32 s0, -1
	s_cbranch_scc0 .LBB191_1008
; %bb.1007:
	s_wait_xcnt 0x0
	v_cvt_f32_f16_e32 v1, v4
	v_cmp_o_f16_e32 vcc_lo, v4, v4
	s_mov_b32 s53, -1
	s_mov_b32 s0, 0
	s_delay_alu instid0(VALU_DEP_2) | instskip(NEXT) | instid1(VALU_DEP_1)
	v_bfe_u32 v5, v1, 16, 1
	v_add3_u32 v1, v1, v5, 0x7fff
	s_delay_alu instid0(VALU_DEP_1) | instskip(NEXT) | instid1(VALU_DEP_1)
	v_lshrrev_b32_e32 v1, 16, v1
	v_cndmask_b32_e32 v1, 0x7fc0, v1, vcc_lo
	global_store_b16 v[2:3], v1, off
.LBB191_1008:
	s_mov_b32 s54, 0
.LBB191_1009:
	s_delay_alu instid0(SALU_CYCLE_1)
	s_and_b32 vcc_lo, exec_lo, s54
	s_cbranch_vccz .LBB191_1012
; %bb.1010:
	s_cmp_eq_u32 s52, 11
	s_mov_b32 s0, -1
	s_cbranch_scc0 .LBB191_1012
; %bb.1011:
	v_cmp_neq_f16_e32 vcc_lo, 0, v4
	s_mov_b32 s0, 0
	s_mov_b32 s53, -1
	s_wait_xcnt 0x0
	v_cndmask_b32_e64 v1, 0, 1, vcc_lo
	global_store_b8 v[2:3], v1, off
.LBB191_1012:
	s_mov_b32 s52, 0
.LBB191_1013:
	s_delay_alu instid0(SALU_CYCLE_1)
	s_and_b32 vcc_lo, exec_lo, s52
	s_cbranch_vccz .LBB191_1052
; %bb.1014:
	s_and_b32 s35, 0xffff, s35
	s_mov_b32 s52, -1
	s_cmp_lt_i32 s35, 5
	s_cbranch_scc1 .LBB191_1035
; %bb.1015:
	s_cmp_lt_i32 s35, 8
	s_cbranch_scc1 .LBB191_1025
; %bb.1016:
	;; [unrolled: 3-line block ×3, first 2 shown]
	s_cmp_gt_i32 s35, 9
	s_cbranch_scc0 .LBB191_1019
; %bb.1018:
	s_wait_xcnt 0x0
	v_cvt_f32_f16_e32 v1, v4
	v_mov_b32_e32 v8, 0
	s_mov_b32 s52, 0
	s_delay_alu instid0(VALU_DEP_2) | instskip(NEXT) | instid1(VALU_DEP_2)
	v_cvt_f64_f32_e32 v[6:7], v1
	v_mov_b32_e32 v9, v8
	global_store_b128 v[2:3], v[6:9], off
.LBB191_1019:
	s_and_not1_b32 vcc_lo, exec_lo, s52
	s_cbranch_vccnz .LBB191_1021
; %bb.1020:
	s_wait_xcnt 0x0
	v_cvt_f32_f16_e32 v6, v4
	v_mov_b32_e32 v7, 0
	global_store_b64 v[2:3], v[6:7], off
.LBB191_1021:
	s_mov_b32 s52, 0
.LBB191_1022:
	s_delay_alu instid0(SALU_CYCLE_1)
	s_and_not1_b32 vcc_lo, exec_lo, s52
	s_cbranch_vccnz .LBB191_1024
; %bb.1023:
	s_wait_xcnt 0x0
	v_and_b32_e32 v1, 0xffff, v4
	global_store_b32 v[2:3], v1, off
.LBB191_1024:
	s_mov_b32 s52, 0
.LBB191_1025:
	s_delay_alu instid0(SALU_CYCLE_1)
	s_and_not1_b32 vcc_lo, exec_lo, s52
	s_cbranch_vccnz .LBB191_1034
; %bb.1026:
	s_cmp_lt_i32 s35, 6
	s_mov_b32 s52, -1
	s_cbranch_scc1 .LBB191_1032
; %bb.1027:
	s_cmp_gt_i32 s35, 6
	s_cbranch_scc0 .LBB191_1029
; %bb.1028:
	s_wait_xcnt 0x0
	v_cvt_f32_f16_e32 v1, v4
	s_mov_b32 s52, 0
	s_delay_alu instid0(VALU_DEP_1)
	v_cvt_f64_f32_e32 v[6:7], v1
	global_store_b64 v[2:3], v[6:7], off
.LBB191_1029:
	s_and_not1_b32 vcc_lo, exec_lo, s52
	s_cbranch_vccnz .LBB191_1031
; %bb.1030:
	s_wait_xcnt 0x0
	v_cvt_f32_f16_e32 v1, v4
	global_store_b32 v[2:3], v1, off
.LBB191_1031:
	s_mov_b32 s52, 0
.LBB191_1032:
	s_delay_alu instid0(SALU_CYCLE_1)
	s_and_not1_b32 vcc_lo, exec_lo, s52
	s_cbranch_vccnz .LBB191_1034
; %bb.1033:
	global_store_b16 v[2:3], v4, off
.LBB191_1034:
	s_mov_b32 s52, 0
.LBB191_1035:
	s_delay_alu instid0(SALU_CYCLE_1)
	s_and_not1_b32 vcc_lo, exec_lo, s52
	s_cbranch_vccnz .LBB191_1051
; %bb.1036:
	s_cmp_lt_i32 s35, 2
	s_mov_b32 s52, -1
	s_cbranch_scc1 .LBB191_1046
; %bb.1037:
	s_cmp_lt_i32 s35, 3
	s_cbranch_scc1 .LBB191_1043
; %bb.1038:
	s_cmp_gt_i32 s35, 3
	s_cbranch_scc0 .LBB191_1040
; %bb.1039:
	s_wait_xcnt 0x0
	v_cvt_f32_f16_e32 v1, v4
	s_mov_b32 s52, 0
	s_delay_alu instid0(VALU_DEP_1) | instskip(NEXT) | instid1(VALU_DEP_1)
	v_cvt_i32_f32_e32 v6, v1
	v_ashrrev_i32_e32 v7, 31, v6
	global_store_b64 v[2:3], v[6:7], off
.LBB191_1040:
	s_and_not1_b32 vcc_lo, exec_lo, s52
	s_cbranch_vccnz .LBB191_1042
; %bb.1041:
	s_wait_xcnt 0x0
	v_cvt_f32_f16_e32 v1, v4
	s_delay_alu instid0(VALU_DEP_1)
	v_cvt_i32_f32_e32 v1, v1
	global_store_b32 v[2:3], v1, off
.LBB191_1042:
	s_mov_b32 s52, 0
.LBB191_1043:
	s_delay_alu instid0(SALU_CYCLE_1)
	s_and_not1_b32 vcc_lo, exec_lo, s52
	s_cbranch_vccnz .LBB191_1045
; %bb.1044:
	s_wait_xcnt 0x0
	v_cvt_i16_f16_e32 v1, v4
	global_store_b16 v[2:3], v1, off
.LBB191_1045:
	s_mov_b32 s52, 0
.LBB191_1046:
	s_delay_alu instid0(SALU_CYCLE_1)
	s_and_not1_b32 vcc_lo, exec_lo, s52
	s_cbranch_vccnz .LBB191_1051
; %bb.1047:
	s_cmp_gt_i32 s35, 0
	s_mov_b32 s35, -1
	s_cbranch_scc0 .LBB191_1049
; %bb.1048:
	s_wait_xcnt 0x0
	v_cvt_i16_f16_e32 v1, v4
	s_mov_b32 s35, 0
	global_store_b8 v[2:3], v1, off
.LBB191_1049:
	s_and_not1_b32 vcc_lo, exec_lo, s35
	s_cbranch_vccnz .LBB191_1051
; %bb.1050:
	s_wait_xcnt 0x0
	v_cvt_f32_f16_e32 v1, v4
	s_delay_alu instid0(VALU_DEP_1)
	v_cvt_i32_f32_e32 v1, v1
	global_store_b8 v[2:3], v1, off
.LBB191_1051:
	s_mov_b32 s53, -1
.LBB191_1052:
	s_delay_alu instid0(SALU_CYCLE_1)
	s_and_not1_b32 vcc_lo, exec_lo, s53
	s_cbranch_vccnz .LBB191_1054
; %bb.1053:
	v_add_nc_u32_e32 v0, 0x80, v0
	s_mov_b32 s35, -1
	s_branch .LBB191_1056
.LBB191_1054:
	s_mov_b32 s35, 0
.LBB191_1055:
                                        ; implicit-def: $vgpr0
.LBB191_1056:
	s_and_not1_b32 s52, s44, exec_lo
	s_and_b32 s0, s0, exec_lo
	s_and_not1_b32 s54, s48, exec_lo
	s_and_b32 s34, s34, exec_lo
	s_or_b32 s53, s52, s0
	s_or_b32 s54, s54, s34
	s_and_not1_b32 s0, s49, exec_lo
	s_and_b32 s31, s31, exec_lo
	s_and_not1_b32 s34, s50, exec_lo
	s_and_b32 s30, s30, exec_lo
	s_or_b32 s55, s0, s31
	s_or_b32 s52, s34, s30
	s_or_not1_b32 s35, s35, exec_lo
.LBB191_1057:
	s_wait_xcnt 0x0
	s_or_b32 exec_lo, exec_lo, s56
	s_mov_b32 s31, 0
	s_mov_b32 s34, 0
	;; [unrolled: 1-line block ×3, first 2 shown]
                                        ; implicit-def: $sgpr0
                                        ; implicit-def: $vgpr8_vgpr9
                                        ; implicit-def: $vgpr2
                                        ; implicit-def: $vgpr4
                                        ; implicit-def: $vgpr6
                                        ; implicit-def: $vgpr10
	s_and_saveexec_b32 s56, s35
	s_cbranch_execz .LBB191_1684
; %bb.1058:
	s_mov_b32 s35, -1
	s_mov_b32 s58, s52
	s_mov_b32 s60, s55
	;; [unrolled: 1-line block ×4, first 2 shown]
	s_mov_b32 s57, exec_lo
	v_cmpx_gt_i32_e64 s46, v0
	s_cbranch_execz .LBB191_1590
; %bb.1059:
	s_and_not1_b32 vcc_lo, exec_lo, s38
	s_cbranch_vccnz .LBB191_1065
; %bb.1060:
	s_and_not1_b32 vcc_lo, exec_lo, s47
	s_cbranch_vccnz .LBB191_1066
; %bb.1061:
	s_wait_loadcnt 0x0
	v_dual_mov_b32 v6, 0 :: v_dual_mov_b32 v1, v0
	v_dual_mov_b32 v4, 0 :: v_dual_mov_b32 v2, 0
	v_mov_b32_e32 v8, 0
	s_add_co_i32 s0, s45, 1
	s_mov_b64 s[30:31], 0xffffffffffffffe0
	s_and_b32 s0, s0, 30
	s_add_nc_u64 s[30:31], s[2:3], s[30:31]
	s_mov_b64 s[34:35], s[2:3]
.LBB191_1062:                           ; =>This Inner Loop Header: Depth=1
	s_clause 0x1
	s_load_b128 s[68:71], s[34:35], 0x4
	s_load_b64 s[58:59], s[34:35], 0x14
	s_load_b256 s[60:67], s[30:31], 0xe4
	s_add_co_i32 s0, s0, -2
	s_wait_xcnt 0x0
	s_add_nc_u64 s[34:35], s[34:35], 24
	s_cmp_eq_u32 s0, 0
	s_add_nc_u64 s[30:31], s[30:31], 32
	s_wait_kmcnt 0x0
	v_mul_hi_u32 v3, s69, v1
	s_delay_alu instid0(VALU_DEP_1) | instskip(NEXT) | instid1(VALU_DEP_1)
	v_add_nc_u32_e32 v3, v1, v3
	v_lshrrev_b32_e32 v3, s70, v3
	s_delay_alu instid0(VALU_DEP_1) | instskip(SKIP_1) | instid1(VALU_DEP_1)
	v_mul_hi_u32 v5, s58, v3
	v_mul_lo_u32 v7, v3, s68
	v_dual_add_nc_u32 v5, v3, v5 :: v_dual_sub_nc_u32 v7, v1, v7
	s_delay_alu instid0(VALU_DEP_1) | instskip(NEXT) | instid1(VALU_DEP_2)
	v_lshrrev_b32_e32 v1, s59, v5
	v_mad_u32 v8, v7, s61, v8
	v_mad_u32 v2, v7, s60, v2
	;; [unrolled: 1-line block ×4, first 2 shown]
	v_mul_lo_u32 v5, v1, s71
	s_delay_alu instid0(VALU_DEP_1) | instskip(NEXT) | instid1(VALU_DEP_1)
	v_sub_nc_u32_e32 v3, v3, v5
	v_mad_u32 v8, v3, s65, v8
	v_mad_u32 v2, v3, s64, v2
	;; [unrolled: 1-line block ×4, first 2 shown]
	s_cbranch_scc0 .LBB191_1062
; %bb.1063:
	s_bitcmp1_b32 s45, 0
	s_cselect_b32 s0, -1, 0
	s_delay_alu instid0(SALU_CYCLE_1)
	s_and_b32 vcc_lo, exec_lo, s0
	s_cbranch_vccnz .LBB191_1067
; %bb.1064:
	s_load_b96 s[64:66], s[34:35], 0x4
	s_load_b128 s[60:63], s[30:31], 0xe4
	s_wait_kmcnt 0x0
	v_mul_hi_u32 v3, s65, v1
	s_delay_alu instid0(VALU_DEP_1) | instskip(NEXT) | instid1(VALU_DEP_1)
	v_add_nc_u32_e32 v3, v1, v3
	v_lshrrev_b32_e32 v3, s66, v3
	s_delay_alu instid0(VALU_DEP_1) | instskip(NEXT) | instid1(VALU_DEP_1)
	v_mul_lo_u32 v3, v3, s64
	v_sub_nc_u32_e32 v1, v1, v3
	s_delay_alu instid0(VALU_DEP_1)
	v_mad_u32 v2, v1, s60, v2
	v_mad_u32 v8, v1, s61, v8
	;; [unrolled: 1-line block ×4, first 2 shown]
	s_branch .LBB191_1067
.LBB191_1065:
	s_mov_b32 s0, -1
                                        ; implicit-def: $vgpr8
                                        ; implicit-def: $vgpr2
                                        ; implicit-def: $vgpr4
                                        ; implicit-def: $vgpr6
	s_branch .LBB191_1068
.LBB191_1066:
	v_dual_mov_b32 v8, 0 :: v_dual_mov_b32 v2, 0
	s_wait_loadcnt 0x0
	v_dual_mov_b32 v4, 0 :: v_dual_mov_b32 v6, 0
.LBB191_1067:
	s_mov_b32 s0, 0
.LBB191_1068:
	s_delay_alu instid0(SALU_CYCLE_1)
	s_and_not1_b32 vcc_lo, exec_lo, s0
	s_cbranch_vccnz .LBB191_1071
; %bb.1069:
	s_wait_loadcnt 0x0
	v_mov_b32_e32 v1, 0
	s_and_not1_b32 vcc_lo, exec_lo, s43
	s_delay_alu instid0(VALU_DEP_1) | instskip(NEXT) | instid1(VALU_DEP_1)
	v_mul_u64_e32 v[2:3], s[26:27], v[0:1]
	v_add_nc_u32_e32 v2, v0, v3
	s_delay_alu instid0(VALU_DEP_1) | instskip(NEXT) | instid1(VALU_DEP_1)
	v_lshrrev_b32_e32 v10, s22, v2
	v_mul_lo_u32 v2, v10, s20
	s_delay_alu instid0(VALU_DEP_1) | instskip(NEXT) | instid1(VALU_DEP_1)
	v_sub_nc_u32_e32 v3, v0, v2
	v_mul_lo_u32 v8, v3, s13
	v_mul_lo_u32 v2, v3, s12
	;; [unrolled: 1-line block ×4, first 2 shown]
	s_cbranch_vccnz .LBB191_1071
; %bb.1070:
	v_mov_b32_e32 v11, v1
	s_delay_alu instid0(VALU_DEP_1) | instskip(NEXT) | instid1(VALU_DEP_1)
	v_mul_u64_e32 v[12:13], s[28:29], v[10:11]
	v_add_nc_u32_e32 v1, v10, v13
	s_delay_alu instid0(VALU_DEP_1) | instskip(NEXT) | instid1(VALU_DEP_1)
	v_lshrrev_b32_e32 v1, s1, v1
	v_mul_lo_u32 v1, v1, s23
	s_delay_alu instid0(VALU_DEP_1) | instskip(NEXT) | instid1(VALU_DEP_1)
	v_sub_nc_u32_e32 v1, v10, v1
	v_mad_u32 v2, v1, s16, v2
	v_mad_u32 v8, v1, s17, v8
	;; [unrolled: 1-line block ×4, first 2 shown]
.LBB191_1071:
	v_mov_b32_e32 v9, 0
	s_and_b32 s0, s42, 0xff
	s_delay_alu instid0(SALU_CYCLE_1) | instskip(NEXT) | instid1(VALU_DEP_1)
	s_cmp_lt_i32 s0, 11
	v_add_nc_u64_e32 v[8:9], s[6:7], v[8:9]
	s_cbranch_scc1 .LBB191_1078
; %bb.1072:
	s_and_b32 s31, 0xffff, s0
	s_delay_alu instid0(SALU_CYCLE_1)
	s_cmp_gt_i32 s31, 25
	s_cbranch_scc0 .LBB191_1079
; %bb.1073:
	s_cmp_gt_i32 s31, 28
	s_cbranch_scc0 .LBB191_1080
; %bb.1074:
	;; [unrolled: 3-line block ×4, first 2 shown]
	s_cmp_eq_u32 s31, 46
	s_mov_b32 s35, 0
	s_cbranch_scc0 .LBB191_1083
; %bb.1077:
	s_wait_loadcnt 0x0
	global_load_b32 v1, v[8:9], off
	s_mov_b32 s34, -1
	s_mov_b32 s30, 0
	s_wait_loadcnt 0x0
	v_lshlrev_b32_e32 v1, 16, v1
	s_delay_alu instid0(VALU_DEP_1)
	v_cvt_f16_f32_e32 v1, v1
	s_branch .LBB191_1085
.LBB191_1078:
	s_mov_b32 s31, -1
	s_mov_b32 s34, 0
	s_mov_b32 s30, s52
                                        ; implicit-def: $vgpr1
	s_branch .LBB191_1150
.LBB191_1079:
	s_mov_b32 s35, -1
	s_mov_b32 s34, 0
	s_mov_b32 s30, s52
                                        ; implicit-def: $vgpr1
	s_branch .LBB191_1114
.LBB191_1080:
	s_mov_b32 s35, -1
	s_mov_b32 s34, 0
	s_mov_b32 s30, s52
                                        ; implicit-def: $vgpr1
	s_branch .LBB191_1095
.LBB191_1081:
	s_mov_b32 s35, -1
	s_mov_b32 s34, 0
	s_mov_b32 s30, s52
                                        ; implicit-def: $vgpr1
	s_branch .LBB191_1090
.LBB191_1082:
	s_mov_b32 s35, -1
	s_mov_b32 s34, 0
	s_mov_b32 s30, s52
	s_branch .LBB191_1084
.LBB191_1083:
	s_mov_b32 s30, -1
	s_mov_b32 s34, 0
.LBB191_1084:
                                        ; implicit-def: $vgpr1
.LBB191_1085:
	s_and_b32 vcc_lo, exec_lo, s35
	s_cbranch_vccz .LBB191_1089
; %bb.1086:
	s_cmp_eq_u32 s31, 44
	s_cbranch_scc0 .LBB191_1088
; %bb.1087:
	s_wait_loadcnt 0x0
	global_load_u8 v1, v[8:9], off
	s_mov_b32 s30, 0
	s_mov_b32 s34, -1
	s_wait_loadcnt 0x0
	v_lshlrev_b32_e32 v3, 23, v1
	v_cmp_ne_u32_e32 vcc_lo, 0xff, v1
	s_delay_alu instid0(VALU_DEP_2) | instskip(NEXT) | instid1(VALU_DEP_1)
	v_cvt_f16_f32_e32 v3, v3
	v_cndmask_b32_e32 v3, 0x7e00, v3, vcc_lo
	v_cmp_ne_u32_e32 vcc_lo, 0, v1
	s_delay_alu instid0(VALU_DEP_2)
	v_cndmask_b32_e32 v1, 0, v3, vcc_lo
	s_branch .LBB191_1089
.LBB191_1088:
	s_mov_b32 s30, -1
                                        ; implicit-def: $vgpr1
.LBB191_1089:
	s_mov_b32 s35, 0
.LBB191_1090:
	s_delay_alu instid0(SALU_CYCLE_1)
	s_and_b32 vcc_lo, exec_lo, s35
	s_cbranch_vccz .LBB191_1094
; %bb.1091:
	s_cmp_eq_u32 s31, 29
	s_cbranch_scc0 .LBB191_1093
; %bb.1092:
	global_load_b64 v[10:11], v[8:9], off
	s_mov_b32 s34, -1
	s_mov_b32 s30, 0
	s_mov_b32 s35, 0
	s_wait_loadcnt 0x0
	v_clz_i32_u32_e32 v1, v11
	s_delay_alu instid0(VALU_DEP_1) | instskip(NEXT) | instid1(VALU_DEP_1)
	v_min_u32_e32 v1, 32, v1
	v_lshlrev_b64_e32 v[10:11], v1, v[10:11]
	v_sub_nc_u32_e32 v1, 32, v1
	s_delay_alu instid0(VALU_DEP_2) | instskip(NEXT) | instid1(VALU_DEP_1)
	v_min_u32_e32 v3, 1, v10
	v_or_b32_e32 v3, v11, v3
	s_delay_alu instid0(VALU_DEP_1) | instskip(NEXT) | instid1(VALU_DEP_1)
	v_cvt_f32_u32_e32 v3, v3
	v_ldexp_f32 v1, v3, v1
	s_delay_alu instid0(VALU_DEP_1)
	v_cvt_f16_f32_e32 v1, v1
	s_branch .LBB191_1095
.LBB191_1093:
	s_mov_b32 s30, -1
                                        ; implicit-def: $vgpr1
.LBB191_1094:
	s_mov_b32 s35, 0
.LBB191_1095:
	s_delay_alu instid0(SALU_CYCLE_1)
	s_and_b32 vcc_lo, exec_lo, s35
	s_cbranch_vccz .LBB191_1113
; %bb.1096:
	s_cmp_lt_i32 s31, 27
	s_cbranch_scc1 .LBB191_1099
; %bb.1097:
	s_cmp_gt_i32 s31, 27
	s_cbranch_scc0 .LBB191_1100
; %bb.1098:
	s_wait_loadcnt 0x0
	global_load_b32 v1, v[8:9], off
	s_mov_b32 s34, 0
	s_wait_loadcnt 0x0
	v_cvt_f32_u32_e32 v1, v1
	s_delay_alu instid0(VALU_DEP_1)
	v_cvt_f16_f32_e32 v1, v1
	s_branch .LBB191_1101
.LBB191_1099:
	s_mov_b32 s34, -1
                                        ; implicit-def: $vgpr1
	s_branch .LBB191_1104
.LBB191_1100:
	s_mov_b32 s34, -1
                                        ; implicit-def: $vgpr1
.LBB191_1101:
	s_delay_alu instid0(SALU_CYCLE_1)
	s_and_not1_b32 vcc_lo, exec_lo, s34
	s_cbranch_vccnz .LBB191_1103
; %bb.1102:
	s_wait_loadcnt 0x0
	global_load_u16 v1, v[8:9], off
	s_wait_loadcnt 0x0
	v_cvt_f16_u16_e32 v1, v1
.LBB191_1103:
	s_mov_b32 s34, 0
.LBB191_1104:
	s_delay_alu instid0(SALU_CYCLE_1)
	s_and_not1_b32 vcc_lo, exec_lo, s34
	s_cbranch_vccnz .LBB191_1112
; %bb.1105:
	s_wait_loadcnt 0x0
	global_load_u8 v3, v[8:9], off
	s_mov_b32 s34, 0
	s_mov_b32 s35, exec_lo
	s_wait_loadcnt 0x0
	v_cmpx_lt_i16_e32 0x7f, v3
	s_xor_b32 s35, exec_lo, s35
	s_cbranch_execz .LBB191_1126
; %bb.1106:
	s_mov_b32 s34, -1
	s_mov_b32 s58, exec_lo
	v_cmpx_eq_u16_e32 0x80, v3
; %bb.1107:
	s_xor_b32 s34, exec_lo, -1
; %bb.1108:
	s_or_b32 exec_lo, exec_lo, s58
	s_delay_alu instid0(SALU_CYCLE_1)
	s_and_b32 s34, s34, exec_lo
	s_or_saveexec_b32 s35, s35
	v_mov_b32_e32 v1, 0x7e00
	s_xor_b32 exec_lo, exec_lo, s35
	s_cbranch_execnz .LBB191_1127
.LBB191_1109:
	s_or_b32 exec_lo, exec_lo, s35
	s_and_saveexec_b32 s35, s34
	s_cbranch_execz .LBB191_1111
.LBB191_1110:
	v_and_b32_e32 v1, 0xffff, v3
	s_delay_alu instid0(VALU_DEP_1) | instskip(SKIP_1) | instid1(VALU_DEP_2)
	v_and_b32_e32 v5, 7, v1
	v_bfe_u32 v11, v1, 3, 4
	v_clz_i32_u32_e32 v7, v5
	s_delay_alu instid0(VALU_DEP_2) | instskip(NEXT) | instid1(VALU_DEP_2)
	v_cmp_eq_u32_e32 vcc_lo, 0, v11
	v_min_u32_e32 v7, 32, v7
	s_delay_alu instid0(VALU_DEP_1) | instskip(NEXT) | instid1(VALU_DEP_1)
	v_subrev_nc_u32_e32 v10, 28, v7
	v_dual_lshlrev_b32 v1, v10, v1 :: v_dual_sub_nc_u32 v7, 29, v7
	s_delay_alu instid0(VALU_DEP_1) | instskip(NEXT) | instid1(VALU_DEP_1)
	v_dual_lshlrev_b32 v3, 24, v3 :: v_dual_bitop2_b32 v1, 7, v1 bitop3:0x40
	v_dual_cndmask_b32 v1, v5, v1, vcc_lo :: v_dual_cndmask_b32 v7, v11, v7, vcc_lo
	s_delay_alu instid0(VALU_DEP_2) | instskip(NEXT) | instid1(VALU_DEP_2)
	v_and_b32_e32 v3, 0x80000000, v3
	v_lshlrev_b32_e32 v1, 20, v1
	s_delay_alu instid0(VALU_DEP_3) | instskip(NEXT) | instid1(VALU_DEP_1)
	v_lshl_add_u32 v5, v7, 23, 0x3b800000
	v_or3_b32 v1, v3, v5, v1
	s_delay_alu instid0(VALU_DEP_1)
	v_cvt_f16_f32_e32 v1, v1
.LBB191_1111:
	s_or_b32 exec_lo, exec_lo, s35
.LBB191_1112:
	s_mov_b32 s34, -1
.LBB191_1113:
	s_mov_b32 s35, 0
.LBB191_1114:
	s_delay_alu instid0(SALU_CYCLE_1)
	s_and_b32 vcc_lo, exec_lo, s35
	s_cbranch_vccz .LBB191_1149
; %bb.1115:
	s_cmp_gt_i32 s31, 22
	s_cbranch_scc0 .LBB191_1125
; %bb.1116:
	s_cmp_lt_i32 s31, 24
	s_cbranch_scc1 .LBB191_1128
; %bb.1117:
	s_cmp_gt_i32 s31, 24
	s_cbranch_scc0 .LBB191_1129
; %bb.1118:
	s_wait_loadcnt 0x0
	global_load_u8 v3, v[8:9], off
	s_mov_b32 s34, 0
	s_mov_b32 s35, exec_lo
	s_wait_loadcnt 0x0
	v_cmpx_lt_i16_e32 0x7f, v3
	s_xor_b32 s35, exec_lo, s35
	s_cbranch_execz .LBB191_1141
; %bb.1119:
	s_mov_b32 s34, -1
	s_mov_b32 s58, exec_lo
	v_cmpx_eq_u16_e32 0x80, v3
; %bb.1120:
	s_xor_b32 s34, exec_lo, -1
; %bb.1121:
	s_or_b32 exec_lo, exec_lo, s58
	s_delay_alu instid0(SALU_CYCLE_1)
	s_and_b32 s34, s34, exec_lo
	s_or_saveexec_b32 s35, s35
	v_mov_b32_e32 v1, 0x7e00
	s_xor_b32 exec_lo, exec_lo, s35
	s_cbranch_execnz .LBB191_1142
.LBB191_1122:
	s_or_b32 exec_lo, exec_lo, s35
	s_and_saveexec_b32 s35, s34
	s_cbranch_execz .LBB191_1124
.LBB191_1123:
	v_and_b32_e32 v1, 0xffff, v3
	s_delay_alu instid0(VALU_DEP_1) | instskip(SKIP_1) | instid1(VALU_DEP_2)
	v_and_b32_e32 v5, 3, v1
	v_bfe_u32 v11, v1, 2, 5
	v_clz_i32_u32_e32 v7, v5
	s_delay_alu instid0(VALU_DEP_2) | instskip(NEXT) | instid1(VALU_DEP_2)
	v_cmp_eq_u32_e32 vcc_lo, 0, v11
	v_min_u32_e32 v7, 32, v7
	s_delay_alu instid0(VALU_DEP_1) | instskip(NEXT) | instid1(VALU_DEP_1)
	v_subrev_nc_u32_e32 v10, 29, v7
	v_dual_lshlrev_b32 v1, v10, v1 :: v_dual_sub_nc_u32 v7, 30, v7
	s_delay_alu instid0(VALU_DEP_1) | instskip(NEXT) | instid1(VALU_DEP_1)
	v_dual_lshlrev_b32 v3, 24, v3 :: v_dual_bitop2_b32 v1, 3, v1 bitop3:0x40
	v_dual_cndmask_b32 v1, v5, v1, vcc_lo :: v_dual_cndmask_b32 v7, v11, v7, vcc_lo
	s_delay_alu instid0(VALU_DEP_2) | instskip(NEXT) | instid1(VALU_DEP_2)
	v_and_b32_e32 v3, 0x80000000, v3
	v_lshlrev_b32_e32 v1, 21, v1
	s_delay_alu instid0(VALU_DEP_3) | instskip(NEXT) | instid1(VALU_DEP_1)
	v_lshl_add_u32 v5, v7, 23, 0x37800000
	v_or3_b32 v1, v3, v5, v1
	s_delay_alu instid0(VALU_DEP_1)
	v_cvt_f16_f32_e32 v1, v1
.LBB191_1124:
	s_or_b32 exec_lo, exec_lo, s35
	s_mov_b32 s34, 0
	s_branch .LBB191_1130
.LBB191_1125:
	s_mov_b32 s35, -1
                                        ; implicit-def: $vgpr1
	s_branch .LBB191_1136
.LBB191_1126:
	s_or_saveexec_b32 s35, s35
	v_mov_b32_e32 v1, 0x7e00
	s_xor_b32 exec_lo, exec_lo, s35
	s_cbranch_execz .LBB191_1109
.LBB191_1127:
	v_cmp_ne_u16_e32 vcc_lo, 0, v3
	v_mov_b32_e32 v1, v3
	s_and_not1_b32 s34, s34, exec_lo
	s_and_b32 s58, vcc_lo, exec_lo
	s_delay_alu instid0(SALU_CYCLE_1)
	s_or_b32 s34, s34, s58
	s_or_b32 exec_lo, exec_lo, s35
	s_and_saveexec_b32 s35, s34
	s_cbranch_execnz .LBB191_1110
	s_branch .LBB191_1111
.LBB191_1128:
	s_mov_b32 s34, -1
                                        ; implicit-def: $vgpr1
	s_branch .LBB191_1133
.LBB191_1129:
	s_mov_b32 s34, -1
                                        ; implicit-def: $vgpr1
.LBB191_1130:
	s_delay_alu instid0(SALU_CYCLE_1)
	s_and_b32 vcc_lo, exec_lo, s34
	s_cbranch_vccz .LBB191_1132
; %bb.1131:
	s_wait_loadcnt 0x0
	global_load_u8 v1, v[8:9], off
	s_wait_loadcnt 0x0
	v_lshlrev_b32_e32 v1, 24, v1
	s_delay_alu instid0(VALU_DEP_1) | instskip(NEXT) | instid1(VALU_DEP_1)
	v_and_b32_e32 v3, 0x7f000000, v1
	v_clz_i32_u32_e32 v5, v3
	v_cmp_ne_u32_e32 vcc_lo, 0, v3
	v_add_nc_u32_e32 v10, 0x1000000, v3
	s_delay_alu instid0(VALU_DEP_3) | instskip(NEXT) | instid1(VALU_DEP_1)
	v_min_u32_e32 v5, 32, v5
	v_sub_nc_u32_e64 v5, v5, 4 clamp
	s_delay_alu instid0(VALU_DEP_1) | instskip(NEXT) | instid1(VALU_DEP_1)
	v_dual_lshlrev_b32 v7, v5, v3 :: v_dual_lshlrev_b32 v5, 23, v5
	v_lshrrev_b32_e32 v7, 4, v7
	s_delay_alu instid0(VALU_DEP_1) | instskip(NEXT) | instid1(VALU_DEP_1)
	v_dual_sub_nc_u32 v5, v7, v5 :: v_dual_ashrrev_i32 v7, 8, v10
	v_add_nc_u32_e32 v5, 0x3c000000, v5
	s_delay_alu instid0(VALU_DEP_1) | instskip(NEXT) | instid1(VALU_DEP_1)
	v_and_or_b32 v5, 0x7f800000, v7, v5
	v_cndmask_b32_e32 v3, 0, v5, vcc_lo
	s_delay_alu instid0(VALU_DEP_1) | instskip(NEXT) | instid1(VALU_DEP_1)
	v_and_or_b32 v1, 0x80000000, v1, v3
	v_cvt_f16_f32_e32 v1, v1
.LBB191_1132:
	s_mov_b32 s34, 0
.LBB191_1133:
	s_delay_alu instid0(SALU_CYCLE_1)
	s_and_not1_b32 vcc_lo, exec_lo, s34
	s_cbranch_vccnz .LBB191_1135
; %bb.1134:
	s_wait_loadcnt 0x0
	global_load_u8 v1, v[8:9], off
	s_wait_loadcnt 0x0
	v_lshlrev_b32_e32 v3, 25, v1
	v_lshlrev_b16 v1, 8, v1
	s_delay_alu instid0(VALU_DEP_1) | instskip(SKIP_1) | instid1(VALU_DEP_2)
	v_and_or_b32 v7, 0x7f00, v1, 0.5
	v_bfe_i32 v1, v1, 0, 16
	v_add_f32_e32 v7, -0.5, v7
	v_lshrrev_b32_e32 v5, 4, v3
	v_cmp_gt_u32_e32 vcc_lo, 0x8000000, v3
	s_delay_alu instid0(VALU_DEP_2) | instskip(NEXT) | instid1(VALU_DEP_1)
	v_or_b32_e32 v5, 0x70000000, v5
	v_mul_f32_e32 v5, 0x7800000, v5
	s_delay_alu instid0(VALU_DEP_1) | instskip(NEXT) | instid1(VALU_DEP_1)
	v_cndmask_b32_e32 v3, v5, v7, vcc_lo
	v_and_or_b32 v1, 0x80000000, v1, v3
	s_delay_alu instid0(VALU_DEP_1)
	v_cvt_f16_f32_e32 v1, v1
.LBB191_1135:
	s_mov_b32 s35, 0
	s_mov_b32 s34, -1
.LBB191_1136:
	s_and_not1_b32 vcc_lo, exec_lo, s35
	s_cbranch_vccnz .LBB191_1149
; %bb.1137:
	s_cmp_gt_i32 s31, 14
	s_cbranch_scc0 .LBB191_1140
; %bb.1138:
	s_cmp_eq_u32 s31, 15
	s_cbranch_scc0 .LBB191_1143
; %bb.1139:
	s_wait_loadcnt 0x0
	global_load_u16 v1, v[8:9], off
	s_mov_b32 s34, -1
	s_mov_b32 s30, 0
	s_wait_loadcnt 0x0
	v_lshlrev_b32_e32 v1, 16, v1
	s_delay_alu instid0(VALU_DEP_1)
	v_cvt_f16_f32_e32 v1, v1
	s_branch .LBB191_1144
.LBB191_1140:
	s_mov_b32 s35, -1
                                        ; implicit-def: $vgpr1
	s_branch .LBB191_1145
.LBB191_1141:
	s_or_saveexec_b32 s35, s35
	v_mov_b32_e32 v1, 0x7e00
	s_xor_b32 exec_lo, exec_lo, s35
	s_cbranch_execz .LBB191_1122
.LBB191_1142:
	v_cmp_ne_u16_e32 vcc_lo, 0, v3
	v_mov_b32_e32 v1, v3
	s_and_not1_b32 s34, s34, exec_lo
	s_and_b32 s58, vcc_lo, exec_lo
	s_delay_alu instid0(SALU_CYCLE_1)
	s_or_b32 s34, s34, s58
	s_or_b32 exec_lo, exec_lo, s35
	s_and_saveexec_b32 s35, s34
	s_cbranch_execnz .LBB191_1123
	s_branch .LBB191_1124
.LBB191_1143:
	s_mov_b32 s30, -1
                                        ; implicit-def: $vgpr1
.LBB191_1144:
	s_mov_b32 s35, 0
.LBB191_1145:
	s_delay_alu instid0(SALU_CYCLE_1)
	s_and_b32 vcc_lo, exec_lo, s35
	s_cbranch_vccz .LBB191_1149
; %bb.1146:
	s_cmp_eq_u32 s31, 11
	s_cbranch_scc0 .LBB191_1148
; %bb.1147:
	s_wait_loadcnt 0x0
	global_load_u8 v1, v[8:9], off
	s_mov_b32 s30, 0
	s_mov_b32 s34, -1
	s_wait_loadcnt 0x0
	v_cmp_ne_u16_e32 vcc_lo, 0, v1
	v_cndmask_b32_e64 v1, 0, 0x3c00, vcc_lo
	s_branch .LBB191_1149
.LBB191_1148:
	s_mov_b32 s30, -1
                                        ; implicit-def: $vgpr1
.LBB191_1149:
	s_mov_b32 s31, 0
.LBB191_1150:
	s_delay_alu instid0(SALU_CYCLE_1)
	s_and_b32 vcc_lo, exec_lo, s31
	s_cbranch_vccz .LBB191_1199
; %bb.1151:
	s_and_b32 s0, 0xffff, s0
	s_delay_alu instid0(SALU_CYCLE_1)
	s_cmp_lt_i32 s0, 5
	s_cbranch_scc1 .LBB191_1156
; %bb.1152:
	s_cmp_lt_i32 s0, 8
	s_cbranch_scc1 .LBB191_1157
; %bb.1153:
	;; [unrolled: 3-line block ×3, first 2 shown]
	s_cmp_gt_i32 s0, 9
	s_cbranch_scc0 .LBB191_1159
; %bb.1155:
	global_load_b64 v[10:11], v[8:9], off
	s_mov_b32 s31, 0
	s_wait_loadcnt 0x0
	v_and_or_b32 v1, 0x1ff, v11, v10
	v_lshrrev_b32_e32 v3, 8, v11
	v_bfe_u32 v5, v11, 20, 11
	s_delay_alu instid0(VALU_DEP_3) | instskip(NEXT) | instid1(VALU_DEP_2)
	v_cmp_ne_u32_e32 vcc_lo, 0, v1
	v_sub_nc_u32_e32 v7, 0x3f1, v5
	v_add_nc_u32_e32 v5, 0xfffffc10, v5
	v_cndmask_b32_e64 v1, 0, 1, vcc_lo
	s_delay_alu instid0(VALU_DEP_1) | instskip(NEXT) | instid1(VALU_DEP_4)
	v_and_or_b32 v1, 0xffe, v3, v1
	v_med3_i32 v3, v7, 0, 13
	s_delay_alu instid0(VALU_DEP_2) | instskip(NEXT) | instid1(VALU_DEP_1)
	v_or_b32_e32 v7, 0x1000, v1
	v_lshrrev_b32_e32 v10, v3, v7
	s_delay_alu instid0(VALU_DEP_1) | instskip(NEXT) | instid1(VALU_DEP_1)
	v_lshlrev_b32_e32 v3, v3, v10
	v_cmp_ne_u32_e32 vcc_lo, v3, v7
	v_lshl_or_b32 v7, v5, 12, v1
	v_cndmask_b32_e64 v3, 0, 1, vcc_lo
	v_cmp_gt_i32_e32 vcc_lo, 1, v5
	s_delay_alu instid0(VALU_DEP_2) | instskip(NEXT) | instid1(VALU_DEP_1)
	v_or_b32_e32 v3, v10, v3
	v_cndmask_b32_e32 v3, v7, v3, vcc_lo
	s_delay_alu instid0(VALU_DEP_1) | instskip(NEXT) | instid1(VALU_DEP_1)
	v_dual_lshrrev_b32 v3, 2, v3 :: v_dual_bitop2_b32 v7, 7, v3 bitop3:0x40
	v_cmp_lt_i32_e32 vcc_lo, 5, v7
	v_cndmask_b32_e64 v10, 0, 1, vcc_lo
	v_cmp_eq_u32_e32 vcc_lo, 3, v7
	v_cndmask_b32_e64 v7, 0, 1, vcc_lo
	v_cmp_ne_u32_e32 vcc_lo, 0, v1
	s_delay_alu instid0(VALU_DEP_2) | instskip(NEXT) | instid1(VALU_DEP_1)
	v_or_b32_e32 v7, v7, v10
	v_dual_mov_b32 v10, 0x7e00 :: v_dual_add_nc_u32 v3, v3, v7
	s_delay_alu instid0(VALU_DEP_1) | instskip(SKIP_1) | instid1(VALU_DEP_3)
	v_cndmask_b32_e32 v1, 0x7c00, v10, vcc_lo
	v_cmp_gt_i32_e32 vcc_lo, 31, v5
	v_cndmask_b32_e32 v3, 0x7c00, v3, vcc_lo
	v_cmp_eq_u32_e32 vcc_lo, 0x40f, v5
	s_delay_alu instid0(VALU_DEP_2) | instskip(NEXT) | instid1(VALU_DEP_1)
	v_dual_cndmask_b32 v1, v3, v1, vcc_lo :: v_dual_lshrrev_b32 v3, 16, v11
	v_and_or_b32 v1, 0x8000, v3, v1
	s_branch .LBB191_1160
.LBB191_1156:
	s_mov_b32 s31, -1
                                        ; implicit-def: $vgpr1
	s_branch .LBB191_1178
.LBB191_1157:
	s_mov_b32 s31, -1
                                        ; implicit-def: $vgpr1
	s_branch .LBB191_1166
.LBB191_1158:
	s_mov_b32 s31, -1
                                        ; implicit-def: $vgpr1
	s_branch .LBB191_1163
.LBB191_1159:
	s_mov_b32 s31, -1
                                        ; implicit-def: $vgpr1
.LBB191_1160:
	s_delay_alu instid0(SALU_CYCLE_1)
	s_and_not1_b32 vcc_lo, exec_lo, s31
	s_cbranch_vccnz .LBB191_1162
; %bb.1161:
	s_wait_loadcnt 0x0
	global_load_b32 v1, v[8:9], off
	s_wait_loadcnt 0x0
	v_cvt_f16_f32_e32 v1, v1
.LBB191_1162:
	s_mov_b32 s31, 0
.LBB191_1163:
	s_delay_alu instid0(SALU_CYCLE_1)
	s_and_not1_b32 vcc_lo, exec_lo, s31
	s_cbranch_vccnz .LBB191_1165
; %bb.1164:
	s_wait_loadcnt 0x0
	global_load_b32 v1, v[8:9], off
.LBB191_1165:
	s_mov_b32 s31, 0
.LBB191_1166:
	s_delay_alu instid0(SALU_CYCLE_1)
	s_and_not1_b32 vcc_lo, exec_lo, s31
	s_cbranch_vccnz .LBB191_1177
; %bb.1167:
	s_cmp_lt_i32 s0, 6
	s_cbranch_scc1 .LBB191_1170
; %bb.1168:
	s_cmp_gt_i32 s0, 6
	s_cbranch_scc0 .LBB191_1171
; %bb.1169:
	global_load_b64 v[10:11], v[8:9], off
	s_mov_b32 s31, 0
	s_wait_loadcnt 0x0
	v_and_or_b32 v1, 0x1ff, v11, v10
	v_lshrrev_b32_e32 v3, 8, v11
	v_bfe_u32 v5, v11, 20, 11
	s_delay_alu instid0(VALU_DEP_3) | instskip(NEXT) | instid1(VALU_DEP_2)
	v_cmp_ne_u32_e32 vcc_lo, 0, v1
	v_sub_nc_u32_e32 v7, 0x3f1, v5
	v_add_nc_u32_e32 v5, 0xfffffc10, v5
	v_cndmask_b32_e64 v1, 0, 1, vcc_lo
	s_delay_alu instid0(VALU_DEP_1) | instskip(NEXT) | instid1(VALU_DEP_4)
	v_and_or_b32 v1, 0xffe, v3, v1
	v_med3_i32 v3, v7, 0, 13
	s_delay_alu instid0(VALU_DEP_2) | instskip(NEXT) | instid1(VALU_DEP_1)
	v_or_b32_e32 v7, 0x1000, v1
	v_lshrrev_b32_e32 v10, v3, v7
	s_delay_alu instid0(VALU_DEP_1) | instskip(NEXT) | instid1(VALU_DEP_1)
	v_lshlrev_b32_e32 v3, v3, v10
	v_cmp_ne_u32_e32 vcc_lo, v3, v7
	v_lshl_or_b32 v7, v5, 12, v1
	v_cndmask_b32_e64 v3, 0, 1, vcc_lo
	v_cmp_gt_i32_e32 vcc_lo, 1, v5
	s_delay_alu instid0(VALU_DEP_2) | instskip(NEXT) | instid1(VALU_DEP_1)
	v_or_b32_e32 v3, v10, v3
	v_cndmask_b32_e32 v3, v7, v3, vcc_lo
	s_delay_alu instid0(VALU_DEP_1) | instskip(NEXT) | instid1(VALU_DEP_1)
	v_dual_lshrrev_b32 v3, 2, v3 :: v_dual_bitop2_b32 v7, 7, v3 bitop3:0x40
	v_cmp_lt_i32_e32 vcc_lo, 5, v7
	v_cndmask_b32_e64 v10, 0, 1, vcc_lo
	v_cmp_eq_u32_e32 vcc_lo, 3, v7
	v_cndmask_b32_e64 v7, 0, 1, vcc_lo
	v_cmp_ne_u32_e32 vcc_lo, 0, v1
	s_delay_alu instid0(VALU_DEP_2) | instskip(NEXT) | instid1(VALU_DEP_1)
	v_or_b32_e32 v7, v7, v10
	v_dual_mov_b32 v10, 0x7e00 :: v_dual_add_nc_u32 v3, v3, v7
	s_delay_alu instid0(VALU_DEP_1) | instskip(SKIP_1) | instid1(VALU_DEP_3)
	v_cndmask_b32_e32 v1, 0x7c00, v10, vcc_lo
	v_cmp_gt_i32_e32 vcc_lo, 31, v5
	v_cndmask_b32_e32 v3, 0x7c00, v3, vcc_lo
	v_cmp_eq_u32_e32 vcc_lo, 0x40f, v5
	s_delay_alu instid0(VALU_DEP_2) | instskip(NEXT) | instid1(VALU_DEP_1)
	v_dual_cndmask_b32 v1, v3, v1, vcc_lo :: v_dual_lshrrev_b32 v3, 16, v11
	v_and_or_b32 v1, 0x8000, v3, v1
	s_branch .LBB191_1172
.LBB191_1170:
	s_mov_b32 s31, -1
                                        ; implicit-def: $vgpr1
	s_branch .LBB191_1175
.LBB191_1171:
	s_mov_b32 s31, -1
                                        ; implicit-def: $vgpr1
.LBB191_1172:
	s_delay_alu instid0(SALU_CYCLE_1)
	s_and_not1_b32 vcc_lo, exec_lo, s31
	s_cbranch_vccnz .LBB191_1174
; %bb.1173:
	s_wait_loadcnt 0x0
	global_load_b32 v1, v[8:9], off
	s_wait_loadcnt 0x0
	v_cvt_f16_f32_e32 v1, v1
.LBB191_1174:
	s_mov_b32 s31, 0
.LBB191_1175:
	s_delay_alu instid0(SALU_CYCLE_1)
	s_and_not1_b32 vcc_lo, exec_lo, s31
	s_cbranch_vccnz .LBB191_1177
; %bb.1176:
	s_wait_loadcnt 0x0
	global_load_u16 v1, v[8:9], off
.LBB191_1177:
	s_mov_b32 s31, 0
.LBB191_1178:
	s_delay_alu instid0(SALU_CYCLE_1)
	s_and_not1_b32 vcc_lo, exec_lo, s31
	s_cbranch_vccnz .LBB191_1198
; %bb.1179:
	s_cmp_lt_i32 s0, 2
	s_cbranch_scc1 .LBB191_1183
; %bb.1180:
	s_cmp_lt_i32 s0, 3
	s_cbranch_scc1 .LBB191_1184
; %bb.1181:
	s_cmp_gt_i32 s0, 3
	s_cbranch_scc0 .LBB191_1185
; %bb.1182:
	global_load_b64 v[10:11], v[8:9], off
	s_mov_b32 s31, 0
	s_wait_loadcnt 0x0
	v_xor_b32_e32 v1, v10, v11
	v_cls_i32_e32 v3, v11
	s_delay_alu instid0(VALU_DEP_2) | instskip(NEXT) | instid1(VALU_DEP_1)
	v_ashrrev_i32_e32 v1, 31, v1
	v_add_nc_u32_e32 v1, 32, v1
	s_delay_alu instid0(VALU_DEP_1) | instskip(NEXT) | instid1(VALU_DEP_1)
	v_add_min_u32_e64 v1, v3, -1, v1
	v_lshlrev_b64_e32 v[10:11], v1, v[10:11]
	v_sub_nc_u32_e32 v1, 32, v1
	s_delay_alu instid0(VALU_DEP_2) | instskip(NEXT) | instid1(VALU_DEP_1)
	v_min_u32_e32 v3, 1, v10
	v_or_b32_e32 v3, v11, v3
	s_delay_alu instid0(VALU_DEP_1) | instskip(NEXT) | instid1(VALU_DEP_1)
	v_cvt_f32_i32_e32 v3, v3
	v_ldexp_f32 v1, v3, v1
	s_delay_alu instid0(VALU_DEP_1)
	v_cvt_f16_f32_e32 v1, v1
	s_branch .LBB191_1186
.LBB191_1183:
	s_mov_b32 s31, -1
                                        ; implicit-def: $vgpr1
	s_branch .LBB191_1192
.LBB191_1184:
	s_mov_b32 s31, -1
                                        ; implicit-def: $vgpr1
	s_branch .LBB191_1189
.LBB191_1185:
	s_mov_b32 s31, -1
                                        ; implicit-def: $vgpr1
.LBB191_1186:
	s_delay_alu instid0(SALU_CYCLE_1)
	s_and_not1_b32 vcc_lo, exec_lo, s31
	s_cbranch_vccnz .LBB191_1188
; %bb.1187:
	s_wait_loadcnt 0x0
	global_load_b32 v1, v[8:9], off
	s_wait_loadcnt 0x0
	v_cvt_f32_i32_e32 v1, v1
	s_delay_alu instid0(VALU_DEP_1)
	v_cvt_f16_f32_e32 v1, v1
.LBB191_1188:
	s_mov_b32 s31, 0
.LBB191_1189:
	s_delay_alu instid0(SALU_CYCLE_1)
	s_and_not1_b32 vcc_lo, exec_lo, s31
	s_cbranch_vccnz .LBB191_1191
; %bb.1190:
	s_wait_loadcnt 0x0
	global_load_u16 v1, v[8:9], off
	s_wait_loadcnt 0x0
	v_cvt_f16_i16_e32 v1, v1
.LBB191_1191:
	s_mov_b32 s31, 0
.LBB191_1192:
	s_delay_alu instid0(SALU_CYCLE_1)
	s_and_not1_b32 vcc_lo, exec_lo, s31
	s_cbranch_vccnz .LBB191_1198
; %bb.1193:
	s_cmp_gt_i32 s0, 0
	s_mov_b32 s0, 0
	s_cbranch_scc0 .LBB191_1195
; %bb.1194:
	s_wait_loadcnt 0x0
	global_load_i8 v1, v[8:9], off
	s_wait_loadcnt 0x0
	v_cvt_f16_i16_e32 v1, v1
	s_branch .LBB191_1196
.LBB191_1195:
	s_mov_b32 s0, -1
                                        ; implicit-def: $vgpr1
.LBB191_1196:
	s_delay_alu instid0(SALU_CYCLE_1)
	s_and_not1_b32 vcc_lo, exec_lo, s0
	s_cbranch_vccnz .LBB191_1198
; %bb.1197:
	s_wait_loadcnt 0x0
	global_load_u8 v1, v[8:9], off
	s_wait_loadcnt 0x0
	v_cvt_f16_u16_e32 v1, v1
.LBB191_1198:
	s_mov_b32 s34, -1
.LBB191_1199:
	s_delay_alu instid0(SALU_CYCLE_1)
	s_and_not1_b32 vcc_lo, exec_lo, s34
	s_cbranch_vccnz .LBB191_1207
; %bb.1200:
	v_mov_b32_e32 v7, 0
	s_and_b32 s0, s41, 0xff
	s_delay_alu instid0(SALU_CYCLE_1) | instskip(SKIP_1) | instid1(VALU_DEP_1)
	s_cmp_lt_i32 s0, 11
	s_wait_loadcnt 0x0
	v_add_nc_u64_e32 v[6:7], s[8:9], v[6:7]
	s_cbranch_scc1 .LBB191_1208
; %bb.1201:
	s_and_b32 s34, 0xffff, s0
	s_delay_alu instid0(SALU_CYCLE_1)
	s_cmp_gt_i32 s34, 25
	s_cbranch_scc0 .LBB191_1209
; %bb.1202:
	s_cmp_gt_i32 s34, 28
	s_cbranch_scc0 .LBB191_1210
; %bb.1203:
	;; [unrolled: 3-line block ×4, first 2 shown]
	s_cmp_eq_u32 s34, 46
	s_mov_b32 s58, 0
	s_cbranch_scc0 .LBB191_1215
; %bb.1206:
	global_load_b32 v3, v[6:7], off
	s_mov_b32 s35, -1
	s_mov_b32 s31, 0
	s_wait_loadcnt 0x0
	v_lshlrev_b32_e32 v3, 16, v3
	s_delay_alu instid0(VALU_DEP_1)
	v_cvt_f16_f32_e32 v3, v3
	s_branch .LBB191_1217
.LBB191_1207:
	s_mov_b32 s35, 0
	s_mov_b32 s0, s53
	;; [unrolled: 1-line block ×4, first 2 shown]
	s_branch .LBB191_1588
.LBB191_1208:
	s_mov_b32 s34, -1
	s_mov_b32 s35, 0
	s_mov_b32 s31, s55
                                        ; implicit-def: $vgpr3
	s_branch .LBB191_1282
.LBB191_1209:
	s_mov_b32 s58, -1
	s_mov_b32 s35, 0
	s_mov_b32 s31, s55
                                        ; implicit-def: $vgpr3
	s_branch .LBB191_1246
.LBB191_1210:
	s_mov_b32 s58, -1
	s_mov_b32 s35, 0
	s_mov_b32 s31, s55
                                        ; implicit-def: $vgpr3
	s_branch .LBB191_1227
.LBB191_1211:
	s_mov_b32 s58, -1
	s_mov_b32 s35, 0
	s_mov_b32 s31, s55
                                        ; implicit-def: $vgpr3
	s_branch .LBB191_1222
.LBB191_1212:
	s_mov_b32 s58, -1
	s_mov_b32 s35, 0
	s_mov_b32 s31, s55
	s_branch .LBB191_1216
.LBB191_1213:
	s_and_not1_saveexec_b32 s55, s55
	s_cbranch_execz .LBB191_965
.LBB191_1214:
	v_add_f32_e64 v5, 0x46000000, |v1|
	s_and_not1_b32 s54, s54, exec_lo
	s_delay_alu instid0(VALU_DEP_1) | instskip(NEXT) | instid1(VALU_DEP_1)
	v_and_b32_e32 v5, 0xff, v5
	v_cmp_ne_u32_e32 vcc_lo, 0, v5
	s_and_b32 s57, vcc_lo, exec_lo
	s_delay_alu instid0(SALU_CYCLE_1)
	s_or_b32 s54, s54, s57
	s_or_b32 exec_lo, exec_lo, s55
	v_mov_b32_e32 v6, 0
	s_and_saveexec_b32 s55, s54
	s_cbranch_execnz .LBB191_966
	s_branch .LBB191_967
.LBB191_1215:
	s_mov_b32 s31, -1
	s_mov_b32 s35, 0
.LBB191_1216:
                                        ; implicit-def: $vgpr3
.LBB191_1217:
	s_and_b32 vcc_lo, exec_lo, s58
	s_cbranch_vccz .LBB191_1221
; %bb.1218:
	s_cmp_eq_u32 s34, 44
	s_cbranch_scc0 .LBB191_1220
; %bb.1219:
	global_load_u8 v3, v[6:7], off
	s_mov_b32 s31, 0
	s_mov_b32 s35, -1
	s_wait_loadcnt 0x0
	v_lshlrev_b32_e32 v5, 23, v3
	v_cmp_ne_u32_e32 vcc_lo, 0xff, v3
	s_delay_alu instid0(VALU_DEP_2) | instskip(NEXT) | instid1(VALU_DEP_1)
	v_cvt_f16_f32_e32 v5, v5
	v_cndmask_b32_e32 v5, 0x7e00, v5, vcc_lo
	v_cmp_ne_u32_e32 vcc_lo, 0, v3
	s_delay_alu instid0(VALU_DEP_2)
	v_cndmask_b32_e32 v3, 0, v5, vcc_lo
	s_branch .LBB191_1221
.LBB191_1220:
	s_mov_b32 s31, -1
                                        ; implicit-def: $vgpr3
.LBB191_1221:
	s_mov_b32 s58, 0
.LBB191_1222:
	s_delay_alu instid0(SALU_CYCLE_1)
	s_and_b32 vcc_lo, exec_lo, s58
	s_cbranch_vccz .LBB191_1226
; %bb.1223:
	s_cmp_eq_u32 s34, 29
	s_cbranch_scc0 .LBB191_1225
; %bb.1224:
	global_load_b64 v[8:9], v[6:7], off
	s_mov_b32 s35, -1
	s_mov_b32 s31, 0
	s_mov_b32 s58, 0
	s_wait_loadcnt 0x0
	v_clz_i32_u32_e32 v3, v9
	s_delay_alu instid0(VALU_DEP_1) | instskip(NEXT) | instid1(VALU_DEP_1)
	v_min_u32_e32 v3, 32, v3
	v_lshlrev_b64_e32 v[8:9], v3, v[8:9]
	v_sub_nc_u32_e32 v3, 32, v3
	s_delay_alu instid0(VALU_DEP_2) | instskip(NEXT) | instid1(VALU_DEP_1)
	v_min_u32_e32 v5, 1, v8
	v_or_b32_e32 v5, v9, v5
	s_delay_alu instid0(VALU_DEP_1) | instskip(NEXT) | instid1(VALU_DEP_1)
	v_cvt_f32_u32_e32 v5, v5
	v_ldexp_f32 v3, v5, v3
	s_delay_alu instid0(VALU_DEP_1)
	v_cvt_f16_f32_e32 v3, v3
	s_branch .LBB191_1227
.LBB191_1225:
	s_mov_b32 s31, -1
                                        ; implicit-def: $vgpr3
.LBB191_1226:
	s_mov_b32 s58, 0
.LBB191_1227:
	s_delay_alu instid0(SALU_CYCLE_1)
	s_and_b32 vcc_lo, exec_lo, s58
	s_cbranch_vccz .LBB191_1245
; %bb.1228:
	s_cmp_lt_i32 s34, 27
	s_cbranch_scc1 .LBB191_1231
; %bb.1229:
	s_cmp_gt_i32 s34, 27
	s_cbranch_scc0 .LBB191_1232
; %bb.1230:
	global_load_b32 v3, v[6:7], off
	s_mov_b32 s35, 0
	s_wait_loadcnt 0x0
	v_cvt_f32_u32_e32 v3, v3
	s_delay_alu instid0(VALU_DEP_1)
	v_cvt_f16_f32_e32 v3, v3
	s_branch .LBB191_1233
.LBB191_1231:
	s_mov_b32 s35, -1
                                        ; implicit-def: $vgpr3
	s_branch .LBB191_1236
.LBB191_1232:
	s_mov_b32 s35, -1
                                        ; implicit-def: $vgpr3
.LBB191_1233:
	s_delay_alu instid0(SALU_CYCLE_1)
	s_and_not1_b32 vcc_lo, exec_lo, s35
	s_cbranch_vccnz .LBB191_1235
; %bb.1234:
	global_load_u16 v3, v[6:7], off
	s_wait_loadcnt 0x0
	v_cvt_f16_u16_e32 v3, v3
.LBB191_1235:
	s_mov_b32 s35, 0
.LBB191_1236:
	s_delay_alu instid0(SALU_CYCLE_1)
	s_and_not1_b32 vcc_lo, exec_lo, s35
	s_cbranch_vccnz .LBB191_1244
; %bb.1237:
	global_load_u8 v5, v[6:7], off
	s_mov_b32 s35, 0
	s_mov_b32 s58, exec_lo
	s_wait_loadcnt 0x0
	v_cmpx_lt_i16_e32 0x7f, v5
	s_xor_b32 s58, exec_lo, s58
	s_cbranch_execz .LBB191_1258
; %bb.1238:
	s_mov_b32 s35, -1
	s_mov_b32 s59, exec_lo
	v_cmpx_eq_u16_e32 0x80, v5
; %bb.1239:
	s_xor_b32 s35, exec_lo, -1
; %bb.1240:
	s_or_b32 exec_lo, exec_lo, s59
	s_delay_alu instid0(SALU_CYCLE_1)
	s_and_b32 s35, s35, exec_lo
	s_or_saveexec_b32 s58, s58
	v_mov_b32_e32 v3, 0x7e00
	s_xor_b32 exec_lo, exec_lo, s58
	s_cbranch_execnz .LBB191_1259
.LBB191_1241:
	s_or_b32 exec_lo, exec_lo, s58
	s_and_saveexec_b32 s58, s35
	s_cbranch_execz .LBB191_1243
.LBB191_1242:
	v_and_b32_e32 v3, 0xffff, v5
	s_delay_alu instid0(VALU_DEP_1) | instskip(SKIP_1) | instid1(VALU_DEP_2)
	v_and_b32_e32 v8, 7, v3
	v_bfe_u32 v11, v3, 3, 4
	v_clz_i32_u32_e32 v9, v8
	s_delay_alu instid0(VALU_DEP_2) | instskip(NEXT) | instid1(VALU_DEP_2)
	v_cmp_eq_u32_e32 vcc_lo, 0, v11
	v_min_u32_e32 v9, 32, v9
	s_delay_alu instid0(VALU_DEP_1) | instskip(NEXT) | instid1(VALU_DEP_1)
	v_subrev_nc_u32_e32 v10, 28, v9
	v_dual_lshlrev_b32 v3, v10, v3 :: v_dual_sub_nc_u32 v9, 29, v9
	s_delay_alu instid0(VALU_DEP_1) | instskip(NEXT) | instid1(VALU_DEP_1)
	v_dual_lshlrev_b32 v5, 24, v5 :: v_dual_bitop2_b32 v3, 7, v3 bitop3:0x40
	v_dual_cndmask_b32 v3, v8, v3, vcc_lo :: v_dual_cndmask_b32 v9, v11, v9, vcc_lo
	s_delay_alu instid0(VALU_DEP_2) | instskip(NEXT) | instid1(VALU_DEP_2)
	v_and_b32_e32 v5, 0x80000000, v5
	v_lshlrev_b32_e32 v3, 20, v3
	s_delay_alu instid0(VALU_DEP_3) | instskip(NEXT) | instid1(VALU_DEP_1)
	v_lshl_add_u32 v8, v9, 23, 0x3b800000
	v_or3_b32 v3, v5, v8, v3
	s_delay_alu instid0(VALU_DEP_1)
	v_cvt_f16_f32_e32 v3, v3
.LBB191_1243:
	s_or_b32 exec_lo, exec_lo, s58
.LBB191_1244:
	s_mov_b32 s35, -1
.LBB191_1245:
	s_mov_b32 s58, 0
.LBB191_1246:
	s_delay_alu instid0(SALU_CYCLE_1)
	s_and_b32 vcc_lo, exec_lo, s58
	s_cbranch_vccz .LBB191_1281
; %bb.1247:
	s_cmp_gt_i32 s34, 22
	s_cbranch_scc0 .LBB191_1257
; %bb.1248:
	s_cmp_lt_i32 s34, 24
	s_cbranch_scc1 .LBB191_1260
; %bb.1249:
	s_cmp_gt_i32 s34, 24
	s_cbranch_scc0 .LBB191_1261
; %bb.1250:
	global_load_u8 v5, v[6:7], off
	s_mov_b32 s35, 0
	s_mov_b32 s58, exec_lo
	s_wait_loadcnt 0x0
	v_cmpx_lt_i16_e32 0x7f, v5
	s_xor_b32 s58, exec_lo, s58
	s_cbranch_execz .LBB191_1273
; %bb.1251:
	s_mov_b32 s35, -1
	s_mov_b32 s59, exec_lo
	v_cmpx_eq_u16_e32 0x80, v5
; %bb.1252:
	s_xor_b32 s35, exec_lo, -1
; %bb.1253:
	s_or_b32 exec_lo, exec_lo, s59
	s_delay_alu instid0(SALU_CYCLE_1)
	s_and_b32 s35, s35, exec_lo
	s_or_saveexec_b32 s58, s58
	v_mov_b32_e32 v3, 0x7e00
	s_xor_b32 exec_lo, exec_lo, s58
	s_cbranch_execnz .LBB191_1274
.LBB191_1254:
	s_or_b32 exec_lo, exec_lo, s58
	s_and_saveexec_b32 s58, s35
	s_cbranch_execz .LBB191_1256
.LBB191_1255:
	v_and_b32_e32 v3, 0xffff, v5
	s_delay_alu instid0(VALU_DEP_1) | instskip(SKIP_1) | instid1(VALU_DEP_2)
	v_and_b32_e32 v8, 3, v3
	v_bfe_u32 v11, v3, 2, 5
	v_clz_i32_u32_e32 v9, v8
	s_delay_alu instid0(VALU_DEP_2) | instskip(NEXT) | instid1(VALU_DEP_2)
	v_cmp_eq_u32_e32 vcc_lo, 0, v11
	v_min_u32_e32 v9, 32, v9
	s_delay_alu instid0(VALU_DEP_1) | instskip(NEXT) | instid1(VALU_DEP_1)
	v_subrev_nc_u32_e32 v10, 29, v9
	v_dual_lshlrev_b32 v3, v10, v3 :: v_dual_sub_nc_u32 v9, 30, v9
	s_delay_alu instid0(VALU_DEP_1) | instskip(NEXT) | instid1(VALU_DEP_1)
	v_dual_lshlrev_b32 v5, 24, v5 :: v_dual_bitop2_b32 v3, 3, v3 bitop3:0x40
	v_dual_cndmask_b32 v3, v8, v3, vcc_lo :: v_dual_cndmask_b32 v9, v11, v9, vcc_lo
	s_delay_alu instid0(VALU_DEP_2) | instskip(NEXT) | instid1(VALU_DEP_2)
	v_and_b32_e32 v5, 0x80000000, v5
	v_lshlrev_b32_e32 v3, 21, v3
	s_delay_alu instid0(VALU_DEP_3) | instskip(NEXT) | instid1(VALU_DEP_1)
	v_lshl_add_u32 v8, v9, 23, 0x37800000
	v_or3_b32 v3, v5, v8, v3
	s_delay_alu instid0(VALU_DEP_1)
	v_cvt_f16_f32_e32 v3, v3
.LBB191_1256:
	s_or_b32 exec_lo, exec_lo, s58
	s_mov_b32 s35, 0
	s_branch .LBB191_1262
.LBB191_1257:
	s_mov_b32 s58, -1
                                        ; implicit-def: $vgpr3
	s_branch .LBB191_1268
.LBB191_1258:
	s_or_saveexec_b32 s58, s58
	v_mov_b32_e32 v3, 0x7e00
	s_xor_b32 exec_lo, exec_lo, s58
	s_cbranch_execz .LBB191_1241
.LBB191_1259:
	v_cmp_ne_u16_e32 vcc_lo, 0, v5
	v_mov_b32_e32 v3, v5
	s_and_not1_b32 s35, s35, exec_lo
	s_and_b32 s59, vcc_lo, exec_lo
	s_delay_alu instid0(SALU_CYCLE_1)
	s_or_b32 s35, s35, s59
	s_or_b32 exec_lo, exec_lo, s58
	s_and_saveexec_b32 s58, s35
	s_cbranch_execnz .LBB191_1242
	s_branch .LBB191_1243
.LBB191_1260:
	s_mov_b32 s35, -1
                                        ; implicit-def: $vgpr3
	s_branch .LBB191_1265
.LBB191_1261:
	s_mov_b32 s35, -1
                                        ; implicit-def: $vgpr3
.LBB191_1262:
	s_delay_alu instid0(SALU_CYCLE_1)
	s_and_b32 vcc_lo, exec_lo, s35
	s_cbranch_vccz .LBB191_1264
; %bb.1263:
	global_load_u8 v3, v[6:7], off
	s_wait_loadcnt 0x0
	v_lshlrev_b32_e32 v3, 24, v3
	s_delay_alu instid0(VALU_DEP_1) | instskip(SKIP_1) | instid1(VALU_DEP_1)
	v_and_b32_e32 v5, 0x7f000000, v3
	s_wait_xcnt 0x1
	v_clz_i32_u32_e32 v8, v5
	v_cmp_ne_u32_e32 vcc_lo, 0, v5
	v_add_nc_u32_e32 v10, 0x1000000, v5
	s_delay_alu instid0(VALU_DEP_3) | instskip(NEXT) | instid1(VALU_DEP_1)
	v_min_u32_e32 v8, 32, v8
	v_sub_nc_u32_e64 v8, v8, 4 clamp
	s_delay_alu instid0(VALU_DEP_1) | instskip(NEXT) | instid1(VALU_DEP_1)
	v_dual_lshlrev_b32 v9, v8, v5 :: v_dual_lshlrev_b32 v8, 23, v8
	v_lshrrev_b32_e32 v9, 4, v9
	s_delay_alu instid0(VALU_DEP_1) | instskip(NEXT) | instid1(VALU_DEP_1)
	v_dual_sub_nc_u32 v8, v9, v8 :: v_dual_ashrrev_i32 v9, 8, v10
	v_add_nc_u32_e32 v8, 0x3c000000, v8
	s_delay_alu instid0(VALU_DEP_1) | instskip(NEXT) | instid1(VALU_DEP_1)
	v_and_or_b32 v8, 0x7f800000, v9, v8
	v_cndmask_b32_e32 v5, 0, v8, vcc_lo
	s_delay_alu instid0(VALU_DEP_1) | instskip(NEXT) | instid1(VALU_DEP_1)
	v_and_or_b32 v3, 0x80000000, v3, v5
	v_cvt_f16_f32_e32 v3, v3
.LBB191_1264:
	s_mov_b32 s35, 0
.LBB191_1265:
	s_delay_alu instid0(SALU_CYCLE_1)
	s_and_not1_b32 vcc_lo, exec_lo, s35
	s_cbranch_vccnz .LBB191_1267
; %bb.1266:
	global_load_u8 v3, v[6:7], off
	s_wait_loadcnt 0x0
	v_lshlrev_b32_e32 v5, 25, v3
	v_lshlrev_b16 v3, 8, v3
	s_wait_xcnt 0x1
	s_delay_alu instid0(VALU_DEP_1) | instskip(SKIP_1) | instid1(VALU_DEP_2)
	v_and_or_b32 v9, 0x7f00, v3, 0.5
	v_bfe_i32 v3, v3, 0, 16
	v_add_f32_e32 v9, -0.5, v9
	v_lshrrev_b32_e32 v8, 4, v5
	v_cmp_gt_u32_e32 vcc_lo, 0x8000000, v5
	s_delay_alu instid0(VALU_DEP_2) | instskip(NEXT) | instid1(VALU_DEP_1)
	v_or_b32_e32 v8, 0x70000000, v8
	v_mul_f32_e32 v8, 0x7800000, v8
	s_delay_alu instid0(VALU_DEP_1) | instskip(NEXT) | instid1(VALU_DEP_1)
	v_cndmask_b32_e32 v5, v8, v9, vcc_lo
	v_and_or_b32 v3, 0x80000000, v3, v5
	s_delay_alu instid0(VALU_DEP_1)
	v_cvt_f16_f32_e32 v3, v3
.LBB191_1267:
	s_mov_b32 s58, 0
	s_mov_b32 s35, -1
.LBB191_1268:
	s_and_not1_b32 vcc_lo, exec_lo, s58
	s_cbranch_vccnz .LBB191_1281
; %bb.1269:
	s_cmp_gt_i32 s34, 14
	s_cbranch_scc0 .LBB191_1272
; %bb.1270:
	s_cmp_eq_u32 s34, 15
	s_cbranch_scc0 .LBB191_1275
; %bb.1271:
	global_load_u16 v3, v[6:7], off
	s_mov_b32 s35, -1
	s_mov_b32 s31, 0
	s_wait_loadcnt 0x0
	v_lshlrev_b32_e32 v3, 16, v3
	s_delay_alu instid0(VALU_DEP_1)
	v_cvt_f16_f32_e32 v3, v3
	s_branch .LBB191_1276
.LBB191_1272:
	s_mov_b32 s58, -1
                                        ; implicit-def: $vgpr3
	s_branch .LBB191_1277
.LBB191_1273:
	s_or_saveexec_b32 s58, s58
	v_mov_b32_e32 v3, 0x7e00
	s_xor_b32 exec_lo, exec_lo, s58
	s_cbranch_execz .LBB191_1254
.LBB191_1274:
	v_cmp_ne_u16_e32 vcc_lo, 0, v5
	v_mov_b32_e32 v3, v5
	s_and_not1_b32 s35, s35, exec_lo
	s_and_b32 s59, vcc_lo, exec_lo
	s_delay_alu instid0(SALU_CYCLE_1)
	s_or_b32 s35, s35, s59
	s_or_b32 exec_lo, exec_lo, s58
	s_and_saveexec_b32 s58, s35
	s_cbranch_execnz .LBB191_1255
	s_branch .LBB191_1256
.LBB191_1275:
	s_mov_b32 s31, -1
                                        ; implicit-def: $vgpr3
.LBB191_1276:
	s_mov_b32 s58, 0
.LBB191_1277:
	s_delay_alu instid0(SALU_CYCLE_1)
	s_and_b32 vcc_lo, exec_lo, s58
	s_cbranch_vccz .LBB191_1281
; %bb.1278:
	s_cmp_eq_u32 s34, 11
	s_cbranch_scc0 .LBB191_1280
; %bb.1279:
	global_load_u8 v3, v[6:7], off
	s_mov_b32 s31, 0
	s_mov_b32 s35, -1
	s_wait_loadcnt 0x0
	v_cmp_ne_u16_e32 vcc_lo, 0, v3
	v_cndmask_b32_e64 v3, 0, 0x3c00, vcc_lo
	s_branch .LBB191_1281
.LBB191_1280:
	s_mov_b32 s31, -1
                                        ; implicit-def: $vgpr3
.LBB191_1281:
	s_mov_b32 s34, 0
.LBB191_1282:
	s_delay_alu instid0(SALU_CYCLE_1)
	s_and_b32 vcc_lo, exec_lo, s34
	s_cbranch_vccz .LBB191_1331
; %bb.1283:
	s_and_b32 s0, 0xffff, s0
	s_delay_alu instid0(SALU_CYCLE_1)
	s_cmp_lt_i32 s0, 5
	s_cbranch_scc1 .LBB191_1288
; %bb.1284:
	s_cmp_lt_i32 s0, 8
	s_cbranch_scc1 .LBB191_1289
; %bb.1285:
	s_cmp_lt_i32 s0, 9
	s_cbranch_scc1 .LBB191_1290
; %bb.1286:
	s_cmp_gt_i32 s0, 9
	s_cbranch_scc0 .LBB191_1291
; %bb.1287:
	global_load_b64 v[8:9], v[6:7], off
	s_mov_b32 s34, 0
	s_wait_loadcnt 0x0
	v_and_or_b32 v3, 0x1ff, v9, v8
	v_lshrrev_b32_e32 v5, 8, v9
	v_bfe_u32 v8, v9, 20, 11
	s_delay_alu instid0(VALU_DEP_3) | instskip(NEXT) | instid1(VALU_DEP_2)
	v_cmp_ne_u32_e32 vcc_lo, 0, v3
	v_sub_nc_u32_e32 v10, 0x3f1, v8
	v_add_nc_u32_e32 v8, 0xfffffc10, v8
	v_cndmask_b32_e64 v3, 0, 1, vcc_lo
	s_delay_alu instid0(VALU_DEP_1) | instskip(NEXT) | instid1(VALU_DEP_4)
	v_and_or_b32 v3, 0xffe, v5, v3
	v_med3_i32 v5, v10, 0, 13
	s_delay_alu instid0(VALU_DEP_2) | instskip(NEXT) | instid1(VALU_DEP_1)
	v_or_b32_e32 v10, 0x1000, v3
	v_lshrrev_b32_e32 v11, v5, v10
	s_delay_alu instid0(VALU_DEP_1) | instskip(NEXT) | instid1(VALU_DEP_1)
	v_lshlrev_b32_e32 v5, v5, v11
	v_cmp_ne_u32_e32 vcc_lo, v5, v10
	v_lshl_or_b32 v10, v8, 12, v3
	v_cndmask_b32_e64 v5, 0, 1, vcc_lo
	v_cmp_gt_i32_e32 vcc_lo, 1, v8
	s_delay_alu instid0(VALU_DEP_2) | instskip(NEXT) | instid1(VALU_DEP_1)
	v_or_b32_e32 v5, v11, v5
	v_cndmask_b32_e32 v5, v10, v5, vcc_lo
	s_delay_alu instid0(VALU_DEP_1) | instskip(NEXT) | instid1(VALU_DEP_1)
	v_dual_lshrrev_b32 v5, 2, v5 :: v_dual_bitop2_b32 v10, 7, v5 bitop3:0x40
	v_cmp_lt_i32_e32 vcc_lo, 5, v10
	v_cndmask_b32_e64 v11, 0, 1, vcc_lo
	v_cmp_eq_u32_e32 vcc_lo, 3, v10
	v_cndmask_b32_e64 v10, 0, 1, vcc_lo
	v_cmp_ne_u32_e32 vcc_lo, 0, v3
	s_delay_alu instid0(VALU_DEP_2) | instskip(SKIP_1) | instid1(VALU_DEP_2)
	v_or_b32_e32 v10, v10, v11
	v_mov_b32_e32 v11, 0x7e00
	v_add_nc_u32_e32 v5, v5, v10
	s_delay_alu instid0(VALU_DEP_2) | instskip(SKIP_1) | instid1(VALU_DEP_3)
	v_cndmask_b32_e32 v3, 0x7c00, v11, vcc_lo
	v_cmp_gt_i32_e32 vcc_lo, 31, v8
	v_cndmask_b32_e32 v5, 0x7c00, v5, vcc_lo
	v_cmp_eq_u32_e32 vcc_lo, 0x40f, v8
	s_delay_alu instid0(VALU_DEP_2) | instskip(NEXT) | instid1(VALU_DEP_1)
	v_dual_cndmask_b32 v3, v5, v3, vcc_lo :: v_dual_lshrrev_b32 v5, 16, v9
	v_and_or_b32 v3, 0x8000, v5, v3
	s_branch .LBB191_1292
.LBB191_1288:
	s_mov_b32 s34, -1
                                        ; implicit-def: $vgpr3
	s_branch .LBB191_1310
.LBB191_1289:
	s_mov_b32 s34, -1
                                        ; implicit-def: $vgpr3
	s_branch .LBB191_1298
.LBB191_1290:
	s_mov_b32 s34, -1
                                        ; implicit-def: $vgpr3
	s_branch .LBB191_1295
.LBB191_1291:
	s_mov_b32 s34, -1
                                        ; implicit-def: $vgpr3
.LBB191_1292:
	s_delay_alu instid0(SALU_CYCLE_1)
	s_and_not1_b32 vcc_lo, exec_lo, s34
	s_cbranch_vccnz .LBB191_1294
; %bb.1293:
	global_load_b32 v3, v[6:7], off
	s_wait_loadcnt 0x0
	v_cvt_f16_f32_e32 v3, v3
.LBB191_1294:
	s_mov_b32 s34, 0
.LBB191_1295:
	s_delay_alu instid0(SALU_CYCLE_1)
	s_and_not1_b32 vcc_lo, exec_lo, s34
	s_cbranch_vccnz .LBB191_1297
; %bb.1296:
	global_load_b32 v3, v[6:7], off
.LBB191_1297:
	s_mov_b32 s34, 0
.LBB191_1298:
	s_delay_alu instid0(SALU_CYCLE_1)
	s_and_not1_b32 vcc_lo, exec_lo, s34
	s_cbranch_vccnz .LBB191_1309
; %bb.1299:
	s_cmp_lt_i32 s0, 6
	s_cbranch_scc1 .LBB191_1302
; %bb.1300:
	s_cmp_gt_i32 s0, 6
	s_cbranch_scc0 .LBB191_1303
; %bb.1301:
	global_load_b64 v[8:9], v[6:7], off
	s_mov_b32 s34, 0
	s_wait_loadcnt 0x0
	v_and_or_b32 v3, 0x1ff, v9, v8
	v_lshrrev_b32_e32 v5, 8, v9
	v_bfe_u32 v8, v9, 20, 11
	s_delay_alu instid0(VALU_DEP_3) | instskip(NEXT) | instid1(VALU_DEP_2)
	v_cmp_ne_u32_e32 vcc_lo, 0, v3
	v_sub_nc_u32_e32 v10, 0x3f1, v8
	v_add_nc_u32_e32 v8, 0xfffffc10, v8
	v_cndmask_b32_e64 v3, 0, 1, vcc_lo
	s_delay_alu instid0(VALU_DEP_1) | instskip(NEXT) | instid1(VALU_DEP_4)
	v_and_or_b32 v3, 0xffe, v5, v3
	v_med3_i32 v5, v10, 0, 13
	s_delay_alu instid0(VALU_DEP_2) | instskip(NEXT) | instid1(VALU_DEP_1)
	v_or_b32_e32 v10, 0x1000, v3
	v_lshrrev_b32_e32 v11, v5, v10
	s_delay_alu instid0(VALU_DEP_1) | instskip(NEXT) | instid1(VALU_DEP_1)
	v_lshlrev_b32_e32 v5, v5, v11
	v_cmp_ne_u32_e32 vcc_lo, v5, v10
	v_lshl_or_b32 v10, v8, 12, v3
	v_cndmask_b32_e64 v5, 0, 1, vcc_lo
	v_cmp_gt_i32_e32 vcc_lo, 1, v8
	s_delay_alu instid0(VALU_DEP_2) | instskip(NEXT) | instid1(VALU_DEP_1)
	v_or_b32_e32 v5, v11, v5
	v_cndmask_b32_e32 v5, v10, v5, vcc_lo
	s_delay_alu instid0(VALU_DEP_1) | instskip(NEXT) | instid1(VALU_DEP_1)
	v_dual_lshrrev_b32 v5, 2, v5 :: v_dual_bitop2_b32 v10, 7, v5 bitop3:0x40
	v_cmp_lt_i32_e32 vcc_lo, 5, v10
	v_cndmask_b32_e64 v11, 0, 1, vcc_lo
	v_cmp_eq_u32_e32 vcc_lo, 3, v10
	v_cndmask_b32_e64 v10, 0, 1, vcc_lo
	v_cmp_ne_u32_e32 vcc_lo, 0, v3
	s_delay_alu instid0(VALU_DEP_2) | instskip(SKIP_1) | instid1(VALU_DEP_2)
	v_or_b32_e32 v10, v10, v11
	v_mov_b32_e32 v11, 0x7e00
	v_add_nc_u32_e32 v5, v5, v10
	s_delay_alu instid0(VALU_DEP_2) | instskip(SKIP_1) | instid1(VALU_DEP_3)
	v_cndmask_b32_e32 v3, 0x7c00, v11, vcc_lo
	v_cmp_gt_i32_e32 vcc_lo, 31, v8
	v_cndmask_b32_e32 v5, 0x7c00, v5, vcc_lo
	v_cmp_eq_u32_e32 vcc_lo, 0x40f, v8
	s_delay_alu instid0(VALU_DEP_2) | instskip(NEXT) | instid1(VALU_DEP_1)
	v_dual_cndmask_b32 v3, v5, v3, vcc_lo :: v_dual_lshrrev_b32 v5, 16, v9
	v_and_or_b32 v3, 0x8000, v5, v3
	s_branch .LBB191_1304
.LBB191_1302:
	s_mov_b32 s34, -1
                                        ; implicit-def: $vgpr3
	s_branch .LBB191_1307
.LBB191_1303:
	s_mov_b32 s34, -1
                                        ; implicit-def: $vgpr3
.LBB191_1304:
	s_delay_alu instid0(SALU_CYCLE_1)
	s_and_not1_b32 vcc_lo, exec_lo, s34
	s_cbranch_vccnz .LBB191_1306
; %bb.1305:
	s_wait_loadcnt 0x0
	global_load_b32 v3, v[6:7], off
	s_wait_loadcnt 0x0
	v_cvt_f16_f32_e32 v3, v3
.LBB191_1306:
	s_mov_b32 s34, 0
.LBB191_1307:
	s_delay_alu instid0(SALU_CYCLE_1)
	s_and_not1_b32 vcc_lo, exec_lo, s34
	s_cbranch_vccnz .LBB191_1309
; %bb.1308:
	s_wait_loadcnt 0x0
	global_load_u16 v3, v[6:7], off
.LBB191_1309:
	s_mov_b32 s34, 0
.LBB191_1310:
	s_delay_alu instid0(SALU_CYCLE_1)
	s_and_not1_b32 vcc_lo, exec_lo, s34
	s_cbranch_vccnz .LBB191_1330
; %bb.1311:
	s_cmp_lt_i32 s0, 2
	s_cbranch_scc1 .LBB191_1315
; %bb.1312:
	s_cmp_lt_i32 s0, 3
	s_cbranch_scc1 .LBB191_1316
; %bb.1313:
	s_cmp_gt_i32 s0, 3
	s_cbranch_scc0 .LBB191_1317
; %bb.1314:
	global_load_b64 v[8:9], v[6:7], off
	s_mov_b32 s34, 0
	s_wait_loadcnt 0x0
	v_xor_b32_e32 v3, v8, v9
	v_cls_i32_e32 v5, v9
	s_delay_alu instid0(VALU_DEP_2) | instskip(NEXT) | instid1(VALU_DEP_1)
	v_ashrrev_i32_e32 v3, 31, v3
	v_add_nc_u32_e32 v3, 32, v3
	s_delay_alu instid0(VALU_DEP_1) | instskip(NEXT) | instid1(VALU_DEP_1)
	v_add_min_u32_e64 v3, v5, -1, v3
	v_lshlrev_b64_e32 v[8:9], v3, v[8:9]
	v_sub_nc_u32_e32 v3, 32, v3
	s_delay_alu instid0(VALU_DEP_2) | instskip(NEXT) | instid1(VALU_DEP_1)
	v_min_u32_e32 v5, 1, v8
	v_or_b32_e32 v5, v9, v5
	s_delay_alu instid0(VALU_DEP_1) | instskip(NEXT) | instid1(VALU_DEP_1)
	v_cvt_f32_i32_e32 v5, v5
	v_ldexp_f32 v3, v5, v3
	s_delay_alu instid0(VALU_DEP_1)
	v_cvt_f16_f32_e32 v3, v3
	s_branch .LBB191_1318
.LBB191_1315:
	s_mov_b32 s34, -1
                                        ; implicit-def: $vgpr3
	s_branch .LBB191_1324
.LBB191_1316:
	s_mov_b32 s34, -1
                                        ; implicit-def: $vgpr3
	s_branch .LBB191_1321
.LBB191_1317:
	s_mov_b32 s34, -1
                                        ; implicit-def: $vgpr3
.LBB191_1318:
	s_delay_alu instid0(SALU_CYCLE_1)
	s_and_not1_b32 vcc_lo, exec_lo, s34
	s_cbranch_vccnz .LBB191_1320
; %bb.1319:
	s_wait_loadcnt 0x0
	global_load_b32 v3, v[6:7], off
	s_wait_loadcnt 0x0
	v_cvt_f32_i32_e32 v3, v3
	s_delay_alu instid0(VALU_DEP_1)
	v_cvt_f16_f32_e32 v3, v3
.LBB191_1320:
	s_mov_b32 s34, 0
.LBB191_1321:
	s_delay_alu instid0(SALU_CYCLE_1)
	s_and_not1_b32 vcc_lo, exec_lo, s34
	s_cbranch_vccnz .LBB191_1323
; %bb.1322:
	s_wait_loadcnt 0x0
	global_load_u16 v3, v[6:7], off
	s_wait_loadcnt 0x0
	v_cvt_f16_i16_e32 v3, v3
.LBB191_1323:
	s_mov_b32 s34, 0
.LBB191_1324:
	s_delay_alu instid0(SALU_CYCLE_1)
	s_and_not1_b32 vcc_lo, exec_lo, s34
	s_cbranch_vccnz .LBB191_1330
; %bb.1325:
	s_cmp_gt_i32 s0, 0
	s_mov_b32 s0, 0
	s_cbranch_scc0 .LBB191_1327
; %bb.1326:
	s_wait_loadcnt 0x0
	global_load_i8 v3, v[6:7], off
	s_wait_loadcnt 0x0
	v_cvt_f16_i16_e32 v3, v3
	s_branch .LBB191_1328
.LBB191_1327:
	s_mov_b32 s0, -1
                                        ; implicit-def: $vgpr3
.LBB191_1328:
	s_delay_alu instid0(SALU_CYCLE_1)
	s_and_not1_b32 vcc_lo, exec_lo, s0
	s_cbranch_vccnz .LBB191_1330
; %bb.1329:
	s_wait_loadcnt 0x0
	global_load_u8 v3, v[6:7], off
	s_wait_loadcnt 0x0
	v_cvt_f16_u16_e32 v3, v3
.LBB191_1330:
	s_mov_b32 s35, -1
.LBB191_1331:
	s_delay_alu instid0(SALU_CYCLE_1)
	s_and_not1_b32 vcc_lo, exec_lo, s35
	s_cbranch_vccnz .LBB191_1339
; %bb.1332:
	v_mov_b32_e32 v5, 0
	s_and_b32 s0, 0xffff, s40
	s_delay_alu instid0(SALU_CYCLE_1) | instskip(NEXT) | instid1(VALU_DEP_1)
	s_cmp_lt_i32 s0, 11
	v_add_nc_u64_e32 v[4:5], s[10:11], v[4:5]
	s_cbranch_scc1 .LBB191_1340
; %bb.1333:
	s_cmp_gt_i32 s0, 25
	s_cbranch_scc0 .LBB191_1341
; %bb.1334:
	s_cmp_gt_i32 s0, 28
	s_cbranch_scc0 .LBB191_1342
	;; [unrolled: 3-line block ×4, first 2 shown]
; %bb.1337:
	s_cmp_eq_u32 s0, 46
	s_mov_b32 s58, 0
	s_cbranch_scc0 .LBB191_1347
; %bb.1338:
	global_load_b32 v6, v[4:5], off
	s_mov_b32 s35, -1
	s_mov_b32 s34, 0
	s_wait_loadcnt 0x0
	v_lshlrev_b32_e32 v6, 16, v6
	s_delay_alu instid0(VALU_DEP_1)
	v_cvt_f16_f32_e32 v6, v6
	s_branch .LBB191_1349
.LBB191_1339:
	s_mov_b32 s35, 0
	s_mov_b32 s0, s53
	;; [unrolled: 1-line block ×3, first 2 shown]
	s_branch .LBB191_1588
.LBB191_1340:
	s_mov_b32 s58, -1
	s_mov_b32 s35, 0
	s_mov_b32 s34, s54
                                        ; implicit-def: $vgpr6
	s_branch .LBB191_1414
.LBB191_1341:
	s_mov_b32 s58, -1
	s_mov_b32 s35, 0
	s_mov_b32 s34, s54
                                        ; implicit-def: $vgpr6
	s_branch .LBB191_1378
.LBB191_1342:
	s_mov_b32 s58, -1
	s_mov_b32 s35, 0
	s_mov_b32 s34, s54
                                        ; implicit-def: $vgpr6
	s_branch .LBB191_1359
.LBB191_1343:
	s_mov_b32 s58, -1
	s_mov_b32 s35, 0
	s_mov_b32 s34, s54
                                        ; implicit-def: $vgpr6
	s_branch .LBB191_1354
.LBB191_1344:
	s_mov_b32 s58, -1
	s_mov_b32 s35, 0
	s_mov_b32 s34, s54
	s_branch .LBB191_1348
.LBB191_1345:
	s_and_not1_saveexec_b32 s55, s55
	s_cbranch_execz .LBB191_978
.LBB191_1346:
	v_add_f32_e64 v5, 0x42800000, |v1|
	s_and_not1_b32 s54, s54, exec_lo
	s_delay_alu instid0(VALU_DEP_1) | instskip(NEXT) | instid1(VALU_DEP_1)
	v_and_b32_e32 v5, 0xff, v5
	v_cmp_ne_u32_e32 vcc_lo, 0, v5
	s_and_b32 s57, vcc_lo, exec_lo
	s_delay_alu instid0(SALU_CYCLE_1)
	s_or_b32 s54, s54, s57
	s_or_b32 exec_lo, exec_lo, s55
	v_mov_b32_e32 v6, 0
	s_and_saveexec_b32 s55, s54
	s_cbranch_execnz .LBB191_979
	s_branch .LBB191_980
.LBB191_1347:
	s_mov_b32 s34, -1
	s_mov_b32 s35, 0
.LBB191_1348:
                                        ; implicit-def: $vgpr6
.LBB191_1349:
	s_and_b32 vcc_lo, exec_lo, s58
	s_cbranch_vccz .LBB191_1353
; %bb.1350:
	s_cmp_eq_u32 s0, 44
	s_cbranch_scc0 .LBB191_1352
; %bb.1351:
	global_load_u8 v6, v[4:5], off
	s_mov_b32 s34, 0
	s_mov_b32 s35, -1
	s_wait_loadcnt 0x0
	v_lshlrev_b32_e32 v7, 23, v6
	v_cmp_ne_u32_e32 vcc_lo, 0xff, v6
	s_delay_alu instid0(VALU_DEP_2) | instskip(NEXT) | instid1(VALU_DEP_1)
	v_cvt_f16_f32_e32 v7, v7
	v_cndmask_b32_e32 v7, 0x7e00, v7, vcc_lo
	v_cmp_ne_u32_e32 vcc_lo, 0, v6
	s_delay_alu instid0(VALU_DEP_2)
	v_cndmask_b32_e32 v6, 0, v7, vcc_lo
	s_branch .LBB191_1353
.LBB191_1352:
	s_mov_b32 s34, -1
                                        ; implicit-def: $vgpr6
.LBB191_1353:
	s_mov_b32 s58, 0
.LBB191_1354:
	s_delay_alu instid0(SALU_CYCLE_1)
	s_and_b32 vcc_lo, exec_lo, s58
	s_cbranch_vccz .LBB191_1358
; %bb.1355:
	s_cmp_eq_u32 s0, 29
	s_cbranch_scc0 .LBB191_1357
; %bb.1356:
	global_load_b64 v[6:7], v[4:5], off
	s_mov_b32 s35, -1
	s_mov_b32 s34, 0
	s_mov_b32 s58, 0
	s_wait_loadcnt 0x0
	v_clz_i32_u32_e32 v8, v7
	s_delay_alu instid0(VALU_DEP_1) | instskip(NEXT) | instid1(VALU_DEP_1)
	v_min_u32_e32 v8, 32, v8
	v_lshlrev_b64_e32 v[6:7], v8, v[6:7]
	s_delay_alu instid0(VALU_DEP_1) | instskip(NEXT) | instid1(VALU_DEP_1)
	v_min_u32_e32 v6, 1, v6
	v_dual_sub_nc_u32 v7, 32, v8 :: v_dual_bitop2_b32 v6, v7, v6 bitop3:0x54
	s_delay_alu instid0(VALU_DEP_1) | instskip(NEXT) | instid1(VALU_DEP_1)
	v_cvt_f32_u32_e32 v6, v6
	v_ldexp_f32 v6, v6, v7
	s_delay_alu instid0(VALU_DEP_1)
	v_cvt_f16_f32_e32 v6, v6
	s_branch .LBB191_1359
.LBB191_1357:
	s_mov_b32 s34, -1
                                        ; implicit-def: $vgpr6
.LBB191_1358:
	s_mov_b32 s58, 0
.LBB191_1359:
	s_delay_alu instid0(SALU_CYCLE_1)
	s_and_b32 vcc_lo, exec_lo, s58
	s_cbranch_vccz .LBB191_1377
; %bb.1360:
	s_cmp_lt_i32 s0, 27
	s_cbranch_scc1 .LBB191_1363
; %bb.1361:
	s_cmp_gt_i32 s0, 27
	s_cbranch_scc0 .LBB191_1364
; %bb.1362:
	global_load_b32 v6, v[4:5], off
	s_mov_b32 s35, 0
	s_wait_loadcnt 0x0
	v_cvt_f32_u32_e32 v6, v6
	s_delay_alu instid0(VALU_DEP_1)
	v_cvt_f16_f32_e32 v6, v6
	s_branch .LBB191_1365
.LBB191_1363:
	s_mov_b32 s35, -1
                                        ; implicit-def: $vgpr6
	s_branch .LBB191_1368
.LBB191_1364:
	s_mov_b32 s35, -1
                                        ; implicit-def: $vgpr6
.LBB191_1365:
	s_delay_alu instid0(SALU_CYCLE_1)
	s_and_not1_b32 vcc_lo, exec_lo, s35
	s_cbranch_vccnz .LBB191_1367
; %bb.1366:
	global_load_u16 v6, v[4:5], off
	s_wait_loadcnt 0x0
	v_cvt_f16_u16_e32 v6, v6
.LBB191_1367:
	s_mov_b32 s35, 0
.LBB191_1368:
	s_delay_alu instid0(SALU_CYCLE_1)
	s_and_not1_b32 vcc_lo, exec_lo, s35
	s_cbranch_vccnz .LBB191_1376
; %bb.1369:
	global_load_u8 v7, v[4:5], off
	s_mov_b32 s35, 0
	s_mov_b32 s58, exec_lo
	s_wait_loadcnt 0x0
	v_cmpx_lt_i16_e32 0x7f, v7
	s_xor_b32 s58, exec_lo, s58
	s_cbranch_execz .LBB191_1390
; %bb.1370:
	s_mov_b32 s35, -1
	s_mov_b32 s59, exec_lo
	v_cmpx_eq_u16_e32 0x80, v7
; %bb.1371:
	s_xor_b32 s35, exec_lo, -1
; %bb.1372:
	s_or_b32 exec_lo, exec_lo, s59
	s_delay_alu instid0(SALU_CYCLE_1)
	s_and_b32 s35, s35, exec_lo
	s_or_saveexec_b32 s58, s58
	v_mov_b32_e32 v6, 0x7e00
	s_xor_b32 exec_lo, exec_lo, s58
	s_cbranch_execnz .LBB191_1391
.LBB191_1373:
	s_or_b32 exec_lo, exec_lo, s58
	s_and_saveexec_b32 s58, s35
	s_cbranch_execz .LBB191_1375
.LBB191_1374:
	v_and_b32_e32 v6, 0xffff, v7
	s_delay_alu instid0(VALU_DEP_1) | instskip(SKIP_1) | instid1(VALU_DEP_2)
	v_and_b32_e32 v8, 7, v6
	v_bfe_u32 v11, v6, 3, 4
	v_clz_i32_u32_e32 v9, v8
	s_delay_alu instid0(VALU_DEP_2) | instskip(NEXT) | instid1(VALU_DEP_2)
	v_cmp_eq_u32_e32 vcc_lo, 0, v11
	v_min_u32_e32 v9, 32, v9
	s_delay_alu instid0(VALU_DEP_1) | instskip(NEXT) | instid1(VALU_DEP_1)
	v_subrev_nc_u32_e32 v10, 28, v9
	v_dual_lshlrev_b32 v6, v10, v6 :: v_dual_sub_nc_u32 v9, 29, v9
	s_delay_alu instid0(VALU_DEP_1) | instskip(NEXT) | instid1(VALU_DEP_1)
	v_dual_lshlrev_b32 v7, 24, v7 :: v_dual_bitop2_b32 v6, 7, v6 bitop3:0x40
	v_dual_cndmask_b32 v9, v11, v9 :: v_dual_cndmask_b32 v6, v8, v6
	s_delay_alu instid0(VALU_DEP_2) | instskip(NEXT) | instid1(VALU_DEP_2)
	v_and_b32_e32 v7, 0x80000000, v7
	v_lshl_add_u32 v8, v9, 23, 0x3b800000
	s_delay_alu instid0(VALU_DEP_3) | instskip(NEXT) | instid1(VALU_DEP_1)
	v_lshlrev_b32_e32 v6, 20, v6
	v_or3_b32 v6, v7, v8, v6
	s_delay_alu instid0(VALU_DEP_1)
	v_cvt_f16_f32_e32 v6, v6
.LBB191_1375:
	s_or_b32 exec_lo, exec_lo, s58
.LBB191_1376:
	s_mov_b32 s35, -1
.LBB191_1377:
	s_mov_b32 s58, 0
.LBB191_1378:
	s_delay_alu instid0(SALU_CYCLE_1)
	s_and_b32 vcc_lo, exec_lo, s58
	s_cbranch_vccz .LBB191_1413
; %bb.1379:
	s_cmp_gt_i32 s0, 22
	s_cbranch_scc0 .LBB191_1389
; %bb.1380:
	s_cmp_lt_i32 s0, 24
	s_cbranch_scc1 .LBB191_1392
; %bb.1381:
	s_cmp_gt_i32 s0, 24
	s_cbranch_scc0 .LBB191_1393
; %bb.1382:
	global_load_u8 v7, v[4:5], off
	s_mov_b32 s35, 0
	s_mov_b32 s58, exec_lo
	s_wait_loadcnt 0x0
	v_cmpx_lt_i16_e32 0x7f, v7
	s_xor_b32 s58, exec_lo, s58
	s_cbranch_execz .LBB191_1405
; %bb.1383:
	s_mov_b32 s35, -1
	s_mov_b32 s59, exec_lo
	v_cmpx_eq_u16_e32 0x80, v7
; %bb.1384:
	s_xor_b32 s35, exec_lo, -1
; %bb.1385:
	s_or_b32 exec_lo, exec_lo, s59
	s_delay_alu instid0(SALU_CYCLE_1)
	s_and_b32 s35, s35, exec_lo
	s_or_saveexec_b32 s58, s58
	v_mov_b32_e32 v6, 0x7e00
	s_xor_b32 exec_lo, exec_lo, s58
	s_cbranch_execnz .LBB191_1406
.LBB191_1386:
	s_or_b32 exec_lo, exec_lo, s58
	s_and_saveexec_b32 s58, s35
	s_cbranch_execz .LBB191_1388
.LBB191_1387:
	v_and_b32_e32 v6, 0xffff, v7
	s_delay_alu instid0(VALU_DEP_1) | instskip(SKIP_1) | instid1(VALU_DEP_2)
	v_and_b32_e32 v8, 3, v6
	v_bfe_u32 v11, v6, 2, 5
	v_clz_i32_u32_e32 v9, v8
	s_delay_alu instid0(VALU_DEP_2) | instskip(NEXT) | instid1(VALU_DEP_2)
	v_cmp_eq_u32_e32 vcc_lo, 0, v11
	v_min_u32_e32 v9, 32, v9
	s_delay_alu instid0(VALU_DEP_1) | instskip(NEXT) | instid1(VALU_DEP_1)
	v_subrev_nc_u32_e32 v10, 29, v9
	v_dual_lshlrev_b32 v6, v10, v6 :: v_dual_sub_nc_u32 v9, 30, v9
	s_delay_alu instid0(VALU_DEP_1) | instskip(NEXT) | instid1(VALU_DEP_1)
	v_dual_lshlrev_b32 v7, 24, v7 :: v_dual_bitop2_b32 v6, 3, v6 bitop3:0x40
	v_dual_cndmask_b32 v9, v11, v9 :: v_dual_cndmask_b32 v6, v8, v6
	s_delay_alu instid0(VALU_DEP_2) | instskip(NEXT) | instid1(VALU_DEP_2)
	v_and_b32_e32 v7, 0x80000000, v7
	v_lshl_add_u32 v8, v9, 23, 0x37800000
	s_delay_alu instid0(VALU_DEP_3) | instskip(NEXT) | instid1(VALU_DEP_1)
	v_lshlrev_b32_e32 v6, 21, v6
	v_or3_b32 v6, v7, v8, v6
	s_delay_alu instid0(VALU_DEP_1)
	v_cvt_f16_f32_e32 v6, v6
.LBB191_1388:
	s_or_b32 exec_lo, exec_lo, s58
	s_mov_b32 s35, 0
	s_branch .LBB191_1394
.LBB191_1389:
	s_mov_b32 s58, -1
                                        ; implicit-def: $vgpr6
	s_branch .LBB191_1400
.LBB191_1390:
	s_or_saveexec_b32 s58, s58
	v_mov_b32_e32 v6, 0x7e00
	s_xor_b32 exec_lo, exec_lo, s58
	s_cbranch_execz .LBB191_1373
.LBB191_1391:
	v_cmp_ne_u16_e32 vcc_lo, 0, v7
	v_mov_b32_e32 v6, v7
	s_and_not1_b32 s35, s35, exec_lo
	s_and_b32 s59, vcc_lo, exec_lo
	s_delay_alu instid0(SALU_CYCLE_1)
	s_or_b32 s35, s35, s59
	s_or_b32 exec_lo, exec_lo, s58
	s_and_saveexec_b32 s58, s35
	s_cbranch_execnz .LBB191_1374
	s_branch .LBB191_1375
.LBB191_1392:
	s_mov_b32 s35, -1
                                        ; implicit-def: $vgpr6
	s_branch .LBB191_1397
.LBB191_1393:
	s_mov_b32 s35, -1
                                        ; implicit-def: $vgpr6
.LBB191_1394:
	s_delay_alu instid0(SALU_CYCLE_1)
	s_and_b32 vcc_lo, exec_lo, s35
	s_cbranch_vccz .LBB191_1396
; %bb.1395:
	global_load_u8 v6, v[4:5], off
	s_wait_loadcnt 0x0
	v_lshlrev_b32_e32 v6, 24, v6
	s_delay_alu instid0(VALU_DEP_1) | instskip(NEXT) | instid1(VALU_DEP_1)
	v_and_b32_e32 v7, 0x7f000000, v6
	v_clz_i32_u32_e32 v8, v7
	v_cmp_ne_u32_e32 vcc_lo, 0, v7
	v_add_nc_u32_e32 v10, 0x1000000, v7
	s_delay_alu instid0(VALU_DEP_3) | instskip(NEXT) | instid1(VALU_DEP_1)
	v_min_u32_e32 v8, 32, v8
	v_sub_nc_u32_e64 v8, v8, 4 clamp
	s_delay_alu instid0(VALU_DEP_1) | instskip(NEXT) | instid1(VALU_DEP_1)
	v_dual_lshlrev_b32 v9, v8, v7 :: v_dual_lshlrev_b32 v8, 23, v8
	v_lshrrev_b32_e32 v9, 4, v9
	s_delay_alu instid0(VALU_DEP_1) | instskip(NEXT) | instid1(VALU_DEP_1)
	v_dual_sub_nc_u32 v8, v9, v8 :: v_dual_ashrrev_i32 v9, 8, v10
	v_add_nc_u32_e32 v8, 0x3c000000, v8
	s_delay_alu instid0(VALU_DEP_1) | instskip(NEXT) | instid1(VALU_DEP_1)
	v_and_or_b32 v8, 0x7f800000, v9, v8
	v_cndmask_b32_e32 v7, 0, v8, vcc_lo
	s_delay_alu instid0(VALU_DEP_1) | instskip(NEXT) | instid1(VALU_DEP_1)
	v_and_or_b32 v6, 0x80000000, v6, v7
	v_cvt_f16_f32_e32 v6, v6
.LBB191_1396:
	s_mov_b32 s35, 0
.LBB191_1397:
	s_delay_alu instid0(SALU_CYCLE_1)
	s_and_not1_b32 vcc_lo, exec_lo, s35
	s_cbranch_vccnz .LBB191_1399
; %bb.1398:
	global_load_u8 v6, v[4:5], off
	s_wait_loadcnt 0x0
	v_lshlrev_b32_e32 v7, 25, v6
	v_lshlrev_b16 v6, 8, v6
	s_delay_alu instid0(VALU_DEP_1) | instskip(SKIP_1) | instid1(VALU_DEP_2)
	v_and_or_b32 v9, 0x7f00, v6, 0.5
	v_bfe_i32 v6, v6, 0, 16
	v_dual_add_f32 v9, -0.5, v9 :: v_dual_lshrrev_b32 v8, 4, v7
	v_cmp_gt_u32_e32 vcc_lo, 0x8000000, v7
	s_delay_alu instid0(VALU_DEP_2) | instskip(NEXT) | instid1(VALU_DEP_1)
	v_or_b32_e32 v8, 0x70000000, v8
	v_mul_f32_e32 v8, 0x7800000, v8
	s_delay_alu instid0(VALU_DEP_1) | instskip(NEXT) | instid1(VALU_DEP_1)
	v_cndmask_b32_e32 v7, v8, v9, vcc_lo
	v_and_or_b32 v6, 0x80000000, v6, v7
	s_delay_alu instid0(VALU_DEP_1)
	v_cvt_f16_f32_e32 v6, v6
.LBB191_1399:
	s_mov_b32 s58, 0
	s_mov_b32 s35, -1
.LBB191_1400:
	s_and_not1_b32 vcc_lo, exec_lo, s58
	s_cbranch_vccnz .LBB191_1413
; %bb.1401:
	s_cmp_gt_i32 s0, 14
	s_cbranch_scc0 .LBB191_1404
; %bb.1402:
	s_cmp_eq_u32 s0, 15
	s_cbranch_scc0 .LBB191_1407
; %bb.1403:
	global_load_u16 v6, v[4:5], off
	s_mov_b32 s35, -1
	s_mov_b32 s34, 0
	s_wait_loadcnt 0x0
	v_lshlrev_b32_e32 v6, 16, v6
	s_delay_alu instid0(VALU_DEP_1)
	v_cvt_f16_f32_e32 v6, v6
	s_branch .LBB191_1408
.LBB191_1404:
	s_mov_b32 s58, -1
                                        ; implicit-def: $vgpr6
	s_branch .LBB191_1409
.LBB191_1405:
	s_or_saveexec_b32 s58, s58
	v_mov_b32_e32 v6, 0x7e00
	s_xor_b32 exec_lo, exec_lo, s58
	s_cbranch_execz .LBB191_1386
.LBB191_1406:
	v_cmp_ne_u16_e32 vcc_lo, 0, v7
	v_mov_b32_e32 v6, v7
	s_and_not1_b32 s35, s35, exec_lo
	s_and_b32 s59, vcc_lo, exec_lo
	s_delay_alu instid0(SALU_CYCLE_1)
	s_or_b32 s35, s35, s59
	s_or_b32 exec_lo, exec_lo, s58
	s_and_saveexec_b32 s58, s35
	s_cbranch_execnz .LBB191_1387
	s_branch .LBB191_1388
.LBB191_1407:
	s_mov_b32 s34, -1
                                        ; implicit-def: $vgpr6
.LBB191_1408:
	s_mov_b32 s58, 0
.LBB191_1409:
	s_delay_alu instid0(SALU_CYCLE_1)
	s_and_b32 vcc_lo, exec_lo, s58
	s_cbranch_vccz .LBB191_1413
; %bb.1410:
	s_cmp_eq_u32 s0, 11
	s_cbranch_scc0 .LBB191_1412
; %bb.1411:
	global_load_u8 v6, v[4:5], off
	s_mov_b32 s34, 0
	s_mov_b32 s35, -1
	s_wait_loadcnt 0x0
	v_cmp_ne_u16_e32 vcc_lo, 0, v6
	v_cndmask_b32_e64 v6, 0, 0x3c00, vcc_lo
	s_branch .LBB191_1413
.LBB191_1412:
	s_mov_b32 s34, -1
                                        ; implicit-def: $vgpr6
.LBB191_1413:
	s_mov_b32 s58, 0
.LBB191_1414:
	s_delay_alu instid0(SALU_CYCLE_1)
	s_and_b32 vcc_lo, exec_lo, s58
	s_cbranch_vccz .LBB191_1463
; %bb.1415:
	s_cmp_lt_i32 s0, 5
	s_cbranch_scc1 .LBB191_1420
; %bb.1416:
	s_cmp_lt_i32 s0, 8
	s_cbranch_scc1 .LBB191_1421
; %bb.1417:
	s_cmp_lt_i32 s0, 9
	s_cbranch_scc1 .LBB191_1422
; %bb.1418:
	s_cmp_gt_i32 s0, 9
	s_cbranch_scc0 .LBB191_1423
; %bb.1419:
	global_load_b64 v[6:7], v[4:5], off
	s_mov_b32 s35, 0
	s_wait_loadcnt 0x0
	v_and_or_b32 v6, 0x1ff, v7, v6
	v_lshrrev_b32_e32 v8, 8, v7
	v_bfe_u32 v9, v7, 20, 11
	v_lshrrev_b32_e32 v7, 16, v7
	s_delay_alu instid0(VALU_DEP_4) | instskip(NEXT) | instid1(VALU_DEP_3)
	v_cmp_ne_u32_e32 vcc_lo, 0, v6
	v_sub_nc_u32_e32 v10, 0x3f1, v9
	v_add_nc_u32_e32 v9, 0xfffffc10, v9
	v_cndmask_b32_e64 v6, 0, 1, vcc_lo
	s_delay_alu instid0(VALU_DEP_1) | instskip(NEXT) | instid1(VALU_DEP_4)
	v_and_or_b32 v6, 0xffe, v8, v6
	v_med3_i32 v8, v10, 0, 13
	s_delay_alu instid0(VALU_DEP_2) | instskip(NEXT) | instid1(VALU_DEP_1)
	v_or_b32_e32 v10, 0x1000, v6
	v_lshrrev_b32_e32 v11, v8, v10
	s_delay_alu instid0(VALU_DEP_1) | instskip(NEXT) | instid1(VALU_DEP_1)
	v_lshlrev_b32_e32 v8, v8, v11
	v_cmp_ne_u32_e32 vcc_lo, v8, v10
	v_lshl_or_b32 v10, v9, 12, v6
	v_cndmask_b32_e64 v8, 0, 1, vcc_lo
	v_cmp_gt_i32_e32 vcc_lo, 1, v9
	s_delay_alu instid0(VALU_DEP_2) | instskip(NEXT) | instid1(VALU_DEP_1)
	v_or_b32_e32 v8, v11, v8
	v_cndmask_b32_e32 v8, v10, v8, vcc_lo
	s_delay_alu instid0(VALU_DEP_1) | instskip(NEXT) | instid1(VALU_DEP_1)
	v_dual_lshrrev_b32 v8, 2, v8 :: v_dual_bitop2_b32 v10, 7, v8 bitop3:0x40
	v_cmp_lt_i32_e32 vcc_lo, 5, v10
	v_cndmask_b32_e64 v11, 0, 1, vcc_lo
	v_cmp_eq_u32_e32 vcc_lo, 3, v10
	v_cndmask_b32_e64 v10, 0, 1, vcc_lo
	v_cmp_ne_u32_e32 vcc_lo, 0, v6
	s_delay_alu instid0(VALU_DEP_2) | instskip(NEXT) | instid1(VALU_DEP_1)
	v_or_b32_e32 v10, v10, v11
	v_dual_mov_b32 v11, 0x7e00 :: v_dual_add_nc_u32 v8, v8, v10
	s_delay_alu instid0(VALU_DEP_1) | instskip(SKIP_1) | instid1(VALU_DEP_3)
	v_cndmask_b32_e32 v6, 0x7c00, v11, vcc_lo
	v_cmp_gt_i32_e32 vcc_lo, 31, v9
	v_cndmask_b32_e32 v8, 0x7c00, v8, vcc_lo
	v_cmp_eq_u32_e32 vcc_lo, 0x40f, v9
	s_delay_alu instid0(VALU_DEP_2) | instskip(NEXT) | instid1(VALU_DEP_1)
	v_cndmask_b32_e32 v6, v8, v6, vcc_lo
	v_and_or_b32 v6, 0x8000, v7, v6
	s_branch .LBB191_1424
.LBB191_1420:
	s_mov_b32 s35, -1
                                        ; implicit-def: $vgpr6
	s_branch .LBB191_1442
.LBB191_1421:
	s_mov_b32 s35, -1
                                        ; implicit-def: $vgpr6
	s_branch .LBB191_1430
.LBB191_1422:
	s_mov_b32 s35, -1
                                        ; implicit-def: $vgpr6
	s_branch .LBB191_1427
.LBB191_1423:
	s_mov_b32 s35, -1
                                        ; implicit-def: $vgpr6
.LBB191_1424:
	s_delay_alu instid0(SALU_CYCLE_1)
	s_and_not1_b32 vcc_lo, exec_lo, s35
	s_cbranch_vccnz .LBB191_1426
; %bb.1425:
	global_load_b32 v6, v[4:5], off
	s_wait_loadcnt 0x0
	v_cvt_f16_f32_e32 v6, v6
.LBB191_1426:
	s_mov_b32 s35, 0
.LBB191_1427:
	s_delay_alu instid0(SALU_CYCLE_1)
	s_and_not1_b32 vcc_lo, exec_lo, s35
	s_cbranch_vccnz .LBB191_1429
; %bb.1428:
	global_load_b32 v6, v[4:5], off
.LBB191_1429:
	s_mov_b32 s35, 0
.LBB191_1430:
	s_delay_alu instid0(SALU_CYCLE_1)
	s_and_not1_b32 vcc_lo, exec_lo, s35
	s_cbranch_vccnz .LBB191_1441
; %bb.1431:
	s_cmp_lt_i32 s0, 6
	s_cbranch_scc1 .LBB191_1434
; %bb.1432:
	s_cmp_gt_i32 s0, 6
	s_cbranch_scc0 .LBB191_1435
; %bb.1433:
	s_wait_loadcnt 0x0
	global_load_b64 v[6:7], v[4:5], off
	s_mov_b32 s35, 0
	s_wait_loadcnt 0x0
	v_and_or_b32 v6, 0x1ff, v7, v6
	v_lshrrev_b32_e32 v8, 8, v7
	v_bfe_u32 v9, v7, 20, 11
	v_lshrrev_b32_e32 v7, 16, v7
	s_delay_alu instid0(VALU_DEP_4) | instskip(NEXT) | instid1(VALU_DEP_3)
	v_cmp_ne_u32_e32 vcc_lo, 0, v6
	v_sub_nc_u32_e32 v10, 0x3f1, v9
	v_add_nc_u32_e32 v9, 0xfffffc10, v9
	v_cndmask_b32_e64 v6, 0, 1, vcc_lo
	s_delay_alu instid0(VALU_DEP_1) | instskip(NEXT) | instid1(VALU_DEP_4)
	v_and_or_b32 v6, 0xffe, v8, v6
	v_med3_i32 v8, v10, 0, 13
	s_delay_alu instid0(VALU_DEP_2) | instskip(NEXT) | instid1(VALU_DEP_1)
	v_or_b32_e32 v10, 0x1000, v6
	v_lshrrev_b32_e32 v11, v8, v10
	s_delay_alu instid0(VALU_DEP_1) | instskip(NEXT) | instid1(VALU_DEP_1)
	v_lshlrev_b32_e32 v8, v8, v11
	v_cmp_ne_u32_e32 vcc_lo, v8, v10
	v_lshl_or_b32 v10, v9, 12, v6
	v_cndmask_b32_e64 v8, 0, 1, vcc_lo
	v_cmp_gt_i32_e32 vcc_lo, 1, v9
	s_delay_alu instid0(VALU_DEP_2) | instskip(NEXT) | instid1(VALU_DEP_1)
	v_or_b32_e32 v8, v11, v8
	v_cndmask_b32_e32 v8, v10, v8, vcc_lo
	s_delay_alu instid0(VALU_DEP_1) | instskip(NEXT) | instid1(VALU_DEP_1)
	v_dual_lshrrev_b32 v8, 2, v8 :: v_dual_bitop2_b32 v10, 7, v8 bitop3:0x40
	v_cmp_lt_i32_e32 vcc_lo, 5, v10
	v_cndmask_b32_e64 v11, 0, 1, vcc_lo
	v_cmp_eq_u32_e32 vcc_lo, 3, v10
	v_cndmask_b32_e64 v10, 0, 1, vcc_lo
	v_cmp_ne_u32_e32 vcc_lo, 0, v6
	s_delay_alu instid0(VALU_DEP_2) | instskip(NEXT) | instid1(VALU_DEP_1)
	v_or_b32_e32 v10, v10, v11
	v_dual_mov_b32 v11, 0x7e00 :: v_dual_add_nc_u32 v8, v8, v10
	s_delay_alu instid0(VALU_DEP_1) | instskip(SKIP_1) | instid1(VALU_DEP_3)
	v_cndmask_b32_e32 v6, 0x7c00, v11, vcc_lo
	v_cmp_gt_i32_e32 vcc_lo, 31, v9
	v_cndmask_b32_e32 v8, 0x7c00, v8, vcc_lo
	v_cmp_eq_u32_e32 vcc_lo, 0x40f, v9
	s_delay_alu instid0(VALU_DEP_2) | instskip(NEXT) | instid1(VALU_DEP_1)
	v_cndmask_b32_e32 v6, v8, v6, vcc_lo
	v_and_or_b32 v6, 0x8000, v7, v6
	s_branch .LBB191_1436
.LBB191_1434:
	s_mov_b32 s35, -1
                                        ; implicit-def: $vgpr6
	s_branch .LBB191_1439
.LBB191_1435:
	s_mov_b32 s35, -1
                                        ; implicit-def: $vgpr6
.LBB191_1436:
	s_delay_alu instid0(SALU_CYCLE_1)
	s_and_not1_b32 vcc_lo, exec_lo, s35
	s_cbranch_vccnz .LBB191_1438
; %bb.1437:
	s_wait_loadcnt 0x0
	global_load_b32 v6, v[4:5], off
	s_wait_loadcnt 0x0
	v_cvt_f16_f32_e32 v6, v6
.LBB191_1438:
	s_mov_b32 s35, 0
.LBB191_1439:
	s_delay_alu instid0(SALU_CYCLE_1)
	s_and_not1_b32 vcc_lo, exec_lo, s35
	s_cbranch_vccnz .LBB191_1441
; %bb.1440:
	s_wait_loadcnt 0x0
	global_load_u16 v6, v[4:5], off
.LBB191_1441:
	s_mov_b32 s35, 0
.LBB191_1442:
	s_delay_alu instid0(SALU_CYCLE_1)
	s_and_not1_b32 vcc_lo, exec_lo, s35
	s_cbranch_vccnz .LBB191_1462
; %bb.1443:
	s_cmp_lt_i32 s0, 2
	s_cbranch_scc1 .LBB191_1447
; %bb.1444:
	s_cmp_lt_i32 s0, 3
	s_cbranch_scc1 .LBB191_1448
; %bb.1445:
	s_cmp_gt_i32 s0, 3
	s_cbranch_scc0 .LBB191_1449
; %bb.1446:
	s_wait_loadcnt 0x0
	global_load_b64 v[6:7], v[4:5], off
	s_mov_b32 s35, 0
	s_wait_loadcnt 0x0
	v_xor_b32_e32 v8, v6, v7
	v_cls_i32_e32 v9, v7
	s_delay_alu instid0(VALU_DEP_2) | instskip(NEXT) | instid1(VALU_DEP_1)
	v_ashrrev_i32_e32 v8, 31, v8
	v_add_nc_u32_e32 v8, 32, v8
	s_delay_alu instid0(VALU_DEP_1) | instskip(NEXT) | instid1(VALU_DEP_1)
	v_add_min_u32_e64 v8, v9, -1, v8
	v_lshlrev_b64_e32 v[6:7], v8, v[6:7]
	s_delay_alu instid0(VALU_DEP_1) | instskip(NEXT) | instid1(VALU_DEP_1)
	v_min_u32_e32 v6, 1, v6
	v_dual_sub_nc_u32 v7, 32, v8 :: v_dual_bitop2_b32 v6, v7, v6 bitop3:0x54
	s_delay_alu instid0(VALU_DEP_1) | instskip(NEXT) | instid1(VALU_DEP_1)
	v_cvt_f32_i32_e32 v6, v6
	v_ldexp_f32 v6, v6, v7
	s_delay_alu instid0(VALU_DEP_1)
	v_cvt_f16_f32_e32 v6, v6
	s_branch .LBB191_1450
.LBB191_1447:
	s_mov_b32 s35, -1
                                        ; implicit-def: $vgpr6
	s_branch .LBB191_1456
.LBB191_1448:
	s_mov_b32 s35, -1
                                        ; implicit-def: $vgpr6
	s_branch .LBB191_1453
.LBB191_1449:
	s_mov_b32 s35, -1
                                        ; implicit-def: $vgpr6
.LBB191_1450:
	s_delay_alu instid0(SALU_CYCLE_1)
	s_and_not1_b32 vcc_lo, exec_lo, s35
	s_cbranch_vccnz .LBB191_1452
; %bb.1451:
	s_wait_loadcnt 0x0
	global_load_b32 v6, v[4:5], off
	s_wait_loadcnt 0x0
	v_cvt_f32_i32_e32 v6, v6
	s_delay_alu instid0(VALU_DEP_1)
	v_cvt_f16_f32_e32 v6, v6
.LBB191_1452:
	s_mov_b32 s35, 0
.LBB191_1453:
	s_delay_alu instid0(SALU_CYCLE_1)
	s_and_not1_b32 vcc_lo, exec_lo, s35
	s_cbranch_vccnz .LBB191_1455
; %bb.1454:
	s_wait_loadcnt 0x0
	global_load_u16 v6, v[4:5], off
	s_wait_loadcnt 0x0
	v_cvt_f16_i16_e32 v6, v6
.LBB191_1455:
	s_mov_b32 s35, 0
.LBB191_1456:
	s_delay_alu instid0(SALU_CYCLE_1)
	s_and_not1_b32 vcc_lo, exec_lo, s35
	s_cbranch_vccnz .LBB191_1462
; %bb.1457:
	s_cmp_gt_i32 s0, 0
	s_mov_b32 s0, 0
	s_cbranch_scc0 .LBB191_1459
; %bb.1458:
	s_wait_loadcnt 0x0
	global_load_i8 v6, v[4:5], off
	s_wait_loadcnt 0x0
	v_cvt_f16_i16_e32 v6, v6
	s_branch .LBB191_1460
.LBB191_1459:
	s_mov_b32 s0, -1
                                        ; implicit-def: $vgpr6
.LBB191_1460:
	s_delay_alu instid0(SALU_CYCLE_1)
	s_and_not1_b32 vcc_lo, exec_lo, s0
	s_cbranch_vccnz .LBB191_1462
; %bb.1461:
	global_load_u8 v4, v[4:5], off
	s_wait_loadcnt 0x0
	v_cvt_f16_u16_e32 v6, v4
.LBB191_1462:
	s_mov_b32 s35, -1
.LBB191_1463:
	s_delay_alu instid0(SALU_CYCLE_1)
	s_and_not1_b32 vcc_lo, exec_lo, s35
	s_cbranch_vccnz .LBB191_1471
; %bb.1464:
	s_wait_loadcnt 0x0
	v_mul_f16_e32 v4, s21, v3
	v_mov_b32_e32 v3, 0
	s_and_b32 s35, s25, 0xff
	s_delay_alu instid0(SALU_CYCLE_1) | instskip(NEXT) | instid1(VALU_DEP_2)
	s_cmp_lt_i32 s35, 11
	v_mul_f16_e32 v4, v4, v6
	s_delay_alu instid0(VALU_DEP_2) | instskip(NEXT) | instid1(VALU_DEP_2)
	v_add_nc_u64_e32 v[2:3], s[4:5], v[2:3]
	v_fmac_f16_e32 v4, s24, v1
	s_cbranch_scc1 .LBB191_1472
; %bb.1465:
	s_and_b32 s58, 0xffff, s35
	s_delay_alu instid0(SALU_CYCLE_1)
	s_cmp_gt_i32 s58, 25
	s_cbranch_scc0 .LBB191_1473
; %bb.1466:
	s_cmp_gt_i32 s58, 28
	s_cbranch_scc0 .LBB191_1474
; %bb.1467:
	;; [unrolled: 3-line block ×4, first 2 shown]
	s_mov_b32 s60, 0
	s_mov_b32 s0, -1
	s_cmp_eq_u32 s58, 46
	s_mov_b32 s59, 0
	s_cbranch_scc0 .LBB191_1477
; %bb.1470:
	v_cvt_f32_f16_e32 v1, v4
	v_cmp_o_f16_e32 vcc_lo, v4, v4
	s_mov_b32 s59, -1
	s_mov_b32 s0, 0
	s_delay_alu instid0(VALU_DEP_2) | instskip(NEXT) | instid1(VALU_DEP_1)
	v_bfe_u32 v5, v1, 16, 1
	v_add3_u32 v1, v1, v5, 0x7fff
	s_delay_alu instid0(VALU_DEP_1) | instskip(NEXT) | instid1(VALU_DEP_1)
	v_lshrrev_b32_e32 v1, 16, v1
	v_cndmask_b32_e32 v1, 0x7fc0, v1, vcc_lo
	global_store_b32 v[2:3], v1, off
	s_branch .LBB191_1477
.LBB191_1471:
	s_mov_b32 s35, 0
	s_mov_b32 s0, s53
	s_branch .LBB191_1588
.LBB191_1472:
	s_mov_b32 s58, -1
	s_mov_b32 s59, 0
	s_mov_b32 s0, s53
	s_branch .LBB191_1546
.LBB191_1473:
	s_mov_b32 s60, -1
	s_mov_b32 s59, 0
	s_mov_b32 s0, s53
	s_branch .LBB191_1504
.LBB191_1474:
	s_mov_b32 s60, -1
	s_mov_b32 s59, 0
	s_mov_b32 s0, s53
	s_branch .LBB191_1487
.LBB191_1475:
	s_mov_b32 s60, -1
	s_mov_b32 s59, 0
	s_mov_b32 s0, s53
	s_branch .LBB191_1483
.LBB191_1476:
	s_mov_b32 s60, -1
	s_mov_b32 s59, 0
	s_mov_b32 s0, s53
.LBB191_1477:
	s_and_b32 vcc_lo, exec_lo, s60
	s_cbranch_vccz .LBB191_1482
; %bb.1478:
	s_cmp_eq_u32 s58, 44
	s_mov_b32 s0, -1
	s_cbranch_scc0 .LBB191_1482
; %bb.1479:
	s_wait_xcnt 0x0
	v_cvt_f32_f16_e32 v1, v4
	v_mov_b32_e32 v5, 0xff
	s_mov_b32 s59, exec_lo
	s_delay_alu instid0(VALU_DEP_2) | instskip(NEXT) | instid1(VALU_DEP_1)
	v_bfe_u32 v6, v1, 23, 8
	v_cmpx_ne_u32_e32 0xff, v6
	s_cbranch_execz .LBB191_1481
; %bb.1480:
	v_and_b32_e32 v5, 0x400000, v1
	v_and_or_b32 v6, 0x3fffff, v1, v6
	v_lshrrev_b32_e32 v1, 23, v1
	s_delay_alu instid0(VALU_DEP_3) | instskip(NEXT) | instid1(VALU_DEP_3)
	v_cmp_ne_u32_e32 vcc_lo, 0, v5
	v_cmp_ne_u32_e64 s0, 0, v6
	s_and_b32 s0, vcc_lo, s0
	s_delay_alu instid0(SALU_CYCLE_1) | instskip(NEXT) | instid1(VALU_DEP_1)
	v_cndmask_b32_e64 v5, 0, 1, s0
	v_add_nc_u32_e32 v5, v1, v5
.LBB191_1481:
	s_or_b32 exec_lo, exec_lo, s59
	s_mov_b32 s59, -1
	s_mov_b32 s0, 0
	global_store_b8 v[2:3], v5, off
.LBB191_1482:
	s_mov_b32 s60, 0
.LBB191_1483:
	s_delay_alu instid0(SALU_CYCLE_1)
	s_and_b32 vcc_lo, exec_lo, s60
	s_cbranch_vccz .LBB191_1486
; %bb.1484:
	s_cmp_eq_u32 s58, 29
	s_mov_b32 s0, -1
	s_cbranch_scc0 .LBB191_1486
; %bb.1485:
	s_wait_xcnt 0x0
	v_cvt_f32_f16_e32 v1, v4
	v_mov_b32_e32 v7, 0
	s_mov_b32 s59, -1
	s_mov_b32 s0, 0
	s_mov_b32 s60, 0
	v_cvt_u32_f32_e32 v6, v1
	global_store_b64 v[2:3], v[6:7], off
	s_branch .LBB191_1487
.LBB191_1486:
	s_mov_b32 s60, 0
.LBB191_1487:
	s_delay_alu instid0(SALU_CYCLE_1)
	s_and_b32 vcc_lo, exec_lo, s60
	s_cbranch_vccz .LBB191_1503
; %bb.1488:
	s_cmp_lt_i32 s58, 27
	s_mov_b32 s59, -1
	s_cbranch_scc1 .LBB191_1494
; %bb.1489:
	s_cmp_gt_i32 s58, 27
	s_cbranch_scc0 .LBB191_1491
; %bb.1490:
	s_wait_xcnt 0x0
	v_cvt_f32_f16_e32 v1, v4
	s_mov_b32 s59, 0
	s_delay_alu instid0(VALU_DEP_1)
	v_cvt_u32_f32_e32 v1, v1
	global_store_b32 v[2:3], v1, off
.LBB191_1491:
	s_and_not1_b32 vcc_lo, exec_lo, s59
	s_cbranch_vccnz .LBB191_1493
; %bb.1492:
	s_wait_xcnt 0x0
	v_cvt_u16_f16_e32 v1, v4
	global_store_b16 v[2:3], v1, off
.LBB191_1493:
	s_mov_b32 s59, 0
.LBB191_1494:
	s_delay_alu instid0(SALU_CYCLE_1)
	s_and_not1_b32 vcc_lo, exec_lo, s59
	s_cbranch_vccnz .LBB191_1502
; %bb.1495:
	s_wait_xcnt 0x0
	v_cvt_f32_f16_e32 v1, v4
	v_mov_b32_e32 v6, 0x80
	s_mov_b32 s59, exec_lo
	s_delay_alu instid0(VALU_DEP_2) | instskip(NEXT) | instid1(VALU_DEP_1)
	v_and_b32_e32 v5, 0x7fffffff, v1
	v_cmpx_gt_u32_e32 0x43800000, v5
	s_cbranch_execz .LBB191_1501
; %bb.1496:
	v_cmp_lt_u32_e32 vcc_lo, 0x3bffffff, v5
	s_mov_b32 s60, 0
                                        ; implicit-def: $vgpr5
	s_and_saveexec_b32 s61, vcc_lo
	s_delay_alu instid0(SALU_CYCLE_1)
	s_xor_b32 s61, exec_lo, s61
	s_cbranch_execz .LBB191_2814
; %bb.1497:
	v_bfe_u32 v5, v1, 20, 1
	s_mov_b32 s60, exec_lo
	s_delay_alu instid0(VALU_DEP_1) | instskip(NEXT) | instid1(VALU_DEP_1)
	v_add3_u32 v5, v1, v5, 0x487ffff
	v_lshrrev_b32_e32 v5, 20, v5
	s_and_not1_saveexec_b32 s61, s61
	s_cbranch_execnz .LBB191_2815
.LBB191_1498:
	s_or_b32 exec_lo, exec_lo, s61
	v_mov_b32_e32 v6, 0
	s_and_saveexec_b32 s61, s60
.LBB191_1499:
	v_lshrrev_b32_e32 v1, 24, v1
	s_delay_alu instid0(VALU_DEP_1)
	v_and_or_b32 v6, 0x80, v1, v5
.LBB191_1500:
	s_or_b32 exec_lo, exec_lo, s61
.LBB191_1501:
	s_delay_alu instid0(SALU_CYCLE_1)
	s_or_b32 exec_lo, exec_lo, s59
	global_store_b8 v[2:3], v6, off
.LBB191_1502:
	s_mov_b32 s59, -1
.LBB191_1503:
	s_mov_b32 s60, 0
.LBB191_1504:
	s_delay_alu instid0(SALU_CYCLE_1)
	s_and_b32 vcc_lo, exec_lo, s60
	s_cbranch_vccz .LBB191_1545
; %bb.1505:
	s_cmp_gt_i32 s58, 22
	s_mov_b32 s60, -1
	s_cbranch_scc0 .LBB191_1537
; %bb.1506:
	s_cmp_lt_i32 s58, 24
	s_mov_b32 s59, -1
	s_cbranch_scc1 .LBB191_1526
; %bb.1507:
	s_cmp_gt_i32 s58, 24
	s_cbranch_scc0 .LBB191_1515
; %bb.1508:
	s_wait_xcnt 0x0
	v_cvt_f32_f16_e32 v1, v4
	v_mov_b32_e32 v6, 0x80
	s_mov_b32 s59, exec_lo
	s_delay_alu instid0(VALU_DEP_2) | instskip(NEXT) | instid1(VALU_DEP_1)
	v_and_b32_e32 v5, 0x7fffffff, v1
	v_cmpx_gt_u32_e32 0x47800000, v5
	s_cbranch_execz .LBB191_1514
; %bb.1509:
	v_cmp_lt_u32_e32 vcc_lo, 0x37ffffff, v5
	s_mov_b32 s60, 0
                                        ; implicit-def: $vgpr5
	s_and_saveexec_b32 s61, vcc_lo
	s_delay_alu instid0(SALU_CYCLE_1)
	s_xor_b32 s61, exec_lo, s61
	s_cbranch_execz .LBB191_2947
; %bb.1510:
	v_bfe_u32 v5, v1, 21, 1
	s_mov_b32 s60, exec_lo
	s_delay_alu instid0(VALU_DEP_1) | instskip(NEXT) | instid1(VALU_DEP_1)
	v_add3_u32 v5, v1, v5, 0x88fffff
	v_lshrrev_b32_e32 v5, 21, v5
	s_and_not1_saveexec_b32 s61, s61
	s_cbranch_execnz .LBB191_2948
.LBB191_1511:
	s_or_b32 exec_lo, exec_lo, s61
	v_mov_b32_e32 v6, 0
	s_and_saveexec_b32 s61, s60
.LBB191_1512:
	v_lshrrev_b32_e32 v1, 24, v1
	s_delay_alu instid0(VALU_DEP_1)
	v_and_or_b32 v6, 0x80, v1, v5
.LBB191_1513:
	s_or_b32 exec_lo, exec_lo, s61
.LBB191_1514:
	s_delay_alu instid0(SALU_CYCLE_1)
	s_or_b32 exec_lo, exec_lo, s59
	s_mov_b32 s59, 0
	global_store_b8 v[2:3], v6, off
.LBB191_1515:
	s_and_b32 vcc_lo, exec_lo, s59
	s_cbranch_vccz .LBB191_1525
; %bb.1516:
	s_wait_xcnt 0x0
	v_cvt_f32_f16_e32 v1, v4
	s_mov_b32 s59, exec_lo
                                        ; implicit-def: $vgpr5
	s_delay_alu instid0(VALU_DEP_1) | instskip(NEXT) | instid1(VALU_DEP_1)
	v_and_b32_e32 v6, 0x7fffffff, v1
	v_cmpx_gt_u32_e32 0x43f00000, v6
	s_xor_b32 s59, exec_lo, s59
	s_cbranch_execz .LBB191_1522
; %bb.1517:
	s_mov_b32 s60, exec_lo
                                        ; implicit-def: $vgpr5
	v_cmpx_lt_u32_e32 0x3c7fffff, v6
	s_xor_b32 s60, exec_lo, s60
; %bb.1518:
	v_bfe_u32 v5, v1, 20, 1
	s_delay_alu instid0(VALU_DEP_1) | instskip(NEXT) | instid1(VALU_DEP_1)
	v_add3_u32 v5, v1, v5, 0x407ffff
	v_and_b32_e32 v6, 0xff00000, v5
	v_lshrrev_b32_e32 v5, 20, v5
	s_delay_alu instid0(VALU_DEP_2) | instskip(NEXT) | instid1(VALU_DEP_2)
	v_cmp_ne_u32_e32 vcc_lo, 0x7f00000, v6
	v_cndmask_b32_e32 v5, 0x7e, v5, vcc_lo
; %bb.1519:
	s_and_not1_saveexec_b32 s60, s60
; %bb.1520:
	v_add_f32_e64 v5, 0x46800000, |v1|
; %bb.1521:
	s_or_b32 exec_lo, exec_lo, s60
                                        ; implicit-def: $vgpr6
.LBB191_1522:
	s_and_not1_saveexec_b32 s59, s59
; %bb.1523:
	v_mov_b32_e32 v5, 0x7f
	v_cmp_lt_u32_e32 vcc_lo, 0x7f800000, v6
	s_delay_alu instid0(VALU_DEP_2)
	v_cndmask_b32_e32 v5, 0x7e, v5, vcc_lo
; %bb.1524:
	s_or_b32 exec_lo, exec_lo, s59
	v_lshrrev_b32_e32 v1, 24, v1
	s_delay_alu instid0(VALU_DEP_1)
	v_and_or_b32 v1, 0x80, v1, v5
	global_store_b8 v[2:3], v1, off
.LBB191_1525:
	s_mov_b32 s59, 0
.LBB191_1526:
	s_delay_alu instid0(SALU_CYCLE_1)
	s_and_not1_b32 vcc_lo, exec_lo, s59
	s_cbranch_vccnz .LBB191_1536
; %bb.1527:
	s_wait_xcnt 0x0
	v_cvt_f32_f16_e32 v1, v4
	s_mov_b32 s59, exec_lo
                                        ; implicit-def: $vgpr5
	s_delay_alu instid0(VALU_DEP_1) | instskip(NEXT) | instid1(VALU_DEP_1)
	v_and_b32_e32 v6, 0x7fffffff, v1
	v_cmpx_gt_u32_e32 0x47800000, v6
	s_xor_b32 s59, exec_lo, s59
	s_cbranch_execz .LBB191_1533
; %bb.1528:
	s_mov_b32 s60, exec_lo
                                        ; implicit-def: $vgpr5
	v_cmpx_lt_u32_e32 0x387fffff, v6
	s_xor_b32 s60, exec_lo, s60
; %bb.1529:
	v_bfe_u32 v5, v1, 21, 1
	s_delay_alu instid0(VALU_DEP_1) | instskip(NEXT) | instid1(VALU_DEP_1)
	v_add3_u32 v5, v1, v5, 0x80fffff
	v_lshrrev_b32_e32 v5, 21, v5
; %bb.1530:
	s_and_not1_saveexec_b32 s60, s60
; %bb.1531:
	v_add_f32_e64 v5, 0x43000000, |v1|
; %bb.1532:
	s_or_b32 exec_lo, exec_lo, s60
                                        ; implicit-def: $vgpr6
.LBB191_1533:
	s_and_not1_saveexec_b32 s59, s59
; %bb.1534:
	v_mov_b32_e32 v5, 0x7f
	v_cmp_lt_u32_e32 vcc_lo, 0x7f800000, v6
	s_delay_alu instid0(VALU_DEP_2)
	v_cndmask_b32_e32 v5, 0x7c, v5, vcc_lo
; %bb.1535:
	s_or_b32 exec_lo, exec_lo, s59
	v_lshrrev_b32_e32 v1, 24, v1
	s_delay_alu instid0(VALU_DEP_1)
	v_and_or_b32 v1, 0x80, v1, v5
	global_store_b8 v[2:3], v1, off
.LBB191_1536:
	s_mov_b32 s60, 0
	s_mov_b32 s59, -1
.LBB191_1537:
	s_and_not1_b32 vcc_lo, exec_lo, s60
	s_cbranch_vccnz .LBB191_1545
; %bb.1538:
	s_cmp_gt_i32 s58, 14
	s_mov_b32 s60, -1
	s_cbranch_scc0 .LBB191_1542
; %bb.1539:
	s_cmp_eq_u32 s58, 15
	s_mov_b32 s0, -1
	s_cbranch_scc0 .LBB191_1541
; %bb.1540:
	s_wait_xcnt 0x0
	v_cvt_f32_f16_e32 v1, v4
	v_cmp_o_f16_e32 vcc_lo, v4, v4
	s_mov_b32 s59, -1
	s_mov_b32 s0, 0
	s_delay_alu instid0(VALU_DEP_2) | instskip(NEXT) | instid1(VALU_DEP_1)
	v_bfe_u32 v5, v1, 16, 1
	v_add3_u32 v1, v1, v5, 0x7fff
	s_delay_alu instid0(VALU_DEP_1) | instskip(NEXT) | instid1(VALU_DEP_1)
	v_lshrrev_b32_e32 v1, 16, v1
	v_cndmask_b32_e32 v1, 0x7fc0, v1, vcc_lo
	global_store_b16 v[2:3], v1, off
.LBB191_1541:
	s_mov_b32 s60, 0
.LBB191_1542:
	s_delay_alu instid0(SALU_CYCLE_1)
	s_and_b32 vcc_lo, exec_lo, s60
	s_cbranch_vccz .LBB191_1545
; %bb.1543:
	s_cmp_eq_u32 s58, 11
	s_mov_b32 s0, -1
	s_cbranch_scc0 .LBB191_1545
; %bb.1544:
	v_cmp_neq_f16_e32 vcc_lo, 0, v4
	s_mov_b32 s0, 0
	s_mov_b32 s59, -1
	s_wait_xcnt 0x0
	v_cndmask_b32_e64 v1, 0, 1, vcc_lo
	global_store_b8 v[2:3], v1, off
.LBB191_1545:
	s_mov_b32 s58, 0
.LBB191_1546:
	s_delay_alu instid0(SALU_CYCLE_1)
	s_and_b32 vcc_lo, exec_lo, s58
	s_cbranch_vccz .LBB191_1585
; %bb.1547:
	s_and_b32 s35, 0xffff, s35
	s_mov_b32 s58, -1
	s_cmp_lt_i32 s35, 5
	s_cbranch_scc1 .LBB191_1568
; %bb.1548:
	s_cmp_lt_i32 s35, 8
	s_cbranch_scc1 .LBB191_1558
; %bb.1549:
	;; [unrolled: 3-line block ×3, first 2 shown]
	s_cmp_gt_i32 s35, 9
	s_cbranch_scc0 .LBB191_1552
; %bb.1551:
	s_wait_xcnt 0x0
	v_cvt_f32_f16_e32 v1, v4
	v_mov_b32_e32 v8, 0
	s_mov_b32 s58, 0
	s_delay_alu instid0(VALU_DEP_2) | instskip(NEXT) | instid1(VALU_DEP_2)
	v_cvt_f64_f32_e32 v[6:7], v1
	v_mov_b32_e32 v9, v8
	global_store_b128 v[2:3], v[6:9], off
.LBB191_1552:
	s_and_not1_b32 vcc_lo, exec_lo, s58
	s_cbranch_vccnz .LBB191_1554
; %bb.1553:
	s_wait_xcnt 0x0
	v_cvt_f32_f16_e32 v6, v4
	v_mov_b32_e32 v7, 0
	global_store_b64 v[2:3], v[6:7], off
.LBB191_1554:
	s_mov_b32 s58, 0
.LBB191_1555:
	s_delay_alu instid0(SALU_CYCLE_1)
	s_and_not1_b32 vcc_lo, exec_lo, s58
	s_cbranch_vccnz .LBB191_1557
; %bb.1556:
	s_wait_xcnt 0x0
	v_and_b32_e32 v1, 0xffff, v4
	global_store_b32 v[2:3], v1, off
.LBB191_1557:
	s_mov_b32 s58, 0
.LBB191_1558:
	s_delay_alu instid0(SALU_CYCLE_1)
	s_and_not1_b32 vcc_lo, exec_lo, s58
	s_cbranch_vccnz .LBB191_1567
; %bb.1559:
	s_cmp_lt_i32 s35, 6
	s_mov_b32 s58, -1
	s_cbranch_scc1 .LBB191_1565
; %bb.1560:
	s_cmp_gt_i32 s35, 6
	s_cbranch_scc0 .LBB191_1562
; %bb.1561:
	s_wait_xcnt 0x0
	v_cvt_f32_f16_e32 v1, v4
	s_mov_b32 s58, 0
	s_delay_alu instid0(VALU_DEP_1)
	v_cvt_f64_f32_e32 v[6:7], v1
	global_store_b64 v[2:3], v[6:7], off
.LBB191_1562:
	s_and_not1_b32 vcc_lo, exec_lo, s58
	s_cbranch_vccnz .LBB191_1564
; %bb.1563:
	s_wait_xcnt 0x0
	v_cvt_f32_f16_e32 v1, v4
	global_store_b32 v[2:3], v1, off
.LBB191_1564:
	s_mov_b32 s58, 0
.LBB191_1565:
	s_delay_alu instid0(SALU_CYCLE_1)
	s_and_not1_b32 vcc_lo, exec_lo, s58
	s_cbranch_vccnz .LBB191_1567
; %bb.1566:
	global_store_b16 v[2:3], v4, off
.LBB191_1567:
	s_mov_b32 s58, 0
.LBB191_1568:
	s_delay_alu instid0(SALU_CYCLE_1)
	s_and_not1_b32 vcc_lo, exec_lo, s58
	s_cbranch_vccnz .LBB191_1584
; %bb.1569:
	s_cmp_lt_i32 s35, 2
	s_mov_b32 s58, -1
	s_cbranch_scc1 .LBB191_1579
; %bb.1570:
	s_cmp_lt_i32 s35, 3
	s_cbranch_scc1 .LBB191_1576
; %bb.1571:
	s_cmp_gt_i32 s35, 3
	s_cbranch_scc0 .LBB191_1573
; %bb.1572:
	s_wait_xcnt 0x0
	v_cvt_f32_f16_e32 v1, v4
	s_mov_b32 s58, 0
	s_delay_alu instid0(VALU_DEP_1) | instskip(NEXT) | instid1(VALU_DEP_1)
	v_cvt_i32_f32_e32 v6, v1
	v_ashrrev_i32_e32 v7, 31, v6
	global_store_b64 v[2:3], v[6:7], off
.LBB191_1573:
	s_and_not1_b32 vcc_lo, exec_lo, s58
	s_cbranch_vccnz .LBB191_1575
; %bb.1574:
	s_wait_xcnt 0x0
	v_cvt_f32_f16_e32 v1, v4
	s_delay_alu instid0(VALU_DEP_1)
	v_cvt_i32_f32_e32 v1, v1
	global_store_b32 v[2:3], v1, off
.LBB191_1575:
	s_mov_b32 s58, 0
.LBB191_1576:
	s_delay_alu instid0(SALU_CYCLE_1)
	s_and_not1_b32 vcc_lo, exec_lo, s58
	s_cbranch_vccnz .LBB191_1578
; %bb.1577:
	s_wait_xcnt 0x0
	v_cvt_i16_f16_e32 v1, v4
	global_store_b16 v[2:3], v1, off
.LBB191_1578:
	s_mov_b32 s58, 0
.LBB191_1579:
	s_delay_alu instid0(SALU_CYCLE_1)
	s_and_not1_b32 vcc_lo, exec_lo, s58
	s_cbranch_vccnz .LBB191_1584
; %bb.1580:
	s_cmp_gt_i32 s35, 0
	s_mov_b32 s35, -1
	s_cbranch_scc0 .LBB191_1582
; %bb.1581:
	s_wait_xcnt 0x0
	v_cvt_i16_f16_e32 v1, v4
	s_mov_b32 s35, 0
	global_store_b8 v[2:3], v1, off
.LBB191_1582:
	s_and_not1_b32 vcc_lo, exec_lo, s35
	s_cbranch_vccnz .LBB191_1584
; %bb.1583:
	s_wait_xcnt 0x0
	v_cvt_f32_f16_e32 v1, v4
	s_delay_alu instid0(VALU_DEP_1)
	v_cvt_i32_f32_e32 v1, v1
	global_store_b8 v[2:3], v1, off
.LBB191_1584:
	s_mov_b32 s59, -1
.LBB191_1585:
	s_delay_alu instid0(SALU_CYCLE_1)
	s_and_not1_b32 vcc_lo, exec_lo, s59
	s_cbranch_vccnz .LBB191_1587
; %bb.1586:
	v_add_nc_u32_e32 v0, 0x80, v0
	s_mov_b32 s35, -1
	s_branch .LBB191_1589
.LBB191_1587:
	s_mov_b32 s35, 0
.LBB191_1588:
                                        ; implicit-def: $vgpr0
.LBB191_1589:
	s_and_not1_b32 s58, s53, exec_lo
	s_and_b32 s0, s0, exec_lo
	s_and_not1_b32 s59, s54, exec_lo
	s_and_b32 s34, s34, exec_lo
	s_or_b32 s61, s58, s0
	s_or_b32 s59, s59, s34
	s_and_not1_b32 s0, s55, exec_lo
	s_and_b32 s31, s31, exec_lo
	s_and_not1_b32 s34, s52, exec_lo
	s_and_b32 s30, s30, exec_lo
	s_or_b32 s60, s0, s31
	s_or_b32 s58, s34, s30
	s_or_not1_b32 s35, s35, exec_lo
.LBB191_1590:
	s_wait_xcnt 0x0
	s_or_b32 exec_lo, exec_lo, s57
	s_mov_b32 s31, 0
	s_mov_b32 s34, 0
	;; [unrolled: 1-line block ×3, first 2 shown]
                                        ; implicit-def: $sgpr0
                                        ; implicit-def: $vgpr8_vgpr9
                                        ; implicit-def: $vgpr2
                                        ; implicit-def: $vgpr4
                                        ; implicit-def: $vgpr6
                                        ; implicit-def: $vgpr10
	s_and_saveexec_b32 s57, s35
	s_cbranch_execz .LBB191_1683
; %bb.1591:
	v_cmp_gt_i32_e32 vcc_lo, s46, v0
	s_mov_b32 s35, s58
                                        ; implicit-def: $sgpr0
                                        ; implicit-def: $vgpr8_vgpr9
                                        ; implicit-def: $vgpr2
                                        ; implicit-def: $vgpr4
                                        ; implicit-def: $vgpr6
                                        ; implicit-def: $vgpr10
	s_and_saveexec_b32 s46, vcc_lo
	s_cbranch_execz .LBB191_1682
; %bb.1592:
	s_and_not1_b32 vcc_lo, exec_lo, s38
	s_cbranch_vccnz .LBB191_1598
; %bb.1593:
	s_and_not1_b32 vcc_lo, exec_lo, s47
	s_cbranch_vccnz .LBB191_1599
; %bb.1594:
	s_wait_loadcnt 0x0
	v_dual_mov_b32 v6, 0 :: v_dual_mov_b32 v1, v0
	v_dual_mov_b32 v4, 0 :: v_dual_mov_b32 v2, 0
	v_mov_b32_e32 v8, 0
	s_add_co_i32 s0, s45, 1
	s_mov_b64 s[30:31], 0xffffffffffffffe0
	s_and_b32 s0, s0, 30
	s_add_nc_u64 s[30:31], s[2:3], s[30:31]
	s_mov_b64 s[34:35], s[2:3]
.LBB191_1595:                           ; =>This Inner Loop Header: Depth=1
	s_clause 0x1
	s_load_b128 s[72:75], s[34:35], 0x4
	s_load_b64 s[62:63], s[34:35], 0x14
	s_load_b256 s[64:71], s[30:31], 0xe4
	s_add_co_i32 s0, s0, -2
	s_wait_xcnt 0x0
	s_add_nc_u64 s[34:35], s[34:35], 24
	s_cmp_eq_u32 s0, 0
	s_add_nc_u64 s[30:31], s[30:31], 32
	s_wait_kmcnt 0x0
	v_mul_hi_u32 v3, s73, v1
	s_delay_alu instid0(VALU_DEP_1) | instskip(NEXT) | instid1(VALU_DEP_1)
	v_add_nc_u32_e32 v3, v1, v3
	v_lshrrev_b32_e32 v3, s74, v3
	s_delay_alu instid0(VALU_DEP_1) | instskip(SKIP_1) | instid1(VALU_DEP_1)
	v_mul_hi_u32 v5, s62, v3
	v_mul_lo_u32 v7, v3, s72
	v_dual_add_nc_u32 v5, v3, v5 :: v_dual_sub_nc_u32 v7, v1, v7
	s_delay_alu instid0(VALU_DEP_1) | instskip(NEXT) | instid1(VALU_DEP_2)
	v_lshrrev_b32_e32 v1, s63, v5
	v_mad_u32 v8, v7, s65, v8
	v_mad_u32 v2, v7, s64, v2
	;; [unrolled: 1-line block ×4, first 2 shown]
	v_mul_lo_u32 v5, v1, s75
	s_delay_alu instid0(VALU_DEP_1) | instskip(NEXT) | instid1(VALU_DEP_1)
	v_sub_nc_u32_e32 v3, v3, v5
	v_mad_u32 v8, v3, s69, v8
	v_mad_u32 v2, v3, s68, v2
	;; [unrolled: 1-line block ×4, first 2 shown]
	s_cbranch_scc0 .LBB191_1595
; %bb.1596:
	s_bitcmp1_b32 s45, 0
	s_cselect_b32 s0, -1, 0
	s_delay_alu instid0(SALU_CYCLE_1)
	s_and_b32 vcc_lo, exec_lo, s0
	s_cbranch_vccnz .LBB191_1600
; %bb.1597:
	s_load_b96 s[68:70], s[34:35], 0x4
	s_load_b128 s[64:67], s[30:31], 0xe4
	s_wait_kmcnt 0x0
	v_mul_hi_u32 v3, s69, v1
	s_delay_alu instid0(VALU_DEP_1) | instskip(NEXT) | instid1(VALU_DEP_1)
	v_add_nc_u32_e32 v3, v1, v3
	v_lshrrev_b32_e32 v3, s70, v3
	s_delay_alu instid0(VALU_DEP_1) | instskip(NEXT) | instid1(VALU_DEP_1)
	v_mul_lo_u32 v3, v3, s68
	v_sub_nc_u32_e32 v1, v1, v3
	s_delay_alu instid0(VALU_DEP_1)
	v_mad_u32 v2, v1, s64, v2
	v_mad_u32 v8, v1, s65, v8
	;; [unrolled: 1-line block ×4, first 2 shown]
	s_branch .LBB191_1600
.LBB191_1598:
	s_mov_b32 s0, -1
                                        ; implicit-def: $vgpr8
                                        ; implicit-def: $vgpr2
                                        ; implicit-def: $vgpr4
                                        ; implicit-def: $vgpr6
	s_branch .LBB191_1601
.LBB191_1599:
	v_dual_mov_b32 v8, 0 :: v_dual_mov_b32 v2, 0
	s_wait_loadcnt 0x0
	v_dual_mov_b32 v4, 0 :: v_dual_mov_b32 v6, 0
.LBB191_1600:
	s_mov_b32 s0, 0
.LBB191_1601:
	s_delay_alu instid0(SALU_CYCLE_1)
	s_and_not1_b32 vcc_lo, exec_lo, s0
	s_cbranch_vccnz .LBB191_1604
; %bb.1602:
	s_wait_loadcnt 0x0
	v_mov_b32_e32 v1, 0
	s_and_not1_b32 vcc_lo, exec_lo, s43
	s_delay_alu instid0(VALU_DEP_1) | instskip(NEXT) | instid1(VALU_DEP_1)
	v_mul_u64_e32 v[2:3], s[26:27], v[0:1]
	v_add_nc_u32_e32 v2, v0, v3
	s_delay_alu instid0(VALU_DEP_1) | instskip(NEXT) | instid1(VALU_DEP_1)
	v_lshrrev_b32_e32 v10, s22, v2
	v_mul_lo_u32 v2, v10, s20
	s_delay_alu instid0(VALU_DEP_1) | instskip(NEXT) | instid1(VALU_DEP_1)
	v_sub_nc_u32_e32 v0, v0, v2
	v_mul_lo_u32 v8, v0, s13
	v_mul_lo_u32 v2, v0, s12
	;; [unrolled: 1-line block ×4, first 2 shown]
	s_cbranch_vccnz .LBB191_1604
; %bb.1603:
	v_mov_b32_e32 v11, v1
	s_delay_alu instid0(VALU_DEP_1) | instskip(NEXT) | instid1(VALU_DEP_1)
	v_mul_u64_e32 v[0:1], s[28:29], v[10:11]
	v_add_nc_u32_e32 v0, v10, v1
	s_delay_alu instid0(VALU_DEP_1) | instskip(NEXT) | instid1(VALU_DEP_1)
	v_lshrrev_b32_e32 v0, s1, v0
	v_mul_lo_u32 v0, v0, s23
	s_delay_alu instid0(VALU_DEP_1) | instskip(NEXT) | instid1(VALU_DEP_1)
	v_sub_nc_u32_e32 v0, v10, v0
	v_mad_u32 v2, v0, s16, v2
	v_mad_u32 v8, v0, s17, v8
	;; [unrolled: 1-line block ×4, first 2 shown]
.LBB191_1604:
	v_mov_b32_e32 v9, 0
	s_and_b32 s0, s42, 0xff
	s_delay_alu instid0(SALU_CYCLE_1) | instskip(NEXT) | instid1(VALU_DEP_1)
	s_cmp_lt_i32 s0, 11
	v_add_nc_u64_e32 v[8:9], s[6:7], v[8:9]
	s_cbranch_scc1 .LBB191_1611
; %bb.1605:
	s_and_b32 s1, 0xffff, s0
	s_mov_b32 s7, 0
	s_cmp_gt_i32 s1, 25
	s_cbranch_scc0 .LBB191_1612
; %bb.1606:
	s_cmp_gt_i32 s1, 28
	s_cbranch_scc0 .LBB191_1613
; %bb.1607:
	;; [unrolled: 3-line block ×4, first 2 shown]
	s_cmp_eq_u32 s1, 46
	s_mov_b32 s13, 0
	s_cbranch_scc0 .LBB191_1616
; %bb.1610:
	global_load_b32 v0, v[8:9], off
	s_mov_b32 s6, 0
	s_mov_b32 s12, -1
	s_wait_loadcnt 0x0
	v_lshlrev_b32_e32 v0, 16, v0
	s_delay_alu instid0(VALU_DEP_1)
	v_cvt_f16_f32_e32 v10, v0
	s_branch .LBB191_1618
.LBB191_1611:
	s_mov_b32 s1, -1
	s_mov_b32 s12, 0
	s_mov_b32 s7, 0
	;; [unrolled: 1-line block ×3, first 2 shown]
                                        ; implicit-def: $vgpr10
	s_branch .LBB191_1681
.LBB191_1612:
	s_mov_b32 s13, -1
	s_mov_b32 s12, 0
	s_mov_b32 s6, s58
                                        ; implicit-def: $vgpr10
	s_branch .LBB191_1647
.LBB191_1613:
	s_mov_b32 s13, -1
	s_mov_b32 s12, 0
	s_mov_b32 s6, s58
                                        ; implicit-def: $vgpr10
	s_branch .LBB191_1628
.LBB191_1614:
	s_mov_b32 s13, -1
	s_mov_b32 s12, 0
	s_mov_b32 s6, s58
                                        ; implicit-def: $vgpr10
	s_branch .LBB191_1623
.LBB191_1615:
	s_mov_b32 s13, -1
	s_mov_b32 s12, 0
	s_mov_b32 s6, s58
	s_branch .LBB191_1617
.LBB191_1616:
	s_mov_b32 s6, -1
	s_mov_b32 s12, 0
.LBB191_1617:
                                        ; implicit-def: $vgpr10
.LBB191_1618:
	s_and_b32 vcc_lo, exec_lo, s13
	s_cbranch_vccz .LBB191_1622
; %bb.1619:
	s_cmp_eq_u32 s1, 44
	s_cbranch_scc0 .LBB191_1621
; %bb.1620:
	global_load_u8 v0, v[8:9], off
	s_mov_b32 s6, 0
	s_mov_b32 s12, -1
	s_wait_loadcnt 0x0
	v_lshlrev_b32_e32 v1, 23, v0
	v_cmp_ne_u32_e32 vcc_lo, 0xff, v0
	s_delay_alu instid0(VALU_DEP_2) | instskip(NEXT) | instid1(VALU_DEP_1)
	v_cvt_f16_f32_e32 v1, v1
	v_cndmask_b32_e32 v1, 0x7e00, v1, vcc_lo
	v_cmp_ne_u32_e32 vcc_lo, 0, v0
	s_delay_alu instid0(VALU_DEP_2)
	v_cndmask_b32_e32 v10, 0, v1, vcc_lo
	s_branch .LBB191_1622
.LBB191_1621:
	s_mov_b32 s6, -1
                                        ; implicit-def: $vgpr10
.LBB191_1622:
	s_mov_b32 s13, 0
.LBB191_1623:
	s_delay_alu instid0(SALU_CYCLE_1)
	s_and_b32 vcc_lo, exec_lo, s13
	s_cbranch_vccz .LBB191_1627
; %bb.1624:
	s_cmp_eq_u32 s1, 29
	s_cbranch_scc0 .LBB191_1626
; %bb.1625:
	s_wait_loadcnt 0x0
	global_load_b64 v[0:1], v[8:9], off
	s_mov_b32 s6, 0
	s_mov_b32 s12, -1
	s_mov_b32 s13, 0
	s_wait_loadcnt 0x0
	v_clz_i32_u32_e32 v3, v1
	s_delay_alu instid0(VALU_DEP_1) | instskip(NEXT) | instid1(VALU_DEP_1)
	v_min_u32_e32 v3, 32, v3
	v_lshlrev_b64_e32 v[0:1], v3, v[0:1]
	s_delay_alu instid0(VALU_DEP_1) | instskip(NEXT) | instid1(VALU_DEP_1)
	v_min_u32_e32 v0, 1, v0
	v_dual_sub_nc_u32 v1, 32, v3 :: v_dual_bitop2_b32 v0, v1, v0 bitop3:0x54
	s_delay_alu instid0(VALU_DEP_1) | instskip(NEXT) | instid1(VALU_DEP_1)
	v_cvt_f32_u32_e32 v0, v0
	v_ldexp_f32 v0, v0, v1
	s_delay_alu instid0(VALU_DEP_1)
	v_cvt_f16_f32_e32 v10, v0
	s_branch .LBB191_1628
.LBB191_1626:
	s_mov_b32 s6, -1
                                        ; implicit-def: $vgpr10
.LBB191_1627:
	s_mov_b32 s13, 0
.LBB191_1628:
	s_delay_alu instid0(SALU_CYCLE_1)
	s_and_b32 vcc_lo, exec_lo, s13
	s_cbranch_vccz .LBB191_1646
; %bb.1629:
	s_cmp_lt_i32 s1, 27
	s_cbranch_scc1 .LBB191_1632
; %bb.1630:
	s_cmp_gt_i32 s1, 27
	s_cbranch_scc0 .LBB191_1633
; %bb.1631:
	global_load_b32 v0, v[8:9], off
	s_mov_b32 s12, 0
	s_wait_loadcnt 0x0
	v_cvt_f32_u32_e32 v0, v0
	s_delay_alu instid0(VALU_DEP_1)
	v_cvt_f16_f32_e32 v10, v0
	s_branch .LBB191_1634
.LBB191_1632:
	s_mov_b32 s12, -1
                                        ; implicit-def: $vgpr10
	s_branch .LBB191_1637
.LBB191_1633:
	s_mov_b32 s12, -1
                                        ; implicit-def: $vgpr10
.LBB191_1634:
	s_delay_alu instid0(SALU_CYCLE_1)
	s_and_not1_b32 vcc_lo, exec_lo, s12
	s_cbranch_vccnz .LBB191_1636
; %bb.1635:
	global_load_u16 v0, v[8:9], off
	s_wait_loadcnt 0x0
	v_cvt_f16_u16_e32 v10, v0
.LBB191_1636:
	s_mov_b32 s12, 0
.LBB191_1637:
	s_delay_alu instid0(SALU_CYCLE_1)
	s_and_not1_b32 vcc_lo, exec_lo, s12
	s_cbranch_vccnz .LBB191_1645
; %bb.1638:
	global_load_u8 v0, v[8:9], off
	s_mov_b32 s12, 0
	s_mov_b32 s13, exec_lo
	s_wait_loadcnt 0x0
	v_cmpx_lt_i16_e32 0x7f, v0
	s_xor_b32 s13, exec_lo, s13
	s_cbranch_execz .LBB191_1659
; %bb.1639:
	s_mov_b32 s12, -1
	s_mov_b32 s14, exec_lo
	v_cmpx_eq_u16_e32 0x80, v0
; %bb.1640:
	s_xor_b32 s12, exec_lo, -1
; %bb.1641:
	s_or_b32 exec_lo, exec_lo, s14
	s_delay_alu instid0(SALU_CYCLE_1)
	s_and_b32 s12, s12, exec_lo
	s_or_saveexec_b32 s13, s13
	v_mov_b32_e32 v10, 0x7e00
	s_xor_b32 exec_lo, exec_lo, s13
	s_cbranch_execnz .LBB191_1660
.LBB191_1642:
	s_or_b32 exec_lo, exec_lo, s13
	s_and_saveexec_b32 s13, s12
	s_cbranch_execz .LBB191_1644
.LBB191_1643:
	v_and_b32_e32 v1, 0xffff, v0
	s_delay_alu instid0(VALU_DEP_1) | instskip(SKIP_1) | instid1(VALU_DEP_2)
	v_dual_lshlrev_b32 v0, 24, v0 :: v_dual_bitop2_b32 v3, 7, v1 bitop3:0x40
	v_bfe_u32 v10, v1, 3, 4
	v_and_b32_e32 v0, 0x80000000, v0
	s_delay_alu instid0(VALU_DEP_3) | instskip(NEXT) | instid1(VALU_DEP_3)
	v_clz_i32_u32_e32 v5, v3
	v_cmp_eq_u32_e32 vcc_lo, 0, v10
	s_delay_alu instid0(VALU_DEP_2) | instskip(NEXT) | instid1(VALU_DEP_1)
	v_min_u32_e32 v5, 32, v5
	v_subrev_nc_u32_e32 v7, 28, v5
	v_sub_nc_u32_e32 v5, 29, v5
	s_delay_alu instid0(VALU_DEP_2) | instskip(NEXT) | instid1(VALU_DEP_2)
	v_lshlrev_b32_e32 v1, v7, v1
	v_cndmask_b32_e32 v5, v10, v5, vcc_lo
	s_delay_alu instid0(VALU_DEP_2) | instskip(NEXT) | instid1(VALU_DEP_1)
	v_and_b32_e32 v1, 7, v1
	v_cndmask_b32_e32 v1, v3, v1, vcc_lo
	s_delay_alu instid0(VALU_DEP_3) | instskip(NEXT) | instid1(VALU_DEP_2)
	v_lshl_add_u32 v3, v5, 23, 0x3b800000
	v_lshlrev_b32_e32 v1, 20, v1
	s_delay_alu instid0(VALU_DEP_1) | instskip(NEXT) | instid1(VALU_DEP_1)
	v_or3_b32 v0, v0, v3, v1
	v_cvt_f16_f32_e32 v10, v0
.LBB191_1644:
	s_or_b32 exec_lo, exec_lo, s13
.LBB191_1645:
	s_mov_b32 s12, -1
.LBB191_1646:
	s_mov_b32 s13, 0
.LBB191_1647:
	s_delay_alu instid0(SALU_CYCLE_1)
	s_and_b32 vcc_lo, exec_lo, s13
	s_cbranch_vccz .LBB191_1680
; %bb.1648:
	s_cmp_gt_i32 s1, 22
	s_cbranch_scc0 .LBB191_1658
; %bb.1649:
	s_cmp_lt_i32 s1, 24
	s_cbranch_scc1 .LBB191_1661
; %bb.1650:
	s_cmp_gt_i32 s1, 24
	s_cbranch_scc0 .LBB191_1662
; %bb.1651:
	global_load_u8 v0, v[8:9], off
	s_mov_b32 s12, exec_lo
	s_wait_loadcnt 0x0
	v_cmpx_lt_i16_e32 0x7f, v0
	s_xor_b32 s12, exec_lo, s12
	s_cbranch_execz .LBB191_1674
; %bb.1652:
	s_mov_b32 s7, -1
	s_mov_b32 s13, exec_lo
	v_cmpx_eq_u16_e32 0x80, v0
; %bb.1653:
	s_xor_b32 s7, exec_lo, -1
; %bb.1654:
	s_or_b32 exec_lo, exec_lo, s13
	s_delay_alu instid0(SALU_CYCLE_1)
	s_and_b32 s7, s7, exec_lo
	s_or_saveexec_b32 s12, s12
	v_mov_b32_e32 v10, 0x7e00
	s_xor_b32 exec_lo, exec_lo, s12
	s_cbranch_execnz .LBB191_1675
.LBB191_1655:
	s_or_b32 exec_lo, exec_lo, s12
	s_and_saveexec_b32 s12, s7
	s_cbranch_execz .LBB191_1657
.LBB191_1656:
	v_and_b32_e32 v1, 0xffff, v0
	s_delay_alu instid0(VALU_DEP_1) | instskip(SKIP_1) | instid1(VALU_DEP_2)
	v_dual_lshlrev_b32 v0, 24, v0 :: v_dual_bitop2_b32 v3, 3, v1 bitop3:0x40
	v_bfe_u32 v10, v1, 2, 5
	v_and_b32_e32 v0, 0x80000000, v0
	s_delay_alu instid0(VALU_DEP_3) | instskip(NEXT) | instid1(VALU_DEP_3)
	v_clz_i32_u32_e32 v5, v3
	v_cmp_eq_u32_e32 vcc_lo, 0, v10
	s_delay_alu instid0(VALU_DEP_2) | instskip(NEXT) | instid1(VALU_DEP_1)
	v_min_u32_e32 v5, 32, v5
	v_subrev_nc_u32_e32 v7, 29, v5
	v_sub_nc_u32_e32 v5, 30, v5
	s_delay_alu instid0(VALU_DEP_2) | instskip(NEXT) | instid1(VALU_DEP_2)
	v_lshlrev_b32_e32 v1, v7, v1
	v_cndmask_b32_e32 v5, v10, v5, vcc_lo
	s_delay_alu instid0(VALU_DEP_2) | instskip(NEXT) | instid1(VALU_DEP_1)
	v_and_b32_e32 v1, 3, v1
	v_cndmask_b32_e32 v1, v3, v1, vcc_lo
	s_delay_alu instid0(VALU_DEP_3) | instskip(NEXT) | instid1(VALU_DEP_2)
	v_lshl_add_u32 v3, v5, 23, 0x37800000
	v_lshlrev_b32_e32 v1, 21, v1
	s_delay_alu instid0(VALU_DEP_1) | instskip(NEXT) | instid1(VALU_DEP_1)
	v_or3_b32 v0, v0, v3, v1
	v_cvt_f16_f32_e32 v10, v0
.LBB191_1657:
	s_or_b32 exec_lo, exec_lo, s12
	s_mov_b32 s7, 0
	s_branch .LBB191_1663
.LBB191_1658:
	s_mov_b32 s7, -1
                                        ; implicit-def: $vgpr10
	s_branch .LBB191_1669
.LBB191_1659:
	s_or_saveexec_b32 s13, s13
	v_mov_b32_e32 v10, 0x7e00
	s_xor_b32 exec_lo, exec_lo, s13
	s_cbranch_execz .LBB191_1642
.LBB191_1660:
	v_cmp_ne_u16_e32 vcc_lo, 0, v0
	v_mov_b32_e32 v10, v0
	s_and_not1_b32 s12, s12, exec_lo
	s_and_b32 s14, vcc_lo, exec_lo
	s_delay_alu instid0(SALU_CYCLE_1)
	s_or_b32 s12, s12, s14
	s_or_b32 exec_lo, exec_lo, s13
	s_and_saveexec_b32 s13, s12
	s_cbranch_execnz .LBB191_1643
	s_branch .LBB191_1644
.LBB191_1661:
	s_mov_b32 s7, -1
                                        ; implicit-def: $vgpr10
	s_branch .LBB191_1666
.LBB191_1662:
	s_mov_b32 s7, -1
                                        ; implicit-def: $vgpr10
.LBB191_1663:
	s_delay_alu instid0(SALU_CYCLE_1)
	s_and_b32 vcc_lo, exec_lo, s7
	s_cbranch_vccz .LBB191_1665
; %bb.1664:
	global_load_u8 v0, v[8:9], off
	s_wait_loadcnt 0x0
	v_lshlrev_b32_e32 v0, 24, v0
	s_delay_alu instid0(VALU_DEP_1) | instskip(NEXT) | instid1(VALU_DEP_1)
	v_and_b32_e32 v1, 0x7f000000, v0
	v_clz_i32_u32_e32 v3, v1
	v_add_nc_u32_e32 v7, 0x1000000, v1
	v_cmp_ne_u32_e32 vcc_lo, 0, v1
	s_delay_alu instid0(VALU_DEP_3) | instskip(NEXT) | instid1(VALU_DEP_1)
	v_min_u32_e32 v3, 32, v3
	v_sub_nc_u32_e64 v3, v3, 4 clamp
	s_delay_alu instid0(VALU_DEP_1) | instskip(NEXT) | instid1(VALU_DEP_1)
	v_dual_lshlrev_b32 v5, v3, v1 :: v_dual_lshlrev_b32 v3, 23, v3
	v_lshrrev_b32_e32 v5, 4, v5
	s_delay_alu instid0(VALU_DEP_1) | instskip(SKIP_1) | instid1(VALU_DEP_2)
	v_sub_nc_u32_e32 v3, v5, v3
	v_ashrrev_i32_e32 v5, 8, v7
	v_add_nc_u32_e32 v3, 0x3c000000, v3
	s_delay_alu instid0(VALU_DEP_1) | instskip(NEXT) | instid1(VALU_DEP_1)
	v_and_or_b32 v3, 0x7f800000, v5, v3
	v_cndmask_b32_e32 v1, 0, v3, vcc_lo
	s_delay_alu instid0(VALU_DEP_1) | instskip(NEXT) | instid1(VALU_DEP_1)
	v_and_or_b32 v0, 0x80000000, v0, v1
	v_cvt_f16_f32_e32 v10, v0
.LBB191_1665:
	s_mov_b32 s7, 0
.LBB191_1666:
	s_delay_alu instid0(SALU_CYCLE_1)
	s_and_not1_b32 vcc_lo, exec_lo, s7
	s_cbranch_vccnz .LBB191_1668
; %bb.1667:
	global_load_u8 v0, v[8:9], off
	s_wait_loadcnt 0x0
	v_lshlrev_b32_e32 v1, 25, v0
	v_lshlrev_b16 v0, 8, v0
	s_delay_alu instid0(VALU_DEP_1) | instskip(SKIP_1) | instid1(VALU_DEP_2)
	v_and_or_b32 v5, 0x7f00, v0, 0.5
	v_bfe_i32 v0, v0, 0, 16
	v_add_f32_e32 v5, -0.5, v5
	v_lshrrev_b32_e32 v3, 4, v1
	v_cmp_gt_u32_e32 vcc_lo, 0x8000000, v1
	s_delay_alu instid0(VALU_DEP_2) | instskip(NEXT) | instid1(VALU_DEP_1)
	v_or_b32_e32 v3, 0x70000000, v3
	v_mul_f32_e32 v3, 0x7800000, v3
	s_delay_alu instid0(VALU_DEP_1) | instskip(NEXT) | instid1(VALU_DEP_1)
	v_cndmask_b32_e32 v1, v3, v5, vcc_lo
	v_and_or_b32 v0, 0x80000000, v0, v1
	s_delay_alu instid0(VALU_DEP_1)
	v_cvt_f16_f32_e32 v10, v0
.LBB191_1668:
	s_mov_b32 s7, 0
	s_mov_b32 s12, -1
.LBB191_1669:
	s_and_not1_b32 vcc_lo, exec_lo, s7
	s_mov_b32 s7, 0
	s_cbranch_vccnz .LBB191_1680
; %bb.1670:
	s_cmp_gt_i32 s1, 14
	s_cbranch_scc0 .LBB191_1673
; %bb.1671:
	s_cmp_eq_u32 s1, 15
	s_cbranch_scc0 .LBB191_1676
; %bb.1672:
	global_load_u16 v0, v[8:9], off
	s_mov_b32 s6, 0
	s_mov_b32 s12, -1
	s_wait_loadcnt 0x0
	v_lshlrev_b32_e32 v0, 16, v0
	s_delay_alu instid0(VALU_DEP_1)
	v_cvt_f16_f32_e32 v10, v0
	s_branch .LBB191_1678
.LBB191_1673:
	s_mov_b32 s7, -1
	s_branch .LBB191_1677
.LBB191_1674:
	s_or_saveexec_b32 s12, s12
	v_mov_b32_e32 v10, 0x7e00
	s_xor_b32 exec_lo, exec_lo, s12
	s_cbranch_execz .LBB191_1655
.LBB191_1675:
	v_cmp_ne_u16_e32 vcc_lo, 0, v0
	v_mov_b32_e32 v10, v0
	s_and_not1_b32 s7, s7, exec_lo
	s_and_b32 s13, vcc_lo, exec_lo
	s_delay_alu instid0(SALU_CYCLE_1)
	s_or_b32 s7, s7, s13
	s_or_b32 exec_lo, exec_lo, s12
	s_and_saveexec_b32 s12, s7
	s_cbranch_execnz .LBB191_1656
	s_branch .LBB191_1657
.LBB191_1676:
	s_mov_b32 s6, -1
.LBB191_1677:
                                        ; implicit-def: $vgpr10
.LBB191_1678:
	s_and_b32 vcc_lo, exec_lo, s7
	s_mov_b32 s7, 0
	s_cbranch_vccz .LBB191_1680
; %bb.1679:
	s_cmp_lg_u32 s1, 11
	s_mov_b32 s7, -1
	s_cselect_b32 s1, -1, 0
	s_and_not1_b32 s6, s6, exec_lo
	s_and_b32 s1, s1, exec_lo
	s_delay_alu instid0(SALU_CYCLE_1)
	s_or_b32 s6, s6, s1
.LBB191_1680:
	s_mov_b32 s1, 0
.LBB191_1681:
	s_delay_alu instid0(SALU_CYCLE_1)
	s_and_b32 s34, s1, exec_lo
	s_and_not1_b32 s1, s58, exec_lo
	s_and_b32 s6, s6, exec_lo
	s_and_b32 s30, s12, exec_lo
	;; [unrolled: 1-line block ×3, first 2 shown]
	s_or_b32 s35, s1, s6
.LBB191_1682:
	s_wait_xcnt 0x0
	s_or_b32 exec_lo, exec_lo, s46
	s_delay_alu instid0(SALU_CYCLE_1)
	s_and_not1_b32 s1, s58, exec_lo
	s_and_b32 s6, s35, exec_lo
	s_and_b32 s30, s30, exec_lo
	s_and_b32 s34, s34, exec_lo
	s_and_b32 s31, s31, exec_lo
	s_or_b32 s58, s1, s6
.LBB191_1683:
	s_or_b32 exec_lo, exec_lo, s57
	s_delay_alu instid0(SALU_CYCLE_1)
	s_and_not1_b32 s1, s53, exec_lo
	s_and_b32 s6, s61, exec_lo
	s_and_not1_b32 s7, s55, exec_lo
	s_or_b32 s53, s1, s6
	s_and_not1_b32 s1, s54, exec_lo
	s_and_b32 s6, s59, exec_lo
	s_and_b32 s12, s60, exec_lo
	s_or_b32 s54, s1, s6
	s_and_not1_b32 s1, s52, exec_lo
	s_and_b32 s6, s58, exec_lo
	s_or_b32 s55, s7, s12
	s_and_b32 s30, s30, exec_lo
	s_and_b32 s34, s34, exec_lo
	;; [unrolled: 1-line block ×3, first 2 shown]
	s_or_b32 s52, s1, s6
.LBB191_1684:
	s_or_b32 exec_lo, exec_lo, s56
	s_delay_alu instid0(SALU_CYCLE_1)
	s_and_not1_b32 s1, s44, exec_lo
	s_and_b32 s6, s53, exec_lo
	s_and_not1_b32 s7, s49, exec_lo
	s_or_b32 s44, s1, s6
	s_and_not1_b32 s1, s48, exec_lo
	s_and_b32 s6, s54, exec_lo
	s_and_b32 s12, s55, exec_lo
	s_or_b32 s48, s1, s6
	s_and_not1_b32 s1, s50, exec_lo
	s_and_b32 s6, s52, exec_lo
	s_or_b32 s49, s7, s12
	s_and_b32 s30, s30, exec_lo
	s_and_b32 s34, s34, exec_lo
	;; [unrolled: 1-line block ×3, first 2 shown]
	s_or_b32 s50, s1, s6
	s_or_b32 exec_lo, exec_lo, s51
	s_mov_b32 s1, 0
	s_and_saveexec_b32 s6, s50
	s_cbranch_execz .LBB191_532
.LBB191_1685:
	s_mov_b32 s1, exec_lo
	s_and_not1_b32 s27, s27, exec_lo
	s_trap 2
	s_or_b32 exec_lo, exec_lo, s6
	s_and_saveexec_b32 s6, s27
	s_delay_alu instid0(SALU_CYCLE_1)
	s_xor_b32 s6, exec_lo, s6
	s_cbranch_execnz .LBB191_533
.LBB191_1686:
	s_or_b32 exec_lo, exec_lo, s6
	s_and_saveexec_b32 s6, s34
	s_cbranch_execz .LBB191_1732
.LBB191_1687:
	s_sext_i32_i16 s7, s0
	s_delay_alu instid0(SALU_CYCLE_1)
	s_cmp_lt_i32 s7, 5
	s_cbranch_scc1 .LBB191_1692
; %bb.1688:
	s_cmp_lt_i32 s7, 8
	s_cbranch_scc1 .LBB191_1693
; %bb.1689:
	s_cmp_lt_i32 s7, 9
	s_cbranch_scc1 .LBB191_1694
; %bb.1690:
	s_cmp_gt_i32 s7, 9
	s_cbranch_scc0 .LBB191_1695
; %bb.1691:
	s_wait_loadcnt 0x0
	global_load_b64 v[0:1], v[8:9], off
	s_mov_b32 s7, 0
	s_wait_loadcnt 0x0
	v_and_or_b32 v0, 0x1ff, v1, v0
	v_lshrrev_b32_e32 v3, 8, v1
	v_bfe_u32 v5, v1, 20, 11
	v_lshrrev_b32_e32 v1, 16, v1
	s_delay_alu instid0(VALU_DEP_4) | instskip(NEXT) | instid1(VALU_DEP_3)
	v_cmp_ne_u32_e32 vcc_lo, 0, v0
	v_sub_nc_u32_e32 v7, 0x3f1, v5
	v_add_nc_u32_e32 v5, 0xfffffc10, v5
	v_cndmask_b32_e64 v0, 0, 1, vcc_lo
	s_delay_alu instid0(VALU_DEP_1) | instskip(NEXT) | instid1(VALU_DEP_4)
	v_and_or_b32 v0, 0xffe, v3, v0
	v_med3_i32 v3, v7, 0, 13
	s_delay_alu instid0(VALU_DEP_2) | instskip(NEXT) | instid1(VALU_DEP_1)
	v_or_b32_e32 v7, 0x1000, v0
	v_lshrrev_b32_e32 v10, v3, v7
	s_delay_alu instid0(VALU_DEP_1) | instskip(NEXT) | instid1(VALU_DEP_1)
	v_lshlrev_b32_e32 v3, v3, v10
	v_cmp_ne_u32_e32 vcc_lo, v3, v7
	v_lshl_or_b32 v7, v5, 12, v0
	v_cndmask_b32_e64 v3, 0, 1, vcc_lo
	v_cmp_gt_i32_e32 vcc_lo, 1, v5
	s_delay_alu instid0(VALU_DEP_2) | instskip(NEXT) | instid1(VALU_DEP_1)
	v_or_b32_e32 v3, v10, v3
	v_cndmask_b32_e32 v3, v7, v3, vcc_lo
	s_delay_alu instid0(VALU_DEP_1) | instskip(NEXT) | instid1(VALU_DEP_1)
	v_dual_lshrrev_b32 v3, 2, v3 :: v_dual_bitop2_b32 v7, 7, v3 bitop3:0x40
	v_cmp_lt_i32_e32 vcc_lo, 5, v7
	v_cndmask_b32_e64 v10, 0, 1, vcc_lo
	v_cmp_eq_u32_e32 vcc_lo, 3, v7
	v_cndmask_b32_e64 v7, 0, 1, vcc_lo
	v_cmp_ne_u32_e32 vcc_lo, 0, v0
	s_delay_alu instid0(VALU_DEP_2) | instskip(NEXT) | instid1(VALU_DEP_1)
	v_or_b32_e32 v7, v7, v10
	v_dual_mov_b32 v10, 0x7e00 :: v_dual_add_nc_u32 v3, v3, v7
	s_delay_alu instid0(VALU_DEP_1) | instskip(SKIP_1) | instid1(VALU_DEP_3)
	v_cndmask_b32_e32 v0, 0x7c00, v10, vcc_lo
	v_cmp_gt_i32_e32 vcc_lo, 31, v5
	v_cndmask_b32_e32 v3, 0x7c00, v3, vcc_lo
	v_cmp_eq_u32_e32 vcc_lo, 0x40f, v5
	s_delay_alu instid0(VALU_DEP_2) | instskip(NEXT) | instid1(VALU_DEP_1)
	v_cndmask_b32_e32 v0, v3, v0, vcc_lo
	v_and_or_b32 v10, 0x8000, v1, v0
	s_branch .LBB191_1696
.LBB191_1692:
                                        ; implicit-def: $vgpr10
	s_branch .LBB191_1713
.LBB191_1693:
                                        ; implicit-def: $vgpr10
	s_branch .LBB191_1702
.LBB191_1694:
	s_mov_b32 s7, -1
                                        ; implicit-def: $vgpr10
	s_branch .LBB191_1699
.LBB191_1695:
	s_mov_b32 s7, -1
                                        ; implicit-def: $vgpr10
.LBB191_1696:
	s_delay_alu instid0(SALU_CYCLE_1)
	s_and_not1_b32 vcc_lo, exec_lo, s7
	s_cbranch_vccnz .LBB191_1698
; %bb.1697:
	global_load_b32 v0, v[8:9], off
	s_wait_loadcnt 0x0
	v_cvt_f16_f32_e32 v10, v0
.LBB191_1698:
	s_mov_b32 s7, 0
.LBB191_1699:
	s_delay_alu instid0(SALU_CYCLE_1)
	s_and_not1_b32 vcc_lo, exec_lo, s7
	s_cbranch_vccnz .LBB191_1701
; %bb.1700:
	global_load_b32 v10, v[8:9], off
.LBB191_1701:
	s_cbranch_execnz .LBB191_1712
.LBB191_1702:
	s_sext_i32_i16 s7, s0
	s_delay_alu instid0(SALU_CYCLE_1)
	s_cmp_lt_i32 s7, 6
	s_cbranch_scc1 .LBB191_1705
; %bb.1703:
	s_cmp_gt_i32 s7, 6
	s_cbranch_scc0 .LBB191_1706
; %bb.1704:
	s_wait_loadcnt 0x0
	global_load_b64 v[0:1], v[8:9], off
	s_mov_b32 s7, 0
	s_wait_loadcnt 0x0
	v_and_or_b32 v0, 0x1ff, v1, v0
	v_lshrrev_b32_e32 v3, 8, v1
	v_bfe_u32 v5, v1, 20, 11
	v_lshrrev_b32_e32 v1, 16, v1
	s_delay_alu instid0(VALU_DEP_4) | instskip(NEXT) | instid1(VALU_DEP_3)
	v_cmp_ne_u32_e32 vcc_lo, 0, v0
	v_sub_nc_u32_e32 v7, 0x3f1, v5
	v_add_nc_u32_e32 v5, 0xfffffc10, v5
	v_cndmask_b32_e64 v0, 0, 1, vcc_lo
	s_delay_alu instid0(VALU_DEP_1) | instskip(NEXT) | instid1(VALU_DEP_4)
	v_and_or_b32 v0, 0xffe, v3, v0
	v_med3_i32 v3, v7, 0, 13
	s_delay_alu instid0(VALU_DEP_2) | instskip(NEXT) | instid1(VALU_DEP_1)
	v_or_b32_e32 v7, 0x1000, v0
	v_lshrrev_b32_e32 v10, v3, v7
	s_delay_alu instid0(VALU_DEP_1) | instskip(NEXT) | instid1(VALU_DEP_1)
	v_lshlrev_b32_e32 v3, v3, v10
	v_cmp_ne_u32_e32 vcc_lo, v3, v7
	v_lshl_or_b32 v7, v5, 12, v0
	v_cndmask_b32_e64 v3, 0, 1, vcc_lo
	v_cmp_gt_i32_e32 vcc_lo, 1, v5
	s_delay_alu instid0(VALU_DEP_2) | instskip(NEXT) | instid1(VALU_DEP_1)
	v_or_b32_e32 v3, v10, v3
	v_cndmask_b32_e32 v3, v7, v3, vcc_lo
	s_delay_alu instid0(VALU_DEP_1) | instskip(NEXT) | instid1(VALU_DEP_1)
	v_dual_lshrrev_b32 v3, 2, v3 :: v_dual_bitop2_b32 v7, 7, v3 bitop3:0x40
	v_cmp_lt_i32_e32 vcc_lo, 5, v7
	v_cndmask_b32_e64 v10, 0, 1, vcc_lo
	v_cmp_eq_u32_e32 vcc_lo, 3, v7
	v_cndmask_b32_e64 v7, 0, 1, vcc_lo
	v_cmp_ne_u32_e32 vcc_lo, 0, v0
	s_delay_alu instid0(VALU_DEP_2) | instskip(NEXT) | instid1(VALU_DEP_1)
	v_or_b32_e32 v7, v7, v10
	v_dual_mov_b32 v10, 0x7e00 :: v_dual_add_nc_u32 v3, v3, v7
	s_delay_alu instid0(VALU_DEP_1) | instskip(SKIP_1) | instid1(VALU_DEP_3)
	v_cndmask_b32_e32 v0, 0x7c00, v10, vcc_lo
	v_cmp_gt_i32_e32 vcc_lo, 31, v5
	v_cndmask_b32_e32 v3, 0x7c00, v3, vcc_lo
	v_cmp_eq_u32_e32 vcc_lo, 0x40f, v5
	s_delay_alu instid0(VALU_DEP_2) | instskip(NEXT) | instid1(VALU_DEP_1)
	v_cndmask_b32_e32 v0, v3, v0, vcc_lo
	v_and_or_b32 v10, 0x8000, v1, v0
	s_branch .LBB191_1707
.LBB191_1705:
	s_mov_b32 s7, -1
                                        ; implicit-def: $vgpr10
	s_branch .LBB191_1710
.LBB191_1706:
	s_mov_b32 s7, -1
                                        ; implicit-def: $vgpr10
.LBB191_1707:
	s_delay_alu instid0(SALU_CYCLE_1)
	s_and_not1_b32 vcc_lo, exec_lo, s7
	s_cbranch_vccnz .LBB191_1709
; %bb.1708:
	global_load_b32 v0, v[8:9], off
	s_wait_loadcnt 0x0
	v_cvt_f16_f32_e32 v10, v0
.LBB191_1709:
	s_mov_b32 s7, 0
.LBB191_1710:
	s_delay_alu instid0(SALU_CYCLE_1)
	s_and_not1_b32 vcc_lo, exec_lo, s7
	s_cbranch_vccnz .LBB191_1712
; %bb.1711:
	s_wait_loadcnt 0x0
	global_load_u16 v10, v[8:9], off
.LBB191_1712:
	s_cbranch_execnz .LBB191_1731
.LBB191_1713:
	s_sext_i32_i16 s7, s0
	s_delay_alu instid0(SALU_CYCLE_1)
	s_cmp_lt_i32 s7, 2
	s_cbranch_scc1 .LBB191_1717
; %bb.1714:
	s_cmp_lt_i32 s7, 3
	s_cbranch_scc1 .LBB191_1718
; %bb.1715:
	s_cmp_gt_i32 s7, 3
	s_cbranch_scc0 .LBB191_1719
; %bb.1716:
	s_wait_loadcnt 0x0
	global_load_b64 v[0:1], v[8:9], off
	s_mov_b32 s7, 0
	s_wait_loadcnt 0x0
	v_xor_b32_e32 v3, v0, v1
	v_cls_i32_e32 v5, v1
	s_delay_alu instid0(VALU_DEP_2) | instskip(NEXT) | instid1(VALU_DEP_1)
	v_ashrrev_i32_e32 v3, 31, v3
	v_add_nc_u32_e32 v3, 32, v3
	s_delay_alu instid0(VALU_DEP_1) | instskip(NEXT) | instid1(VALU_DEP_1)
	v_add_min_u32_e64 v3, v5, -1, v3
	v_lshlrev_b64_e32 v[0:1], v3, v[0:1]
	s_delay_alu instid0(VALU_DEP_1) | instskip(NEXT) | instid1(VALU_DEP_1)
	v_min_u32_e32 v0, 1, v0
	v_dual_sub_nc_u32 v1, 32, v3 :: v_dual_bitop2_b32 v0, v1, v0 bitop3:0x54
	s_delay_alu instid0(VALU_DEP_1) | instskip(NEXT) | instid1(VALU_DEP_1)
	v_cvt_f32_i32_e32 v0, v0
	v_ldexp_f32 v0, v0, v1
	s_delay_alu instid0(VALU_DEP_1)
	v_cvt_f16_f32_e32 v10, v0
	s_branch .LBB191_1720
.LBB191_1717:
                                        ; implicit-def: $vgpr10
	s_branch .LBB191_1726
.LBB191_1718:
	s_mov_b32 s7, -1
                                        ; implicit-def: $vgpr10
	s_branch .LBB191_1723
.LBB191_1719:
	s_mov_b32 s7, -1
                                        ; implicit-def: $vgpr10
.LBB191_1720:
	s_delay_alu instid0(SALU_CYCLE_1)
	s_and_not1_b32 vcc_lo, exec_lo, s7
	s_cbranch_vccnz .LBB191_1722
; %bb.1721:
	global_load_b32 v0, v[8:9], off
	s_wait_loadcnt 0x0
	v_cvt_f32_i32_e32 v0, v0
	s_delay_alu instid0(VALU_DEP_1)
	v_cvt_f16_f32_e32 v10, v0
.LBB191_1722:
	s_mov_b32 s7, 0
.LBB191_1723:
	s_delay_alu instid0(SALU_CYCLE_1)
	s_and_not1_b32 vcc_lo, exec_lo, s7
	s_cbranch_vccnz .LBB191_1725
; %bb.1724:
	global_load_u16 v0, v[8:9], off
	s_wait_loadcnt 0x0
	v_cvt_f16_i16_e32 v10, v0
.LBB191_1725:
	s_cbranch_execnz .LBB191_1731
.LBB191_1726:
	s_sext_i32_i16 s0, s0
	s_delay_alu instid0(SALU_CYCLE_1)
	s_cmp_gt_i32 s0, 0
	s_mov_b32 s0, 0
	s_cbranch_scc0 .LBB191_1728
; %bb.1727:
	global_load_i8 v0, v[8:9], off
	s_wait_loadcnt 0x0
	v_cvt_f16_i16_e32 v10, v0
	s_branch .LBB191_1729
.LBB191_1728:
	s_mov_b32 s0, -1
                                        ; implicit-def: $vgpr10
.LBB191_1729:
	s_delay_alu instid0(SALU_CYCLE_1)
	s_and_not1_b32 vcc_lo, exec_lo, s0
	s_cbranch_vccnz .LBB191_1731
; %bb.1730:
	global_load_u8 v0, v[8:9], off
	s_wait_loadcnt 0x0
	v_cvt_f16_u16_e32 v10, v0
.LBB191_1731:
	s_or_b32 s30, s30, exec_lo
.LBB191_1732:
	s_wait_xcnt 0x0
	s_or_b32 exec_lo, exec_lo, s6
	s_mov_b32 s13, 0
	s_mov_b32 s12, 0
	;; [unrolled: 1-line block ×3, first 2 shown]
                                        ; implicit-def: $sgpr0
                                        ; implicit-def: $vgpr0_vgpr1
                                        ; implicit-def: $vgpr3
	s_and_saveexec_b32 s6, s30
	s_cbranch_execz .LBB191_1740
; %bb.1733:
	v_mov_b32_e32 v7, 0
	s_and_b32 s0, s41, 0xff
	s_delay_alu instid0(SALU_CYCLE_1) | instskip(SKIP_1) | instid1(VALU_DEP_1)
	s_cmp_lt_i32 s0, 11
	s_wait_loadcnt 0x0
	v_add_nc_u64_e32 v[0:1], s[8:9], v[6:7]
	s_cbranch_scc1 .LBB191_1743
; %bb.1734:
	s_and_b32 s7, 0xffff, s0
	s_mov_b32 s9, 0
	s_cmp_gt_i32 s7, 25
	s_cbranch_scc0 .LBB191_1744
; %bb.1735:
	s_cmp_gt_i32 s7, 28
	s_cbranch_scc0 .LBB191_1745
; %bb.1736:
	s_cmp_gt_i32 s7, 43
	s_cbranch_scc0 .LBB191_1746
; %bb.1737:
	s_cmp_gt_i32 s7, 45
	s_cbranch_scc0 .LBB191_1747
; %bb.1738:
	s_cmp_eq_u32 s7, 46
	s_cbranch_scc0 .LBB191_1748
; %bb.1739:
	global_load_b32 v3, v[0:1], off
	s_mov_b32 s8, 0
	s_mov_b32 s12, -1
	s_wait_loadcnt 0x0
	v_lshlrev_b32_e32 v3, 16, v3
	s_delay_alu instid0(VALU_DEP_1)
	v_cvt_f16_f32_e32 v3, v3
	s_branch .LBB191_1750
.LBB191_1740:
	s_or_b32 exec_lo, exec_lo, s6
	s_and_saveexec_b32 s6, s49
	s_cbranch_execnz .LBB191_1813
.LBB191_1741:
	s_or_b32 exec_lo, exec_lo, s6
	s_and_saveexec_b32 s6, s13
	s_delay_alu instid0(SALU_CYCLE_1)
	s_xor_b32 s6, exec_lo, s6
	s_cbranch_execz .LBB191_1814
.LBB191_1742:
	s_wait_loadcnt 0x0
	global_load_u8 v3, v[0:1], off
	s_or_b32 s7, s7, exec_lo
	s_wait_loadcnt 0x0
	v_cmp_ne_u16_e32 vcc_lo, 0, v3
	v_cndmask_b32_e64 v3, 0, 0x3c00, vcc_lo
	s_wait_xcnt 0x0
	s_or_b32 exec_lo, exec_lo, s6
	s_and_saveexec_b32 s6, s12
	s_cbranch_execz .LBB191_1860
	s_branch .LBB191_1815
.LBB191_1743:
	s_mov_b32 s13, -1
	s_mov_b32 s9, 0
	s_mov_b32 s8, s49
                                        ; implicit-def: $vgpr3
	s_branch .LBB191_1812
.LBB191_1744:
	s_mov_b32 s8, s49
                                        ; implicit-def: $vgpr3
	s_cbranch_execnz .LBB191_1779
	s_branch .LBB191_1811
.LBB191_1745:
	s_mov_b32 s13, -1
	s_mov_b32 s8, s49
                                        ; implicit-def: $vgpr3
	s_branch .LBB191_1760
.LBB191_1746:
	s_mov_b32 s13, -1
	s_mov_b32 s8, s49
                                        ; implicit-def: $vgpr3
	s_branch .LBB191_1755
.LBB191_1747:
	s_mov_b32 s13, -1
	s_mov_b32 s8, s49
	s_branch .LBB191_1749
.LBB191_1748:
	s_mov_b32 s8, -1
.LBB191_1749:
                                        ; implicit-def: $vgpr3
.LBB191_1750:
	s_and_b32 vcc_lo, exec_lo, s13
	s_cbranch_vccz .LBB191_1754
; %bb.1751:
	s_cmp_eq_u32 s7, 44
	s_cbranch_scc0 .LBB191_1753
; %bb.1752:
	global_load_u8 v3, v[0:1], off
	s_mov_b32 s8, 0
	s_mov_b32 s12, -1
	s_wait_loadcnt 0x0
	v_lshlrev_b32_e32 v5, 23, v3
	v_cmp_ne_u32_e32 vcc_lo, 0xff, v3
	s_delay_alu instid0(VALU_DEP_2) | instskip(NEXT) | instid1(VALU_DEP_1)
	v_cvt_f16_f32_e32 v5, v5
	v_cndmask_b32_e32 v5, 0x7e00, v5, vcc_lo
	v_cmp_ne_u32_e32 vcc_lo, 0, v3
	s_delay_alu instid0(VALU_DEP_2)
	v_cndmask_b32_e32 v3, 0, v5, vcc_lo
	s_branch .LBB191_1754
.LBB191_1753:
	s_mov_b32 s8, -1
                                        ; implicit-def: $vgpr3
.LBB191_1754:
	s_mov_b32 s13, 0
.LBB191_1755:
	s_delay_alu instid0(SALU_CYCLE_1)
	s_and_b32 vcc_lo, exec_lo, s13
	s_cbranch_vccz .LBB191_1759
; %bb.1756:
	s_cmp_eq_u32 s7, 29
	s_cbranch_scc0 .LBB191_1758
; %bb.1757:
	global_load_b64 v[6:7], v[0:1], off
	s_mov_b32 s8, 0
	s_mov_b32 s12, -1
	s_mov_b32 s13, 0
	s_wait_loadcnt 0x0
	v_clz_i32_u32_e32 v3, v7
	s_delay_alu instid0(VALU_DEP_1) | instskip(NEXT) | instid1(VALU_DEP_1)
	v_min_u32_e32 v3, 32, v3
	v_lshlrev_b64_e32 v[6:7], v3, v[6:7]
	v_sub_nc_u32_e32 v3, 32, v3
	s_delay_alu instid0(VALU_DEP_2) | instskip(NEXT) | instid1(VALU_DEP_1)
	v_min_u32_e32 v5, 1, v6
	v_or_b32_e32 v5, v7, v5
	s_delay_alu instid0(VALU_DEP_1) | instskip(NEXT) | instid1(VALU_DEP_1)
	v_cvt_f32_u32_e32 v5, v5
	v_ldexp_f32 v3, v5, v3
	s_delay_alu instid0(VALU_DEP_1)
	v_cvt_f16_f32_e32 v3, v3
	s_branch .LBB191_1760
.LBB191_1758:
	s_mov_b32 s8, -1
                                        ; implicit-def: $vgpr3
.LBB191_1759:
	s_mov_b32 s13, 0
.LBB191_1760:
	s_delay_alu instid0(SALU_CYCLE_1)
	s_and_b32 vcc_lo, exec_lo, s13
	s_cbranch_vccz .LBB191_1778
; %bb.1761:
	s_cmp_lt_i32 s7, 27
	s_cbranch_scc1 .LBB191_1764
; %bb.1762:
	s_cmp_gt_i32 s7, 27
	s_cbranch_scc0 .LBB191_1765
; %bb.1763:
	global_load_b32 v3, v[0:1], off
	s_mov_b32 s12, 0
	s_wait_loadcnt 0x0
	v_cvt_f32_u32_e32 v3, v3
	s_delay_alu instid0(VALU_DEP_1)
	v_cvt_f16_f32_e32 v3, v3
	s_branch .LBB191_1766
.LBB191_1764:
	s_mov_b32 s12, -1
                                        ; implicit-def: $vgpr3
	s_branch .LBB191_1769
.LBB191_1765:
	s_mov_b32 s12, -1
                                        ; implicit-def: $vgpr3
.LBB191_1766:
	s_delay_alu instid0(SALU_CYCLE_1)
	s_and_not1_b32 vcc_lo, exec_lo, s12
	s_cbranch_vccnz .LBB191_1768
; %bb.1767:
	global_load_u16 v3, v[0:1], off
	s_wait_loadcnt 0x0
	v_cvt_f16_u16_e32 v3, v3
.LBB191_1768:
	s_mov_b32 s12, 0
.LBB191_1769:
	s_delay_alu instid0(SALU_CYCLE_1)
	s_and_not1_b32 vcc_lo, exec_lo, s12
	s_cbranch_vccnz .LBB191_1777
; %bb.1770:
	global_load_u8 v5, v[0:1], off
	s_mov_b32 s12, 0
	s_mov_b32 s13, exec_lo
	s_wait_loadcnt 0x0
	v_cmpx_lt_i16_e32 0x7f, v5
	s_xor_b32 s13, exec_lo, s13
	s_cbranch_execz .LBB191_1790
; %bb.1771:
	s_mov_b32 s12, -1
	s_mov_b32 s14, exec_lo
	v_cmpx_eq_u16_e32 0x80, v5
; %bb.1772:
	s_xor_b32 s12, exec_lo, -1
; %bb.1773:
	s_or_b32 exec_lo, exec_lo, s14
	s_delay_alu instid0(SALU_CYCLE_1)
	s_and_b32 s12, s12, exec_lo
	s_or_saveexec_b32 s13, s13
	v_mov_b32_e32 v3, 0x7e00
	s_xor_b32 exec_lo, exec_lo, s13
	s_cbranch_execnz .LBB191_1791
.LBB191_1774:
	s_or_b32 exec_lo, exec_lo, s13
	s_and_saveexec_b32 s13, s12
	s_cbranch_execz .LBB191_1776
.LBB191_1775:
	v_and_b32_e32 v3, 0xffff, v5
	s_delay_alu instid0(VALU_DEP_1) | instskip(SKIP_1) | instid1(VALU_DEP_2)
	v_dual_lshlrev_b32 v5, 24, v5 :: v_dual_bitop2_b32 v6, 7, v3 bitop3:0x40
	v_bfe_u32 v9, v3, 3, 4
	v_and_b32_e32 v5, 0x80000000, v5
	s_delay_alu instid0(VALU_DEP_3) | instskip(NEXT) | instid1(VALU_DEP_3)
	v_clz_i32_u32_e32 v7, v6
	v_cmp_eq_u32_e32 vcc_lo, 0, v9
	s_delay_alu instid0(VALU_DEP_2) | instskip(NEXT) | instid1(VALU_DEP_1)
	v_min_u32_e32 v7, 32, v7
	v_subrev_nc_u32_e32 v8, 28, v7
	v_sub_nc_u32_e32 v7, 29, v7
	s_delay_alu instid0(VALU_DEP_2) | instskip(NEXT) | instid1(VALU_DEP_2)
	v_lshlrev_b32_e32 v3, v8, v3
	v_cndmask_b32_e32 v7, v9, v7, vcc_lo
	s_delay_alu instid0(VALU_DEP_2) | instskip(NEXT) | instid1(VALU_DEP_1)
	v_and_b32_e32 v3, 7, v3
	v_cndmask_b32_e32 v3, v6, v3, vcc_lo
	s_delay_alu instid0(VALU_DEP_3) | instskip(NEXT) | instid1(VALU_DEP_2)
	v_lshl_add_u32 v6, v7, 23, 0x3b800000
	v_lshlrev_b32_e32 v3, 20, v3
	s_delay_alu instid0(VALU_DEP_1) | instskip(NEXT) | instid1(VALU_DEP_1)
	v_or3_b32 v3, v5, v6, v3
	v_cvt_f16_f32_e32 v3, v3
.LBB191_1776:
	s_or_b32 exec_lo, exec_lo, s13
.LBB191_1777:
	s_mov_b32 s12, -1
.LBB191_1778:
	s_branch .LBB191_1811
.LBB191_1779:
	s_cmp_gt_i32 s7, 22
	s_cbranch_scc0 .LBB191_1789
; %bb.1780:
	s_cmp_lt_i32 s7, 24
	s_cbranch_scc1 .LBB191_1792
; %bb.1781:
	s_cmp_gt_i32 s7, 24
	s_cbranch_scc0 .LBB191_1793
; %bb.1782:
	global_load_u8 v5, v[0:1], off
	s_mov_b32 s12, exec_lo
	s_wait_loadcnt 0x0
	v_cmpx_lt_i16_e32 0x7f, v5
	s_xor_b32 s12, exec_lo, s12
	s_cbranch_execz .LBB191_1805
; %bb.1783:
	s_mov_b32 s9, -1
	s_mov_b32 s13, exec_lo
	v_cmpx_eq_u16_e32 0x80, v5
; %bb.1784:
	s_xor_b32 s9, exec_lo, -1
; %bb.1785:
	s_or_b32 exec_lo, exec_lo, s13
	s_delay_alu instid0(SALU_CYCLE_1)
	s_and_b32 s9, s9, exec_lo
	s_or_saveexec_b32 s12, s12
	v_mov_b32_e32 v3, 0x7e00
	s_xor_b32 exec_lo, exec_lo, s12
	s_cbranch_execnz .LBB191_1806
.LBB191_1786:
	s_or_b32 exec_lo, exec_lo, s12
	s_and_saveexec_b32 s12, s9
	s_cbranch_execz .LBB191_1788
.LBB191_1787:
	v_and_b32_e32 v3, 0xffff, v5
	s_delay_alu instid0(VALU_DEP_1) | instskip(SKIP_1) | instid1(VALU_DEP_2)
	v_dual_lshlrev_b32 v5, 24, v5 :: v_dual_bitop2_b32 v6, 3, v3 bitop3:0x40
	v_bfe_u32 v9, v3, 2, 5
	v_and_b32_e32 v5, 0x80000000, v5
	s_delay_alu instid0(VALU_DEP_3) | instskip(NEXT) | instid1(VALU_DEP_3)
	v_clz_i32_u32_e32 v7, v6
	v_cmp_eq_u32_e32 vcc_lo, 0, v9
	s_delay_alu instid0(VALU_DEP_2) | instskip(NEXT) | instid1(VALU_DEP_1)
	v_min_u32_e32 v7, 32, v7
	v_subrev_nc_u32_e32 v8, 29, v7
	v_sub_nc_u32_e32 v7, 30, v7
	s_delay_alu instid0(VALU_DEP_2) | instskip(NEXT) | instid1(VALU_DEP_2)
	v_lshlrev_b32_e32 v3, v8, v3
	v_cndmask_b32_e32 v7, v9, v7, vcc_lo
	s_delay_alu instid0(VALU_DEP_2) | instskip(NEXT) | instid1(VALU_DEP_1)
	v_and_b32_e32 v3, 3, v3
	v_cndmask_b32_e32 v3, v6, v3, vcc_lo
	s_delay_alu instid0(VALU_DEP_3) | instskip(NEXT) | instid1(VALU_DEP_2)
	v_lshl_add_u32 v6, v7, 23, 0x37800000
	v_lshlrev_b32_e32 v3, 21, v3
	s_delay_alu instid0(VALU_DEP_1) | instskip(NEXT) | instid1(VALU_DEP_1)
	v_or3_b32 v3, v5, v6, v3
	v_cvt_f16_f32_e32 v3, v3
.LBB191_1788:
	s_or_b32 exec_lo, exec_lo, s12
	s_mov_b32 s9, 0
	s_branch .LBB191_1794
.LBB191_1789:
	s_mov_b32 s9, -1
                                        ; implicit-def: $vgpr3
	s_branch .LBB191_1800
.LBB191_1790:
	s_or_saveexec_b32 s13, s13
	v_mov_b32_e32 v3, 0x7e00
	s_xor_b32 exec_lo, exec_lo, s13
	s_cbranch_execz .LBB191_1774
.LBB191_1791:
	v_cmp_ne_u16_e32 vcc_lo, 0, v5
	v_mov_b32_e32 v3, v5
	s_and_not1_b32 s12, s12, exec_lo
	s_and_b32 s14, vcc_lo, exec_lo
	s_delay_alu instid0(SALU_CYCLE_1)
	s_or_b32 s12, s12, s14
	s_or_b32 exec_lo, exec_lo, s13
	s_and_saveexec_b32 s13, s12
	s_cbranch_execnz .LBB191_1775
	s_branch .LBB191_1776
.LBB191_1792:
	s_mov_b32 s9, -1
                                        ; implicit-def: $vgpr3
	s_branch .LBB191_1797
.LBB191_1793:
	s_mov_b32 s9, -1
                                        ; implicit-def: $vgpr3
.LBB191_1794:
	s_delay_alu instid0(SALU_CYCLE_1)
	s_and_b32 vcc_lo, exec_lo, s9
	s_cbranch_vccz .LBB191_1796
; %bb.1795:
	global_load_u8 v3, v[0:1], off
	s_wait_loadcnt 0x0
	v_lshlrev_b32_e32 v3, 24, v3
	s_delay_alu instid0(VALU_DEP_1) | instskip(NEXT) | instid1(VALU_DEP_1)
	v_and_b32_e32 v5, 0x7f000000, v3
	v_clz_i32_u32_e32 v6, v5
	v_cmp_ne_u32_e32 vcc_lo, 0, v5
	v_add_nc_u32_e32 v8, 0x1000000, v5
	s_delay_alu instid0(VALU_DEP_3) | instskip(NEXT) | instid1(VALU_DEP_1)
	v_min_u32_e32 v6, 32, v6
	v_sub_nc_u32_e64 v6, v6, 4 clamp
	s_delay_alu instid0(VALU_DEP_1) | instskip(NEXT) | instid1(VALU_DEP_1)
	v_dual_lshlrev_b32 v7, v6, v5 :: v_dual_lshlrev_b32 v6, 23, v6
	v_lshrrev_b32_e32 v7, 4, v7
	s_delay_alu instid0(VALU_DEP_1) | instskip(NEXT) | instid1(VALU_DEP_1)
	v_dual_sub_nc_u32 v6, v7, v6 :: v_dual_ashrrev_i32 v7, 8, v8
	v_add_nc_u32_e32 v6, 0x3c000000, v6
	s_delay_alu instid0(VALU_DEP_1) | instskip(NEXT) | instid1(VALU_DEP_1)
	v_and_or_b32 v6, 0x7f800000, v7, v6
	v_cndmask_b32_e32 v5, 0, v6, vcc_lo
	s_delay_alu instid0(VALU_DEP_1) | instskip(NEXT) | instid1(VALU_DEP_1)
	v_and_or_b32 v3, 0x80000000, v3, v5
	v_cvt_f16_f32_e32 v3, v3
.LBB191_1796:
	s_mov_b32 s9, 0
.LBB191_1797:
	s_delay_alu instid0(SALU_CYCLE_1)
	s_and_not1_b32 vcc_lo, exec_lo, s9
	s_cbranch_vccnz .LBB191_1799
; %bb.1798:
	global_load_u8 v3, v[0:1], off
	s_wait_loadcnt 0x0
	v_lshlrev_b32_e32 v5, 25, v3
	v_lshlrev_b16 v3, 8, v3
	s_delay_alu instid0(VALU_DEP_1) | instskip(NEXT) | instid1(VALU_DEP_3)
	v_and_or_b32 v7, 0x7f00, v3, 0.5
	v_lshrrev_b32_e32 v6, 4, v5
	v_bfe_i32 v3, v3, 0, 16
	s_delay_alu instid0(VALU_DEP_3) | instskip(NEXT) | instid1(VALU_DEP_3)
	v_add_f32_e32 v7, -0.5, v7
	v_or_b32_e32 v6, 0x70000000, v6
	s_delay_alu instid0(VALU_DEP_1) | instskip(SKIP_1) | instid1(VALU_DEP_2)
	v_mul_f32_e32 v6, 0x7800000, v6
	v_cmp_gt_u32_e32 vcc_lo, 0x8000000, v5
	v_cndmask_b32_e32 v5, v6, v7, vcc_lo
	s_delay_alu instid0(VALU_DEP_1) | instskip(NEXT) | instid1(VALU_DEP_1)
	v_and_or_b32 v3, 0x80000000, v3, v5
	v_cvt_f16_f32_e32 v3, v3
.LBB191_1799:
	s_mov_b32 s9, 0
	s_mov_b32 s12, -1
.LBB191_1800:
	s_and_not1_b32 vcc_lo, exec_lo, s9
	s_mov_b32 s9, 0
	s_cbranch_vccnz .LBB191_1811
; %bb.1801:
	s_cmp_gt_i32 s7, 14
	s_cbranch_scc0 .LBB191_1804
; %bb.1802:
	s_cmp_eq_u32 s7, 15
	s_cbranch_scc0 .LBB191_1807
; %bb.1803:
	global_load_u16 v3, v[0:1], off
	s_mov_b32 s8, 0
	s_mov_b32 s12, -1
	s_wait_loadcnt 0x0
	v_lshlrev_b32_e32 v3, 16, v3
	s_delay_alu instid0(VALU_DEP_1)
	v_cvt_f16_f32_e32 v3, v3
	s_branch .LBB191_1809
.LBB191_1804:
	s_mov_b32 s9, -1
	s_branch .LBB191_1808
.LBB191_1805:
	s_or_saveexec_b32 s12, s12
	v_mov_b32_e32 v3, 0x7e00
	s_xor_b32 exec_lo, exec_lo, s12
	s_cbranch_execz .LBB191_1786
.LBB191_1806:
	v_cmp_ne_u16_e32 vcc_lo, 0, v5
	v_mov_b32_e32 v3, v5
	s_and_not1_b32 s9, s9, exec_lo
	s_and_b32 s13, vcc_lo, exec_lo
	s_delay_alu instid0(SALU_CYCLE_1)
	s_or_b32 s9, s9, s13
	s_or_b32 exec_lo, exec_lo, s12
	s_and_saveexec_b32 s12, s9
	s_cbranch_execnz .LBB191_1787
	s_branch .LBB191_1788
.LBB191_1807:
	s_mov_b32 s8, -1
.LBB191_1808:
                                        ; implicit-def: $vgpr3
.LBB191_1809:
	s_and_b32 vcc_lo, exec_lo, s9
	s_mov_b32 s9, 0
	s_cbranch_vccz .LBB191_1811
; %bb.1810:
	s_cmp_lg_u32 s7, 11
	s_mov_b32 s9, -1
	s_cselect_b32 s7, -1, 0
	s_and_not1_b32 s8, s8, exec_lo
	s_and_b32 s7, s7, exec_lo
	s_delay_alu instid0(SALU_CYCLE_1)
	s_or_b32 s8, s8, s7
.LBB191_1811:
	s_mov_b32 s13, 0
.LBB191_1812:
	s_and_not1_b32 s14, s49, exec_lo
	s_and_b32 s8, s8, exec_lo
	s_and_b32 s7, s12, exec_lo
	;; [unrolled: 1-line block ×4, first 2 shown]
	s_or_b32 s49, s14, s8
	s_wait_xcnt 0x0
	s_or_b32 exec_lo, exec_lo, s6
	s_and_saveexec_b32 s6, s49
	s_cbranch_execz .LBB191_1741
.LBB191_1813:
	s_or_b32 s1, s1, exec_lo
	s_and_not1_b32 s13, s13, exec_lo
	s_trap 2
	s_or_b32 exec_lo, exec_lo, s6
	s_and_saveexec_b32 s6, s13
	s_delay_alu instid0(SALU_CYCLE_1)
	s_xor_b32 s6, exec_lo, s6
	s_cbranch_execnz .LBB191_1742
.LBB191_1814:
	s_or_b32 exec_lo, exec_lo, s6
	s_and_saveexec_b32 s6, s12
	s_cbranch_execz .LBB191_1860
.LBB191_1815:
	s_sext_i32_i16 s8, s0
	s_delay_alu instid0(SALU_CYCLE_1)
	s_cmp_lt_i32 s8, 5
	s_cbranch_scc1 .LBB191_1820
; %bb.1816:
	s_cmp_lt_i32 s8, 8
	s_cbranch_scc1 .LBB191_1821
; %bb.1817:
	;; [unrolled: 3-line block ×3, first 2 shown]
	s_cmp_gt_i32 s8, 9
	s_cbranch_scc0 .LBB191_1823
; %bb.1819:
	s_wait_loadcnt 0x0
	global_load_b64 v[6:7], v[0:1], off
	s_mov_b32 s8, 0
	s_wait_loadcnt 0x0
	v_and_or_b32 v3, 0x1ff, v7, v6
	v_lshrrev_b32_e32 v5, 8, v7
	v_bfe_u32 v6, v7, 20, 11
	s_delay_alu instid0(VALU_DEP_3) | instskip(NEXT) | instid1(VALU_DEP_2)
	v_cmp_ne_u32_e32 vcc_lo, 0, v3
	v_sub_nc_u32_e32 v8, 0x3f1, v6
	v_add_nc_u32_e32 v6, 0xfffffc10, v6
	v_cndmask_b32_e64 v3, 0, 1, vcc_lo
	s_delay_alu instid0(VALU_DEP_1) | instskip(NEXT) | instid1(VALU_DEP_4)
	v_and_or_b32 v3, 0xffe, v5, v3
	v_med3_i32 v5, v8, 0, 13
	s_delay_alu instid0(VALU_DEP_2) | instskip(NEXT) | instid1(VALU_DEP_1)
	v_or_b32_e32 v8, 0x1000, v3
	v_lshrrev_b32_e32 v9, v5, v8
	s_delay_alu instid0(VALU_DEP_1) | instskip(NEXT) | instid1(VALU_DEP_1)
	v_lshlrev_b32_e32 v5, v5, v9
	v_cmp_ne_u32_e32 vcc_lo, v5, v8
	v_lshl_or_b32 v8, v6, 12, v3
	v_cndmask_b32_e64 v5, 0, 1, vcc_lo
	v_cmp_gt_i32_e32 vcc_lo, 1, v6
	s_delay_alu instid0(VALU_DEP_2) | instskip(NEXT) | instid1(VALU_DEP_1)
	v_or_b32_e32 v5, v9, v5
	v_cndmask_b32_e32 v5, v8, v5, vcc_lo
	s_delay_alu instid0(VALU_DEP_1) | instskip(NEXT) | instid1(VALU_DEP_1)
	v_dual_lshrrev_b32 v5, 2, v5 :: v_dual_bitop2_b32 v8, 7, v5 bitop3:0x40
	v_cmp_lt_i32_e32 vcc_lo, 5, v8
	v_cndmask_b32_e64 v9, 0, 1, vcc_lo
	v_cmp_eq_u32_e32 vcc_lo, 3, v8
	v_cndmask_b32_e64 v8, 0, 1, vcc_lo
	v_cmp_ne_u32_e32 vcc_lo, 0, v3
	s_delay_alu instid0(VALU_DEP_2) | instskip(SKIP_1) | instid1(VALU_DEP_2)
	v_or_b32_e32 v8, v8, v9
	v_mov_b32_e32 v9, 0x7e00
	v_add_nc_u32_e32 v5, v5, v8
	s_delay_alu instid0(VALU_DEP_2) | instskip(SKIP_1) | instid1(VALU_DEP_3)
	v_cndmask_b32_e32 v3, 0x7c00, v9, vcc_lo
	v_cmp_gt_i32_e32 vcc_lo, 31, v6
	v_cndmask_b32_e32 v5, 0x7c00, v5, vcc_lo
	v_cmp_eq_u32_e32 vcc_lo, 0x40f, v6
	s_delay_alu instid0(VALU_DEP_2) | instskip(SKIP_1) | instid1(VALU_DEP_1)
	v_cndmask_b32_e32 v3, v5, v3, vcc_lo
	v_lshrrev_b32_e32 v5, 16, v7
	v_and_or_b32 v3, 0x8000, v5, v3
	s_branch .LBB191_1824
.LBB191_1820:
                                        ; implicit-def: $vgpr3
	s_branch .LBB191_1841
.LBB191_1821:
                                        ; implicit-def: $vgpr3
	s_branch .LBB191_1830
.LBB191_1822:
	s_mov_b32 s8, -1
                                        ; implicit-def: $vgpr3
	s_branch .LBB191_1827
.LBB191_1823:
	s_mov_b32 s8, -1
                                        ; implicit-def: $vgpr3
.LBB191_1824:
	s_delay_alu instid0(SALU_CYCLE_1)
	s_and_not1_b32 vcc_lo, exec_lo, s8
	s_cbranch_vccnz .LBB191_1826
; %bb.1825:
	s_wait_loadcnt 0x0
	global_load_b32 v3, v[0:1], off
	s_wait_loadcnt 0x0
	v_cvt_f16_f32_e32 v3, v3
.LBB191_1826:
	s_mov_b32 s8, 0
.LBB191_1827:
	s_delay_alu instid0(SALU_CYCLE_1)
	s_and_not1_b32 vcc_lo, exec_lo, s8
	s_cbranch_vccnz .LBB191_1829
; %bb.1828:
	s_wait_loadcnt 0x0
	global_load_b32 v3, v[0:1], off
.LBB191_1829:
	s_cbranch_execnz .LBB191_1840
.LBB191_1830:
	s_sext_i32_i16 s8, s0
	s_delay_alu instid0(SALU_CYCLE_1)
	s_cmp_lt_i32 s8, 6
	s_cbranch_scc1 .LBB191_1833
; %bb.1831:
	s_cmp_gt_i32 s8, 6
	s_cbranch_scc0 .LBB191_1834
; %bb.1832:
	s_wait_loadcnt 0x0
	global_load_b64 v[6:7], v[0:1], off
	s_mov_b32 s8, 0
	s_wait_loadcnt 0x0
	v_and_or_b32 v3, 0x1ff, v7, v6
	v_lshrrev_b32_e32 v5, 8, v7
	v_bfe_u32 v6, v7, 20, 11
	s_delay_alu instid0(VALU_DEP_3) | instskip(NEXT) | instid1(VALU_DEP_2)
	v_cmp_ne_u32_e32 vcc_lo, 0, v3
	v_sub_nc_u32_e32 v8, 0x3f1, v6
	v_add_nc_u32_e32 v6, 0xfffffc10, v6
	v_cndmask_b32_e64 v3, 0, 1, vcc_lo
	s_delay_alu instid0(VALU_DEP_1) | instskip(NEXT) | instid1(VALU_DEP_4)
	v_and_or_b32 v3, 0xffe, v5, v3
	v_med3_i32 v5, v8, 0, 13
	s_delay_alu instid0(VALU_DEP_2) | instskip(NEXT) | instid1(VALU_DEP_1)
	v_or_b32_e32 v8, 0x1000, v3
	v_lshrrev_b32_e32 v9, v5, v8
	s_delay_alu instid0(VALU_DEP_1) | instskip(NEXT) | instid1(VALU_DEP_1)
	v_lshlrev_b32_e32 v5, v5, v9
	v_cmp_ne_u32_e32 vcc_lo, v5, v8
	v_lshl_or_b32 v8, v6, 12, v3
	v_cndmask_b32_e64 v5, 0, 1, vcc_lo
	v_cmp_gt_i32_e32 vcc_lo, 1, v6
	s_delay_alu instid0(VALU_DEP_2) | instskip(NEXT) | instid1(VALU_DEP_1)
	v_or_b32_e32 v5, v9, v5
	v_cndmask_b32_e32 v5, v8, v5, vcc_lo
	s_delay_alu instid0(VALU_DEP_1) | instskip(NEXT) | instid1(VALU_DEP_1)
	v_dual_lshrrev_b32 v5, 2, v5 :: v_dual_bitop2_b32 v8, 7, v5 bitop3:0x40
	v_cmp_lt_i32_e32 vcc_lo, 5, v8
	v_cndmask_b32_e64 v9, 0, 1, vcc_lo
	v_cmp_eq_u32_e32 vcc_lo, 3, v8
	v_cndmask_b32_e64 v8, 0, 1, vcc_lo
	v_cmp_ne_u32_e32 vcc_lo, 0, v3
	s_delay_alu instid0(VALU_DEP_2) | instskip(SKIP_1) | instid1(VALU_DEP_2)
	v_or_b32_e32 v8, v8, v9
	v_mov_b32_e32 v9, 0x7e00
	v_add_nc_u32_e32 v5, v5, v8
	s_delay_alu instid0(VALU_DEP_2) | instskip(SKIP_1) | instid1(VALU_DEP_3)
	v_cndmask_b32_e32 v3, 0x7c00, v9, vcc_lo
	v_cmp_gt_i32_e32 vcc_lo, 31, v6
	v_cndmask_b32_e32 v5, 0x7c00, v5, vcc_lo
	v_cmp_eq_u32_e32 vcc_lo, 0x40f, v6
	s_delay_alu instid0(VALU_DEP_2) | instskip(SKIP_1) | instid1(VALU_DEP_1)
	v_cndmask_b32_e32 v3, v5, v3, vcc_lo
	v_lshrrev_b32_e32 v5, 16, v7
	v_and_or_b32 v3, 0x8000, v5, v3
	s_branch .LBB191_1835
.LBB191_1833:
	s_mov_b32 s8, -1
                                        ; implicit-def: $vgpr3
	s_branch .LBB191_1838
.LBB191_1834:
	s_mov_b32 s8, -1
                                        ; implicit-def: $vgpr3
.LBB191_1835:
	s_delay_alu instid0(SALU_CYCLE_1)
	s_and_not1_b32 vcc_lo, exec_lo, s8
	s_cbranch_vccnz .LBB191_1837
; %bb.1836:
	s_wait_loadcnt 0x0
	global_load_b32 v3, v[0:1], off
	s_wait_loadcnt 0x0
	v_cvt_f16_f32_e32 v3, v3
.LBB191_1837:
	s_mov_b32 s8, 0
.LBB191_1838:
	s_delay_alu instid0(SALU_CYCLE_1)
	s_and_not1_b32 vcc_lo, exec_lo, s8
	s_cbranch_vccnz .LBB191_1840
; %bb.1839:
	s_wait_loadcnt 0x0
	global_load_u16 v3, v[0:1], off
.LBB191_1840:
	s_cbranch_execnz .LBB191_1859
.LBB191_1841:
	s_sext_i32_i16 s8, s0
	s_delay_alu instid0(SALU_CYCLE_1)
	s_cmp_lt_i32 s8, 2
	s_cbranch_scc1 .LBB191_1845
; %bb.1842:
	s_cmp_lt_i32 s8, 3
	s_cbranch_scc1 .LBB191_1846
; %bb.1843:
	s_cmp_gt_i32 s8, 3
	s_cbranch_scc0 .LBB191_1847
; %bb.1844:
	s_wait_loadcnt 0x0
	global_load_b64 v[6:7], v[0:1], off
	s_mov_b32 s8, 0
	s_wait_loadcnt 0x0
	v_xor_b32_e32 v3, v6, v7
	v_cls_i32_e32 v5, v7
	s_delay_alu instid0(VALU_DEP_2) | instskip(NEXT) | instid1(VALU_DEP_1)
	v_ashrrev_i32_e32 v3, 31, v3
	v_add_nc_u32_e32 v3, 32, v3
	s_delay_alu instid0(VALU_DEP_1) | instskip(NEXT) | instid1(VALU_DEP_1)
	v_add_min_u32_e64 v3, v5, -1, v3
	v_lshlrev_b64_e32 v[6:7], v3, v[6:7]
	v_sub_nc_u32_e32 v3, 32, v3
	s_delay_alu instid0(VALU_DEP_2) | instskip(NEXT) | instid1(VALU_DEP_1)
	v_min_u32_e32 v5, 1, v6
	v_or_b32_e32 v5, v7, v5
	s_delay_alu instid0(VALU_DEP_1) | instskip(NEXT) | instid1(VALU_DEP_1)
	v_cvt_f32_i32_e32 v5, v5
	v_ldexp_f32 v3, v5, v3
	s_delay_alu instid0(VALU_DEP_1)
	v_cvt_f16_f32_e32 v3, v3
	s_branch .LBB191_1848
.LBB191_1845:
                                        ; implicit-def: $vgpr3
	s_branch .LBB191_1854
.LBB191_1846:
	s_mov_b32 s8, -1
                                        ; implicit-def: $vgpr3
	s_branch .LBB191_1851
.LBB191_1847:
	s_mov_b32 s8, -1
                                        ; implicit-def: $vgpr3
.LBB191_1848:
	s_delay_alu instid0(SALU_CYCLE_1)
	s_and_not1_b32 vcc_lo, exec_lo, s8
	s_cbranch_vccnz .LBB191_1850
; %bb.1849:
	s_wait_loadcnt 0x0
	global_load_b32 v3, v[0:1], off
	s_wait_loadcnt 0x0
	v_cvt_f32_i32_e32 v3, v3
	s_delay_alu instid0(VALU_DEP_1)
	v_cvt_f16_f32_e32 v3, v3
.LBB191_1850:
	s_mov_b32 s8, 0
.LBB191_1851:
	s_delay_alu instid0(SALU_CYCLE_1)
	s_and_not1_b32 vcc_lo, exec_lo, s8
	s_cbranch_vccnz .LBB191_1853
; %bb.1852:
	s_wait_loadcnt 0x0
	global_load_u16 v3, v[0:1], off
	s_wait_loadcnt 0x0
	v_cvt_f16_i16_e32 v3, v3
.LBB191_1853:
	s_cbranch_execnz .LBB191_1859
.LBB191_1854:
	s_sext_i32_i16 s0, s0
	s_delay_alu instid0(SALU_CYCLE_1)
	s_cmp_gt_i32 s0, 0
	s_mov_b32 s0, 0
	s_cbranch_scc0 .LBB191_1856
; %bb.1855:
	s_wait_loadcnt 0x0
	global_load_i8 v3, v[0:1], off
	s_wait_loadcnt 0x0
	v_cvt_f16_i16_e32 v3, v3
	s_branch .LBB191_1857
.LBB191_1856:
	s_mov_b32 s0, -1
                                        ; implicit-def: $vgpr3
.LBB191_1857:
	s_delay_alu instid0(SALU_CYCLE_1)
	s_and_not1_b32 vcc_lo, exec_lo, s0
	s_cbranch_vccnz .LBB191_1859
; %bb.1858:
	s_wait_loadcnt 0x0
	global_load_u8 v0, v[0:1], off
	s_wait_loadcnt 0x0
	v_cvt_f16_u16_e32 v3, v0
.LBB191_1859:
	s_or_b32 s7, s7, exec_lo
.LBB191_1860:
	s_wait_xcnt 0x0
	s_or_b32 exec_lo, exec_lo, s6
	s_mov_b32 s9, 0
	s_mov_b32 s6, 0
	;; [unrolled: 1-line block ×3, first 2 shown]
                                        ; implicit-def: $vgpr0_vgpr1
                                        ; implicit-def: $vgpr5
	s_and_saveexec_b32 s0, s7
	s_cbranch_execz .LBB191_1868
; %bb.1861:
	v_mov_b32_e32 v5, 0
	s_and_b32 s6, 0xffff, s40
	s_delay_alu instid0(SALU_CYCLE_1) | instskip(SKIP_1) | instid1(VALU_DEP_1)
	s_cmp_lt_i32 s6, 11
	s_wait_loadcnt 0x0
	v_add_nc_u64_e32 v[0:1], s[10:11], v[4:5]
	s_cbranch_scc1 .LBB191_1871
; %bb.1862:
	s_cmp_gt_i32 s6, 25
	s_cbranch_scc0 .LBB191_1872
; %bb.1863:
	s_cmp_gt_i32 s6, 28
	s_cbranch_scc0 .LBB191_1873
	;; [unrolled: 3-line block ×4, first 2 shown]
; %bb.1866:
	s_cmp_eq_u32 s6, 46
	s_mov_b32 s10, 0
	s_cbranch_scc0 .LBB191_1876
; %bb.1867:
	global_load_b32 v4, v[0:1], off
	s_mov_b32 s7, 0
	s_mov_b32 s8, -1
	s_wait_loadcnt 0x0
	v_lshlrev_b32_e32 v4, 16, v4
	s_delay_alu instid0(VALU_DEP_1)
	v_cvt_f16_f32_e32 v5, v4
	s_branch .LBB191_1878
.LBB191_1868:
	s_or_b32 exec_lo, exec_lo, s0
	s_and_saveexec_b32 s0, s48
	s_cbranch_execnz .LBB191_1941
.LBB191_1869:
	s_or_b32 exec_lo, exec_lo, s0
	s_and_saveexec_b32 s0, s9
	s_delay_alu instid0(SALU_CYCLE_1)
	s_xor_b32 s0, exec_lo, s0
	s_cbranch_execz .LBB191_1942
.LBB191_1870:
	s_wait_loadcnt 0x0
	global_load_u8 v4, v[0:1], off
	s_or_b32 s8, s8, exec_lo
	s_wait_loadcnt 0x0
	v_cmp_ne_u16_e32 vcc_lo, 0, v4
	v_cndmask_b32_e64 v5, 0, 0x3c00, vcc_lo
	s_wait_xcnt 0x0
	s_or_b32 exec_lo, exec_lo, s0
	s_and_saveexec_b32 s0, s6
	s_cbranch_execz .LBB191_1988
	s_branch .LBB191_1943
.LBB191_1871:
	s_mov_b32 s6, -1
	s_mov_b32 s7, s48
                                        ; implicit-def: $vgpr5
	s_branch .LBB191_1940
.LBB191_1872:
	s_mov_b32 s7, s48
                                        ; implicit-def: $vgpr5
	s_cbranch_execnz .LBB191_1907
	s_branch .LBB191_1939
.LBB191_1873:
	s_mov_b32 s10, -1
	s_mov_b32 s7, s48
                                        ; implicit-def: $vgpr5
	s_branch .LBB191_1888
.LBB191_1874:
	s_mov_b32 s10, -1
	s_mov_b32 s7, s48
                                        ; implicit-def: $vgpr5
	s_branch .LBB191_1883
.LBB191_1875:
	s_mov_b32 s10, -1
	s_mov_b32 s7, s48
	s_branch .LBB191_1877
.LBB191_1876:
	s_mov_b32 s7, -1
.LBB191_1877:
                                        ; implicit-def: $vgpr5
.LBB191_1878:
	s_and_b32 vcc_lo, exec_lo, s10
	s_cbranch_vccz .LBB191_1882
; %bb.1879:
	s_cmp_eq_u32 s6, 44
	s_cbranch_scc0 .LBB191_1881
; %bb.1880:
	global_load_u8 v4, v[0:1], off
	s_mov_b32 s7, 0
	s_mov_b32 s8, -1
	s_wait_loadcnt 0x0
	v_lshlrev_b32_e32 v5, 23, v4
	v_cmp_ne_u32_e32 vcc_lo, 0xff, v4
	s_delay_alu instid0(VALU_DEP_2) | instskip(NEXT) | instid1(VALU_DEP_1)
	v_cvt_f16_f32_e32 v5, v5
	v_cndmask_b32_e32 v5, 0x7e00, v5, vcc_lo
	v_cmp_ne_u32_e32 vcc_lo, 0, v4
	s_delay_alu instid0(VALU_DEP_2)
	v_cndmask_b32_e32 v5, 0, v5, vcc_lo
	s_branch .LBB191_1882
.LBB191_1881:
	s_mov_b32 s7, -1
                                        ; implicit-def: $vgpr5
.LBB191_1882:
	s_mov_b32 s10, 0
.LBB191_1883:
	s_delay_alu instid0(SALU_CYCLE_1)
	s_and_b32 vcc_lo, exec_lo, s10
	s_cbranch_vccz .LBB191_1887
; %bb.1884:
	s_cmp_eq_u32 s6, 29
	s_cbranch_scc0 .LBB191_1886
; %bb.1885:
	global_load_b64 v[4:5], v[0:1], off
	s_mov_b32 s7, 0
	s_mov_b32 s8, -1
	s_mov_b32 s10, 0
	s_wait_loadcnt 0x0
	v_clz_i32_u32_e32 v6, v5
	s_delay_alu instid0(VALU_DEP_1) | instskip(NEXT) | instid1(VALU_DEP_1)
	v_min_u32_e32 v6, 32, v6
	v_lshlrev_b64_e32 v[4:5], v6, v[4:5]
	s_delay_alu instid0(VALU_DEP_1) | instskip(NEXT) | instid1(VALU_DEP_1)
	v_min_u32_e32 v4, 1, v4
	v_dual_sub_nc_u32 v5, 32, v6 :: v_dual_bitop2_b32 v4, v5, v4 bitop3:0x54
	s_delay_alu instid0(VALU_DEP_1) | instskip(NEXT) | instid1(VALU_DEP_1)
	v_cvt_f32_u32_e32 v4, v4
	v_ldexp_f32 v4, v4, v5
	s_delay_alu instid0(VALU_DEP_1)
	v_cvt_f16_f32_e32 v5, v4
	s_branch .LBB191_1888
.LBB191_1886:
	s_mov_b32 s7, -1
                                        ; implicit-def: $vgpr5
.LBB191_1887:
	s_mov_b32 s10, 0
.LBB191_1888:
	s_delay_alu instid0(SALU_CYCLE_1)
	s_and_b32 vcc_lo, exec_lo, s10
	s_cbranch_vccz .LBB191_1906
; %bb.1889:
	s_cmp_lt_i32 s6, 27
	s_cbranch_scc1 .LBB191_1892
; %bb.1890:
	s_cmp_gt_i32 s6, 27
	s_cbranch_scc0 .LBB191_1893
; %bb.1891:
	global_load_b32 v4, v[0:1], off
	s_mov_b32 s8, 0
	s_wait_loadcnt 0x0
	v_cvt_f32_u32_e32 v4, v4
	s_delay_alu instid0(VALU_DEP_1)
	v_cvt_f16_f32_e32 v5, v4
	s_branch .LBB191_1894
.LBB191_1892:
	s_mov_b32 s8, -1
                                        ; implicit-def: $vgpr5
	s_branch .LBB191_1897
.LBB191_1893:
	s_mov_b32 s8, -1
                                        ; implicit-def: $vgpr5
.LBB191_1894:
	s_delay_alu instid0(SALU_CYCLE_1)
	s_and_not1_b32 vcc_lo, exec_lo, s8
	s_cbranch_vccnz .LBB191_1896
; %bb.1895:
	global_load_u16 v4, v[0:1], off
	s_wait_loadcnt 0x0
	v_cvt_f16_u16_e32 v5, v4
.LBB191_1896:
	s_mov_b32 s8, 0
.LBB191_1897:
	s_delay_alu instid0(SALU_CYCLE_1)
	s_and_not1_b32 vcc_lo, exec_lo, s8
	s_cbranch_vccnz .LBB191_1905
; %bb.1898:
	global_load_u8 v4, v[0:1], off
	s_mov_b32 s8, 0
	s_mov_b32 s10, exec_lo
	s_wait_loadcnt 0x0
	v_cmpx_lt_i16_e32 0x7f, v4
	s_xor_b32 s10, exec_lo, s10
	s_cbranch_execz .LBB191_1918
; %bb.1899:
	s_mov_b32 s8, -1
	s_mov_b32 s11, exec_lo
	v_cmpx_eq_u16_e32 0x80, v4
; %bb.1900:
	s_xor_b32 s8, exec_lo, -1
; %bb.1901:
	s_or_b32 exec_lo, exec_lo, s11
	s_delay_alu instid0(SALU_CYCLE_1)
	s_and_b32 s8, s8, exec_lo
	s_or_saveexec_b32 s10, s10
	v_mov_b32_e32 v5, 0x7e00
	s_xor_b32 exec_lo, exec_lo, s10
	s_cbranch_execnz .LBB191_1919
.LBB191_1902:
	s_or_b32 exec_lo, exec_lo, s10
	s_and_saveexec_b32 s10, s8
	s_cbranch_execz .LBB191_1904
.LBB191_1903:
	v_and_b32_e32 v5, 0xffff, v4
	s_delay_alu instid0(VALU_DEP_1) | instskip(SKIP_1) | instid1(VALU_DEP_2)
	v_and_b32_e32 v6, 7, v5
	v_bfe_u32 v9, v5, 3, 4
	v_clz_i32_u32_e32 v7, v6
	s_delay_alu instid0(VALU_DEP_2) | instskip(NEXT) | instid1(VALU_DEP_2)
	v_cmp_eq_u32_e32 vcc_lo, 0, v9
	v_min_u32_e32 v7, 32, v7
	s_delay_alu instid0(VALU_DEP_1) | instskip(NEXT) | instid1(VALU_DEP_1)
	v_subrev_nc_u32_e32 v8, 28, v7
	v_dual_lshlrev_b32 v5, v8, v5 :: v_dual_sub_nc_u32 v7, 29, v7
	s_delay_alu instid0(VALU_DEP_1) | instskip(NEXT) | instid1(VALU_DEP_1)
	v_dual_lshlrev_b32 v4, 24, v4 :: v_dual_bitop2_b32 v5, 7, v5 bitop3:0x40
	v_dual_cndmask_b32 v7, v9, v7, vcc_lo :: v_dual_cndmask_b32 v5, v6, v5, vcc_lo
	s_delay_alu instid0(VALU_DEP_2) | instskip(NEXT) | instid1(VALU_DEP_2)
	v_and_b32_e32 v4, 0x80000000, v4
	v_lshl_add_u32 v6, v7, 23, 0x3b800000
	s_delay_alu instid0(VALU_DEP_3) | instskip(NEXT) | instid1(VALU_DEP_1)
	v_lshlrev_b32_e32 v5, 20, v5
	v_or3_b32 v4, v4, v6, v5
	s_delay_alu instid0(VALU_DEP_1)
	v_cvt_f16_f32_e32 v5, v4
.LBB191_1904:
	s_or_b32 exec_lo, exec_lo, s10
.LBB191_1905:
	s_mov_b32 s8, -1
.LBB191_1906:
	s_branch .LBB191_1939
.LBB191_1907:
	s_cmp_gt_i32 s6, 22
	s_cbranch_scc0 .LBB191_1917
; %bb.1908:
	s_cmp_lt_i32 s6, 24
	s_cbranch_scc1 .LBB191_1920
; %bb.1909:
	s_cmp_gt_i32 s6, 24
	s_cbranch_scc0 .LBB191_1921
; %bb.1910:
	global_load_u8 v4, v[0:1], off
	s_mov_b32 s8, 0
	s_mov_b32 s9, exec_lo
	s_wait_loadcnt 0x0
	v_cmpx_lt_i16_e32 0x7f, v4
	s_xor_b32 s9, exec_lo, s9
	s_cbranch_execz .LBB191_1933
; %bb.1911:
	s_mov_b32 s8, -1
	s_mov_b32 s10, exec_lo
	v_cmpx_eq_u16_e32 0x80, v4
; %bb.1912:
	s_xor_b32 s8, exec_lo, -1
; %bb.1913:
	s_or_b32 exec_lo, exec_lo, s10
	s_delay_alu instid0(SALU_CYCLE_1)
	s_and_b32 s8, s8, exec_lo
	s_or_saveexec_b32 s9, s9
	v_mov_b32_e32 v5, 0x7e00
	s_xor_b32 exec_lo, exec_lo, s9
	s_cbranch_execnz .LBB191_1934
.LBB191_1914:
	s_or_b32 exec_lo, exec_lo, s9
	s_and_saveexec_b32 s9, s8
	s_cbranch_execz .LBB191_1916
.LBB191_1915:
	v_and_b32_e32 v5, 0xffff, v4
	s_delay_alu instid0(VALU_DEP_1) | instskip(SKIP_1) | instid1(VALU_DEP_2)
	v_and_b32_e32 v6, 3, v5
	v_bfe_u32 v9, v5, 2, 5
	v_clz_i32_u32_e32 v7, v6
	s_delay_alu instid0(VALU_DEP_2) | instskip(NEXT) | instid1(VALU_DEP_2)
	v_cmp_eq_u32_e32 vcc_lo, 0, v9
	v_min_u32_e32 v7, 32, v7
	s_delay_alu instid0(VALU_DEP_1) | instskip(NEXT) | instid1(VALU_DEP_1)
	v_subrev_nc_u32_e32 v8, 29, v7
	v_dual_lshlrev_b32 v5, v8, v5 :: v_dual_sub_nc_u32 v7, 30, v7
	s_delay_alu instid0(VALU_DEP_1) | instskip(NEXT) | instid1(VALU_DEP_1)
	v_dual_lshlrev_b32 v4, 24, v4 :: v_dual_bitop2_b32 v5, 3, v5 bitop3:0x40
	v_dual_cndmask_b32 v7, v9, v7, vcc_lo :: v_dual_cndmask_b32 v5, v6, v5, vcc_lo
	s_delay_alu instid0(VALU_DEP_2) | instskip(NEXT) | instid1(VALU_DEP_2)
	v_and_b32_e32 v4, 0x80000000, v4
	v_lshl_add_u32 v6, v7, 23, 0x37800000
	s_delay_alu instid0(VALU_DEP_3) | instskip(NEXT) | instid1(VALU_DEP_1)
	v_lshlrev_b32_e32 v5, 21, v5
	v_or3_b32 v4, v4, v6, v5
	s_delay_alu instid0(VALU_DEP_1)
	v_cvt_f16_f32_e32 v5, v4
.LBB191_1916:
	s_or_b32 exec_lo, exec_lo, s9
	s_mov_b32 s8, 0
	s_branch .LBB191_1922
.LBB191_1917:
	s_mov_b32 s9, -1
                                        ; implicit-def: $vgpr5
	s_branch .LBB191_1928
.LBB191_1918:
	s_or_saveexec_b32 s10, s10
	v_mov_b32_e32 v5, 0x7e00
	s_xor_b32 exec_lo, exec_lo, s10
	s_cbranch_execz .LBB191_1902
.LBB191_1919:
	v_cmp_ne_u16_e32 vcc_lo, 0, v4
	v_mov_b32_e32 v5, v4
	s_and_not1_b32 s8, s8, exec_lo
	s_and_b32 s11, vcc_lo, exec_lo
	s_delay_alu instid0(SALU_CYCLE_1)
	s_or_b32 s8, s8, s11
	s_or_b32 exec_lo, exec_lo, s10
	s_and_saveexec_b32 s10, s8
	s_cbranch_execnz .LBB191_1903
	s_branch .LBB191_1904
.LBB191_1920:
	s_mov_b32 s8, -1
                                        ; implicit-def: $vgpr5
	s_branch .LBB191_1925
.LBB191_1921:
	s_mov_b32 s8, -1
                                        ; implicit-def: $vgpr5
.LBB191_1922:
	s_delay_alu instid0(SALU_CYCLE_1)
	s_and_b32 vcc_lo, exec_lo, s8
	s_cbranch_vccz .LBB191_1924
; %bb.1923:
	global_load_u8 v4, v[0:1], off
	s_wait_loadcnt 0x0
	v_lshlrev_b32_e32 v4, 24, v4
	s_delay_alu instid0(VALU_DEP_1) | instskip(NEXT) | instid1(VALU_DEP_1)
	v_and_b32_e32 v5, 0x7f000000, v4
	v_clz_i32_u32_e32 v6, v5
	v_cmp_ne_u32_e32 vcc_lo, 0, v5
	v_add_nc_u32_e32 v8, 0x1000000, v5
	s_delay_alu instid0(VALU_DEP_3) | instskip(NEXT) | instid1(VALU_DEP_1)
	v_min_u32_e32 v6, 32, v6
	v_sub_nc_u32_e64 v6, v6, 4 clamp
	s_delay_alu instid0(VALU_DEP_1) | instskip(NEXT) | instid1(VALU_DEP_1)
	v_dual_lshlrev_b32 v7, v6, v5 :: v_dual_lshlrev_b32 v6, 23, v6
	v_lshrrev_b32_e32 v7, 4, v7
	s_delay_alu instid0(VALU_DEP_1) | instskip(NEXT) | instid1(VALU_DEP_1)
	v_dual_sub_nc_u32 v6, v7, v6 :: v_dual_ashrrev_i32 v7, 8, v8
	v_add_nc_u32_e32 v6, 0x3c000000, v6
	s_delay_alu instid0(VALU_DEP_1) | instskip(NEXT) | instid1(VALU_DEP_1)
	v_and_or_b32 v6, 0x7f800000, v7, v6
	v_cndmask_b32_e32 v5, 0, v6, vcc_lo
	s_delay_alu instid0(VALU_DEP_1) | instskip(NEXT) | instid1(VALU_DEP_1)
	v_and_or_b32 v4, 0x80000000, v4, v5
	v_cvt_f16_f32_e32 v5, v4
.LBB191_1924:
	s_mov_b32 s8, 0
.LBB191_1925:
	s_delay_alu instid0(SALU_CYCLE_1)
	s_and_not1_b32 vcc_lo, exec_lo, s8
	s_cbranch_vccnz .LBB191_1927
; %bb.1926:
	global_load_u8 v4, v[0:1], off
	s_wait_loadcnt 0x0
	v_lshlrev_b32_e32 v5, 25, v4
	v_lshlrev_b16 v4, 8, v4
	s_delay_alu instid0(VALU_DEP_1) | instskip(SKIP_1) | instid1(VALU_DEP_2)
	v_and_or_b32 v7, 0x7f00, v4, 0.5
	v_bfe_i32 v4, v4, 0, 16
	v_dual_add_f32 v7, -0.5, v7 :: v_dual_lshrrev_b32 v6, 4, v5
	v_cmp_gt_u32_e32 vcc_lo, 0x8000000, v5
	s_delay_alu instid0(VALU_DEP_2) | instskip(NEXT) | instid1(VALU_DEP_1)
	v_or_b32_e32 v6, 0x70000000, v6
	v_mul_f32_e32 v6, 0x7800000, v6
	s_delay_alu instid0(VALU_DEP_1) | instskip(NEXT) | instid1(VALU_DEP_1)
	v_cndmask_b32_e32 v5, v6, v7, vcc_lo
	v_and_or_b32 v4, 0x80000000, v4, v5
	s_delay_alu instid0(VALU_DEP_1)
	v_cvt_f16_f32_e32 v5, v4
.LBB191_1927:
	s_mov_b32 s9, 0
	s_mov_b32 s8, -1
.LBB191_1928:
	s_and_not1_b32 vcc_lo, exec_lo, s9
	s_mov_b32 s9, 0
	s_cbranch_vccnz .LBB191_1939
; %bb.1929:
	s_cmp_gt_i32 s6, 14
	s_cbranch_scc0 .LBB191_1932
; %bb.1930:
	s_cmp_eq_u32 s6, 15
	s_cbranch_scc0 .LBB191_1935
; %bb.1931:
	global_load_u16 v4, v[0:1], off
	s_mov_b32 s7, 0
	s_mov_b32 s8, -1
	s_wait_loadcnt 0x0
	v_lshlrev_b32_e32 v4, 16, v4
	s_delay_alu instid0(VALU_DEP_1)
	v_cvt_f16_f32_e32 v5, v4
	s_branch .LBB191_1937
.LBB191_1932:
	s_mov_b32 s9, -1
	s_branch .LBB191_1936
.LBB191_1933:
	s_or_saveexec_b32 s9, s9
	v_mov_b32_e32 v5, 0x7e00
	s_xor_b32 exec_lo, exec_lo, s9
	s_cbranch_execz .LBB191_1914
.LBB191_1934:
	v_cmp_ne_u16_e32 vcc_lo, 0, v4
	v_mov_b32_e32 v5, v4
	s_and_not1_b32 s8, s8, exec_lo
	s_and_b32 s10, vcc_lo, exec_lo
	s_delay_alu instid0(SALU_CYCLE_1)
	s_or_b32 s8, s8, s10
	s_or_b32 exec_lo, exec_lo, s9
	s_and_saveexec_b32 s9, s8
	s_cbranch_execnz .LBB191_1915
	s_branch .LBB191_1916
.LBB191_1935:
	s_mov_b32 s7, -1
.LBB191_1936:
                                        ; implicit-def: $vgpr5
.LBB191_1937:
	s_and_b32 vcc_lo, exec_lo, s9
	s_mov_b32 s9, 0
	s_cbranch_vccz .LBB191_1939
; %bb.1938:
	s_cmp_lg_u32 s6, 11
	s_mov_b32 s9, -1
	s_cselect_b32 s6, -1, 0
	s_and_not1_b32 s7, s7, exec_lo
	s_and_b32 s6, s6, exec_lo
	s_delay_alu instid0(SALU_CYCLE_1)
	s_or_b32 s7, s7, s6
.LBB191_1939:
	s_mov_b32 s6, 0
.LBB191_1940:
	s_and_not1_b32 s10, s48, exec_lo
	s_and_b32 s7, s7, exec_lo
	s_and_b32 s8, s8, exec_lo
	;; [unrolled: 1-line block ×4, first 2 shown]
	s_or_b32 s48, s10, s7
	s_wait_xcnt 0x0
	s_or_b32 exec_lo, exec_lo, s0
	s_and_saveexec_b32 s0, s48
	s_cbranch_execz .LBB191_1869
.LBB191_1941:
	s_or_b32 s1, s1, exec_lo
	s_and_not1_b32 s9, s9, exec_lo
	s_trap 2
	s_or_b32 exec_lo, exec_lo, s0
	s_and_saveexec_b32 s0, s9
	s_delay_alu instid0(SALU_CYCLE_1)
	s_xor_b32 s0, exec_lo, s0
	s_cbranch_execnz .LBB191_1870
.LBB191_1942:
	s_or_b32 exec_lo, exec_lo, s0
	s_and_saveexec_b32 s0, s6
	s_cbranch_execz .LBB191_1988
.LBB191_1943:
	s_sext_i32_i16 s6, s40
	s_delay_alu instid0(SALU_CYCLE_1)
	s_cmp_lt_i32 s6, 5
	s_cbranch_scc1 .LBB191_1948
; %bb.1944:
	s_cmp_lt_i32 s6, 8
	s_cbranch_scc1 .LBB191_1949
; %bb.1945:
	;; [unrolled: 3-line block ×3, first 2 shown]
	s_cmp_gt_i32 s6, 9
	s_cbranch_scc0 .LBB191_1951
; %bb.1947:
	s_wait_loadcnt 0x0
	global_load_b64 v[4:5], v[0:1], off
	s_mov_b32 s6, 0
	s_wait_loadcnt 0x0
	v_and_or_b32 v4, 0x1ff, v5, v4
	v_lshrrev_b32_e32 v6, 8, v5
	v_bfe_u32 v7, v5, 20, 11
	v_lshrrev_b32_e32 v5, 16, v5
	s_delay_alu instid0(VALU_DEP_4) | instskip(NEXT) | instid1(VALU_DEP_3)
	v_cmp_ne_u32_e32 vcc_lo, 0, v4
	v_sub_nc_u32_e32 v8, 0x3f1, v7
	v_add_nc_u32_e32 v7, 0xfffffc10, v7
	v_cndmask_b32_e64 v4, 0, 1, vcc_lo
	s_delay_alu instid0(VALU_DEP_1) | instskip(NEXT) | instid1(VALU_DEP_4)
	v_and_or_b32 v4, 0xffe, v6, v4
	v_med3_i32 v6, v8, 0, 13
	s_delay_alu instid0(VALU_DEP_2) | instskip(NEXT) | instid1(VALU_DEP_1)
	v_or_b32_e32 v8, 0x1000, v4
	v_lshrrev_b32_e32 v9, v6, v8
	s_delay_alu instid0(VALU_DEP_1) | instskip(NEXT) | instid1(VALU_DEP_1)
	v_lshlrev_b32_e32 v6, v6, v9
	v_cmp_ne_u32_e32 vcc_lo, v6, v8
	v_lshl_or_b32 v8, v7, 12, v4
	v_cndmask_b32_e64 v6, 0, 1, vcc_lo
	v_cmp_gt_i32_e32 vcc_lo, 1, v7
	s_delay_alu instid0(VALU_DEP_2) | instskip(NEXT) | instid1(VALU_DEP_1)
	v_or_b32_e32 v6, v9, v6
	v_cndmask_b32_e32 v6, v8, v6, vcc_lo
	s_delay_alu instid0(VALU_DEP_1) | instskip(NEXT) | instid1(VALU_DEP_1)
	v_dual_lshrrev_b32 v6, 2, v6 :: v_dual_bitop2_b32 v8, 7, v6 bitop3:0x40
	v_cmp_lt_i32_e32 vcc_lo, 5, v8
	v_cndmask_b32_e64 v9, 0, 1, vcc_lo
	v_cmp_eq_u32_e32 vcc_lo, 3, v8
	v_cndmask_b32_e64 v8, 0, 1, vcc_lo
	v_cmp_ne_u32_e32 vcc_lo, 0, v4
	s_delay_alu instid0(VALU_DEP_2) | instskip(NEXT) | instid1(VALU_DEP_1)
	v_or_b32_e32 v8, v8, v9
	v_dual_mov_b32 v9, 0x7e00 :: v_dual_add_nc_u32 v6, v6, v8
	s_delay_alu instid0(VALU_DEP_1) | instskip(SKIP_1) | instid1(VALU_DEP_3)
	v_cndmask_b32_e32 v4, 0x7c00, v9, vcc_lo
	v_cmp_gt_i32_e32 vcc_lo, 31, v7
	v_cndmask_b32_e32 v6, 0x7c00, v6, vcc_lo
	v_cmp_eq_u32_e32 vcc_lo, 0x40f, v7
	s_delay_alu instid0(VALU_DEP_2) | instskip(NEXT) | instid1(VALU_DEP_1)
	v_cndmask_b32_e32 v4, v6, v4, vcc_lo
	v_and_or_b32 v5, 0x8000, v5, v4
	s_branch .LBB191_1952
.LBB191_1948:
                                        ; implicit-def: $vgpr5
	s_branch .LBB191_1969
.LBB191_1949:
                                        ; implicit-def: $vgpr5
	s_branch .LBB191_1958
.LBB191_1950:
	s_mov_b32 s6, -1
                                        ; implicit-def: $vgpr5
	s_branch .LBB191_1955
.LBB191_1951:
	s_mov_b32 s6, -1
                                        ; implicit-def: $vgpr5
.LBB191_1952:
	s_delay_alu instid0(SALU_CYCLE_1)
	s_and_not1_b32 vcc_lo, exec_lo, s6
	s_cbranch_vccnz .LBB191_1954
; %bb.1953:
	s_wait_loadcnt 0x0
	global_load_b32 v4, v[0:1], off
	s_wait_loadcnt 0x0
	v_cvt_f16_f32_e32 v5, v4
.LBB191_1954:
	s_mov_b32 s6, 0
.LBB191_1955:
	s_delay_alu instid0(SALU_CYCLE_1)
	s_and_not1_b32 vcc_lo, exec_lo, s6
	s_cbranch_vccnz .LBB191_1957
; %bb.1956:
	s_wait_loadcnt 0x0
	global_load_b32 v5, v[0:1], off
.LBB191_1957:
	s_cbranch_execnz .LBB191_1968
.LBB191_1958:
	s_sext_i32_i16 s6, s40
	s_delay_alu instid0(SALU_CYCLE_1)
	s_cmp_lt_i32 s6, 6
	s_cbranch_scc1 .LBB191_1961
; %bb.1959:
	s_cmp_gt_i32 s6, 6
	s_cbranch_scc0 .LBB191_1962
; %bb.1960:
	s_wait_loadcnt 0x0
	global_load_b64 v[4:5], v[0:1], off
	s_mov_b32 s6, 0
	s_wait_loadcnt 0x0
	v_and_or_b32 v4, 0x1ff, v5, v4
	v_lshrrev_b32_e32 v6, 8, v5
	v_bfe_u32 v7, v5, 20, 11
	v_lshrrev_b32_e32 v5, 16, v5
	s_delay_alu instid0(VALU_DEP_4) | instskip(NEXT) | instid1(VALU_DEP_3)
	v_cmp_ne_u32_e32 vcc_lo, 0, v4
	v_sub_nc_u32_e32 v8, 0x3f1, v7
	v_add_nc_u32_e32 v7, 0xfffffc10, v7
	v_cndmask_b32_e64 v4, 0, 1, vcc_lo
	s_delay_alu instid0(VALU_DEP_1) | instskip(NEXT) | instid1(VALU_DEP_4)
	v_and_or_b32 v4, 0xffe, v6, v4
	v_med3_i32 v6, v8, 0, 13
	s_delay_alu instid0(VALU_DEP_2) | instskip(NEXT) | instid1(VALU_DEP_1)
	v_or_b32_e32 v8, 0x1000, v4
	v_lshrrev_b32_e32 v9, v6, v8
	s_delay_alu instid0(VALU_DEP_1) | instskip(NEXT) | instid1(VALU_DEP_1)
	v_lshlrev_b32_e32 v6, v6, v9
	v_cmp_ne_u32_e32 vcc_lo, v6, v8
	v_lshl_or_b32 v8, v7, 12, v4
	v_cndmask_b32_e64 v6, 0, 1, vcc_lo
	v_cmp_gt_i32_e32 vcc_lo, 1, v7
	s_delay_alu instid0(VALU_DEP_2) | instskip(NEXT) | instid1(VALU_DEP_1)
	v_or_b32_e32 v6, v9, v6
	v_cndmask_b32_e32 v6, v8, v6, vcc_lo
	s_delay_alu instid0(VALU_DEP_1) | instskip(NEXT) | instid1(VALU_DEP_1)
	v_dual_lshrrev_b32 v6, 2, v6 :: v_dual_bitop2_b32 v8, 7, v6 bitop3:0x40
	v_cmp_lt_i32_e32 vcc_lo, 5, v8
	v_cndmask_b32_e64 v9, 0, 1, vcc_lo
	v_cmp_eq_u32_e32 vcc_lo, 3, v8
	v_cndmask_b32_e64 v8, 0, 1, vcc_lo
	v_cmp_ne_u32_e32 vcc_lo, 0, v4
	s_delay_alu instid0(VALU_DEP_2) | instskip(NEXT) | instid1(VALU_DEP_1)
	v_or_b32_e32 v8, v8, v9
	v_dual_mov_b32 v9, 0x7e00 :: v_dual_add_nc_u32 v6, v6, v8
	s_delay_alu instid0(VALU_DEP_1) | instskip(SKIP_1) | instid1(VALU_DEP_3)
	v_cndmask_b32_e32 v4, 0x7c00, v9, vcc_lo
	v_cmp_gt_i32_e32 vcc_lo, 31, v7
	v_cndmask_b32_e32 v6, 0x7c00, v6, vcc_lo
	v_cmp_eq_u32_e32 vcc_lo, 0x40f, v7
	s_delay_alu instid0(VALU_DEP_2) | instskip(NEXT) | instid1(VALU_DEP_1)
	v_cndmask_b32_e32 v4, v6, v4, vcc_lo
	v_and_or_b32 v5, 0x8000, v5, v4
	s_branch .LBB191_1963
.LBB191_1961:
	s_mov_b32 s6, -1
                                        ; implicit-def: $vgpr5
	s_branch .LBB191_1966
.LBB191_1962:
	s_mov_b32 s6, -1
                                        ; implicit-def: $vgpr5
.LBB191_1963:
	s_delay_alu instid0(SALU_CYCLE_1)
	s_and_not1_b32 vcc_lo, exec_lo, s6
	s_cbranch_vccnz .LBB191_1965
; %bb.1964:
	s_wait_loadcnt 0x0
	global_load_b32 v4, v[0:1], off
	s_wait_loadcnt 0x0
	v_cvt_f16_f32_e32 v5, v4
.LBB191_1965:
	s_mov_b32 s6, 0
.LBB191_1966:
	s_delay_alu instid0(SALU_CYCLE_1)
	s_and_not1_b32 vcc_lo, exec_lo, s6
	s_cbranch_vccnz .LBB191_1968
; %bb.1967:
	s_wait_loadcnt 0x0
	global_load_u16 v5, v[0:1], off
.LBB191_1968:
	s_cbranch_execnz .LBB191_1987
.LBB191_1969:
	s_sext_i32_i16 s6, s40
	s_delay_alu instid0(SALU_CYCLE_1)
	s_cmp_lt_i32 s6, 2
	s_cbranch_scc1 .LBB191_1973
; %bb.1970:
	s_cmp_lt_i32 s6, 3
	s_cbranch_scc1 .LBB191_1974
; %bb.1971:
	s_cmp_gt_i32 s6, 3
	s_cbranch_scc0 .LBB191_1975
; %bb.1972:
	s_wait_loadcnt 0x0
	global_load_b64 v[4:5], v[0:1], off
	s_mov_b32 s6, 0
	s_wait_loadcnt 0x0
	v_xor_b32_e32 v6, v4, v5
	v_cls_i32_e32 v7, v5
	s_delay_alu instid0(VALU_DEP_2) | instskip(NEXT) | instid1(VALU_DEP_1)
	v_ashrrev_i32_e32 v6, 31, v6
	v_add_nc_u32_e32 v6, 32, v6
	s_delay_alu instid0(VALU_DEP_1) | instskip(NEXT) | instid1(VALU_DEP_1)
	v_add_min_u32_e64 v6, v7, -1, v6
	v_lshlrev_b64_e32 v[4:5], v6, v[4:5]
	s_delay_alu instid0(VALU_DEP_1) | instskip(NEXT) | instid1(VALU_DEP_1)
	v_min_u32_e32 v4, 1, v4
	v_dual_sub_nc_u32 v5, 32, v6 :: v_dual_bitop2_b32 v4, v5, v4 bitop3:0x54
	s_delay_alu instid0(VALU_DEP_1) | instskip(NEXT) | instid1(VALU_DEP_1)
	v_cvt_f32_i32_e32 v4, v4
	v_ldexp_f32 v4, v4, v5
	s_delay_alu instid0(VALU_DEP_1)
	v_cvt_f16_f32_e32 v5, v4
	s_branch .LBB191_1976
.LBB191_1973:
                                        ; implicit-def: $vgpr5
	s_branch .LBB191_1982
.LBB191_1974:
	s_mov_b32 s6, -1
                                        ; implicit-def: $vgpr5
	s_branch .LBB191_1979
.LBB191_1975:
	s_mov_b32 s6, -1
                                        ; implicit-def: $vgpr5
.LBB191_1976:
	s_delay_alu instid0(SALU_CYCLE_1)
	s_and_not1_b32 vcc_lo, exec_lo, s6
	s_cbranch_vccnz .LBB191_1978
; %bb.1977:
	s_wait_loadcnt 0x0
	global_load_b32 v4, v[0:1], off
	s_wait_loadcnt 0x0
	v_cvt_f32_i32_e32 v4, v4
	s_delay_alu instid0(VALU_DEP_1)
	v_cvt_f16_f32_e32 v5, v4
.LBB191_1978:
	s_mov_b32 s6, 0
.LBB191_1979:
	s_delay_alu instid0(SALU_CYCLE_1)
	s_and_not1_b32 vcc_lo, exec_lo, s6
	s_cbranch_vccnz .LBB191_1981
; %bb.1980:
	s_wait_loadcnt 0x0
	global_load_u16 v4, v[0:1], off
	s_wait_loadcnt 0x0
	v_cvt_f16_i16_e32 v5, v4
.LBB191_1981:
	s_cbranch_execnz .LBB191_1987
.LBB191_1982:
	s_sext_i32_i16 s6, s40
	s_delay_alu instid0(SALU_CYCLE_1)
	s_cmp_gt_i32 s6, 0
	s_mov_b32 s6, 0
	s_cbranch_scc0 .LBB191_1984
; %bb.1983:
	s_wait_loadcnt 0x0
	global_load_i8 v4, v[0:1], off
	s_wait_loadcnt 0x0
	v_cvt_f16_i16_e32 v5, v4
	s_branch .LBB191_1985
.LBB191_1984:
	s_mov_b32 s6, -1
                                        ; implicit-def: $vgpr5
.LBB191_1985:
	s_delay_alu instid0(SALU_CYCLE_1)
	s_and_not1_b32 vcc_lo, exec_lo, s6
	s_cbranch_vccnz .LBB191_1987
; %bb.1986:
	s_wait_loadcnt 0x0
	global_load_u8 v0, v[0:1], off
	s_wait_loadcnt 0x0
	v_cvt_f16_u16_e32 v5, v0
.LBB191_1987:
	s_or_b32 s8, s8, exec_lo
.LBB191_1988:
	s_wait_xcnt 0x0
	s_or_b32 exec_lo, exec_lo, s0
	s_mov_b32 s0, 0
	s_mov_b32 s9, 0
                                        ; implicit-def: $sgpr6
                                        ; implicit-def: $vgpr0_vgpr1
                                        ; implicit-def: $vgpr4
	s_and_saveexec_b32 s7, s8
	s_cbranch_execz .LBB191_1996
; %bb.1989:
	s_wait_loadcnt 0x0
	v_mul_f16_e32 v0, s21, v3
	v_mov_b32_e32 v3, 0
	s_and_b32 s6, s25, 0xff
	s_delay_alu instid0(SALU_CYCLE_1) | instskip(NEXT) | instid1(VALU_DEP_2)
	s_cmp_lt_i32 s6, 11
	v_mul_f16_e32 v4, v0, v5
	s_delay_alu instid0(VALU_DEP_2) | instskip(NEXT) | instid1(VALU_DEP_2)
	v_add_nc_u64_e32 v[0:1], s[4:5], v[2:3]
	v_fmac_f16_e32 v4, s24, v10
	s_cbranch_scc1 .LBB191_1999
; %bb.1990:
	s_and_b32 s4, 0xffff, s6
	s_mov_b32 s5, -1
	s_cmp_gt_i32 s4, 25
	s_mov_b32 s0, s44
	s_cbranch_scc0 .LBB191_2027
; %bb.1991:
	s_cmp_gt_i32 s4, 28
	s_mov_b32 s0, s44
	s_cbranch_scc0 .LBB191_2011
; %bb.1992:
	;; [unrolled: 4-line block ×4, first 2 shown]
	s_cmp_eq_u32 s4, 46
	s_mov_b32 s0, -1
	s_cbranch_scc0 .LBB191_2000
; %bb.1995:
	v_cvt_f32_f16_e32 v2, v4
	v_cmp_o_f16_e32 vcc_lo, v4, v4
	s_mov_b32 s0, 0
	s_mov_b32 s5, 0
	s_delay_alu instid0(VALU_DEP_2) | instskip(NEXT) | instid1(VALU_DEP_1)
	v_bfe_u32 v3, v2, 16, 1
	v_add3_u32 v2, v2, v3, 0x7fff
	s_delay_alu instid0(VALU_DEP_1) | instskip(NEXT) | instid1(VALU_DEP_1)
	v_lshrrev_b32_e32 v2, 16, v2
	v_cndmask_b32_e32 v2, 0x7fc0, v2, vcc_lo
	global_store_b32 v[0:1], v2, off
	s_branch .LBB191_2001
.LBB191_1996:
	s_or_b32 exec_lo, exec_lo, s7
	s_and_saveexec_b32 s4, s44
	s_cbranch_execnz .LBB191_2069
.LBB191_1997:
	s_or_b32 exec_lo, exec_lo, s4
	s_and_saveexec_b32 s4, s0
	s_delay_alu instid0(SALU_CYCLE_1)
	s_xor_b32 s0, exec_lo, s4
	s_cbranch_execz .LBB191_2070
.LBB191_1998:
	v_cmp_neq_f16_e32 vcc_lo, 0, v4
	v_cndmask_b32_e64 v2, 0, 1, vcc_lo
	s_wait_loadcnt 0x0
	global_store_b8 v[0:1], v2, off
	s_wait_xcnt 0x0
	s_or_b32 exec_lo, exec_lo, s0
	s_and_saveexec_b32 s0, s9
	s_delay_alu instid0(SALU_CYCLE_1)
	s_xor_b32 s0, exec_lo, s0
	s_cbranch_execz .LBB191_2108
	s_branch .LBB191_2071
.LBB191_1999:
	s_mov_b32 s8, 0
	s_mov_b32 s5, -1
	s_mov_b32 s0, s44
	s_branch .LBB191_2068
.LBB191_2000:
	s_mov_b32 s5, 0
.LBB191_2001:
	s_delay_alu instid0(SALU_CYCLE_1)
	s_and_b32 vcc_lo, exec_lo, s5
	s_cbranch_vccz .LBB191_2006
; %bb.2002:
	s_cmp_eq_u32 s4, 44
	s_mov_b32 s0, -1
	s_cbranch_scc0 .LBB191_2006
; %bb.2003:
	s_wait_xcnt 0x0
	v_cvt_f32_f16_e32 v2, v4
	v_mov_b32_e32 v3, 0xff
	s_mov_b32 s5, exec_lo
	s_delay_alu instid0(VALU_DEP_2) | instskip(NEXT) | instid1(VALU_DEP_1)
	v_bfe_u32 v5, v2, 23, 8
	v_cmpx_ne_u32_e32 0xff, v5
	s_cbranch_execz .LBB191_2005
; %bb.2004:
	v_and_b32_e32 v3, 0x400000, v2
	v_and_or_b32 v5, 0x3fffff, v2, v5
	v_lshrrev_b32_e32 v2, 23, v2
	s_delay_alu instid0(VALU_DEP_3) | instskip(NEXT) | instid1(VALU_DEP_3)
	v_cmp_ne_u32_e32 vcc_lo, 0, v3
	v_cmp_ne_u32_e64 s0, 0, v5
	s_and_b32 s0, vcc_lo, s0
	s_delay_alu instid0(SALU_CYCLE_1) | instskip(NEXT) | instid1(VALU_DEP_1)
	v_cndmask_b32_e64 v3, 0, 1, s0
	v_add_nc_u32_e32 v3, v2, v3
.LBB191_2005:
	s_or_b32 exec_lo, exec_lo, s5
	s_mov_b32 s0, 0
	global_store_b8 v[0:1], v3, off
.LBB191_2006:
	s_mov_b32 s5, 0
.LBB191_2007:
	s_delay_alu instid0(SALU_CYCLE_1)
	s_and_b32 vcc_lo, exec_lo, s5
	s_cbranch_vccz .LBB191_2010
; %bb.2008:
	s_cmp_eq_u32 s4, 29
	s_mov_b32 s0, -1
	s_cbranch_scc0 .LBB191_2010
; %bb.2009:
	s_wait_xcnt 0x0
	v_cvt_f32_f16_e32 v2, v4
	v_mov_b32_e32 v3, 0
	s_mov_b32 s0, 0
	s_mov_b32 s5, 0
	s_delay_alu instid0(VALU_DEP_2)
	v_cvt_u32_f32_e32 v2, v2
	global_store_b64 v[0:1], v[2:3], off
	s_branch .LBB191_2011
.LBB191_2010:
	s_mov_b32 s5, 0
.LBB191_2011:
	s_delay_alu instid0(SALU_CYCLE_1)
	s_and_b32 vcc_lo, exec_lo, s5
	s_cbranch_vccz .LBB191_2026
; %bb.2012:
	s_cmp_lt_i32 s4, 27
	s_mov_b32 s5, -1
	s_cbranch_scc1 .LBB191_2018
; %bb.2013:
	s_cmp_gt_i32 s4, 27
	s_cbranch_scc0 .LBB191_2015
; %bb.2014:
	s_wait_xcnt 0x0
	v_cvt_f32_f16_e32 v2, v4
	s_mov_b32 s5, 0
	s_delay_alu instid0(VALU_DEP_1)
	v_cvt_u32_f32_e32 v2, v2
	global_store_b32 v[0:1], v2, off
.LBB191_2015:
	s_and_not1_b32 vcc_lo, exec_lo, s5
	s_cbranch_vccnz .LBB191_2017
; %bb.2016:
	s_wait_xcnt 0x0
	v_cvt_u16_f16_e32 v2, v4
	global_store_b16 v[0:1], v2, off
.LBB191_2017:
	s_mov_b32 s5, 0
.LBB191_2018:
	s_delay_alu instid0(SALU_CYCLE_1)
	s_and_not1_b32 vcc_lo, exec_lo, s5
	s_cbranch_vccnz .LBB191_2026
; %bb.2019:
	s_wait_xcnt 0x0
	v_cvt_f32_f16_e32 v2, v4
	v_mov_b32_e32 v5, 0x80
	s_mov_b32 s5, exec_lo
	s_delay_alu instid0(VALU_DEP_2) | instskip(NEXT) | instid1(VALU_DEP_1)
	v_and_b32_e32 v3, 0x7fffffff, v2
	v_cmpx_gt_u32_e32 0x43800000, v3
	s_cbranch_execz .LBB191_2025
; %bb.2020:
	v_cmp_lt_u32_e32 vcc_lo, 0x3bffffff, v3
	s_mov_b32 s8, 0
                                        ; implicit-def: $vgpr3
	s_and_saveexec_b32 s9, vcc_lo
	s_delay_alu instid0(SALU_CYCLE_1)
	s_xor_b32 s9, exec_lo, s9
	s_cbranch_execz .LBB191_2167
; %bb.2021:
	v_bfe_u32 v3, v2, 20, 1
	s_mov_b32 s8, exec_lo
	s_delay_alu instid0(VALU_DEP_1) | instskip(NEXT) | instid1(VALU_DEP_1)
	v_add3_u32 v3, v2, v3, 0x487ffff
	v_lshrrev_b32_e32 v3, 20, v3
	s_and_not1_saveexec_b32 s9, s9
	s_cbranch_execnz .LBB191_2168
.LBB191_2022:
	s_or_b32 exec_lo, exec_lo, s9
	v_mov_b32_e32 v5, 0
	s_and_saveexec_b32 s9, s8
.LBB191_2023:
	v_lshrrev_b32_e32 v2, 24, v2
	s_delay_alu instid0(VALU_DEP_1)
	v_and_or_b32 v5, 0x80, v2, v3
.LBB191_2024:
	s_or_b32 exec_lo, exec_lo, s9
.LBB191_2025:
	s_delay_alu instid0(SALU_CYCLE_1)
	s_or_b32 exec_lo, exec_lo, s5
	global_store_b8 v[0:1], v5, off
.LBB191_2026:
	s_mov_b32 s5, 0
.LBB191_2027:
	s_delay_alu instid0(SALU_CYCLE_1)
	s_and_b32 vcc_lo, exec_lo, s5
	s_mov_b32 s5, 0
	s_cbranch_vccz .LBB191_2067
; %bb.2028:
	s_cmp_gt_i32 s4, 22
	s_mov_b32 s8, -1
	s_cbranch_scc0 .LBB191_2060
; %bb.2029:
	s_cmp_lt_i32 s4, 24
	s_cbranch_scc1 .LBB191_2049
; %bb.2030:
	s_cmp_gt_i32 s4, 24
	s_cbranch_scc0 .LBB191_2038
; %bb.2031:
	s_wait_xcnt 0x0
	v_cvt_f32_f16_e32 v2, v4
	v_mov_b32_e32 v5, 0x80
	s_mov_b32 s8, exec_lo
	s_delay_alu instid0(VALU_DEP_2) | instskip(NEXT) | instid1(VALU_DEP_1)
	v_and_b32_e32 v3, 0x7fffffff, v2
	v_cmpx_gt_u32_e32 0x47800000, v3
	s_cbranch_execz .LBB191_2037
; %bb.2032:
	v_cmp_lt_u32_e32 vcc_lo, 0x37ffffff, v3
	s_mov_b32 s9, 0
                                        ; implicit-def: $vgpr3
	s_and_saveexec_b32 s10, vcc_lo
	s_delay_alu instid0(SALU_CYCLE_1)
	s_xor_b32 s10, exec_lo, s10
	s_cbranch_execz .LBB191_2293
; %bb.2033:
	v_bfe_u32 v3, v2, 21, 1
	s_mov_b32 s9, exec_lo
	s_delay_alu instid0(VALU_DEP_1) | instskip(NEXT) | instid1(VALU_DEP_1)
	v_add3_u32 v3, v2, v3, 0x88fffff
	v_lshrrev_b32_e32 v3, 21, v3
	s_and_not1_saveexec_b32 s10, s10
	s_cbranch_execnz .LBB191_2294
.LBB191_2034:
	s_or_b32 exec_lo, exec_lo, s10
	v_mov_b32_e32 v5, 0
	s_and_saveexec_b32 s10, s9
.LBB191_2035:
	v_lshrrev_b32_e32 v2, 24, v2
	s_delay_alu instid0(VALU_DEP_1)
	v_and_or_b32 v5, 0x80, v2, v3
.LBB191_2036:
	s_or_b32 exec_lo, exec_lo, s10
.LBB191_2037:
	s_delay_alu instid0(SALU_CYCLE_1)
	s_or_b32 exec_lo, exec_lo, s8
	s_mov_b32 s8, 0
	global_store_b8 v[0:1], v5, off
.LBB191_2038:
	s_and_b32 vcc_lo, exec_lo, s8
	s_cbranch_vccz .LBB191_2048
; %bb.2039:
	s_wait_xcnt 0x0
	v_cvt_f32_f16_e32 v2, v4
	s_mov_b32 s8, exec_lo
                                        ; implicit-def: $vgpr3
	s_delay_alu instid0(VALU_DEP_1) | instskip(NEXT) | instid1(VALU_DEP_1)
	v_and_b32_e32 v5, 0x7fffffff, v2
	v_cmpx_gt_u32_e32 0x43f00000, v5
	s_xor_b32 s8, exec_lo, s8
	s_cbranch_execz .LBB191_2045
; %bb.2040:
	s_mov_b32 s9, exec_lo
                                        ; implicit-def: $vgpr3
	v_cmpx_lt_u32_e32 0x3c7fffff, v5
	s_xor_b32 s9, exec_lo, s9
; %bb.2041:
	v_bfe_u32 v3, v2, 20, 1
	s_delay_alu instid0(VALU_DEP_1) | instskip(NEXT) | instid1(VALU_DEP_1)
	v_add3_u32 v3, v2, v3, 0x407ffff
	v_and_b32_e32 v5, 0xff00000, v3
	v_lshrrev_b32_e32 v3, 20, v3
	s_delay_alu instid0(VALU_DEP_2) | instskip(NEXT) | instid1(VALU_DEP_2)
	v_cmp_ne_u32_e32 vcc_lo, 0x7f00000, v5
	v_cndmask_b32_e32 v3, 0x7e, v3, vcc_lo
; %bb.2042:
	s_and_not1_saveexec_b32 s9, s9
; %bb.2043:
	v_add_f32_e64 v3, 0x46800000, |v2|
; %bb.2044:
	s_or_b32 exec_lo, exec_lo, s9
                                        ; implicit-def: $vgpr5
.LBB191_2045:
	s_and_not1_saveexec_b32 s8, s8
; %bb.2046:
	v_mov_b32_e32 v3, 0x7f
	v_cmp_lt_u32_e32 vcc_lo, 0x7f800000, v5
	s_delay_alu instid0(VALU_DEP_2)
	v_cndmask_b32_e32 v3, 0x7e, v3, vcc_lo
; %bb.2047:
	s_or_b32 exec_lo, exec_lo, s8
	v_lshrrev_b32_e32 v2, 24, v2
	s_delay_alu instid0(VALU_DEP_1)
	v_and_or_b32 v2, 0x80, v2, v3
	global_store_b8 v[0:1], v2, off
.LBB191_2048:
	s_mov_b32 s8, 0
.LBB191_2049:
	s_delay_alu instid0(SALU_CYCLE_1)
	s_and_not1_b32 vcc_lo, exec_lo, s8
	s_cbranch_vccnz .LBB191_2059
; %bb.2050:
	s_wait_xcnt 0x0
	v_cvt_f32_f16_e32 v2, v4
	s_mov_b32 s8, exec_lo
                                        ; implicit-def: $vgpr3
	s_delay_alu instid0(VALU_DEP_1) | instskip(NEXT) | instid1(VALU_DEP_1)
	v_and_b32_e32 v5, 0x7fffffff, v2
	v_cmpx_gt_u32_e32 0x47800000, v5
	s_xor_b32 s8, exec_lo, s8
	s_cbranch_execz .LBB191_2056
; %bb.2051:
	s_mov_b32 s9, exec_lo
                                        ; implicit-def: $vgpr3
	v_cmpx_lt_u32_e32 0x387fffff, v5
	s_xor_b32 s9, exec_lo, s9
; %bb.2052:
	v_bfe_u32 v3, v2, 21, 1
	s_delay_alu instid0(VALU_DEP_1) | instskip(NEXT) | instid1(VALU_DEP_1)
	v_add3_u32 v3, v2, v3, 0x80fffff
	v_lshrrev_b32_e32 v3, 21, v3
; %bb.2053:
	s_and_not1_saveexec_b32 s9, s9
; %bb.2054:
	v_add_f32_e64 v3, 0x43000000, |v2|
; %bb.2055:
	s_or_b32 exec_lo, exec_lo, s9
                                        ; implicit-def: $vgpr5
.LBB191_2056:
	s_and_not1_saveexec_b32 s8, s8
; %bb.2057:
	v_mov_b32_e32 v3, 0x7f
	v_cmp_lt_u32_e32 vcc_lo, 0x7f800000, v5
	s_delay_alu instid0(VALU_DEP_2)
	v_cndmask_b32_e32 v3, 0x7c, v3, vcc_lo
; %bb.2058:
	s_or_b32 exec_lo, exec_lo, s8
	v_lshrrev_b32_e32 v2, 24, v2
	s_delay_alu instid0(VALU_DEP_1)
	v_and_or_b32 v2, 0x80, v2, v3
	global_store_b8 v[0:1], v2, off
.LBB191_2059:
	s_mov_b32 s8, 0
.LBB191_2060:
	s_delay_alu instid0(SALU_CYCLE_1)
	s_and_not1_b32 vcc_lo, exec_lo, s8
	s_mov_b32 s8, 0
	s_cbranch_vccnz .LBB191_2068
; %bb.2061:
	s_cmp_gt_i32 s4, 14
	s_mov_b32 s8, -1
	s_cbranch_scc0 .LBB191_2065
; %bb.2062:
	s_cmp_eq_u32 s4, 15
	s_mov_b32 s0, -1
	s_cbranch_scc0 .LBB191_2064
; %bb.2063:
	s_wait_xcnt 0x0
	v_cvt_f32_f16_e32 v2, v4
	v_cmp_o_f16_e32 vcc_lo, v4, v4
	s_mov_b32 s0, 0
	s_delay_alu instid0(VALU_DEP_2) | instskip(NEXT) | instid1(VALU_DEP_1)
	v_bfe_u32 v3, v2, 16, 1
	v_add3_u32 v2, v2, v3, 0x7fff
	s_delay_alu instid0(VALU_DEP_1) | instskip(NEXT) | instid1(VALU_DEP_1)
	v_lshrrev_b32_e32 v2, 16, v2
	v_cndmask_b32_e32 v2, 0x7fc0, v2, vcc_lo
	global_store_b16 v[0:1], v2, off
.LBB191_2064:
	s_mov_b32 s8, 0
.LBB191_2065:
	s_delay_alu instid0(SALU_CYCLE_1)
	s_and_b32 vcc_lo, exec_lo, s8
	s_mov_b32 s8, 0
	s_cbranch_vccz .LBB191_2068
; %bb.2066:
	s_cmp_lg_u32 s4, 11
	s_mov_b32 s8, -1
	s_cselect_b32 s4, -1, 0
	s_and_not1_b32 s0, s0, exec_lo
	s_and_b32 s4, s4, exec_lo
	s_delay_alu instid0(SALU_CYCLE_1)
	s_or_b32 s0, s0, s4
	s_branch .LBB191_2068
.LBB191_2067:
	s_mov_b32 s8, 0
.LBB191_2068:
	s_and_b32 s9, s5, exec_lo
	s_and_not1_b32 s4, s44, exec_lo
	s_and_b32 s5, s0, exec_lo
	s_and_b32 s0, s8, exec_lo
	s_or_b32 s44, s4, s5
	s_wait_xcnt 0x0
	s_or_b32 exec_lo, exec_lo, s7
	s_and_saveexec_b32 s4, s44
	s_cbranch_execz .LBB191_1997
.LBB191_2069:
	s_or_b32 s1, s1, exec_lo
	s_and_not1_b32 s0, s0, exec_lo
	s_trap 2
	s_or_b32 exec_lo, exec_lo, s4
	s_and_saveexec_b32 s4, s0
	s_delay_alu instid0(SALU_CYCLE_1)
	s_xor_b32 s0, exec_lo, s4
	s_cbranch_execnz .LBB191_1998
.LBB191_2070:
	s_or_b32 exec_lo, exec_lo, s0
	s_and_saveexec_b32 s0, s9
	s_delay_alu instid0(SALU_CYCLE_1)
	s_xor_b32 s0, exec_lo, s0
	s_cbranch_execz .LBB191_2108
.LBB191_2071:
	s_sext_i32_i16 s5, s6
	s_mov_b32 s4, -1
	s_cmp_lt_i32 s5, 5
	s_cbranch_scc1 .LBB191_2092
; %bb.2072:
	s_cmp_lt_i32 s5, 8
	s_cbranch_scc1 .LBB191_2082
; %bb.2073:
	;; [unrolled: 3-line block ×3, first 2 shown]
	s_cmp_gt_i32 s5, 9
	s_cbranch_scc0 .LBB191_2076
; %bb.2075:
	v_cvt_f32_f16_e32 v2, v4
	v_mov_b32_e32 v8, 0
	s_mov_b32 s4, 0
	s_wait_loadcnt 0x0
	s_delay_alu instid0(VALU_DEP_2) | instskip(NEXT) | instid1(VALU_DEP_2)
	v_cvt_f64_f32_e32 v[6:7], v2
	v_mov_b32_e32 v9, v8
	global_store_b128 v[0:1], v[6:9], off
.LBB191_2076:
	s_and_not1_b32 vcc_lo, exec_lo, s4
	s_cbranch_vccnz .LBB191_2078
; %bb.2077:
	v_cvt_f32_f16_e32 v2, v4
	s_wait_loadcnt 0x0
	v_mov_b32_e32 v3, 0
	global_store_b64 v[0:1], v[2:3], off
.LBB191_2078:
	s_mov_b32 s4, 0
.LBB191_2079:
	s_delay_alu instid0(SALU_CYCLE_1)
	s_and_not1_b32 vcc_lo, exec_lo, s4
	s_cbranch_vccnz .LBB191_2081
; %bb.2080:
	s_wait_xcnt 0x0
	v_and_b32_e32 v2, 0xffff, v4
	s_wait_loadcnt 0x0
	global_store_b32 v[0:1], v2, off
.LBB191_2081:
	s_mov_b32 s4, 0
.LBB191_2082:
	s_delay_alu instid0(SALU_CYCLE_1)
	s_and_not1_b32 vcc_lo, exec_lo, s4
	s_cbranch_vccnz .LBB191_2091
; %bb.2083:
	s_sext_i32_i16 s5, s6
	s_mov_b32 s4, -1
	s_cmp_lt_i32 s5, 6
	s_cbranch_scc1 .LBB191_2089
; %bb.2084:
	s_cmp_gt_i32 s5, 6
	s_cbranch_scc0 .LBB191_2086
; %bb.2085:
	s_wait_xcnt 0x0
	v_cvt_f32_f16_e32 v2, v4
	s_mov_b32 s4, 0
	s_wait_loadcnt 0x0
	s_delay_alu instid0(VALU_DEP_1)
	v_cvt_f64_f32_e32 v[2:3], v2
	global_store_b64 v[0:1], v[2:3], off
.LBB191_2086:
	s_and_not1_b32 vcc_lo, exec_lo, s4
	s_cbranch_vccnz .LBB191_2088
; %bb.2087:
	s_wait_xcnt 0x0
	v_cvt_f32_f16_e32 v2, v4
	s_wait_loadcnt 0x0
	global_store_b32 v[0:1], v2, off
.LBB191_2088:
	s_mov_b32 s4, 0
.LBB191_2089:
	s_delay_alu instid0(SALU_CYCLE_1)
	s_and_not1_b32 vcc_lo, exec_lo, s4
	s_cbranch_vccnz .LBB191_2091
; %bb.2090:
	s_wait_loadcnt 0x0
	global_store_b16 v[0:1], v4, off
.LBB191_2091:
	s_mov_b32 s4, 0
.LBB191_2092:
	s_delay_alu instid0(SALU_CYCLE_1)
	s_and_not1_b32 vcc_lo, exec_lo, s4
	s_cbranch_vccnz .LBB191_2108
; %bb.2093:
	s_sext_i32_i16 s5, s6
	s_mov_b32 s4, -1
	s_cmp_lt_i32 s5, 2
	s_cbranch_scc1 .LBB191_2103
; %bb.2094:
	s_cmp_lt_i32 s5, 3
	s_cbranch_scc1 .LBB191_2100
; %bb.2095:
	s_cmp_gt_i32 s5, 3
	s_cbranch_scc0 .LBB191_2097
; %bb.2096:
	s_wait_xcnt 0x0
	v_cvt_f32_f16_e32 v2, v4
	s_mov_b32 s4, 0
	s_delay_alu instid0(VALU_DEP_1) | instskip(SKIP_1) | instid1(VALU_DEP_1)
	v_cvt_i32_f32_e32 v2, v2
	s_wait_loadcnt 0x0
	v_ashrrev_i32_e32 v3, 31, v2
	global_store_b64 v[0:1], v[2:3], off
.LBB191_2097:
	s_and_not1_b32 vcc_lo, exec_lo, s4
	s_cbranch_vccnz .LBB191_2099
; %bb.2098:
	s_wait_xcnt 0x0
	v_cvt_f32_f16_e32 v2, v4
	s_delay_alu instid0(VALU_DEP_1)
	v_cvt_i32_f32_e32 v2, v2
	s_wait_loadcnt 0x0
	global_store_b32 v[0:1], v2, off
.LBB191_2099:
	s_mov_b32 s4, 0
.LBB191_2100:
	s_delay_alu instid0(SALU_CYCLE_1)
	s_and_not1_b32 vcc_lo, exec_lo, s4
	s_cbranch_vccnz .LBB191_2102
; %bb.2101:
	s_wait_xcnt 0x0
	v_cvt_i16_f16_e32 v2, v4
	s_wait_loadcnt 0x0
	global_store_b16 v[0:1], v2, off
.LBB191_2102:
	s_mov_b32 s4, 0
.LBB191_2103:
	s_delay_alu instid0(SALU_CYCLE_1)
	s_and_not1_b32 vcc_lo, exec_lo, s4
	s_cbranch_vccnz .LBB191_2108
; %bb.2104:
	s_sext_i32_i16 s4, s6
	s_delay_alu instid0(SALU_CYCLE_1)
	s_cmp_gt_i32 s4, 0
	s_mov_b32 s4, -1
	s_cbranch_scc0 .LBB191_2106
; %bb.2105:
	s_wait_xcnt 0x0
	v_cvt_i16_f16_e32 v2, v4
	s_mov_b32 s4, 0
	s_wait_loadcnt 0x0
	global_store_b8 v[0:1], v2, off
.LBB191_2106:
	s_and_not1_b32 vcc_lo, exec_lo, s4
	s_cbranch_vccnz .LBB191_2108
; %bb.2107:
	s_wait_xcnt 0x0
	v_cvt_f32_f16_e32 v2, v4
	s_delay_alu instid0(VALU_DEP_1)
	v_cvt_i32_f32_e32 v2, v2
	s_wait_loadcnt 0x0
	global_store_b8 v[0:1], v2, off
.LBB191_2108:
	s_wait_xcnt 0x0
	s_or_b32 exec_lo, exec_lo, s0
	s_delay_alu instid0(SALU_CYCLE_1)
	s_and_b32 s10, s1, exec_lo
                                        ; implicit-def: $vgpr1
                                        ; implicit-def: $vgpr0
.LBB191_2109:
	s_or_saveexec_b32 s11, s39
	s_mov_b32 s0, 0
                                        ; implicit-def: $vgpr2_vgpr3
                                        ; implicit-def: $sgpr1
                                        ; implicit-def: $vgpr4
	s_xor_b32 exec_lo, exec_lo, s11
	s_cbranch_execz .LBB191_4157
; %bb.2110:
	s_wait_loadcnt 0x0
	v_cndmask_b32_e64 v3, 0, 1, s38
	s_and_not1_b32 vcc_lo, exec_lo, s38
	s_cbranch_vccnz .LBB191_2116
; %bb.2111:
	s_cmp_lg_u32 s33, 0
	s_mov_b32 s6, 0
	s_cbranch_scc0 .LBB191_2120
; %bb.2112:
	s_min_u32 s7, s36, 15
	v_dual_mov_b32 v28, 0 :: v_dual_mov_b32 v2, v0
	v_dual_mov_b32 v26, 0 :: v_dual_mov_b32 v6, 0
	v_mov_b32_e32 v30, 0
	s_add_co_i32 s4, s7, 1
	s_mov_b64 s[0:1], 0xffffffffffffffe0
	s_and_b32 s8, s4, 30
	s_add_nc_u64 s[0:1], s[2:3], s[0:1]
	s_mov_b64 s[4:5], s[2:3]
.LBB191_2113:                           ; =>This Inner Loop Header: Depth=1
	s_clause 0x1
	s_load_b128 s[20:23], s[4:5], 0x4
	s_load_b64 s[24:25], s[4:5], 0x14
	s_load_b256 s[12:19], s[0:1], 0xe4
	s_add_co_i32 s8, s8, -2
	s_wait_xcnt 0x0
	s_add_nc_u64 s[4:5], s[4:5], 24
	s_cmp_lg_u32 s8, 0
	s_add_nc_u64 s[0:1], s[0:1], 32
	s_wait_kmcnt 0x0
	v_mul_hi_u32 v4, s21, v2
	s_delay_alu instid0(VALU_DEP_1) | instskip(NEXT) | instid1(VALU_DEP_1)
	v_add_nc_u32_e32 v4, v2, v4
	v_lshrrev_b32_e32 v4, s22, v4
	s_delay_alu instid0(VALU_DEP_1) | instskip(SKIP_1) | instid1(VALU_DEP_1)
	v_mul_hi_u32 v5, s24, v4
	v_mul_lo_u32 v7, v4, s20
	v_dual_add_nc_u32 v5, v4, v5 :: v_dual_sub_nc_u32 v7, v2, v7
	s_delay_alu instid0(VALU_DEP_1) | instskip(NEXT) | instid1(VALU_DEP_2)
	v_lshrrev_b32_e32 v2, s25, v5
	v_mad_u32 v8, v7, s13, v30
	v_mad_u32 v6, v7, s12, v6
	;; [unrolled: 1-line block ×4, first 2 shown]
	v_mul_lo_u32 v5, v2, s23
	s_delay_alu instid0(VALU_DEP_1) | instskip(NEXT) | instid1(VALU_DEP_1)
	v_sub_nc_u32_e32 v4, v4, v5
	v_mad_u32 v30, v4, s17, v8
	v_mad_u32 v6, v4, s16, v6
	;; [unrolled: 1-line block ×4, first 2 shown]
	s_cbranch_scc1 .LBB191_2113
; %bb.2114:
	s_bitcmp1_b32 s7, 0
	s_cselect_b32 s7, -1, 0
	s_delay_alu instid0(SALU_CYCLE_1)
	s_and_b32 vcc_lo, exec_lo, s7
	s_cbranch_vccnz .LBB191_2117
; %bb.2115:
	s_load_b96 s[16:18], s[4:5], 0x4
	s_load_b128 s[12:15], s[0:1], 0xe4
	s_wait_kmcnt 0x0
	v_mul_hi_u32 v4, s17, v2
	s_delay_alu instid0(VALU_DEP_1) | instskip(NEXT) | instid1(VALU_DEP_1)
	v_add_nc_u32_e32 v4, v2, v4
	v_lshrrev_b32_e32 v4, s18, v4
	s_delay_alu instid0(VALU_DEP_1) | instskip(NEXT) | instid1(VALU_DEP_1)
	v_mul_lo_u32 v4, v4, s16
	v_sub_nc_u32_e32 v2, v2, v4
	s_delay_alu instid0(VALU_DEP_1)
	v_mad_u32 v6, v2, s12, v6
	v_mad_u32 v30, v2, s13, v30
	;; [unrolled: 1-line block ×4, first 2 shown]
	s_and_not1_b32 vcc_lo, exec_lo, s6
	s_cbranch_vccz .LBB191_2118
	s_branch .LBB191_2121
.LBB191_2116:
	s_mov_b32 s6, -1
                                        ; implicit-def: $vgpr30
                                        ; implicit-def: $vgpr6
                                        ; implicit-def: $vgpr26
                                        ; implicit-def: $vgpr28
.LBB191_2117:
	s_delay_alu instid0(SALU_CYCLE_1)
	s_and_not1_b32 vcc_lo, exec_lo, s6
	s_cbranch_vccnz .LBB191_2121
.LBB191_2118:
	s_clause 0x1
	s_load_b96 s[12:14], s[2:3], 0x4
	s_load_b128 s[4:7], s[2:3], 0xc4
	s_cmp_lt_u32 s33, 2
	s_wait_kmcnt 0x0
	v_mul_hi_u32 v2, s13, v0
	s_delay_alu instid0(VALU_DEP_1) | instskip(NEXT) | instid1(VALU_DEP_1)
	v_add_nc_u32_e32 v2, v0, v2
	v_lshrrev_b32_e32 v2, s14, v2
	s_delay_alu instid0(VALU_DEP_1) | instskip(NEXT) | instid1(VALU_DEP_1)
	v_mul_lo_u32 v4, v2, s12
	v_sub_nc_u32_e32 v4, v0, v4
	s_delay_alu instid0(VALU_DEP_1)
	v_mul_lo_u32 v30, v4, s5
	v_mul_lo_u32 v6, v4, s4
	;; [unrolled: 1-line block ×4, first 2 shown]
	s_cbranch_scc1 .LBB191_2121
; %bb.2119:
	s_clause 0x1
	s_load_b96 s[12:14], s[2:3], 0x10
	s_load_b128 s[4:7], s[2:3], 0xd4
	s_wait_kmcnt 0x0
	v_mul_hi_u32 v4, s13, v2
	s_delay_alu instid0(VALU_DEP_1) | instskip(NEXT) | instid1(VALU_DEP_1)
	v_add_nc_u32_e32 v4, v2, v4
	v_lshrrev_b32_e32 v4, s14, v4
	s_delay_alu instid0(VALU_DEP_1) | instskip(NEXT) | instid1(VALU_DEP_1)
	v_mul_lo_u32 v4, v4, s12
	v_sub_nc_u32_e32 v2, v2, v4
	s_delay_alu instid0(VALU_DEP_1)
	v_mad_u32 v6, v2, s4, v6
	v_mad_u32 v30, v2, s5, v30
	;; [unrolled: 1-line block ×4, first 2 shown]
	s_branch .LBB191_2121
.LBB191_2120:
	v_dual_mov_b32 v30, 0 :: v_dual_mov_b32 v6, 0
	v_dual_mov_b32 v26, 0 :: v_dual_mov_b32 v28, 0
	s_and_not1_b32 vcc_lo, exec_lo, s6
	s_cbranch_vccz .LBB191_2118
.LBB191_2121:
	v_cmp_ne_u32_e32 vcc_lo, 1, v3
	v_add_nc_u32_e32 v2, 0x80, v0
	s_cbranch_vccnz .LBB191_2127
; %bb.2122:
	s_cmp_lg_u32 s33, 0
	s_mov_b32 s6, 0
	s_cbranch_scc0 .LBB191_2131
; %bb.2123:
	s_min_u32 s7, s36, 15
	v_dual_mov_b32 v22, 0 :: v_dual_mov_b32 v5, v2
	v_dual_mov_b32 v20, 0 :: v_dual_mov_b32 v4, 0
	v_mov_b32_e32 v24, 0
	s_add_co_i32 s4, s7, 1
	s_mov_b64 s[0:1], 0xffffffffffffffe0
	s_and_b32 s8, s4, 30
	s_add_nc_u64 s[0:1], s[2:3], s[0:1]
	s_mov_b64 s[4:5], s[2:3]
.LBB191_2124:                           ; =>This Inner Loop Header: Depth=1
	s_clause 0x1
	s_load_b128 s[20:23], s[4:5], 0x4
	s_load_b64 s[24:25], s[4:5], 0x14
	s_load_b256 s[12:19], s[0:1], 0xe4
	s_add_co_i32 s8, s8, -2
	s_wait_xcnt 0x0
	s_add_nc_u64 s[4:5], s[4:5], 24
	s_cmp_lg_u32 s8, 0
	s_add_nc_u64 s[0:1], s[0:1], 32
	s_wait_kmcnt 0x0
	v_mul_hi_u32 v7, s21, v5
	s_delay_alu instid0(VALU_DEP_1) | instskip(NEXT) | instid1(VALU_DEP_1)
	v_add_nc_u32_e32 v7, v5, v7
	v_lshrrev_b32_e32 v7, s22, v7
	s_delay_alu instid0(VALU_DEP_1) | instskip(SKIP_1) | instid1(VALU_DEP_1)
	v_mul_hi_u32 v8, s24, v7
	v_mul_lo_u32 v9, v7, s20
	v_dual_add_nc_u32 v8, v7, v8 :: v_dual_sub_nc_u32 v9, v5, v9
	s_delay_alu instid0(VALU_DEP_1) | instskip(NEXT) | instid1(VALU_DEP_2)
	v_lshrrev_b32_e32 v5, s25, v8
	v_mad_u32 v10, v9, s13, v24
	v_mad_u32 v4, v9, s12, v4
	;; [unrolled: 1-line block ×4, first 2 shown]
	v_mul_lo_u32 v8, v5, s23
	s_delay_alu instid0(VALU_DEP_1) | instskip(NEXT) | instid1(VALU_DEP_1)
	v_sub_nc_u32_e32 v7, v7, v8
	v_mad_u32 v24, v7, s17, v10
	v_mad_u32 v4, v7, s16, v4
	;; [unrolled: 1-line block ×4, first 2 shown]
	s_cbranch_scc1 .LBB191_2124
; %bb.2125:
	s_bitcmp1_b32 s7, 0
	s_cselect_b32 s7, -1, 0
	s_delay_alu instid0(SALU_CYCLE_1)
	s_and_b32 vcc_lo, exec_lo, s7
	s_cbranch_vccnz .LBB191_2128
; %bb.2126:
	s_load_b96 s[16:18], s[4:5], 0x4
	s_load_b128 s[12:15], s[0:1], 0xe4
	s_wait_kmcnt 0x0
	v_mul_hi_u32 v7, s17, v5
	s_delay_alu instid0(VALU_DEP_1) | instskip(NEXT) | instid1(VALU_DEP_1)
	v_add_nc_u32_e32 v7, v5, v7
	v_lshrrev_b32_e32 v7, s18, v7
	s_delay_alu instid0(VALU_DEP_1) | instskip(NEXT) | instid1(VALU_DEP_1)
	v_mul_lo_u32 v7, v7, s16
	v_sub_nc_u32_e32 v5, v5, v7
	s_delay_alu instid0(VALU_DEP_1)
	v_mad_u32 v4, v5, s12, v4
	v_mad_u32 v24, v5, s13, v24
	;; [unrolled: 1-line block ×4, first 2 shown]
	s_and_not1_b32 vcc_lo, exec_lo, s6
	s_cbranch_vccz .LBB191_2129
	s_branch .LBB191_2132
.LBB191_2127:
	s_mov_b32 s6, -1
                                        ; implicit-def: $vgpr24
                                        ; implicit-def: $vgpr4
                                        ; implicit-def: $vgpr20
                                        ; implicit-def: $vgpr22
.LBB191_2128:
	s_delay_alu instid0(SALU_CYCLE_1)
	s_and_not1_b32 vcc_lo, exec_lo, s6
	s_cbranch_vccnz .LBB191_2132
.LBB191_2129:
	s_clause 0x1
	s_load_b96 s[12:14], s[2:3], 0x4
	s_load_b128 s[4:7], s[2:3], 0xc4
	s_cmp_lt_u32 s33, 2
	s_wait_kmcnt 0x0
	v_mul_hi_u32 v4, s13, v2
	s_delay_alu instid0(VALU_DEP_1) | instskip(NEXT) | instid1(VALU_DEP_1)
	v_add_nc_u32_e32 v4, v2, v4
	v_lshrrev_b32_e32 v5, s14, v4
	s_delay_alu instid0(VALU_DEP_1) | instskip(NEXT) | instid1(VALU_DEP_1)
	v_mul_lo_u32 v4, v5, s12
	v_sub_nc_u32_e32 v2, v2, v4
	s_delay_alu instid0(VALU_DEP_1)
	v_mul_lo_u32 v24, v2, s5
	v_mul_lo_u32 v4, v2, s4
	;; [unrolled: 1-line block ×4, first 2 shown]
	s_cbranch_scc1 .LBB191_2132
; %bb.2130:
	s_clause 0x1
	s_load_b96 s[12:14], s[2:3], 0x10
	s_load_b128 s[4:7], s[2:3], 0xd4
	s_wait_kmcnt 0x0
	v_mul_hi_u32 v2, s13, v5
	s_delay_alu instid0(VALU_DEP_1) | instskip(NEXT) | instid1(VALU_DEP_1)
	v_add_nc_u32_e32 v2, v5, v2
	v_lshrrev_b32_e32 v2, s14, v2
	s_delay_alu instid0(VALU_DEP_1) | instskip(NEXT) | instid1(VALU_DEP_1)
	v_mul_lo_u32 v2, v2, s12
	v_sub_nc_u32_e32 v2, v5, v2
	s_delay_alu instid0(VALU_DEP_1)
	v_mad_u32 v4, v2, s4, v4
	v_mad_u32 v24, v2, s5, v24
	;; [unrolled: 1-line block ×4, first 2 shown]
	s_branch .LBB191_2132
.LBB191_2131:
	v_dual_mov_b32 v24, 0 :: v_dual_mov_b32 v4, 0
	v_dual_mov_b32 v20, 0 :: v_dual_mov_b32 v22, 0
	s_and_not1_b32 vcc_lo, exec_lo, s6
	s_cbranch_vccz .LBB191_2129
.LBB191_2132:
	v_cmp_ne_u32_e32 vcc_lo, 1, v3
	v_add_nc_u32_e32 v0, 0x100, v0
	s_cbranch_vccnz .LBB191_2138
; %bb.2133:
	s_cmp_lg_u32 s33, 0
	s_mov_b32 s6, 0
	s_cbranch_scc0 .LBB191_2142
; %bb.2134:
	s_min_u32 s7, s36, 15
	v_dual_mov_b32 v16, 0 :: v_dual_mov_b32 v5, v0
	v_dual_mov_b32 v14, 0 :: v_dual_mov_b32 v2, 0
	v_mov_b32_e32 v18, 0
	s_add_co_i32 s4, s7, 1
	s_mov_b64 s[0:1], 0xffffffffffffffe0
	s_and_b32 s8, s4, 30
	s_add_nc_u64 s[0:1], s[2:3], s[0:1]
	s_mov_b64 s[4:5], s[2:3]
.LBB191_2135:                           ; =>This Inner Loop Header: Depth=1
	s_clause 0x1
	s_load_b128 s[20:23], s[4:5], 0x4
	s_load_b64 s[24:25], s[4:5], 0x14
	s_load_b256 s[12:19], s[0:1], 0xe4
	s_add_co_i32 s8, s8, -2
	s_wait_xcnt 0x0
	s_add_nc_u64 s[4:5], s[4:5], 24
	s_cmp_lg_u32 s8, 0
	s_add_nc_u64 s[0:1], s[0:1], 32
	s_wait_kmcnt 0x0
	v_mul_hi_u32 v7, s21, v5
	s_delay_alu instid0(VALU_DEP_1) | instskip(NEXT) | instid1(VALU_DEP_1)
	v_add_nc_u32_e32 v7, v5, v7
	v_lshrrev_b32_e32 v7, s22, v7
	s_delay_alu instid0(VALU_DEP_1) | instskip(SKIP_1) | instid1(VALU_DEP_1)
	v_mul_hi_u32 v8, s24, v7
	v_mul_lo_u32 v9, v7, s20
	v_dual_add_nc_u32 v8, v7, v8 :: v_dual_sub_nc_u32 v9, v5, v9
	s_delay_alu instid0(VALU_DEP_1) | instskip(NEXT) | instid1(VALU_DEP_2)
	v_lshrrev_b32_e32 v5, s25, v8
	v_mad_u32 v10, v9, s13, v18
	v_mad_u32 v2, v9, s12, v2
	;; [unrolled: 1-line block ×4, first 2 shown]
	v_mul_lo_u32 v8, v5, s23
	s_delay_alu instid0(VALU_DEP_1) | instskip(NEXT) | instid1(VALU_DEP_1)
	v_sub_nc_u32_e32 v7, v7, v8
	v_mad_u32 v18, v7, s17, v10
	v_mad_u32 v2, v7, s16, v2
	;; [unrolled: 1-line block ×4, first 2 shown]
	s_cbranch_scc1 .LBB191_2135
; %bb.2136:
	s_bitcmp1_b32 s7, 0
	s_cselect_b32 s7, -1, 0
	s_delay_alu instid0(SALU_CYCLE_1)
	s_and_b32 vcc_lo, exec_lo, s7
	s_cbranch_vccnz .LBB191_2139
; %bb.2137:
	s_load_b96 s[16:18], s[4:5], 0x4
	s_load_b128 s[12:15], s[0:1], 0xe4
	s_wait_kmcnt 0x0
	v_mul_hi_u32 v7, s17, v5
	s_delay_alu instid0(VALU_DEP_1) | instskip(NEXT) | instid1(VALU_DEP_1)
	v_add_nc_u32_e32 v7, v5, v7
	v_lshrrev_b32_e32 v7, s18, v7
	s_delay_alu instid0(VALU_DEP_1) | instskip(NEXT) | instid1(VALU_DEP_1)
	v_mul_lo_u32 v7, v7, s16
	v_sub_nc_u32_e32 v5, v5, v7
	s_delay_alu instid0(VALU_DEP_1)
	v_mad_u32 v2, v5, s12, v2
	v_mad_u32 v18, v5, s13, v18
	;; [unrolled: 1-line block ×4, first 2 shown]
	s_and_not1_b32 vcc_lo, exec_lo, s6
	s_cbranch_vccz .LBB191_2140
	s_branch .LBB191_2143
.LBB191_2138:
	s_mov_b32 s6, -1
                                        ; implicit-def: $vgpr18
                                        ; implicit-def: $vgpr2
                                        ; implicit-def: $vgpr14
                                        ; implicit-def: $vgpr16
.LBB191_2139:
	s_delay_alu instid0(SALU_CYCLE_1)
	s_and_not1_b32 vcc_lo, exec_lo, s6
	s_cbranch_vccnz .LBB191_2143
.LBB191_2140:
	s_clause 0x1
	s_load_b96 s[12:14], s[2:3], 0x4
	s_load_b128 s[4:7], s[2:3], 0xc4
	s_cmp_lt_u32 s33, 2
	s_wait_kmcnt 0x0
	v_mul_hi_u32 v2, s13, v0
	s_delay_alu instid0(VALU_DEP_1) | instskip(NEXT) | instid1(VALU_DEP_1)
	v_add_nc_u32_e32 v2, v0, v2
	v_lshrrev_b32_e32 v5, s14, v2
	s_delay_alu instid0(VALU_DEP_1) | instskip(NEXT) | instid1(VALU_DEP_1)
	v_mul_lo_u32 v2, v5, s12
	v_sub_nc_u32_e32 v0, v0, v2
	s_delay_alu instid0(VALU_DEP_1)
	v_mul_lo_u32 v18, v0, s5
	v_mul_lo_u32 v2, v0, s4
	;; [unrolled: 1-line block ×4, first 2 shown]
	s_cbranch_scc1 .LBB191_2143
; %bb.2141:
	s_clause 0x1
	s_load_b96 s[12:14], s[2:3], 0x10
	s_load_b128 s[4:7], s[2:3], 0xd4
	s_wait_kmcnt 0x0
	v_mul_hi_u32 v0, s13, v5
	s_delay_alu instid0(VALU_DEP_1) | instskip(NEXT) | instid1(VALU_DEP_1)
	v_add_nc_u32_e32 v0, v5, v0
	v_lshrrev_b32_e32 v0, s14, v0
	s_delay_alu instid0(VALU_DEP_1) | instskip(NEXT) | instid1(VALU_DEP_1)
	v_mul_lo_u32 v0, v0, s12
	v_sub_nc_u32_e32 v0, v5, v0
	s_delay_alu instid0(VALU_DEP_1)
	v_mad_u32 v2, v0, s4, v2
	v_mad_u32 v18, v0, s5, v18
	;; [unrolled: 1-line block ×4, first 2 shown]
	s_branch .LBB191_2143
.LBB191_2142:
	v_dual_mov_b32 v18, 0 :: v_dual_mov_b32 v2, 0
	v_dual_mov_b32 v14, 0 :: v_dual_mov_b32 v16, 0
	s_and_not1_b32 vcc_lo, exec_lo, s6
	s_cbranch_vccz .LBB191_2140
.LBB191_2143:
	v_cmp_ne_u32_e32 vcc_lo, 1, v3
	s_cbranch_vccnz .LBB191_2149
; %bb.2144:
	s_cmp_lg_u32 s33, 0
	s_mov_b32 s6, 0
	s_cbranch_scc0 .LBB191_2153
; %bb.2145:
	s_min_u32 s7, s36, 15
	v_dual_mov_b32 v10, 0 :: v_dual_mov_b32 v3, v1
	v_dual_mov_b32 v8, 0 :: v_dual_mov_b32 v0, 0
	v_mov_b32_e32 v12, 0
	s_add_co_i32 s4, s7, 1
	s_mov_b64 s[0:1], 0xffffffffffffffe0
	s_and_b32 s8, s4, 30
	s_add_nc_u64 s[0:1], s[2:3], s[0:1]
	s_mov_b64 s[4:5], s[2:3]
.LBB191_2146:                           ; =>This Inner Loop Header: Depth=1
	s_clause 0x1
	s_load_b128 s[20:23], s[4:5], 0x4
	s_load_b64 s[24:25], s[4:5], 0x14
	s_load_b256 s[12:19], s[0:1], 0xe4
	s_add_co_i32 s8, s8, -2
	s_wait_xcnt 0x0
	s_add_nc_u64 s[4:5], s[4:5], 24
	s_cmp_lg_u32 s8, 0
	s_add_nc_u64 s[0:1], s[0:1], 32
	s_wait_kmcnt 0x0
	v_mul_hi_u32 v5, s21, v3
	s_delay_alu instid0(VALU_DEP_1) | instskip(NEXT) | instid1(VALU_DEP_1)
	v_add_nc_u32_e32 v5, v3, v5
	v_lshrrev_b32_e32 v5, s22, v5
	s_delay_alu instid0(VALU_DEP_1) | instskip(SKIP_1) | instid1(VALU_DEP_1)
	v_mul_hi_u32 v7, s24, v5
	v_mul_lo_u32 v9, v5, s20
	v_dual_add_nc_u32 v7, v5, v7 :: v_dual_sub_nc_u32 v9, v3, v9
	s_delay_alu instid0(VALU_DEP_1) | instskip(NEXT) | instid1(VALU_DEP_2)
	v_lshrrev_b32_e32 v3, s25, v7
	v_mad_u32 v11, v9, s13, v12
	v_mad_u32 v0, v9, s12, v0
	;; [unrolled: 1-line block ×4, first 2 shown]
	v_mul_lo_u32 v7, v3, s23
	s_delay_alu instid0(VALU_DEP_1) | instskip(NEXT) | instid1(VALU_DEP_1)
	v_sub_nc_u32_e32 v5, v5, v7
	v_mad_u32 v12, v5, s17, v11
	v_mad_u32 v0, v5, s16, v0
	;; [unrolled: 1-line block ×4, first 2 shown]
	s_cbranch_scc1 .LBB191_2146
; %bb.2147:
	s_bitcmp1_b32 s7, 0
	s_cselect_b32 s7, -1, 0
	s_delay_alu instid0(SALU_CYCLE_1)
	s_and_b32 vcc_lo, exec_lo, s7
	s_cbranch_vccnz .LBB191_2150
; %bb.2148:
	s_load_b96 s[16:18], s[4:5], 0x4
	s_load_b128 s[12:15], s[0:1], 0xe4
	s_wait_kmcnt 0x0
	v_mul_hi_u32 v5, s17, v3
	s_delay_alu instid0(VALU_DEP_1) | instskip(NEXT) | instid1(VALU_DEP_1)
	v_add_nc_u32_e32 v5, v3, v5
	v_lshrrev_b32_e32 v5, s18, v5
	s_delay_alu instid0(VALU_DEP_1) | instskip(NEXT) | instid1(VALU_DEP_1)
	v_mul_lo_u32 v5, v5, s16
	v_sub_nc_u32_e32 v3, v3, v5
	s_delay_alu instid0(VALU_DEP_1)
	v_mad_u32 v0, v3, s12, v0
	v_mad_u32 v12, v3, s13, v12
	;; [unrolled: 1-line block ×4, first 2 shown]
	s_and_not1_b32 vcc_lo, exec_lo, s6
	s_cbranch_vccz .LBB191_2151
	s_branch .LBB191_2154
.LBB191_2149:
	s_mov_b32 s6, -1
                                        ; implicit-def: $vgpr12
                                        ; implicit-def: $vgpr0
                                        ; implicit-def: $vgpr8
                                        ; implicit-def: $vgpr10
.LBB191_2150:
	s_delay_alu instid0(SALU_CYCLE_1)
	s_and_not1_b32 vcc_lo, exec_lo, s6
	s_cbranch_vccnz .LBB191_2154
.LBB191_2151:
	s_clause 0x1
	s_load_b96 s[12:14], s[2:3], 0x4
	s_load_b128 s[4:7], s[2:3], 0xc4
	s_cmp_lt_u32 s33, 2
	s_wait_kmcnt 0x0
	v_mul_hi_u32 v0, s13, v1
	s_delay_alu instid0(VALU_DEP_1) | instskip(NEXT) | instid1(VALU_DEP_1)
	v_add_nc_u32_e32 v0, v1, v0
	v_lshrrev_b32_e32 v3, s14, v0
	s_delay_alu instid0(VALU_DEP_1) | instskip(NEXT) | instid1(VALU_DEP_1)
	v_mul_lo_u32 v0, v3, s12
	v_sub_nc_u32_e32 v1, v1, v0
	s_delay_alu instid0(VALU_DEP_1)
	v_mul_lo_u32 v12, v1, s5
	v_mul_lo_u32 v0, v1, s4
	;; [unrolled: 1-line block ×4, first 2 shown]
	s_cbranch_scc1 .LBB191_2154
; %bb.2152:
	s_clause 0x1
	s_load_b96 s[12:14], s[2:3], 0x10
	s_load_b128 s[4:7], s[2:3], 0xd4
	s_wait_kmcnt 0x0
	v_mul_hi_u32 v1, s13, v3
	s_delay_alu instid0(VALU_DEP_1) | instskip(NEXT) | instid1(VALU_DEP_1)
	v_add_nc_u32_e32 v1, v3, v1
	v_lshrrev_b32_e32 v1, s14, v1
	s_delay_alu instid0(VALU_DEP_1) | instskip(NEXT) | instid1(VALU_DEP_1)
	v_mul_lo_u32 v1, v1, s12
	v_sub_nc_u32_e32 v1, v3, v1
	s_delay_alu instid0(VALU_DEP_1)
	v_mad_u32 v0, v1, s4, v0
	v_mad_u32 v12, v1, s5, v12
	;; [unrolled: 1-line block ×4, first 2 shown]
	s_branch .LBB191_2154
.LBB191_2153:
	v_dual_mov_b32 v12, 0 :: v_dual_mov_b32 v0, 0
	v_dual_mov_b32 v8, 0 :: v_dual_mov_b32 v10, 0
	s_and_not1_b32 vcc_lo, exec_lo, s6
	s_cbranch_vccz .LBB191_2151
.LBB191_2154:
	v_mov_b32_e32 v31, 0
	s_load_b128 s[4:7], s[2:3], 0x1c8
	global_load_u8 v1, v31, s[2:3] offset:493
	s_wait_kmcnt 0x0
	v_add_nc_u64_e32 v[30:31], s[6:7], v[30:31]
	s_wait_loadcnt 0x0
	v_and_b32_e32 v3, 0xffff, v1
	v_readfirstlane_b32 s13, v1
	s_delay_alu instid0(VALU_DEP_2)
	v_cmp_gt_i32_e32 vcc_lo, 11, v3
	s_cbranch_vccnz .LBB191_2161
; %bb.2155:
	s_and_b32 s0, 0xffff, s13
	s_mov_b32 s8, 0
	s_cmp_gt_i32 s0, 25
	s_cbranch_scc0 .LBB191_2163
; %bb.2156:
	s_cmp_gt_i32 s0, 28
	s_cbranch_scc0 .LBB191_2164
; %bb.2157:
	;; [unrolled: 3-line block ×4, first 2 shown]
	s_cmp_eq_u32 s0, 46
	s_mov_b32 s12, 0
	s_cbranch_scc0 .LBB191_2169
; %bb.2160:
	global_load_b32 v1, v[30:31], off
	s_mov_b32 s1, 0
	s_mov_b32 s9, -1
	s_wait_loadcnt 0x0
	v_lshlrev_b32_e32 v1, 16, v1
	s_delay_alu instid0(VALU_DEP_1)
	v_cvt_f16_f32_e32 v1, v1
	s_branch .LBB191_2171
.LBB191_2161:
	s_mov_b32 s9, 0
	s_mov_b32 s12, s10
                                        ; implicit-def: $vgpr1
	s_cbranch_execnz .LBB191_2234
.LBB191_2162:
	s_and_not1_b32 vcc_lo, exec_lo, s9
	s_cbranch_vccz .LBB191_2279
	s_branch .LBB191_4155
.LBB191_2163:
	s_mov_b32 s9, 0
	s_mov_b32 s1, 0
                                        ; implicit-def: $vgpr1
	s_cbranch_execnz .LBB191_2199
	s_branch .LBB191_2230
.LBB191_2164:
	s_mov_b32 s12, -1
	s_mov_b32 s9, 0
	s_mov_b32 s1, 0
                                        ; implicit-def: $vgpr1
	s_branch .LBB191_2180
.LBB191_2165:
	s_mov_b32 s9, 0
	s_mov_b32 s1, 0
                                        ; implicit-def: $vgpr1
	s_cbranch_execnz .LBB191_2176
	s_branch .LBB191_2179
.LBB191_2166:
	s_mov_b32 s12, -1
	s_mov_b32 s9, 0
	s_mov_b32 s1, 0
	s_branch .LBB191_2170
.LBB191_2167:
	s_and_not1_saveexec_b32 s9, s9
	s_cbranch_execz .LBB191_2022
.LBB191_2168:
	v_add_f32_e64 v3, 0x46000000, |v2|
	s_and_not1_b32 s8, s8, exec_lo
	s_delay_alu instid0(VALU_DEP_1) | instskip(NEXT) | instid1(VALU_DEP_1)
	v_and_b32_e32 v3, 0xff, v3
	v_cmp_ne_u32_e32 vcc_lo, 0, v3
	s_and_b32 s10, vcc_lo, exec_lo
	s_delay_alu instid0(SALU_CYCLE_1)
	s_or_b32 s8, s8, s10
	s_or_b32 exec_lo, exec_lo, s9
	v_mov_b32_e32 v5, 0
	s_and_saveexec_b32 s9, s8
	s_cbranch_execnz .LBB191_2023
	s_branch .LBB191_2024
.LBB191_2169:
	s_mov_b32 s1, -1
	s_mov_b32 s9, 0
.LBB191_2170:
                                        ; implicit-def: $vgpr1
.LBB191_2171:
	s_and_b32 vcc_lo, exec_lo, s12
	s_cbranch_vccz .LBB191_2174
; %bb.2172:
	s_cmp_eq_u32 s0, 44
	s_cbranch_scc0 .LBB191_2175
; %bb.2173:
	global_load_u8 v1, v[30:31], off
	s_mov_b32 s1, 0
	s_mov_b32 s9, -1
	s_wait_loadcnt 0x0
	v_lshlrev_b32_e32 v3, 23, v1
	v_cmp_ne_u32_e32 vcc_lo, 0xff, v1
	s_delay_alu instid0(VALU_DEP_2) | instskip(NEXT) | instid1(VALU_DEP_1)
	v_cvt_f16_f32_e32 v3, v3
	v_cndmask_b32_e32 v3, 0x7e00, v3, vcc_lo
	v_cmp_ne_u32_e32 vcc_lo, 0, v1
	s_delay_alu instid0(VALU_DEP_2)
	v_cndmask_b32_e32 v1, 0, v3, vcc_lo
.LBB191_2174:
	s_branch .LBB191_2179
.LBB191_2175:
	s_mov_b32 s1, -1
                                        ; implicit-def: $vgpr1
	s_branch .LBB191_2179
.LBB191_2176:
	s_cmp_eq_u32 s0, 29
	s_cbranch_scc0 .LBB191_2178
; %bb.2177:
	global_load_b64 v[32:33], v[30:31], off
	s_mov_b32 s1, 0
	s_mov_b32 s9, -1
	s_mov_b32 s12, 0
	s_wait_loadcnt 0x0
	v_clz_i32_u32_e32 v1, v33
	s_delay_alu instid0(VALU_DEP_1) | instskip(NEXT) | instid1(VALU_DEP_1)
	v_min_u32_e32 v1, 32, v1
	v_lshlrev_b64_e32 v[32:33], v1, v[32:33]
	v_sub_nc_u32_e32 v1, 32, v1
	s_delay_alu instid0(VALU_DEP_2) | instskip(NEXT) | instid1(VALU_DEP_1)
	v_min_u32_e32 v3, 1, v32
	v_or_b32_e32 v3, v33, v3
	s_delay_alu instid0(VALU_DEP_1) | instskip(NEXT) | instid1(VALU_DEP_1)
	v_cvt_f32_u32_e32 v3, v3
	v_ldexp_f32 v1, v3, v1
	s_delay_alu instid0(VALU_DEP_1)
	v_cvt_f16_f32_e32 v1, v1
	s_branch .LBB191_2180
.LBB191_2178:
	s_mov_b32 s1, -1
                                        ; implicit-def: $vgpr1
.LBB191_2179:
	s_mov_b32 s12, 0
.LBB191_2180:
	s_delay_alu instid0(SALU_CYCLE_1)
	s_and_b32 vcc_lo, exec_lo, s12
	s_cbranch_vccz .LBB191_2198
; %bb.2181:
	s_cmp_lt_i32 s0, 27
	s_cbranch_scc1 .LBB191_2184
; %bb.2182:
	s_cmp_gt_i32 s0, 27
	s_cbranch_scc0 .LBB191_2185
; %bb.2183:
	global_load_b32 v1, v[30:31], off
	s_mov_b32 s9, 0
	s_wait_loadcnt 0x0
	v_cvt_f32_u32_e32 v1, v1
	s_delay_alu instid0(VALU_DEP_1)
	v_cvt_f16_f32_e32 v1, v1
	s_branch .LBB191_2186
.LBB191_2184:
	s_mov_b32 s9, -1
                                        ; implicit-def: $vgpr1
	s_branch .LBB191_2189
.LBB191_2185:
	s_mov_b32 s9, -1
                                        ; implicit-def: $vgpr1
.LBB191_2186:
	s_delay_alu instid0(SALU_CYCLE_1)
	s_and_not1_b32 vcc_lo, exec_lo, s9
	s_cbranch_vccnz .LBB191_2188
; %bb.2187:
	global_load_u16 v1, v[30:31], off
	s_wait_loadcnt 0x0
	v_cvt_f16_u16_e32 v1, v1
.LBB191_2188:
	s_mov_b32 s9, 0
.LBB191_2189:
	s_delay_alu instid0(SALU_CYCLE_1)
	s_and_not1_b32 vcc_lo, exec_lo, s9
	s_cbranch_vccnz .LBB191_2197
; %bb.2190:
	global_load_u8 v3, v[30:31], off
	s_mov_b32 s9, 0
	s_mov_b32 s12, exec_lo
	s_wait_loadcnt 0x0
	v_cmpx_lt_i16_e32 0x7f, v3
	s_xor_b32 s12, exec_lo, s12
	s_cbranch_execz .LBB191_2210
; %bb.2191:
	s_mov_b32 s9, -1
	s_mov_b32 s14, exec_lo
	v_cmpx_eq_u16_e32 0x80, v3
; %bb.2192:
	s_xor_b32 s9, exec_lo, -1
; %bb.2193:
	s_or_b32 exec_lo, exec_lo, s14
	s_delay_alu instid0(SALU_CYCLE_1)
	s_and_b32 s9, s9, exec_lo
	s_or_saveexec_b32 s12, s12
	v_mov_b32_e32 v1, 0x7e00
	s_xor_b32 exec_lo, exec_lo, s12
	s_cbranch_execnz .LBB191_2211
.LBB191_2194:
	s_or_b32 exec_lo, exec_lo, s12
	s_and_saveexec_b32 s12, s9
	s_cbranch_execz .LBB191_2196
.LBB191_2195:
	v_and_b32_e32 v1, 0xffff, v3
	s_delay_alu instid0(VALU_DEP_1) | instskip(SKIP_1) | instid1(VALU_DEP_2)
	v_and_b32_e32 v5, 7, v1
	v_bfe_u32 v11, v1, 3, 4
	v_clz_i32_u32_e32 v7, v5
	s_delay_alu instid0(VALU_DEP_2) | instskip(NEXT) | instid1(VALU_DEP_2)
	v_cmp_eq_u32_e32 vcc_lo, 0, v11
	v_min_u32_e32 v7, 32, v7
	s_delay_alu instid0(VALU_DEP_1) | instskip(NEXT) | instid1(VALU_DEP_1)
	v_subrev_nc_u32_e32 v9, 28, v7
	v_dual_lshlrev_b32 v1, v9, v1 :: v_dual_sub_nc_u32 v7, 29, v7
	s_delay_alu instid0(VALU_DEP_1) | instskip(NEXT) | instid1(VALU_DEP_1)
	v_dual_lshlrev_b32 v3, 24, v3 :: v_dual_bitop2_b32 v1, 7, v1 bitop3:0x40
	v_dual_cndmask_b32 v1, v5, v1, vcc_lo :: v_dual_cndmask_b32 v7, v11, v7, vcc_lo
	s_delay_alu instid0(VALU_DEP_2) | instskip(NEXT) | instid1(VALU_DEP_2)
	v_and_b32_e32 v3, 0x80000000, v3
	v_lshlrev_b32_e32 v1, 20, v1
	s_delay_alu instid0(VALU_DEP_3) | instskip(NEXT) | instid1(VALU_DEP_1)
	v_lshl_add_u32 v5, v7, 23, 0x3b800000
	v_or3_b32 v1, v3, v5, v1
	s_delay_alu instid0(VALU_DEP_1)
	v_cvt_f16_f32_e32 v1, v1
.LBB191_2196:
	s_or_b32 exec_lo, exec_lo, s12
.LBB191_2197:
	s_mov_b32 s9, -1
.LBB191_2198:
	s_branch .LBB191_2230
.LBB191_2199:
	s_cmp_gt_i32 s0, 22
	s_cbranch_scc0 .LBB191_2209
; %bb.2200:
	s_cmp_lt_i32 s0, 24
	s_cbranch_scc1 .LBB191_2212
; %bb.2201:
	s_cmp_gt_i32 s0, 24
	s_cbranch_scc0 .LBB191_2213
; %bb.2202:
	global_load_u8 v3, v[30:31], off
	s_mov_b32 s9, exec_lo
	s_wait_loadcnt 0x0
	v_cmpx_lt_i16_e32 0x7f, v3
	s_xor_b32 s9, exec_lo, s9
	s_cbranch_execz .LBB191_2224
; %bb.2203:
	s_mov_b32 s8, -1
	s_mov_b32 s12, exec_lo
	v_cmpx_eq_u16_e32 0x80, v3
; %bb.2204:
	s_xor_b32 s8, exec_lo, -1
; %bb.2205:
	s_or_b32 exec_lo, exec_lo, s12
	s_delay_alu instid0(SALU_CYCLE_1)
	s_and_b32 s8, s8, exec_lo
	s_or_saveexec_b32 s9, s9
	v_mov_b32_e32 v1, 0x7e00
	s_xor_b32 exec_lo, exec_lo, s9
	s_cbranch_execnz .LBB191_2225
.LBB191_2206:
	s_or_b32 exec_lo, exec_lo, s9
	s_and_saveexec_b32 s9, s8
	s_cbranch_execz .LBB191_2208
.LBB191_2207:
	v_and_b32_e32 v1, 0xffff, v3
	s_delay_alu instid0(VALU_DEP_1) | instskip(SKIP_1) | instid1(VALU_DEP_2)
	v_and_b32_e32 v5, 3, v1
	v_bfe_u32 v11, v1, 2, 5
	v_clz_i32_u32_e32 v7, v5
	s_delay_alu instid0(VALU_DEP_2) | instskip(NEXT) | instid1(VALU_DEP_2)
	v_cmp_eq_u32_e32 vcc_lo, 0, v11
	v_min_u32_e32 v7, 32, v7
	s_delay_alu instid0(VALU_DEP_1) | instskip(NEXT) | instid1(VALU_DEP_1)
	v_subrev_nc_u32_e32 v9, 29, v7
	v_dual_lshlrev_b32 v1, v9, v1 :: v_dual_sub_nc_u32 v7, 30, v7
	s_delay_alu instid0(VALU_DEP_1) | instskip(NEXT) | instid1(VALU_DEP_1)
	v_dual_lshlrev_b32 v3, 24, v3 :: v_dual_bitop2_b32 v1, 3, v1 bitop3:0x40
	v_dual_cndmask_b32 v1, v5, v1, vcc_lo :: v_dual_cndmask_b32 v7, v11, v7, vcc_lo
	s_delay_alu instid0(VALU_DEP_2) | instskip(NEXT) | instid1(VALU_DEP_2)
	v_and_b32_e32 v3, 0x80000000, v3
	v_lshlrev_b32_e32 v1, 21, v1
	s_delay_alu instid0(VALU_DEP_3) | instskip(NEXT) | instid1(VALU_DEP_1)
	v_lshl_add_u32 v5, v7, 23, 0x37800000
	v_or3_b32 v1, v3, v5, v1
	s_delay_alu instid0(VALU_DEP_1)
	v_cvt_f16_f32_e32 v1, v1
.LBB191_2208:
	s_or_b32 exec_lo, exec_lo, s9
	s_mov_b32 s8, 0
	s_branch .LBB191_2214
.LBB191_2209:
                                        ; implicit-def: $vgpr1
	s_mov_b32 s8, 0
	s_branch .LBB191_2220
.LBB191_2210:
	s_or_saveexec_b32 s12, s12
	v_mov_b32_e32 v1, 0x7e00
	s_xor_b32 exec_lo, exec_lo, s12
	s_cbranch_execz .LBB191_2194
.LBB191_2211:
	v_cmp_ne_u16_e32 vcc_lo, 0, v3
	v_mov_b32_e32 v1, v3
	s_and_not1_b32 s9, s9, exec_lo
	s_and_b32 s14, vcc_lo, exec_lo
	s_delay_alu instid0(SALU_CYCLE_1)
	s_or_b32 s9, s9, s14
	s_or_b32 exec_lo, exec_lo, s12
	s_and_saveexec_b32 s12, s9
	s_cbranch_execnz .LBB191_2195
	s_branch .LBB191_2196
.LBB191_2212:
	s_mov_b32 s8, -1
                                        ; implicit-def: $vgpr1
	s_branch .LBB191_2217
.LBB191_2213:
	s_mov_b32 s8, -1
                                        ; implicit-def: $vgpr1
.LBB191_2214:
	s_delay_alu instid0(SALU_CYCLE_1)
	s_and_b32 vcc_lo, exec_lo, s8
	s_cbranch_vccz .LBB191_2216
; %bb.2215:
	global_load_u8 v1, v[30:31], off
	s_wait_loadcnt 0x0
	v_lshlrev_b32_e32 v1, 24, v1
	s_delay_alu instid0(VALU_DEP_1) | instskip(NEXT) | instid1(VALU_DEP_1)
	v_and_b32_e32 v3, 0x7f000000, v1
	v_clz_i32_u32_e32 v5, v3
	v_add_nc_u32_e32 v9, 0x1000000, v3
	v_cmp_ne_u32_e32 vcc_lo, 0, v3
	s_delay_alu instid0(VALU_DEP_3) | instskip(NEXT) | instid1(VALU_DEP_1)
	v_min_u32_e32 v5, 32, v5
	v_sub_nc_u32_e64 v5, v5, 4 clamp
	s_delay_alu instid0(VALU_DEP_1) | instskip(NEXT) | instid1(VALU_DEP_1)
	v_dual_lshlrev_b32 v7, v5, v3 :: v_dual_lshlrev_b32 v5, 23, v5
	v_lshrrev_b32_e32 v7, 4, v7
	s_delay_alu instid0(VALU_DEP_1) | instskip(SKIP_1) | instid1(VALU_DEP_2)
	v_sub_nc_u32_e32 v5, v7, v5
	v_ashrrev_i32_e32 v7, 8, v9
	v_add_nc_u32_e32 v5, 0x3c000000, v5
	s_delay_alu instid0(VALU_DEP_1) | instskip(NEXT) | instid1(VALU_DEP_1)
	v_and_or_b32 v5, 0x7f800000, v7, v5
	v_cndmask_b32_e32 v3, 0, v5, vcc_lo
	s_delay_alu instid0(VALU_DEP_1) | instskip(NEXT) | instid1(VALU_DEP_1)
	v_and_or_b32 v1, 0x80000000, v1, v3
	v_cvt_f16_f32_e32 v1, v1
.LBB191_2216:
	s_mov_b32 s8, 0
.LBB191_2217:
	s_delay_alu instid0(SALU_CYCLE_1)
	s_and_not1_b32 vcc_lo, exec_lo, s8
	s_cbranch_vccnz .LBB191_2219
; %bb.2218:
	global_load_u8 v1, v[30:31], off
	s_wait_loadcnt 0x0
	v_lshlrev_b32_e32 v3, 25, v1
	v_lshlrev_b16 v1, 8, v1
	s_delay_alu instid0(VALU_DEP_1) | instskip(SKIP_1) | instid1(VALU_DEP_2)
	v_and_or_b32 v7, 0x7f00, v1, 0.5
	v_bfe_i32 v1, v1, 0, 16
	v_add_f32_e32 v7, -0.5, v7
	v_lshrrev_b32_e32 v5, 4, v3
	v_cmp_gt_u32_e32 vcc_lo, 0x8000000, v3
	s_delay_alu instid0(VALU_DEP_2) | instskip(NEXT) | instid1(VALU_DEP_1)
	v_or_b32_e32 v5, 0x70000000, v5
	v_mul_f32_e32 v5, 0x7800000, v5
	s_delay_alu instid0(VALU_DEP_1) | instskip(NEXT) | instid1(VALU_DEP_1)
	v_cndmask_b32_e32 v3, v5, v7, vcc_lo
	v_and_or_b32 v1, 0x80000000, v1, v3
	s_delay_alu instid0(VALU_DEP_1)
	v_cvt_f16_f32_e32 v1, v1
.LBB191_2219:
	s_mov_b32 s9, -1
	s_mov_b32 s8, 0
	s_cbranch_execnz .LBB191_2230
.LBB191_2220:
	s_cmp_gt_i32 s0, 14
	s_cbranch_scc0 .LBB191_2223
; %bb.2221:
	s_cmp_eq_u32 s0, 15
	s_cbranch_scc0 .LBB191_2226
; %bb.2222:
	global_load_u16 v1, v[30:31], off
	s_mov_b32 s1, 0
	s_mov_b32 s9, -1
	s_wait_loadcnt 0x0
	v_lshlrev_b32_e32 v1, 16, v1
	s_delay_alu instid0(VALU_DEP_1)
	v_cvt_f16_f32_e32 v1, v1
	s_branch .LBB191_2228
.LBB191_2223:
	s_mov_b32 s8, -1
	s_branch .LBB191_2227
.LBB191_2224:
	s_or_saveexec_b32 s9, s9
	v_mov_b32_e32 v1, 0x7e00
	s_xor_b32 exec_lo, exec_lo, s9
	s_cbranch_execz .LBB191_2206
.LBB191_2225:
	v_cmp_ne_u16_e32 vcc_lo, 0, v3
	v_mov_b32_e32 v1, v3
	s_and_not1_b32 s8, s8, exec_lo
	s_and_b32 s12, vcc_lo, exec_lo
	s_delay_alu instid0(SALU_CYCLE_1)
	s_or_b32 s8, s8, s12
	s_or_b32 exec_lo, exec_lo, s9
	s_and_saveexec_b32 s9, s8
	s_cbranch_execnz .LBB191_2207
	s_branch .LBB191_2208
.LBB191_2226:
	s_mov_b32 s1, -1
.LBB191_2227:
                                        ; implicit-def: $vgpr1
.LBB191_2228:
	s_and_b32 vcc_lo, exec_lo, s8
	s_mov_b32 s8, 0
	s_cbranch_vccz .LBB191_2230
; %bb.2229:
	s_cmp_lg_u32 s0, 11
	s_mov_b32 s8, -1
	s_cselect_b32 s1, -1, 0
.LBB191_2230:
	s_delay_alu instid0(SALU_CYCLE_1)
	s_and_b32 vcc_lo, exec_lo, s1
	s_mov_b32 s12, s10
	s_cbranch_vccnz .LBB191_2291
; %bb.2231:
	s_and_not1_b32 vcc_lo, exec_lo, s8
	s_cbranch_vccnz .LBB191_2233
.LBB191_2232:
	global_load_u8 v1, v[30:31], off
	s_mov_b32 s9, -1
	s_wait_loadcnt 0x0
	v_cmp_ne_u16_e32 vcc_lo, 0, v1
	v_cndmask_b32_e64 v1, 0, 0x3c00, vcc_lo
.LBB191_2233:
	s_branch .LBB191_2162
.LBB191_2234:
	s_and_b32 s0, 0xffff, s13
	s_delay_alu instid0(SALU_CYCLE_1)
	s_cmp_lt_i32 s0, 5
	s_cbranch_scc1 .LBB191_2239
; %bb.2235:
	s_cmp_lt_i32 s0, 8
	s_cbranch_scc1 .LBB191_2240
; %bb.2236:
	;; [unrolled: 3-line block ×3, first 2 shown]
	s_cmp_gt_i32 s0, 9
	s_cbranch_scc0 .LBB191_2242
; %bb.2238:
	global_load_b64 v[32:33], v[30:31], off
	s_mov_b32 s1, 0
	s_wait_loadcnt 0x0
	v_and_or_b32 v1, 0x1ff, v33, v32
	v_lshrrev_b32_e32 v3, 8, v33
	v_bfe_u32 v5, v33, 20, 11
	s_delay_alu instid0(VALU_DEP_3) | instskip(NEXT) | instid1(VALU_DEP_2)
	v_cmp_ne_u32_e32 vcc_lo, 0, v1
	v_sub_nc_u32_e32 v7, 0x3f1, v5
	v_add_nc_u32_e32 v5, 0xfffffc10, v5
	v_cndmask_b32_e64 v1, 0, 1, vcc_lo
	s_delay_alu instid0(VALU_DEP_1) | instskip(NEXT) | instid1(VALU_DEP_4)
	v_and_or_b32 v1, 0xffe, v3, v1
	v_med3_i32 v3, v7, 0, 13
	s_delay_alu instid0(VALU_DEP_2) | instskip(NEXT) | instid1(VALU_DEP_1)
	v_or_b32_e32 v7, 0x1000, v1
	v_lshrrev_b32_e32 v9, v3, v7
	s_delay_alu instid0(VALU_DEP_1) | instskip(NEXT) | instid1(VALU_DEP_1)
	v_lshlrev_b32_e32 v3, v3, v9
	v_cmp_ne_u32_e32 vcc_lo, v3, v7
	v_lshl_or_b32 v7, v5, 12, v1
	v_cndmask_b32_e64 v3, 0, 1, vcc_lo
	v_cmp_gt_i32_e32 vcc_lo, 1, v5
	s_delay_alu instid0(VALU_DEP_2) | instskip(NEXT) | instid1(VALU_DEP_1)
	v_or_b32_e32 v3, v9, v3
	v_cndmask_b32_e32 v3, v7, v3, vcc_lo
	s_delay_alu instid0(VALU_DEP_1) | instskip(NEXT) | instid1(VALU_DEP_1)
	v_and_b32_e32 v7, 7, v3
	v_cmp_lt_i32_e32 vcc_lo, 5, v7
	v_cndmask_b32_e64 v9, 0, 1, vcc_lo
	v_cmp_eq_u32_e32 vcc_lo, 3, v7
	v_cndmask_b32_e64 v7, 0, 1, vcc_lo
	v_cmp_ne_u32_e32 vcc_lo, 0, v1
	s_delay_alu instid0(VALU_DEP_2) | instskip(SKIP_1) | instid1(VALU_DEP_2)
	v_dual_lshrrev_b32 v3, 2, v3 :: v_dual_bitop2_b32 v7, v7, v9 bitop3:0x54
	v_mov_b32_e32 v9, 0x7e00
	v_add_nc_u32_e32 v3, v3, v7
	s_delay_alu instid0(VALU_DEP_2) | instskip(SKIP_1) | instid1(VALU_DEP_3)
	v_cndmask_b32_e32 v1, 0x7c00, v9, vcc_lo
	v_cmp_gt_i32_e32 vcc_lo, 31, v5
	v_cndmask_b32_e32 v3, 0x7c00, v3, vcc_lo
	v_cmp_eq_u32_e32 vcc_lo, 0x40f, v5
	s_delay_alu instid0(VALU_DEP_2) | instskip(SKIP_1) | instid1(VALU_DEP_1)
	v_cndmask_b32_e32 v1, v3, v1, vcc_lo
	v_lshrrev_b32_e32 v3, 16, v33
	v_and_or_b32 v1, 0x8000, v3, v1
	s_branch .LBB191_2243
.LBB191_2239:
                                        ; implicit-def: $vgpr1
	s_branch .LBB191_2260
.LBB191_2240:
                                        ; implicit-def: $vgpr1
	s_branch .LBB191_2249
.LBB191_2241:
	s_mov_b32 s1, -1
                                        ; implicit-def: $vgpr1
	s_branch .LBB191_2246
.LBB191_2242:
	s_mov_b32 s1, -1
                                        ; implicit-def: $vgpr1
.LBB191_2243:
	s_delay_alu instid0(SALU_CYCLE_1)
	s_and_not1_b32 vcc_lo, exec_lo, s1
	s_cbranch_vccnz .LBB191_2245
; %bb.2244:
	global_load_b32 v1, v[30:31], off
	s_wait_loadcnt 0x0
	v_cvt_f16_f32_e32 v1, v1
.LBB191_2245:
	s_mov_b32 s1, 0
.LBB191_2246:
	s_delay_alu instid0(SALU_CYCLE_1)
	s_and_not1_b32 vcc_lo, exec_lo, s1
	s_cbranch_vccnz .LBB191_2248
; %bb.2247:
	global_load_b32 v1, v[30:31], off
.LBB191_2248:
	s_cbranch_execnz .LBB191_2259
.LBB191_2249:
	s_cmp_lt_i32 s0, 6
	s_cbranch_scc1 .LBB191_2252
; %bb.2250:
	s_cmp_gt_i32 s0, 6
	s_cbranch_scc0 .LBB191_2253
; %bb.2251:
	global_load_b64 v[32:33], v[30:31], off
	s_mov_b32 s1, 0
	s_wait_loadcnt 0x0
	v_and_or_b32 v1, 0x1ff, v33, v32
	v_lshrrev_b32_e32 v3, 8, v33
	v_bfe_u32 v5, v33, 20, 11
	s_delay_alu instid0(VALU_DEP_3) | instskip(NEXT) | instid1(VALU_DEP_2)
	v_cmp_ne_u32_e32 vcc_lo, 0, v1
	v_sub_nc_u32_e32 v7, 0x3f1, v5
	v_add_nc_u32_e32 v5, 0xfffffc10, v5
	v_cndmask_b32_e64 v1, 0, 1, vcc_lo
	s_delay_alu instid0(VALU_DEP_1) | instskip(NEXT) | instid1(VALU_DEP_4)
	v_and_or_b32 v1, 0xffe, v3, v1
	v_med3_i32 v3, v7, 0, 13
	s_delay_alu instid0(VALU_DEP_2) | instskip(NEXT) | instid1(VALU_DEP_1)
	v_or_b32_e32 v7, 0x1000, v1
	v_lshrrev_b32_e32 v9, v3, v7
	s_delay_alu instid0(VALU_DEP_1) | instskip(NEXT) | instid1(VALU_DEP_1)
	v_lshlrev_b32_e32 v3, v3, v9
	v_cmp_ne_u32_e32 vcc_lo, v3, v7
	v_lshl_or_b32 v7, v5, 12, v1
	v_cndmask_b32_e64 v3, 0, 1, vcc_lo
	v_cmp_gt_i32_e32 vcc_lo, 1, v5
	s_delay_alu instid0(VALU_DEP_2) | instskip(NEXT) | instid1(VALU_DEP_1)
	v_or_b32_e32 v3, v9, v3
	v_cndmask_b32_e32 v3, v7, v3, vcc_lo
	s_delay_alu instid0(VALU_DEP_1) | instskip(NEXT) | instid1(VALU_DEP_1)
	v_and_b32_e32 v7, 7, v3
	v_cmp_lt_i32_e32 vcc_lo, 5, v7
	v_cndmask_b32_e64 v9, 0, 1, vcc_lo
	v_cmp_eq_u32_e32 vcc_lo, 3, v7
	v_cndmask_b32_e64 v7, 0, 1, vcc_lo
	v_cmp_ne_u32_e32 vcc_lo, 0, v1
	s_delay_alu instid0(VALU_DEP_2) | instskip(SKIP_1) | instid1(VALU_DEP_2)
	v_dual_lshrrev_b32 v3, 2, v3 :: v_dual_bitop2_b32 v7, v7, v9 bitop3:0x54
	v_mov_b32_e32 v9, 0x7e00
	v_add_nc_u32_e32 v3, v3, v7
	s_delay_alu instid0(VALU_DEP_2) | instskip(SKIP_1) | instid1(VALU_DEP_3)
	v_cndmask_b32_e32 v1, 0x7c00, v9, vcc_lo
	v_cmp_gt_i32_e32 vcc_lo, 31, v5
	v_cndmask_b32_e32 v3, 0x7c00, v3, vcc_lo
	v_cmp_eq_u32_e32 vcc_lo, 0x40f, v5
	s_delay_alu instid0(VALU_DEP_2) | instskip(SKIP_1) | instid1(VALU_DEP_1)
	v_cndmask_b32_e32 v1, v3, v1, vcc_lo
	v_lshrrev_b32_e32 v3, 16, v33
	v_and_or_b32 v1, 0x8000, v3, v1
	s_branch .LBB191_2254
.LBB191_2252:
	s_mov_b32 s1, -1
                                        ; implicit-def: $vgpr1
	s_branch .LBB191_2257
.LBB191_2253:
	s_mov_b32 s1, -1
                                        ; implicit-def: $vgpr1
.LBB191_2254:
	s_delay_alu instid0(SALU_CYCLE_1)
	s_and_not1_b32 vcc_lo, exec_lo, s1
	s_cbranch_vccnz .LBB191_2256
; %bb.2255:
	s_wait_loadcnt 0x0
	global_load_b32 v1, v[30:31], off
	s_wait_loadcnt 0x0
	v_cvt_f16_f32_e32 v1, v1
.LBB191_2256:
	s_mov_b32 s1, 0
.LBB191_2257:
	s_delay_alu instid0(SALU_CYCLE_1)
	s_and_not1_b32 vcc_lo, exec_lo, s1
	s_cbranch_vccnz .LBB191_2259
; %bb.2258:
	s_wait_loadcnt 0x0
	global_load_u16 v1, v[30:31], off
.LBB191_2259:
	s_cbranch_execnz .LBB191_2278
.LBB191_2260:
	s_cmp_lt_i32 s0, 2
	s_cbranch_scc1 .LBB191_2264
; %bb.2261:
	s_cmp_lt_i32 s0, 3
	s_cbranch_scc1 .LBB191_2265
; %bb.2262:
	s_cmp_gt_i32 s0, 3
	s_cbranch_scc0 .LBB191_2266
; %bb.2263:
	global_load_b64 v[32:33], v[30:31], off
	s_mov_b32 s1, 0
	s_wait_loadcnt 0x0
	v_xor_b32_e32 v1, v32, v33
	v_cls_i32_e32 v3, v33
	s_delay_alu instid0(VALU_DEP_2) | instskip(NEXT) | instid1(VALU_DEP_1)
	v_ashrrev_i32_e32 v1, 31, v1
	v_add_nc_u32_e32 v1, 32, v1
	s_delay_alu instid0(VALU_DEP_1) | instskip(NEXT) | instid1(VALU_DEP_1)
	v_add_min_u32_e64 v1, v3, -1, v1
	v_lshlrev_b64_e32 v[32:33], v1, v[32:33]
	v_sub_nc_u32_e32 v1, 32, v1
	s_delay_alu instid0(VALU_DEP_2) | instskip(NEXT) | instid1(VALU_DEP_1)
	v_min_u32_e32 v3, 1, v32
	v_or_b32_e32 v3, v33, v3
	s_delay_alu instid0(VALU_DEP_1) | instskip(NEXT) | instid1(VALU_DEP_1)
	v_cvt_f32_i32_e32 v3, v3
	v_ldexp_f32 v1, v3, v1
	s_delay_alu instid0(VALU_DEP_1)
	v_cvt_f16_f32_e32 v1, v1
	s_branch .LBB191_2267
.LBB191_2264:
                                        ; implicit-def: $vgpr1
	s_branch .LBB191_2273
.LBB191_2265:
	s_mov_b32 s1, -1
                                        ; implicit-def: $vgpr1
	s_branch .LBB191_2270
.LBB191_2266:
	s_mov_b32 s1, -1
                                        ; implicit-def: $vgpr1
.LBB191_2267:
	s_delay_alu instid0(SALU_CYCLE_1)
	s_and_not1_b32 vcc_lo, exec_lo, s1
	s_cbranch_vccnz .LBB191_2269
; %bb.2268:
	s_wait_loadcnt 0x0
	global_load_b32 v1, v[30:31], off
	s_wait_loadcnt 0x0
	v_cvt_f32_i32_e32 v1, v1
	s_delay_alu instid0(VALU_DEP_1)
	v_cvt_f16_f32_e32 v1, v1
.LBB191_2269:
	s_mov_b32 s1, 0
.LBB191_2270:
	s_delay_alu instid0(SALU_CYCLE_1)
	s_and_not1_b32 vcc_lo, exec_lo, s1
	s_cbranch_vccnz .LBB191_2272
; %bb.2271:
	s_wait_loadcnt 0x0
	global_load_u16 v1, v[30:31], off
	s_wait_loadcnt 0x0
	v_cvt_f16_i16_e32 v1, v1
.LBB191_2272:
	s_cbranch_execnz .LBB191_2278
.LBB191_2273:
	s_cmp_gt_i32 s0, 0
	s_mov_b32 s0, 0
	s_cbranch_scc0 .LBB191_2275
; %bb.2274:
	s_wait_loadcnt 0x0
	global_load_i8 v1, v[30:31], off
	s_wait_loadcnt 0x0
	v_cvt_f16_i16_e32 v1, v1
	s_branch .LBB191_2276
.LBB191_2275:
	s_mov_b32 s0, -1
                                        ; implicit-def: $vgpr1
.LBB191_2276:
	s_delay_alu instid0(SALU_CYCLE_1)
	s_and_not1_b32 vcc_lo, exec_lo, s0
	s_cbranch_vccnz .LBB191_2278
; %bb.2277:
	s_wait_loadcnt 0x0
	global_load_u8 v1, v[30:31], off
	s_wait_loadcnt 0x0
	v_cvt_f16_u16_e32 v1, v1
.LBB191_2278:
.LBB191_2279:
	v_mov_b32_e32 v29, 0
	s_load_b64 s[0:1], s[2:3], 0x1d8
	global_load_u8 v3, v29, s[2:3] offset:494
	s_wait_kmcnt 0x0
	v_add_nc_u64_e32 v[28:29], s[0:1], v[28:29]
	s_wait_loadcnt 0x0
	v_and_b32_e32 v5, 0xffff, v3
	v_readfirstlane_b32 s14, v3
	s_delay_alu instid0(VALU_DEP_2)
	v_cmp_gt_i32_e32 vcc_lo, 11, v5
	s_cbranch_vccnz .LBB191_2286
; %bb.2280:
	s_and_b32 s8, 0xffff, s14
	s_mov_b32 s15, 0
	s_cmp_gt_i32 s8, 25
	s_cbranch_scc0 .LBB191_2288
; %bb.2281:
	s_cmp_gt_i32 s8, 28
	s_cbranch_scc0 .LBB191_2289
; %bb.2282:
	;; [unrolled: 3-line block ×4, first 2 shown]
	s_cmp_eq_u32 s8, 46
	s_mov_b32 s17, 0
	s_cbranch_scc0 .LBB191_2295
; %bb.2285:
	global_load_b32 v3, v[28:29], off
	s_mov_b32 s9, 0
	s_mov_b32 s16, -1
	s_wait_loadcnt 0x0
	v_lshlrev_b32_e32 v3, 16, v3
	s_delay_alu instid0(VALU_DEP_1)
	v_cvt_f16_f32_e32 v3, v3
	s_branch .LBB191_2297
.LBB191_2286:
	s_mov_b32 s16, 0
                                        ; implicit-def: $vgpr3
	s_cbranch_execnz .LBB191_2362
.LBB191_2287:
	s_and_not1_b32 vcc_lo, exec_lo, s16
	s_cbranch_vccnz .LBB191_4155
	s_branch .LBB191_2409
.LBB191_2288:
	s_mov_b32 s16, 0
	s_mov_b32 s9, 0
                                        ; implicit-def: $vgpr3
	s_cbranch_execnz .LBB191_2326
	s_branch .LBB191_2358
.LBB191_2289:
	s_mov_b32 s17, -1
	s_mov_b32 s16, 0
	s_mov_b32 s9, 0
                                        ; implicit-def: $vgpr3
	s_branch .LBB191_2307
.LBB191_2290:
	s_mov_b32 s17, -1
	s_mov_b32 s16, 0
	s_mov_b32 s9, 0
                                        ; implicit-def: $vgpr3
	s_branch .LBB191_2302
.LBB191_2291:
	s_or_b32 s12, s10, exec_lo
	s_trap 2
	s_cbranch_execz .LBB191_2232
	s_branch .LBB191_2233
.LBB191_2292:
	s_mov_b32 s17, -1
	s_mov_b32 s16, 0
	s_mov_b32 s9, 0
	s_branch .LBB191_2296
.LBB191_2293:
	s_and_not1_saveexec_b32 s10, s10
	s_cbranch_execz .LBB191_2034
.LBB191_2294:
	v_add_f32_e64 v3, 0x42800000, |v2|
	s_and_not1_b32 s9, s9, exec_lo
	s_delay_alu instid0(VALU_DEP_1) | instskip(NEXT) | instid1(VALU_DEP_1)
	v_and_b32_e32 v3, 0xff, v3
	v_cmp_ne_u32_e32 vcc_lo, 0, v3
	s_and_b32 s11, vcc_lo, exec_lo
	s_delay_alu instid0(SALU_CYCLE_1)
	s_or_b32 s9, s9, s11
	s_or_b32 exec_lo, exec_lo, s10
	v_mov_b32_e32 v5, 0
	s_and_saveexec_b32 s10, s9
	s_cbranch_execnz .LBB191_2035
	s_branch .LBB191_2036
.LBB191_2295:
	s_mov_b32 s9, -1
	s_mov_b32 s16, 0
.LBB191_2296:
                                        ; implicit-def: $vgpr3
.LBB191_2297:
	s_and_b32 vcc_lo, exec_lo, s17
	s_cbranch_vccz .LBB191_2301
; %bb.2298:
	s_cmp_eq_u32 s8, 44
	s_cbranch_scc0 .LBB191_2300
; %bb.2299:
	global_load_u8 v3, v[28:29], off
	s_mov_b32 s9, 0
	s_mov_b32 s16, -1
	s_wait_loadcnt 0x0
	v_lshlrev_b32_e32 v5, 23, v3
	v_cmp_ne_u32_e32 vcc_lo, 0xff, v3
	s_delay_alu instid0(VALU_DEP_2) | instskip(NEXT) | instid1(VALU_DEP_1)
	v_cvt_f16_f32_e32 v5, v5
	v_cndmask_b32_e32 v5, 0x7e00, v5, vcc_lo
	v_cmp_ne_u32_e32 vcc_lo, 0, v3
	s_delay_alu instid0(VALU_DEP_2)
	v_cndmask_b32_e32 v3, 0, v5, vcc_lo
	s_branch .LBB191_2301
.LBB191_2300:
	s_mov_b32 s9, -1
                                        ; implicit-def: $vgpr3
.LBB191_2301:
	s_mov_b32 s17, 0
.LBB191_2302:
	s_delay_alu instid0(SALU_CYCLE_1)
	s_and_b32 vcc_lo, exec_lo, s17
	s_cbranch_vccz .LBB191_2306
; %bb.2303:
	s_cmp_eq_u32 s8, 29
	s_cbranch_scc0 .LBB191_2305
; %bb.2304:
	global_load_b64 v[30:31], v[28:29], off
	s_mov_b32 s9, 0
	s_mov_b32 s16, -1
	s_mov_b32 s17, 0
	s_wait_loadcnt 0x0
	v_clz_i32_u32_e32 v3, v31
	s_delay_alu instid0(VALU_DEP_1) | instskip(NEXT) | instid1(VALU_DEP_1)
	v_min_u32_e32 v3, 32, v3
	v_lshlrev_b64_e32 v[30:31], v3, v[30:31]
	v_sub_nc_u32_e32 v3, 32, v3
	s_delay_alu instid0(VALU_DEP_2) | instskip(NEXT) | instid1(VALU_DEP_1)
	v_min_u32_e32 v5, 1, v30
	v_or_b32_e32 v5, v31, v5
	s_delay_alu instid0(VALU_DEP_1) | instskip(NEXT) | instid1(VALU_DEP_1)
	v_cvt_f32_u32_e32 v5, v5
	v_ldexp_f32 v3, v5, v3
	s_delay_alu instid0(VALU_DEP_1)
	v_cvt_f16_f32_e32 v3, v3
	s_branch .LBB191_2307
.LBB191_2305:
	s_mov_b32 s9, -1
                                        ; implicit-def: $vgpr3
.LBB191_2306:
	s_mov_b32 s17, 0
.LBB191_2307:
	s_delay_alu instid0(SALU_CYCLE_1)
	s_and_b32 vcc_lo, exec_lo, s17
	s_cbranch_vccz .LBB191_2325
; %bb.2308:
	s_cmp_lt_i32 s8, 27
	s_cbranch_scc1 .LBB191_2311
; %bb.2309:
	s_cmp_gt_i32 s8, 27
	s_cbranch_scc0 .LBB191_2312
; %bb.2310:
	global_load_b32 v3, v[28:29], off
	s_mov_b32 s16, 0
	s_wait_loadcnt 0x0
	v_cvt_f32_u32_e32 v3, v3
	s_delay_alu instid0(VALU_DEP_1)
	v_cvt_f16_f32_e32 v3, v3
	s_branch .LBB191_2313
.LBB191_2311:
	s_mov_b32 s16, -1
                                        ; implicit-def: $vgpr3
	s_branch .LBB191_2316
.LBB191_2312:
	s_mov_b32 s16, -1
                                        ; implicit-def: $vgpr3
.LBB191_2313:
	s_delay_alu instid0(SALU_CYCLE_1)
	s_and_not1_b32 vcc_lo, exec_lo, s16
	s_cbranch_vccnz .LBB191_2315
; %bb.2314:
	global_load_u16 v3, v[28:29], off
	s_wait_loadcnt 0x0
	v_cvt_f16_u16_e32 v3, v3
.LBB191_2315:
	s_mov_b32 s16, 0
.LBB191_2316:
	s_delay_alu instid0(SALU_CYCLE_1)
	s_and_not1_b32 vcc_lo, exec_lo, s16
	s_cbranch_vccnz .LBB191_2324
; %bb.2317:
	global_load_u8 v5, v[28:29], off
	s_mov_b32 s16, 0
	s_mov_b32 s17, exec_lo
	s_wait_loadcnt 0x0
	v_cmpx_lt_i16_e32 0x7f, v5
	s_xor_b32 s17, exec_lo, s17
	s_cbranch_execz .LBB191_2337
; %bb.2318:
	s_mov_b32 s16, -1
	s_mov_b32 s18, exec_lo
	v_cmpx_eq_u16_e32 0x80, v5
; %bb.2319:
	s_xor_b32 s16, exec_lo, -1
; %bb.2320:
	s_or_b32 exec_lo, exec_lo, s18
	s_delay_alu instid0(SALU_CYCLE_1)
	s_and_b32 s16, s16, exec_lo
	s_or_saveexec_b32 s17, s17
	v_mov_b32_e32 v3, 0x7e00
	s_xor_b32 exec_lo, exec_lo, s17
	s_cbranch_execnz .LBB191_2338
.LBB191_2321:
	s_or_b32 exec_lo, exec_lo, s17
	s_and_saveexec_b32 s17, s16
	s_cbranch_execz .LBB191_2323
.LBB191_2322:
	v_and_b32_e32 v3, 0xffff, v5
	s_delay_alu instid0(VALU_DEP_1) | instskip(SKIP_1) | instid1(VALU_DEP_2)
	v_and_b32_e32 v7, 7, v3
	v_bfe_u32 v13, v3, 3, 4
	v_clz_i32_u32_e32 v9, v7
	s_delay_alu instid0(VALU_DEP_2) | instskip(NEXT) | instid1(VALU_DEP_2)
	v_cmp_eq_u32_e32 vcc_lo, 0, v13
	v_min_u32_e32 v9, 32, v9
	s_delay_alu instid0(VALU_DEP_1) | instskip(NEXT) | instid1(VALU_DEP_1)
	v_subrev_nc_u32_e32 v11, 28, v9
	v_dual_lshlrev_b32 v3, v11, v3 :: v_dual_sub_nc_u32 v9, 29, v9
	s_delay_alu instid0(VALU_DEP_1) | instskip(NEXT) | instid1(VALU_DEP_1)
	v_dual_lshlrev_b32 v5, 24, v5 :: v_dual_bitop2_b32 v3, 7, v3 bitop3:0x40
	v_dual_cndmask_b32 v3, v7, v3, vcc_lo :: v_dual_cndmask_b32 v9, v13, v9, vcc_lo
	s_delay_alu instid0(VALU_DEP_2) | instskip(NEXT) | instid1(VALU_DEP_2)
	v_and_b32_e32 v5, 0x80000000, v5
	v_lshlrev_b32_e32 v3, 20, v3
	s_delay_alu instid0(VALU_DEP_3) | instskip(NEXT) | instid1(VALU_DEP_1)
	v_lshl_add_u32 v7, v9, 23, 0x3b800000
	v_or3_b32 v3, v5, v7, v3
	s_delay_alu instid0(VALU_DEP_1)
	v_cvt_f16_f32_e32 v3, v3
.LBB191_2323:
	s_or_b32 exec_lo, exec_lo, s17
.LBB191_2324:
	s_mov_b32 s16, -1
.LBB191_2325:
	s_branch .LBB191_2358
.LBB191_2326:
	s_cmp_gt_i32 s8, 22
	s_cbranch_scc0 .LBB191_2336
; %bb.2327:
	s_cmp_lt_i32 s8, 24
	s_cbranch_scc1 .LBB191_2339
; %bb.2328:
	s_cmp_gt_i32 s8, 24
	s_cbranch_scc0 .LBB191_2340
; %bb.2329:
	global_load_u8 v5, v[28:29], off
	s_mov_b32 s16, exec_lo
	s_wait_loadcnt 0x0
	v_cmpx_lt_i16_e32 0x7f, v5
	s_xor_b32 s16, exec_lo, s16
	s_cbranch_execz .LBB191_2352
; %bb.2330:
	s_mov_b32 s15, -1
	s_mov_b32 s17, exec_lo
	v_cmpx_eq_u16_e32 0x80, v5
; %bb.2331:
	s_xor_b32 s15, exec_lo, -1
; %bb.2332:
	s_or_b32 exec_lo, exec_lo, s17
	s_delay_alu instid0(SALU_CYCLE_1)
	s_and_b32 s15, s15, exec_lo
	s_or_saveexec_b32 s16, s16
	v_mov_b32_e32 v3, 0x7e00
	s_xor_b32 exec_lo, exec_lo, s16
	s_cbranch_execnz .LBB191_2353
.LBB191_2333:
	s_or_b32 exec_lo, exec_lo, s16
	s_and_saveexec_b32 s16, s15
	s_cbranch_execz .LBB191_2335
.LBB191_2334:
	v_and_b32_e32 v3, 0xffff, v5
	s_delay_alu instid0(VALU_DEP_1) | instskip(SKIP_1) | instid1(VALU_DEP_2)
	v_and_b32_e32 v7, 3, v3
	v_bfe_u32 v13, v3, 2, 5
	v_clz_i32_u32_e32 v9, v7
	s_delay_alu instid0(VALU_DEP_2) | instskip(NEXT) | instid1(VALU_DEP_2)
	v_cmp_eq_u32_e32 vcc_lo, 0, v13
	v_min_u32_e32 v9, 32, v9
	s_delay_alu instid0(VALU_DEP_1) | instskip(NEXT) | instid1(VALU_DEP_1)
	v_subrev_nc_u32_e32 v11, 29, v9
	v_dual_lshlrev_b32 v3, v11, v3 :: v_dual_sub_nc_u32 v9, 30, v9
	s_delay_alu instid0(VALU_DEP_1) | instskip(NEXT) | instid1(VALU_DEP_1)
	v_dual_lshlrev_b32 v5, 24, v5 :: v_dual_bitop2_b32 v3, 3, v3 bitop3:0x40
	v_dual_cndmask_b32 v3, v7, v3, vcc_lo :: v_dual_cndmask_b32 v9, v13, v9, vcc_lo
	s_delay_alu instid0(VALU_DEP_2) | instskip(NEXT) | instid1(VALU_DEP_2)
	v_and_b32_e32 v5, 0x80000000, v5
	v_lshlrev_b32_e32 v3, 21, v3
	s_delay_alu instid0(VALU_DEP_3) | instskip(NEXT) | instid1(VALU_DEP_1)
	v_lshl_add_u32 v7, v9, 23, 0x37800000
	v_or3_b32 v3, v5, v7, v3
	s_delay_alu instid0(VALU_DEP_1)
	v_cvt_f16_f32_e32 v3, v3
.LBB191_2335:
	s_or_b32 exec_lo, exec_lo, s16
	s_mov_b32 s15, 0
	s_branch .LBB191_2341
.LBB191_2336:
	s_mov_b32 s15, -1
                                        ; implicit-def: $vgpr3
	s_branch .LBB191_2347
.LBB191_2337:
	s_or_saveexec_b32 s17, s17
	v_mov_b32_e32 v3, 0x7e00
	s_xor_b32 exec_lo, exec_lo, s17
	s_cbranch_execz .LBB191_2321
.LBB191_2338:
	v_cmp_ne_u16_e32 vcc_lo, 0, v5
	v_mov_b32_e32 v3, v5
	s_and_not1_b32 s16, s16, exec_lo
	s_and_b32 s18, vcc_lo, exec_lo
	s_delay_alu instid0(SALU_CYCLE_1)
	s_or_b32 s16, s16, s18
	s_or_b32 exec_lo, exec_lo, s17
	s_and_saveexec_b32 s17, s16
	s_cbranch_execnz .LBB191_2322
	s_branch .LBB191_2323
.LBB191_2339:
	s_mov_b32 s15, -1
                                        ; implicit-def: $vgpr3
	s_branch .LBB191_2344
.LBB191_2340:
	s_mov_b32 s15, -1
                                        ; implicit-def: $vgpr3
.LBB191_2341:
	s_delay_alu instid0(SALU_CYCLE_1)
	s_and_b32 vcc_lo, exec_lo, s15
	s_cbranch_vccz .LBB191_2343
; %bb.2342:
	global_load_u8 v3, v[28:29], off
	s_wait_loadcnt 0x0
	v_lshlrev_b32_e32 v3, 24, v3
	s_delay_alu instid0(VALU_DEP_1) | instskip(NEXT) | instid1(VALU_DEP_1)
	v_and_b32_e32 v5, 0x7f000000, v3
	v_clz_i32_u32_e32 v7, v5
	v_add_nc_u32_e32 v11, 0x1000000, v5
	v_cmp_ne_u32_e32 vcc_lo, 0, v5
	s_delay_alu instid0(VALU_DEP_3) | instskip(NEXT) | instid1(VALU_DEP_1)
	v_min_u32_e32 v7, 32, v7
	v_sub_nc_u32_e64 v7, v7, 4 clamp
	s_delay_alu instid0(VALU_DEP_1) | instskip(NEXT) | instid1(VALU_DEP_1)
	v_dual_lshlrev_b32 v9, v7, v5 :: v_dual_lshlrev_b32 v7, 23, v7
	v_lshrrev_b32_e32 v9, 4, v9
	s_delay_alu instid0(VALU_DEP_1) | instskip(SKIP_1) | instid1(VALU_DEP_2)
	v_sub_nc_u32_e32 v7, v9, v7
	v_ashrrev_i32_e32 v9, 8, v11
	v_add_nc_u32_e32 v7, 0x3c000000, v7
	s_delay_alu instid0(VALU_DEP_1) | instskip(NEXT) | instid1(VALU_DEP_1)
	v_and_or_b32 v7, 0x7f800000, v9, v7
	v_cndmask_b32_e32 v5, 0, v7, vcc_lo
	s_delay_alu instid0(VALU_DEP_1) | instskip(NEXT) | instid1(VALU_DEP_1)
	v_and_or_b32 v3, 0x80000000, v3, v5
	v_cvt_f16_f32_e32 v3, v3
.LBB191_2343:
	s_mov_b32 s15, 0
.LBB191_2344:
	s_delay_alu instid0(SALU_CYCLE_1)
	s_and_not1_b32 vcc_lo, exec_lo, s15
	s_cbranch_vccnz .LBB191_2346
; %bb.2345:
	global_load_u8 v3, v[28:29], off
	s_wait_loadcnt 0x0
	v_lshlrev_b32_e32 v5, 25, v3
	v_lshlrev_b16 v3, 8, v3
	s_delay_alu instid0(VALU_DEP_1) | instskip(SKIP_1) | instid1(VALU_DEP_2)
	v_and_or_b32 v9, 0x7f00, v3, 0.5
	v_bfe_i32 v3, v3, 0, 16
	v_add_f32_e32 v9, -0.5, v9
	v_lshrrev_b32_e32 v7, 4, v5
	v_cmp_gt_u32_e32 vcc_lo, 0x8000000, v5
	s_delay_alu instid0(VALU_DEP_2) | instskip(NEXT) | instid1(VALU_DEP_1)
	v_or_b32_e32 v7, 0x70000000, v7
	v_mul_f32_e32 v7, 0x7800000, v7
	s_delay_alu instid0(VALU_DEP_1) | instskip(NEXT) | instid1(VALU_DEP_1)
	v_cndmask_b32_e32 v5, v7, v9, vcc_lo
	v_and_or_b32 v3, 0x80000000, v3, v5
	s_delay_alu instid0(VALU_DEP_1)
	v_cvt_f16_f32_e32 v3, v3
.LBB191_2346:
	s_mov_b32 s15, 0
	s_mov_b32 s16, -1
.LBB191_2347:
	s_and_not1_b32 vcc_lo, exec_lo, s15
	s_mov_b32 s15, 0
	s_cbranch_vccnz .LBB191_2358
; %bb.2348:
	s_cmp_gt_i32 s8, 14
	s_cbranch_scc0 .LBB191_2351
; %bb.2349:
	s_cmp_eq_u32 s8, 15
	s_cbranch_scc0 .LBB191_2354
; %bb.2350:
	global_load_u16 v3, v[28:29], off
	s_mov_b32 s9, 0
	s_mov_b32 s16, -1
	s_wait_loadcnt 0x0
	v_lshlrev_b32_e32 v3, 16, v3
	s_delay_alu instid0(VALU_DEP_1)
	v_cvt_f16_f32_e32 v3, v3
	s_branch .LBB191_2356
.LBB191_2351:
	s_mov_b32 s15, -1
	s_branch .LBB191_2355
.LBB191_2352:
	s_or_saveexec_b32 s16, s16
	v_mov_b32_e32 v3, 0x7e00
	s_xor_b32 exec_lo, exec_lo, s16
	s_cbranch_execz .LBB191_2333
.LBB191_2353:
	v_cmp_ne_u16_e32 vcc_lo, 0, v5
	v_mov_b32_e32 v3, v5
	s_and_not1_b32 s15, s15, exec_lo
	s_and_b32 s17, vcc_lo, exec_lo
	s_delay_alu instid0(SALU_CYCLE_1)
	s_or_b32 s15, s15, s17
	s_or_b32 exec_lo, exec_lo, s16
	s_and_saveexec_b32 s16, s15
	s_cbranch_execnz .LBB191_2334
	s_branch .LBB191_2335
.LBB191_2354:
	s_mov_b32 s9, -1
.LBB191_2355:
                                        ; implicit-def: $vgpr3
.LBB191_2356:
	s_and_b32 vcc_lo, exec_lo, s15
	s_mov_b32 s15, 0
	s_cbranch_vccz .LBB191_2358
; %bb.2357:
	s_cmp_lg_u32 s8, 11
	s_mov_b32 s15, -1
	s_cselect_b32 s9, -1, 0
.LBB191_2358:
	s_delay_alu instid0(SALU_CYCLE_1)
	s_and_b32 vcc_lo, exec_lo, s9
	s_cbranch_vccnz .LBB191_2421
; %bb.2359:
	s_and_not1_b32 vcc_lo, exec_lo, s15
	s_cbranch_vccnz .LBB191_2361
.LBB191_2360:
	global_load_u8 v3, v[28:29], off
	s_mov_b32 s16, -1
	s_wait_loadcnt 0x0
	v_cmp_ne_u16_e32 vcc_lo, 0, v3
	v_cndmask_b32_e64 v3, 0, 0x3c00, vcc_lo
.LBB191_2361:
	s_branch .LBB191_2287
.LBB191_2362:
	s_and_b32 s8, 0xffff, s14
	s_delay_alu instid0(SALU_CYCLE_1)
	s_cmp_lt_i32 s8, 5
	s_cbranch_scc1 .LBB191_2367
; %bb.2363:
	s_cmp_lt_i32 s8, 8
	s_cbranch_scc1 .LBB191_2368
; %bb.2364:
	;; [unrolled: 3-line block ×3, first 2 shown]
	s_cmp_gt_i32 s8, 9
	s_cbranch_scc0 .LBB191_2370
; %bb.2366:
	global_load_b64 v[30:31], v[28:29], off
	s_mov_b32 s9, 0
	s_wait_loadcnt 0x0
	v_and_or_b32 v3, 0x1ff, v31, v30
	v_lshrrev_b32_e32 v5, 8, v31
	v_bfe_u32 v7, v31, 20, 11
	s_delay_alu instid0(VALU_DEP_3) | instskip(NEXT) | instid1(VALU_DEP_2)
	v_cmp_ne_u32_e32 vcc_lo, 0, v3
	v_sub_nc_u32_e32 v9, 0x3f1, v7
	v_add_nc_u32_e32 v7, 0xfffffc10, v7
	v_cndmask_b32_e64 v3, 0, 1, vcc_lo
	s_delay_alu instid0(VALU_DEP_1) | instskip(NEXT) | instid1(VALU_DEP_4)
	v_and_or_b32 v3, 0xffe, v5, v3
	v_med3_i32 v5, v9, 0, 13
	s_delay_alu instid0(VALU_DEP_2) | instskip(NEXT) | instid1(VALU_DEP_1)
	v_or_b32_e32 v9, 0x1000, v3
	v_lshrrev_b32_e32 v11, v5, v9
	s_delay_alu instid0(VALU_DEP_1) | instskip(NEXT) | instid1(VALU_DEP_1)
	v_lshlrev_b32_e32 v5, v5, v11
	v_cmp_ne_u32_e32 vcc_lo, v5, v9
	v_lshl_or_b32 v9, v7, 12, v3
	v_cndmask_b32_e64 v5, 0, 1, vcc_lo
	v_cmp_gt_i32_e32 vcc_lo, 1, v7
	s_delay_alu instid0(VALU_DEP_2) | instskip(NEXT) | instid1(VALU_DEP_1)
	v_or_b32_e32 v5, v11, v5
	v_cndmask_b32_e32 v5, v9, v5, vcc_lo
	s_delay_alu instid0(VALU_DEP_1) | instskip(NEXT) | instid1(VALU_DEP_1)
	v_and_b32_e32 v9, 7, v5
	v_cmp_lt_i32_e32 vcc_lo, 5, v9
	v_cndmask_b32_e64 v11, 0, 1, vcc_lo
	v_cmp_eq_u32_e32 vcc_lo, 3, v9
	v_cndmask_b32_e64 v9, 0, 1, vcc_lo
	v_cmp_ne_u32_e32 vcc_lo, 0, v3
	s_delay_alu instid0(VALU_DEP_2) | instskip(SKIP_1) | instid1(VALU_DEP_2)
	v_dual_lshrrev_b32 v5, 2, v5 :: v_dual_bitop2_b32 v9, v9, v11 bitop3:0x54
	v_mov_b32_e32 v11, 0x7e00
	v_add_nc_u32_e32 v5, v5, v9
	s_delay_alu instid0(VALU_DEP_2) | instskip(SKIP_1) | instid1(VALU_DEP_3)
	v_cndmask_b32_e32 v3, 0x7c00, v11, vcc_lo
	v_cmp_gt_i32_e32 vcc_lo, 31, v7
	v_cndmask_b32_e32 v5, 0x7c00, v5, vcc_lo
	v_cmp_eq_u32_e32 vcc_lo, 0x40f, v7
	s_delay_alu instid0(VALU_DEP_2) | instskip(SKIP_1) | instid1(VALU_DEP_1)
	v_cndmask_b32_e32 v3, v5, v3, vcc_lo
	v_lshrrev_b32_e32 v5, 16, v31
	v_and_or_b32 v3, 0x8000, v5, v3
	s_branch .LBB191_2371
.LBB191_2367:
                                        ; implicit-def: $vgpr3
	s_branch .LBB191_2389
.LBB191_2368:
	s_mov_b32 s9, -1
                                        ; implicit-def: $vgpr3
	s_branch .LBB191_2377
.LBB191_2369:
	s_mov_b32 s9, -1
                                        ; implicit-def: $vgpr3
	s_branch .LBB191_2374
.LBB191_2370:
	s_mov_b32 s9, -1
                                        ; implicit-def: $vgpr3
.LBB191_2371:
	s_delay_alu instid0(SALU_CYCLE_1)
	s_and_not1_b32 vcc_lo, exec_lo, s9
	s_cbranch_vccnz .LBB191_2373
; %bb.2372:
	global_load_b32 v3, v[28:29], off
	s_wait_loadcnt 0x0
	v_cvt_f16_f32_e32 v3, v3
.LBB191_2373:
	s_mov_b32 s9, 0
.LBB191_2374:
	s_delay_alu instid0(SALU_CYCLE_1)
	s_and_not1_b32 vcc_lo, exec_lo, s9
	s_cbranch_vccnz .LBB191_2376
; %bb.2375:
	global_load_b32 v3, v[28:29], off
.LBB191_2376:
	s_mov_b32 s9, 0
.LBB191_2377:
	s_delay_alu instid0(SALU_CYCLE_1)
	s_and_not1_b32 vcc_lo, exec_lo, s9
	s_cbranch_vccnz .LBB191_2388
; %bb.2378:
	s_cmp_lt_i32 s8, 6
	s_cbranch_scc1 .LBB191_2381
; %bb.2379:
	s_cmp_gt_i32 s8, 6
	s_cbranch_scc0 .LBB191_2382
; %bb.2380:
	global_load_b64 v[30:31], v[28:29], off
	s_mov_b32 s9, 0
	s_wait_loadcnt 0x0
	v_and_or_b32 v3, 0x1ff, v31, v30
	v_lshrrev_b32_e32 v5, 8, v31
	v_bfe_u32 v7, v31, 20, 11
	s_delay_alu instid0(VALU_DEP_3) | instskip(NEXT) | instid1(VALU_DEP_2)
	v_cmp_ne_u32_e32 vcc_lo, 0, v3
	v_sub_nc_u32_e32 v9, 0x3f1, v7
	v_add_nc_u32_e32 v7, 0xfffffc10, v7
	v_cndmask_b32_e64 v3, 0, 1, vcc_lo
	s_delay_alu instid0(VALU_DEP_1) | instskip(NEXT) | instid1(VALU_DEP_4)
	v_and_or_b32 v3, 0xffe, v5, v3
	v_med3_i32 v5, v9, 0, 13
	s_delay_alu instid0(VALU_DEP_2) | instskip(NEXT) | instid1(VALU_DEP_1)
	v_or_b32_e32 v9, 0x1000, v3
	v_lshrrev_b32_e32 v11, v5, v9
	s_delay_alu instid0(VALU_DEP_1) | instskip(NEXT) | instid1(VALU_DEP_1)
	v_lshlrev_b32_e32 v5, v5, v11
	v_cmp_ne_u32_e32 vcc_lo, v5, v9
	v_lshl_or_b32 v9, v7, 12, v3
	v_cndmask_b32_e64 v5, 0, 1, vcc_lo
	v_cmp_gt_i32_e32 vcc_lo, 1, v7
	s_delay_alu instid0(VALU_DEP_2) | instskip(NEXT) | instid1(VALU_DEP_1)
	v_or_b32_e32 v5, v11, v5
	v_cndmask_b32_e32 v5, v9, v5, vcc_lo
	s_delay_alu instid0(VALU_DEP_1) | instskip(NEXT) | instid1(VALU_DEP_1)
	v_and_b32_e32 v9, 7, v5
	v_cmp_lt_i32_e32 vcc_lo, 5, v9
	v_cndmask_b32_e64 v11, 0, 1, vcc_lo
	v_cmp_eq_u32_e32 vcc_lo, 3, v9
	v_cndmask_b32_e64 v9, 0, 1, vcc_lo
	v_cmp_ne_u32_e32 vcc_lo, 0, v3
	s_delay_alu instid0(VALU_DEP_2) | instskip(SKIP_1) | instid1(VALU_DEP_2)
	v_dual_lshrrev_b32 v5, 2, v5 :: v_dual_bitop2_b32 v9, v9, v11 bitop3:0x54
	v_mov_b32_e32 v11, 0x7e00
	v_add_nc_u32_e32 v5, v5, v9
	s_delay_alu instid0(VALU_DEP_2) | instskip(SKIP_1) | instid1(VALU_DEP_3)
	v_cndmask_b32_e32 v3, 0x7c00, v11, vcc_lo
	v_cmp_gt_i32_e32 vcc_lo, 31, v7
	v_cndmask_b32_e32 v5, 0x7c00, v5, vcc_lo
	v_cmp_eq_u32_e32 vcc_lo, 0x40f, v7
	s_delay_alu instid0(VALU_DEP_2) | instskip(SKIP_1) | instid1(VALU_DEP_1)
	v_cndmask_b32_e32 v3, v5, v3, vcc_lo
	v_lshrrev_b32_e32 v5, 16, v31
	v_and_or_b32 v3, 0x8000, v5, v3
	s_branch .LBB191_2383
.LBB191_2381:
	s_mov_b32 s9, -1
                                        ; implicit-def: $vgpr3
	s_branch .LBB191_2386
.LBB191_2382:
	s_mov_b32 s9, -1
                                        ; implicit-def: $vgpr3
.LBB191_2383:
	s_delay_alu instid0(SALU_CYCLE_1)
	s_and_not1_b32 vcc_lo, exec_lo, s9
	s_cbranch_vccnz .LBB191_2385
; %bb.2384:
	s_wait_loadcnt 0x0
	global_load_b32 v3, v[28:29], off
	s_wait_loadcnt 0x0
	v_cvt_f16_f32_e32 v3, v3
.LBB191_2385:
	s_mov_b32 s9, 0
.LBB191_2386:
	s_delay_alu instid0(SALU_CYCLE_1)
	s_and_not1_b32 vcc_lo, exec_lo, s9
	s_cbranch_vccnz .LBB191_2388
; %bb.2387:
	s_wait_loadcnt 0x0
	global_load_u16 v3, v[28:29], off
.LBB191_2388:
	s_cbranch_execnz .LBB191_2408
.LBB191_2389:
	s_cmp_lt_i32 s8, 2
	s_cbranch_scc1 .LBB191_2393
; %bb.2390:
	s_cmp_lt_i32 s8, 3
	s_cbranch_scc1 .LBB191_2394
; %bb.2391:
	s_cmp_gt_i32 s8, 3
	s_cbranch_scc0 .LBB191_2395
; %bb.2392:
	global_load_b64 v[30:31], v[28:29], off
	s_mov_b32 s9, 0
	s_wait_loadcnt 0x0
	v_xor_b32_e32 v3, v30, v31
	v_cls_i32_e32 v5, v31
	s_delay_alu instid0(VALU_DEP_2) | instskip(NEXT) | instid1(VALU_DEP_1)
	v_ashrrev_i32_e32 v3, 31, v3
	v_add_nc_u32_e32 v3, 32, v3
	s_delay_alu instid0(VALU_DEP_1) | instskip(NEXT) | instid1(VALU_DEP_1)
	v_add_min_u32_e64 v3, v5, -1, v3
	v_lshlrev_b64_e32 v[30:31], v3, v[30:31]
	v_sub_nc_u32_e32 v3, 32, v3
	s_delay_alu instid0(VALU_DEP_2) | instskip(NEXT) | instid1(VALU_DEP_1)
	v_min_u32_e32 v5, 1, v30
	v_or_b32_e32 v5, v31, v5
	s_delay_alu instid0(VALU_DEP_1) | instskip(NEXT) | instid1(VALU_DEP_1)
	v_cvt_f32_i32_e32 v5, v5
	v_ldexp_f32 v3, v5, v3
	s_delay_alu instid0(VALU_DEP_1)
	v_cvt_f16_f32_e32 v3, v3
	s_branch .LBB191_2396
.LBB191_2393:
	s_mov_b32 s9, -1
                                        ; implicit-def: $vgpr3
	s_branch .LBB191_2402
.LBB191_2394:
	s_mov_b32 s9, -1
                                        ; implicit-def: $vgpr3
	s_branch .LBB191_2399
.LBB191_2395:
	s_mov_b32 s9, -1
                                        ; implicit-def: $vgpr3
.LBB191_2396:
	s_delay_alu instid0(SALU_CYCLE_1)
	s_and_not1_b32 vcc_lo, exec_lo, s9
	s_cbranch_vccnz .LBB191_2398
; %bb.2397:
	s_wait_loadcnt 0x0
	global_load_b32 v3, v[28:29], off
	s_wait_loadcnt 0x0
	v_cvt_f32_i32_e32 v3, v3
	s_delay_alu instid0(VALU_DEP_1)
	v_cvt_f16_f32_e32 v3, v3
.LBB191_2398:
	s_mov_b32 s9, 0
.LBB191_2399:
	s_delay_alu instid0(SALU_CYCLE_1)
	s_and_not1_b32 vcc_lo, exec_lo, s9
	s_cbranch_vccnz .LBB191_2401
; %bb.2400:
	s_wait_loadcnt 0x0
	global_load_u16 v3, v[28:29], off
	s_wait_loadcnt 0x0
	v_cvt_f16_i16_e32 v3, v3
.LBB191_2401:
	s_mov_b32 s9, 0
.LBB191_2402:
	s_delay_alu instid0(SALU_CYCLE_1)
	s_and_not1_b32 vcc_lo, exec_lo, s9
	s_cbranch_vccnz .LBB191_2408
; %bb.2403:
	s_cmp_gt_i32 s8, 0
	s_mov_b32 s8, 0
	s_cbranch_scc0 .LBB191_2405
; %bb.2404:
	s_wait_loadcnt 0x0
	global_load_i8 v3, v[28:29], off
	s_wait_loadcnt 0x0
	v_cvt_f16_i16_e32 v3, v3
	s_branch .LBB191_2406
.LBB191_2405:
	s_mov_b32 s8, -1
                                        ; implicit-def: $vgpr3
.LBB191_2406:
	s_delay_alu instid0(SALU_CYCLE_1)
	s_and_not1_b32 vcc_lo, exec_lo, s8
	s_cbranch_vccnz .LBB191_2408
; %bb.2407:
	s_wait_loadcnt 0x0
	global_load_u8 v3, v[28:29], off
	s_wait_loadcnt 0x0
	v_cvt_f16_u16_e32 v3, v3
.LBB191_2408:
.LBB191_2409:
	v_mov_b32_e32 v27, 0
	s_load_b64 s[8:9], s[2:3], 0x1e0
	global_load_u8 v5, v27, s[2:3] offset:495
	s_wait_kmcnt 0x0
	v_add_nc_u64_e32 v[26:27], s[8:9], v[26:27]
	s_wait_loadcnt 0x0
	v_and_b32_e32 v7, 0xffff, v5
	v_readfirstlane_b32 s15, v5
	s_delay_alu instid0(VALU_DEP_2)
	v_cmp_gt_i32_e32 vcc_lo, 11, v7
	s_cbranch_vccnz .LBB191_2416
; %bb.2410:
	s_and_b32 s16, 0xffff, s15
	s_mov_b32 s18, 0
	s_cmp_gt_i32 s16, 25
	s_cbranch_scc0 .LBB191_2418
; %bb.2411:
	s_cmp_gt_i32 s16, 28
	s_cbranch_scc0 .LBB191_2419
; %bb.2412:
	;; [unrolled: 3-line block ×4, first 2 shown]
	s_cmp_eq_u32 s16, 46
	s_mov_b32 s20, 0
	s_cbranch_scc0 .LBB191_2423
; %bb.2415:
	global_load_b32 v5, v[26:27], off
	s_mov_b32 s17, 0
	s_mov_b32 s19, -1
	s_wait_loadcnt 0x0
	v_lshlrev_b32_e32 v5, 16, v5
	s_delay_alu instid0(VALU_DEP_1)
	v_cvt_f16_f32_e32 v5, v5
	s_branch .LBB191_2425
.LBB191_2416:
	s_mov_b32 s19, 0
                                        ; implicit-def: $vgpr5
	s_cbranch_execnz .LBB191_2491
.LBB191_2417:
	s_and_not1_b32 vcc_lo, exec_lo, s19
	s_cbranch_vccnz .LBB191_4155
	s_branch .LBB191_2539
.LBB191_2418:
	s_mov_b32 s20, -1
	s_mov_b32 s19, 0
	s_mov_b32 s17, 0
                                        ; implicit-def: $vgpr5
	s_branch .LBB191_2454
.LBB191_2419:
	s_mov_b32 s20, -1
	s_mov_b32 s19, 0
	s_mov_b32 s17, 0
                                        ; implicit-def: $vgpr5
	s_branch .LBB191_2435
.LBB191_2420:
	s_mov_b32 s20, -1
	s_mov_b32 s19, 0
	s_mov_b32 s17, 0
                                        ; implicit-def: $vgpr5
	s_branch .LBB191_2430
.LBB191_2421:
	s_or_b32 s12, s12, exec_lo
	s_trap 2
	s_cbranch_execz .LBB191_2360
	s_branch .LBB191_2361
.LBB191_2422:
	s_mov_b32 s20, -1
	s_mov_b32 s19, 0
	s_mov_b32 s17, 0
	s_branch .LBB191_2424
.LBB191_2423:
	s_mov_b32 s17, -1
	s_mov_b32 s19, 0
.LBB191_2424:
                                        ; implicit-def: $vgpr5
.LBB191_2425:
	s_and_b32 vcc_lo, exec_lo, s20
	s_cbranch_vccz .LBB191_2429
; %bb.2426:
	s_cmp_eq_u32 s16, 44
	s_cbranch_scc0 .LBB191_2428
; %bb.2427:
	global_load_u8 v5, v[26:27], off
	s_mov_b32 s17, 0
	s_mov_b32 s19, -1
	s_wait_loadcnt 0x0
	v_lshlrev_b32_e32 v7, 23, v5
	v_cmp_ne_u32_e32 vcc_lo, 0xff, v5
	s_delay_alu instid0(VALU_DEP_2) | instskip(NEXT) | instid1(VALU_DEP_1)
	v_cvt_f16_f32_e32 v7, v7
	v_cndmask_b32_e32 v7, 0x7e00, v7, vcc_lo
	v_cmp_ne_u32_e32 vcc_lo, 0, v5
	s_delay_alu instid0(VALU_DEP_2)
	v_cndmask_b32_e32 v5, 0, v7, vcc_lo
	s_branch .LBB191_2429
.LBB191_2428:
	s_mov_b32 s17, -1
                                        ; implicit-def: $vgpr5
.LBB191_2429:
	s_mov_b32 s20, 0
.LBB191_2430:
	s_delay_alu instid0(SALU_CYCLE_1)
	s_and_b32 vcc_lo, exec_lo, s20
	s_cbranch_vccz .LBB191_2434
; %bb.2431:
	s_cmp_eq_u32 s16, 29
	s_cbranch_scc0 .LBB191_2433
; %bb.2432:
	global_load_b64 v[28:29], v[26:27], off
	s_mov_b32 s17, 0
	s_mov_b32 s19, -1
	s_mov_b32 s20, 0
	s_wait_loadcnt 0x0
	v_clz_i32_u32_e32 v5, v29
	s_delay_alu instid0(VALU_DEP_1) | instskip(NEXT) | instid1(VALU_DEP_1)
	v_min_u32_e32 v5, 32, v5
	v_lshlrev_b64_e32 v[28:29], v5, v[28:29]
	v_sub_nc_u32_e32 v5, 32, v5
	s_delay_alu instid0(VALU_DEP_2) | instskip(NEXT) | instid1(VALU_DEP_1)
	v_min_u32_e32 v7, 1, v28
	v_or_b32_e32 v7, v29, v7
	s_delay_alu instid0(VALU_DEP_1) | instskip(NEXT) | instid1(VALU_DEP_1)
	v_cvt_f32_u32_e32 v7, v7
	v_ldexp_f32 v5, v7, v5
	s_delay_alu instid0(VALU_DEP_1)
	v_cvt_f16_f32_e32 v5, v5
	s_branch .LBB191_2435
.LBB191_2433:
	s_mov_b32 s17, -1
                                        ; implicit-def: $vgpr5
.LBB191_2434:
	s_mov_b32 s20, 0
.LBB191_2435:
	s_delay_alu instid0(SALU_CYCLE_1)
	s_and_b32 vcc_lo, exec_lo, s20
	s_cbranch_vccz .LBB191_2453
; %bb.2436:
	s_cmp_lt_i32 s16, 27
	s_cbranch_scc1 .LBB191_2439
; %bb.2437:
	s_cmp_gt_i32 s16, 27
	s_cbranch_scc0 .LBB191_2440
; %bb.2438:
	global_load_b32 v5, v[26:27], off
	s_mov_b32 s19, 0
	s_wait_loadcnt 0x0
	v_cvt_f32_u32_e32 v5, v5
	s_delay_alu instid0(VALU_DEP_1)
	v_cvt_f16_f32_e32 v5, v5
	s_branch .LBB191_2441
.LBB191_2439:
	s_mov_b32 s19, -1
                                        ; implicit-def: $vgpr5
	s_branch .LBB191_2444
.LBB191_2440:
	s_mov_b32 s19, -1
                                        ; implicit-def: $vgpr5
.LBB191_2441:
	s_delay_alu instid0(SALU_CYCLE_1)
	s_and_not1_b32 vcc_lo, exec_lo, s19
	s_cbranch_vccnz .LBB191_2443
; %bb.2442:
	global_load_u16 v5, v[26:27], off
	s_wait_loadcnt 0x0
	v_cvt_f16_u16_e32 v5, v5
.LBB191_2443:
	s_mov_b32 s19, 0
.LBB191_2444:
	s_delay_alu instid0(SALU_CYCLE_1)
	s_and_not1_b32 vcc_lo, exec_lo, s19
	s_cbranch_vccnz .LBB191_2452
; %bb.2445:
	global_load_u8 v7, v[26:27], off
	s_mov_b32 s19, 0
	s_mov_b32 s20, exec_lo
	s_wait_loadcnt 0x0
	v_cmpx_lt_i16_e32 0x7f, v7
	s_xor_b32 s20, exec_lo, s20
	s_cbranch_execz .LBB191_2466
; %bb.2446:
	s_mov_b32 s19, -1
	s_mov_b32 s21, exec_lo
	v_cmpx_eq_u16_e32 0x80, v7
; %bb.2447:
	s_xor_b32 s19, exec_lo, -1
; %bb.2448:
	s_or_b32 exec_lo, exec_lo, s21
	s_delay_alu instid0(SALU_CYCLE_1)
	s_and_b32 s19, s19, exec_lo
	s_or_saveexec_b32 s20, s20
	v_mov_b32_e32 v5, 0x7e00
	s_xor_b32 exec_lo, exec_lo, s20
	s_cbranch_execnz .LBB191_2467
.LBB191_2449:
	s_or_b32 exec_lo, exec_lo, s20
	s_and_saveexec_b32 s20, s19
	s_cbranch_execz .LBB191_2451
.LBB191_2450:
	v_and_b32_e32 v5, 0xffff, v7
	s_delay_alu instid0(VALU_DEP_1) | instskip(SKIP_1) | instid1(VALU_DEP_2)
	v_and_b32_e32 v9, 7, v5
	v_bfe_u32 v15, v5, 3, 4
	v_clz_i32_u32_e32 v11, v9
	s_delay_alu instid0(VALU_DEP_2) | instskip(NEXT) | instid1(VALU_DEP_2)
	v_cmp_eq_u32_e32 vcc_lo, 0, v15
	v_min_u32_e32 v11, 32, v11
	s_delay_alu instid0(VALU_DEP_1) | instskip(NEXT) | instid1(VALU_DEP_1)
	v_subrev_nc_u32_e32 v13, 28, v11
	v_dual_lshlrev_b32 v5, v13, v5 :: v_dual_sub_nc_u32 v11, 29, v11
	s_delay_alu instid0(VALU_DEP_1) | instskip(NEXT) | instid1(VALU_DEP_1)
	v_dual_lshlrev_b32 v7, 24, v7 :: v_dual_bitop2_b32 v5, 7, v5 bitop3:0x40
	v_dual_cndmask_b32 v5, v9, v5, vcc_lo :: v_dual_cndmask_b32 v11, v15, v11, vcc_lo
	s_delay_alu instid0(VALU_DEP_2) | instskip(NEXT) | instid1(VALU_DEP_2)
	v_and_b32_e32 v7, 0x80000000, v7
	v_lshlrev_b32_e32 v5, 20, v5
	s_delay_alu instid0(VALU_DEP_3) | instskip(NEXT) | instid1(VALU_DEP_1)
	v_lshl_add_u32 v9, v11, 23, 0x3b800000
	v_or3_b32 v5, v7, v9, v5
	s_delay_alu instid0(VALU_DEP_1)
	v_cvt_f16_f32_e32 v5, v5
.LBB191_2451:
	s_or_b32 exec_lo, exec_lo, s20
.LBB191_2452:
	s_mov_b32 s19, -1
.LBB191_2453:
	s_mov_b32 s20, 0
.LBB191_2454:
	s_delay_alu instid0(SALU_CYCLE_1)
	s_and_b32 vcc_lo, exec_lo, s20
	s_cbranch_vccz .LBB191_2487
; %bb.2455:
	s_cmp_gt_i32 s16, 22
	s_cbranch_scc0 .LBB191_2465
; %bb.2456:
	s_cmp_lt_i32 s16, 24
	s_cbranch_scc1 .LBB191_2468
; %bb.2457:
	s_cmp_gt_i32 s16, 24
	s_cbranch_scc0 .LBB191_2469
; %bb.2458:
	global_load_u8 v7, v[26:27], off
	s_mov_b32 s19, exec_lo
	s_wait_loadcnt 0x0
	v_cmpx_lt_i16_e32 0x7f, v7
	s_xor_b32 s19, exec_lo, s19
	s_cbranch_execz .LBB191_2481
; %bb.2459:
	s_mov_b32 s18, -1
	s_mov_b32 s20, exec_lo
	v_cmpx_eq_u16_e32 0x80, v7
; %bb.2460:
	s_xor_b32 s18, exec_lo, -1
; %bb.2461:
	s_or_b32 exec_lo, exec_lo, s20
	s_delay_alu instid0(SALU_CYCLE_1)
	s_and_b32 s18, s18, exec_lo
	s_or_saveexec_b32 s19, s19
	v_mov_b32_e32 v5, 0x7e00
	s_xor_b32 exec_lo, exec_lo, s19
	s_cbranch_execnz .LBB191_2482
.LBB191_2462:
	s_or_b32 exec_lo, exec_lo, s19
	s_and_saveexec_b32 s19, s18
	s_cbranch_execz .LBB191_2464
.LBB191_2463:
	v_and_b32_e32 v5, 0xffff, v7
	s_delay_alu instid0(VALU_DEP_1) | instskip(SKIP_1) | instid1(VALU_DEP_2)
	v_and_b32_e32 v9, 3, v5
	v_bfe_u32 v15, v5, 2, 5
	v_clz_i32_u32_e32 v11, v9
	s_delay_alu instid0(VALU_DEP_2) | instskip(NEXT) | instid1(VALU_DEP_2)
	v_cmp_eq_u32_e32 vcc_lo, 0, v15
	v_min_u32_e32 v11, 32, v11
	s_delay_alu instid0(VALU_DEP_1) | instskip(NEXT) | instid1(VALU_DEP_1)
	v_subrev_nc_u32_e32 v13, 29, v11
	v_dual_lshlrev_b32 v5, v13, v5 :: v_dual_sub_nc_u32 v11, 30, v11
	s_delay_alu instid0(VALU_DEP_1) | instskip(NEXT) | instid1(VALU_DEP_1)
	v_dual_lshlrev_b32 v7, 24, v7 :: v_dual_bitop2_b32 v5, 3, v5 bitop3:0x40
	v_dual_cndmask_b32 v5, v9, v5, vcc_lo :: v_dual_cndmask_b32 v11, v15, v11, vcc_lo
	s_delay_alu instid0(VALU_DEP_2) | instskip(NEXT) | instid1(VALU_DEP_2)
	v_and_b32_e32 v7, 0x80000000, v7
	v_lshlrev_b32_e32 v5, 21, v5
	s_delay_alu instid0(VALU_DEP_3) | instskip(NEXT) | instid1(VALU_DEP_1)
	v_lshl_add_u32 v9, v11, 23, 0x37800000
	v_or3_b32 v5, v7, v9, v5
	s_delay_alu instid0(VALU_DEP_1)
	v_cvt_f16_f32_e32 v5, v5
.LBB191_2464:
	s_or_b32 exec_lo, exec_lo, s19
	s_mov_b32 s18, 0
	s_branch .LBB191_2470
.LBB191_2465:
	s_mov_b32 s18, -1
                                        ; implicit-def: $vgpr5
	s_branch .LBB191_2476
.LBB191_2466:
	s_or_saveexec_b32 s20, s20
	v_mov_b32_e32 v5, 0x7e00
	s_xor_b32 exec_lo, exec_lo, s20
	s_cbranch_execz .LBB191_2449
.LBB191_2467:
	v_cmp_ne_u16_e32 vcc_lo, 0, v7
	v_mov_b32_e32 v5, v7
	s_and_not1_b32 s19, s19, exec_lo
	s_and_b32 s21, vcc_lo, exec_lo
	s_delay_alu instid0(SALU_CYCLE_1)
	s_or_b32 s19, s19, s21
	s_or_b32 exec_lo, exec_lo, s20
	s_and_saveexec_b32 s20, s19
	s_cbranch_execnz .LBB191_2450
	s_branch .LBB191_2451
.LBB191_2468:
	s_mov_b32 s18, -1
                                        ; implicit-def: $vgpr5
	s_branch .LBB191_2473
.LBB191_2469:
	s_mov_b32 s18, -1
                                        ; implicit-def: $vgpr5
.LBB191_2470:
	s_delay_alu instid0(SALU_CYCLE_1)
	s_and_b32 vcc_lo, exec_lo, s18
	s_cbranch_vccz .LBB191_2472
; %bb.2471:
	global_load_u8 v5, v[26:27], off
	s_wait_loadcnt 0x0
	v_lshlrev_b32_e32 v5, 24, v5
	s_delay_alu instid0(VALU_DEP_1) | instskip(NEXT) | instid1(VALU_DEP_1)
	v_and_b32_e32 v7, 0x7f000000, v5
	v_clz_i32_u32_e32 v9, v7
	v_add_nc_u32_e32 v13, 0x1000000, v7
	v_cmp_ne_u32_e32 vcc_lo, 0, v7
	s_delay_alu instid0(VALU_DEP_3) | instskip(NEXT) | instid1(VALU_DEP_1)
	v_min_u32_e32 v9, 32, v9
	v_sub_nc_u32_e64 v9, v9, 4 clamp
	s_delay_alu instid0(VALU_DEP_1) | instskip(NEXT) | instid1(VALU_DEP_1)
	v_dual_lshlrev_b32 v11, v9, v7 :: v_dual_lshlrev_b32 v9, 23, v9
	v_lshrrev_b32_e32 v11, 4, v11
	s_delay_alu instid0(VALU_DEP_1) | instskip(SKIP_1) | instid1(VALU_DEP_2)
	v_sub_nc_u32_e32 v9, v11, v9
	v_ashrrev_i32_e32 v11, 8, v13
	v_add_nc_u32_e32 v9, 0x3c000000, v9
	s_delay_alu instid0(VALU_DEP_1) | instskip(NEXT) | instid1(VALU_DEP_1)
	v_and_or_b32 v9, 0x7f800000, v11, v9
	v_cndmask_b32_e32 v7, 0, v9, vcc_lo
	s_delay_alu instid0(VALU_DEP_1) | instskip(NEXT) | instid1(VALU_DEP_1)
	v_and_or_b32 v5, 0x80000000, v5, v7
	v_cvt_f16_f32_e32 v5, v5
.LBB191_2472:
	s_mov_b32 s18, 0
.LBB191_2473:
	s_delay_alu instid0(SALU_CYCLE_1)
	s_and_not1_b32 vcc_lo, exec_lo, s18
	s_cbranch_vccnz .LBB191_2475
; %bb.2474:
	global_load_u8 v5, v[26:27], off
	s_wait_loadcnt 0x0
	v_lshlrev_b32_e32 v7, 25, v5
	v_lshlrev_b16 v5, 8, v5
	s_delay_alu instid0(VALU_DEP_1) | instskip(SKIP_1) | instid1(VALU_DEP_2)
	v_and_or_b32 v11, 0x7f00, v5, 0.5
	v_bfe_i32 v5, v5, 0, 16
	v_add_f32_e32 v11, -0.5, v11
	v_lshrrev_b32_e32 v9, 4, v7
	v_cmp_gt_u32_e32 vcc_lo, 0x8000000, v7
	s_delay_alu instid0(VALU_DEP_2) | instskip(NEXT) | instid1(VALU_DEP_1)
	v_or_b32_e32 v9, 0x70000000, v9
	v_mul_f32_e32 v9, 0x7800000, v9
	s_delay_alu instid0(VALU_DEP_1) | instskip(NEXT) | instid1(VALU_DEP_1)
	v_cndmask_b32_e32 v7, v9, v11, vcc_lo
	v_and_or_b32 v5, 0x80000000, v5, v7
	s_delay_alu instid0(VALU_DEP_1)
	v_cvt_f16_f32_e32 v5, v5
.LBB191_2475:
	s_mov_b32 s18, 0
	s_mov_b32 s19, -1
.LBB191_2476:
	s_and_not1_b32 vcc_lo, exec_lo, s18
	s_mov_b32 s18, 0
	s_cbranch_vccnz .LBB191_2487
; %bb.2477:
	s_cmp_gt_i32 s16, 14
	s_cbranch_scc0 .LBB191_2480
; %bb.2478:
	s_cmp_eq_u32 s16, 15
	s_cbranch_scc0 .LBB191_2483
; %bb.2479:
	global_load_u16 v5, v[26:27], off
	s_mov_b32 s17, 0
	s_mov_b32 s19, -1
	s_wait_loadcnt 0x0
	v_lshlrev_b32_e32 v5, 16, v5
	s_delay_alu instid0(VALU_DEP_1)
	v_cvt_f16_f32_e32 v5, v5
	s_branch .LBB191_2485
.LBB191_2480:
	s_mov_b32 s18, -1
	s_branch .LBB191_2484
.LBB191_2481:
	s_or_saveexec_b32 s19, s19
	v_mov_b32_e32 v5, 0x7e00
	s_xor_b32 exec_lo, exec_lo, s19
	s_cbranch_execz .LBB191_2462
.LBB191_2482:
	v_cmp_ne_u16_e32 vcc_lo, 0, v7
	v_mov_b32_e32 v5, v7
	s_and_not1_b32 s18, s18, exec_lo
	s_and_b32 s20, vcc_lo, exec_lo
	s_delay_alu instid0(SALU_CYCLE_1)
	s_or_b32 s18, s18, s20
	s_or_b32 exec_lo, exec_lo, s19
	s_and_saveexec_b32 s19, s18
	s_cbranch_execnz .LBB191_2463
	s_branch .LBB191_2464
.LBB191_2483:
	s_mov_b32 s17, -1
.LBB191_2484:
                                        ; implicit-def: $vgpr5
.LBB191_2485:
	s_and_b32 vcc_lo, exec_lo, s18
	s_mov_b32 s18, 0
	s_cbranch_vccz .LBB191_2487
; %bb.2486:
	s_cmp_lg_u32 s16, 11
	s_mov_b32 s18, -1
	s_cselect_b32 s17, -1, 0
.LBB191_2487:
	s_delay_alu instid0(SALU_CYCLE_1)
	s_and_b32 vcc_lo, exec_lo, s17
	s_cbranch_vccnz .LBB191_2550
; %bb.2488:
	s_and_not1_b32 vcc_lo, exec_lo, s18
	s_cbranch_vccnz .LBB191_2490
.LBB191_2489:
	global_load_u8 v5, v[26:27], off
	s_mov_b32 s19, -1
	s_wait_loadcnt 0x0
	v_cmp_ne_u16_e32 vcc_lo, 0, v5
	v_cndmask_b32_e64 v5, 0, 0x3c00, vcc_lo
.LBB191_2490:
	s_branch .LBB191_2417
.LBB191_2491:
	s_and_b32 s16, 0xffff, s15
	s_delay_alu instid0(SALU_CYCLE_1)
	s_cmp_lt_i32 s16, 5
	s_cbranch_scc1 .LBB191_2496
; %bb.2492:
	s_cmp_lt_i32 s16, 8
	s_cbranch_scc1 .LBB191_2497
; %bb.2493:
	;; [unrolled: 3-line block ×3, first 2 shown]
	s_cmp_gt_i32 s16, 9
	s_cbranch_scc0 .LBB191_2499
; %bb.2495:
	global_load_b64 v[28:29], v[26:27], off
	s_mov_b32 s17, 0
	s_wait_loadcnt 0x0
	v_and_or_b32 v5, 0x1ff, v29, v28
	v_lshrrev_b32_e32 v7, 8, v29
	v_bfe_u32 v9, v29, 20, 11
	s_delay_alu instid0(VALU_DEP_3) | instskip(NEXT) | instid1(VALU_DEP_2)
	v_cmp_ne_u32_e32 vcc_lo, 0, v5
	v_sub_nc_u32_e32 v11, 0x3f1, v9
	v_add_nc_u32_e32 v9, 0xfffffc10, v9
	v_cndmask_b32_e64 v5, 0, 1, vcc_lo
	s_delay_alu instid0(VALU_DEP_1) | instskip(NEXT) | instid1(VALU_DEP_4)
	v_and_or_b32 v5, 0xffe, v7, v5
	v_med3_i32 v7, v11, 0, 13
	s_delay_alu instid0(VALU_DEP_2) | instskip(NEXT) | instid1(VALU_DEP_1)
	v_or_b32_e32 v11, 0x1000, v5
	v_lshrrev_b32_e32 v13, v7, v11
	s_delay_alu instid0(VALU_DEP_1) | instskip(NEXT) | instid1(VALU_DEP_1)
	v_lshlrev_b32_e32 v7, v7, v13
	v_cmp_ne_u32_e32 vcc_lo, v7, v11
	v_lshl_or_b32 v11, v9, 12, v5
	v_cndmask_b32_e64 v7, 0, 1, vcc_lo
	v_cmp_gt_i32_e32 vcc_lo, 1, v9
	s_delay_alu instid0(VALU_DEP_2) | instskip(NEXT) | instid1(VALU_DEP_1)
	v_or_b32_e32 v7, v13, v7
	v_cndmask_b32_e32 v7, v11, v7, vcc_lo
	s_delay_alu instid0(VALU_DEP_1) | instskip(NEXT) | instid1(VALU_DEP_1)
	v_and_b32_e32 v11, 7, v7
	v_cmp_lt_i32_e32 vcc_lo, 5, v11
	v_cndmask_b32_e64 v13, 0, 1, vcc_lo
	v_cmp_eq_u32_e32 vcc_lo, 3, v11
	v_cndmask_b32_e64 v11, 0, 1, vcc_lo
	v_cmp_ne_u32_e32 vcc_lo, 0, v5
	s_delay_alu instid0(VALU_DEP_2) | instskip(SKIP_1) | instid1(VALU_DEP_2)
	v_dual_lshrrev_b32 v7, 2, v7 :: v_dual_bitop2_b32 v11, v11, v13 bitop3:0x54
	v_mov_b32_e32 v13, 0x7e00
	v_add_nc_u32_e32 v7, v7, v11
	s_delay_alu instid0(VALU_DEP_2) | instskip(SKIP_1) | instid1(VALU_DEP_3)
	v_cndmask_b32_e32 v5, 0x7c00, v13, vcc_lo
	v_cmp_gt_i32_e32 vcc_lo, 31, v9
	v_cndmask_b32_e32 v7, 0x7c00, v7, vcc_lo
	v_cmp_eq_u32_e32 vcc_lo, 0x40f, v9
	s_delay_alu instid0(VALU_DEP_2) | instskip(SKIP_1) | instid1(VALU_DEP_1)
	v_cndmask_b32_e32 v5, v7, v5, vcc_lo
	v_lshrrev_b32_e32 v7, 16, v29
	v_and_or_b32 v5, 0x8000, v7, v5
	s_branch .LBB191_2500
.LBB191_2496:
	s_mov_b32 s17, -1
                                        ; implicit-def: $vgpr5
	s_branch .LBB191_2518
.LBB191_2497:
	s_mov_b32 s17, -1
                                        ; implicit-def: $vgpr5
	s_branch .LBB191_2506
.LBB191_2498:
	s_mov_b32 s17, -1
                                        ; implicit-def: $vgpr5
	s_branch .LBB191_2503
.LBB191_2499:
	s_mov_b32 s17, -1
                                        ; implicit-def: $vgpr5
.LBB191_2500:
	s_delay_alu instid0(SALU_CYCLE_1)
	s_and_not1_b32 vcc_lo, exec_lo, s17
	s_cbranch_vccnz .LBB191_2502
; %bb.2501:
	global_load_b32 v5, v[26:27], off
	s_wait_loadcnt 0x0
	v_cvt_f16_f32_e32 v5, v5
.LBB191_2502:
	s_mov_b32 s17, 0
.LBB191_2503:
	s_delay_alu instid0(SALU_CYCLE_1)
	s_and_not1_b32 vcc_lo, exec_lo, s17
	s_cbranch_vccnz .LBB191_2505
; %bb.2504:
	global_load_b32 v5, v[26:27], off
.LBB191_2505:
	s_mov_b32 s17, 0
.LBB191_2506:
	s_delay_alu instid0(SALU_CYCLE_1)
	s_and_not1_b32 vcc_lo, exec_lo, s17
	s_cbranch_vccnz .LBB191_2517
; %bb.2507:
	s_cmp_lt_i32 s16, 6
	s_cbranch_scc1 .LBB191_2510
; %bb.2508:
	s_cmp_gt_i32 s16, 6
	s_cbranch_scc0 .LBB191_2511
; %bb.2509:
	global_load_b64 v[28:29], v[26:27], off
	s_mov_b32 s17, 0
	s_wait_loadcnt 0x0
	v_and_or_b32 v5, 0x1ff, v29, v28
	v_lshrrev_b32_e32 v7, 8, v29
	v_bfe_u32 v9, v29, 20, 11
	s_delay_alu instid0(VALU_DEP_3) | instskip(NEXT) | instid1(VALU_DEP_2)
	v_cmp_ne_u32_e32 vcc_lo, 0, v5
	v_sub_nc_u32_e32 v11, 0x3f1, v9
	v_add_nc_u32_e32 v9, 0xfffffc10, v9
	v_cndmask_b32_e64 v5, 0, 1, vcc_lo
	s_delay_alu instid0(VALU_DEP_1) | instskip(NEXT) | instid1(VALU_DEP_4)
	v_and_or_b32 v5, 0xffe, v7, v5
	v_med3_i32 v7, v11, 0, 13
	s_delay_alu instid0(VALU_DEP_2) | instskip(NEXT) | instid1(VALU_DEP_1)
	v_or_b32_e32 v11, 0x1000, v5
	v_lshrrev_b32_e32 v13, v7, v11
	s_delay_alu instid0(VALU_DEP_1) | instskip(NEXT) | instid1(VALU_DEP_1)
	v_lshlrev_b32_e32 v7, v7, v13
	v_cmp_ne_u32_e32 vcc_lo, v7, v11
	v_lshl_or_b32 v11, v9, 12, v5
	v_cndmask_b32_e64 v7, 0, 1, vcc_lo
	v_cmp_gt_i32_e32 vcc_lo, 1, v9
	s_delay_alu instid0(VALU_DEP_2) | instskip(NEXT) | instid1(VALU_DEP_1)
	v_or_b32_e32 v7, v13, v7
	v_cndmask_b32_e32 v7, v11, v7, vcc_lo
	s_delay_alu instid0(VALU_DEP_1) | instskip(NEXT) | instid1(VALU_DEP_1)
	v_and_b32_e32 v11, 7, v7
	v_cmp_lt_i32_e32 vcc_lo, 5, v11
	v_cndmask_b32_e64 v13, 0, 1, vcc_lo
	v_cmp_eq_u32_e32 vcc_lo, 3, v11
	v_cndmask_b32_e64 v11, 0, 1, vcc_lo
	v_cmp_ne_u32_e32 vcc_lo, 0, v5
	s_delay_alu instid0(VALU_DEP_2) | instskip(SKIP_1) | instid1(VALU_DEP_2)
	v_dual_lshrrev_b32 v7, 2, v7 :: v_dual_bitop2_b32 v11, v11, v13 bitop3:0x54
	v_mov_b32_e32 v13, 0x7e00
	v_add_nc_u32_e32 v7, v7, v11
	s_delay_alu instid0(VALU_DEP_2) | instskip(SKIP_1) | instid1(VALU_DEP_3)
	v_cndmask_b32_e32 v5, 0x7c00, v13, vcc_lo
	v_cmp_gt_i32_e32 vcc_lo, 31, v9
	v_cndmask_b32_e32 v7, 0x7c00, v7, vcc_lo
	v_cmp_eq_u32_e32 vcc_lo, 0x40f, v9
	s_delay_alu instid0(VALU_DEP_2) | instskip(SKIP_1) | instid1(VALU_DEP_1)
	v_cndmask_b32_e32 v5, v7, v5, vcc_lo
	v_lshrrev_b32_e32 v7, 16, v29
	v_and_or_b32 v5, 0x8000, v7, v5
	s_branch .LBB191_2512
.LBB191_2510:
	s_mov_b32 s17, -1
                                        ; implicit-def: $vgpr5
	s_branch .LBB191_2515
.LBB191_2511:
	s_mov_b32 s17, -1
                                        ; implicit-def: $vgpr5
.LBB191_2512:
	s_delay_alu instid0(SALU_CYCLE_1)
	s_and_not1_b32 vcc_lo, exec_lo, s17
	s_cbranch_vccnz .LBB191_2514
; %bb.2513:
	s_wait_loadcnt 0x0
	global_load_b32 v5, v[26:27], off
	s_wait_loadcnt 0x0
	v_cvt_f16_f32_e32 v5, v5
.LBB191_2514:
	s_mov_b32 s17, 0
.LBB191_2515:
	s_delay_alu instid0(SALU_CYCLE_1)
	s_and_not1_b32 vcc_lo, exec_lo, s17
	s_cbranch_vccnz .LBB191_2517
; %bb.2516:
	s_wait_loadcnt 0x0
	global_load_u16 v5, v[26:27], off
.LBB191_2517:
	s_mov_b32 s17, 0
.LBB191_2518:
	s_delay_alu instid0(SALU_CYCLE_1)
	s_and_not1_b32 vcc_lo, exec_lo, s17
	s_cbranch_vccnz .LBB191_2538
; %bb.2519:
	s_cmp_lt_i32 s16, 2
	s_cbranch_scc1 .LBB191_2523
; %bb.2520:
	s_cmp_lt_i32 s16, 3
	s_cbranch_scc1 .LBB191_2524
; %bb.2521:
	s_cmp_gt_i32 s16, 3
	s_cbranch_scc0 .LBB191_2525
; %bb.2522:
	global_load_b64 v[28:29], v[26:27], off
	s_mov_b32 s17, 0
	s_wait_loadcnt 0x0
	v_xor_b32_e32 v5, v28, v29
	v_cls_i32_e32 v7, v29
	s_delay_alu instid0(VALU_DEP_2) | instskip(NEXT) | instid1(VALU_DEP_1)
	v_ashrrev_i32_e32 v5, 31, v5
	v_add_nc_u32_e32 v5, 32, v5
	s_delay_alu instid0(VALU_DEP_1) | instskip(NEXT) | instid1(VALU_DEP_1)
	v_add_min_u32_e64 v5, v7, -1, v5
	v_lshlrev_b64_e32 v[28:29], v5, v[28:29]
	v_sub_nc_u32_e32 v5, 32, v5
	s_delay_alu instid0(VALU_DEP_2) | instskip(NEXT) | instid1(VALU_DEP_1)
	v_min_u32_e32 v7, 1, v28
	v_or_b32_e32 v7, v29, v7
	s_delay_alu instid0(VALU_DEP_1) | instskip(NEXT) | instid1(VALU_DEP_1)
	v_cvt_f32_i32_e32 v7, v7
	v_ldexp_f32 v5, v7, v5
	s_delay_alu instid0(VALU_DEP_1)
	v_cvt_f16_f32_e32 v5, v5
	s_branch .LBB191_2526
.LBB191_2523:
	s_mov_b32 s17, -1
                                        ; implicit-def: $vgpr5
	s_branch .LBB191_2532
.LBB191_2524:
	s_mov_b32 s17, -1
                                        ; implicit-def: $vgpr5
	s_branch .LBB191_2529
.LBB191_2525:
	s_mov_b32 s17, -1
                                        ; implicit-def: $vgpr5
.LBB191_2526:
	s_delay_alu instid0(SALU_CYCLE_1)
	s_and_not1_b32 vcc_lo, exec_lo, s17
	s_cbranch_vccnz .LBB191_2528
; %bb.2527:
	s_wait_loadcnt 0x0
	global_load_b32 v5, v[26:27], off
	s_wait_loadcnt 0x0
	v_cvt_f32_i32_e32 v5, v5
	s_delay_alu instid0(VALU_DEP_1)
	v_cvt_f16_f32_e32 v5, v5
.LBB191_2528:
	s_mov_b32 s17, 0
.LBB191_2529:
	s_delay_alu instid0(SALU_CYCLE_1)
	s_and_not1_b32 vcc_lo, exec_lo, s17
	s_cbranch_vccnz .LBB191_2531
; %bb.2530:
	s_wait_loadcnt 0x0
	global_load_u16 v5, v[26:27], off
	s_wait_loadcnt 0x0
	v_cvt_f16_i16_e32 v5, v5
.LBB191_2531:
	s_mov_b32 s17, 0
.LBB191_2532:
	s_delay_alu instid0(SALU_CYCLE_1)
	s_and_not1_b32 vcc_lo, exec_lo, s17
	s_cbranch_vccnz .LBB191_2538
; %bb.2533:
	s_cmp_gt_i32 s16, 0
	s_mov_b32 s16, 0
	s_cbranch_scc0 .LBB191_2535
; %bb.2534:
	s_wait_loadcnt 0x0
	global_load_i8 v5, v[26:27], off
	s_wait_loadcnt 0x0
	v_cvt_f16_i16_e32 v5, v5
	s_branch .LBB191_2536
.LBB191_2535:
	s_mov_b32 s16, -1
                                        ; implicit-def: $vgpr5
.LBB191_2536:
	s_delay_alu instid0(SALU_CYCLE_1)
	s_and_not1_b32 vcc_lo, exec_lo, s16
	s_cbranch_vccnz .LBB191_2538
; %bb.2537:
	s_wait_loadcnt 0x0
	global_load_u8 v5, v[26:27], off
	s_wait_loadcnt 0x0
	v_cvt_f16_u16_e32 v5, v5
.LBB191_2538:
.LBB191_2539:
	v_mov_b32_e32 v25, 0
	s_and_b32 s13, 0xffff, s13
	s_delay_alu instid0(SALU_CYCLE_1) | instskip(NEXT) | instid1(VALU_DEP_1)
	s_cmp_lt_i32 s13, 11
	v_add_nc_u64_e32 v[24:25], s[6:7], v[24:25]
	s_cbranch_scc1 .LBB191_2546
; %bb.2540:
	s_cmp_gt_i32 s13, 25
	s_mov_b32 s17, 0
	s_cbranch_scc0 .LBB191_2547
; %bb.2541:
	s_cmp_gt_i32 s13, 28
	s_cbranch_scc0 .LBB191_2548
; %bb.2542:
	s_cmp_gt_i32 s13, 43
	;; [unrolled: 3-line block ×3, first 2 shown]
	s_cbranch_scc0 .LBB191_2551
; %bb.2544:
	s_cmp_eq_u32 s13, 46
	s_mov_b32 s19, 0
	s_cbranch_scc0 .LBB191_2552
; %bb.2545:
	global_load_b32 v7, v[24:25], off
	s_mov_b32 s16, 0
	s_mov_b32 s18, -1
	s_wait_loadcnt 0x0
	v_lshlrev_b32_e32 v7, 16, v7
	s_wait_xcnt 0x1
	s_delay_alu instid0(VALU_DEP_1)
	v_cvt_f16_f32_e32 v26, v7
	s_branch .LBB191_2554
.LBB191_2546:
	s_mov_b32 s16, -1
	s_mov_b32 s18, 0
                                        ; implicit-def: $vgpr26
	s_branch .LBB191_2620
.LBB191_2547:
	s_mov_b32 s19, -1
	s_mov_b32 s18, 0
	s_mov_b32 s16, 0
                                        ; implicit-def: $vgpr26
	s_branch .LBB191_2583
.LBB191_2548:
	s_mov_b32 s19, -1
	s_mov_b32 s18, 0
	s_mov_b32 s16, 0
                                        ; implicit-def: $vgpr26
	s_branch .LBB191_2564
.LBB191_2549:
	s_mov_b32 s19, -1
	s_mov_b32 s18, 0
	s_mov_b32 s16, 0
                                        ; implicit-def: $vgpr26
	s_branch .LBB191_2559
.LBB191_2550:
	s_or_b32 s12, s12, exec_lo
	s_trap 2
	s_cbranch_execz .LBB191_2489
	s_branch .LBB191_2490
.LBB191_2551:
	s_mov_b32 s19, -1
	s_mov_b32 s18, 0
	s_mov_b32 s16, 0
	s_branch .LBB191_2553
.LBB191_2552:
	s_mov_b32 s16, -1
	s_mov_b32 s18, 0
.LBB191_2553:
                                        ; implicit-def: $vgpr26
.LBB191_2554:
	s_and_b32 vcc_lo, exec_lo, s19
	s_cbranch_vccz .LBB191_2558
; %bb.2555:
	s_cmp_eq_u32 s13, 44
	s_cbranch_scc0 .LBB191_2557
; %bb.2556:
	global_load_u8 v7, v[24:25], off
	s_mov_b32 s16, 0
	s_mov_b32 s18, -1
	s_wait_loadcnt 0x0
	v_lshlrev_b32_e32 v9, 23, v7
	v_cmp_ne_u32_e32 vcc_lo, 0xff, v7
	s_delay_alu instid0(VALU_DEP_2) | instskip(NEXT) | instid1(VALU_DEP_1)
	v_cvt_f16_f32_e32 v9, v9
	v_cndmask_b32_e32 v9, 0x7e00, v9, vcc_lo
	v_cmp_ne_u32_e32 vcc_lo, 0, v7
	s_wait_xcnt 0x1
	s_delay_alu instid0(VALU_DEP_2)
	v_cndmask_b32_e32 v26, 0, v9, vcc_lo
	s_branch .LBB191_2558
.LBB191_2557:
	s_mov_b32 s16, -1
                                        ; implicit-def: $vgpr26
.LBB191_2558:
	s_mov_b32 s19, 0
.LBB191_2559:
	s_delay_alu instid0(SALU_CYCLE_1)
	s_and_b32 vcc_lo, exec_lo, s19
	s_cbranch_vccz .LBB191_2563
; %bb.2560:
	s_cmp_eq_u32 s13, 29
	s_cbranch_scc0 .LBB191_2562
; %bb.2561:
	global_load_b64 v[26:27], v[24:25], off
	s_mov_b32 s16, 0
	s_mov_b32 s18, -1
	s_mov_b32 s19, 0
	s_wait_loadcnt 0x0
	v_clz_i32_u32_e32 v7, v27
	s_delay_alu instid0(VALU_DEP_1) | instskip(NEXT) | instid1(VALU_DEP_1)
	v_min_u32_e32 v7, 32, v7
	v_lshlrev_b64_e32 v[26:27], v7, v[26:27]
	v_sub_nc_u32_e32 v7, 32, v7
	s_delay_alu instid0(VALU_DEP_2) | instskip(NEXT) | instid1(VALU_DEP_1)
	v_min_u32_e32 v9, 1, v26
	v_or_b32_e32 v9, v27, v9
	s_delay_alu instid0(VALU_DEP_1) | instskip(NEXT) | instid1(VALU_DEP_1)
	v_cvt_f32_u32_e32 v9, v9
	v_ldexp_f32 v7, v9, v7
	s_delay_alu instid0(VALU_DEP_1)
	v_cvt_f16_f32_e32 v26, v7
	s_branch .LBB191_2564
.LBB191_2562:
	s_mov_b32 s16, -1
                                        ; implicit-def: $vgpr26
.LBB191_2563:
	s_mov_b32 s19, 0
.LBB191_2564:
	s_delay_alu instid0(SALU_CYCLE_1)
	s_and_b32 vcc_lo, exec_lo, s19
	s_cbranch_vccz .LBB191_2582
; %bb.2565:
	s_cmp_lt_i32 s13, 27
	s_cbranch_scc1 .LBB191_2568
; %bb.2566:
	s_cmp_gt_i32 s13, 27
	s_cbranch_scc0 .LBB191_2569
; %bb.2567:
	global_load_b32 v7, v[24:25], off
	s_mov_b32 s18, 0
	s_wait_loadcnt 0x0
	v_cvt_f32_u32_e32 v7, v7
	s_wait_xcnt 0x1
	s_delay_alu instid0(VALU_DEP_1)
	v_cvt_f16_f32_e32 v26, v7
	s_branch .LBB191_2570
.LBB191_2568:
	s_mov_b32 s18, -1
                                        ; implicit-def: $vgpr26
	s_branch .LBB191_2573
.LBB191_2569:
	s_mov_b32 s18, -1
                                        ; implicit-def: $vgpr26
.LBB191_2570:
	s_delay_alu instid0(SALU_CYCLE_1)
	s_and_not1_b32 vcc_lo, exec_lo, s18
	s_cbranch_vccnz .LBB191_2572
; %bb.2571:
	global_load_u16 v7, v[24:25], off
	s_wait_loadcnt 0x0
	s_wait_xcnt 0x1
	v_cvt_f16_u16_e32 v26, v7
.LBB191_2572:
	s_mov_b32 s18, 0
.LBB191_2573:
	s_delay_alu instid0(SALU_CYCLE_1)
	s_and_not1_b32 vcc_lo, exec_lo, s18
	s_cbranch_vccnz .LBB191_2581
; %bb.2574:
	global_load_u8 v7, v[24:25], off
	s_mov_b32 s18, 0
	s_mov_b32 s19, exec_lo
	s_wait_loadcnt 0x0
	v_cmpx_lt_i16_e32 0x7f, v7
	s_xor_b32 s19, exec_lo, s19
	s_cbranch_execz .LBB191_2595
; %bb.2575:
	s_mov_b32 s18, -1
	s_mov_b32 s20, exec_lo
	v_cmpx_eq_u16_e32 0x80, v7
; %bb.2576:
	s_xor_b32 s18, exec_lo, -1
; %bb.2577:
	s_or_b32 exec_lo, exec_lo, s20
	s_delay_alu instid0(SALU_CYCLE_1)
	s_and_b32 s18, s18, exec_lo
	s_or_saveexec_b32 s19, s19
	v_mov_b32_e32 v26, 0x7e00
	s_xor_b32 exec_lo, exec_lo, s19
	s_cbranch_execnz .LBB191_2596
.LBB191_2578:
	s_or_b32 exec_lo, exec_lo, s19
	s_and_saveexec_b32 s19, s18
	s_cbranch_execz .LBB191_2580
.LBB191_2579:
	v_and_b32_e32 v9, 0xffff, v7
	s_delay_alu instid0(VALU_DEP_1) | instskip(SKIP_1) | instid1(VALU_DEP_2)
	v_dual_lshlrev_b32 v7, 24, v7 :: v_dual_bitop2_b32 v11, 7, v9 bitop3:0x40
	v_bfe_u32 v17, v9, 3, 4
	v_and_b32_e32 v7, 0x80000000, v7
	s_delay_alu instid0(VALU_DEP_3) | instskip(NEXT) | instid1(VALU_DEP_3)
	v_clz_i32_u32_e32 v13, v11
	v_cmp_eq_u32_e32 vcc_lo, 0, v17
	s_delay_alu instid0(VALU_DEP_2) | instskip(NEXT) | instid1(VALU_DEP_1)
	v_min_u32_e32 v13, 32, v13
	v_subrev_nc_u32_e32 v15, 28, v13
	v_sub_nc_u32_e32 v13, 29, v13
	s_delay_alu instid0(VALU_DEP_2) | instskip(NEXT) | instid1(VALU_DEP_2)
	v_lshlrev_b32_e32 v9, v15, v9
	v_cndmask_b32_e32 v13, v17, v13, vcc_lo
	s_delay_alu instid0(VALU_DEP_2) | instskip(NEXT) | instid1(VALU_DEP_1)
	v_and_b32_e32 v9, 7, v9
	v_cndmask_b32_e32 v9, v11, v9, vcc_lo
	s_delay_alu instid0(VALU_DEP_3) | instskip(NEXT) | instid1(VALU_DEP_2)
	v_lshl_add_u32 v11, v13, 23, 0x3b800000
	v_lshlrev_b32_e32 v9, 20, v9
	s_delay_alu instid0(VALU_DEP_1) | instskip(NEXT) | instid1(VALU_DEP_1)
	v_or3_b32 v7, v7, v11, v9
	v_cvt_f16_f32_e32 v26, v7
.LBB191_2580:
	s_or_b32 exec_lo, exec_lo, s19
.LBB191_2581:
	s_mov_b32 s18, -1
.LBB191_2582:
	s_mov_b32 s19, 0
.LBB191_2583:
	s_delay_alu instid0(SALU_CYCLE_1)
	s_and_b32 vcc_lo, exec_lo, s19
	s_cbranch_vccz .LBB191_2616
; %bb.2584:
	s_cmp_gt_i32 s13, 22
	s_cbranch_scc0 .LBB191_2594
; %bb.2585:
	s_cmp_lt_i32 s13, 24
	s_cbranch_scc1 .LBB191_2597
; %bb.2586:
	s_cmp_gt_i32 s13, 24
	s_cbranch_scc0 .LBB191_2598
; %bb.2587:
	global_load_u8 v7, v[24:25], off
	s_mov_b32 s18, exec_lo
	s_wait_loadcnt 0x0
	v_cmpx_lt_i16_e32 0x7f, v7
	s_xor_b32 s18, exec_lo, s18
	s_cbranch_execz .LBB191_2610
; %bb.2588:
	s_mov_b32 s17, -1
	s_mov_b32 s19, exec_lo
	v_cmpx_eq_u16_e32 0x80, v7
; %bb.2589:
	s_xor_b32 s17, exec_lo, -1
; %bb.2590:
	s_or_b32 exec_lo, exec_lo, s19
	s_delay_alu instid0(SALU_CYCLE_1)
	s_and_b32 s17, s17, exec_lo
	s_or_saveexec_b32 s18, s18
	v_mov_b32_e32 v26, 0x7e00
	s_xor_b32 exec_lo, exec_lo, s18
	s_cbranch_execnz .LBB191_2611
.LBB191_2591:
	s_or_b32 exec_lo, exec_lo, s18
	s_and_saveexec_b32 s18, s17
	s_cbranch_execz .LBB191_2593
.LBB191_2592:
	v_and_b32_e32 v9, 0xffff, v7
	s_delay_alu instid0(VALU_DEP_1) | instskip(SKIP_1) | instid1(VALU_DEP_2)
	v_dual_lshlrev_b32 v7, 24, v7 :: v_dual_bitop2_b32 v11, 3, v9 bitop3:0x40
	v_bfe_u32 v17, v9, 2, 5
	v_and_b32_e32 v7, 0x80000000, v7
	s_delay_alu instid0(VALU_DEP_3) | instskip(NEXT) | instid1(VALU_DEP_3)
	v_clz_i32_u32_e32 v13, v11
	v_cmp_eq_u32_e32 vcc_lo, 0, v17
	s_delay_alu instid0(VALU_DEP_2) | instskip(NEXT) | instid1(VALU_DEP_1)
	v_min_u32_e32 v13, 32, v13
	v_subrev_nc_u32_e32 v15, 29, v13
	v_sub_nc_u32_e32 v13, 30, v13
	s_delay_alu instid0(VALU_DEP_2) | instskip(NEXT) | instid1(VALU_DEP_2)
	v_lshlrev_b32_e32 v9, v15, v9
	v_cndmask_b32_e32 v13, v17, v13, vcc_lo
	s_delay_alu instid0(VALU_DEP_2) | instskip(NEXT) | instid1(VALU_DEP_1)
	v_and_b32_e32 v9, 3, v9
	v_cndmask_b32_e32 v9, v11, v9, vcc_lo
	s_delay_alu instid0(VALU_DEP_3) | instskip(NEXT) | instid1(VALU_DEP_2)
	v_lshl_add_u32 v11, v13, 23, 0x37800000
	v_lshlrev_b32_e32 v9, 21, v9
	s_delay_alu instid0(VALU_DEP_1) | instskip(NEXT) | instid1(VALU_DEP_1)
	v_or3_b32 v7, v7, v11, v9
	v_cvt_f16_f32_e32 v26, v7
.LBB191_2593:
	s_or_b32 exec_lo, exec_lo, s18
	s_mov_b32 s17, 0
	s_branch .LBB191_2599
.LBB191_2594:
	s_mov_b32 s17, -1
                                        ; implicit-def: $vgpr26
	s_branch .LBB191_2605
.LBB191_2595:
	s_or_saveexec_b32 s19, s19
	v_mov_b32_e32 v26, 0x7e00
	s_xor_b32 exec_lo, exec_lo, s19
	s_cbranch_execz .LBB191_2578
.LBB191_2596:
	v_cmp_ne_u16_e32 vcc_lo, 0, v7
	v_mov_b32_e32 v26, v7
	s_and_not1_b32 s18, s18, exec_lo
	s_and_b32 s20, vcc_lo, exec_lo
	s_delay_alu instid0(SALU_CYCLE_1)
	s_or_b32 s18, s18, s20
	s_or_b32 exec_lo, exec_lo, s19
	s_and_saveexec_b32 s19, s18
	s_cbranch_execnz .LBB191_2579
	s_branch .LBB191_2580
.LBB191_2597:
	s_mov_b32 s17, -1
                                        ; implicit-def: $vgpr26
	s_branch .LBB191_2602
.LBB191_2598:
	s_mov_b32 s17, -1
                                        ; implicit-def: $vgpr26
.LBB191_2599:
	s_delay_alu instid0(SALU_CYCLE_1)
	s_and_b32 vcc_lo, exec_lo, s17
	s_cbranch_vccz .LBB191_2601
; %bb.2600:
	global_load_u8 v7, v[24:25], off
	s_wait_loadcnt 0x0
	v_lshlrev_b32_e32 v7, 24, v7
	s_delay_alu instid0(VALU_DEP_1) | instskip(NEXT) | instid1(VALU_DEP_1)
	v_and_b32_e32 v9, 0x7f000000, v7
	v_clz_i32_u32_e32 v11, v9
	v_add_nc_u32_e32 v15, 0x1000000, v9
	v_cmp_ne_u32_e32 vcc_lo, 0, v9
	s_delay_alu instid0(VALU_DEP_3) | instskip(NEXT) | instid1(VALU_DEP_1)
	v_min_u32_e32 v11, 32, v11
	v_sub_nc_u32_e64 v11, v11, 4 clamp
	s_delay_alu instid0(VALU_DEP_1) | instskip(NEXT) | instid1(VALU_DEP_1)
	v_dual_lshlrev_b32 v13, v11, v9 :: v_dual_lshlrev_b32 v11, 23, v11
	v_lshrrev_b32_e32 v13, 4, v13
	s_delay_alu instid0(VALU_DEP_1) | instskip(SKIP_1) | instid1(VALU_DEP_2)
	v_sub_nc_u32_e32 v11, v13, v11
	v_ashrrev_i32_e32 v13, 8, v15
	v_add_nc_u32_e32 v11, 0x3c000000, v11
	s_delay_alu instid0(VALU_DEP_1) | instskip(NEXT) | instid1(VALU_DEP_1)
	v_and_or_b32 v11, 0x7f800000, v13, v11
	v_cndmask_b32_e32 v9, 0, v11, vcc_lo
	s_delay_alu instid0(VALU_DEP_1) | instskip(SKIP_1) | instid1(VALU_DEP_1)
	v_and_or_b32 v7, 0x80000000, v7, v9
	s_wait_xcnt 0x1
	v_cvt_f16_f32_e32 v26, v7
.LBB191_2601:
	s_mov_b32 s17, 0
.LBB191_2602:
	s_delay_alu instid0(SALU_CYCLE_1)
	s_and_not1_b32 vcc_lo, exec_lo, s17
	s_cbranch_vccnz .LBB191_2604
; %bb.2603:
	global_load_u8 v7, v[24:25], off
	s_wait_loadcnt 0x0
	v_lshlrev_b32_e32 v9, 25, v7
	v_lshlrev_b16 v7, 8, v7
	s_delay_alu instid0(VALU_DEP_1) | instskip(SKIP_1) | instid1(VALU_DEP_2)
	v_and_or_b32 v13, 0x7f00, v7, 0.5
	v_bfe_i32 v7, v7, 0, 16
	v_add_f32_e32 v13, -0.5, v13
	v_lshrrev_b32_e32 v11, 4, v9
	v_cmp_gt_u32_e32 vcc_lo, 0x8000000, v9
	s_delay_alu instid0(VALU_DEP_2) | instskip(NEXT) | instid1(VALU_DEP_1)
	v_or_b32_e32 v11, 0x70000000, v11
	v_mul_f32_e32 v11, 0x7800000, v11
	s_delay_alu instid0(VALU_DEP_1) | instskip(NEXT) | instid1(VALU_DEP_1)
	v_cndmask_b32_e32 v9, v11, v13, vcc_lo
	v_and_or_b32 v7, 0x80000000, v7, v9
	s_wait_xcnt 0x1
	s_delay_alu instid0(VALU_DEP_1)
	v_cvt_f16_f32_e32 v26, v7
.LBB191_2604:
	s_mov_b32 s17, 0
	s_mov_b32 s18, -1
.LBB191_2605:
	s_and_not1_b32 vcc_lo, exec_lo, s17
	s_mov_b32 s17, 0
	s_cbranch_vccnz .LBB191_2616
; %bb.2606:
	s_cmp_gt_i32 s13, 14
	s_cbranch_scc0 .LBB191_2609
; %bb.2607:
	s_cmp_eq_u32 s13, 15
	s_cbranch_scc0 .LBB191_2612
; %bb.2608:
	global_load_u16 v7, v[24:25], off
	s_mov_b32 s16, 0
	s_mov_b32 s18, -1
	s_wait_loadcnt 0x0
	v_lshlrev_b32_e32 v7, 16, v7
	s_wait_xcnt 0x1
	s_delay_alu instid0(VALU_DEP_1)
	v_cvt_f16_f32_e32 v26, v7
	s_branch .LBB191_2614
.LBB191_2609:
	s_mov_b32 s17, -1
	s_branch .LBB191_2613
.LBB191_2610:
	s_or_saveexec_b32 s18, s18
	v_mov_b32_e32 v26, 0x7e00
	s_xor_b32 exec_lo, exec_lo, s18
	s_cbranch_execz .LBB191_2591
.LBB191_2611:
	v_cmp_ne_u16_e32 vcc_lo, 0, v7
	v_mov_b32_e32 v26, v7
	s_and_not1_b32 s17, s17, exec_lo
	s_and_b32 s19, vcc_lo, exec_lo
	s_delay_alu instid0(SALU_CYCLE_1)
	s_or_b32 s17, s17, s19
	s_or_b32 exec_lo, exec_lo, s18
	s_and_saveexec_b32 s18, s17
	s_cbranch_execnz .LBB191_2592
	s_branch .LBB191_2593
.LBB191_2612:
	s_mov_b32 s16, -1
.LBB191_2613:
                                        ; implicit-def: $vgpr26
.LBB191_2614:
	s_and_b32 vcc_lo, exec_lo, s17
	s_mov_b32 s17, 0
	s_cbranch_vccz .LBB191_2616
; %bb.2615:
	s_cmp_lg_u32 s13, 11
	s_mov_b32 s17, -1
	s_cselect_b32 s16, -1, 0
.LBB191_2616:
	s_delay_alu instid0(SALU_CYCLE_1)
	s_and_b32 vcc_lo, exec_lo, s16
	s_cbranch_vccnz .LBB191_2681
; %bb.2617:
	s_and_not1_b32 vcc_lo, exec_lo, s17
	s_cbranch_vccnz .LBB191_2619
.LBB191_2618:
	global_load_u8 v7, v[24:25], off
	s_mov_b32 s18, -1
	s_wait_loadcnt 0x0
	v_cmp_ne_u16_e32 vcc_lo, 0, v7
	s_wait_xcnt 0x1
	v_cndmask_b32_e64 v26, 0, 0x3c00, vcc_lo
.LBB191_2619:
	s_mov_b32 s16, 0
.LBB191_2620:
	s_delay_alu instid0(SALU_CYCLE_1)
	s_and_b32 vcc_lo, exec_lo, s16
	s_cbranch_vccz .LBB191_2669
; %bb.2621:
	s_cmp_lt_i32 s13, 5
	s_cbranch_scc1 .LBB191_2626
; %bb.2622:
	s_cmp_lt_i32 s13, 8
	s_cbranch_scc1 .LBB191_2627
	;; [unrolled: 3-line block ×3, first 2 shown]
; %bb.2624:
	s_cmp_gt_i32 s13, 9
	s_cbranch_scc0 .LBB191_2629
; %bb.2625:
	global_load_b64 v[26:27], v[24:25], off
	s_mov_b32 s16, 0
	s_wait_loadcnt 0x0
	v_and_or_b32 v7, 0x1ff, v27, v26
	v_lshrrev_b32_e32 v9, 8, v27
	v_bfe_u32 v11, v27, 20, 11
	s_delay_alu instid0(VALU_DEP_3) | instskip(NEXT) | instid1(VALU_DEP_2)
	v_cmp_ne_u32_e32 vcc_lo, 0, v7
	v_sub_nc_u32_e32 v13, 0x3f1, v11
	v_add_nc_u32_e32 v11, 0xfffffc10, v11
	v_cndmask_b32_e64 v7, 0, 1, vcc_lo
	s_delay_alu instid0(VALU_DEP_1) | instskip(NEXT) | instid1(VALU_DEP_4)
	v_and_or_b32 v7, 0xffe, v9, v7
	v_med3_i32 v9, v13, 0, 13
	s_delay_alu instid0(VALU_DEP_2) | instskip(NEXT) | instid1(VALU_DEP_1)
	v_or_b32_e32 v13, 0x1000, v7
	v_lshrrev_b32_e32 v15, v9, v13
	s_delay_alu instid0(VALU_DEP_1) | instskip(NEXT) | instid1(VALU_DEP_1)
	v_lshlrev_b32_e32 v9, v9, v15
	v_cmp_ne_u32_e32 vcc_lo, v9, v13
	v_lshl_or_b32 v13, v11, 12, v7
	v_cndmask_b32_e64 v9, 0, 1, vcc_lo
	v_cmp_gt_i32_e32 vcc_lo, 1, v11
	s_delay_alu instid0(VALU_DEP_2) | instskip(NEXT) | instid1(VALU_DEP_1)
	v_or_b32_e32 v9, v15, v9
	v_cndmask_b32_e32 v9, v13, v9, vcc_lo
	s_delay_alu instid0(VALU_DEP_1) | instskip(NEXT) | instid1(VALU_DEP_1)
	v_and_b32_e32 v13, 7, v9
	v_cmp_lt_i32_e32 vcc_lo, 5, v13
	v_cndmask_b32_e64 v15, 0, 1, vcc_lo
	v_cmp_eq_u32_e32 vcc_lo, 3, v13
	v_cndmask_b32_e64 v13, 0, 1, vcc_lo
	v_cmp_ne_u32_e32 vcc_lo, 0, v7
	s_delay_alu instid0(VALU_DEP_2) | instskip(SKIP_1) | instid1(VALU_DEP_2)
	v_dual_lshrrev_b32 v9, 2, v9 :: v_dual_bitop2_b32 v13, v13, v15 bitop3:0x54
	v_mov_b32_e32 v15, 0x7e00
	v_add_nc_u32_e32 v9, v9, v13
	s_delay_alu instid0(VALU_DEP_2) | instskip(SKIP_1) | instid1(VALU_DEP_3)
	v_cndmask_b32_e32 v7, 0x7c00, v15, vcc_lo
	v_cmp_gt_i32_e32 vcc_lo, 31, v11
	v_cndmask_b32_e32 v9, 0x7c00, v9, vcc_lo
	v_cmp_eq_u32_e32 vcc_lo, 0x40f, v11
	s_delay_alu instid0(VALU_DEP_2) | instskip(SKIP_1) | instid1(VALU_DEP_1)
	v_cndmask_b32_e32 v7, v9, v7, vcc_lo
	v_lshrrev_b32_e32 v9, 16, v27
	v_and_or_b32 v26, 0x8000, v9, v7
	s_branch .LBB191_2630
.LBB191_2626:
	s_mov_b32 s16, -1
                                        ; implicit-def: $vgpr26
	s_branch .LBB191_2648
.LBB191_2627:
	s_mov_b32 s16, -1
                                        ; implicit-def: $vgpr26
	s_branch .LBB191_2636
.LBB191_2628:
	s_mov_b32 s16, -1
                                        ; implicit-def: $vgpr26
	s_branch .LBB191_2633
.LBB191_2629:
	s_mov_b32 s16, -1
                                        ; implicit-def: $vgpr26
.LBB191_2630:
	s_delay_alu instid0(SALU_CYCLE_1)
	s_and_not1_b32 vcc_lo, exec_lo, s16
	s_cbranch_vccnz .LBB191_2632
; %bb.2631:
	global_load_b32 v7, v[24:25], off
	s_wait_loadcnt 0x0
	s_wait_xcnt 0x1
	v_cvt_f16_f32_e32 v26, v7
.LBB191_2632:
	s_mov_b32 s16, 0
.LBB191_2633:
	s_delay_alu instid0(SALU_CYCLE_1)
	s_and_not1_b32 vcc_lo, exec_lo, s16
	s_cbranch_vccnz .LBB191_2635
; %bb.2634:
	global_load_b32 v26, v[24:25], off
.LBB191_2635:
	s_mov_b32 s16, 0
.LBB191_2636:
	s_delay_alu instid0(SALU_CYCLE_1)
	s_and_not1_b32 vcc_lo, exec_lo, s16
	s_cbranch_vccnz .LBB191_2647
; %bb.2637:
	s_cmp_lt_i32 s13, 6
	s_cbranch_scc1 .LBB191_2640
; %bb.2638:
	s_cmp_gt_i32 s13, 6
	s_cbranch_scc0 .LBB191_2641
; %bb.2639:
	s_wait_loadcnt 0x0
	global_load_b64 v[26:27], v[24:25], off
	s_mov_b32 s16, 0
	s_wait_loadcnt 0x0
	v_and_or_b32 v7, 0x1ff, v27, v26
	v_lshrrev_b32_e32 v9, 8, v27
	v_bfe_u32 v11, v27, 20, 11
	s_delay_alu instid0(VALU_DEP_3) | instskip(NEXT) | instid1(VALU_DEP_2)
	v_cmp_ne_u32_e32 vcc_lo, 0, v7
	v_sub_nc_u32_e32 v13, 0x3f1, v11
	v_add_nc_u32_e32 v11, 0xfffffc10, v11
	v_cndmask_b32_e64 v7, 0, 1, vcc_lo
	s_delay_alu instid0(VALU_DEP_1) | instskip(NEXT) | instid1(VALU_DEP_4)
	v_and_or_b32 v7, 0xffe, v9, v7
	v_med3_i32 v9, v13, 0, 13
	s_delay_alu instid0(VALU_DEP_2) | instskip(NEXT) | instid1(VALU_DEP_1)
	v_or_b32_e32 v13, 0x1000, v7
	v_lshrrev_b32_e32 v15, v9, v13
	s_delay_alu instid0(VALU_DEP_1) | instskip(NEXT) | instid1(VALU_DEP_1)
	v_lshlrev_b32_e32 v9, v9, v15
	v_cmp_ne_u32_e32 vcc_lo, v9, v13
	v_lshl_or_b32 v13, v11, 12, v7
	v_cndmask_b32_e64 v9, 0, 1, vcc_lo
	v_cmp_gt_i32_e32 vcc_lo, 1, v11
	s_delay_alu instid0(VALU_DEP_2) | instskip(NEXT) | instid1(VALU_DEP_1)
	v_or_b32_e32 v9, v15, v9
	v_cndmask_b32_e32 v9, v13, v9, vcc_lo
	s_delay_alu instid0(VALU_DEP_1) | instskip(NEXT) | instid1(VALU_DEP_1)
	v_and_b32_e32 v13, 7, v9
	v_cmp_lt_i32_e32 vcc_lo, 5, v13
	v_cndmask_b32_e64 v15, 0, 1, vcc_lo
	v_cmp_eq_u32_e32 vcc_lo, 3, v13
	v_cndmask_b32_e64 v13, 0, 1, vcc_lo
	v_cmp_ne_u32_e32 vcc_lo, 0, v7
	s_delay_alu instid0(VALU_DEP_2) | instskip(SKIP_1) | instid1(VALU_DEP_2)
	v_dual_lshrrev_b32 v9, 2, v9 :: v_dual_bitop2_b32 v13, v13, v15 bitop3:0x54
	v_mov_b32_e32 v15, 0x7e00
	v_add_nc_u32_e32 v9, v9, v13
	s_delay_alu instid0(VALU_DEP_2) | instskip(SKIP_1) | instid1(VALU_DEP_3)
	v_cndmask_b32_e32 v7, 0x7c00, v15, vcc_lo
	v_cmp_gt_i32_e32 vcc_lo, 31, v11
	v_cndmask_b32_e32 v9, 0x7c00, v9, vcc_lo
	v_cmp_eq_u32_e32 vcc_lo, 0x40f, v11
	s_delay_alu instid0(VALU_DEP_2) | instskip(SKIP_1) | instid1(VALU_DEP_1)
	v_cndmask_b32_e32 v7, v9, v7, vcc_lo
	v_lshrrev_b32_e32 v9, 16, v27
	v_and_or_b32 v26, 0x8000, v9, v7
	s_branch .LBB191_2642
.LBB191_2640:
	s_mov_b32 s16, -1
                                        ; implicit-def: $vgpr26
	s_branch .LBB191_2645
.LBB191_2641:
	s_mov_b32 s16, -1
                                        ; implicit-def: $vgpr26
.LBB191_2642:
	s_delay_alu instid0(SALU_CYCLE_1)
	s_and_not1_b32 vcc_lo, exec_lo, s16
	s_cbranch_vccnz .LBB191_2644
; %bb.2643:
	global_load_b32 v7, v[24:25], off
	s_wait_loadcnt 0x0
	s_wait_xcnt 0x1
	v_cvt_f16_f32_e32 v26, v7
.LBB191_2644:
	s_mov_b32 s16, 0
.LBB191_2645:
	s_delay_alu instid0(SALU_CYCLE_1)
	s_and_not1_b32 vcc_lo, exec_lo, s16
	s_cbranch_vccnz .LBB191_2647
; %bb.2646:
	s_wait_loadcnt 0x0
	global_load_u16 v26, v[24:25], off
.LBB191_2647:
	s_mov_b32 s16, 0
.LBB191_2648:
	s_delay_alu instid0(SALU_CYCLE_1)
	s_and_not1_b32 vcc_lo, exec_lo, s16
	s_cbranch_vccnz .LBB191_2668
; %bb.2649:
	s_cmp_lt_i32 s13, 2
	s_cbranch_scc1 .LBB191_2653
; %bb.2650:
	s_cmp_lt_i32 s13, 3
	s_cbranch_scc1 .LBB191_2654
; %bb.2651:
	s_cmp_gt_i32 s13, 3
	s_cbranch_scc0 .LBB191_2655
; %bb.2652:
	s_wait_loadcnt 0x0
	global_load_b64 v[26:27], v[24:25], off
	s_mov_b32 s16, 0
	s_wait_loadcnt 0x0
	v_xor_b32_e32 v7, v26, v27
	v_cls_i32_e32 v9, v27
	s_delay_alu instid0(VALU_DEP_2) | instskip(NEXT) | instid1(VALU_DEP_1)
	v_ashrrev_i32_e32 v7, 31, v7
	v_add_nc_u32_e32 v7, 32, v7
	s_delay_alu instid0(VALU_DEP_1) | instskip(NEXT) | instid1(VALU_DEP_1)
	v_add_min_u32_e64 v7, v9, -1, v7
	v_lshlrev_b64_e32 v[26:27], v7, v[26:27]
	v_sub_nc_u32_e32 v7, 32, v7
	s_delay_alu instid0(VALU_DEP_2) | instskip(NEXT) | instid1(VALU_DEP_1)
	v_min_u32_e32 v9, 1, v26
	v_or_b32_e32 v9, v27, v9
	s_delay_alu instid0(VALU_DEP_1) | instskip(NEXT) | instid1(VALU_DEP_1)
	v_cvt_f32_i32_e32 v9, v9
	v_ldexp_f32 v7, v9, v7
	s_delay_alu instid0(VALU_DEP_1)
	v_cvt_f16_f32_e32 v26, v7
	s_branch .LBB191_2656
.LBB191_2653:
	s_mov_b32 s16, -1
                                        ; implicit-def: $vgpr26
	s_branch .LBB191_2662
.LBB191_2654:
	s_mov_b32 s16, -1
                                        ; implicit-def: $vgpr26
	s_branch .LBB191_2659
.LBB191_2655:
	s_mov_b32 s16, -1
                                        ; implicit-def: $vgpr26
.LBB191_2656:
	s_delay_alu instid0(SALU_CYCLE_1)
	s_and_not1_b32 vcc_lo, exec_lo, s16
	s_cbranch_vccnz .LBB191_2658
; %bb.2657:
	global_load_b32 v7, v[24:25], off
	s_wait_loadcnt 0x0
	v_cvt_f32_i32_e32 v7, v7
	s_wait_xcnt 0x1
	s_delay_alu instid0(VALU_DEP_1)
	v_cvt_f16_f32_e32 v26, v7
.LBB191_2658:
	s_mov_b32 s16, 0
.LBB191_2659:
	s_delay_alu instid0(SALU_CYCLE_1)
	s_and_not1_b32 vcc_lo, exec_lo, s16
	s_cbranch_vccnz .LBB191_2661
; %bb.2660:
	global_load_u16 v7, v[24:25], off
	s_wait_loadcnt 0x0
	s_wait_xcnt 0x1
	v_cvt_f16_i16_e32 v26, v7
.LBB191_2661:
	s_mov_b32 s16, 0
.LBB191_2662:
	s_delay_alu instid0(SALU_CYCLE_1)
	s_and_not1_b32 vcc_lo, exec_lo, s16
	s_cbranch_vccnz .LBB191_2668
; %bb.2663:
	s_cmp_gt_i32 s13, 0
	s_mov_b32 s16, 0
	s_cbranch_scc0 .LBB191_2665
; %bb.2664:
	global_load_i8 v7, v[24:25], off
	s_wait_loadcnt 0x0
	s_wait_xcnt 0x1
	v_cvt_f16_i16_e32 v26, v7
	s_branch .LBB191_2666
.LBB191_2665:
	s_mov_b32 s16, -1
                                        ; implicit-def: $vgpr26
.LBB191_2666:
	s_delay_alu instid0(SALU_CYCLE_1)
	s_and_not1_b32 vcc_lo, exec_lo, s16
	s_cbranch_vccnz .LBB191_2668
; %bb.2667:
	global_load_u8 v7, v[24:25], off
	s_wait_loadcnt 0x0
	s_wait_xcnt 0x1
	v_cvt_f16_u16_e32 v26, v7
.LBB191_2668:
	s_mov_b32 s18, -1
.LBB191_2669:
	s_delay_alu instid0(SALU_CYCLE_1)
	s_and_not1_b32 vcc_lo, exec_lo, s18
	s_cbranch_vccnz .LBB191_4155
; %bb.2670:
	v_mov_b32_e32 v23, 0
	s_and_b32 s14, 0xffff, s14
	s_delay_alu instid0(SALU_CYCLE_1) | instskip(NEXT) | instid1(VALU_DEP_1)
	s_cmp_lt_i32 s14, 11
	v_add_nc_u64_e32 v[22:23], s[0:1], v[22:23]
	s_cbranch_scc1 .LBB191_2677
; %bb.2671:
	s_cmp_gt_i32 s14, 25
	s_mov_b32 s17, 0
	s_cbranch_scc0 .LBB191_2678
; %bb.2672:
	s_cmp_gt_i32 s14, 28
	s_cbranch_scc0 .LBB191_2679
; %bb.2673:
	s_cmp_gt_i32 s14, 43
	;; [unrolled: 3-line block ×3, first 2 shown]
	s_cbranch_scc0 .LBB191_2682
; %bb.2675:
	s_cmp_eq_u32 s14, 46
	s_mov_b32 s19, 0
	s_cbranch_scc0 .LBB191_2683
; %bb.2676:
	global_load_b32 v7, v[22:23], off
	s_mov_b32 s16, 0
	s_mov_b32 s18, -1
	s_wait_loadcnt 0x0
	v_lshlrev_b32_e32 v7, 16, v7
	s_wait_xcnt 0x1
	s_delay_alu instid0(VALU_DEP_1)
	v_cvt_f16_f32_e32 v24, v7
	s_branch .LBB191_2685
.LBB191_2677:
	s_mov_b32 s16, -1
	s_mov_b32 s18, 0
                                        ; implicit-def: $vgpr24
	s_branch .LBB191_2751
.LBB191_2678:
	s_mov_b32 s19, -1
	s_mov_b32 s18, 0
	s_mov_b32 s16, 0
                                        ; implicit-def: $vgpr24
	s_branch .LBB191_2714
.LBB191_2679:
	s_mov_b32 s19, -1
	s_mov_b32 s18, 0
	s_mov_b32 s16, 0
                                        ; implicit-def: $vgpr24
	s_branch .LBB191_2695
.LBB191_2680:
	s_mov_b32 s19, -1
	s_mov_b32 s18, 0
	s_mov_b32 s16, 0
                                        ; implicit-def: $vgpr24
	s_branch .LBB191_2690
.LBB191_2681:
	s_or_b32 s12, s12, exec_lo
	s_trap 2
	s_cbranch_execz .LBB191_2618
	s_branch .LBB191_2619
.LBB191_2682:
	s_mov_b32 s19, -1
	s_mov_b32 s18, 0
	s_mov_b32 s16, 0
	s_branch .LBB191_2684
.LBB191_2683:
	s_mov_b32 s16, -1
	s_mov_b32 s18, 0
.LBB191_2684:
                                        ; implicit-def: $vgpr24
.LBB191_2685:
	s_and_b32 vcc_lo, exec_lo, s19
	s_cbranch_vccz .LBB191_2689
; %bb.2686:
	s_cmp_eq_u32 s14, 44
	s_cbranch_scc0 .LBB191_2688
; %bb.2687:
	global_load_u8 v7, v[22:23], off
	s_mov_b32 s16, 0
	s_mov_b32 s18, -1
	s_wait_loadcnt 0x0
	v_lshlrev_b32_e32 v9, 23, v7
	v_cmp_ne_u32_e32 vcc_lo, 0xff, v7
	s_delay_alu instid0(VALU_DEP_2) | instskip(NEXT) | instid1(VALU_DEP_1)
	v_cvt_f16_f32_e32 v9, v9
	v_cndmask_b32_e32 v9, 0x7e00, v9, vcc_lo
	v_cmp_ne_u32_e32 vcc_lo, 0, v7
	s_wait_xcnt 0x1
	s_delay_alu instid0(VALU_DEP_2)
	v_cndmask_b32_e32 v24, 0, v9, vcc_lo
	s_branch .LBB191_2689
.LBB191_2688:
	s_mov_b32 s16, -1
                                        ; implicit-def: $vgpr24
.LBB191_2689:
	s_mov_b32 s19, 0
.LBB191_2690:
	s_delay_alu instid0(SALU_CYCLE_1)
	s_and_b32 vcc_lo, exec_lo, s19
	s_cbranch_vccz .LBB191_2694
; %bb.2691:
	s_cmp_eq_u32 s14, 29
	s_cbranch_scc0 .LBB191_2693
; %bb.2692:
	global_load_b64 v[24:25], v[22:23], off
	s_mov_b32 s16, 0
	s_mov_b32 s18, -1
	s_mov_b32 s19, 0
	s_wait_loadcnt 0x0
	v_clz_i32_u32_e32 v7, v25
	s_delay_alu instid0(VALU_DEP_1) | instskip(NEXT) | instid1(VALU_DEP_1)
	v_min_u32_e32 v7, 32, v7
	v_lshlrev_b64_e32 v[24:25], v7, v[24:25]
	v_sub_nc_u32_e32 v7, 32, v7
	s_delay_alu instid0(VALU_DEP_2) | instskip(NEXT) | instid1(VALU_DEP_1)
	v_min_u32_e32 v9, 1, v24
	v_or_b32_e32 v9, v25, v9
	s_delay_alu instid0(VALU_DEP_1) | instskip(NEXT) | instid1(VALU_DEP_1)
	v_cvt_f32_u32_e32 v9, v9
	v_ldexp_f32 v7, v9, v7
	s_delay_alu instid0(VALU_DEP_1)
	v_cvt_f16_f32_e32 v24, v7
	s_branch .LBB191_2695
.LBB191_2693:
	s_mov_b32 s16, -1
                                        ; implicit-def: $vgpr24
.LBB191_2694:
	s_mov_b32 s19, 0
.LBB191_2695:
	s_delay_alu instid0(SALU_CYCLE_1)
	s_and_b32 vcc_lo, exec_lo, s19
	s_cbranch_vccz .LBB191_2713
; %bb.2696:
	s_cmp_lt_i32 s14, 27
	s_cbranch_scc1 .LBB191_2699
; %bb.2697:
	s_cmp_gt_i32 s14, 27
	s_cbranch_scc0 .LBB191_2700
; %bb.2698:
	global_load_b32 v7, v[22:23], off
	s_mov_b32 s18, 0
	s_wait_loadcnt 0x0
	v_cvt_f32_u32_e32 v7, v7
	s_wait_xcnt 0x1
	s_delay_alu instid0(VALU_DEP_1)
	v_cvt_f16_f32_e32 v24, v7
	s_branch .LBB191_2701
.LBB191_2699:
	s_mov_b32 s18, -1
                                        ; implicit-def: $vgpr24
	s_branch .LBB191_2704
.LBB191_2700:
	s_mov_b32 s18, -1
                                        ; implicit-def: $vgpr24
.LBB191_2701:
	s_delay_alu instid0(SALU_CYCLE_1)
	s_and_not1_b32 vcc_lo, exec_lo, s18
	s_cbranch_vccnz .LBB191_2703
; %bb.2702:
	global_load_u16 v7, v[22:23], off
	s_wait_loadcnt 0x0
	s_wait_xcnt 0x1
	v_cvt_f16_u16_e32 v24, v7
.LBB191_2703:
	s_mov_b32 s18, 0
.LBB191_2704:
	s_delay_alu instid0(SALU_CYCLE_1)
	s_and_not1_b32 vcc_lo, exec_lo, s18
	s_cbranch_vccnz .LBB191_2712
; %bb.2705:
	global_load_u8 v7, v[22:23], off
	s_mov_b32 s18, 0
	s_mov_b32 s19, exec_lo
	s_wait_loadcnt 0x0
	v_cmpx_lt_i16_e32 0x7f, v7
	s_xor_b32 s19, exec_lo, s19
	s_cbranch_execz .LBB191_2726
; %bb.2706:
	s_mov_b32 s18, -1
	s_mov_b32 s20, exec_lo
	v_cmpx_eq_u16_e32 0x80, v7
; %bb.2707:
	s_xor_b32 s18, exec_lo, -1
; %bb.2708:
	s_or_b32 exec_lo, exec_lo, s20
	s_delay_alu instid0(SALU_CYCLE_1)
	s_and_b32 s18, s18, exec_lo
	s_or_saveexec_b32 s19, s19
	v_mov_b32_e32 v24, 0x7e00
	s_xor_b32 exec_lo, exec_lo, s19
	s_cbranch_execnz .LBB191_2727
.LBB191_2709:
	s_or_b32 exec_lo, exec_lo, s19
	s_and_saveexec_b32 s19, s18
	s_cbranch_execz .LBB191_2711
.LBB191_2710:
	v_and_b32_e32 v9, 0xffff, v7
	s_delay_alu instid0(VALU_DEP_1) | instskip(SKIP_1) | instid1(VALU_DEP_2)
	v_dual_lshlrev_b32 v7, 24, v7 :: v_dual_bitop2_b32 v11, 7, v9 bitop3:0x40
	v_bfe_u32 v17, v9, 3, 4
	v_and_b32_e32 v7, 0x80000000, v7
	s_delay_alu instid0(VALU_DEP_3) | instskip(NEXT) | instid1(VALU_DEP_3)
	v_clz_i32_u32_e32 v13, v11
	v_cmp_eq_u32_e32 vcc_lo, 0, v17
	s_delay_alu instid0(VALU_DEP_2) | instskip(NEXT) | instid1(VALU_DEP_1)
	v_min_u32_e32 v13, 32, v13
	v_subrev_nc_u32_e32 v15, 28, v13
	v_sub_nc_u32_e32 v13, 29, v13
	s_delay_alu instid0(VALU_DEP_2) | instskip(NEXT) | instid1(VALU_DEP_2)
	v_lshlrev_b32_e32 v9, v15, v9
	v_cndmask_b32_e32 v13, v17, v13, vcc_lo
	s_delay_alu instid0(VALU_DEP_2) | instskip(NEXT) | instid1(VALU_DEP_1)
	v_and_b32_e32 v9, 7, v9
	v_cndmask_b32_e32 v9, v11, v9, vcc_lo
	s_delay_alu instid0(VALU_DEP_3) | instskip(NEXT) | instid1(VALU_DEP_2)
	v_lshl_add_u32 v11, v13, 23, 0x3b800000
	v_lshlrev_b32_e32 v9, 20, v9
	s_delay_alu instid0(VALU_DEP_1) | instskip(NEXT) | instid1(VALU_DEP_1)
	v_or3_b32 v7, v7, v11, v9
	v_cvt_f16_f32_e32 v24, v7
.LBB191_2711:
	s_or_b32 exec_lo, exec_lo, s19
.LBB191_2712:
	s_mov_b32 s18, -1
.LBB191_2713:
	s_mov_b32 s19, 0
.LBB191_2714:
	s_delay_alu instid0(SALU_CYCLE_1)
	s_and_b32 vcc_lo, exec_lo, s19
	s_cbranch_vccz .LBB191_2747
; %bb.2715:
	s_cmp_gt_i32 s14, 22
	s_cbranch_scc0 .LBB191_2725
; %bb.2716:
	s_cmp_lt_i32 s14, 24
	s_cbranch_scc1 .LBB191_2728
; %bb.2717:
	s_cmp_gt_i32 s14, 24
	s_cbranch_scc0 .LBB191_2729
; %bb.2718:
	global_load_u8 v7, v[22:23], off
	s_mov_b32 s18, exec_lo
	s_wait_loadcnt 0x0
	v_cmpx_lt_i16_e32 0x7f, v7
	s_xor_b32 s18, exec_lo, s18
	s_cbranch_execz .LBB191_2741
; %bb.2719:
	s_mov_b32 s17, -1
	s_mov_b32 s19, exec_lo
	v_cmpx_eq_u16_e32 0x80, v7
; %bb.2720:
	s_xor_b32 s17, exec_lo, -1
; %bb.2721:
	s_or_b32 exec_lo, exec_lo, s19
	s_delay_alu instid0(SALU_CYCLE_1)
	s_and_b32 s17, s17, exec_lo
	s_or_saveexec_b32 s18, s18
	v_mov_b32_e32 v24, 0x7e00
	s_xor_b32 exec_lo, exec_lo, s18
	s_cbranch_execnz .LBB191_2742
.LBB191_2722:
	s_or_b32 exec_lo, exec_lo, s18
	s_and_saveexec_b32 s18, s17
	s_cbranch_execz .LBB191_2724
.LBB191_2723:
	v_and_b32_e32 v9, 0xffff, v7
	s_delay_alu instid0(VALU_DEP_1) | instskip(SKIP_1) | instid1(VALU_DEP_2)
	v_dual_lshlrev_b32 v7, 24, v7 :: v_dual_bitop2_b32 v11, 3, v9 bitop3:0x40
	v_bfe_u32 v17, v9, 2, 5
	v_and_b32_e32 v7, 0x80000000, v7
	s_delay_alu instid0(VALU_DEP_3) | instskip(NEXT) | instid1(VALU_DEP_3)
	v_clz_i32_u32_e32 v13, v11
	v_cmp_eq_u32_e32 vcc_lo, 0, v17
	s_delay_alu instid0(VALU_DEP_2) | instskip(NEXT) | instid1(VALU_DEP_1)
	v_min_u32_e32 v13, 32, v13
	v_subrev_nc_u32_e32 v15, 29, v13
	v_sub_nc_u32_e32 v13, 30, v13
	s_delay_alu instid0(VALU_DEP_2) | instskip(NEXT) | instid1(VALU_DEP_2)
	v_lshlrev_b32_e32 v9, v15, v9
	v_cndmask_b32_e32 v13, v17, v13, vcc_lo
	s_delay_alu instid0(VALU_DEP_2) | instskip(NEXT) | instid1(VALU_DEP_1)
	v_and_b32_e32 v9, 3, v9
	v_cndmask_b32_e32 v9, v11, v9, vcc_lo
	s_delay_alu instid0(VALU_DEP_3) | instskip(NEXT) | instid1(VALU_DEP_2)
	v_lshl_add_u32 v11, v13, 23, 0x37800000
	v_lshlrev_b32_e32 v9, 21, v9
	s_delay_alu instid0(VALU_DEP_1) | instskip(NEXT) | instid1(VALU_DEP_1)
	v_or3_b32 v7, v7, v11, v9
	v_cvt_f16_f32_e32 v24, v7
.LBB191_2724:
	s_or_b32 exec_lo, exec_lo, s18
	s_mov_b32 s17, 0
	s_branch .LBB191_2730
.LBB191_2725:
	s_mov_b32 s17, -1
                                        ; implicit-def: $vgpr24
	s_branch .LBB191_2736
.LBB191_2726:
	s_or_saveexec_b32 s19, s19
	v_mov_b32_e32 v24, 0x7e00
	s_xor_b32 exec_lo, exec_lo, s19
	s_cbranch_execz .LBB191_2709
.LBB191_2727:
	v_cmp_ne_u16_e32 vcc_lo, 0, v7
	v_mov_b32_e32 v24, v7
	s_and_not1_b32 s18, s18, exec_lo
	s_and_b32 s20, vcc_lo, exec_lo
	s_delay_alu instid0(SALU_CYCLE_1)
	s_or_b32 s18, s18, s20
	s_or_b32 exec_lo, exec_lo, s19
	s_and_saveexec_b32 s19, s18
	s_cbranch_execnz .LBB191_2710
	s_branch .LBB191_2711
.LBB191_2728:
	s_mov_b32 s17, -1
                                        ; implicit-def: $vgpr24
	s_branch .LBB191_2733
.LBB191_2729:
	s_mov_b32 s17, -1
                                        ; implicit-def: $vgpr24
.LBB191_2730:
	s_delay_alu instid0(SALU_CYCLE_1)
	s_and_b32 vcc_lo, exec_lo, s17
	s_cbranch_vccz .LBB191_2732
; %bb.2731:
	global_load_u8 v7, v[22:23], off
	s_wait_loadcnt 0x0
	v_lshlrev_b32_e32 v7, 24, v7
	s_delay_alu instid0(VALU_DEP_1) | instskip(NEXT) | instid1(VALU_DEP_1)
	v_and_b32_e32 v9, 0x7f000000, v7
	v_clz_i32_u32_e32 v11, v9
	v_add_nc_u32_e32 v15, 0x1000000, v9
	v_cmp_ne_u32_e32 vcc_lo, 0, v9
	s_delay_alu instid0(VALU_DEP_3) | instskip(NEXT) | instid1(VALU_DEP_1)
	v_min_u32_e32 v11, 32, v11
	v_sub_nc_u32_e64 v11, v11, 4 clamp
	s_delay_alu instid0(VALU_DEP_1) | instskip(NEXT) | instid1(VALU_DEP_1)
	v_dual_lshlrev_b32 v13, v11, v9 :: v_dual_lshlrev_b32 v11, 23, v11
	v_lshrrev_b32_e32 v13, 4, v13
	s_delay_alu instid0(VALU_DEP_1) | instskip(SKIP_1) | instid1(VALU_DEP_2)
	v_sub_nc_u32_e32 v11, v13, v11
	v_ashrrev_i32_e32 v13, 8, v15
	v_add_nc_u32_e32 v11, 0x3c000000, v11
	s_delay_alu instid0(VALU_DEP_1) | instskip(NEXT) | instid1(VALU_DEP_1)
	v_and_or_b32 v11, 0x7f800000, v13, v11
	v_cndmask_b32_e32 v9, 0, v11, vcc_lo
	s_delay_alu instid0(VALU_DEP_1) | instskip(SKIP_1) | instid1(VALU_DEP_1)
	v_and_or_b32 v7, 0x80000000, v7, v9
	s_wait_xcnt 0x1
	v_cvt_f16_f32_e32 v24, v7
.LBB191_2732:
	s_mov_b32 s17, 0
.LBB191_2733:
	s_delay_alu instid0(SALU_CYCLE_1)
	s_and_not1_b32 vcc_lo, exec_lo, s17
	s_cbranch_vccnz .LBB191_2735
; %bb.2734:
	global_load_u8 v7, v[22:23], off
	s_wait_loadcnt 0x0
	v_lshlrev_b32_e32 v9, 25, v7
	v_lshlrev_b16 v7, 8, v7
	s_delay_alu instid0(VALU_DEP_1) | instskip(SKIP_1) | instid1(VALU_DEP_2)
	v_and_or_b32 v13, 0x7f00, v7, 0.5
	v_bfe_i32 v7, v7, 0, 16
	v_add_f32_e32 v13, -0.5, v13
	v_lshrrev_b32_e32 v11, 4, v9
	v_cmp_gt_u32_e32 vcc_lo, 0x8000000, v9
	s_delay_alu instid0(VALU_DEP_2) | instskip(NEXT) | instid1(VALU_DEP_1)
	v_or_b32_e32 v11, 0x70000000, v11
	v_mul_f32_e32 v11, 0x7800000, v11
	s_delay_alu instid0(VALU_DEP_1) | instskip(NEXT) | instid1(VALU_DEP_1)
	v_cndmask_b32_e32 v9, v11, v13, vcc_lo
	v_and_or_b32 v7, 0x80000000, v7, v9
	s_wait_xcnt 0x1
	s_delay_alu instid0(VALU_DEP_1)
	v_cvt_f16_f32_e32 v24, v7
.LBB191_2735:
	s_mov_b32 s17, 0
	s_mov_b32 s18, -1
.LBB191_2736:
	s_and_not1_b32 vcc_lo, exec_lo, s17
	s_mov_b32 s17, 0
	s_cbranch_vccnz .LBB191_2747
; %bb.2737:
	s_cmp_gt_i32 s14, 14
	s_cbranch_scc0 .LBB191_2740
; %bb.2738:
	s_cmp_eq_u32 s14, 15
	s_cbranch_scc0 .LBB191_2743
; %bb.2739:
	global_load_u16 v7, v[22:23], off
	s_mov_b32 s16, 0
	s_mov_b32 s18, -1
	s_wait_loadcnt 0x0
	v_lshlrev_b32_e32 v7, 16, v7
	s_wait_xcnt 0x1
	s_delay_alu instid0(VALU_DEP_1)
	v_cvt_f16_f32_e32 v24, v7
	s_branch .LBB191_2745
.LBB191_2740:
	s_mov_b32 s17, -1
	s_branch .LBB191_2744
.LBB191_2741:
	s_or_saveexec_b32 s18, s18
	v_mov_b32_e32 v24, 0x7e00
	s_xor_b32 exec_lo, exec_lo, s18
	s_cbranch_execz .LBB191_2722
.LBB191_2742:
	v_cmp_ne_u16_e32 vcc_lo, 0, v7
	v_mov_b32_e32 v24, v7
	s_and_not1_b32 s17, s17, exec_lo
	s_and_b32 s19, vcc_lo, exec_lo
	s_delay_alu instid0(SALU_CYCLE_1)
	s_or_b32 s17, s17, s19
	s_or_b32 exec_lo, exec_lo, s18
	s_and_saveexec_b32 s18, s17
	s_cbranch_execnz .LBB191_2723
	s_branch .LBB191_2724
.LBB191_2743:
	s_mov_b32 s16, -1
.LBB191_2744:
                                        ; implicit-def: $vgpr24
.LBB191_2745:
	s_and_b32 vcc_lo, exec_lo, s17
	s_mov_b32 s17, 0
	s_cbranch_vccz .LBB191_2747
; %bb.2746:
	s_cmp_lg_u32 s14, 11
	s_mov_b32 s17, -1
	s_cselect_b32 s16, -1, 0
.LBB191_2747:
	s_delay_alu instid0(SALU_CYCLE_1)
	s_and_b32 vcc_lo, exec_lo, s16
	s_cbranch_vccnz .LBB191_2812
; %bb.2748:
	s_and_not1_b32 vcc_lo, exec_lo, s17
	s_cbranch_vccnz .LBB191_2750
.LBB191_2749:
	global_load_u8 v7, v[22:23], off
	s_mov_b32 s18, -1
	s_wait_loadcnt 0x0
	v_cmp_ne_u16_e32 vcc_lo, 0, v7
	s_wait_xcnt 0x1
	v_cndmask_b32_e64 v24, 0, 0x3c00, vcc_lo
.LBB191_2750:
	s_mov_b32 s16, 0
.LBB191_2751:
	s_delay_alu instid0(SALU_CYCLE_1)
	s_and_b32 vcc_lo, exec_lo, s16
	s_cbranch_vccz .LBB191_2800
; %bb.2752:
	s_cmp_lt_i32 s14, 5
	s_cbranch_scc1 .LBB191_2757
; %bb.2753:
	s_cmp_lt_i32 s14, 8
	s_cbranch_scc1 .LBB191_2758
	;; [unrolled: 3-line block ×3, first 2 shown]
; %bb.2755:
	s_cmp_gt_i32 s14, 9
	s_cbranch_scc0 .LBB191_2760
; %bb.2756:
	global_load_b64 v[24:25], v[22:23], off
	s_mov_b32 s16, 0
	s_wait_loadcnt 0x0
	v_and_or_b32 v7, 0x1ff, v25, v24
	v_lshrrev_b32_e32 v9, 8, v25
	v_bfe_u32 v11, v25, 20, 11
	s_delay_alu instid0(VALU_DEP_3) | instskip(NEXT) | instid1(VALU_DEP_2)
	v_cmp_ne_u32_e32 vcc_lo, 0, v7
	v_sub_nc_u32_e32 v13, 0x3f1, v11
	v_add_nc_u32_e32 v11, 0xfffffc10, v11
	v_cndmask_b32_e64 v7, 0, 1, vcc_lo
	s_delay_alu instid0(VALU_DEP_1) | instskip(NEXT) | instid1(VALU_DEP_4)
	v_and_or_b32 v7, 0xffe, v9, v7
	v_med3_i32 v9, v13, 0, 13
	s_delay_alu instid0(VALU_DEP_2) | instskip(NEXT) | instid1(VALU_DEP_1)
	v_or_b32_e32 v13, 0x1000, v7
	v_lshrrev_b32_e32 v15, v9, v13
	s_delay_alu instid0(VALU_DEP_1) | instskip(NEXT) | instid1(VALU_DEP_1)
	v_lshlrev_b32_e32 v9, v9, v15
	v_cmp_ne_u32_e32 vcc_lo, v9, v13
	v_lshl_or_b32 v13, v11, 12, v7
	v_cndmask_b32_e64 v9, 0, 1, vcc_lo
	v_cmp_gt_i32_e32 vcc_lo, 1, v11
	s_delay_alu instid0(VALU_DEP_2) | instskip(NEXT) | instid1(VALU_DEP_1)
	v_or_b32_e32 v9, v15, v9
	v_cndmask_b32_e32 v9, v13, v9, vcc_lo
	s_delay_alu instid0(VALU_DEP_1) | instskip(NEXT) | instid1(VALU_DEP_1)
	v_dual_lshrrev_b32 v9, 2, v9 :: v_dual_bitop2_b32 v13, 7, v9 bitop3:0x40
	v_cmp_lt_i32_e32 vcc_lo, 5, v13
	v_cndmask_b32_e64 v15, 0, 1, vcc_lo
	v_cmp_eq_u32_e32 vcc_lo, 3, v13
	v_cndmask_b32_e64 v13, 0, 1, vcc_lo
	v_cmp_ne_u32_e32 vcc_lo, 0, v7
	s_delay_alu instid0(VALU_DEP_2) | instskip(SKIP_1) | instid1(VALU_DEP_2)
	v_or_b32_e32 v13, v13, v15
	v_mov_b32_e32 v15, 0x7e00
	v_add_nc_u32_e32 v9, v9, v13
	s_delay_alu instid0(VALU_DEP_2) | instskip(SKIP_1) | instid1(VALU_DEP_3)
	v_cndmask_b32_e32 v7, 0x7c00, v15, vcc_lo
	v_cmp_gt_i32_e32 vcc_lo, 31, v11
	v_cndmask_b32_e32 v9, 0x7c00, v9, vcc_lo
	v_cmp_eq_u32_e32 vcc_lo, 0x40f, v11
	s_delay_alu instid0(VALU_DEP_2) | instskip(NEXT) | instid1(VALU_DEP_1)
	v_dual_cndmask_b32 v7, v9, v7, vcc_lo :: v_dual_lshrrev_b32 v9, 16, v25
	v_and_or_b32 v24, 0x8000, v9, v7
	s_branch .LBB191_2761
.LBB191_2757:
	s_mov_b32 s16, -1
                                        ; implicit-def: $vgpr24
	s_branch .LBB191_2779
.LBB191_2758:
	s_mov_b32 s16, -1
                                        ; implicit-def: $vgpr24
	s_branch .LBB191_2767
.LBB191_2759:
	s_mov_b32 s16, -1
                                        ; implicit-def: $vgpr24
	s_branch .LBB191_2764
.LBB191_2760:
	s_mov_b32 s16, -1
                                        ; implicit-def: $vgpr24
.LBB191_2761:
	s_delay_alu instid0(SALU_CYCLE_1)
	s_and_not1_b32 vcc_lo, exec_lo, s16
	s_cbranch_vccnz .LBB191_2763
; %bb.2762:
	global_load_b32 v7, v[22:23], off
	s_wait_loadcnt 0x0
	s_wait_xcnt 0x1
	v_cvt_f16_f32_e32 v24, v7
.LBB191_2763:
	s_mov_b32 s16, 0
.LBB191_2764:
	s_delay_alu instid0(SALU_CYCLE_1)
	s_and_not1_b32 vcc_lo, exec_lo, s16
	s_cbranch_vccnz .LBB191_2766
; %bb.2765:
	global_load_b32 v24, v[22:23], off
.LBB191_2766:
	s_mov_b32 s16, 0
.LBB191_2767:
	s_delay_alu instid0(SALU_CYCLE_1)
	s_and_not1_b32 vcc_lo, exec_lo, s16
	s_cbranch_vccnz .LBB191_2778
; %bb.2768:
	s_cmp_lt_i32 s14, 6
	s_cbranch_scc1 .LBB191_2771
; %bb.2769:
	s_cmp_gt_i32 s14, 6
	s_cbranch_scc0 .LBB191_2772
; %bb.2770:
	s_wait_loadcnt 0x0
	global_load_b64 v[24:25], v[22:23], off
	s_mov_b32 s16, 0
	s_wait_loadcnt 0x0
	v_and_or_b32 v7, 0x1ff, v25, v24
	v_lshrrev_b32_e32 v9, 8, v25
	v_bfe_u32 v11, v25, 20, 11
	s_delay_alu instid0(VALU_DEP_3) | instskip(NEXT) | instid1(VALU_DEP_2)
	v_cmp_ne_u32_e32 vcc_lo, 0, v7
	v_sub_nc_u32_e32 v13, 0x3f1, v11
	v_add_nc_u32_e32 v11, 0xfffffc10, v11
	v_cndmask_b32_e64 v7, 0, 1, vcc_lo
	s_delay_alu instid0(VALU_DEP_1) | instskip(NEXT) | instid1(VALU_DEP_4)
	v_and_or_b32 v7, 0xffe, v9, v7
	v_med3_i32 v9, v13, 0, 13
	s_delay_alu instid0(VALU_DEP_2) | instskip(NEXT) | instid1(VALU_DEP_1)
	v_or_b32_e32 v13, 0x1000, v7
	v_lshrrev_b32_e32 v15, v9, v13
	s_delay_alu instid0(VALU_DEP_1) | instskip(NEXT) | instid1(VALU_DEP_1)
	v_lshlrev_b32_e32 v9, v9, v15
	v_cmp_ne_u32_e32 vcc_lo, v9, v13
	v_lshl_or_b32 v13, v11, 12, v7
	v_cndmask_b32_e64 v9, 0, 1, vcc_lo
	v_cmp_gt_i32_e32 vcc_lo, 1, v11
	s_delay_alu instid0(VALU_DEP_2) | instskip(NEXT) | instid1(VALU_DEP_1)
	v_or_b32_e32 v9, v15, v9
	v_cndmask_b32_e32 v9, v13, v9, vcc_lo
	s_delay_alu instid0(VALU_DEP_1) | instskip(NEXT) | instid1(VALU_DEP_1)
	v_dual_lshrrev_b32 v9, 2, v9 :: v_dual_bitop2_b32 v13, 7, v9 bitop3:0x40
	v_cmp_lt_i32_e32 vcc_lo, 5, v13
	v_cndmask_b32_e64 v15, 0, 1, vcc_lo
	v_cmp_eq_u32_e32 vcc_lo, 3, v13
	v_cndmask_b32_e64 v13, 0, 1, vcc_lo
	v_cmp_ne_u32_e32 vcc_lo, 0, v7
	s_delay_alu instid0(VALU_DEP_2) | instskip(SKIP_1) | instid1(VALU_DEP_2)
	v_or_b32_e32 v13, v13, v15
	v_mov_b32_e32 v15, 0x7e00
	v_add_nc_u32_e32 v9, v9, v13
	s_delay_alu instid0(VALU_DEP_2) | instskip(SKIP_1) | instid1(VALU_DEP_3)
	v_cndmask_b32_e32 v7, 0x7c00, v15, vcc_lo
	v_cmp_gt_i32_e32 vcc_lo, 31, v11
	v_cndmask_b32_e32 v9, 0x7c00, v9, vcc_lo
	v_cmp_eq_u32_e32 vcc_lo, 0x40f, v11
	s_delay_alu instid0(VALU_DEP_2) | instskip(NEXT) | instid1(VALU_DEP_1)
	v_dual_cndmask_b32 v7, v9, v7, vcc_lo :: v_dual_lshrrev_b32 v9, 16, v25
	v_and_or_b32 v24, 0x8000, v9, v7
	s_branch .LBB191_2773
.LBB191_2771:
	s_mov_b32 s16, -1
                                        ; implicit-def: $vgpr24
	s_branch .LBB191_2776
.LBB191_2772:
	s_mov_b32 s16, -1
                                        ; implicit-def: $vgpr24
.LBB191_2773:
	s_delay_alu instid0(SALU_CYCLE_1)
	s_and_not1_b32 vcc_lo, exec_lo, s16
	s_cbranch_vccnz .LBB191_2775
; %bb.2774:
	global_load_b32 v7, v[22:23], off
	s_wait_loadcnt 0x0
	s_wait_xcnt 0x1
	v_cvt_f16_f32_e32 v24, v7
.LBB191_2775:
	s_mov_b32 s16, 0
.LBB191_2776:
	s_delay_alu instid0(SALU_CYCLE_1)
	s_and_not1_b32 vcc_lo, exec_lo, s16
	s_cbranch_vccnz .LBB191_2778
; %bb.2777:
	s_wait_loadcnt 0x0
	global_load_u16 v24, v[22:23], off
.LBB191_2778:
	s_mov_b32 s16, 0
.LBB191_2779:
	s_delay_alu instid0(SALU_CYCLE_1)
	s_and_not1_b32 vcc_lo, exec_lo, s16
	s_cbranch_vccnz .LBB191_2799
; %bb.2780:
	s_cmp_lt_i32 s14, 2
	s_cbranch_scc1 .LBB191_2784
; %bb.2781:
	s_cmp_lt_i32 s14, 3
	s_cbranch_scc1 .LBB191_2785
; %bb.2782:
	s_cmp_gt_i32 s14, 3
	s_cbranch_scc0 .LBB191_2786
; %bb.2783:
	s_wait_loadcnt 0x0
	global_load_b64 v[24:25], v[22:23], off
	s_mov_b32 s16, 0
	s_wait_loadcnt 0x0
	v_xor_b32_e32 v7, v24, v25
	v_cls_i32_e32 v9, v25
	s_delay_alu instid0(VALU_DEP_2) | instskip(NEXT) | instid1(VALU_DEP_1)
	v_ashrrev_i32_e32 v7, 31, v7
	v_add_nc_u32_e32 v7, 32, v7
	s_delay_alu instid0(VALU_DEP_1) | instskip(NEXT) | instid1(VALU_DEP_1)
	v_add_min_u32_e64 v7, v9, -1, v7
	v_lshlrev_b64_e32 v[24:25], v7, v[24:25]
	v_sub_nc_u32_e32 v7, 32, v7
	s_delay_alu instid0(VALU_DEP_2) | instskip(NEXT) | instid1(VALU_DEP_1)
	v_min_u32_e32 v9, 1, v24
	v_or_b32_e32 v9, v25, v9
	s_delay_alu instid0(VALU_DEP_1) | instskip(NEXT) | instid1(VALU_DEP_1)
	v_cvt_f32_i32_e32 v9, v9
	v_ldexp_f32 v7, v9, v7
	s_delay_alu instid0(VALU_DEP_1)
	v_cvt_f16_f32_e32 v24, v7
	s_branch .LBB191_2787
.LBB191_2784:
	s_mov_b32 s16, -1
                                        ; implicit-def: $vgpr24
	s_branch .LBB191_2793
.LBB191_2785:
	s_mov_b32 s16, -1
                                        ; implicit-def: $vgpr24
	s_branch .LBB191_2790
.LBB191_2786:
	s_mov_b32 s16, -1
                                        ; implicit-def: $vgpr24
.LBB191_2787:
	s_delay_alu instid0(SALU_CYCLE_1)
	s_and_not1_b32 vcc_lo, exec_lo, s16
	s_cbranch_vccnz .LBB191_2789
; %bb.2788:
	global_load_b32 v7, v[22:23], off
	s_wait_loadcnt 0x0
	v_cvt_f32_i32_e32 v7, v7
	s_wait_xcnt 0x1
	s_delay_alu instid0(VALU_DEP_1)
	v_cvt_f16_f32_e32 v24, v7
.LBB191_2789:
	s_mov_b32 s16, 0
.LBB191_2790:
	s_delay_alu instid0(SALU_CYCLE_1)
	s_and_not1_b32 vcc_lo, exec_lo, s16
	s_cbranch_vccnz .LBB191_2792
; %bb.2791:
	global_load_u16 v7, v[22:23], off
	s_wait_loadcnt 0x0
	s_wait_xcnt 0x1
	v_cvt_f16_i16_e32 v24, v7
.LBB191_2792:
	s_mov_b32 s16, 0
.LBB191_2793:
	s_delay_alu instid0(SALU_CYCLE_1)
	s_and_not1_b32 vcc_lo, exec_lo, s16
	s_cbranch_vccnz .LBB191_2799
; %bb.2794:
	s_cmp_gt_i32 s14, 0
	s_mov_b32 s16, 0
	s_cbranch_scc0 .LBB191_2796
; %bb.2795:
	global_load_i8 v7, v[22:23], off
	s_wait_loadcnt 0x0
	s_wait_xcnt 0x1
	v_cvt_f16_i16_e32 v24, v7
	s_branch .LBB191_2797
.LBB191_2796:
	s_mov_b32 s16, -1
                                        ; implicit-def: $vgpr24
.LBB191_2797:
	s_delay_alu instid0(SALU_CYCLE_1)
	s_and_not1_b32 vcc_lo, exec_lo, s16
	s_cbranch_vccnz .LBB191_2799
; %bb.2798:
	global_load_u8 v7, v[22:23], off
	s_wait_loadcnt 0x0
	s_wait_xcnt 0x1
	v_cvt_f16_u16_e32 v24, v7
.LBB191_2799:
	s_mov_b32 s18, -1
.LBB191_2800:
	s_delay_alu instid0(SALU_CYCLE_1)
	s_and_not1_b32 vcc_lo, exec_lo, s18
	s_cbranch_vccnz .LBB191_4155
; %bb.2801:
	v_mov_b32_e32 v21, 0
	s_and_b32 s15, 0xffff, s15
	s_delay_alu instid0(SALU_CYCLE_1) | instskip(NEXT) | instid1(VALU_DEP_1)
	s_cmp_lt_i32 s15, 11
	v_add_nc_u64_e32 v[20:21], s[8:9], v[20:21]
	s_cbranch_scc1 .LBB191_2808
; %bb.2802:
	s_cmp_gt_i32 s15, 25
	s_mov_b32 s17, 0
	s_cbranch_scc0 .LBB191_2809
; %bb.2803:
	s_cmp_gt_i32 s15, 28
	s_cbranch_scc0 .LBB191_2810
; %bb.2804:
	s_cmp_gt_i32 s15, 43
	;; [unrolled: 3-line block ×3, first 2 shown]
	s_cbranch_scc0 .LBB191_2813
; %bb.2806:
	s_cmp_eq_u32 s15, 46
	s_mov_b32 s19, 0
	s_cbranch_scc0 .LBB191_2816
; %bb.2807:
	global_load_b32 v7, v[20:21], off
	s_mov_b32 s16, 0
	s_mov_b32 s18, -1
	s_wait_loadcnt 0x0
	v_lshlrev_b32_e32 v7, 16, v7
	s_wait_xcnt 0x1
	s_delay_alu instid0(VALU_DEP_1)
	v_cvt_f16_f32_e32 v22, v7
	s_branch .LBB191_2818
.LBB191_2808:
	s_mov_b32 s16, -1
	s_mov_b32 s18, 0
                                        ; implicit-def: $vgpr22
	s_branch .LBB191_2884
.LBB191_2809:
	s_mov_b32 s19, -1
	s_mov_b32 s18, 0
	s_mov_b32 s16, 0
                                        ; implicit-def: $vgpr22
	s_branch .LBB191_2847
.LBB191_2810:
	s_mov_b32 s19, -1
	s_mov_b32 s18, 0
	s_mov_b32 s16, 0
                                        ; implicit-def: $vgpr22
	s_branch .LBB191_2828
.LBB191_2811:
	s_mov_b32 s19, -1
	s_mov_b32 s18, 0
	s_mov_b32 s16, 0
                                        ; implicit-def: $vgpr22
	s_branch .LBB191_2823
.LBB191_2812:
	s_or_b32 s12, s12, exec_lo
	s_trap 2
	s_cbranch_execz .LBB191_2749
	s_branch .LBB191_2750
.LBB191_2813:
	s_mov_b32 s19, -1
	s_mov_b32 s18, 0
	s_mov_b32 s16, 0
	s_branch .LBB191_2817
.LBB191_2814:
	s_and_not1_saveexec_b32 s61, s61
	s_cbranch_execz .LBB191_1498
.LBB191_2815:
	v_add_f32_e64 v5, 0x46000000, |v1|
	s_and_not1_b32 s60, s60, exec_lo
	s_delay_alu instid0(VALU_DEP_1) | instskip(NEXT) | instid1(VALU_DEP_1)
	v_and_b32_e32 v5, 0xff, v5
	v_cmp_ne_u32_e32 vcc_lo, 0, v5
	s_and_b32 s62, vcc_lo, exec_lo
	s_delay_alu instid0(SALU_CYCLE_1)
	s_or_b32 s60, s60, s62
	s_or_b32 exec_lo, exec_lo, s61
	v_mov_b32_e32 v6, 0
	s_and_saveexec_b32 s61, s60
	s_cbranch_execnz .LBB191_1499
	s_branch .LBB191_1500
.LBB191_2816:
	s_mov_b32 s16, -1
	s_mov_b32 s18, 0
.LBB191_2817:
                                        ; implicit-def: $vgpr22
.LBB191_2818:
	s_and_b32 vcc_lo, exec_lo, s19
	s_cbranch_vccz .LBB191_2822
; %bb.2819:
	s_cmp_eq_u32 s15, 44
	s_cbranch_scc0 .LBB191_2821
; %bb.2820:
	global_load_u8 v7, v[20:21], off
	s_mov_b32 s16, 0
	s_mov_b32 s18, -1
	s_wait_loadcnt 0x0
	v_lshlrev_b32_e32 v9, 23, v7
	v_cmp_ne_u32_e32 vcc_lo, 0xff, v7
	s_delay_alu instid0(VALU_DEP_2) | instskip(NEXT) | instid1(VALU_DEP_1)
	v_cvt_f16_f32_e32 v9, v9
	v_cndmask_b32_e32 v9, 0x7e00, v9, vcc_lo
	v_cmp_ne_u32_e32 vcc_lo, 0, v7
	s_wait_xcnt 0x1
	s_delay_alu instid0(VALU_DEP_2)
	v_cndmask_b32_e32 v22, 0, v9, vcc_lo
	s_branch .LBB191_2822
.LBB191_2821:
	s_mov_b32 s16, -1
                                        ; implicit-def: $vgpr22
.LBB191_2822:
	s_mov_b32 s19, 0
.LBB191_2823:
	s_delay_alu instid0(SALU_CYCLE_1)
	s_and_b32 vcc_lo, exec_lo, s19
	s_cbranch_vccz .LBB191_2827
; %bb.2824:
	s_cmp_eq_u32 s15, 29
	s_cbranch_scc0 .LBB191_2826
; %bb.2825:
	global_load_b64 v[22:23], v[20:21], off
	s_mov_b32 s16, 0
	s_mov_b32 s18, -1
	s_mov_b32 s19, 0
	s_wait_loadcnt 0x0
	v_clz_i32_u32_e32 v7, v23
	s_delay_alu instid0(VALU_DEP_1) | instskip(NEXT) | instid1(VALU_DEP_1)
	v_min_u32_e32 v7, 32, v7
	v_lshlrev_b64_e32 v[22:23], v7, v[22:23]
	v_sub_nc_u32_e32 v7, 32, v7
	s_delay_alu instid0(VALU_DEP_2) | instskip(NEXT) | instid1(VALU_DEP_1)
	v_min_u32_e32 v9, 1, v22
	v_or_b32_e32 v9, v23, v9
	s_delay_alu instid0(VALU_DEP_1) | instskip(NEXT) | instid1(VALU_DEP_1)
	v_cvt_f32_u32_e32 v9, v9
	v_ldexp_f32 v7, v9, v7
	s_delay_alu instid0(VALU_DEP_1)
	v_cvt_f16_f32_e32 v22, v7
	s_branch .LBB191_2828
.LBB191_2826:
	s_mov_b32 s16, -1
                                        ; implicit-def: $vgpr22
.LBB191_2827:
	s_mov_b32 s19, 0
.LBB191_2828:
	s_delay_alu instid0(SALU_CYCLE_1)
	s_and_b32 vcc_lo, exec_lo, s19
	s_cbranch_vccz .LBB191_2846
; %bb.2829:
	s_cmp_lt_i32 s15, 27
	s_cbranch_scc1 .LBB191_2832
; %bb.2830:
	s_cmp_gt_i32 s15, 27
	s_cbranch_scc0 .LBB191_2833
; %bb.2831:
	global_load_b32 v7, v[20:21], off
	s_mov_b32 s18, 0
	s_wait_loadcnt 0x0
	v_cvt_f32_u32_e32 v7, v7
	s_wait_xcnt 0x1
	s_delay_alu instid0(VALU_DEP_1)
	v_cvt_f16_f32_e32 v22, v7
	s_branch .LBB191_2834
.LBB191_2832:
	s_mov_b32 s18, -1
                                        ; implicit-def: $vgpr22
	s_branch .LBB191_2837
.LBB191_2833:
	s_mov_b32 s18, -1
                                        ; implicit-def: $vgpr22
.LBB191_2834:
	s_delay_alu instid0(SALU_CYCLE_1)
	s_and_not1_b32 vcc_lo, exec_lo, s18
	s_cbranch_vccnz .LBB191_2836
; %bb.2835:
	global_load_u16 v7, v[20:21], off
	s_wait_loadcnt 0x0
	s_wait_xcnt 0x1
	v_cvt_f16_u16_e32 v22, v7
.LBB191_2836:
	s_mov_b32 s18, 0
.LBB191_2837:
	s_delay_alu instid0(SALU_CYCLE_1)
	s_and_not1_b32 vcc_lo, exec_lo, s18
	s_cbranch_vccnz .LBB191_2845
; %bb.2838:
	global_load_u8 v7, v[20:21], off
	s_mov_b32 s18, 0
	s_mov_b32 s19, exec_lo
	s_wait_loadcnt 0x0
	v_cmpx_lt_i16_e32 0x7f, v7
	s_xor_b32 s19, exec_lo, s19
	s_cbranch_execz .LBB191_2859
; %bb.2839:
	s_mov_b32 s18, -1
	s_mov_b32 s20, exec_lo
	v_cmpx_eq_u16_e32 0x80, v7
; %bb.2840:
	s_xor_b32 s18, exec_lo, -1
; %bb.2841:
	s_or_b32 exec_lo, exec_lo, s20
	s_delay_alu instid0(SALU_CYCLE_1)
	s_and_b32 s18, s18, exec_lo
	s_or_saveexec_b32 s19, s19
	v_mov_b32_e32 v22, 0x7e00
	s_xor_b32 exec_lo, exec_lo, s19
	s_cbranch_execnz .LBB191_2860
.LBB191_2842:
	s_or_b32 exec_lo, exec_lo, s19
	s_and_saveexec_b32 s19, s18
	s_cbranch_execz .LBB191_2844
.LBB191_2843:
	v_and_b32_e32 v9, 0xffff, v7
	s_delay_alu instid0(VALU_DEP_1) | instskip(SKIP_1) | instid1(VALU_DEP_2)
	v_dual_lshlrev_b32 v7, 24, v7 :: v_dual_bitop2_b32 v11, 7, v9 bitop3:0x40
	v_bfe_u32 v17, v9, 3, 4
	v_and_b32_e32 v7, 0x80000000, v7
	s_delay_alu instid0(VALU_DEP_3) | instskip(NEXT) | instid1(VALU_DEP_3)
	v_clz_i32_u32_e32 v13, v11
	v_cmp_eq_u32_e32 vcc_lo, 0, v17
	s_delay_alu instid0(VALU_DEP_2) | instskip(NEXT) | instid1(VALU_DEP_1)
	v_min_u32_e32 v13, 32, v13
	v_subrev_nc_u32_e32 v15, 28, v13
	v_sub_nc_u32_e32 v13, 29, v13
	s_delay_alu instid0(VALU_DEP_2) | instskip(NEXT) | instid1(VALU_DEP_2)
	v_lshlrev_b32_e32 v9, v15, v9
	v_cndmask_b32_e32 v13, v17, v13, vcc_lo
	s_delay_alu instid0(VALU_DEP_2) | instskip(NEXT) | instid1(VALU_DEP_1)
	v_and_b32_e32 v9, 7, v9
	v_cndmask_b32_e32 v9, v11, v9, vcc_lo
	s_delay_alu instid0(VALU_DEP_3) | instskip(NEXT) | instid1(VALU_DEP_2)
	v_lshl_add_u32 v11, v13, 23, 0x3b800000
	v_lshlrev_b32_e32 v9, 20, v9
	s_delay_alu instid0(VALU_DEP_1) | instskip(NEXT) | instid1(VALU_DEP_1)
	v_or3_b32 v7, v7, v11, v9
	v_cvt_f16_f32_e32 v22, v7
.LBB191_2844:
	s_or_b32 exec_lo, exec_lo, s19
.LBB191_2845:
	s_mov_b32 s18, -1
.LBB191_2846:
	s_mov_b32 s19, 0
.LBB191_2847:
	s_delay_alu instid0(SALU_CYCLE_1)
	s_and_b32 vcc_lo, exec_lo, s19
	s_cbranch_vccz .LBB191_2880
; %bb.2848:
	s_cmp_gt_i32 s15, 22
	s_cbranch_scc0 .LBB191_2858
; %bb.2849:
	s_cmp_lt_i32 s15, 24
	s_cbranch_scc1 .LBB191_2861
; %bb.2850:
	s_cmp_gt_i32 s15, 24
	s_cbranch_scc0 .LBB191_2862
; %bb.2851:
	global_load_u8 v7, v[20:21], off
	s_mov_b32 s18, exec_lo
	s_wait_loadcnt 0x0
	v_cmpx_lt_i16_e32 0x7f, v7
	s_xor_b32 s18, exec_lo, s18
	s_cbranch_execz .LBB191_2874
; %bb.2852:
	s_mov_b32 s17, -1
	s_mov_b32 s19, exec_lo
	v_cmpx_eq_u16_e32 0x80, v7
; %bb.2853:
	s_xor_b32 s17, exec_lo, -1
; %bb.2854:
	s_or_b32 exec_lo, exec_lo, s19
	s_delay_alu instid0(SALU_CYCLE_1)
	s_and_b32 s17, s17, exec_lo
	s_or_saveexec_b32 s18, s18
	v_mov_b32_e32 v22, 0x7e00
	s_xor_b32 exec_lo, exec_lo, s18
	s_cbranch_execnz .LBB191_2875
.LBB191_2855:
	s_or_b32 exec_lo, exec_lo, s18
	s_and_saveexec_b32 s18, s17
	s_cbranch_execz .LBB191_2857
.LBB191_2856:
	v_and_b32_e32 v9, 0xffff, v7
	s_delay_alu instid0(VALU_DEP_1) | instskip(SKIP_1) | instid1(VALU_DEP_2)
	v_dual_lshlrev_b32 v7, 24, v7 :: v_dual_bitop2_b32 v11, 3, v9 bitop3:0x40
	v_bfe_u32 v17, v9, 2, 5
	v_and_b32_e32 v7, 0x80000000, v7
	s_delay_alu instid0(VALU_DEP_3) | instskip(NEXT) | instid1(VALU_DEP_3)
	v_clz_i32_u32_e32 v13, v11
	v_cmp_eq_u32_e32 vcc_lo, 0, v17
	s_delay_alu instid0(VALU_DEP_2) | instskip(NEXT) | instid1(VALU_DEP_1)
	v_min_u32_e32 v13, 32, v13
	v_subrev_nc_u32_e32 v15, 29, v13
	v_sub_nc_u32_e32 v13, 30, v13
	s_delay_alu instid0(VALU_DEP_2) | instskip(NEXT) | instid1(VALU_DEP_2)
	v_lshlrev_b32_e32 v9, v15, v9
	v_cndmask_b32_e32 v13, v17, v13, vcc_lo
	s_delay_alu instid0(VALU_DEP_2) | instskip(NEXT) | instid1(VALU_DEP_1)
	v_and_b32_e32 v9, 3, v9
	v_cndmask_b32_e32 v9, v11, v9, vcc_lo
	s_delay_alu instid0(VALU_DEP_3) | instskip(NEXT) | instid1(VALU_DEP_2)
	v_lshl_add_u32 v11, v13, 23, 0x37800000
	v_lshlrev_b32_e32 v9, 21, v9
	s_delay_alu instid0(VALU_DEP_1) | instskip(NEXT) | instid1(VALU_DEP_1)
	v_or3_b32 v7, v7, v11, v9
	v_cvt_f16_f32_e32 v22, v7
.LBB191_2857:
	s_or_b32 exec_lo, exec_lo, s18
	s_mov_b32 s17, 0
	s_branch .LBB191_2863
.LBB191_2858:
	s_mov_b32 s17, -1
                                        ; implicit-def: $vgpr22
	s_branch .LBB191_2869
.LBB191_2859:
	s_or_saveexec_b32 s19, s19
	v_mov_b32_e32 v22, 0x7e00
	s_xor_b32 exec_lo, exec_lo, s19
	s_cbranch_execz .LBB191_2842
.LBB191_2860:
	v_cmp_ne_u16_e32 vcc_lo, 0, v7
	v_mov_b32_e32 v22, v7
	s_and_not1_b32 s18, s18, exec_lo
	s_and_b32 s20, vcc_lo, exec_lo
	s_delay_alu instid0(SALU_CYCLE_1)
	s_or_b32 s18, s18, s20
	s_or_b32 exec_lo, exec_lo, s19
	s_and_saveexec_b32 s19, s18
	s_cbranch_execnz .LBB191_2843
	s_branch .LBB191_2844
.LBB191_2861:
	s_mov_b32 s17, -1
                                        ; implicit-def: $vgpr22
	s_branch .LBB191_2866
.LBB191_2862:
	s_mov_b32 s17, -1
                                        ; implicit-def: $vgpr22
.LBB191_2863:
	s_delay_alu instid0(SALU_CYCLE_1)
	s_and_b32 vcc_lo, exec_lo, s17
	s_cbranch_vccz .LBB191_2865
; %bb.2864:
	global_load_u8 v7, v[20:21], off
	s_wait_loadcnt 0x0
	v_lshlrev_b32_e32 v7, 24, v7
	s_delay_alu instid0(VALU_DEP_1) | instskip(NEXT) | instid1(VALU_DEP_1)
	v_and_b32_e32 v9, 0x7f000000, v7
	v_clz_i32_u32_e32 v11, v9
	v_add_nc_u32_e32 v15, 0x1000000, v9
	v_cmp_ne_u32_e32 vcc_lo, 0, v9
	s_delay_alu instid0(VALU_DEP_3) | instskip(NEXT) | instid1(VALU_DEP_1)
	v_min_u32_e32 v11, 32, v11
	v_sub_nc_u32_e64 v11, v11, 4 clamp
	s_delay_alu instid0(VALU_DEP_1) | instskip(NEXT) | instid1(VALU_DEP_1)
	v_dual_lshlrev_b32 v13, v11, v9 :: v_dual_lshlrev_b32 v11, 23, v11
	v_lshrrev_b32_e32 v13, 4, v13
	s_delay_alu instid0(VALU_DEP_1) | instskip(SKIP_1) | instid1(VALU_DEP_2)
	v_sub_nc_u32_e32 v11, v13, v11
	v_ashrrev_i32_e32 v13, 8, v15
	v_add_nc_u32_e32 v11, 0x3c000000, v11
	s_delay_alu instid0(VALU_DEP_1) | instskip(NEXT) | instid1(VALU_DEP_1)
	v_and_or_b32 v11, 0x7f800000, v13, v11
	v_cndmask_b32_e32 v9, 0, v11, vcc_lo
	s_delay_alu instid0(VALU_DEP_1) | instskip(SKIP_1) | instid1(VALU_DEP_1)
	v_and_or_b32 v7, 0x80000000, v7, v9
	s_wait_xcnt 0x1
	v_cvt_f16_f32_e32 v22, v7
.LBB191_2865:
	s_mov_b32 s17, 0
.LBB191_2866:
	s_delay_alu instid0(SALU_CYCLE_1)
	s_and_not1_b32 vcc_lo, exec_lo, s17
	s_cbranch_vccnz .LBB191_2868
; %bb.2867:
	global_load_u8 v7, v[20:21], off
	s_wait_loadcnt 0x0
	v_lshlrev_b32_e32 v9, 25, v7
	v_lshlrev_b16 v7, 8, v7
	s_delay_alu instid0(VALU_DEP_1) | instskip(SKIP_1) | instid1(VALU_DEP_2)
	v_and_or_b32 v13, 0x7f00, v7, 0.5
	v_bfe_i32 v7, v7, 0, 16
	v_add_f32_e32 v13, -0.5, v13
	v_lshrrev_b32_e32 v11, 4, v9
	v_cmp_gt_u32_e32 vcc_lo, 0x8000000, v9
	s_delay_alu instid0(VALU_DEP_2) | instskip(NEXT) | instid1(VALU_DEP_1)
	v_or_b32_e32 v11, 0x70000000, v11
	v_mul_f32_e32 v11, 0x7800000, v11
	s_delay_alu instid0(VALU_DEP_1) | instskip(NEXT) | instid1(VALU_DEP_1)
	v_cndmask_b32_e32 v9, v11, v13, vcc_lo
	v_and_or_b32 v7, 0x80000000, v7, v9
	s_wait_xcnt 0x1
	s_delay_alu instid0(VALU_DEP_1)
	v_cvt_f16_f32_e32 v22, v7
.LBB191_2868:
	s_mov_b32 s17, 0
	s_mov_b32 s18, -1
.LBB191_2869:
	s_and_not1_b32 vcc_lo, exec_lo, s17
	s_mov_b32 s17, 0
	s_cbranch_vccnz .LBB191_2880
; %bb.2870:
	s_cmp_gt_i32 s15, 14
	s_cbranch_scc0 .LBB191_2873
; %bb.2871:
	s_cmp_eq_u32 s15, 15
	s_cbranch_scc0 .LBB191_2876
; %bb.2872:
	global_load_u16 v7, v[20:21], off
	s_mov_b32 s16, 0
	s_mov_b32 s18, -1
	s_wait_loadcnt 0x0
	v_lshlrev_b32_e32 v7, 16, v7
	s_wait_xcnt 0x1
	s_delay_alu instid0(VALU_DEP_1)
	v_cvt_f16_f32_e32 v22, v7
	s_branch .LBB191_2878
.LBB191_2873:
	s_mov_b32 s17, -1
	s_branch .LBB191_2877
.LBB191_2874:
	s_or_saveexec_b32 s18, s18
	v_mov_b32_e32 v22, 0x7e00
	s_xor_b32 exec_lo, exec_lo, s18
	s_cbranch_execz .LBB191_2855
.LBB191_2875:
	v_cmp_ne_u16_e32 vcc_lo, 0, v7
	v_mov_b32_e32 v22, v7
	s_and_not1_b32 s17, s17, exec_lo
	s_and_b32 s19, vcc_lo, exec_lo
	s_delay_alu instid0(SALU_CYCLE_1)
	s_or_b32 s17, s17, s19
	s_or_b32 exec_lo, exec_lo, s18
	s_and_saveexec_b32 s18, s17
	s_cbranch_execnz .LBB191_2856
	s_branch .LBB191_2857
.LBB191_2876:
	s_mov_b32 s16, -1
.LBB191_2877:
                                        ; implicit-def: $vgpr22
.LBB191_2878:
	s_and_b32 vcc_lo, exec_lo, s17
	s_mov_b32 s17, 0
	s_cbranch_vccz .LBB191_2880
; %bb.2879:
	s_cmp_lg_u32 s15, 11
	s_mov_b32 s17, -1
	s_cselect_b32 s16, -1, 0
.LBB191_2880:
	s_delay_alu instid0(SALU_CYCLE_1)
	s_and_b32 vcc_lo, exec_lo, s16
	s_cbranch_vccnz .LBB191_2945
; %bb.2881:
	s_and_not1_b32 vcc_lo, exec_lo, s17
	s_cbranch_vccnz .LBB191_2883
.LBB191_2882:
	global_load_u8 v7, v[20:21], off
	s_mov_b32 s18, -1
	s_wait_loadcnt 0x0
	v_cmp_ne_u16_e32 vcc_lo, 0, v7
	s_wait_xcnt 0x1
	v_cndmask_b32_e64 v22, 0, 0x3c00, vcc_lo
.LBB191_2883:
	s_mov_b32 s16, 0
.LBB191_2884:
	s_delay_alu instid0(SALU_CYCLE_1)
	s_and_b32 vcc_lo, exec_lo, s16
	s_cbranch_vccz .LBB191_2933
; %bb.2885:
	s_cmp_lt_i32 s15, 5
	s_cbranch_scc1 .LBB191_2890
; %bb.2886:
	s_cmp_lt_i32 s15, 8
	s_cbranch_scc1 .LBB191_2891
	;; [unrolled: 3-line block ×3, first 2 shown]
; %bb.2888:
	s_cmp_gt_i32 s15, 9
	s_cbranch_scc0 .LBB191_2893
; %bb.2889:
	global_load_b64 v[22:23], v[20:21], off
	s_mov_b32 s16, 0
	s_wait_loadcnt 0x0
	v_and_or_b32 v7, 0x1ff, v23, v22
	v_lshrrev_b32_e32 v9, 8, v23
	v_bfe_u32 v11, v23, 20, 11
	s_delay_alu instid0(VALU_DEP_3) | instskip(NEXT) | instid1(VALU_DEP_2)
	v_cmp_ne_u32_e32 vcc_lo, 0, v7
	v_sub_nc_u32_e32 v13, 0x3f1, v11
	v_add_nc_u32_e32 v11, 0xfffffc10, v11
	v_cndmask_b32_e64 v7, 0, 1, vcc_lo
	s_delay_alu instid0(VALU_DEP_1) | instskip(NEXT) | instid1(VALU_DEP_4)
	v_and_or_b32 v7, 0xffe, v9, v7
	v_med3_i32 v9, v13, 0, 13
	s_delay_alu instid0(VALU_DEP_2) | instskip(NEXT) | instid1(VALU_DEP_1)
	v_or_b32_e32 v13, 0x1000, v7
	v_lshrrev_b32_e32 v15, v9, v13
	s_delay_alu instid0(VALU_DEP_1) | instskip(NEXT) | instid1(VALU_DEP_1)
	v_lshlrev_b32_e32 v9, v9, v15
	v_cmp_ne_u32_e32 vcc_lo, v9, v13
	v_lshl_or_b32 v13, v11, 12, v7
	v_cndmask_b32_e64 v9, 0, 1, vcc_lo
	v_cmp_gt_i32_e32 vcc_lo, 1, v11
	s_delay_alu instid0(VALU_DEP_2) | instskip(NEXT) | instid1(VALU_DEP_1)
	v_or_b32_e32 v9, v15, v9
	v_cndmask_b32_e32 v9, v13, v9, vcc_lo
	s_delay_alu instid0(VALU_DEP_1) | instskip(NEXT) | instid1(VALU_DEP_1)
	v_and_b32_e32 v13, 7, v9
	v_cmp_lt_i32_e32 vcc_lo, 5, v13
	v_cndmask_b32_e64 v15, 0, 1, vcc_lo
	v_cmp_eq_u32_e32 vcc_lo, 3, v13
	v_cndmask_b32_e64 v13, 0, 1, vcc_lo
	v_cmp_ne_u32_e32 vcc_lo, 0, v7
	s_delay_alu instid0(VALU_DEP_2) | instskip(SKIP_1) | instid1(VALU_DEP_2)
	v_dual_lshrrev_b32 v9, 2, v9 :: v_dual_bitop2_b32 v13, v13, v15 bitop3:0x54
	v_mov_b32_e32 v15, 0x7e00
	v_add_nc_u32_e32 v9, v9, v13
	s_delay_alu instid0(VALU_DEP_2) | instskip(SKIP_1) | instid1(VALU_DEP_3)
	v_cndmask_b32_e32 v7, 0x7c00, v15, vcc_lo
	v_cmp_gt_i32_e32 vcc_lo, 31, v11
	v_cndmask_b32_e32 v9, 0x7c00, v9, vcc_lo
	v_cmp_eq_u32_e32 vcc_lo, 0x40f, v11
	s_delay_alu instid0(VALU_DEP_2) | instskip(SKIP_1) | instid1(VALU_DEP_1)
	v_cndmask_b32_e32 v7, v9, v7, vcc_lo
	v_lshrrev_b32_e32 v9, 16, v23
	v_and_or_b32 v22, 0x8000, v9, v7
	s_branch .LBB191_2894
.LBB191_2890:
	s_mov_b32 s16, -1
                                        ; implicit-def: $vgpr22
	s_branch .LBB191_2912
.LBB191_2891:
	s_mov_b32 s16, -1
                                        ; implicit-def: $vgpr22
	s_branch .LBB191_2900
.LBB191_2892:
	s_mov_b32 s16, -1
                                        ; implicit-def: $vgpr22
	s_branch .LBB191_2897
.LBB191_2893:
	s_mov_b32 s16, -1
                                        ; implicit-def: $vgpr22
.LBB191_2894:
	s_delay_alu instid0(SALU_CYCLE_1)
	s_and_not1_b32 vcc_lo, exec_lo, s16
	s_cbranch_vccnz .LBB191_2896
; %bb.2895:
	global_load_b32 v7, v[20:21], off
	s_wait_loadcnt 0x0
	s_wait_xcnt 0x1
	v_cvt_f16_f32_e32 v22, v7
.LBB191_2896:
	s_mov_b32 s16, 0
.LBB191_2897:
	s_delay_alu instid0(SALU_CYCLE_1)
	s_and_not1_b32 vcc_lo, exec_lo, s16
	s_cbranch_vccnz .LBB191_2899
; %bb.2898:
	global_load_b32 v22, v[20:21], off
.LBB191_2899:
	s_mov_b32 s16, 0
.LBB191_2900:
	s_delay_alu instid0(SALU_CYCLE_1)
	s_and_not1_b32 vcc_lo, exec_lo, s16
	s_cbranch_vccnz .LBB191_2911
; %bb.2901:
	s_cmp_lt_i32 s15, 6
	s_cbranch_scc1 .LBB191_2904
; %bb.2902:
	s_cmp_gt_i32 s15, 6
	s_cbranch_scc0 .LBB191_2905
; %bb.2903:
	s_wait_loadcnt 0x0
	global_load_b64 v[22:23], v[20:21], off
	s_mov_b32 s16, 0
	s_wait_loadcnt 0x0
	v_and_or_b32 v7, 0x1ff, v23, v22
	v_lshrrev_b32_e32 v9, 8, v23
	v_bfe_u32 v11, v23, 20, 11
	s_delay_alu instid0(VALU_DEP_3) | instskip(NEXT) | instid1(VALU_DEP_2)
	v_cmp_ne_u32_e32 vcc_lo, 0, v7
	v_sub_nc_u32_e32 v13, 0x3f1, v11
	v_add_nc_u32_e32 v11, 0xfffffc10, v11
	v_cndmask_b32_e64 v7, 0, 1, vcc_lo
	s_delay_alu instid0(VALU_DEP_1) | instskip(NEXT) | instid1(VALU_DEP_4)
	v_and_or_b32 v7, 0xffe, v9, v7
	v_med3_i32 v9, v13, 0, 13
	s_delay_alu instid0(VALU_DEP_2) | instskip(NEXT) | instid1(VALU_DEP_1)
	v_or_b32_e32 v13, 0x1000, v7
	v_lshrrev_b32_e32 v15, v9, v13
	s_delay_alu instid0(VALU_DEP_1) | instskip(NEXT) | instid1(VALU_DEP_1)
	v_lshlrev_b32_e32 v9, v9, v15
	v_cmp_ne_u32_e32 vcc_lo, v9, v13
	v_lshl_or_b32 v13, v11, 12, v7
	v_cndmask_b32_e64 v9, 0, 1, vcc_lo
	v_cmp_gt_i32_e32 vcc_lo, 1, v11
	s_delay_alu instid0(VALU_DEP_2) | instskip(NEXT) | instid1(VALU_DEP_1)
	v_or_b32_e32 v9, v15, v9
	v_cndmask_b32_e32 v9, v13, v9, vcc_lo
	s_delay_alu instid0(VALU_DEP_1) | instskip(NEXT) | instid1(VALU_DEP_1)
	v_and_b32_e32 v13, 7, v9
	v_cmp_lt_i32_e32 vcc_lo, 5, v13
	v_cndmask_b32_e64 v15, 0, 1, vcc_lo
	v_cmp_eq_u32_e32 vcc_lo, 3, v13
	v_cndmask_b32_e64 v13, 0, 1, vcc_lo
	v_cmp_ne_u32_e32 vcc_lo, 0, v7
	s_delay_alu instid0(VALU_DEP_2) | instskip(SKIP_1) | instid1(VALU_DEP_2)
	v_dual_lshrrev_b32 v9, 2, v9 :: v_dual_bitop2_b32 v13, v13, v15 bitop3:0x54
	v_mov_b32_e32 v15, 0x7e00
	v_add_nc_u32_e32 v9, v9, v13
	s_delay_alu instid0(VALU_DEP_2) | instskip(SKIP_1) | instid1(VALU_DEP_3)
	v_cndmask_b32_e32 v7, 0x7c00, v15, vcc_lo
	v_cmp_gt_i32_e32 vcc_lo, 31, v11
	v_cndmask_b32_e32 v9, 0x7c00, v9, vcc_lo
	v_cmp_eq_u32_e32 vcc_lo, 0x40f, v11
	s_delay_alu instid0(VALU_DEP_2) | instskip(SKIP_1) | instid1(VALU_DEP_1)
	v_cndmask_b32_e32 v7, v9, v7, vcc_lo
	v_lshrrev_b32_e32 v9, 16, v23
	v_and_or_b32 v22, 0x8000, v9, v7
	s_branch .LBB191_2906
.LBB191_2904:
	s_mov_b32 s16, -1
                                        ; implicit-def: $vgpr22
	s_branch .LBB191_2909
.LBB191_2905:
	s_mov_b32 s16, -1
                                        ; implicit-def: $vgpr22
.LBB191_2906:
	s_delay_alu instid0(SALU_CYCLE_1)
	s_and_not1_b32 vcc_lo, exec_lo, s16
	s_cbranch_vccnz .LBB191_2908
; %bb.2907:
	global_load_b32 v7, v[20:21], off
	s_wait_loadcnt 0x0
	s_wait_xcnt 0x1
	v_cvt_f16_f32_e32 v22, v7
.LBB191_2908:
	s_mov_b32 s16, 0
.LBB191_2909:
	s_delay_alu instid0(SALU_CYCLE_1)
	s_and_not1_b32 vcc_lo, exec_lo, s16
	s_cbranch_vccnz .LBB191_2911
; %bb.2910:
	s_wait_loadcnt 0x0
	global_load_u16 v22, v[20:21], off
.LBB191_2911:
	s_mov_b32 s16, 0
.LBB191_2912:
	s_delay_alu instid0(SALU_CYCLE_1)
	s_and_not1_b32 vcc_lo, exec_lo, s16
	s_cbranch_vccnz .LBB191_2932
; %bb.2913:
	s_cmp_lt_i32 s15, 2
	s_cbranch_scc1 .LBB191_2917
; %bb.2914:
	s_cmp_lt_i32 s15, 3
	s_cbranch_scc1 .LBB191_2918
; %bb.2915:
	s_cmp_gt_i32 s15, 3
	s_cbranch_scc0 .LBB191_2919
; %bb.2916:
	s_wait_loadcnt 0x0
	global_load_b64 v[22:23], v[20:21], off
	s_mov_b32 s16, 0
	s_wait_loadcnt 0x0
	v_xor_b32_e32 v7, v22, v23
	v_cls_i32_e32 v9, v23
	s_delay_alu instid0(VALU_DEP_2) | instskip(NEXT) | instid1(VALU_DEP_1)
	v_ashrrev_i32_e32 v7, 31, v7
	v_add_nc_u32_e32 v7, 32, v7
	s_delay_alu instid0(VALU_DEP_1) | instskip(NEXT) | instid1(VALU_DEP_1)
	v_add_min_u32_e64 v7, v9, -1, v7
	v_lshlrev_b64_e32 v[22:23], v7, v[22:23]
	v_sub_nc_u32_e32 v7, 32, v7
	s_delay_alu instid0(VALU_DEP_2) | instskip(NEXT) | instid1(VALU_DEP_1)
	v_min_u32_e32 v9, 1, v22
	v_or_b32_e32 v9, v23, v9
	s_delay_alu instid0(VALU_DEP_1) | instskip(NEXT) | instid1(VALU_DEP_1)
	v_cvt_f32_i32_e32 v9, v9
	v_ldexp_f32 v7, v9, v7
	s_delay_alu instid0(VALU_DEP_1)
	v_cvt_f16_f32_e32 v22, v7
	s_branch .LBB191_2920
.LBB191_2917:
	s_mov_b32 s16, -1
                                        ; implicit-def: $vgpr22
	s_branch .LBB191_2926
.LBB191_2918:
	s_mov_b32 s16, -1
                                        ; implicit-def: $vgpr22
	s_branch .LBB191_2923
.LBB191_2919:
	s_mov_b32 s16, -1
                                        ; implicit-def: $vgpr22
.LBB191_2920:
	s_delay_alu instid0(SALU_CYCLE_1)
	s_and_not1_b32 vcc_lo, exec_lo, s16
	s_cbranch_vccnz .LBB191_2922
; %bb.2921:
	global_load_b32 v7, v[20:21], off
	s_wait_loadcnt 0x0
	v_cvt_f32_i32_e32 v7, v7
	s_wait_xcnt 0x1
	s_delay_alu instid0(VALU_DEP_1)
	v_cvt_f16_f32_e32 v22, v7
.LBB191_2922:
	s_mov_b32 s16, 0
.LBB191_2923:
	s_delay_alu instid0(SALU_CYCLE_1)
	s_and_not1_b32 vcc_lo, exec_lo, s16
	s_cbranch_vccnz .LBB191_2925
; %bb.2924:
	global_load_u16 v7, v[20:21], off
	s_wait_loadcnt 0x0
	s_wait_xcnt 0x1
	v_cvt_f16_i16_e32 v22, v7
.LBB191_2925:
	s_mov_b32 s16, 0
.LBB191_2926:
	s_delay_alu instid0(SALU_CYCLE_1)
	s_and_not1_b32 vcc_lo, exec_lo, s16
	s_cbranch_vccnz .LBB191_2932
; %bb.2927:
	s_cmp_gt_i32 s15, 0
	s_mov_b32 s16, 0
	s_cbranch_scc0 .LBB191_2929
; %bb.2928:
	global_load_i8 v7, v[20:21], off
	s_wait_loadcnt 0x0
	s_wait_xcnt 0x1
	v_cvt_f16_i16_e32 v22, v7
	s_branch .LBB191_2930
.LBB191_2929:
	s_mov_b32 s16, -1
                                        ; implicit-def: $vgpr22
.LBB191_2930:
	s_delay_alu instid0(SALU_CYCLE_1)
	s_and_not1_b32 vcc_lo, exec_lo, s16
	s_cbranch_vccnz .LBB191_2932
; %bb.2931:
	global_load_u8 v7, v[20:21], off
	s_wait_loadcnt 0x0
	s_wait_xcnt 0x1
	v_cvt_f16_u16_e32 v22, v7
.LBB191_2932:
	s_mov_b32 s18, -1
.LBB191_2933:
	s_delay_alu instid0(SALU_CYCLE_1)
	s_and_not1_b32 vcc_lo, exec_lo, s18
	s_cbranch_vccnz .LBB191_4155
; %bb.2934:
	v_mov_b32_e32 v19, 0
	s_cmp_lt_i32 s13, 11
	s_delay_alu instid0(VALU_DEP_1)
	v_add_nc_u64_e32 v[18:19], s[6:7], v[18:19]
	s_cbranch_scc1 .LBB191_2941
; %bb.2935:
	s_cmp_gt_i32 s13, 25
	s_mov_b32 s17, 0
	s_cbranch_scc0 .LBB191_2942
; %bb.2936:
	s_cmp_gt_i32 s13, 28
	s_cbranch_scc0 .LBB191_2943
; %bb.2937:
	s_cmp_gt_i32 s13, 43
	;; [unrolled: 3-line block ×3, first 2 shown]
	s_cbranch_scc0 .LBB191_2946
; %bb.2939:
	s_cmp_eq_u32 s13, 46
	s_mov_b32 s19, 0
	s_cbranch_scc0 .LBB191_2949
; %bb.2940:
	global_load_b32 v7, v[18:19], off
	s_mov_b32 s16, 0
	s_mov_b32 s18, -1
	s_wait_loadcnt 0x0
	v_lshlrev_b32_e32 v7, 16, v7
	s_wait_xcnt 0x1
	s_delay_alu instid0(VALU_DEP_1)
	v_cvt_f16_f32_e32 v20, v7
	s_branch .LBB191_2951
.LBB191_2941:
	s_mov_b32 s16, -1
	s_mov_b32 s18, 0
                                        ; implicit-def: $vgpr20
	s_branch .LBB191_3017
.LBB191_2942:
	s_mov_b32 s19, -1
	s_mov_b32 s18, 0
	s_mov_b32 s16, 0
                                        ; implicit-def: $vgpr20
	s_branch .LBB191_2980
.LBB191_2943:
	s_mov_b32 s19, -1
	s_mov_b32 s18, 0
	s_mov_b32 s16, 0
                                        ; implicit-def: $vgpr20
	s_branch .LBB191_2961
.LBB191_2944:
	s_mov_b32 s19, -1
	s_mov_b32 s18, 0
	s_mov_b32 s16, 0
                                        ; implicit-def: $vgpr20
	s_branch .LBB191_2956
.LBB191_2945:
	s_or_b32 s12, s12, exec_lo
	s_trap 2
	s_cbranch_execz .LBB191_2882
	s_branch .LBB191_2883
.LBB191_2946:
	s_mov_b32 s19, -1
	s_mov_b32 s18, 0
	s_mov_b32 s16, 0
	s_branch .LBB191_2950
.LBB191_2947:
	s_and_not1_saveexec_b32 s61, s61
	s_cbranch_execz .LBB191_1511
.LBB191_2948:
	v_add_f32_e64 v5, 0x42800000, |v1|
	s_and_not1_b32 s60, s60, exec_lo
	s_delay_alu instid0(VALU_DEP_1) | instskip(NEXT) | instid1(VALU_DEP_1)
	v_and_b32_e32 v5, 0xff, v5
	v_cmp_ne_u32_e32 vcc_lo, 0, v5
	s_and_b32 s62, vcc_lo, exec_lo
	s_delay_alu instid0(SALU_CYCLE_1)
	s_or_b32 s60, s60, s62
	s_or_b32 exec_lo, exec_lo, s61
	v_mov_b32_e32 v6, 0
	s_and_saveexec_b32 s61, s60
	s_cbranch_execnz .LBB191_1512
	s_branch .LBB191_1513
.LBB191_2949:
	s_mov_b32 s16, -1
	s_mov_b32 s18, 0
.LBB191_2950:
                                        ; implicit-def: $vgpr20
.LBB191_2951:
	s_and_b32 vcc_lo, exec_lo, s19
	s_cbranch_vccz .LBB191_2955
; %bb.2952:
	s_cmp_eq_u32 s13, 44
	s_cbranch_scc0 .LBB191_2954
; %bb.2953:
	global_load_u8 v7, v[18:19], off
	s_mov_b32 s16, 0
	s_mov_b32 s18, -1
	s_wait_loadcnt 0x0
	v_lshlrev_b32_e32 v9, 23, v7
	v_cmp_ne_u32_e32 vcc_lo, 0xff, v7
	s_delay_alu instid0(VALU_DEP_2) | instskip(NEXT) | instid1(VALU_DEP_1)
	v_cvt_f16_f32_e32 v9, v9
	v_cndmask_b32_e32 v9, 0x7e00, v9, vcc_lo
	v_cmp_ne_u32_e32 vcc_lo, 0, v7
	s_wait_xcnt 0x1
	s_delay_alu instid0(VALU_DEP_2)
	v_cndmask_b32_e32 v20, 0, v9, vcc_lo
	s_branch .LBB191_2955
.LBB191_2954:
	s_mov_b32 s16, -1
                                        ; implicit-def: $vgpr20
.LBB191_2955:
	s_mov_b32 s19, 0
.LBB191_2956:
	s_delay_alu instid0(SALU_CYCLE_1)
	s_and_b32 vcc_lo, exec_lo, s19
	s_cbranch_vccz .LBB191_2960
; %bb.2957:
	s_cmp_eq_u32 s13, 29
	s_cbranch_scc0 .LBB191_2959
; %bb.2958:
	global_load_b64 v[20:21], v[18:19], off
	s_mov_b32 s16, 0
	s_mov_b32 s18, -1
	s_mov_b32 s19, 0
	s_wait_loadcnt 0x0
	v_clz_i32_u32_e32 v7, v21
	s_delay_alu instid0(VALU_DEP_1) | instskip(NEXT) | instid1(VALU_DEP_1)
	v_min_u32_e32 v7, 32, v7
	v_lshlrev_b64_e32 v[20:21], v7, v[20:21]
	v_sub_nc_u32_e32 v7, 32, v7
	s_delay_alu instid0(VALU_DEP_2) | instskip(NEXT) | instid1(VALU_DEP_1)
	v_min_u32_e32 v9, 1, v20
	v_or_b32_e32 v9, v21, v9
	s_delay_alu instid0(VALU_DEP_1) | instskip(NEXT) | instid1(VALU_DEP_1)
	v_cvt_f32_u32_e32 v9, v9
	v_ldexp_f32 v7, v9, v7
	s_delay_alu instid0(VALU_DEP_1)
	v_cvt_f16_f32_e32 v20, v7
	s_branch .LBB191_2961
.LBB191_2959:
	s_mov_b32 s16, -1
                                        ; implicit-def: $vgpr20
.LBB191_2960:
	s_mov_b32 s19, 0
.LBB191_2961:
	s_delay_alu instid0(SALU_CYCLE_1)
	s_and_b32 vcc_lo, exec_lo, s19
	s_cbranch_vccz .LBB191_2979
; %bb.2962:
	s_cmp_lt_i32 s13, 27
	s_cbranch_scc1 .LBB191_2965
; %bb.2963:
	s_cmp_gt_i32 s13, 27
	s_cbranch_scc0 .LBB191_2966
; %bb.2964:
	global_load_b32 v7, v[18:19], off
	s_mov_b32 s18, 0
	s_wait_loadcnt 0x0
	v_cvt_f32_u32_e32 v7, v7
	s_wait_xcnt 0x1
	s_delay_alu instid0(VALU_DEP_1)
	v_cvt_f16_f32_e32 v20, v7
	s_branch .LBB191_2967
.LBB191_2965:
	s_mov_b32 s18, -1
                                        ; implicit-def: $vgpr20
	s_branch .LBB191_2970
.LBB191_2966:
	s_mov_b32 s18, -1
                                        ; implicit-def: $vgpr20
.LBB191_2967:
	s_delay_alu instid0(SALU_CYCLE_1)
	s_and_not1_b32 vcc_lo, exec_lo, s18
	s_cbranch_vccnz .LBB191_2969
; %bb.2968:
	global_load_u16 v7, v[18:19], off
	s_wait_loadcnt 0x0
	s_wait_xcnt 0x1
	v_cvt_f16_u16_e32 v20, v7
.LBB191_2969:
	s_mov_b32 s18, 0
.LBB191_2970:
	s_delay_alu instid0(SALU_CYCLE_1)
	s_and_not1_b32 vcc_lo, exec_lo, s18
	s_cbranch_vccnz .LBB191_2978
; %bb.2971:
	global_load_u8 v7, v[18:19], off
	s_mov_b32 s18, 0
	s_mov_b32 s19, exec_lo
	s_wait_loadcnt 0x0
	v_cmpx_lt_i16_e32 0x7f, v7
	s_xor_b32 s19, exec_lo, s19
	s_cbranch_execz .LBB191_2992
; %bb.2972:
	s_mov_b32 s18, -1
	s_mov_b32 s20, exec_lo
	v_cmpx_eq_u16_e32 0x80, v7
; %bb.2973:
	s_xor_b32 s18, exec_lo, -1
; %bb.2974:
	s_or_b32 exec_lo, exec_lo, s20
	s_delay_alu instid0(SALU_CYCLE_1)
	s_and_b32 s18, s18, exec_lo
	s_or_saveexec_b32 s19, s19
	v_mov_b32_e32 v20, 0x7e00
	s_xor_b32 exec_lo, exec_lo, s19
	s_cbranch_execnz .LBB191_2993
.LBB191_2975:
	s_or_b32 exec_lo, exec_lo, s19
	s_and_saveexec_b32 s19, s18
	s_cbranch_execz .LBB191_2977
.LBB191_2976:
	v_and_b32_e32 v9, 0xffff, v7
	s_delay_alu instid0(VALU_DEP_1) | instskip(SKIP_1) | instid1(VALU_DEP_2)
	v_dual_lshlrev_b32 v7, 24, v7 :: v_dual_bitop2_b32 v11, 7, v9 bitop3:0x40
	v_bfe_u32 v17, v9, 3, 4
	v_and_b32_e32 v7, 0x80000000, v7
	s_delay_alu instid0(VALU_DEP_3) | instskip(NEXT) | instid1(VALU_DEP_3)
	v_clz_i32_u32_e32 v13, v11
	v_cmp_eq_u32_e32 vcc_lo, 0, v17
	s_delay_alu instid0(VALU_DEP_2) | instskip(NEXT) | instid1(VALU_DEP_1)
	v_min_u32_e32 v13, 32, v13
	v_subrev_nc_u32_e32 v15, 28, v13
	v_sub_nc_u32_e32 v13, 29, v13
	s_delay_alu instid0(VALU_DEP_2) | instskip(NEXT) | instid1(VALU_DEP_2)
	v_lshlrev_b32_e32 v9, v15, v9
	v_cndmask_b32_e32 v13, v17, v13, vcc_lo
	s_delay_alu instid0(VALU_DEP_2) | instskip(NEXT) | instid1(VALU_DEP_1)
	v_and_b32_e32 v9, 7, v9
	v_cndmask_b32_e32 v9, v11, v9, vcc_lo
	s_delay_alu instid0(VALU_DEP_3) | instskip(NEXT) | instid1(VALU_DEP_2)
	v_lshl_add_u32 v11, v13, 23, 0x3b800000
	v_lshlrev_b32_e32 v9, 20, v9
	s_delay_alu instid0(VALU_DEP_1) | instskip(NEXT) | instid1(VALU_DEP_1)
	v_or3_b32 v7, v7, v11, v9
	v_cvt_f16_f32_e32 v20, v7
.LBB191_2977:
	s_or_b32 exec_lo, exec_lo, s19
.LBB191_2978:
	s_mov_b32 s18, -1
.LBB191_2979:
	s_mov_b32 s19, 0
.LBB191_2980:
	s_delay_alu instid0(SALU_CYCLE_1)
	s_and_b32 vcc_lo, exec_lo, s19
	s_cbranch_vccz .LBB191_3013
; %bb.2981:
	s_cmp_gt_i32 s13, 22
	s_cbranch_scc0 .LBB191_2991
; %bb.2982:
	s_cmp_lt_i32 s13, 24
	s_cbranch_scc1 .LBB191_2994
; %bb.2983:
	s_cmp_gt_i32 s13, 24
	s_cbranch_scc0 .LBB191_2995
; %bb.2984:
	global_load_u8 v7, v[18:19], off
	s_mov_b32 s18, exec_lo
	s_wait_loadcnt 0x0
	v_cmpx_lt_i16_e32 0x7f, v7
	s_xor_b32 s18, exec_lo, s18
	s_cbranch_execz .LBB191_3007
; %bb.2985:
	s_mov_b32 s17, -1
	s_mov_b32 s19, exec_lo
	v_cmpx_eq_u16_e32 0x80, v7
; %bb.2986:
	s_xor_b32 s17, exec_lo, -1
; %bb.2987:
	s_or_b32 exec_lo, exec_lo, s19
	s_delay_alu instid0(SALU_CYCLE_1)
	s_and_b32 s17, s17, exec_lo
	s_or_saveexec_b32 s18, s18
	v_mov_b32_e32 v20, 0x7e00
	s_xor_b32 exec_lo, exec_lo, s18
	s_cbranch_execnz .LBB191_3008
.LBB191_2988:
	s_or_b32 exec_lo, exec_lo, s18
	s_and_saveexec_b32 s18, s17
	s_cbranch_execz .LBB191_2990
.LBB191_2989:
	v_and_b32_e32 v9, 0xffff, v7
	s_delay_alu instid0(VALU_DEP_1) | instskip(SKIP_1) | instid1(VALU_DEP_2)
	v_dual_lshlrev_b32 v7, 24, v7 :: v_dual_bitop2_b32 v11, 3, v9 bitop3:0x40
	v_bfe_u32 v17, v9, 2, 5
	v_and_b32_e32 v7, 0x80000000, v7
	s_delay_alu instid0(VALU_DEP_3) | instskip(NEXT) | instid1(VALU_DEP_3)
	v_clz_i32_u32_e32 v13, v11
	v_cmp_eq_u32_e32 vcc_lo, 0, v17
	s_delay_alu instid0(VALU_DEP_2) | instskip(NEXT) | instid1(VALU_DEP_1)
	v_min_u32_e32 v13, 32, v13
	v_subrev_nc_u32_e32 v15, 29, v13
	v_sub_nc_u32_e32 v13, 30, v13
	s_delay_alu instid0(VALU_DEP_2) | instskip(NEXT) | instid1(VALU_DEP_2)
	v_lshlrev_b32_e32 v9, v15, v9
	v_cndmask_b32_e32 v13, v17, v13, vcc_lo
	s_delay_alu instid0(VALU_DEP_2) | instskip(NEXT) | instid1(VALU_DEP_1)
	v_and_b32_e32 v9, 3, v9
	v_cndmask_b32_e32 v9, v11, v9, vcc_lo
	s_delay_alu instid0(VALU_DEP_3) | instskip(NEXT) | instid1(VALU_DEP_2)
	v_lshl_add_u32 v11, v13, 23, 0x37800000
	v_lshlrev_b32_e32 v9, 21, v9
	s_delay_alu instid0(VALU_DEP_1) | instskip(NEXT) | instid1(VALU_DEP_1)
	v_or3_b32 v7, v7, v11, v9
	v_cvt_f16_f32_e32 v20, v7
.LBB191_2990:
	s_or_b32 exec_lo, exec_lo, s18
	s_mov_b32 s17, 0
	s_branch .LBB191_2996
.LBB191_2991:
	s_mov_b32 s17, -1
                                        ; implicit-def: $vgpr20
	s_branch .LBB191_3002
.LBB191_2992:
	s_or_saveexec_b32 s19, s19
	v_mov_b32_e32 v20, 0x7e00
	s_xor_b32 exec_lo, exec_lo, s19
	s_cbranch_execz .LBB191_2975
.LBB191_2993:
	v_cmp_ne_u16_e32 vcc_lo, 0, v7
	v_mov_b32_e32 v20, v7
	s_and_not1_b32 s18, s18, exec_lo
	s_and_b32 s20, vcc_lo, exec_lo
	s_delay_alu instid0(SALU_CYCLE_1)
	s_or_b32 s18, s18, s20
	s_or_b32 exec_lo, exec_lo, s19
	s_and_saveexec_b32 s19, s18
	s_cbranch_execnz .LBB191_2976
	s_branch .LBB191_2977
.LBB191_2994:
	s_mov_b32 s17, -1
                                        ; implicit-def: $vgpr20
	s_branch .LBB191_2999
.LBB191_2995:
	s_mov_b32 s17, -1
                                        ; implicit-def: $vgpr20
.LBB191_2996:
	s_delay_alu instid0(SALU_CYCLE_1)
	s_and_b32 vcc_lo, exec_lo, s17
	s_cbranch_vccz .LBB191_2998
; %bb.2997:
	global_load_u8 v7, v[18:19], off
	s_wait_loadcnt 0x0
	v_lshlrev_b32_e32 v7, 24, v7
	s_delay_alu instid0(VALU_DEP_1) | instskip(NEXT) | instid1(VALU_DEP_1)
	v_and_b32_e32 v9, 0x7f000000, v7
	v_clz_i32_u32_e32 v11, v9
	v_add_nc_u32_e32 v15, 0x1000000, v9
	v_cmp_ne_u32_e32 vcc_lo, 0, v9
	s_delay_alu instid0(VALU_DEP_3) | instskip(NEXT) | instid1(VALU_DEP_1)
	v_min_u32_e32 v11, 32, v11
	v_sub_nc_u32_e64 v11, v11, 4 clamp
	s_delay_alu instid0(VALU_DEP_1) | instskip(NEXT) | instid1(VALU_DEP_1)
	v_dual_lshlrev_b32 v13, v11, v9 :: v_dual_lshlrev_b32 v11, 23, v11
	v_lshrrev_b32_e32 v13, 4, v13
	s_delay_alu instid0(VALU_DEP_1) | instskip(SKIP_1) | instid1(VALU_DEP_2)
	v_sub_nc_u32_e32 v11, v13, v11
	v_ashrrev_i32_e32 v13, 8, v15
	v_add_nc_u32_e32 v11, 0x3c000000, v11
	s_delay_alu instid0(VALU_DEP_1) | instskip(NEXT) | instid1(VALU_DEP_1)
	v_and_or_b32 v11, 0x7f800000, v13, v11
	v_cndmask_b32_e32 v9, 0, v11, vcc_lo
	s_delay_alu instid0(VALU_DEP_1) | instskip(SKIP_1) | instid1(VALU_DEP_1)
	v_and_or_b32 v7, 0x80000000, v7, v9
	s_wait_xcnt 0x1
	v_cvt_f16_f32_e32 v20, v7
.LBB191_2998:
	s_mov_b32 s17, 0
.LBB191_2999:
	s_delay_alu instid0(SALU_CYCLE_1)
	s_and_not1_b32 vcc_lo, exec_lo, s17
	s_cbranch_vccnz .LBB191_3001
; %bb.3000:
	global_load_u8 v7, v[18:19], off
	s_wait_loadcnt 0x0
	v_lshlrev_b32_e32 v9, 25, v7
	v_lshlrev_b16 v7, 8, v7
	s_delay_alu instid0(VALU_DEP_1) | instskip(SKIP_1) | instid1(VALU_DEP_2)
	v_and_or_b32 v13, 0x7f00, v7, 0.5
	v_bfe_i32 v7, v7, 0, 16
	v_add_f32_e32 v13, -0.5, v13
	v_lshrrev_b32_e32 v11, 4, v9
	v_cmp_gt_u32_e32 vcc_lo, 0x8000000, v9
	s_delay_alu instid0(VALU_DEP_2) | instskip(NEXT) | instid1(VALU_DEP_1)
	v_or_b32_e32 v11, 0x70000000, v11
	v_mul_f32_e32 v11, 0x7800000, v11
	s_delay_alu instid0(VALU_DEP_1) | instskip(NEXT) | instid1(VALU_DEP_1)
	v_cndmask_b32_e32 v9, v11, v13, vcc_lo
	v_and_or_b32 v7, 0x80000000, v7, v9
	s_wait_xcnt 0x1
	s_delay_alu instid0(VALU_DEP_1)
	v_cvt_f16_f32_e32 v20, v7
.LBB191_3001:
	s_mov_b32 s17, 0
	s_mov_b32 s18, -1
.LBB191_3002:
	s_and_not1_b32 vcc_lo, exec_lo, s17
	s_mov_b32 s17, 0
	s_cbranch_vccnz .LBB191_3013
; %bb.3003:
	s_cmp_gt_i32 s13, 14
	s_cbranch_scc0 .LBB191_3006
; %bb.3004:
	s_cmp_eq_u32 s13, 15
	s_cbranch_scc0 .LBB191_3009
; %bb.3005:
	global_load_u16 v7, v[18:19], off
	s_mov_b32 s16, 0
	s_mov_b32 s18, -1
	s_wait_loadcnt 0x0
	v_lshlrev_b32_e32 v7, 16, v7
	s_wait_xcnt 0x1
	s_delay_alu instid0(VALU_DEP_1)
	v_cvt_f16_f32_e32 v20, v7
	s_branch .LBB191_3011
.LBB191_3006:
	s_mov_b32 s17, -1
	s_branch .LBB191_3010
.LBB191_3007:
	s_or_saveexec_b32 s18, s18
	v_mov_b32_e32 v20, 0x7e00
	s_xor_b32 exec_lo, exec_lo, s18
	s_cbranch_execz .LBB191_2988
.LBB191_3008:
	v_cmp_ne_u16_e32 vcc_lo, 0, v7
	v_mov_b32_e32 v20, v7
	s_and_not1_b32 s17, s17, exec_lo
	s_and_b32 s19, vcc_lo, exec_lo
	s_delay_alu instid0(SALU_CYCLE_1)
	s_or_b32 s17, s17, s19
	s_or_b32 exec_lo, exec_lo, s18
	s_and_saveexec_b32 s18, s17
	s_cbranch_execnz .LBB191_2989
	s_branch .LBB191_2990
.LBB191_3009:
	s_mov_b32 s16, -1
.LBB191_3010:
                                        ; implicit-def: $vgpr20
.LBB191_3011:
	s_and_b32 vcc_lo, exec_lo, s17
	s_mov_b32 s17, 0
	s_cbranch_vccz .LBB191_3013
; %bb.3012:
	s_cmp_lg_u32 s13, 11
	s_mov_b32 s17, -1
	s_cselect_b32 s16, -1, 0
.LBB191_3013:
	s_delay_alu instid0(SALU_CYCLE_1)
	s_and_b32 vcc_lo, exec_lo, s16
	s_cbranch_vccnz .LBB191_3078
; %bb.3014:
	s_and_not1_b32 vcc_lo, exec_lo, s17
	s_cbranch_vccnz .LBB191_3016
.LBB191_3015:
	global_load_u8 v7, v[18:19], off
	s_mov_b32 s18, -1
	s_wait_loadcnt 0x0
	v_cmp_ne_u16_e32 vcc_lo, 0, v7
	s_wait_xcnt 0x1
	v_cndmask_b32_e64 v20, 0, 0x3c00, vcc_lo
.LBB191_3016:
	s_mov_b32 s16, 0
.LBB191_3017:
	s_delay_alu instid0(SALU_CYCLE_1)
	s_and_b32 vcc_lo, exec_lo, s16
	s_cbranch_vccz .LBB191_3066
; %bb.3018:
	s_cmp_lt_i32 s13, 5
	s_cbranch_scc1 .LBB191_3023
; %bb.3019:
	s_cmp_lt_i32 s13, 8
	s_cbranch_scc1 .LBB191_3024
; %bb.3020:
	s_cmp_lt_i32 s13, 9
	s_cbranch_scc1 .LBB191_3025
; %bb.3021:
	s_cmp_gt_i32 s13, 9
	s_cbranch_scc0 .LBB191_3026
; %bb.3022:
	global_load_b64 v[20:21], v[18:19], off
	s_mov_b32 s16, 0
	s_wait_loadcnt 0x0
	v_and_or_b32 v7, 0x1ff, v21, v20
	v_lshrrev_b32_e32 v9, 8, v21
	v_bfe_u32 v11, v21, 20, 11
	s_delay_alu instid0(VALU_DEP_3) | instskip(NEXT) | instid1(VALU_DEP_2)
	v_cmp_ne_u32_e32 vcc_lo, 0, v7
	v_sub_nc_u32_e32 v13, 0x3f1, v11
	v_add_nc_u32_e32 v11, 0xfffffc10, v11
	v_cndmask_b32_e64 v7, 0, 1, vcc_lo
	s_delay_alu instid0(VALU_DEP_1) | instskip(NEXT) | instid1(VALU_DEP_4)
	v_and_or_b32 v7, 0xffe, v9, v7
	v_med3_i32 v9, v13, 0, 13
	s_delay_alu instid0(VALU_DEP_2) | instskip(NEXT) | instid1(VALU_DEP_1)
	v_or_b32_e32 v13, 0x1000, v7
	v_lshrrev_b32_e32 v15, v9, v13
	s_delay_alu instid0(VALU_DEP_1) | instskip(NEXT) | instid1(VALU_DEP_1)
	v_lshlrev_b32_e32 v9, v9, v15
	v_cmp_ne_u32_e32 vcc_lo, v9, v13
	v_lshl_or_b32 v13, v11, 12, v7
	v_cndmask_b32_e64 v9, 0, 1, vcc_lo
	v_cmp_gt_i32_e32 vcc_lo, 1, v11
	s_delay_alu instid0(VALU_DEP_2) | instskip(NEXT) | instid1(VALU_DEP_1)
	v_or_b32_e32 v9, v15, v9
	v_cndmask_b32_e32 v9, v13, v9, vcc_lo
	s_delay_alu instid0(VALU_DEP_1) | instskip(NEXT) | instid1(VALU_DEP_1)
	v_dual_lshrrev_b32 v9, 2, v9 :: v_dual_bitop2_b32 v13, 7, v9 bitop3:0x40
	v_cmp_lt_i32_e32 vcc_lo, 5, v13
	v_cndmask_b32_e64 v15, 0, 1, vcc_lo
	v_cmp_eq_u32_e32 vcc_lo, 3, v13
	v_cndmask_b32_e64 v13, 0, 1, vcc_lo
	v_cmp_ne_u32_e32 vcc_lo, 0, v7
	s_delay_alu instid0(VALU_DEP_2) | instskip(SKIP_1) | instid1(VALU_DEP_2)
	v_or_b32_e32 v13, v13, v15
	v_mov_b32_e32 v15, 0x7e00
	v_add_nc_u32_e32 v9, v9, v13
	s_delay_alu instid0(VALU_DEP_2) | instskip(SKIP_1) | instid1(VALU_DEP_3)
	v_cndmask_b32_e32 v7, 0x7c00, v15, vcc_lo
	v_cmp_gt_i32_e32 vcc_lo, 31, v11
	v_cndmask_b32_e32 v9, 0x7c00, v9, vcc_lo
	v_cmp_eq_u32_e32 vcc_lo, 0x40f, v11
	s_delay_alu instid0(VALU_DEP_2) | instskip(NEXT) | instid1(VALU_DEP_1)
	v_dual_cndmask_b32 v7, v9, v7, vcc_lo :: v_dual_lshrrev_b32 v9, 16, v21
	v_and_or_b32 v20, 0x8000, v9, v7
	s_branch .LBB191_3027
.LBB191_3023:
	s_mov_b32 s16, -1
                                        ; implicit-def: $vgpr20
	s_branch .LBB191_3045
.LBB191_3024:
	s_mov_b32 s16, -1
                                        ; implicit-def: $vgpr20
	s_branch .LBB191_3033
.LBB191_3025:
	s_mov_b32 s16, -1
                                        ; implicit-def: $vgpr20
	s_branch .LBB191_3030
.LBB191_3026:
	s_mov_b32 s16, -1
                                        ; implicit-def: $vgpr20
.LBB191_3027:
	s_delay_alu instid0(SALU_CYCLE_1)
	s_and_not1_b32 vcc_lo, exec_lo, s16
	s_cbranch_vccnz .LBB191_3029
; %bb.3028:
	global_load_b32 v7, v[18:19], off
	s_wait_loadcnt 0x0
	s_wait_xcnt 0x1
	v_cvt_f16_f32_e32 v20, v7
.LBB191_3029:
	s_mov_b32 s16, 0
.LBB191_3030:
	s_delay_alu instid0(SALU_CYCLE_1)
	s_and_not1_b32 vcc_lo, exec_lo, s16
	s_cbranch_vccnz .LBB191_3032
; %bb.3031:
	global_load_b32 v20, v[18:19], off
.LBB191_3032:
	s_mov_b32 s16, 0
.LBB191_3033:
	s_delay_alu instid0(SALU_CYCLE_1)
	s_and_not1_b32 vcc_lo, exec_lo, s16
	s_cbranch_vccnz .LBB191_3044
; %bb.3034:
	s_cmp_lt_i32 s13, 6
	s_cbranch_scc1 .LBB191_3037
; %bb.3035:
	s_cmp_gt_i32 s13, 6
	s_cbranch_scc0 .LBB191_3038
; %bb.3036:
	s_wait_loadcnt 0x0
	global_load_b64 v[20:21], v[18:19], off
	s_mov_b32 s16, 0
	s_wait_loadcnt 0x0
	v_and_or_b32 v7, 0x1ff, v21, v20
	v_lshrrev_b32_e32 v9, 8, v21
	v_bfe_u32 v11, v21, 20, 11
	s_delay_alu instid0(VALU_DEP_3) | instskip(NEXT) | instid1(VALU_DEP_2)
	v_cmp_ne_u32_e32 vcc_lo, 0, v7
	v_sub_nc_u32_e32 v13, 0x3f1, v11
	v_add_nc_u32_e32 v11, 0xfffffc10, v11
	v_cndmask_b32_e64 v7, 0, 1, vcc_lo
	s_delay_alu instid0(VALU_DEP_1) | instskip(NEXT) | instid1(VALU_DEP_4)
	v_and_or_b32 v7, 0xffe, v9, v7
	v_med3_i32 v9, v13, 0, 13
	s_delay_alu instid0(VALU_DEP_2) | instskip(NEXT) | instid1(VALU_DEP_1)
	v_or_b32_e32 v13, 0x1000, v7
	v_lshrrev_b32_e32 v15, v9, v13
	s_delay_alu instid0(VALU_DEP_1) | instskip(NEXT) | instid1(VALU_DEP_1)
	v_lshlrev_b32_e32 v9, v9, v15
	v_cmp_ne_u32_e32 vcc_lo, v9, v13
	v_lshl_or_b32 v13, v11, 12, v7
	v_cndmask_b32_e64 v9, 0, 1, vcc_lo
	v_cmp_gt_i32_e32 vcc_lo, 1, v11
	s_delay_alu instid0(VALU_DEP_2) | instskip(NEXT) | instid1(VALU_DEP_1)
	v_or_b32_e32 v9, v15, v9
	v_cndmask_b32_e32 v9, v13, v9, vcc_lo
	s_delay_alu instid0(VALU_DEP_1) | instskip(NEXT) | instid1(VALU_DEP_1)
	v_dual_lshrrev_b32 v9, 2, v9 :: v_dual_bitop2_b32 v13, 7, v9 bitop3:0x40
	v_cmp_lt_i32_e32 vcc_lo, 5, v13
	v_cndmask_b32_e64 v15, 0, 1, vcc_lo
	v_cmp_eq_u32_e32 vcc_lo, 3, v13
	v_cndmask_b32_e64 v13, 0, 1, vcc_lo
	v_cmp_ne_u32_e32 vcc_lo, 0, v7
	s_delay_alu instid0(VALU_DEP_2) | instskip(SKIP_1) | instid1(VALU_DEP_2)
	v_or_b32_e32 v13, v13, v15
	v_mov_b32_e32 v15, 0x7e00
	v_add_nc_u32_e32 v9, v9, v13
	s_delay_alu instid0(VALU_DEP_2) | instskip(SKIP_1) | instid1(VALU_DEP_3)
	v_cndmask_b32_e32 v7, 0x7c00, v15, vcc_lo
	v_cmp_gt_i32_e32 vcc_lo, 31, v11
	v_cndmask_b32_e32 v9, 0x7c00, v9, vcc_lo
	v_cmp_eq_u32_e32 vcc_lo, 0x40f, v11
	s_delay_alu instid0(VALU_DEP_2) | instskip(NEXT) | instid1(VALU_DEP_1)
	v_dual_cndmask_b32 v7, v9, v7, vcc_lo :: v_dual_lshrrev_b32 v9, 16, v21
	v_and_or_b32 v20, 0x8000, v9, v7
	s_branch .LBB191_3039
.LBB191_3037:
	s_mov_b32 s16, -1
                                        ; implicit-def: $vgpr20
	s_branch .LBB191_3042
.LBB191_3038:
	s_mov_b32 s16, -1
                                        ; implicit-def: $vgpr20
.LBB191_3039:
	s_delay_alu instid0(SALU_CYCLE_1)
	s_and_not1_b32 vcc_lo, exec_lo, s16
	s_cbranch_vccnz .LBB191_3041
; %bb.3040:
	global_load_b32 v7, v[18:19], off
	s_wait_loadcnt 0x0
	s_wait_xcnt 0x1
	v_cvt_f16_f32_e32 v20, v7
.LBB191_3041:
	s_mov_b32 s16, 0
.LBB191_3042:
	s_delay_alu instid0(SALU_CYCLE_1)
	s_and_not1_b32 vcc_lo, exec_lo, s16
	s_cbranch_vccnz .LBB191_3044
; %bb.3043:
	s_wait_loadcnt 0x0
	global_load_u16 v20, v[18:19], off
.LBB191_3044:
	s_mov_b32 s16, 0
.LBB191_3045:
	s_delay_alu instid0(SALU_CYCLE_1)
	s_and_not1_b32 vcc_lo, exec_lo, s16
	s_cbranch_vccnz .LBB191_3065
; %bb.3046:
	s_cmp_lt_i32 s13, 2
	s_cbranch_scc1 .LBB191_3050
; %bb.3047:
	s_cmp_lt_i32 s13, 3
	s_cbranch_scc1 .LBB191_3051
; %bb.3048:
	s_cmp_gt_i32 s13, 3
	s_cbranch_scc0 .LBB191_3052
; %bb.3049:
	s_wait_loadcnt 0x0
	global_load_b64 v[20:21], v[18:19], off
	s_mov_b32 s16, 0
	s_wait_loadcnt 0x0
	v_xor_b32_e32 v7, v20, v21
	v_cls_i32_e32 v9, v21
	s_delay_alu instid0(VALU_DEP_2) | instskip(NEXT) | instid1(VALU_DEP_1)
	v_ashrrev_i32_e32 v7, 31, v7
	v_add_nc_u32_e32 v7, 32, v7
	s_delay_alu instid0(VALU_DEP_1) | instskip(NEXT) | instid1(VALU_DEP_1)
	v_add_min_u32_e64 v7, v9, -1, v7
	v_lshlrev_b64_e32 v[20:21], v7, v[20:21]
	v_sub_nc_u32_e32 v7, 32, v7
	s_delay_alu instid0(VALU_DEP_2) | instskip(NEXT) | instid1(VALU_DEP_1)
	v_min_u32_e32 v9, 1, v20
	v_or_b32_e32 v9, v21, v9
	s_delay_alu instid0(VALU_DEP_1) | instskip(NEXT) | instid1(VALU_DEP_1)
	v_cvt_f32_i32_e32 v9, v9
	v_ldexp_f32 v7, v9, v7
	s_delay_alu instid0(VALU_DEP_1)
	v_cvt_f16_f32_e32 v20, v7
	s_branch .LBB191_3053
.LBB191_3050:
	s_mov_b32 s16, -1
                                        ; implicit-def: $vgpr20
	s_branch .LBB191_3059
.LBB191_3051:
	s_mov_b32 s16, -1
                                        ; implicit-def: $vgpr20
	s_branch .LBB191_3056
.LBB191_3052:
	s_mov_b32 s16, -1
                                        ; implicit-def: $vgpr20
.LBB191_3053:
	s_delay_alu instid0(SALU_CYCLE_1)
	s_and_not1_b32 vcc_lo, exec_lo, s16
	s_cbranch_vccnz .LBB191_3055
; %bb.3054:
	global_load_b32 v7, v[18:19], off
	s_wait_loadcnt 0x0
	v_cvt_f32_i32_e32 v7, v7
	s_wait_xcnt 0x1
	s_delay_alu instid0(VALU_DEP_1)
	v_cvt_f16_f32_e32 v20, v7
.LBB191_3055:
	s_mov_b32 s16, 0
.LBB191_3056:
	s_delay_alu instid0(SALU_CYCLE_1)
	s_and_not1_b32 vcc_lo, exec_lo, s16
	s_cbranch_vccnz .LBB191_3058
; %bb.3057:
	global_load_u16 v7, v[18:19], off
	s_wait_loadcnt 0x0
	s_wait_xcnt 0x1
	v_cvt_f16_i16_e32 v20, v7
.LBB191_3058:
	s_mov_b32 s16, 0
.LBB191_3059:
	s_delay_alu instid0(SALU_CYCLE_1)
	s_and_not1_b32 vcc_lo, exec_lo, s16
	s_cbranch_vccnz .LBB191_3065
; %bb.3060:
	s_cmp_gt_i32 s13, 0
	s_mov_b32 s16, 0
	s_cbranch_scc0 .LBB191_3062
; %bb.3061:
	global_load_i8 v7, v[18:19], off
	s_wait_loadcnt 0x0
	s_wait_xcnt 0x1
	v_cvt_f16_i16_e32 v20, v7
	s_branch .LBB191_3063
.LBB191_3062:
	s_mov_b32 s16, -1
                                        ; implicit-def: $vgpr20
.LBB191_3063:
	s_delay_alu instid0(SALU_CYCLE_1)
	s_and_not1_b32 vcc_lo, exec_lo, s16
	s_cbranch_vccnz .LBB191_3065
; %bb.3064:
	global_load_u8 v7, v[18:19], off
	s_wait_loadcnt 0x0
	s_wait_xcnt 0x1
	v_cvt_f16_u16_e32 v20, v7
.LBB191_3065:
	s_mov_b32 s18, -1
.LBB191_3066:
	s_delay_alu instid0(SALU_CYCLE_1)
	s_and_not1_b32 vcc_lo, exec_lo, s18
	s_cbranch_vccnz .LBB191_4155
; %bb.3067:
	v_mov_b32_e32 v17, 0
	s_cmp_lt_i32 s14, 11
	s_delay_alu instid0(VALU_DEP_1)
	v_add_nc_u64_e32 v[16:17], s[0:1], v[16:17]
	s_cbranch_scc1 .LBB191_3074
; %bb.3068:
	s_cmp_gt_i32 s14, 25
	s_mov_b32 s17, 0
	s_cbranch_scc0 .LBB191_3075
; %bb.3069:
	s_cmp_gt_i32 s14, 28
	s_cbranch_scc0 .LBB191_3076
; %bb.3070:
	s_cmp_gt_i32 s14, 43
	s_cbranch_scc0 .LBB191_3077
; %bb.3071:
	s_cmp_gt_i32 s14, 45
	s_cbranch_scc0 .LBB191_3079
; %bb.3072:
	s_cmp_eq_u32 s14, 46
	s_mov_b32 s19, 0
	s_cbranch_scc0 .LBB191_3080
; %bb.3073:
	global_load_b32 v7, v[16:17], off
	s_mov_b32 s16, 0
	s_mov_b32 s18, -1
	s_wait_loadcnt 0x0
	v_lshlrev_b32_e32 v7, 16, v7
	s_wait_xcnt 0x1
	s_delay_alu instid0(VALU_DEP_1)
	v_cvt_f16_f32_e32 v18, v7
	s_branch .LBB191_3082
.LBB191_3074:
	s_mov_b32 s16, -1
	s_mov_b32 s18, 0
                                        ; implicit-def: $vgpr18
	s_branch .LBB191_3148
.LBB191_3075:
	s_mov_b32 s19, -1
	s_mov_b32 s18, 0
	s_mov_b32 s16, 0
                                        ; implicit-def: $vgpr18
	s_branch .LBB191_3111
.LBB191_3076:
	s_mov_b32 s19, -1
	s_mov_b32 s18, 0
	s_mov_b32 s16, 0
                                        ; implicit-def: $vgpr18
	s_branch .LBB191_3092
.LBB191_3077:
	s_mov_b32 s19, -1
	s_mov_b32 s18, 0
	s_mov_b32 s16, 0
                                        ; implicit-def: $vgpr18
	s_branch .LBB191_3087
.LBB191_3078:
	s_or_b32 s12, s12, exec_lo
	s_trap 2
	s_cbranch_execz .LBB191_3015
	s_branch .LBB191_3016
.LBB191_3079:
	s_mov_b32 s19, -1
	s_mov_b32 s18, 0
	s_mov_b32 s16, 0
	s_branch .LBB191_3081
.LBB191_3080:
	s_mov_b32 s16, -1
	s_mov_b32 s18, 0
.LBB191_3081:
                                        ; implicit-def: $vgpr18
.LBB191_3082:
	s_and_b32 vcc_lo, exec_lo, s19
	s_cbranch_vccz .LBB191_3086
; %bb.3083:
	s_cmp_eq_u32 s14, 44
	s_cbranch_scc0 .LBB191_3085
; %bb.3084:
	global_load_u8 v7, v[16:17], off
	s_mov_b32 s16, 0
	s_mov_b32 s18, -1
	s_wait_loadcnt 0x0
	v_lshlrev_b32_e32 v9, 23, v7
	v_cmp_ne_u32_e32 vcc_lo, 0xff, v7
	s_delay_alu instid0(VALU_DEP_2) | instskip(NEXT) | instid1(VALU_DEP_1)
	v_cvt_f16_f32_e32 v9, v9
	v_cndmask_b32_e32 v9, 0x7e00, v9, vcc_lo
	v_cmp_ne_u32_e32 vcc_lo, 0, v7
	s_wait_xcnt 0x1
	s_delay_alu instid0(VALU_DEP_2)
	v_cndmask_b32_e32 v18, 0, v9, vcc_lo
	s_branch .LBB191_3086
.LBB191_3085:
	s_mov_b32 s16, -1
                                        ; implicit-def: $vgpr18
.LBB191_3086:
	s_mov_b32 s19, 0
.LBB191_3087:
	s_delay_alu instid0(SALU_CYCLE_1)
	s_and_b32 vcc_lo, exec_lo, s19
	s_cbranch_vccz .LBB191_3091
; %bb.3088:
	s_cmp_eq_u32 s14, 29
	s_cbranch_scc0 .LBB191_3090
; %bb.3089:
	global_load_b64 v[18:19], v[16:17], off
	s_mov_b32 s16, 0
	s_mov_b32 s18, -1
	s_mov_b32 s19, 0
	s_wait_loadcnt 0x0
	v_clz_i32_u32_e32 v7, v19
	s_delay_alu instid0(VALU_DEP_1) | instskip(NEXT) | instid1(VALU_DEP_1)
	v_min_u32_e32 v7, 32, v7
	v_lshlrev_b64_e32 v[18:19], v7, v[18:19]
	v_sub_nc_u32_e32 v7, 32, v7
	s_delay_alu instid0(VALU_DEP_2) | instskip(NEXT) | instid1(VALU_DEP_1)
	v_min_u32_e32 v9, 1, v18
	v_or_b32_e32 v9, v19, v9
	s_delay_alu instid0(VALU_DEP_1) | instskip(NEXT) | instid1(VALU_DEP_1)
	v_cvt_f32_u32_e32 v9, v9
	v_ldexp_f32 v7, v9, v7
	s_delay_alu instid0(VALU_DEP_1)
	v_cvt_f16_f32_e32 v18, v7
	s_branch .LBB191_3092
.LBB191_3090:
	s_mov_b32 s16, -1
                                        ; implicit-def: $vgpr18
.LBB191_3091:
	s_mov_b32 s19, 0
.LBB191_3092:
	s_delay_alu instid0(SALU_CYCLE_1)
	s_and_b32 vcc_lo, exec_lo, s19
	s_cbranch_vccz .LBB191_3110
; %bb.3093:
	s_cmp_lt_i32 s14, 27
	s_cbranch_scc1 .LBB191_3096
; %bb.3094:
	s_cmp_gt_i32 s14, 27
	s_cbranch_scc0 .LBB191_3097
; %bb.3095:
	global_load_b32 v7, v[16:17], off
	s_mov_b32 s18, 0
	s_wait_loadcnt 0x0
	v_cvt_f32_u32_e32 v7, v7
	s_wait_xcnt 0x1
	s_delay_alu instid0(VALU_DEP_1)
	v_cvt_f16_f32_e32 v18, v7
	s_branch .LBB191_3098
.LBB191_3096:
	s_mov_b32 s18, -1
                                        ; implicit-def: $vgpr18
	s_branch .LBB191_3101
.LBB191_3097:
	s_mov_b32 s18, -1
                                        ; implicit-def: $vgpr18
.LBB191_3098:
	s_delay_alu instid0(SALU_CYCLE_1)
	s_and_not1_b32 vcc_lo, exec_lo, s18
	s_cbranch_vccnz .LBB191_3100
; %bb.3099:
	global_load_u16 v7, v[16:17], off
	s_wait_loadcnt 0x0
	s_wait_xcnt 0x1
	v_cvt_f16_u16_e32 v18, v7
.LBB191_3100:
	s_mov_b32 s18, 0
.LBB191_3101:
	s_delay_alu instid0(SALU_CYCLE_1)
	s_and_not1_b32 vcc_lo, exec_lo, s18
	s_cbranch_vccnz .LBB191_3109
; %bb.3102:
	global_load_u8 v7, v[16:17], off
	s_mov_b32 s18, 0
	s_mov_b32 s19, exec_lo
	s_wait_loadcnt 0x0
	v_cmpx_lt_i16_e32 0x7f, v7
	s_xor_b32 s19, exec_lo, s19
	s_cbranch_execz .LBB191_3123
; %bb.3103:
	s_mov_b32 s18, -1
	s_mov_b32 s20, exec_lo
	v_cmpx_eq_u16_e32 0x80, v7
; %bb.3104:
	s_xor_b32 s18, exec_lo, -1
; %bb.3105:
	s_or_b32 exec_lo, exec_lo, s20
	s_delay_alu instid0(SALU_CYCLE_1)
	s_and_b32 s18, s18, exec_lo
	s_or_saveexec_b32 s19, s19
	v_mov_b32_e32 v18, 0x7e00
	s_xor_b32 exec_lo, exec_lo, s19
	s_cbranch_execnz .LBB191_3124
.LBB191_3106:
	s_or_b32 exec_lo, exec_lo, s19
	s_and_saveexec_b32 s19, s18
	s_cbranch_execz .LBB191_3108
.LBB191_3107:
	v_and_b32_e32 v9, 0xffff, v7
	s_delay_alu instid0(VALU_DEP_1) | instskip(SKIP_1) | instid1(VALU_DEP_2)
	v_dual_lshlrev_b32 v7, 24, v7 :: v_dual_bitop2_b32 v11, 7, v9 bitop3:0x40
	v_bfe_u32 v18, v9, 3, 4
	v_and_b32_e32 v7, 0x80000000, v7
	s_delay_alu instid0(VALU_DEP_3) | instskip(NEXT) | instid1(VALU_DEP_3)
	v_clz_i32_u32_e32 v13, v11
	v_cmp_eq_u32_e32 vcc_lo, 0, v18
	s_delay_alu instid0(VALU_DEP_2) | instskip(NEXT) | instid1(VALU_DEP_1)
	v_min_u32_e32 v13, 32, v13
	v_subrev_nc_u32_e32 v15, 28, v13
	v_sub_nc_u32_e32 v13, 29, v13
	s_delay_alu instid0(VALU_DEP_2) | instskip(NEXT) | instid1(VALU_DEP_2)
	v_lshlrev_b32_e32 v9, v15, v9
	v_cndmask_b32_e32 v13, v18, v13, vcc_lo
	s_delay_alu instid0(VALU_DEP_2) | instskip(NEXT) | instid1(VALU_DEP_1)
	v_and_b32_e32 v9, 7, v9
	v_cndmask_b32_e32 v9, v11, v9, vcc_lo
	s_delay_alu instid0(VALU_DEP_3) | instskip(NEXT) | instid1(VALU_DEP_2)
	v_lshl_add_u32 v11, v13, 23, 0x3b800000
	v_lshlrev_b32_e32 v9, 20, v9
	s_delay_alu instid0(VALU_DEP_1) | instskip(NEXT) | instid1(VALU_DEP_1)
	v_or3_b32 v7, v7, v11, v9
	v_cvt_f16_f32_e32 v18, v7
.LBB191_3108:
	s_or_b32 exec_lo, exec_lo, s19
.LBB191_3109:
	s_mov_b32 s18, -1
.LBB191_3110:
	s_mov_b32 s19, 0
.LBB191_3111:
	s_delay_alu instid0(SALU_CYCLE_1)
	s_and_b32 vcc_lo, exec_lo, s19
	s_cbranch_vccz .LBB191_3144
; %bb.3112:
	s_cmp_gt_i32 s14, 22
	s_cbranch_scc0 .LBB191_3122
; %bb.3113:
	s_cmp_lt_i32 s14, 24
	s_cbranch_scc1 .LBB191_3125
; %bb.3114:
	s_cmp_gt_i32 s14, 24
	s_cbranch_scc0 .LBB191_3126
; %bb.3115:
	global_load_u8 v7, v[16:17], off
	s_mov_b32 s18, exec_lo
	s_wait_loadcnt 0x0
	v_cmpx_lt_i16_e32 0x7f, v7
	s_xor_b32 s18, exec_lo, s18
	s_cbranch_execz .LBB191_3138
; %bb.3116:
	s_mov_b32 s17, -1
	s_mov_b32 s19, exec_lo
	v_cmpx_eq_u16_e32 0x80, v7
; %bb.3117:
	s_xor_b32 s17, exec_lo, -1
; %bb.3118:
	s_or_b32 exec_lo, exec_lo, s19
	s_delay_alu instid0(SALU_CYCLE_1)
	s_and_b32 s17, s17, exec_lo
	s_or_saveexec_b32 s18, s18
	v_mov_b32_e32 v18, 0x7e00
	s_xor_b32 exec_lo, exec_lo, s18
	s_cbranch_execnz .LBB191_3139
.LBB191_3119:
	s_or_b32 exec_lo, exec_lo, s18
	s_and_saveexec_b32 s18, s17
	s_cbranch_execz .LBB191_3121
.LBB191_3120:
	v_and_b32_e32 v9, 0xffff, v7
	s_delay_alu instid0(VALU_DEP_1) | instskip(SKIP_1) | instid1(VALU_DEP_2)
	v_dual_lshlrev_b32 v7, 24, v7 :: v_dual_bitop2_b32 v11, 3, v9 bitop3:0x40
	v_bfe_u32 v18, v9, 2, 5
	v_and_b32_e32 v7, 0x80000000, v7
	s_delay_alu instid0(VALU_DEP_3) | instskip(NEXT) | instid1(VALU_DEP_3)
	v_clz_i32_u32_e32 v13, v11
	v_cmp_eq_u32_e32 vcc_lo, 0, v18
	s_delay_alu instid0(VALU_DEP_2) | instskip(NEXT) | instid1(VALU_DEP_1)
	v_min_u32_e32 v13, 32, v13
	v_subrev_nc_u32_e32 v15, 29, v13
	v_sub_nc_u32_e32 v13, 30, v13
	s_delay_alu instid0(VALU_DEP_2) | instskip(NEXT) | instid1(VALU_DEP_2)
	v_lshlrev_b32_e32 v9, v15, v9
	v_cndmask_b32_e32 v13, v18, v13, vcc_lo
	s_delay_alu instid0(VALU_DEP_2) | instskip(NEXT) | instid1(VALU_DEP_1)
	v_and_b32_e32 v9, 3, v9
	v_cndmask_b32_e32 v9, v11, v9, vcc_lo
	s_delay_alu instid0(VALU_DEP_3) | instskip(NEXT) | instid1(VALU_DEP_2)
	v_lshl_add_u32 v11, v13, 23, 0x37800000
	v_lshlrev_b32_e32 v9, 21, v9
	s_delay_alu instid0(VALU_DEP_1) | instskip(NEXT) | instid1(VALU_DEP_1)
	v_or3_b32 v7, v7, v11, v9
	v_cvt_f16_f32_e32 v18, v7
.LBB191_3121:
	s_or_b32 exec_lo, exec_lo, s18
	s_mov_b32 s17, 0
	s_branch .LBB191_3127
.LBB191_3122:
	s_mov_b32 s17, -1
                                        ; implicit-def: $vgpr18
	s_branch .LBB191_3133
.LBB191_3123:
	s_or_saveexec_b32 s19, s19
	v_mov_b32_e32 v18, 0x7e00
	s_xor_b32 exec_lo, exec_lo, s19
	s_cbranch_execz .LBB191_3106
.LBB191_3124:
	v_cmp_ne_u16_e32 vcc_lo, 0, v7
	v_mov_b32_e32 v18, v7
	s_and_not1_b32 s18, s18, exec_lo
	s_and_b32 s20, vcc_lo, exec_lo
	s_delay_alu instid0(SALU_CYCLE_1)
	s_or_b32 s18, s18, s20
	s_or_b32 exec_lo, exec_lo, s19
	s_and_saveexec_b32 s19, s18
	s_cbranch_execnz .LBB191_3107
	s_branch .LBB191_3108
.LBB191_3125:
	s_mov_b32 s17, -1
                                        ; implicit-def: $vgpr18
	s_branch .LBB191_3130
.LBB191_3126:
	s_mov_b32 s17, -1
                                        ; implicit-def: $vgpr18
.LBB191_3127:
	s_delay_alu instid0(SALU_CYCLE_1)
	s_and_b32 vcc_lo, exec_lo, s17
	s_cbranch_vccz .LBB191_3129
; %bb.3128:
	global_load_u8 v7, v[16:17], off
	s_wait_loadcnt 0x0
	v_lshlrev_b32_e32 v7, 24, v7
	s_delay_alu instid0(VALU_DEP_1) | instskip(NEXT) | instid1(VALU_DEP_1)
	v_and_b32_e32 v9, 0x7f000000, v7
	v_clz_i32_u32_e32 v11, v9
	v_add_nc_u32_e32 v15, 0x1000000, v9
	v_cmp_ne_u32_e32 vcc_lo, 0, v9
	s_delay_alu instid0(VALU_DEP_3) | instskip(NEXT) | instid1(VALU_DEP_1)
	v_min_u32_e32 v11, 32, v11
	v_sub_nc_u32_e64 v11, v11, 4 clamp
	s_delay_alu instid0(VALU_DEP_1) | instskip(NEXT) | instid1(VALU_DEP_1)
	v_dual_lshlrev_b32 v13, v11, v9 :: v_dual_lshlrev_b32 v11, 23, v11
	v_lshrrev_b32_e32 v13, 4, v13
	s_delay_alu instid0(VALU_DEP_1) | instskip(SKIP_1) | instid1(VALU_DEP_2)
	v_sub_nc_u32_e32 v11, v13, v11
	v_ashrrev_i32_e32 v13, 8, v15
	v_add_nc_u32_e32 v11, 0x3c000000, v11
	s_delay_alu instid0(VALU_DEP_1) | instskip(NEXT) | instid1(VALU_DEP_1)
	v_and_or_b32 v11, 0x7f800000, v13, v11
	v_cndmask_b32_e32 v9, 0, v11, vcc_lo
	s_delay_alu instid0(VALU_DEP_1) | instskip(SKIP_1) | instid1(VALU_DEP_1)
	v_and_or_b32 v7, 0x80000000, v7, v9
	s_wait_xcnt 0x1
	v_cvt_f16_f32_e32 v18, v7
.LBB191_3129:
	s_mov_b32 s17, 0
.LBB191_3130:
	s_delay_alu instid0(SALU_CYCLE_1)
	s_and_not1_b32 vcc_lo, exec_lo, s17
	s_cbranch_vccnz .LBB191_3132
; %bb.3131:
	global_load_u8 v7, v[16:17], off
	s_wait_loadcnt 0x0
	v_lshlrev_b32_e32 v9, 25, v7
	v_lshlrev_b16 v7, 8, v7
	s_delay_alu instid0(VALU_DEP_1) | instskip(SKIP_1) | instid1(VALU_DEP_2)
	v_and_or_b32 v13, 0x7f00, v7, 0.5
	v_bfe_i32 v7, v7, 0, 16
	v_add_f32_e32 v13, -0.5, v13
	v_lshrrev_b32_e32 v11, 4, v9
	v_cmp_gt_u32_e32 vcc_lo, 0x8000000, v9
	s_delay_alu instid0(VALU_DEP_2) | instskip(NEXT) | instid1(VALU_DEP_1)
	v_or_b32_e32 v11, 0x70000000, v11
	v_mul_f32_e32 v11, 0x7800000, v11
	s_delay_alu instid0(VALU_DEP_1) | instskip(NEXT) | instid1(VALU_DEP_1)
	v_cndmask_b32_e32 v9, v11, v13, vcc_lo
	v_and_or_b32 v7, 0x80000000, v7, v9
	s_wait_xcnt 0x1
	s_delay_alu instid0(VALU_DEP_1)
	v_cvt_f16_f32_e32 v18, v7
.LBB191_3132:
	s_mov_b32 s17, 0
	s_mov_b32 s18, -1
.LBB191_3133:
	s_and_not1_b32 vcc_lo, exec_lo, s17
	s_mov_b32 s17, 0
	s_cbranch_vccnz .LBB191_3144
; %bb.3134:
	s_cmp_gt_i32 s14, 14
	s_cbranch_scc0 .LBB191_3137
; %bb.3135:
	s_cmp_eq_u32 s14, 15
	s_cbranch_scc0 .LBB191_3140
; %bb.3136:
	global_load_u16 v7, v[16:17], off
	s_mov_b32 s16, 0
	s_mov_b32 s18, -1
	s_wait_loadcnt 0x0
	v_lshlrev_b32_e32 v7, 16, v7
	s_wait_xcnt 0x1
	s_delay_alu instid0(VALU_DEP_1)
	v_cvt_f16_f32_e32 v18, v7
	s_branch .LBB191_3142
.LBB191_3137:
	s_mov_b32 s17, -1
	s_branch .LBB191_3141
.LBB191_3138:
	s_or_saveexec_b32 s18, s18
	v_mov_b32_e32 v18, 0x7e00
	s_xor_b32 exec_lo, exec_lo, s18
	s_cbranch_execz .LBB191_3119
.LBB191_3139:
	v_cmp_ne_u16_e32 vcc_lo, 0, v7
	v_mov_b32_e32 v18, v7
	s_and_not1_b32 s17, s17, exec_lo
	s_and_b32 s19, vcc_lo, exec_lo
	s_delay_alu instid0(SALU_CYCLE_1)
	s_or_b32 s17, s17, s19
	s_or_b32 exec_lo, exec_lo, s18
	s_and_saveexec_b32 s18, s17
	s_cbranch_execnz .LBB191_3120
	s_branch .LBB191_3121
.LBB191_3140:
	s_mov_b32 s16, -1
.LBB191_3141:
                                        ; implicit-def: $vgpr18
.LBB191_3142:
	s_and_b32 vcc_lo, exec_lo, s17
	s_mov_b32 s17, 0
	s_cbranch_vccz .LBB191_3144
; %bb.3143:
	s_cmp_lg_u32 s14, 11
	s_mov_b32 s17, -1
	s_cselect_b32 s16, -1, 0
.LBB191_3144:
	s_delay_alu instid0(SALU_CYCLE_1)
	s_and_b32 vcc_lo, exec_lo, s16
	s_cbranch_vccnz .LBB191_3209
; %bb.3145:
	s_and_not1_b32 vcc_lo, exec_lo, s17
	s_cbranch_vccnz .LBB191_3147
.LBB191_3146:
	global_load_u8 v7, v[16:17], off
	s_mov_b32 s18, -1
	s_wait_loadcnt 0x0
	v_cmp_ne_u16_e32 vcc_lo, 0, v7
	s_wait_xcnt 0x1
	v_cndmask_b32_e64 v18, 0, 0x3c00, vcc_lo
.LBB191_3147:
	s_mov_b32 s16, 0
.LBB191_3148:
	s_delay_alu instid0(SALU_CYCLE_1)
	s_and_b32 vcc_lo, exec_lo, s16
	s_cbranch_vccz .LBB191_3197
; %bb.3149:
	s_cmp_lt_i32 s14, 5
	s_cbranch_scc1 .LBB191_3154
; %bb.3150:
	s_cmp_lt_i32 s14, 8
	s_cbranch_scc1 .LBB191_3155
	;; [unrolled: 3-line block ×3, first 2 shown]
; %bb.3152:
	s_cmp_gt_i32 s14, 9
	s_cbranch_scc0 .LBB191_3157
; %bb.3153:
	global_load_b64 v[18:19], v[16:17], off
	s_mov_b32 s16, 0
	s_wait_loadcnt 0x0
	v_and_or_b32 v7, 0x1ff, v19, v18
	v_lshrrev_b32_e32 v9, 8, v19
	v_bfe_u32 v11, v19, 20, 11
	s_delay_alu instid0(VALU_DEP_3) | instskip(NEXT) | instid1(VALU_DEP_2)
	v_cmp_ne_u32_e32 vcc_lo, 0, v7
	v_sub_nc_u32_e32 v13, 0x3f1, v11
	v_add_nc_u32_e32 v11, 0xfffffc10, v11
	v_cndmask_b32_e64 v7, 0, 1, vcc_lo
	s_delay_alu instid0(VALU_DEP_1) | instskip(NEXT) | instid1(VALU_DEP_4)
	v_and_or_b32 v7, 0xffe, v9, v7
	v_med3_i32 v9, v13, 0, 13
	s_delay_alu instid0(VALU_DEP_2) | instskip(NEXT) | instid1(VALU_DEP_1)
	v_or_b32_e32 v13, 0x1000, v7
	v_lshrrev_b32_e32 v15, v9, v13
	s_delay_alu instid0(VALU_DEP_1) | instskip(NEXT) | instid1(VALU_DEP_1)
	v_lshlrev_b32_e32 v9, v9, v15
	v_cmp_ne_u32_e32 vcc_lo, v9, v13
	v_lshl_or_b32 v13, v11, 12, v7
	v_cndmask_b32_e64 v9, 0, 1, vcc_lo
	v_cmp_gt_i32_e32 vcc_lo, 1, v11
	s_delay_alu instid0(VALU_DEP_2) | instskip(NEXT) | instid1(VALU_DEP_1)
	v_or_b32_e32 v9, v15, v9
	v_cndmask_b32_e32 v9, v13, v9, vcc_lo
	s_delay_alu instid0(VALU_DEP_1) | instskip(NEXT) | instid1(VALU_DEP_1)
	v_and_b32_e32 v13, 7, v9
	v_cmp_lt_i32_e32 vcc_lo, 5, v13
	v_cndmask_b32_e64 v15, 0, 1, vcc_lo
	v_cmp_eq_u32_e32 vcc_lo, 3, v13
	v_cndmask_b32_e64 v13, 0, 1, vcc_lo
	v_cmp_ne_u32_e32 vcc_lo, 0, v7
	s_delay_alu instid0(VALU_DEP_2) | instskip(SKIP_1) | instid1(VALU_DEP_2)
	v_dual_lshrrev_b32 v9, 2, v9 :: v_dual_bitop2_b32 v13, v13, v15 bitop3:0x54
	v_mov_b32_e32 v15, 0x7e00
	v_add_nc_u32_e32 v9, v9, v13
	s_delay_alu instid0(VALU_DEP_2) | instskip(SKIP_1) | instid1(VALU_DEP_3)
	v_cndmask_b32_e32 v7, 0x7c00, v15, vcc_lo
	v_cmp_gt_i32_e32 vcc_lo, 31, v11
	v_cndmask_b32_e32 v9, 0x7c00, v9, vcc_lo
	v_cmp_eq_u32_e32 vcc_lo, 0x40f, v11
	s_delay_alu instid0(VALU_DEP_2) | instskip(SKIP_1) | instid1(VALU_DEP_1)
	v_cndmask_b32_e32 v7, v9, v7, vcc_lo
	v_lshrrev_b32_e32 v9, 16, v19
	v_and_or_b32 v18, 0x8000, v9, v7
	s_branch .LBB191_3158
.LBB191_3154:
	s_mov_b32 s16, -1
                                        ; implicit-def: $vgpr18
	s_branch .LBB191_3176
.LBB191_3155:
	s_mov_b32 s16, -1
                                        ; implicit-def: $vgpr18
	s_branch .LBB191_3164
.LBB191_3156:
	s_mov_b32 s16, -1
                                        ; implicit-def: $vgpr18
	s_branch .LBB191_3161
.LBB191_3157:
	s_mov_b32 s16, -1
                                        ; implicit-def: $vgpr18
.LBB191_3158:
	s_delay_alu instid0(SALU_CYCLE_1)
	s_and_not1_b32 vcc_lo, exec_lo, s16
	s_cbranch_vccnz .LBB191_3160
; %bb.3159:
	global_load_b32 v7, v[16:17], off
	s_wait_loadcnt 0x0
	s_wait_xcnt 0x1
	v_cvt_f16_f32_e32 v18, v7
.LBB191_3160:
	s_mov_b32 s16, 0
.LBB191_3161:
	s_delay_alu instid0(SALU_CYCLE_1)
	s_and_not1_b32 vcc_lo, exec_lo, s16
	s_cbranch_vccnz .LBB191_3163
; %bb.3162:
	global_load_b32 v18, v[16:17], off
.LBB191_3163:
	s_mov_b32 s16, 0
.LBB191_3164:
	s_delay_alu instid0(SALU_CYCLE_1)
	s_and_not1_b32 vcc_lo, exec_lo, s16
	s_cbranch_vccnz .LBB191_3175
; %bb.3165:
	s_cmp_lt_i32 s14, 6
	s_cbranch_scc1 .LBB191_3168
; %bb.3166:
	s_cmp_gt_i32 s14, 6
	s_cbranch_scc0 .LBB191_3169
; %bb.3167:
	s_wait_loadcnt 0x0
	global_load_b64 v[18:19], v[16:17], off
	s_mov_b32 s16, 0
	s_wait_loadcnt 0x0
	v_and_or_b32 v7, 0x1ff, v19, v18
	v_lshrrev_b32_e32 v9, 8, v19
	v_bfe_u32 v11, v19, 20, 11
	s_delay_alu instid0(VALU_DEP_3) | instskip(NEXT) | instid1(VALU_DEP_2)
	v_cmp_ne_u32_e32 vcc_lo, 0, v7
	v_sub_nc_u32_e32 v13, 0x3f1, v11
	v_add_nc_u32_e32 v11, 0xfffffc10, v11
	v_cndmask_b32_e64 v7, 0, 1, vcc_lo
	s_delay_alu instid0(VALU_DEP_1) | instskip(NEXT) | instid1(VALU_DEP_4)
	v_and_or_b32 v7, 0xffe, v9, v7
	v_med3_i32 v9, v13, 0, 13
	s_delay_alu instid0(VALU_DEP_2) | instskip(NEXT) | instid1(VALU_DEP_1)
	v_or_b32_e32 v13, 0x1000, v7
	v_lshrrev_b32_e32 v15, v9, v13
	s_delay_alu instid0(VALU_DEP_1) | instskip(NEXT) | instid1(VALU_DEP_1)
	v_lshlrev_b32_e32 v9, v9, v15
	v_cmp_ne_u32_e32 vcc_lo, v9, v13
	v_lshl_or_b32 v13, v11, 12, v7
	v_cndmask_b32_e64 v9, 0, 1, vcc_lo
	v_cmp_gt_i32_e32 vcc_lo, 1, v11
	s_delay_alu instid0(VALU_DEP_2) | instskip(NEXT) | instid1(VALU_DEP_1)
	v_or_b32_e32 v9, v15, v9
	v_cndmask_b32_e32 v9, v13, v9, vcc_lo
	s_delay_alu instid0(VALU_DEP_1) | instskip(NEXT) | instid1(VALU_DEP_1)
	v_and_b32_e32 v13, 7, v9
	v_cmp_lt_i32_e32 vcc_lo, 5, v13
	v_cndmask_b32_e64 v15, 0, 1, vcc_lo
	v_cmp_eq_u32_e32 vcc_lo, 3, v13
	v_cndmask_b32_e64 v13, 0, 1, vcc_lo
	v_cmp_ne_u32_e32 vcc_lo, 0, v7
	s_delay_alu instid0(VALU_DEP_2) | instskip(SKIP_1) | instid1(VALU_DEP_2)
	v_dual_lshrrev_b32 v9, 2, v9 :: v_dual_bitop2_b32 v13, v13, v15 bitop3:0x54
	v_mov_b32_e32 v15, 0x7e00
	v_add_nc_u32_e32 v9, v9, v13
	s_delay_alu instid0(VALU_DEP_2) | instskip(SKIP_1) | instid1(VALU_DEP_3)
	v_cndmask_b32_e32 v7, 0x7c00, v15, vcc_lo
	v_cmp_gt_i32_e32 vcc_lo, 31, v11
	v_cndmask_b32_e32 v9, 0x7c00, v9, vcc_lo
	v_cmp_eq_u32_e32 vcc_lo, 0x40f, v11
	s_delay_alu instid0(VALU_DEP_2) | instskip(SKIP_1) | instid1(VALU_DEP_1)
	v_cndmask_b32_e32 v7, v9, v7, vcc_lo
	v_lshrrev_b32_e32 v9, 16, v19
	v_and_or_b32 v18, 0x8000, v9, v7
	s_branch .LBB191_3170
.LBB191_3168:
	s_mov_b32 s16, -1
                                        ; implicit-def: $vgpr18
	s_branch .LBB191_3173
.LBB191_3169:
	s_mov_b32 s16, -1
                                        ; implicit-def: $vgpr18
.LBB191_3170:
	s_delay_alu instid0(SALU_CYCLE_1)
	s_and_not1_b32 vcc_lo, exec_lo, s16
	s_cbranch_vccnz .LBB191_3172
; %bb.3171:
	global_load_b32 v7, v[16:17], off
	s_wait_loadcnt 0x0
	s_wait_xcnt 0x1
	v_cvt_f16_f32_e32 v18, v7
.LBB191_3172:
	s_mov_b32 s16, 0
.LBB191_3173:
	s_delay_alu instid0(SALU_CYCLE_1)
	s_and_not1_b32 vcc_lo, exec_lo, s16
	s_cbranch_vccnz .LBB191_3175
; %bb.3174:
	s_wait_loadcnt 0x0
	global_load_u16 v18, v[16:17], off
.LBB191_3175:
	s_mov_b32 s16, 0
.LBB191_3176:
	s_delay_alu instid0(SALU_CYCLE_1)
	s_and_not1_b32 vcc_lo, exec_lo, s16
	s_cbranch_vccnz .LBB191_3196
; %bb.3177:
	s_cmp_lt_i32 s14, 2
	s_cbranch_scc1 .LBB191_3181
; %bb.3178:
	s_cmp_lt_i32 s14, 3
	s_cbranch_scc1 .LBB191_3182
; %bb.3179:
	s_cmp_gt_i32 s14, 3
	s_cbranch_scc0 .LBB191_3183
; %bb.3180:
	s_wait_loadcnt 0x0
	global_load_b64 v[18:19], v[16:17], off
	s_mov_b32 s16, 0
	s_wait_loadcnt 0x0
	v_xor_b32_e32 v7, v18, v19
	v_cls_i32_e32 v9, v19
	s_delay_alu instid0(VALU_DEP_2) | instskip(NEXT) | instid1(VALU_DEP_1)
	v_ashrrev_i32_e32 v7, 31, v7
	v_add_nc_u32_e32 v7, 32, v7
	s_delay_alu instid0(VALU_DEP_1) | instskip(NEXT) | instid1(VALU_DEP_1)
	v_add_min_u32_e64 v7, v9, -1, v7
	v_lshlrev_b64_e32 v[18:19], v7, v[18:19]
	v_sub_nc_u32_e32 v7, 32, v7
	s_delay_alu instid0(VALU_DEP_2) | instskip(NEXT) | instid1(VALU_DEP_1)
	v_min_u32_e32 v9, 1, v18
	v_or_b32_e32 v9, v19, v9
	s_delay_alu instid0(VALU_DEP_1) | instskip(NEXT) | instid1(VALU_DEP_1)
	v_cvt_f32_i32_e32 v9, v9
	v_ldexp_f32 v7, v9, v7
	s_delay_alu instid0(VALU_DEP_1)
	v_cvt_f16_f32_e32 v18, v7
	s_branch .LBB191_3184
.LBB191_3181:
	s_mov_b32 s16, -1
                                        ; implicit-def: $vgpr18
	s_branch .LBB191_3190
.LBB191_3182:
	s_mov_b32 s16, -1
                                        ; implicit-def: $vgpr18
	s_branch .LBB191_3187
.LBB191_3183:
	s_mov_b32 s16, -1
                                        ; implicit-def: $vgpr18
.LBB191_3184:
	s_delay_alu instid0(SALU_CYCLE_1)
	s_and_not1_b32 vcc_lo, exec_lo, s16
	s_cbranch_vccnz .LBB191_3186
; %bb.3185:
	global_load_b32 v7, v[16:17], off
	s_wait_loadcnt 0x0
	v_cvt_f32_i32_e32 v7, v7
	s_wait_xcnt 0x1
	s_delay_alu instid0(VALU_DEP_1)
	v_cvt_f16_f32_e32 v18, v7
.LBB191_3186:
	s_mov_b32 s16, 0
.LBB191_3187:
	s_delay_alu instid0(SALU_CYCLE_1)
	s_and_not1_b32 vcc_lo, exec_lo, s16
	s_cbranch_vccnz .LBB191_3189
; %bb.3188:
	global_load_u16 v7, v[16:17], off
	s_wait_loadcnt 0x0
	s_wait_xcnt 0x1
	v_cvt_f16_i16_e32 v18, v7
.LBB191_3189:
	s_mov_b32 s16, 0
.LBB191_3190:
	s_delay_alu instid0(SALU_CYCLE_1)
	s_and_not1_b32 vcc_lo, exec_lo, s16
	s_cbranch_vccnz .LBB191_3196
; %bb.3191:
	s_cmp_gt_i32 s14, 0
	s_mov_b32 s16, 0
	s_cbranch_scc0 .LBB191_3193
; %bb.3192:
	global_load_i8 v7, v[16:17], off
	s_wait_loadcnt 0x0
	s_wait_xcnt 0x1
	v_cvt_f16_i16_e32 v18, v7
	s_branch .LBB191_3194
.LBB191_3193:
	s_mov_b32 s16, -1
                                        ; implicit-def: $vgpr18
.LBB191_3194:
	s_delay_alu instid0(SALU_CYCLE_1)
	s_and_not1_b32 vcc_lo, exec_lo, s16
	s_cbranch_vccnz .LBB191_3196
; %bb.3195:
	global_load_u8 v7, v[16:17], off
	s_wait_loadcnt 0x0
	s_wait_xcnt 0x1
	v_cvt_f16_u16_e32 v18, v7
.LBB191_3196:
	s_mov_b32 s18, -1
.LBB191_3197:
	s_delay_alu instid0(SALU_CYCLE_1)
	s_and_not1_b32 vcc_lo, exec_lo, s18
	s_cbranch_vccnz .LBB191_4155
; %bb.3198:
	v_mov_b32_e32 v15, 0
	s_cmp_lt_i32 s15, 11
	s_delay_alu instid0(VALU_DEP_1)
	v_add_nc_u64_e32 v[14:15], s[8:9], v[14:15]
	s_cbranch_scc1 .LBB191_3205
; %bb.3199:
	s_cmp_gt_i32 s15, 25
	s_mov_b32 s17, 0
	s_cbranch_scc0 .LBB191_3206
; %bb.3200:
	s_cmp_gt_i32 s15, 28
	s_cbranch_scc0 .LBB191_3207
; %bb.3201:
	s_cmp_gt_i32 s15, 43
	;; [unrolled: 3-line block ×3, first 2 shown]
	s_cbranch_scc0 .LBB191_3210
; %bb.3203:
	s_cmp_eq_u32 s15, 46
	s_mov_b32 s19, 0
	s_cbranch_scc0 .LBB191_3211
; %bb.3204:
	global_load_b32 v7, v[14:15], off
	s_mov_b32 s16, 0
	s_mov_b32 s18, -1
	s_wait_loadcnt 0x0
	v_lshlrev_b32_e32 v7, 16, v7
	s_wait_xcnt 0x1
	s_delay_alu instid0(VALU_DEP_1)
	v_cvt_f16_f32_e32 v16, v7
	s_branch .LBB191_3213
.LBB191_3205:
	s_mov_b32 s16, -1
	s_mov_b32 s18, 0
                                        ; implicit-def: $vgpr16
	s_branch .LBB191_3279
.LBB191_3206:
	s_mov_b32 s19, -1
	s_mov_b32 s18, 0
	s_mov_b32 s16, 0
                                        ; implicit-def: $vgpr16
	s_branch .LBB191_3242
.LBB191_3207:
	s_mov_b32 s19, -1
	s_mov_b32 s18, 0
	s_mov_b32 s16, 0
                                        ; implicit-def: $vgpr16
	s_branch .LBB191_3223
.LBB191_3208:
	s_mov_b32 s19, -1
	s_mov_b32 s18, 0
	s_mov_b32 s16, 0
                                        ; implicit-def: $vgpr16
	s_branch .LBB191_3218
.LBB191_3209:
	s_or_b32 s12, s12, exec_lo
	s_trap 2
	s_cbranch_execz .LBB191_3146
	s_branch .LBB191_3147
.LBB191_3210:
	s_mov_b32 s19, -1
	s_mov_b32 s18, 0
	s_mov_b32 s16, 0
	s_branch .LBB191_3212
.LBB191_3211:
	s_mov_b32 s16, -1
	s_mov_b32 s18, 0
.LBB191_3212:
                                        ; implicit-def: $vgpr16
.LBB191_3213:
	s_and_b32 vcc_lo, exec_lo, s19
	s_cbranch_vccz .LBB191_3217
; %bb.3214:
	s_cmp_eq_u32 s15, 44
	s_cbranch_scc0 .LBB191_3216
; %bb.3215:
	global_load_u8 v7, v[14:15], off
	s_mov_b32 s16, 0
	s_mov_b32 s18, -1
	s_wait_loadcnt 0x0
	v_lshlrev_b32_e32 v9, 23, v7
	v_cmp_ne_u32_e32 vcc_lo, 0xff, v7
	s_delay_alu instid0(VALU_DEP_2) | instskip(NEXT) | instid1(VALU_DEP_1)
	v_cvt_f16_f32_e32 v9, v9
	v_cndmask_b32_e32 v9, 0x7e00, v9, vcc_lo
	v_cmp_ne_u32_e32 vcc_lo, 0, v7
	s_wait_xcnt 0x1
	s_delay_alu instid0(VALU_DEP_2)
	v_cndmask_b32_e32 v16, 0, v9, vcc_lo
	s_branch .LBB191_3217
.LBB191_3216:
	s_mov_b32 s16, -1
                                        ; implicit-def: $vgpr16
.LBB191_3217:
	s_mov_b32 s19, 0
.LBB191_3218:
	s_delay_alu instid0(SALU_CYCLE_1)
	s_and_b32 vcc_lo, exec_lo, s19
	s_cbranch_vccz .LBB191_3222
; %bb.3219:
	s_cmp_eq_u32 s15, 29
	s_cbranch_scc0 .LBB191_3221
; %bb.3220:
	global_load_b64 v[16:17], v[14:15], off
	s_mov_b32 s16, 0
	s_mov_b32 s18, -1
	s_mov_b32 s19, 0
	s_wait_loadcnt 0x0
	v_clz_i32_u32_e32 v7, v17
	s_delay_alu instid0(VALU_DEP_1) | instskip(NEXT) | instid1(VALU_DEP_1)
	v_min_u32_e32 v7, 32, v7
	v_lshlrev_b64_e32 v[16:17], v7, v[16:17]
	v_sub_nc_u32_e32 v7, 32, v7
	s_delay_alu instid0(VALU_DEP_2) | instskip(NEXT) | instid1(VALU_DEP_1)
	v_min_u32_e32 v9, 1, v16
	v_or_b32_e32 v9, v17, v9
	s_delay_alu instid0(VALU_DEP_1) | instskip(NEXT) | instid1(VALU_DEP_1)
	v_cvt_f32_u32_e32 v9, v9
	v_ldexp_f32 v7, v9, v7
	s_delay_alu instid0(VALU_DEP_1)
	v_cvt_f16_f32_e32 v16, v7
	s_branch .LBB191_3223
.LBB191_3221:
	s_mov_b32 s16, -1
                                        ; implicit-def: $vgpr16
.LBB191_3222:
	s_mov_b32 s19, 0
.LBB191_3223:
	s_delay_alu instid0(SALU_CYCLE_1)
	s_and_b32 vcc_lo, exec_lo, s19
	s_cbranch_vccz .LBB191_3241
; %bb.3224:
	s_cmp_lt_i32 s15, 27
	s_cbranch_scc1 .LBB191_3227
; %bb.3225:
	s_cmp_gt_i32 s15, 27
	s_cbranch_scc0 .LBB191_3228
; %bb.3226:
	global_load_b32 v7, v[14:15], off
	s_mov_b32 s18, 0
	s_wait_loadcnt 0x0
	v_cvt_f32_u32_e32 v7, v7
	s_wait_xcnt 0x1
	s_delay_alu instid0(VALU_DEP_1)
	v_cvt_f16_f32_e32 v16, v7
	s_branch .LBB191_3229
.LBB191_3227:
	s_mov_b32 s18, -1
                                        ; implicit-def: $vgpr16
	s_branch .LBB191_3232
.LBB191_3228:
	s_mov_b32 s18, -1
                                        ; implicit-def: $vgpr16
.LBB191_3229:
	s_delay_alu instid0(SALU_CYCLE_1)
	s_and_not1_b32 vcc_lo, exec_lo, s18
	s_cbranch_vccnz .LBB191_3231
; %bb.3230:
	global_load_u16 v7, v[14:15], off
	s_wait_loadcnt 0x0
	s_wait_xcnt 0x1
	v_cvt_f16_u16_e32 v16, v7
.LBB191_3231:
	s_mov_b32 s18, 0
.LBB191_3232:
	s_delay_alu instid0(SALU_CYCLE_1)
	s_and_not1_b32 vcc_lo, exec_lo, s18
	s_cbranch_vccnz .LBB191_3240
; %bb.3233:
	global_load_u8 v7, v[14:15], off
	s_mov_b32 s18, 0
	s_mov_b32 s19, exec_lo
	s_wait_loadcnt 0x0
	v_cmpx_lt_i16_e32 0x7f, v7
	s_xor_b32 s19, exec_lo, s19
	s_cbranch_execz .LBB191_3254
; %bb.3234:
	s_mov_b32 s18, -1
	s_mov_b32 s20, exec_lo
	v_cmpx_eq_u16_e32 0x80, v7
; %bb.3235:
	s_xor_b32 s18, exec_lo, -1
; %bb.3236:
	s_or_b32 exec_lo, exec_lo, s20
	s_delay_alu instid0(SALU_CYCLE_1)
	s_and_b32 s18, s18, exec_lo
	s_or_saveexec_b32 s19, s19
	v_mov_b32_e32 v16, 0x7e00
	s_xor_b32 exec_lo, exec_lo, s19
	s_cbranch_execnz .LBB191_3255
.LBB191_3237:
	s_or_b32 exec_lo, exec_lo, s19
	s_and_saveexec_b32 s19, s18
	s_cbranch_execz .LBB191_3239
.LBB191_3238:
	v_and_b32_e32 v9, 0xffff, v7
	s_delay_alu instid0(VALU_DEP_1) | instskip(SKIP_1) | instid1(VALU_DEP_2)
	v_dual_lshlrev_b32 v7, 24, v7 :: v_dual_bitop2_b32 v11, 7, v9 bitop3:0x40
	v_bfe_u32 v17, v9, 3, 4
	v_and_b32_e32 v7, 0x80000000, v7
	s_delay_alu instid0(VALU_DEP_3) | instskip(NEXT) | instid1(VALU_DEP_3)
	v_clz_i32_u32_e32 v13, v11
	v_cmp_eq_u32_e32 vcc_lo, 0, v17
	s_delay_alu instid0(VALU_DEP_2) | instskip(NEXT) | instid1(VALU_DEP_1)
	v_min_u32_e32 v13, 32, v13
	v_subrev_nc_u32_e32 v16, 28, v13
	v_sub_nc_u32_e32 v13, 29, v13
	s_delay_alu instid0(VALU_DEP_2) | instskip(NEXT) | instid1(VALU_DEP_2)
	v_lshlrev_b32_e32 v9, v16, v9
	v_cndmask_b32_e32 v13, v17, v13, vcc_lo
	s_delay_alu instid0(VALU_DEP_2) | instskip(NEXT) | instid1(VALU_DEP_1)
	v_and_b32_e32 v9, 7, v9
	v_cndmask_b32_e32 v9, v11, v9, vcc_lo
	s_delay_alu instid0(VALU_DEP_3) | instskip(NEXT) | instid1(VALU_DEP_2)
	v_lshl_add_u32 v11, v13, 23, 0x3b800000
	v_lshlrev_b32_e32 v9, 20, v9
	s_delay_alu instid0(VALU_DEP_1) | instskip(NEXT) | instid1(VALU_DEP_1)
	v_or3_b32 v7, v7, v11, v9
	v_cvt_f16_f32_e32 v16, v7
.LBB191_3239:
	s_or_b32 exec_lo, exec_lo, s19
.LBB191_3240:
	s_mov_b32 s18, -1
.LBB191_3241:
	s_mov_b32 s19, 0
.LBB191_3242:
	s_delay_alu instid0(SALU_CYCLE_1)
	s_and_b32 vcc_lo, exec_lo, s19
	s_cbranch_vccz .LBB191_3275
; %bb.3243:
	s_cmp_gt_i32 s15, 22
	s_cbranch_scc0 .LBB191_3253
; %bb.3244:
	s_cmp_lt_i32 s15, 24
	s_cbranch_scc1 .LBB191_3256
; %bb.3245:
	s_cmp_gt_i32 s15, 24
	s_cbranch_scc0 .LBB191_3257
; %bb.3246:
	global_load_u8 v7, v[14:15], off
	s_mov_b32 s18, exec_lo
	s_wait_loadcnt 0x0
	v_cmpx_lt_i16_e32 0x7f, v7
	s_xor_b32 s18, exec_lo, s18
	s_cbranch_execz .LBB191_3269
; %bb.3247:
	s_mov_b32 s17, -1
	s_mov_b32 s19, exec_lo
	v_cmpx_eq_u16_e32 0x80, v7
; %bb.3248:
	s_xor_b32 s17, exec_lo, -1
; %bb.3249:
	s_or_b32 exec_lo, exec_lo, s19
	s_delay_alu instid0(SALU_CYCLE_1)
	s_and_b32 s17, s17, exec_lo
	s_or_saveexec_b32 s18, s18
	v_mov_b32_e32 v16, 0x7e00
	s_xor_b32 exec_lo, exec_lo, s18
	s_cbranch_execnz .LBB191_3270
.LBB191_3250:
	s_or_b32 exec_lo, exec_lo, s18
	s_and_saveexec_b32 s18, s17
	s_cbranch_execz .LBB191_3252
.LBB191_3251:
	v_and_b32_e32 v9, 0xffff, v7
	s_delay_alu instid0(VALU_DEP_1) | instskip(SKIP_1) | instid1(VALU_DEP_2)
	v_dual_lshlrev_b32 v7, 24, v7 :: v_dual_bitop2_b32 v11, 3, v9 bitop3:0x40
	v_bfe_u32 v17, v9, 2, 5
	v_and_b32_e32 v7, 0x80000000, v7
	s_delay_alu instid0(VALU_DEP_3) | instskip(NEXT) | instid1(VALU_DEP_3)
	v_clz_i32_u32_e32 v13, v11
	v_cmp_eq_u32_e32 vcc_lo, 0, v17
	s_delay_alu instid0(VALU_DEP_2) | instskip(NEXT) | instid1(VALU_DEP_1)
	v_min_u32_e32 v13, 32, v13
	v_subrev_nc_u32_e32 v16, 29, v13
	v_sub_nc_u32_e32 v13, 30, v13
	s_delay_alu instid0(VALU_DEP_2) | instskip(NEXT) | instid1(VALU_DEP_2)
	v_lshlrev_b32_e32 v9, v16, v9
	v_cndmask_b32_e32 v13, v17, v13, vcc_lo
	s_delay_alu instid0(VALU_DEP_2) | instskip(NEXT) | instid1(VALU_DEP_1)
	v_and_b32_e32 v9, 3, v9
	v_cndmask_b32_e32 v9, v11, v9, vcc_lo
	s_delay_alu instid0(VALU_DEP_3) | instskip(NEXT) | instid1(VALU_DEP_2)
	v_lshl_add_u32 v11, v13, 23, 0x37800000
	v_lshlrev_b32_e32 v9, 21, v9
	s_delay_alu instid0(VALU_DEP_1) | instskip(NEXT) | instid1(VALU_DEP_1)
	v_or3_b32 v7, v7, v11, v9
	v_cvt_f16_f32_e32 v16, v7
.LBB191_3252:
	s_or_b32 exec_lo, exec_lo, s18
	s_mov_b32 s17, 0
	s_branch .LBB191_3258
.LBB191_3253:
	s_mov_b32 s17, -1
                                        ; implicit-def: $vgpr16
	s_branch .LBB191_3264
.LBB191_3254:
	s_or_saveexec_b32 s19, s19
	v_mov_b32_e32 v16, 0x7e00
	s_xor_b32 exec_lo, exec_lo, s19
	s_cbranch_execz .LBB191_3237
.LBB191_3255:
	v_cmp_ne_u16_e32 vcc_lo, 0, v7
	v_mov_b32_e32 v16, v7
	s_and_not1_b32 s18, s18, exec_lo
	s_and_b32 s20, vcc_lo, exec_lo
	s_delay_alu instid0(SALU_CYCLE_1)
	s_or_b32 s18, s18, s20
	s_or_b32 exec_lo, exec_lo, s19
	s_and_saveexec_b32 s19, s18
	s_cbranch_execnz .LBB191_3238
	s_branch .LBB191_3239
.LBB191_3256:
	s_mov_b32 s17, -1
                                        ; implicit-def: $vgpr16
	s_branch .LBB191_3261
.LBB191_3257:
	s_mov_b32 s17, -1
                                        ; implicit-def: $vgpr16
.LBB191_3258:
	s_delay_alu instid0(SALU_CYCLE_1)
	s_and_b32 vcc_lo, exec_lo, s17
	s_cbranch_vccz .LBB191_3260
; %bb.3259:
	global_load_u8 v7, v[14:15], off
	s_wait_loadcnt 0x0
	v_lshlrev_b32_e32 v7, 24, v7
	s_delay_alu instid0(VALU_DEP_1) | instskip(NEXT) | instid1(VALU_DEP_1)
	v_and_b32_e32 v9, 0x7f000000, v7
	v_clz_i32_u32_e32 v11, v9
	v_cmp_ne_u32_e32 vcc_lo, 0, v9
	s_wait_xcnt 0x1
	v_add_nc_u32_e32 v16, 0x1000000, v9
	s_delay_alu instid0(VALU_DEP_3) | instskip(NEXT) | instid1(VALU_DEP_1)
	v_min_u32_e32 v11, 32, v11
	v_sub_nc_u32_e64 v11, v11, 4 clamp
	s_delay_alu instid0(VALU_DEP_1) | instskip(NEXT) | instid1(VALU_DEP_1)
	v_dual_lshlrev_b32 v13, v11, v9 :: v_dual_lshlrev_b32 v11, 23, v11
	v_lshrrev_b32_e32 v13, 4, v13
	s_delay_alu instid0(VALU_DEP_1) | instskip(NEXT) | instid1(VALU_DEP_1)
	v_dual_sub_nc_u32 v11, v13, v11 :: v_dual_ashrrev_i32 v13, 8, v16
	v_add_nc_u32_e32 v11, 0x3c000000, v11
	s_delay_alu instid0(VALU_DEP_1) | instskip(NEXT) | instid1(VALU_DEP_1)
	v_and_or_b32 v11, 0x7f800000, v13, v11
	v_cndmask_b32_e32 v9, 0, v11, vcc_lo
	s_delay_alu instid0(VALU_DEP_1) | instskip(NEXT) | instid1(VALU_DEP_1)
	v_and_or_b32 v7, 0x80000000, v7, v9
	v_cvt_f16_f32_e32 v16, v7
.LBB191_3260:
	s_mov_b32 s17, 0
.LBB191_3261:
	s_delay_alu instid0(SALU_CYCLE_1)
	s_and_not1_b32 vcc_lo, exec_lo, s17
	s_cbranch_vccnz .LBB191_3263
; %bb.3262:
	global_load_u8 v7, v[14:15], off
	s_wait_loadcnt 0x0
	v_lshlrev_b32_e32 v9, 25, v7
	v_lshlrev_b16 v7, 8, v7
	s_delay_alu instid0(VALU_DEP_1) | instskip(SKIP_1) | instid1(VALU_DEP_2)
	v_and_or_b32 v13, 0x7f00, v7, 0.5
	v_bfe_i32 v7, v7, 0, 16
	v_add_f32_e32 v13, -0.5, v13
	v_lshrrev_b32_e32 v11, 4, v9
	v_cmp_gt_u32_e32 vcc_lo, 0x8000000, v9
	s_delay_alu instid0(VALU_DEP_2) | instskip(NEXT) | instid1(VALU_DEP_1)
	v_or_b32_e32 v11, 0x70000000, v11
	v_mul_f32_e32 v11, 0x7800000, v11
	s_delay_alu instid0(VALU_DEP_1) | instskip(NEXT) | instid1(VALU_DEP_1)
	v_cndmask_b32_e32 v9, v11, v13, vcc_lo
	v_and_or_b32 v7, 0x80000000, v7, v9
	s_wait_xcnt 0x1
	s_delay_alu instid0(VALU_DEP_1)
	v_cvt_f16_f32_e32 v16, v7
.LBB191_3263:
	s_mov_b32 s17, 0
	s_mov_b32 s18, -1
.LBB191_3264:
	s_and_not1_b32 vcc_lo, exec_lo, s17
	s_mov_b32 s17, 0
	s_cbranch_vccnz .LBB191_3275
; %bb.3265:
	s_cmp_gt_i32 s15, 14
	s_cbranch_scc0 .LBB191_3268
; %bb.3266:
	s_cmp_eq_u32 s15, 15
	s_cbranch_scc0 .LBB191_3271
; %bb.3267:
	global_load_u16 v7, v[14:15], off
	s_mov_b32 s16, 0
	s_mov_b32 s18, -1
	s_wait_loadcnt 0x0
	v_lshlrev_b32_e32 v7, 16, v7
	s_wait_xcnt 0x1
	s_delay_alu instid0(VALU_DEP_1)
	v_cvt_f16_f32_e32 v16, v7
	s_branch .LBB191_3273
.LBB191_3268:
	s_mov_b32 s17, -1
	s_branch .LBB191_3272
.LBB191_3269:
	s_or_saveexec_b32 s18, s18
	v_mov_b32_e32 v16, 0x7e00
	s_xor_b32 exec_lo, exec_lo, s18
	s_cbranch_execz .LBB191_3250
.LBB191_3270:
	v_cmp_ne_u16_e32 vcc_lo, 0, v7
	v_mov_b32_e32 v16, v7
	s_and_not1_b32 s17, s17, exec_lo
	s_and_b32 s19, vcc_lo, exec_lo
	s_delay_alu instid0(SALU_CYCLE_1)
	s_or_b32 s17, s17, s19
	s_or_b32 exec_lo, exec_lo, s18
	s_and_saveexec_b32 s18, s17
	s_cbranch_execnz .LBB191_3251
	s_branch .LBB191_3252
.LBB191_3271:
	s_mov_b32 s16, -1
.LBB191_3272:
                                        ; implicit-def: $vgpr16
.LBB191_3273:
	s_and_b32 vcc_lo, exec_lo, s17
	s_mov_b32 s17, 0
	s_cbranch_vccz .LBB191_3275
; %bb.3274:
	s_cmp_lg_u32 s15, 11
	s_mov_b32 s17, -1
	s_cselect_b32 s16, -1, 0
.LBB191_3275:
	s_delay_alu instid0(SALU_CYCLE_1)
	s_and_b32 vcc_lo, exec_lo, s16
	s_cbranch_vccnz .LBB191_3340
; %bb.3276:
	s_and_not1_b32 vcc_lo, exec_lo, s17
	s_cbranch_vccnz .LBB191_3278
.LBB191_3277:
	global_load_u8 v7, v[14:15], off
	s_mov_b32 s18, -1
	s_wait_loadcnt 0x0
	v_cmp_ne_u16_e32 vcc_lo, 0, v7
	s_wait_xcnt 0x1
	v_cndmask_b32_e64 v16, 0, 0x3c00, vcc_lo
.LBB191_3278:
	s_mov_b32 s16, 0
.LBB191_3279:
	s_delay_alu instid0(SALU_CYCLE_1)
	s_and_b32 vcc_lo, exec_lo, s16
	s_cbranch_vccz .LBB191_3328
; %bb.3280:
	s_cmp_lt_i32 s15, 5
	s_cbranch_scc1 .LBB191_3285
; %bb.3281:
	s_cmp_lt_i32 s15, 8
	s_cbranch_scc1 .LBB191_3286
	;; [unrolled: 3-line block ×3, first 2 shown]
; %bb.3283:
	s_cmp_gt_i32 s15, 9
	s_cbranch_scc0 .LBB191_3288
; %bb.3284:
	global_load_b64 v[16:17], v[14:15], off
	s_mov_b32 s16, 0
	s_wait_loadcnt 0x0
	v_and_or_b32 v7, 0x1ff, v17, v16
	v_lshrrev_b32_e32 v9, 8, v17
	v_bfe_u32 v11, v17, 20, 11
	s_delay_alu instid0(VALU_DEP_3) | instskip(NEXT) | instid1(VALU_DEP_2)
	v_cmp_ne_u32_e32 vcc_lo, 0, v7
	v_sub_nc_u32_e32 v13, 0x3f1, v11
	v_add_nc_u32_e32 v11, 0xfffffc10, v11
	v_cndmask_b32_e64 v7, 0, 1, vcc_lo
	s_delay_alu instid0(VALU_DEP_1) | instskip(NEXT) | instid1(VALU_DEP_4)
	v_and_or_b32 v7, 0xffe, v9, v7
	v_med3_i32 v9, v13, 0, 13
	s_delay_alu instid0(VALU_DEP_2) | instskip(NEXT) | instid1(VALU_DEP_1)
	v_or_b32_e32 v13, 0x1000, v7
	v_lshrrev_b32_e32 v16, v9, v13
	s_delay_alu instid0(VALU_DEP_1) | instskip(NEXT) | instid1(VALU_DEP_1)
	v_lshlrev_b32_e32 v9, v9, v16
	v_cmp_ne_u32_e32 vcc_lo, v9, v13
	v_lshl_or_b32 v13, v11, 12, v7
	v_cndmask_b32_e64 v9, 0, 1, vcc_lo
	v_cmp_gt_i32_e32 vcc_lo, 1, v11
	s_delay_alu instid0(VALU_DEP_2) | instskip(NEXT) | instid1(VALU_DEP_1)
	v_or_b32_e32 v9, v16, v9
	v_cndmask_b32_e32 v9, v13, v9, vcc_lo
	s_delay_alu instid0(VALU_DEP_1) | instskip(NEXT) | instid1(VALU_DEP_1)
	v_dual_lshrrev_b32 v9, 2, v9 :: v_dual_bitop2_b32 v13, 7, v9 bitop3:0x40
	v_cmp_lt_i32_e32 vcc_lo, 5, v13
	v_cndmask_b32_e64 v16, 0, 1, vcc_lo
	v_cmp_eq_u32_e32 vcc_lo, 3, v13
	v_cndmask_b32_e64 v13, 0, 1, vcc_lo
	v_cmp_ne_u32_e32 vcc_lo, 0, v7
	s_delay_alu instid0(VALU_DEP_2) | instskip(NEXT) | instid1(VALU_DEP_1)
	v_or_b32_e32 v13, v13, v16
	v_dual_mov_b32 v16, 0x7e00 :: v_dual_add_nc_u32 v9, v9, v13
	s_delay_alu instid0(VALU_DEP_1) | instskip(SKIP_1) | instid1(VALU_DEP_3)
	v_cndmask_b32_e32 v7, 0x7c00, v16, vcc_lo
	v_cmp_gt_i32_e32 vcc_lo, 31, v11
	v_cndmask_b32_e32 v9, 0x7c00, v9, vcc_lo
	v_cmp_eq_u32_e32 vcc_lo, 0x40f, v11
	s_delay_alu instid0(VALU_DEP_2) | instskip(NEXT) | instid1(VALU_DEP_1)
	v_dual_cndmask_b32 v7, v9, v7, vcc_lo :: v_dual_lshrrev_b32 v9, 16, v17
	v_and_or_b32 v16, 0x8000, v9, v7
	s_branch .LBB191_3289
.LBB191_3285:
	s_mov_b32 s16, -1
                                        ; implicit-def: $vgpr16
	s_branch .LBB191_3307
.LBB191_3286:
	s_mov_b32 s16, -1
                                        ; implicit-def: $vgpr16
	s_branch .LBB191_3295
.LBB191_3287:
	s_mov_b32 s16, -1
                                        ; implicit-def: $vgpr16
	s_branch .LBB191_3292
.LBB191_3288:
	s_mov_b32 s16, -1
                                        ; implicit-def: $vgpr16
.LBB191_3289:
	s_delay_alu instid0(SALU_CYCLE_1)
	s_and_not1_b32 vcc_lo, exec_lo, s16
	s_cbranch_vccnz .LBB191_3291
; %bb.3290:
	global_load_b32 v7, v[14:15], off
	s_wait_loadcnt 0x0
	s_wait_xcnt 0x1
	v_cvt_f16_f32_e32 v16, v7
.LBB191_3291:
	s_mov_b32 s16, 0
.LBB191_3292:
	s_delay_alu instid0(SALU_CYCLE_1)
	s_and_not1_b32 vcc_lo, exec_lo, s16
	s_cbranch_vccnz .LBB191_3294
; %bb.3293:
	global_load_b32 v16, v[14:15], off
.LBB191_3294:
	s_mov_b32 s16, 0
.LBB191_3295:
	s_delay_alu instid0(SALU_CYCLE_1)
	s_and_not1_b32 vcc_lo, exec_lo, s16
	s_cbranch_vccnz .LBB191_3306
; %bb.3296:
	s_cmp_lt_i32 s15, 6
	s_cbranch_scc1 .LBB191_3299
; %bb.3297:
	s_cmp_gt_i32 s15, 6
	s_cbranch_scc0 .LBB191_3300
; %bb.3298:
	s_wait_loadcnt 0x0
	global_load_b64 v[16:17], v[14:15], off
	s_mov_b32 s16, 0
	s_wait_loadcnt 0x0
	v_and_or_b32 v7, 0x1ff, v17, v16
	v_lshrrev_b32_e32 v9, 8, v17
	v_bfe_u32 v11, v17, 20, 11
	s_delay_alu instid0(VALU_DEP_3) | instskip(NEXT) | instid1(VALU_DEP_2)
	v_cmp_ne_u32_e32 vcc_lo, 0, v7
	v_sub_nc_u32_e32 v13, 0x3f1, v11
	v_add_nc_u32_e32 v11, 0xfffffc10, v11
	v_cndmask_b32_e64 v7, 0, 1, vcc_lo
	s_delay_alu instid0(VALU_DEP_1) | instskip(NEXT) | instid1(VALU_DEP_4)
	v_and_or_b32 v7, 0xffe, v9, v7
	v_med3_i32 v9, v13, 0, 13
	s_delay_alu instid0(VALU_DEP_2) | instskip(NEXT) | instid1(VALU_DEP_1)
	v_or_b32_e32 v13, 0x1000, v7
	v_lshrrev_b32_e32 v16, v9, v13
	s_delay_alu instid0(VALU_DEP_1) | instskip(NEXT) | instid1(VALU_DEP_1)
	v_lshlrev_b32_e32 v9, v9, v16
	v_cmp_ne_u32_e32 vcc_lo, v9, v13
	v_lshl_or_b32 v13, v11, 12, v7
	v_cndmask_b32_e64 v9, 0, 1, vcc_lo
	v_cmp_gt_i32_e32 vcc_lo, 1, v11
	s_delay_alu instid0(VALU_DEP_2) | instskip(NEXT) | instid1(VALU_DEP_1)
	v_or_b32_e32 v9, v16, v9
	v_cndmask_b32_e32 v9, v13, v9, vcc_lo
	s_delay_alu instid0(VALU_DEP_1) | instskip(NEXT) | instid1(VALU_DEP_1)
	v_dual_lshrrev_b32 v9, 2, v9 :: v_dual_bitop2_b32 v13, 7, v9 bitop3:0x40
	v_cmp_lt_i32_e32 vcc_lo, 5, v13
	v_cndmask_b32_e64 v16, 0, 1, vcc_lo
	v_cmp_eq_u32_e32 vcc_lo, 3, v13
	v_cndmask_b32_e64 v13, 0, 1, vcc_lo
	v_cmp_ne_u32_e32 vcc_lo, 0, v7
	s_delay_alu instid0(VALU_DEP_2) | instskip(NEXT) | instid1(VALU_DEP_1)
	v_or_b32_e32 v13, v13, v16
	v_dual_mov_b32 v16, 0x7e00 :: v_dual_add_nc_u32 v9, v9, v13
	s_delay_alu instid0(VALU_DEP_1) | instskip(SKIP_1) | instid1(VALU_DEP_3)
	v_cndmask_b32_e32 v7, 0x7c00, v16, vcc_lo
	v_cmp_gt_i32_e32 vcc_lo, 31, v11
	v_cndmask_b32_e32 v9, 0x7c00, v9, vcc_lo
	v_cmp_eq_u32_e32 vcc_lo, 0x40f, v11
	s_delay_alu instid0(VALU_DEP_2) | instskip(NEXT) | instid1(VALU_DEP_1)
	v_dual_cndmask_b32 v7, v9, v7, vcc_lo :: v_dual_lshrrev_b32 v9, 16, v17
	v_and_or_b32 v16, 0x8000, v9, v7
	s_branch .LBB191_3301
.LBB191_3299:
	s_mov_b32 s16, -1
                                        ; implicit-def: $vgpr16
	s_branch .LBB191_3304
.LBB191_3300:
	s_mov_b32 s16, -1
                                        ; implicit-def: $vgpr16
.LBB191_3301:
	s_delay_alu instid0(SALU_CYCLE_1)
	s_and_not1_b32 vcc_lo, exec_lo, s16
	s_cbranch_vccnz .LBB191_3303
; %bb.3302:
	global_load_b32 v7, v[14:15], off
	s_wait_loadcnt 0x0
	s_wait_xcnt 0x1
	v_cvt_f16_f32_e32 v16, v7
.LBB191_3303:
	s_mov_b32 s16, 0
.LBB191_3304:
	s_delay_alu instid0(SALU_CYCLE_1)
	s_and_not1_b32 vcc_lo, exec_lo, s16
	s_cbranch_vccnz .LBB191_3306
; %bb.3305:
	s_wait_loadcnt 0x0
	global_load_u16 v16, v[14:15], off
.LBB191_3306:
	s_mov_b32 s16, 0
.LBB191_3307:
	s_delay_alu instid0(SALU_CYCLE_1)
	s_and_not1_b32 vcc_lo, exec_lo, s16
	s_cbranch_vccnz .LBB191_3327
; %bb.3308:
	s_cmp_lt_i32 s15, 2
	s_cbranch_scc1 .LBB191_3312
; %bb.3309:
	s_cmp_lt_i32 s15, 3
	s_cbranch_scc1 .LBB191_3313
; %bb.3310:
	s_cmp_gt_i32 s15, 3
	s_cbranch_scc0 .LBB191_3314
; %bb.3311:
	s_wait_loadcnt 0x0
	global_load_b64 v[16:17], v[14:15], off
	s_mov_b32 s16, 0
	s_wait_loadcnt 0x0
	v_xor_b32_e32 v7, v16, v17
	v_cls_i32_e32 v9, v17
	s_delay_alu instid0(VALU_DEP_2) | instskip(NEXT) | instid1(VALU_DEP_1)
	v_ashrrev_i32_e32 v7, 31, v7
	v_add_nc_u32_e32 v7, 32, v7
	s_delay_alu instid0(VALU_DEP_1) | instskip(NEXT) | instid1(VALU_DEP_1)
	v_add_min_u32_e64 v7, v9, -1, v7
	v_lshlrev_b64_e32 v[16:17], v7, v[16:17]
	v_sub_nc_u32_e32 v7, 32, v7
	s_delay_alu instid0(VALU_DEP_2) | instskip(NEXT) | instid1(VALU_DEP_1)
	v_min_u32_e32 v9, 1, v16
	v_or_b32_e32 v9, v17, v9
	s_delay_alu instid0(VALU_DEP_1) | instskip(NEXT) | instid1(VALU_DEP_1)
	v_cvt_f32_i32_e32 v9, v9
	v_ldexp_f32 v7, v9, v7
	s_delay_alu instid0(VALU_DEP_1)
	v_cvt_f16_f32_e32 v16, v7
	s_branch .LBB191_3315
.LBB191_3312:
	s_mov_b32 s16, -1
                                        ; implicit-def: $vgpr16
	s_branch .LBB191_3321
.LBB191_3313:
	s_mov_b32 s16, -1
                                        ; implicit-def: $vgpr16
	s_branch .LBB191_3318
.LBB191_3314:
	s_mov_b32 s16, -1
                                        ; implicit-def: $vgpr16
.LBB191_3315:
	s_delay_alu instid0(SALU_CYCLE_1)
	s_and_not1_b32 vcc_lo, exec_lo, s16
	s_cbranch_vccnz .LBB191_3317
; %bb.3316:
	global_load_b32 v7, v[14:15], off
	s_wait_loadcnt 0x0
	v_cvt_f32_i32_e32 v7, v7
	s_wait_xcnt 0x1
	s_delay_alu instid0(VALU_DEP_1)
	v_cvt_f16_f32_e32 v16, v7
.LBB191_3317:
	s_mov_b32 s16, 0
.LBB191_3318:
	s_delay_alu instid0(SALU_CYCLE_1)
	s_and_not1_b32 vcc_lo, exec_lo, s16
	s_cbranch_vccnz .LBB191_3320
; %bb.3319:
	global_load_u16 v7, v[14:15], off
	s_wait_loadcnt 0x0
	s_wait_xcnt 0x1
	v_cvt_f16_i16_e32 v16, v7
.LBB191_3320:
	s_mov_b32 s16, 0
.LBB191_3321:
	s_delay_alu instid0(SALU_CYCLE_1)
	s_and_not1_b32 vcc_lo, exec_lo, s16
	s_cbranch_vccnz .LBB191_3327
; %bb.3322:
	s_cmp_gt_i32 s15, 0
	s_mov_b32 s16, 0
	s_cbranch_scc0 .LBB191_3324
; %bb.3323:
	global_load_i8 v7, v[14:15], off
	s_wait_loadcnt 0x0
	s_wait_xcnt 0x1
	v_cvt_f16_i16_e32 v16, v7
	s_branch .LBB191_3325
.LBB191_3324:
	s_mov_b32 s16, -1
                                        ; implicit-def: $vgpr16
.LBB191_3325:
	s_delay_alu instid0(SALU_CYCLE_1)
	s_and_not1_b32 vcc_lo, exec_lo, s16
	s_cbranch_vccnz .LBB191_3327
; %bb.3326:
	global_load_u8 v7, v[14:15], off
	s_wait_loadcnt 0x0
	s_wait_xcnt 0x1
	v_cvt_f16_u16_e32 v16, v7
.LBB191_3327:
	s_mov_b32 s18, -1
.LBB191_3328:
	s_delay_alu instid0(SALU_CYCLE_1)
	s_and_not1_b32 vcc_lo, exec_lo, s18
	s_cbranch_vccnz .LBB191_4155
; %bb.3329:
	v_mov_b32_e32 v13, 0
	s_cmp_lt_i32 s13, 11
	s_delay_alu instid0(VALU_DEP_1)
	v_add_nc_u64_e32 v[12:13], s[6:7], v[12:13]
	s_cbranch_scc1 .LBB191_3336
; %bb.3330:
	s_cmp_gt_i32 s13, 25
	s_mov_b32 s7, 0
	s_cbranch_scc0 .LBB191_3337
; %bb.3331:
	s_cmp_gt_i32 s13, 28
	s_cbranch_scc0 .LBB191_3338
; %bb.3332:
	s_cmp_gt_i32 s13, 43
	;; [unrolled: 3-line block ×3, first 2 shown]
	s_cbranch_scc0 .LBB191_3341
; %bb.3334:
	s_cmp_eq_u32 s13, 46
	s_mov_b32 s17, 0
	s_cbranch_scc0 .LBB191_3342
; %bb.3335:
	global_load_b32 v7, v[12:13], off
	s_mov_b32 s6, 0
	s_mov_b32 s16, -1
	s_wait_loadcnt 0x0
	v_lshlrev_b32_e32 v7, 16, v7
	s_wait_xcnt 0x1
	s_delay_alu instid0(VALU_DEP_1)
	v_cvt_f16_f32_e32 v14, v7
	s_branch .LBB191_3344
.LBB191_3336:
	s_mov_b32 s6, -1
	s_mov_b32 s16, 0
                                        ; implicit-def: $vgpr14
	s_branch .LBB191_3410
.LBB191_3337:
	s_mov_b32 s17, -1
	s_mov_b32 s16, 0
	s_mov_b32 s6, 0
                                        ; implicit-def: $vgpr14
	s_branch .LBB191_3373
.LBB191_3338:
	s_mov_b32 s17, -1
	s_mov_b32 s16, 0
	s_mov_b32 s6, 0
                                        ; implicit-def: $vgpr14
	s_branch .LBB191_3354
.LBB191_3339:
	s_mov_b32 s17, -1
	s_mov_b32 s16, 0
	s_mov_b32 s6, 0
                                        ; implicit-def: $vgpr14
	s_branch .LBB191_3349
.LBB191_3340:
	s_or_b32 s12, s12, exec_lo
	s_trap 2
	s_cbranch_execz .LBB191_3277
	s_branch .LBB191_3278
.LBB191_3341:
	s_mov_b32 s17, -1
	s_mov_b32 s16, 0
	s_mov_b32 s6, 0
	s_branch .LBB191_3343
.LBB191_3342:
	s_mov_b32 s6, -1
	s_mov_b32 s16, 0
.LBB191_3343:
                                        ; implicit-def: $vgpr14
.LBB191_3344:
	s_and_b32 vcc_lo, exec_lo, s17
	s_cbranch_vccz .LBB191_3348
; %bb.3345:
	s_cmp_eq_u32 s13, 44
	s_cbranch_scc0 .LBB191_3347
; %bb.3346:
	global_load_u8 v7, v[12:13], off
	s_mov_b32 s6, 0
	s_mov_b32 s16, -1
	s_wait_loadcnt 0x0
	v_lshlrev_b32_e32 v9, 23, v7
	v_cmp_ne_u32_e32 vcc_lo, 0xff, v7
	s_delay_alu instid0(VALU_DEP_2) | instskip(NEXT) | instid1(VALU_DEP_1)
	v_cvt_f16_f32_e32 v9, v9
	v_cndmask_b32_e32 v9, 0x7e00, v9, vcc_lo
	v_cmp_ne_u32_e32 vcc_lo, 0, v7
	s_wait_xcnt 0x1
	s_delay_alu instid0(VALU_DEP_2)
	v_cndmask_b32_e32 v14, 0, v9, vcc_lo
	s_branch .LBB191_3348
.LBB191_3347:
	s_mov_b32 s6, -1
                                        ; implicit-def: $vgpr14
.LBB191_3348:
	s_mov_b32 s17, 0
.LBB191_3349:
	s_delay_alu instid0(SALU_CYCLE_1)
	s_and_b32 vcc_lo, exec_lo, s17
	s_cbranch_vccz .LBB191_3353
; %bb.3350:
	s_cmp_eq_u32 s13, 29
	s_cbranch_scc0 .LBB191_3352
; %bb.3351:
	global_load_b64 v[14:15], v[12:13], off
	s_mov_b32 s6, 0
	s_mov_b32 s16, -1
	s_mov_b32 s17, 0
	s_wait_loadcnt 0x0
	v_clz_i32_u32_e32 v7, v15
	s_delay_alu instid0(VALU_DEP_1) | instskip(NEXT) | instid1(VALU_DEP_1)
	v_min_u32_e32 v7, 32, v7
	v_lshlrev_b64_e32 v[14:15], v7, v[14:15]
	v_sub_nc_u32_e32 v7, 32, v7
	s_delay_alu instid0(VALU_DEP_2) | instskip(NEXT) | instid1(VALU_DEP_1)
	v_min_u32_e32 v9, 1, v14
	v_or_b32_e32 v9, v15, v9
	s_delay_alu instid0(VALU_DEP_1) | instskip(NEXT) | instid1(VALU_DEP_1)
	v_cvt_f32_u32_e32 v9, v9
	v_ldexp_f32 v7, v9, v7
	s_delay_alu instid0(VALU_DEP_1)
	v_cvt_f16_f32_e32 v14, v7
	s_branch .LBB191_3354
.LBB191_3352:
	s_mov_b32 s6, -1
                                        ; implicit-def: $vgpr14
.LBB191_3353:
	s_mov_b32 s17, 0
.LBB191_3354:
	s_delay_alu instid0(SALU_CYCLE_1)
	s_and_b32 vcc_lo, exec_lo, s17
	s_cbranch_vccz .LBB191_3372
; %bb.3355:
	s_cmp_lt_i32 s13, 27
	s_cbranch_scc1 .LBB191_3358
; %bb.3356:
	s_cmp_gt_i32 s13, 27
	s_cbranch_scc0 .LBB191_3359
; %bb.3357:
	global_load_b32 v7, v[12:13], off
	s_mov_b32 s16, 0
	s_wait_loadcnt 0x0
	v_cvt_f32_u32_e32 v7, v7
	s_wait_xcnt 0x1
	s_delay_alu instid0(VALU_DEP_1)
	v_cvt_f16_f32_e32 v14, v7
	s_branch .LBB191_3360
.LBB191_3358:
	s_mov_b32 s16, -1
                                        ; implicit-def: $vgpr14
	s_branch .LBB191_3363
.LBB191_3359:
	s_mov_b32 s16, -1
                                        ; implicit-def: $vgpr14
.LBB191_3360:
	s_delay_alu instid0(SALU_CYCLE_1)
	s_and_not1_b32 vcc_lo, exec_lo, s16
	s_cbranch_vccnz .LBB191_3362
; %bb.3361:
	global_load_u16 v7, v[12:13], off
	s_wait_loadcnt 0x0
	s_wait_xcnt 0x1
	v_cvt_f16_u16_e32 v14, v7
.LBB191_3362:
	s_mov_b32 s16, 0
.LBB191_3363:
	s_delay_alu instid0(SALU_CYCLE_1)
	s_and_not1_b32 vcc_lo, exec_lo, s16
	s_cbranch_vccnz .LBB191_3371
; %bb.3364:
	global_load_u8 v7, v[12:13], off
	s_mov_b32 s16, 0
	s_mov_b32 s17, exec_lo
	s_wait_loadcnt 0x0
	v_cmpx_lt_i16_e32 0x7f, v7
	s_xor_b32 s17, exec_lo, s17
	s_cbranch_execz .LBB191_3385
; %bb.3365:
	s_mov_b32 s16, -1
	s_mov_b32 s18, exec_lo
	v_cmpx_eq_u16_e32 0x80, v7
; %bb.3366:
	s_xor_b32 s16, exec_lo, -1
; %bb.3367:
	s_or_b32 exec_lo, exec_lo, s18
	s_delay_alu instid0(SALU_CYCLE_1)
	s_and_b32 s16, s16, exec_lo
	s_or_saveexec_b32 s17, s17
	v_mov_b32_e32 v14, 0x7e00
	s_xor_b32 exec_lo, exec_lo, s17
	s_cbranch_execnz .LBB191_3386
.LBB191_3368:
	s_or_b32 exec_lo, exec_lo, s17
	s_and_saveexec_b32 s17, s16
	s_cbranch_execz .LBB191_3370
.LBB191_3369:
	v_and_b32_e32 v9, 0xffff, v7
	s_delay_alu instid0(VALU_DEP_1) | instskip(SKIP_1) | instid1(VALU_DEP_2)
	v_and_b32_e32 v11, 7, v9
	v_bfe_u32 v17, v9, 3, 4
	v_clz_i32_u32_e32 v14, v11
	s_delay_alu instid0(VALU_DEP_2) | instskip(NEXT) | instid1(VALU_DEP_2)
	v_cmp_eq_u32_e32 vcc_lo, 0, v17
	v_min_u32_e32 v14, 32, v14
	s_delay_alu instid0(VALU_DEP_1) | instskip(NEXT) | instid1(VALU_DEP_1)
	v_subrev_nc_u32_e32 v15, 28, v14
	v_dual_lshlrev_b32 v9, v15, v9 :: v_dual_sub_nc_u32 v14, 29, v14
	s_delay_alu instid0(VALU_DEP_1) | instskip(NEXT) | instid1(VALU_DEP_1)
	v_dual_lshlrev_b32 v7, 24, v7 :: v_dual_bitop2_b32 v9, 7, v9 bitop3:0x40
	v_dual_cndmask_b32 v14, v17, v14 :: v_dual_cndmask_b32 v9, v11, v9
	s_delay_alu instid0(VALU_DEP_2) | instskip(NEXT) | instid1(VALU_DEP_2)
	v_and_b32_e32 v7, 0x80000000, v7
	v_lshl_add_u32 v11, v14, 23, 0x3b800000
	s_delay_alu instid0(VALU_DEP_3) | instskip(NEXT) | instid1(VALU_DEP_1)
	v_lshlrev_b32_e32 v9, 20, v9
	v_or3_b32 v7, v7, v11, v9
	s_delay_alu instid0(VALU_DEP_1)
	v_cvt_f16_f32_e32 v14, v7
.LBB191_3370:
	s_or_b32 exec_lo, exec_lo, s17
.LBB191_3371:
	s_mov_b32 s16, -1
.LBB191_3372:
	s_mov_b32 s17, 0
.LBB191_3373:
	s_delay_alu instid0(SALU_CYCLE_1)
	s_and_b32 vcc_lo, exec_lo, s17
	s_cbranch_vccz .LBB191_3406
; %bb.3374:
	s_cmp_gt_i32 s13, 22
	s_cbranch_scc0 .LBB191_3384
; %bb.3375:
	s_cmp_lt_i32 s13, 24
	s_cbranch_scc1 .LBB191_3387
; %bb.3376:
	s_cmp_gt_i32 s13, 24
	s_cbranch_scc0 .LBB191_3388
; %bb.3377:
	global_load_u8 v7, v[12:13], off
	s_mov_b32 s16, exec_lo
	s_wait_loadcnt 0x0
	v_cmpx_lt_i16_e32 0x7f, v7
	s_xor_b32 s16, exec_lo, s16
	s_cbranch_execz .LBB191_3400
; %bb.3378:
	s_mov_b32 s7, -1
	s_mov_b32 s17, exec_lo
	v_cmpx_eq_u16_e32 0x80, v7
; %bb.3379:
	s_xor_b32 s7, exec_lo, -1
; %bb.3380:
	s_or_b32 exec_lo, exec_lo, s17
	s_delay_alu instid0(SALU_CYCLE_1)
	s_and_b32 s7, s7, exec_lo
	s_or_saveexec_b32 s16, s16
	v_mov_b32_e32 v14, 0x7e00
	s_xor_b32 exec_lo, exec_lo, s16
	s_cbranch_execnz .LBB191_3401
.LBB191_3381:
	s_or_b32 exec_lo, exec_lo, s16
	s_and_saveexec_b32 s16, s7
	s_cbranch_execz .LBB191_3383
.LBB191_3382:
	v_and_b32_e32 v9, 0xffff, v7
	s_delay_alu instid0(VALU_DEP_1) | instskip(SKIP_1) | instid1(VALU_DEP_2)
	v_and_b32_e32 v11, 3, v9
	v_bfe_u32 v17, v9, 2, 5
	v_clz_i32_u32_e32 v14, v11
	s_delay_alu instid0(VALU_DEP_2) | instskip(NEXT) | instid1(VALU_DEP_2)
	v_cmp_eq_u32_e32 vcc_lo, 0, v17
	v_min_u32_e32 v14, 32, v14
	s_delay_alu instid0(VALU_DEP_1) | instskip(NEXT) | instid1(VALU_DEP_1)
	v_subrev_nc_u32_e32 v15, 29, v14
	v_dual_lshlrev_b32 v9, v15, v9 :: v_dual_sub_nc_u32 v14, 30, v14
	s_delay_alu instid0(VALU_DEP_1) | instskip(NEXT) | instid1(VALU_DEP_1)
	v_dual_lshlrev_b32 v7, 24, v7 :: v_dual_bitop2_b32 v9, 3, v9 bitop3:0x40
	v_dual_cndmask_b32 v14, v17, v14 :: v_dual_cndmask_b32 v9, v11, v9
	s_delay_alu instid0(VALU_DEP_2) | instskip(NEXT) | instid1(VALU_DEP_2)
	v_and_b32_e32 v7, 0x80000000, v7
	v_lshl_add_u32 v11, v14, 23, 0x37800000
	s_delay_alu instid0(VALU_DEP_3) | instskip(NEXT) | instid1(VALU_DEP_1)
	v_lshlrev_b32_e32 v9, 21, v9
	v_or3_b32 v7, v7, v11, v9
	s_delay_alu instid0(VALU_DEP_1)
	v_cvt_f16_f32_e32 v14, v7
.LBB191_3383:
	s_or_b32 exec_lo, exec_lo, s16
	s_mov_b32 s7, 0
	s_branch .LBB191_3389
.LBB191_3384:
	s_mov_b32 s7, -1
                                        ; implicit-def: $vgpr14
	s_branch .LBB191_3395
.LBB191_3385:
	s_or_saveexec_b32 s17, s17
	v_mov_b32_e32 v14, 0x7e00
	s_xor_b32 exec_lo, exec_lo, s17
	s_cbranch_execz .LBB191_3368
.LBB191_3386:
	v_cmp_ne_u16_e32 vcc_lo, 0, v7
	v_mov_b32_e32 v14, v7
	s_and_not1_b32 s16, s16, exec_lo
	s_and_b32 s18, vcc_lo, exec_lo
	s_delay_alu instid0(SALU_CYCLE_1)
	s_or_b32 s16, s16, s18
	s_or_b32 exec_lo, exec_lo, s17
	s_and_saveexec_b32 s17, s16
	s_cbranch_execnz .LBB191_3369
	s_branch .LBB191_3370
.LBB191_3387:
	s_mov_b32 s7, -1
                                        ; implicit-def: $vgpr14
	s_branch .LBB191_3392
.LBB191_3388:
	s_mov_b32 s7, -1
                                        ; implicit-def: $vgpr14
.LBB191_3389:
	s_delay_alu instid0(SALU_CYCLE_1)
	s_and_b32 vcc_lo, exec_lo, s7
	s_cbranch_vccz .LBB191_3391
; %bb.3390:
	global_load_u8 v7, v[12:13], off
	s_wait_loadcnt 0x0
	v_lshlrev_b32_e32 v7, 24, v7
	s_delay_alu instid0(VALU_DEP_1) | instskip(NEXT) | instid1(VALU_DEP_1)
	v_and_b32_e32 v9, 0x7f000000, v7
	v_clz_i32_u32_e32 v11, v9
	s_wait_xcnt 0x1
	v_add_nc_u32_e32 v15, 0x1000000, v9
	v_cmp_ne_u32_e32 vcc_lo, 0, v9
	s_delay_alu instid0(VALU_DEP_3) | instskip(NEXT) | instid1(VALU_DEP_1)
	v_min_u32_e32 v11, 32, v11
	v_sub_nc_u32_e64 v11, v11, 4 clamp
	s_delay_alu instid0(VALU_DEP_1) | instskip(NEXT) | instid1(VALU_DEP_1)
	v_dual_lshlrev_b32 v14, v11, v9 :: v_dual_lshlrev_b32 v11, 23, v11
	v_lshrrev_b32_e32 v14, 4, v14
	s_delay_alu instid0(VALU_DEP_1) | instskip(SKIP_1) | instid1(VALU_DEP_2)
	v_sub_nc_u32_e32 v11, v14, v11
	v_ashrrev_i32_e32 v14, 8, v15
	v_add_nc_u32_e32 v11, 0x3c000000, v11
	s_delay_alu instid0(VALU_DEP_1) | instskip(NEXT) | instid1(VALU_DEP_1)
	v_and_or_b32 v11, 0x7f800000, v14, v11
	v_cndmask_b32_e32 v9, 0, v11, vcc_lo
	s_delay_alu instid0(VALU_DEP_1) | instskip(NEXT) | instid1(VALU_DEP_1)
	v_and_or_b32 v7, 0x80000000, v7, v9
	v_cvt_f16_f32_e32 v14, v7
.LBB191_3391:
	s_mov_b32 s7, 0
.LBB191_3392:
	s_delay_alu instid0(SALU_CYCLE_1)
	s_and_not1_b32 vcc_lo, exec_lo, s7
	s_cbranch_vccnz .LBB191_3394
; %bb.3393:
	global_load_u8 v7, v[12:13], off
	s_wait_loadcnt 0x0
	v_lshlrev_b32_e32 v9, 25, v7
	v_lshlrev_b16 v7, 8, v7
	s_wait_xcnt 0x1
	s_delay_alu instid0(VALU_DEP_1) | instskip(SKIP_1) | instid1(VALU_DEP_2)
	v_and_or_b32 v14, 0x7f00, v7, 0.5
	v_bfe_i32 v7, v7, 0, 16
	v_dual_add_f32 v14, -0.5, v14 :: v_dual_lshrrev_b32 v11, 4, v9
	v_cmp_gt_u32_e32 vcc_lo, 0x8000000, v9
	s_delay_alu instid0(VALU_DEP_2) | instskip(NEXT) | instid1(VALU_DEP_1)
	v_or_b32_e32 v11, 0x70000000, v11
	v_mul_f32_e32 v11, 0x7800000, v11
	s_delay_alu instid0(VALU_DEP_1) | instskip(NEXT) | instid1(VALU_DEP_1)
	v_cndmask_b32_e32 v9, v11, v14, vcc_lo
	v_and_or_b32 v7, 0x80000000, v7, v9
	s_delay_alu instid0(VALU_DEP_1)
	v_cvt_f16_f32_e32 v14, v7
.LBB191_3394:
	s_mov_b32 s7, 0
	s_mov_b32 s16, -1
.LBB191_3395:
	s_and_not1_b32 vcc_lo, exec_lo, s7
	s_mov_b32 s7, 0
	s_cbranch_vccnz .LBB191_3406
; %bb.3396:
	s_cmp_gt_i32 s13, 14
	s_cbranch_scc0 .LBB191_3399
; %bb.3397:
	s_cmp_eq_u32 s13, 15
	s_cbranch_scc0 .LBB191_3402
; %bb.3398:
	global_load_u16 v7, v[12:13], off
	s_mov_b32 s6, 0
	s_mov_b32 s16, -1
	s_wait_loadcnt 0x0
	v_lshlrev_b32_e32 v7, 16, v7
	s_wait_xcnt 0x1
	s_delay_alu instid0(VALU_DEP_1)
	v_cvt_f16_f32_e32 v14, v7
	s_branch .LBB191_3404
.LBB191_3399:
	s_mov_b32 s7, -1
	s_branch .LBB191_3403
.LBB191_3400:
	s_or_saveexec_b32 s16, s16
	v_mov_b32_e32 v14, 0x7e00
	s_xor_b32 exec_lo, exec_lo, s16
	s_cbranch_execz .LBB191_3381
.LBB191_3401:
	v_cmp_ne_u16_e32 vcc_lo, 0, v7
	v_mov_b32_e32 v14, v7
	s_and_not1_b32 s7, s7, exec_lo
	s_and_b32 s17, vcc_lo, exec_lo
	s_delay_alu instid0(SALU_CYCLE_1)
	s_or_b32 s7, s7, s17
	s_or_b32 exec_lo, exec_lo, s16
	s_and_saveexec_b32 s16, s7
	s_cbranch_execnz .LBB191_3382
	s_branch .LBB191_3383
.LBB191_3402:
	s_mov_b32 s6, -1
.LBB191_3403:
                                        ; implicit-def: $vgpr14
.LBB191_3404:
	s_and_b32 vcc_lo, exec_lo, s7
	s_mov_b32 s7, 0
	s_cbranch_vccz .LBB191_3406
; %bb.3405:
	s_cmp_lg_u32 s13, 11
	s_mov_b32 s7, -1
	s_cselect_b32 s6, -1, 0
.LBB191_3406:
	s_delay_alu instid0(SALU_CYCLE_1)
	s_and_b32 vcc_lo, exec_lo, s6
	s_cbranch_vccnz .LBB191_3471
; %bb.3407:
	s_and_not1_b32 vcc_lo, exec_lo, s7
	s_cbranch_vccnz .LBB191_3409
.LBB191_3408:
	global_load_u8 v7, v[12:13], off
	s_mov_b32 s16, -1
	s_wait_loadcnt 0x0
	v_cmp_ne_u16_e32 vcc_lo, 0, v7
	s_wait_xcnt 0x1
	v_cndmask_b32_e64 v14, 0, 0x3c00, vcc_lo
.LBB191_3409:
	s_mov_b32 s6, 0
.LBB191_3410:
	s_delay_alu instid0(SALU_CYCLE_1)
	s_and_b32 vcc_lo, exec_lo, s6
	s_cbranch_vccz .LBB191_3459
; %bb.3411:
	s_cmp_lt_i32 s13, 5
	s_cbranch_scc1 .LBB191_3416
; %bb.3412:
	s_cmp_lt_i32 s13, 8
	s_cbranch_scc1 .LBB191_3417
	;; [unrolled: 3-line block ×3, first 2 shown]
; %bb.3414:
	s_cmp_gt_i32 s13, 9
	s_cbranch_scc0 .LBB191_3419
; %bb.3415:
	global_load_b64 v[14:15], v[12:13], off
	s_mov_b32 s6, 0
	s_wait_loadcnt 0x0
	v_and_or_b32 v7, 0x1ff, v15, v14
	v_lshrrev_b32_e32 v9, 8, v15
	v_bfe_u32 v11, v15, 20, 11
	s_delay_alu instid0(VALU_DEP_3) | instskip(NEXT) | instid1(VALU_DEP_2)
	v_cmp_ne_u32_e32 vcc_lo, 0, v7
	v_sub_nc_u32_e32 v14, 0x3f1, v11
	v_add_nc_u32_e32 v11, 0xfffffc10, v11
	v_cndmask_b32_e64 v7, 0, 1, vcc_lo
	s_delay_alu instid0(VALU_DEP_1) | instskip(NEXT) | instid1(VALU_DEP_4)
	v_and_or_b32 v7, 0xffe, v9, v7
	v_med3_i32 v9, v14, 0, 13
	s_delay_alu instid0(VALU_DEP_2) | instskip(NEXT) | instid1(VALU_DEP_1)
	v_or_b32_e32 v14, 0x1000, v7
	v_lshrrev_b32_e32 v17, v9, v14
	s_delay_alu instid0(VALU_DEP_1) | instskip(NEXT) | instid1(VALU_DEP_1)
	v_lshlrev_b32_e32 v9, v9, v17
	v_cmp_ne_u32_e32 vcc_lo, v9, v14
	v_lshl_or_b32 v14, v11, 12, v7
	v_cndmask_b32_e64 v9, 0, 1, vcc_lo
	v_cmp_gt_i32_e32 vcc_lo, 1, v11
	s_delay_alu instid0(VALU_DEP_2) | instskip(NEXT) | instid1(VALU_DEP_1)
	v_or_b32_e32 v9, v17, v9
	v_cndmask_b32_e32 v9, v14, v9, vcc_lo
	s_delay_alu instid0(VALU_DEP_1) | instskip(NEXT) | instid1(VALU_DEP_1)
	v_dual_lshrrev_b32 v9, 2, v9 :: v_dual_bitop2_b32 v14, 7, v9 bitop3:0x40
	v_cmp_lt_i32_e32 vcc_lo, 5, v14
	v_cndmask_b32_e64 v17, 0, 1, vcc_lo
	v_cmp_eq_u32_e32 vcc_lo, 3, v14
	v_cndmask_b32_e64 v14, 0, 1, vcc_lo
	v_cmp_ne_u32_e32 vcc_lo, 0, v7
	s_delay_alu instid0(VALU_DEP_2) | instskip(SKIP_1) | instid1(VALU_DEP_2)
	v_or_b32_e32 v14, v14, v17
	v_mov_b32_e32 v17, 0x7e00
	v_add_nc_u32_e32 v9, v9, v14
	s_delay_alu instid0(VALU_DEP_2) | instskip(SKIP_1) | instid1(VALU_DEP_3)
	v_cndmask_b32_e32 v7, 0x7c00, v17, vcc_lo
	v_cmp_gt_i32_e32 vcc_lo, 31, v11
	v_cndmask_b32_e32 v9, 0x7c00, v9, vcc_lo
	v_cmp_eq_u32_e32 vcc_lo, 0x40f, v11
	s_delay_alu instid0(VALU_DEP_2) | instskip(SKIP_1) | instid1(VALU_DEP_1)
	v_cndmask_b32_e32 v7, v9, v7, vcc_lo
	v_lshrrev_b32_e32 v9, 16, v15
	v_and_or_b32 v14, 0x8000, v9, v7
	s_branch .LBB191_3420
.LBB191_3416:
	s_mov_b32 s6, -1
                                        ; implicit-def: $vgpr14
	s_branch .LBB191_3438
.LBB191_3417:
	s_mov_b32 s6, -1
                                        ; implicit-def: $vgpr14
	s_branch .LBB191_3426
.LBB191_3418:
	s_mov_b32 s6, -1
                                        ; implicit-def: $vgpr14
	s_branch .LBB191_3423
.LBB191_3419:
	s_mov_b32 s6, -1
                                        ; implicit-def: $vgpr14
.LBB191_3420:
	s_delay_alu instid0(SALU_CYCLE_1)
	s_and_not1_b32 vcc_lo, exec_lo, s6
	s_cbranch_vccnz .LBB191_3422
; %bb.3421:
	global_load_b32 v7, v[12:13], off
	s_wait_loadcnt 0x0
	s_wait_xcnt 0x1
	v_cvt_f16_f32_e32 v14, v7
.LBB191_3422:
	s_mov_b32 s6, 0
.LBB191_3423:
	s_delay_alu instid0(SALU_CYCLE_1)
	s_and_not1_b32 vcc_lo, exec_lo, s6
	s_cbranch_vccnz .LBB191_3425
; %bb.3424:
	global_load_b32 v14, v[12:13], off
.LBB191_3425:
	s_mov_b32 s6, 0
.LBB191_3426:
	s_delay_alu instid0(SALU_CYCLE_1)
	s_and_not1_b32 vcc_lo, exec_lo, s6
	s_cbranch_vccnz .LBB191_3437
; %bb.3427:
	s_cmp_lt_i32 s13, 6
	s_cbranch_scc1 .LBB191_3430
; %bb.3428:
	s_cmp_gt_i32 s13, 6
	s_cbranch_scc0 .LBB191_3431
; %bb.3429:
	s_wait_loadcnt 0x0
	global_load_b64 v[14:15], v[12:13], off
	s_mov_b32 s6, 0
	s_wait_loadcnt 0x0
	v_and_or_b32 v7, 0x1ff, v15, v14
	v_lshrrev_b32_e32 v9, 8, v15
	v_bfe_u32 v11, v15, 20, 11
	s_delay_alu instid0(VALU_DEP_3) | instskip(NEXT) | instid1(VALU_DEP_2)
	v_cmp_ne_u32_e32 vcc_lo, 0, v7
	v_sub_nc_u32_e32 v14, 0x3f1, v11
	v_add_nc_u32_e32 v11, 0xfffffc10, v11
	v_cndmask_b32_e64 v7, 0, 1, vcc_lo
	s_delay_alu instid0(VALU_DEP_1) | instskip(NEXT) | instid1(VALU_DEP_4)
	v_and_or_b32 v7, 0xffe, v9, v7
	v_med3_i32 v9, v14, 0, 13
	s_delay_alu instid0(VALU_DEP_2) | instskip(NEXT) | instid1(VALU_DEP_1)
	v_or_b32_e32 v14, 0x1000, v7
	v_lshrrev_b32_e32 v17, v9, v14
	s_delay_alu instid0(VALU_DEP_1) | instskip(NEXT) | instid1(VALU_DEP_1)
	v_lshlrev_b32_e32 v9, v9, v17
	v_cmp_ne_u32_e32 vcc_lo, v9, v14
	v_lshl_or_b32 v14, v11, 12, v7
	v_cndmask_b32_e64 v9, 0, 1, vcc_lo
	v_cmp_gt_i32_e32 vcc_lo, 1, v11
	s_delay_alu instid0(VALU_DEP_2) | instskip(NEXT) | instid1(VALU_DEP_1)
	v_or_b32_e32 v9, v17, v9
	v_cndmask_b32_e32 v9, v14, v9, vcc_lo
	s_delay_alu instid0(VALU_DEP_1) | instskip(NEXT) | instid1(VALU_DEP_1)
	v_dual_lshrrev_b32 v9, 2, v9 :: v_dual_bitop2_b32 v14, 7, v9 bitop3:0x40
	v_cmp_lt_i32_e32 vcc_lo, 5, v14
	v_cndmask_b32_e64 v17, 0, 1, vcc_lo
	v_cmp_eq_u32_e32 vcc_lo, 3, v14
	v_cndmask_b32_e64 v14, 0, 1, vcc_lo
	v_cmp_ne_u32_e32 vcc_lo, 0, v7
	s_delay_alu instid0(VALU_DEP_2) | instskip(SKIP_1) | instid1(VALU_DEP_2)
	v_or_b32_e32 v14, v14, v17
	v_mov_b32_e32 v17, 0x7e00
	v_add_nc_u32_e32 v9, v9, v14
	s_delay_alu instid0(VALU_DEP_2) | instskip(SKIP_1) | instid1(VALU_DEP_3)
	v_cndmask_b32_e32 v7, 0x7c00, v17, vcc_lo
	v_cmp_gt_i32_e32 vcc_lo, 31, v11
	v_cndmask_b32_e32 v9, 0x7c00, v9, vcc_lo
	v_cmp_eq_u32_e32 vcc_lo, 0x40f, v11
	s_delay_alu instid0(VALU_DEP_2) | instskip(SKIP_1) | instid1(VALU_DEP_1)
	v_cndmask_b32_e32 v7, v9, v7, vcc_lo
	v_lshrrev_b32_e32 v9, 16, v15
	v_and_or_b32 v14, 0x8000, v9, v7
	s_branch .LBB191_3432
.LBB191_3430:
	s_mov_b32 s6, -1
                                        ; implicit-def: $vgpr14
	s_branch .LBB191_3435
.LBB191_3431:
	s_mov_b32 s6, -1
                                        ; implicit-def: $vgpr14
.LBB191_3432:
	s_delay_alu instid0(SALU_CYCLE_1)
	s_and_not1_b32 vcc_lo, exec_lo, s6
	s_cbranch_vccnz .LBB191_3434
; %bb.3433:
	global_load_b32 v7, v[12:13], off
	s_wait_loadcnt 0x0
	s_wait_xcnt 0x1
	v_cvt_f16_f32_e32 v14, v7
.LBB191_3434:
	s_mov_b32 s6, 0
.LBB191_3435:
	s_delay_alu instid0(SALU_CYCLE_1)
	s_and_not1_b32 vcc_lo, exec_lo, s6
	s_cbranch_vccnz .LBB191_3437
; %bb.3436:
	s_wait_loadcnt 0x0
	global_load_u16 v14, v[12:13], off
.LBB191_3437:
	s_mov_b32 s6, 0
.LBB191_3438:
	s_delay_alu instid0(SALU_CYCLE_1)
	s_and_not1_b32 vcc_lo, exec_lo, s6
	s_cbranch_vccnz .LBB191_3458
; %bb.3439:
	s_cmp_lt_i32 s13, 2
	s_cbranch_scc1 .LBB191_3443
; %bb.3440:
	s_cmp_lt_i32 s13, 3
	s_cbranch_scc1 .LBB191_3444
; %bb.3441:
	s_cmp_gt_i32 s13, 3
	s_cbranch_scc0 .LBB191_3445
; %bb.3442:
	s_wait_loadcnt 0x0
	global_load_b64 v[14:15], v[12:13], off
	s_mov_b32 s6, 0
	s_wait_loadcnt 0x0
	v_xor_b32_e32 v7, v14, v15
	v_cls_i32_e32 v9, v15
	s_delay_alu instid0(VALU_DEP_2) | instskip(NEXT) | instid1(VALU_DEP_1)
	v_ashrrev_i32_e32 v7, 31, v7
	v_add_nc_u32_e32 v7, 32, v7
	s_delay_alu instid0(VALU_DEP_1) | instskip(NEXT) | instid1(VALU_DEP_1)
	v_add_min_u32_e64 v7, v9, -1, v7
	v_lshlrev_b64_e32 v[14:15], v7, v[14:15]
	v_sub_nc_u32_e32 v7, 32, v7
	s_delay_alu instid0(VALU_DEP_2) | instskip(NEXT) | instid1(VALU_DEP_1)
	v_min_u32_e32 v9, 1, v14
	v_or_b32_e32 v9, v15, v9
	s_delay_alu instid0(VALU_DEP_1) | instskip(NEXT) | instid1(VALU_DEP_1)
	v_cvt_f32_i32_e32 v9, v9
	v_ldexp_f32 v7, v9, v7
	s_delay_alu instid0(VALU_DEP_1)
	v_cvt_f16_f32_e32 v14, v7
	s_branch .LBB191_3446
.LBB191_3443:
	s_mov_b32 s6, -1
                                        ; implicit-def: $vgpr14
	s_branch .LBB191_3452
.LBB191_3444:
	s_mov_b32 s6, -1
                                        ; implicit-def: $vgpr14
	s_branch .LBB191_3449
.LBB191_3445:
	s_mov_b32 s6, -1
                                        ; implicit-def: $vgpr14
.LBB191_3446:
	s_delay_alu instid0(SALU_CYCLE_1)
	s_and_not1_b32 vcc_lo, exec_lo, s6
	s_cbranch_vccnz .LBB191_3448
; %bb.3447:
	global_load_b32 v7, v[12:13], off
	s_wait_loadcnt 0x0
	v_cvt_f32_i32_e32 v7, v7
	s_wait_xcnt 0x1
	s_delay_alu instid0(VALU_DEP_1)
	v_cvt_f16_f32_e32 v14, v7
.LBB191_3448:
	s_mov_b32 s6, 0
.LBB191_3449:
	s_delay_alu instid0(SALU_CYCLE_1)
	s_and_not1_b32 vcc_lo, exec_lo, s6
	s_cbranch_vccnz .LBB191_3451
; %bb.3450:
	global_load_u16 v7, v[12:13], off
	s_wait_loadcnt 0x0
	s_wait_xcnt 0x1
	v_cvt_f16_i16_e32 v14, v7
.LBB191_3451:
	s_mov_b32 s6, 0
.LBB191_3452:
	s_delay_alu instid0(SALU_CYCLE_1)
	s_and_not1_b32 vcc_lo, exec_lo, s6
	s_cbranch_vccnz .LBB191_3458
; %bb.3453:
	s_cmp_gt_i32 s13, 0
	s_mov_b32 s6, 0
	s_cbranch_scc0 .LBB191_3455
; %bb.3454:
	global_load_i8 v7, v[12:13], off
	s_wait_loadcnt 0x0
	s_wait_xcnt 0x1
	v_cvt_f16_i16_e32 v14, v7
	s_branch .LBB191_3456
.LBB191_3455:
	s_mov_b32 s6, -1
                                        ; implicit-def: $vgpr14
.LBB191_3456:
	s_delay_alu instid0(SALU_CYCLE_1)
	s_and_not1_b32 vcc_lo, exec_lo, s6
	s_cbranch_vccnz .LBB191_3458
; %bb.3457:
	global_load_u8 v7, v[12:13], off
	s_wait_loadcnt 0x0
	s_wait_xcnt 0x1
	v_cvt_f16_u16_e32 v14, v7
.LBB191_3458:
	s_mov_b32 s16, -1
.LBB191_3459:
	s_delay_alu instid0(SALU_CYCLE_1)
	s_and_not1_b32 vcc_lo, exec_lo, s16
	s_cbranch_vccnz .LBB191_4155
; %bb.3460:
	v_mov_b32_e32 v11, 0
	s_cmp_lt_i32 s14, 11
	s_delay_alu instid0(VALU_DEP_1)
	v_add_nc_u64_e32 v[10:11], s[0:1], v[10:11]
	s_cbranch_scc1 .LBB191_3467
; %bb.3461:
	s_cmp_gt_i32 s14, 25
	s_mov_b32 s1, 0
	s_cbranch_scc0 .LBB191_3468
; %bb.3462:
	s_cmp_gt_i32 s14, 28
	s_cbranch_scc0 .LBB191_3469
; %bb.3463:
	s_cmp_gt_i32 s14, 43
	;; [unrolled: 3-line block ×3, first 2 shown]
	s_cbranch_scc0 .LBB191_3472
; %bb.3465:
	s_cmp_eq_u32 s14, 46
	s_mov_b32 s7, 0
	s_cbranch_scc0 .LBB191_3473
; %bb.3466:
	global_load_b32 v7, v[10:11], off
	s_mov_b32 s0, 0
	s_mov_b32 s6, -1
	s_wait_loadcnt 0x0
	v_lshlrev_b32_e32 v7, 16, v7
	s_wait_xcnt 0x1
	s_delay_alu instid0(VALU_DEP_1)
	v_cvt_f16_f32_e32 v12, v7
	s_branch .LBB191_3475
.LBB191_3467:
	s_mov_b32 s0, -1
	s_mov_b32 s6, 0
                                        ; implicit-def: $vgpr12
	s_branch .LBB191_3541
.LBB191_3468:
	s_mov_b32 s7, -1
	s_mov_b32 s6, 0
	s_mov_b32 s0, 0
                                        ; implicit-def: $vgpr12
	s_branch .LBB191_3504
.LBB191_3469:
	s_mov_b32 s7, -1
	s_mov_b32 s6, 0
	s_mov_b32 s0, 0
                                        ; implicit-def: $vgpr12
	s_branch .LBB191_3485
.LBB191_3470:
	s_mov_b32 s7, -1
	s_mov_b32 s6, 0
	s_mov_b32 s0, 0
                                        ; implicit-def: $vgpr12
	s_branch .LBB191_3480
.LBB191_3471:
	s_or_b32 s12, s12, exec_lo
	s_trap 2
	s_cbranch_execz .LBB191_3408
	s_branch .LBB191_3409
.LBB191_3472:
	s_mov_b32 s7, -1
	s_mov_b32 s6, 0
	s_mov_b32 s0, 0
	s_branch .LBB191_3474
.LBB191_3473:
	s_mov_b32 s0, -1
	s_mov_b32 s6, 0
.LBB191_3474:
                                        ; implicit-def: $vgpr12
.LBB191_3475:
	s_and_b32 vcc_lo, exec_lo, s7
	s_cbranch_vccz .LBB191_3479
; %bb.3476:
	s_cmp_eq_u32 s14, 44
	s_cbranch_scc0 .LBB191_3478
; %bb.3477:
	global_load_u8 v7, v[10:11], off
	s_mov_b32 s0, 0
	s_mov_b32 s6, -1
	s_wait_loadcnt 0x0
	v_lshlrev_b32_e32 v9, 23, v7
	v_cmp_ne_u32_e32 vcc_lo, 0xff, v7
	s_delay_alu instid0(VALU_DEP_2) | instskip(NEXT) | instid1(VALU_DEP_1)
	v_cvt_f16_f32_e32 v9, v9
	v_cndmask_b32_e32 v9, 0x7e00, v9, vcc_lo
	v_cmp_ne_u32_e32 vcc_lo, 0, v7
	s_wait_xcnt 0x1
	s_delay_alu instid0(VALU_DEP_2)
	v_cndmask_b32_e32 v12, 0, v9, vcc_lo
	s_branch .LBB191_3479
.LBB191_3478:
	s_mov_b32 s0, -1
                                        ; implicit-def: $vgpr12
.LBB191_3479:
	s_mov_b32 s7, 0
.LBB191_3480:
	s_delay_alu instid0(SALU_CYCLE_1)
	s_and_b32 vcc_lo, exec_lo, s7
	s_cbranch_vccz .LBB191_3484
; %bb.3481:
	s_cmp_eq_u32 s14, 29
	s_cbranch_scc0 .LBB191_3483
; %bb.3482:
	global_load_b64 v[12:13], v[10:11], off
	s_mov_b32 s0, 0
	s_mov_b32 s6, -1
	s_mov_b32 s7, 0
	s_wait_loadcnt 0x0
	v_clz_i32_u32_e32 v7, v13
	s_delay_alu instid0(VALU_DEP_1) | instskip(NEXT) | instid1(VALU_DEP_1)
	v_min_u32_e32 v7, 32, v7
	v_lshlrev_b64_e32 v[12:13], v7, v[12:13]
	v_sub_nc_u32_e32 v7, 32, v7
	s_delay_alu instid0(VALU_DEP_2) | instskip(NEXT) | instid1(VALU_DEP_1)
	v_min_u32_e32 v9, 1, v12
	v_or_b32_e32 v9, v13, v9
	s_delay_alu instid0(VALU_DEP_1) | instskip(NEXT) | instid1(VALU_DEP_1)
	v_cvt_f32_u32_e32 v9, v9
	v_ldexp_f32 v7, v9, v7
	s_delay_alu instid0(VALU_DEP_1)
	v_cvt_f16_f32_e32 v12, v7
	s_branch .LBB191_3485
.LBB191_3483:
	s_mov_b32 s0, -1
                                        ; implicit-def: $vgpr12
.LBB191_3484:
	s_mov_b32 s7, 0
.LBB191_3485:
	s_delay_alu instid0(SALU_CYCLE_1)
	s_and_b32 vcc_lo, exec_lo, s7
	s_cbranch_vccz .LBB191_3503
; %bb.3486:
	s_cmp_lt_i32 s14, 27
	s_cbranch_scc1 .LBB191_3489
; %bb.3487:
	s_cmp_gt_i32 s14, 27
	s_cbranch_scc0 .LBB191_3490
; %bb.3488:
	global_load_b32 v7, v[10:11], off
	s_mov_b32 s6, 0
	s_wait_loadcnt 0x0
	v_cvt_f32_u32_e32 v7, v7
	s_wait_xcnt 0x1
	s_delay_alu instid0(VALU_DEP_1)
	v_cvt_f16_f32_e32 v12, v7
	s_branch .LBB191_3491
.LBB191_3489:
	s_mov_b32 s6, -1
                                        ; implicit-def: $vgpr12
	s_branch .LBB191_3494
.LBB191_3490:
	s_mov_b32 s6, -1
                                        ; implicit-def: $vgpr12
.LBB191_3491:
	s_delay_alu instid0(SALU_CYCLE_1)
	s_and_not1_b32 vcc_lo, exec_lo, s6
	s_cbranch_vccnz .LBB191_3493
; %bb.3492:
	global_load_u16 v7, v[10:11], off
	s_wait_loadcnt 0x0
	s_wait_xcnt 0x1
	v_cvt_f16_u16_e32 v12, v7
.LBB191_3493:
	s_mov_b32 s6, 0
.LBB191_3494:
	s_delay_alu instid0(SALU_CYCLE_1)
	s_and_not1_b32 vcc_lo, exec_lo, s6
	s_cbranch_vccnz .LBB191_3502
; %bb.3495:
	global_load_u8 v7, v[10:11], off
	s_mov_b32 s6, 0
	s_mov_b32 s7, exec_lo
	s_wait_loadcnt 0x0
	v_cmpx_lt_i16_e32 0x7f, v7
	s_xor_b32 s7, exec_lo, s7
	s_cbranch_execz .LBB191_3516
; %bb.3496:
	s_mov_b32 s6, -1
	s_mov_b32 s13, exec_lo
	v_cmpx_eq_u16_e32 0x80, v7
; %bb.3497:
	s_xor_b32 s6, exec_lo, -1
; %bb.3498:
	s_or_b32 exec_lo, exec_lo, s13
	s_delay_alu instid0(SALU_CYCLE_1)
	s_and_b32 s6, s6, exec_lo
	s_or_saveexec_b32 s7, s7
	v_mov_b32_e32 v12, 0x7e00
	s_xor_b32 exec_lo, exec_lo, s7
	s_cbranch_execnz .LBB191_3517
.LBB191_3499:
	s_or_b32 exec_lo, exec_lo, s7
	s_and_saveexec_b32 s7, s6
	s_cbranch_execz .LBB191_3501
.LBB191_3500:
	v_and_b32_e32 v9, 0xffff, v7
	s_delay_alu instid0(VALU_DEP_1) | instskip(SKIP_1) | instid1(VALU_DEP_2)
	v_dual_lshlrev_b32 v7, 24, v7 :: v_dual_bitop2_b32 v12, 7, v9 bitop3:0x40
	v_bfe_u32 v17, v9, 3, 4
	v_and_b32_e32 v7, 0x80000000, v7
	s_delay_alu instid0(VALU_DEP_3) | instskip(NEXT) | instid1(VALU_DEP_3)
	v_clz_i32_u32_e32 v13, v12
	v_cmp_eq_u32_e32 vcc_lo, 0, v17
	s_delay_alu instid0(VALU_DEP_2) | instskip(NEXT) | instid1(VALU_DEP_1)
	v_min_u32_e32 v13, 32, v13
	v_subrev_nc_u32_e32 v15, 28, v13
	v_sub_nc_u32_e32 v13, 29, v13
	s_delay_alu instid0(VALU_DEP_2) | instskip(NEXT) | instid1(VALU_DEP_2)
	v_lshlrev_b32_e32 v9, v15, v9
	v_cndmask_b32_e32 v13, v17, v13, vcc_lo
	s_delay_alu instid0(VALU_DEP_2) | instskip(NEXT) | instid1(VALU_DEP_1)
	v_and_b32_e32 v9, 7, v9
	v_cndmask_b32_e32 v9, v12, v9, vcc_lo
	s_delay_alu instid0(VALU_DEP_3) | instskip(NEXT) | instid1(VALU_DEP_2)
	v_lshl_add_u32 v12, v13, 23, 0x3b800000
	v_lshlrev_b32_e32 v9, 20, v9
	s_delay_alu instid0(VALU_DEP_1) | instskip(NEXT) | instid1(VALU_DEP_1)
	v_or3_b32 v7, v7, v12, v9
	v_cvt_f16_f32_e32 v12, v7
.LBB191_3501:
	s_or_b32 exec_lo, exec_lo, s7
.LBB191_3502:
	s_mov_b32 s6, -1
.LBB191_3503:
	s_mov_b32 s7, 0
.LBB191_3504:
	s_delay_alu instid0(SALU_CYCLE_1)
	s_and_b32 vcc_lo, exec_lo, s7
	s_cbranch_vccz .LBB191_3537
; %bb.3505:
	s_cmp_gt_i32 s14, 22
	s_cbranch_scc0 .LBB191_3515
; %bb.3506:
	s_cmp_lt_i32 s14, 24
	s_cbranch_scc1 .LBB191_3518
; %bb.3507:
	s_cmp_gt_i32 s14, 24
	s_cbranch_scc0 .LBB191_3519
; %bb.3508:
	global_load_u8 v7, v[10:11], off
	s_mov_b32 s6, exec_lo
	s_wait_loadcnt 0x0
	v_cmpx_lt_i16_e32 0x7f, v7
	s_xor_b32 s6, exec_lo, s6
	s_cbranch_execz .LBB191_3531
; %bb.3509:
	s_mov_b32 s1, -1
	s_mov_b32 s7, exec_lo
	v_cmpx_eq_u16_e32 0x80, v7
; %bb.3510:
	s_xor_b32 s1, exec_lo, -1
; %bb.3511:
	s_or_b32 exec_lo, exec_lo, s7
	s_delay_alu instid0(SALU_CYCLE_1)
	s_and_b32 s1, s1, exec_lo
	s_or_saveexec_b32 s6, s6
	v_mov_b32_e32 v12, 0x7e00
	s_xor_b32 exec_lo, exec_lo, s6
	s_cbranch_execnz .LBB191_3532
.LBB191_3512:
	s_or_b32 exec_lo, exec_lo, s6
	s_and_saveexec_b32 s6, s1
	s_cbranch_execz .LBB191_3514
.LBB191_3513:
	v_and_b32_e32 v9, 0xffff, v7
	s_delay_alu instid0(VALU_DEP_1) | instskip(SKIP_1) | instid1(VALU_DEP_2)
	v_dual_lshlrev_b32 v7, 24, v7 :: v_dual_bitop2_b32 v12, 3, v9 bitop3:0x40
	v_bfe_u32 v17, v9, 2, 5
	v_and_b32_e32 v7, 0x80000000, v7
	s_delay_alu instid0(VALU_DEP_3) | instskip(NEXT) | instid1(VALU_DEP_3)
	v_clz_i32_u32_e32 v13, v12
	v_cmp_eq_u32_e32 vcc_lo, 0, v17
	s_delay_alu instid0(VALU_DEP_2) | instskip(NEXT) | instid1(VALU_DEP_1)
	v_min_u32_e32 v13, 32, v13
	v_subrev_nc_u32_e32 v15, 29, v13
	v_sub_nc_u32_e32 v13, 30, v13
	s_delay_alu instid0(VALU_DEP_2) | instskip(NEXT) | instid1(VALU_DEP_2)
	v_lshlrev_b32_e32 v9, v15, v9
	v_cndmask_b32_e32 v13, v17, v13, vcc_lo
	s_delay_alu instid0(VALU_DEP_2) | instskip(NEXT) | instid1(VALU_DEP_1)
	v_and_b32_e32 v9, 3, v9
	v_cndmask_b32_e32 v9, v12, v9, vcc_lo
	s_delay_alu instid0(VALU_DEP_3) | instskip(NEXT) | instid1(VALU_DEP_2)
	v_lshl_add_u32 v12, v13, 23, 0x37800000
	v_lshlrev_b32_e32 v9, 21, v9
	s_delay_alu instid0(VALU_DEP_1) | instskip(NEXT) | instid1(VALU_DEP_1)
	v_or3_b32 v7, v7, v12, v9
	v_cvt_f16_f32_e32 v12, v7
.LBB191_3514:
	s_or_b32 exec_lo, exec_lo, s6
	s_mov_b32 s1, 0
	s_branch .LBB191_3520
.LBB191_3515:
	s_mov_b32 s1, -1
                                        ; implicit-def: $vgpr12
	s_branch .LBB191_3526
.LBB191_3516:
	s_or_saveexec_b32 s7, s7
	v_mov_b32_e32 v12, 0x7e00
	s_xor_b32 exec_lo, exec_lo, s7
	s_cbranch_execz .LBB191_3499
.LBB191_3517:
	v_cmp_ne_u16_e32 vcc_lo, 0, v7
	v_mov_b32_e32 v12, v7
	s_and_not1_b32 s6, s6, exec_lo
	s_and_b32 s13, vcc_lo, exec_lo
	s_delay_alu instid0(SALU_CYCLE_1)
	s_or_b32 s6, s6, s13
	s_or_b32 exec_lo, exec_lo, s7
	s_and_saveexec_b32 s7, s6
	s_cbranch_execnz .LBB191_3500
	s_branch .LBB191_3501
.LBB191_3518:
	s_mov_b32 s1, -1
                                        ; implicit-def: $vgpr12
	s_branch .LBB191_3523
.LBB191_3519:
	s_mov_b32 s1, -1
                                        ; implicit-def: $vgpr12
.LBB191_3520:
	s_delay_alu instid0(SALU_CYCLE_1)
	s_and_b32 vcc_lo, exec_lo, s1
	s_cbranch_vccz .LBB191_3522
; %bb.3521:
	global_load_u8 v7, v[10:11], off
	s_wait_loadcnt 0x0
	v_lshlrev_b32_e32 v7, 24, v7
	s_delay_alu instid0(VALU_DEP_1) | instskip(SKIP_1) | instid1(VALU_DEP_1)
	v_and_b32_e32 v9, 0x7f000000, v7
	s_wait_xcnt 0x1
	v_clz_i32_u32_e32 v12, v9
	v_add_nc_u32_e32 v15, 0x1000000, v9
	v_cmp_ne_u32_e32 vcc_lo, 0, v9
	s_delay_alu instid0(VALU_DEP_3) | instskip(NEXT) | instid1(VALU_DEP_1)
	v_min_u32_e32 v12, 32, v12
	v_sub_nc_u32_e64 v12, v12, 4 clamp
	s_delay_alu instid0(VALU_DEP_1) | instskip(NEXT) | instid1(VALU_DEP_1)
	v_dual_lshlrev_b32 v13, v12, v9 :: v_dual_lshlrev_b32 v12, 23, v12
	v_lshrrev_b32_e32 v13, 4, v13
	s_delay_alu instid0(VALU_DEP_1) | instskip(NEXT) | instid1(VALU_DEP_1)
	v_dual_sub_nc_u32 v12, v13, v12 :: v_dual_ashrrev_i32 v13, 8, v15
	v_add_nc_u32_e32 v12, 0x3c000000, v12
	s_delay_alu instid0(VALU_DEP_1) | instskip(NEXT) | instid1(VALU_DEP_1)
	v_and_or_b32 v12, 0x7f800000, v13, v12
	v_cndmask_b32_e32 v9, 0, v12, vcc_lo
	s_delay_alu instid0(VALU_DEP_1) | instskip(NEXT) | instid1(VALU_DEP_1)
	v_and_or_b32 v7, 0x80000000, v7, v9
	v_cvt_f16_f32_e32 v12, v7
.LBB191_3522:
	s_mov_b32 s1, 0
.LBB191_3523:
	s_delay_alu instid0(SALU_CYCLE_1)
	s_and_not1_b32 vcc_lo, exec_lo, s1
	s_cbranch_vccnz .LBB191_3525
; %bb.3524:
	global_load_u8 v7, v[10:11], off
	s_wait_loadcnt 0x0
	v_lshlrev_b32_e32 v9, 25, v7
	v_lshlrev_b16 v7, 8, v7
	s_wait_xcnt 0x1
	s_delay_alu instid0(VALU_DEP_1) | instskip(SKIP_1) | instid1(VALU_DEP_2)
	v_and_or_b32 v13, 0x7f00, v7, 0.5
	v_bfe_i32 v7, v7, 0, 16
	v_add_f32_e32 v13, -0.5, v13
	v_lshrrev_b32_e32 v12, 4, v9
	v_cmp_gt_u32_e32 vcc_lo, 0x8000000, v9
	s_delay_alu instid0(VALU_DEP_2) | instskip(NEXT) | instid1(VALU_DEP_1)
	v_or_b32_e32 v12, 0x70000000, v12
	v_mul_f32_e32 v12, 0x7800000, v12
	s_delay_alu instid0(VALU_DEP_1) | instskip(NEXT) | instid1(VALU_DEP_1)
	v_cndmask_b32_e32 v9, v12, v13, vcc_lo
	v_and_or_b32 v7, 0x80000000, v7, v9
	s_delay_alu instid0(VALU_DEP_1)
	v_cvt_f16_f32_e32 v12, v7
.LBB191_3525:
	s_mov_b32 s1, 0
	s_mov_b32 s6, -1
.LBB191_3526:
	s_and_not1_b32 vcc_lo, exec_lo, s1
	s_mov_b32 s1, 0
	s_cbranch_vccnz .LBB191_3537
; %bb.3527:
	s_cmp_gt_i32 s14, 14
	s_cbranch_scc0 .LBB191_3530
; %bb.3528:
	s_cmp_eq_u32 s14, 15
	s_cbranch_scc0 .LBB191_3533
; %bb.3529:
	global_load_u16 v7, v[10:11], off
	s_mov_b32 s0, 0
	s_mov_b32 s6, -1
	s_wait_loadcnt 0x0
	v_lshlrev_b32_e32 v7, 16, v7
	s_wait_xcnt 0x1
	s_delay_alu instid0(VALU_DEP_1)
	v_cvt_f16_f32_e32 v12, v7
	s_branch .LBB191_3535
.LBB191_3530:
	s_mov_b32 s1, -1
	s_branch .LBB191_3534
.LBB191_3531:
	s_or_saveexec_b32 s6, s6
	v_mov_b32_e32 v12, 0x7e00
	s_xor_b32 exec_lo, exec_lo, s6
	s_cbranch_execz .LBB191_3512
.LBB191_3532:
	v_cmp_ne_u16_e32 vcc_lo, 0, v7
	v_mov_b32_e32 v12, v7
	s_and_not1_b32 s1, s1, exec_lo
	s_and_b32 s7, vcc_lo, exec_lo
	s_delay_alu instid0(SALU_CYCLE_1)
	s_or_b32 s1, s1, s7
	s_or_b32 exec_lo, exec_lo, s6
	s_and_saveexec_b32 s6, s1
	s_cbranch_execnz .LBB191_3513
	s_branch .LBB191_3514
.LBB191_3533:
	s_mov_b32 s0, -1
.LBB191_3534:
                                        ; implicit-def: $vgpr12
.LBB191_3535:
	s_and_b32 vcc_lo, exec_lo, s1
	s_mov_b32 s1, 0
	s_cbranch_vccz .LBB191_3537
; %bb.3536:
	s_cmp_lg_u32 s14, 11
	s_mov_b32 s1, -1
	s_cselect_b32 s0, -1, 0
.LBB191_3537:
	s_delay_alu instid0(SALU_CYCLE_1)
	s_and_b32 vcc_lo, exec_lo, s0
	s_cbranch_vccnz .LBB191_3602
; %bb.3538:
	s_and_not1_b32 vcc_lo, exec_lo, s1
	s_cbranch_vccnz .LBB191_3540
.LBB191_3539:
	global_load_u8 v7, v[10:11], off
	s_mov_b32 s6, -1
	s_wait_loadcnt 0x0
	v_cmp_ne_u16_e32 vcc_lo, 0, v7
	s_wait_xcnt 0x1
	v_cndmask_b32_e64 v12, 0, 0x3c00, vcc_lo
.LBB191_3540:
	s_mov_b32 s0, 0
.LBB191_3541:
	s_delay_alu instid0(SALU_CYCLE_1)
	s_and_b32 vcc_lo, exec_lo, s0
	s_cbranch_vccz .LBB191_3590
; %bb.3542:
	s_cmp_lt_i32 s14, 5
	s_cbranch_scc1 .LBB191_3547
; %bb.3543:
	s_cmp_lt_i32 s14, 8
	s_cbranch_scc1 .LBB191_3548
	;; [unrolled: 3-line block ×3, first 2 shown]
; %bb.3545:
	s_cmp_gt_i32 s14, 9
	s_cbranch_scc0 .LBB191_3550
; %bb.3546:
	global_load_b64 v[12:13], v[10:11], off
	s_mov_b32 s0, 0
	s_wait_loadcnt 0x0
	v_and_or_b32 v7, 0x1ff, v13, v12
	v_lshrrev_b32_e32 v9, 8, v13
	v_bfe_u32 v12, v13, 20, 11
	s_delay_alu instid0(VALU_DEP_3) | instskip(NEXT) | instid1(VALU_DEP_2)
	v_cmp_ne_u32_e32 vcc_lo, 0, v7
	v_sub_nc_u32_e32 v15, 0x3f1, v12
	v_add_nc_u32_e32 v12, 0xfffffc10, v12
	v_cndmask_b32_e64 v7, 0, 1, vcc_lo
	s_delay_alu instid0(VALU_DEP_1) | instskip(NEXT) | instid1(VALU_DEP_4)
	v_and_or_b32 v7, 0xffe, v9, v7
	v_med3_i32 v9, v15, 0, 13
	s_delay_alu instid0(VALU_DEP_2) | instskip(NEXT) | instid1(VALU_DEP_1)
	v_or_b32_e32 v15, 0x1000, v7
	v_lshrrev_b32_e32 v17, v9, v15
	s_delay_alu instid0(VALU_DEP_1) | instskip(NEXT) | instid1(VALU_DEP_1)
	v_lshlrev_b32_e32 v9, v9, v17
	v_cmp_ne_u32_e32 vcc_lo, v9, v15
	v_lshl_or_b32 v15, v12, 12, v7
	v_cndmask_b32_e64 v9, 0, 1, vcc_lo
	v_cmp_gt_i32_e32 vcc_lo, 1, v12
	s_delay_alu instid0(VALU_DEP_2) | instskip(NEXT) | instid1(VALU_DEP_1)
	v_or_b32_e32 v9, v17, v9
	v_cndmask_b32_e32 v9, v15, v9, vcc_lo
	s_delay_alu instid0(VALU_DEP_1) | instskip(NEXT) | instid1(VALU_DEP_1)
	v_dual_lshrrev_b32 v9, 2, v9 :: v_dual_bitop2_b32 v15, 7, v9 bitop3:0x40
	v_cmp_lt_i32_e32 vcc_lo, 5, v15
	v_cndmask_b32_e64 v17, 0, 1, vcc_lo
	v_cmp_eq_u32_e32 vcc_lo, 3, v15
	v_cndmask_b32_e64 v15, 0, 1, vcc_lo
	v_cmp_ne_u32_e32 vcc_lo, 0, v7
	s_delay_alu instid0(VALU_DEP_2) | instskip(SKIP_1) | instid1(VALU_DEP_2)
	v_or_b32_e32 v15, v15, v17
	v_mov_b32_e32 v17, 0x7e00
	v_add_nc_u32_e32 v9, v9, v15
	s_delay_alu instid0(VALU_DEP_2) | instskip(SKIP_1) | instid1(VALU_DEP_3)
	v_cndmask_b32_e32 v7, 0x7c00, v17, vcc_lo
	v_cmp_gt_i32_e32 vcc_lo, 31, v12
	v_cndmask_b32_e32 v9, 0x7c00, v9, vcc_lo
	v_cmp_eq_u32_e32 vcc_lo, 0x40f, v12
	s_delay_alu instid0(VALU_DEP_2) | instskip(NEXT) | instid1(VALU_DEP_1)
	v_dual_cndmask_b32 v7, v9, v7, vcc_lo :: v_dual_lshrrev_b32 v9, 16, v13
	v_and_or_b32 v12, 0x8000, v9, v7
	s_branch .LBB191_3551
.LBB191_3547:
	s_mov_b32 s0, -1
                                        ; implicit-def: $vgpr12
	s_branch .LBB191_3569
.LBB191_3548:
	s_mov_b32 s0, -1
                                        ; implicit-def: $vgpr12
	s_branch .LBB191_3557
.LBB191_3549:
	s_mov_b32 s0, -1
                                        ; implicit-def: $vgpr12
	s_branch .LBB191_3554
.LBB191_3550:
	s_mov_b32 s0, -1
                                        ; implicit-def: $vgpr12
.LBB191_3551:
	s_delay_alu instid0(SALU_CYCLE_1)
	s_and_not1_b32 vcc_lo, exec_lo, s0
	s_cbranch_vccnz .LBB191_3553
; %bb.3552:
	global_load_b32 v7, v[10:11], off
	s_wait_loadcnt 0x0
	s_wait_xcnt 0x1
	v_cvt_f16_f32_e32 v12, v7
.LBB191_3553:
	s_mov_b32 s0, 0
.LBB191_3554:
	s_delay_alu instid0(SALU_CYCLE_1)
	s_and_not1_b32 vcc_lo, exec_lo, s0
	s_cbranch_vccnz .LBB191_3556
; %bb.3555:
	global_load_b32 v12, v[10:11], off
.LBB191_3556:
	s_mov_b32 s0, 0
.LBB191_3557:
	s_delay_alu instid0(SALU_CYCLE_1)
	s_and_not1_b32 vcc_lo, exec_lo, s0
	s_cbranch_vccnz .LBB191_3568
; %bb.3558:
	s_cmp_lt_i32 s14, 6
	s_cbranch_scc1 .LBB191_3561
; %bb.3559:
	s_cmp_gt_i32 s14, 6
	s_cbranch_scc0 .LBB191_3562
; %bb.3560:
	s_wait_loadcnt 0x0
	global_load_b64 v[12:13], v[10:11], off
	s_mov_b32 s0, 0
	s_wait_loadcnt 0x0
	v_and_or_b32 v7, 0x1ff, v13, v12
	v_lshrrev_b32_e32 v9, 8, v13
	v_bfe_u32 v12, v13, 20, 11
	s_delay_alu instid0(VALU_DEP_3) | instskip(NEXT) | instid1(VALU_DEP_2)
	v_cmp_ne_u32_e32 vcc_lo, 0, v7
	v_sub_nc_u32_e32 v15, 0x3f1, v12
	v_add_nc_u32_e32 v12, 0xfffffc10, v12
	v_cndmask_b32_e64 v7, 0, 1, vcc_lo
	s_delay_alu instid0(VALU_DEP_1) | instskip(NEXT) | instid1(VALU_DEP_4)
	v_and_or_b32 v7, 0xffe, v9, v7
	v_med3_i32 v9, v15, 0, 13
	s_delay_alu instid0(VALU_DEP_2) | instskip(NEXT) | instid1(VALU_DEP_1)
	v_or_b32_e32 v15, 0x1000, v7
	v_lshrrev_b32_e32 v17, v9, v15
	s_delay_alu instid0(VALU_DEP_1) | instskip(NEXT) | instid1(VALU_DEP_1)
	v_lshlrev_b32_e32 v9, v9, v17
	v_cmp_ne_u32_e32 vcc_lo, v9, v15
	v_lshl_or_b32 v15, v12, 12, v7
	v_cndmask_b32_e64 v9, 0, 1, vcc_lo
	v_cmp_gt_i32_e32 vcc_lo, 1, v12
	s_delay_alu instid0(VALU_DEP_2) | instskip(NEXT) | instid1(VALU_DEP_1)
	v_or_b32_e32 v9, v17, v9
	v_cndmask_b32_e32 v9, v15, v9, vcc_lo
	s_delay_alu instid0(VALU_DEP_1) | instskip(NEXT) | instid1(VALU_DEP_1)
	v_dual_lshrrev_b32 v9, 2, v9 :: v_dual_bitop2_b32 v15, 7, v9 bitop3:0x40
	v_cmp_lt_i32_e32 vcc_lo, 5, v15
	v_cndmask_b32_e64 v17, 0, 1, vcc_lo
	v_cmp_eq_u32_e32 vcc_lo, 3, v15
	v_cndmask_b32_e64 v15, 0, 1, vcc_lo
	v_cmp_ne_u32_e32 vcc_lo, 0, v7
	s_delay_alu instid0(VALU_DEP_2) | instskip(SKIP_1) | instid1(VALU_DEP_2)
	v_or_b32_e32 v15, v15, v17
	v_mov_b32_e32 v17, 0x7e00
	v_add_nc_u32_e32 v9, v9, v15
	s_delay_alu instid0(VALU_DEP_2) | instskip(SKIP_1) | instid1(VALU_DEP_3)
	v_cndmask_b32_e32 v7, 0x7c00, v17, vcc_lo
	v_cmp_gt_i32_e32 vcc_lo, 31, v12
	v_cndmask_b32_e32 v9, 0x7c00, v9, vcc_lo
	v_cmp_eq_u32_e32 vcc_lo, 0x40f, v12
	s_delay_alu instid0(VALU_DEP_2) | instskip(NEXT) | instid1(VALU_DEP_1)
	v_dual_cndmask_b32 v7, v9, v7, vcc_lo :: v_dual_lshrrev_b32 v9, 16, v13
	v_and_or_b32 v12, 0x8000, v9, v7
	s_branch .LBB191_3563
.LBB191_3561:
	s_mov_b32 s0, -1
                                        ; implicit-def: $vgpr12
	s_branch .LBB191_3566
.LBB191_3562:
	s_mov_b32 s0, -1
                                        ; implicit-def: $vgpr12
.LBB191_3563:
	s_delay_alu instid0(SALU_CYCLE_1)
	s_and_not1_b32 vcc_lo, exec_lo, s0
	s_cbranch_vccnz .LBB191_3565
; %bb.3564:
	global_load_b32 v7, v[10:11], off
	s_wait_loadcnt 0x0
	s_wait_xcnt 0x1
	v_cvt_f16_f32_e32 v12, v7
.LBB191_3565:
	s_mov_b32 s0, 0
.LBB191_3566:
	s_delay_alu instid0(SALU_CYCLE_1)
	s_and_not1_b32 vcc_lo, exec_lo, s0
	s_cbranch_vccnz .LBB191_3568
; %bb.3567:
	s_wait_loadcnt 0x0
	global_load_u16 v12, v[10:11], off
.LBB191_3568:
	s_mov_b32 s0, 0
.LBB191_3569:
	s_delay_alu instid0(SALU_CYCLE_1)
	s_and_not1_b32 vcc_lo, exec_lo, s0
	s_cbranch_vccnz .LBB191_3589
; %bb.3570:
	s_cmp_lt_i32 s14, 2
	s_cbranch_scc1 .LBB191_3574
; %bb.3571:
	s_cmp_lt_i32 s14, 3
	s_cbranch_scc1 .LBB191_3575
; %bb.3572:
	s_cmp_gt_i32 s14, 3
	s_cbranch_scc0 .LBB191_3576
; %bb.3573:
	s_wait_loadcnt 0x0
	global_load_b64 v[12:13], v[10:11], off
	s_mov_b32 s0, 0
	s_wait_loadcnt 0x0
	v_xor_b32_e32 v7, v12, v13
	v_cls_i32_e32 v9, v13
	s_delay_alu instid0(VALU_DEP_2) | instskip(NEXT) | instid1(VALU_DEP_1)
	v_ashrrev_i32_e32 v7, 31, v7
	v_add_nc_u32_e32 v7, 32, v7
	s_delay_alu instid0(VALU_DEP_1) | instskip(NEXT) | instid1(VALU_DEP_1)
	v_add_min_u32_e64 v7, v9, -1, v7
	v_lshlrev_b64_e32 v[12:13], v7, v[12:13]
	v_sub_nc_u32_e32 v7, 32, v7
	s_delay_alu instid0(VALU_DEP_2) | instskip(NEXT) | instid1(VALU_DEP_1)
	v_min_u32_e32 v9, 1, v12
	v_or_b32_e32 v9, v13, v9
	s_delay_alu instid0(VALU_DEP_1) | instskip(NEXT) | instid1(VALU_DEP_1)
	v_cvt_f32_i32_e32 v9, v9
	v_ldexp_f32 v7, v9, v7
	s_delay_alu instid0(VALU_DEP_1)
	v_cvt_f16_f32_e32 v12, v7
	s_branch .LBB191_3577
.LBB191_3574:
	s_mov_b32 s0, -1
                                        ; implicit-def: $vgpr12
	s_branch .LBB191_3583
.LBB191_3575:
	s_mov_b32 s0, -1
                                        ; implicit-def: $vgpr12
	s_branch .LBB191_3580
.LBB191_3576:
	s_mov_b32 s0, -1
                                        ; implicit-def: $vgpr12
.LBB191_3577:
	s_delay_alu instid0(SALU_CYCLE_1)
	s_and_not1_b32 vcc_lo, exec_lo, s0
	s_cbranch_vccnz .LBB191_3579
; %bb.3578:
	global_load_b32 v7, v[10:11], off
	s_wait_loadcnt 0x0
	v_cvt_f32_i32_e32 v7, v7
	s_wait_xcnt 0x1
	s_delay_alu instid0(VALU_DEP_1)
	v_cvt_f16_f32_e32 v12, v7
.LBB191_3579:
	s_mov_b32 s0, 0
.LBB191_3580:
	s_delay_alu instid0(SALU_CYCLE_1)
	s_and_not1_b32 vcc_lo, exec_lo, s0
	s_cbranch_vccnz .LBB191_3582
; %bb.3581:
	global_load_u16 v7, v[10:11], off
	s_wait_loadcnt 0x0
	s_wait_xcnt 0x1
	v_cvt_f16_i16_e32 v12, v7
.LBB191_3582:
	s_mov_b32 s0, 0
.LBB191_3583:
	s_delay_alu instid0(SALU_CYCLE_1)
	s_and_not1_b32 vcc_lo, exec_lo, s0
	s_cbranch_vccnz .LBB191_3589
; %bb.3584:
	s_cmp_gt_i32 s14, 0
	s_mov_b32 s0, 0
	s_cbranch_scc0 .LBB191_3586
; %bb.3585:
	global_load_i8 v7, v[10:11], off
	s_wait_loadcnt 0x0
	s_wait_xcnt 0x1
	v_cvt_f16_i16_e32 v12, v7
	s_branch .LBB191_3587
.LBB191_3586:
	s_mov_b32 s0, -1
                                        ; implicit-def: $vgpr12
.LBB191_3587:
	s_delay_alu instid0(SALU_CYCLE_1)
	s_and_not1_b32 vcc_lo, exec_lo, s0
	s_cbranch_vccnz .LBB191_3589
; %bb.3588:
	global_load_u8 v7, v[10:11], off
	s_wait_loadcnt 0x0
	s_wait_xcnt 0x1
	v_cvt_f16_u16_e32 v12, v7
.LBB191_3589:
	s_mov_b32 s6, -1
.LBB191_3590:
	s_delay_alu instid0(SALU_CYCLE_1)
	s_and_not1_b32 vcc_lo, exec_lo, s6
	s_cbranch_vccnz .LBB191_4155
; %bb.3591:
	v_mov_b32_e32 v9, 0
	s_cmp_lt_i32 s15, 11
	s_delay_alu instid0(VALU_DEP_1)
	v_add_nc_u64_e32 v[8:9], s[8:9], v[8:9]
	s_cbranch_scc1 .LBB191_3598
; %bb.3592:
	s_cmp_gt_i32 s15, 25
	s_mov_b32 s1, 0
	s_cbranch_scc0 .LBB191_3599
; %bb.3593:
	s_cmp_gt_i32 s15, 28
	s_cbranch_scc0 .LBB191_3600
; %bb.3594:
	s_cmp_gt_i32 s15, 43
	;; [unrolled: 3-line block ×3, first 2 shown]
	s_cbranch_scc0 .LBB191_3603
; %bb.3596:
	s_cmp_eq_u32 s15, 46
	s_mov_b32 s7, 0
	s_cbranch_scc0 .LBB191_3604
; %bb.3597:
	global_load_b32 v7, v[8:9], off
	s_mov_b32 s0, 0
	s_mov_b32 s6, -1
	s_wait_loadcnt 0x0
	v_lshlrev_b32_e32 v7, 16, v7
	s_wait_xcnt 0x1
	s_delay_alu instid0(VALU_DEP_1)
	v_cvt_f16_f32_e32 v10, v7
	s_branch .LBB191_3606
.LBB191_3598:
	s_mov_b32 s0, -1
	s_mov_b32 s6, 0
                                        ; implicit-def: $vgpr10
	s_branch .LBB191_3672
.LBB191_3599:
	s_mov_b32 s7, -1
	s_mov_b32 s6, 0
	s_mov_b32 s0, 0
                                        ; implicit-def: $vgpr10
	s_branch .LBB191_3635
.LBB191_3600:
	s_mov_b32 s7, -1
	s_mov_b32 s6, 0
	s_mov_b32 s0, 0
                                        ; implicit-def: $vgpr10
	s_branch .LBB191_3616
.LBB191_3601:
	s_mov_b32 s7, -1
	s_mov_b32 s6, 0
	s_mov_b32 s0, 0
                                        ; implicit-def: $vgpr10
	s_branch .LBB191_3611
.LBB191_3602:
	s_or_b32 s12, s12, exec_lo
	s_trap 2
	s_cbranch_execz .LBB191_3539
	s_branch .LBB191_3540
.LBB191_3603:
	s_mov_b32 s7, -1
	s_mov_b32 s6, 0
	s_mov_b32 s0, 0
	s_branch .LBB191_3605
.LBB191_3604:
	s_mov_b32 s0, -1
	s_mov_b32 s6, 0
.LBB191_3605:
                                        ; implicit-def: $vgpr10
.LBB191_3606:
	s_and_b32 vcc_lo, exec_lo, s7
	s_cbranch_vccz .LBB191_3610
; %bb.3607:
	s_cmp_eq_u32 s15, 44
	s_cbranch_scc0 .LBB191_3609
; %bb.3608:
	global_load_u8 v7, v[8:9], off
	s_mov_b32 s0, 0
	s_mov_b32 s6, -1
	s_wait_loadcnt 0x0
	s_wait_xcnt 0x1
	v_lshlrev_b32_e32 v10, 23, v7
	v_cmp_ne_u32_e32 vcc_lo, 0xff, v7
	s_delay_alu instid0(VALU_DEP_2) | instskip(NEXT) | instid1(VALU_DEP_1)
	v_cvt_f16_f32_e32 v10, v10
	v_cndmask_b32_e32 v10, 0x7e00, v10, vcc_lo
	v_cmp_ne_u32_e32 vcc_lo, 0, v7
	s_delay_alu instid0(VALU_DEP_2)
	v_cndmask_b32_e32 v10, 0, v10, vcc_lo
	s_branch .LBB191_3610
.LBB191_3609:
	s_mov_b32 s0, -1
                                        ; implicit-def: $vgpr10
.LBB191_3610:
	s_mov_b32 s7, 0
.LBB191_3611:
	s_delay_alu instid0(SALU_CYCLE_1)
	s_and_b32 vcc_lo, exec_lo, s7
	s_cbranch_vccz .LBB191_3615
; %bb.3612:
	s_cmp_eq_u32 s15, 29
	s_cbranch_scc0 .LBB191_3614
; %bb.3613:
	global_load_b64 v[10:11], v[8:9], off
	s_mov_b32 s0, 0
	s_mov_b32 s6, -1
	s_mov_b32 s7, 0
	s_wait_loadcnt 0x0
	v_clz_i32_u32_e32 v7, v11
	s_delay_alu instid0(VALU_DEP_1) | instskip(NEXT) | instid1(VALU_DEP_1)
	v_min_u32_e32 v7, 32, v7
	v_lshlrev_b64_e32 v[10:11], v7, v[10:11]
	v_sub_nc_u32_e32 v7, 32, v7
	s_delay_alu instid0(VALU_DEP_2) | instskip(NEXT) | instid1(VALU_DEP_1)
	v_min_u32_e32 v10, 1, v10
	v_or_b32_e32 v10, v11, v10
	s_delay_alu instid0(VALU_DEP_1) | instskip(NEXT) | instid1(VALU_DEP_1)
	v_cvt_f32_u32_e32 v10, v10
	v_ldexp_f32 v7, v10, v7
	s_delay_alu instid0(VALU_DEP_1)
	v_cvt_f16_f32_e32 v10, v7
	s_branch .LBB191_3616
.LBB191_3614:
	s_mov_b32 s0, -1
                                        ; implicit-def: $vgpr10
.LBB191_3615:
	s_mov_b32 s7, 0
.LBB191_3616:
	s_delay_alu instid0(SALU_CYCLE_1)
	s_and_b32 vcc_lo, exec_lo, s7
	s_cbranch_vccz .LBB191_3634
; %bb.3617:
	s_cmp_lt_i32 s15, 27
	s_cbranch_scc1 .LBB191_3620
; %bb.3618:
	s_cmp_gt_i32 s15, 27
	s_cbranch_scc0 .LBB191_3621
; %bb.3619:
	global_load_b32 v7, v[8:9], off
	s_mov_b32 s6, 0
	s_wait_loadcnt 0x0
	v_cvt_f32_u32_e32 v7, v7
	s_wait_xcnt 0x1
	s_delay_alu instid0(VALU_DEP_1)
	v_cvt_f16_f32_e32 v10, v7
	s_branch .LBB191_3622
.LBB191_3620:
	s_mov_b32 s6, -1
                                        ; implicit-def: $vgpr10
	s_branch .LBB191_3625
.LBB191_3621:
	s_mov_b32 s6, -1
                                        ; implicit-def: $vgpr10
.LBB191_3622:
	s_delay_alu instid0(SALU_CYCLE_1)
	s_and_not1_b32 vcc_lo, exec_lo, s6
	s_cbranch_vccnz .LBB191_3624
; %bb.3623:
	global_load_u16 v7, v[8:9], off
	s_wait_loadcnt 0x0
	s_wait_xcnt 0x1
	v_cvt_f16_u16_e32 v10, v7
.LBB191_3624:
	s_mov_b32 s6, 0
.LBB191_3625:
	s_delay_alu instid0(SALU_CYCLE_1)
	s_and_not1_b32 vcc_lo, exec_lo, s6
	s_cbranch_vccnz .LBB191_3633
; %bb.3626:
	global_load_u8 v7, v[8:9], off
	s_mov_b32 s6, 0
	s_mov_b32 s7, exec_lo
	s_wait_loadcnt 0x0
	v_cmpx_lt_i16_e32 0x7f, v7
	s_xor_b32 s7, exec_lo, s7
	s_cbranch_execz .LBB191_3647
; %bb.3627:
	s_mov_b32 s6, -1
	s_mov_b32 s8, exec_lo
	v_cmpx_eq_u16_e32 0x80, v7
; %bb.3628:
	s_xor_b32 s6, exec_lo, -1
; %bb.3629:
	s_or_b32 exec_lo, exec_lo, s8
	s_delay_alu instid0(SALU_CYCLE_1)
	s_and_b32 s6, s6, exec_lo
	s_or_saveexec_b32 s7, s7
	v_mov_b32_e32 v10, 0x7e00
	s_xor_b32 exec_lo, exec_lo, s7
	s_cbranch_execnz .LBB191_3648
.LBB191_3630:
	s_or_b32 exec_lo, exec_lo, s7
	s_and_saveexec_b32 s7, s6
	s_cbranch_execz .LBB191_3632
.LBB191_3631:
	v_and_b32_e32 v10, 0xffff, v7
	s_delay_alu instid0(VALU_DEP_1) | instskip(SKIP_1) | instid1(VALU_DEP_2)
	v_and_b32_e32 v11, 7, v10
	v_bfe_u32 v17, v10, 3, 4
	v_clz_i32_u32_e32 v13, v11
	s_delay_alu instid0(VALU_DEP_2) | instskip(NEXT) | instid1(VALU_DEP_2)
	v_cmp_eq_u32_e32 vcc_lo, 0, v17
	v_min_u32_e32 v13, 32, v13
	s_delay_alu instid0(VALU_DEP_1) | instskip(NEXT) | instid1(VALU_DEP_1)
	v_subrev_nc_u32_e32 v15, 28, v13
	v_dual_lshlrev_b32 v10, v15, v10 :: v_dual_sub_nc_u32 v13, 29, v13
	s_delay_alu instid0(VALU_DEP_1) | instskip(NEXT) | instid1(VALU_DEP_1)
	v_dual_lshlrev_b32 v7, 24, v7 :: v_dual_bitop2_b32 v10, 7, v10 bitop3:0x40
	v_dual_cndmask_b32 v13, v17, v13 :: v_dual_cndmask_b32 v10, v11, v10
	s_delay_alu instid0(VALU_DEP_2) | instskip(NEXT) | instid1(VALU_DEP_2)
	v_and_b32_e32 v7, 0x80000000, v7
	v_lshl_add_u32 v11, v13, 23, 0x3b800000
	s_delay_alu instid0(VALU_DEP_3) | instskip(NEXT) | instid1(VALU_DEP_1)
	v_lshlrev_b32_e32 v10, 20, v10
	v_or3_b32 v7, v7, v11, v10
	s_delay_alu instid0(VALU_DEP_1)
	v_cvt_f16_f32_e32 v10, v7
.LBB191_3632:
	s_or_b32 exec_lo, exec_lo, s7
.LBB191_3633:
	s_mov_b32 s6, -1
.LBB191_3634:
	s_mov_b32 s7, 0
.LBB191_3635:
	s_delay_alu instid0(SALU_CYCLE_1)
	s_and_b32 vcc_lo, exec_lo, s7
	s_cbranch_vccz .LBB191_3668
; %bb.3636:
	s_cmp_gt_i32 s15, 22
	s_cbranch_scc0 .LBB191_3646
; %bb.3637:
	s_cmp_lt_i32 s15, 24
	s_cbranch_scc1 .LBB191_3649
; %bb.3638:
	s_cmp_gt_i32 s15, 24
	s_cbranch_scc0 .LBB191_3650
; %bb.3639:
	global_load_u8 v7, v[8:9], off
	s_mov_b32 s6, exec_lo
	s_wait_loadcnt 0x0
	v_cmpx_lt_i16_e32 0x7f, v7
	s_xor_b32 s6, exec_lo, s6
	s_cbranch_execz .LBB191_3662
; %bb.3640:
	s_mov_b32 s1, -1
	s_mov_b32 s7, exec_lo
	v_cmpx_eq_u16_e32 0x80, v7
; %bb.3641:
	s_xor_b32 s1, exec_lo, -1
; %bb.3642:
	s_or_b32 exec_lo, exec_lo, s7
	s_delay_alu instid0(SALU_CYCLE_1)
	s_and_b32 s1, s1, exec_lo
	s_or_saveexec_b32 s6, s6
	v_mov_b32_e32 v10, 0x7e00
	s_xor_b32 exec_lo, exec_lo, s6
	s_cbranch_execnz .LBB191_3663
.LBB191_3643:
	s_or_b32 exec_lo, exec_lo, s6
	s_and_saveexec_b32 s6, s1
	s_cbranch_execz .LBB191_3645
.LBB191_3644:
	v_and_b32_e32 v10, 0xffff, v7
	s_delay_alu instid0(VALU_DEP_1) | instskip(SKIP_1) | instid1(VALU_DEP_2)
	v_and_b32_e32 v11, 3, v10
	v_bfe_u32 v17, v10, 2, 5
	v_clz_i32_u32_e32 v13, v11
	s_delay_alu instid0(VALU_DEP_2) | instskip(NEXT) | instid1(VALU_DEP_2)
	v_cmp_eq_u32_e32 vcc_lo, 0, v17
	v_min_u32_e32 v13, 32, v13
	s_delay_alu instid0(VALU_DEP_1) | instskip(NEXT) | instid1(VALU_DEP_1)
	v_subrev_nc_u32_e32 v15, 29, v13
	v_dual_lshlrev_b32 v10, v15, v10 :: v_dual_sub_nc_u32 v13, 30, v13
	s_delay_alu instid0(VALU_DEP_1) | instskip(NEXT) | instid1(VALU_DEP_1)
	v_dual_lshlrev_b32 v7, 24, v7 :: v_dual_bitop2_b32 v10, 3, v10 bitop3:0x40
	v_dual_cndmask_b32 v13, v17, v13 :: v_dual_cndmask_b32 v10, v11, v10
	s_delay_alu instid0(VALU_DEP_2) | instskip(NEXT) | instid1(VALU_DEP_2)
	v_and_b32_e32 v7, 0x80000000, v7
	v_lshl_add_u32 v11, v13, 23, 0x37800000
	s_delay_alu instid0(VALU_DEP_3) | instskip(NEXT) | instid1(VALU_DEP_1)
	v_lshlrev_b32_e32 v10, 21, v10
	v_or3_b32 v7, v7, v11, v10
	s_delay_alu instid0(VALU_DEP_1)
	v_cvt_f16_f32_e32 v10, v7
.LBB191_3645:
	s_or_b32 exec_lo, exec_lo, s6
	s_mov_b32 s1, 0
	s_branch .LBB191_3651
.LBB191_3646:
	s_mov_b32 s1, -1
                                        ; implicit-def: $vgpr10
	s_branch .LBB191_3657
.LBB191_3647:
	s_or_saveexec_b32 s7, s7
	v_mov_b32_e32 v10, 0x7e00
	s_xor_b32 exec_lo, exec_lo, s7
	s_cbranch_execz .LBB191_3630
.LBB191_3648:
	v_cmp_ne_u16_e32 vcc_lo, 0, v7
	v_mov_b32_e32 v10, v7
	s_and_not1_b32 s6, s6, exec_lo
	s_and_b32 s8, vcc_lo, exec_lo
	s_delay_alu instid0(SALU_CYCLE_1)
	s_or_b32 s6, s6, s8
	s_or_b32 exec_lo, exec_lo, s7
	s_and_saveexec_b32 s7, s6
	s_cbranch_execnz .LBB191_3631
	s_branch .LBB191_3632
.LBB191_3649:
	s_mov_b32 s1, -1
                                        ; implicit-def: $vgpr10
	s_branch .LBB191_3654
.LBB191_3650:
	s_mov_b32 s1, -1
                                        ; implicit-def: $vgpr10
.LBB191_3651:
	s_delay_alu instid0(SALU_CYCLE_1)
	s_and_b32 vcc_lo, exec_lo, s1
	s_cbranch_vccz .LBB191_3653
; %bb.3652:
	global_load_u8 v7, v[8:9], off
	s_wait_loadcnt 0x0
	v_lshlrev_b32_e32 v7, 24, v7
	s_wait_xcnt 0x1
	s_delay_alu instid0(VALU_DEP_1) | instskip(NEXT) | instid1(VALU_DEP_1)
	v_and_b32_e32 v10, 0x7f000000, v7
	v_clz_i32_u32_e32 v11, v10
	v_cmp_ne_u32_e32 vcc_lo, 0, v10
	v_add_nc_u32_e32 v15, 0x1000000, v10
	s_delay_alu instid0(VALU_DEP_3) | instskip(NEXT) | instid1(VALU_DEP_1)
	v_min_u32_e32 v11, 32, v11
	v_sub_nc_u32_e64 v11, v11, 4 clamp
	s_delay_alu instid0(VALU_DEP_1) | instskip(NEXT) | instid1(VALU_DEP_1)
	v_dual_lshlrev_b32 v13, v11, v10 :: v_dual_lshlrev_b32 v11, 23, v11
	v_lshrrev_b32_e32 v13, 4, v13
	s_delay_alu instid0(VALU_DEP_1) | instskip(SKIP_1) | instid1(VALU_DEP_2)
	v_sub_nc_u32_e32 v11, v13, v11
	v_ashrrev_i32_e32 v13, 8, v15
	v_add_nc_u32_e32 v11, 0x3c000000, v11
	s_delay_alu instid0(VALU_DEP_1) | instskip(NEXT) | instid1(VALU_DEP_1)
	v_and_or_b32 v11, 0x7f800000, v13, v11
	v_cndmask_b32_e32 v10, 0, v11, vcc_lo
	s_delay_alu instid0(VALU_DEP_1) | instskip(NEXT) | instid1(VALU_DEP_1)
	v_and_or_b32 v7, 0x80000000, v7, v10
	v_cvt_f16_f32_e32 v10, v7
.LBB191_3653:
	s_mov_b32 s1, 0
.LBB191_3654:
	s_delay_alu instid0(SALU_CYCLE_1)
	s_and_not1_b32 vcc_lo, exec_lo, s1
	s_cbranch_vccnz .LBB191_3656
; %bb.3655:
	global_load_u8 v7, v[8:9], off
	s_wait_loadcnt 0x0
	s_wait_xcnt 0x1
	v_lshlrev_b32_e32 v10, 25, v7
	v_lshlrev_b16 v7, 8, v7
	s_delay_alu instid0(VALU_DEP_1) | instskip(SKIP_1) | instid1(VALU_DEP_2)
	v_and_or_b32 v13, 0x7f00, v7, 0.5
	v_bfe_i32 v7, v7, 0, 16
	v_dual_add_f32 v13, -0.5, v13 :: v_dual_lshrrev_b32 v11, 4, v10
	v_cmp_gt_u32_e32 vcc_lo, 0x8000000, v10
	s_delay_alu instid0(VALU_DEP_2) | instskip(NEXT) | instid1(VALU_DEP_1)
	v_or_b32_e32 v11, 0x70000000, v11
	v_mul_f32_e32 v11, 0x7800000, v11
	s_delay_alu instid0(VALU_DEP_1) | instskip(NEXT) | instid1(VALU_DEP_1)
	v_cndmask_b32_e32 v10, v11, v13, vcc_lo
	v_and_or_b32 v7, 0x80000000, v7, v10
	s_delay_alu instid0(VALU_DEP_1)
	v_cvt_f16_f32_e32 v10, v7
.LBB191_3656:
	s_mov_b32 s1, 0
	s_mov_b32 s6, -1
.LBB191_3657:
	s_and_not1_b32 vcc_lo, exec_lo, s1
	s_mov_b32 s1, 0
	s_cbranch_vccnz .LBB191_3668
; %bb.3658:
	s_cmp_gt_i32 s15, 14
	s_cbranch_scc0 .LBB191_3661
; %bb.3659:
	s_cmp_eq_u32 s15, 15
	s_cbranch_scc0 .LBB191_3664
; %bb.3660:
	global_load_u16 v7, v[8:9], off
	s_mov_b32 s0, 0
	s_mov_b32 s6, -1
	s_wait_loadcnt 0x0
	v_lshlrev_b32_e32 v7, 16, v7
	s_wait_xcnt 0x1
	s_delay_alu instid0(VALU_DEP_1)
	v_cvt_f16_f32_e32 v10, v7
	s_branch .LBB191_3666
.LBB191_3661:
	s_mov_b32 s1, -1
	s_branch .LBB191_3665
.LBB191_3662:
	s_or_saveexec_b32 s6, s6
	v_mov_b32_e32 v10, 0x7e00
	s_xor_b32 exec_lo, exec_lo, s6
	s_cbranch_execz .LBB191_3643
.LBB191_3663:
	v_cmp_ne_u16_e32 vcc_lo, 0, v7
	v_mov_b32_e32 v10, v7
	s_and_not1_b32 s1, s1, exec_lo
	s_and_b32 s7, vcc_lo, exec_lo
	s_delay_alu instid0(SALU_CYCLE_1)
	s_or_b32 s1, s1, s7
	s_or_b32 exec_lo, exec_lo, s6
	s_and_saveexec_b32 s6, s1
	s_cbranch_execnz .LBB191_3644
	s_branch .LBB191_3645
.LBB191_3664:
	s_mov_b32 s0, -1
.LBB191_3665:
                                        ; implicit-def: $vgpr10
.LBB191_3666:
	s_and_b32 vcc_lo, exec_lo, s1
	s_mov_b32 s1, 0
	s_cbranch_vccz .LBB191_3668
; %bb.3667:
	s_cmp_lg_u32 s15, 11
	s_mov_b32 s1, -1
	s_cselect_b32 s0, -1, 0
.LBB191_3668:
	s_delay_alu instid0(SALU_CYCLE_1)
	s_and_b32 vcc_lo, exec_lo, s0
	s_cbranch_vccnz .LBB191_4201
; %bb.3669:
	s_and_not1_b32 vcc_lo, exec_lo, s1
	s_cbranch_vccnz .LBB191_3671
.LBB191_3670:
	global_load_u8 v7, v[8:9], off
	s_mov_b32 s6, -1
	s_wait_loadcnt 0x0
	v_cmp_ne_u16_e32 vcc_lo, 0, v7
	s_wait_xcnt 0x1
	v_cndmask_b32_e64 v10, 0, 0x3c00, vcc_lo
.LBB191_3671:
	s_mov_b32 s0, 0
.LBB191_3672:
	s_delay_alu instid0(SALU_CYCLE_1)
	s_and_b32 vcc_lo, exec_lo, s0
	s_cbranch_vccz .LBB191_3721
; %bb.3673:
	s_cmp_lt_i32 s15, 5
	s_cbranch_scc1 .LBB191_3678
; %bb.3674:
	s_cmp_lt_i32 s15, 8
	s_cbranch_scc1 .LBB191_3679
	;; [unrolled: 3-line block ×3, first 2 shown]
; %bb.3676:
	s_cmp_gt_i32 s15, 9
	s_cbranch_scc0 .LBB191_3681
; %bb.3677:
	global_load_b64 v[10:11], v[8:9], off
	s_mov_b32 s0, 0
	s_wait_loadcnt 0x0
	v_and_or_b32 v7, 0x1ff, v11, v10
	v_lshrrev_b32_e32 v10, 8, v11
	v_bfe_u32 v13, v11, 20, 11
	s_delay_alu instid0(VALU_DEP_3) | instskip(NEXT) | instid1(VALU_DEP_2)
	v_cmp_ne_u32_e32 vcc_lo, 0, v7
	v_sub_nc_u32_e32 v15, 0x3f1, v13
	v_add_nc_u32_e32 v13, 0xfffffc10, v13
	v_cndmask_b32_e64 v7, 0, 1, vcc_lo
	s_delay_alu instid0(VALU_DEP_1) | instskip(NEXT) | instid1(VALU_DEP_4)
	v_and_or_b32 v7, 0xffe, v10, v7
	v_med3_i32 v10, v15, 0, 13
	s_delay_alu instid0(VALU_DEP_2) | instskip(NEXT) | instid1(VALU_DEP_1)
	v_or_b32_e32 v15, 0x1000, v7
	v_lshrrev_b32_e32 v17, v10, v15
	s_delay_alu instid0(VALU_DEP_1) | instskip(NEXT) | instid1(VALU_DEP_1)
	v_lshlrev_b32_e32 v10, v10, v17
	v_cmp_ne_u32_e32 vcc_lo, v10, v15
	v_lshl_or_b32 v15, v13, 12, v7
	v_cndmask_b32_e64 v10, 0, 1, vcc_lo
	v_cmp_gt_i32_e32 vcc_lo, 1, v13
	s_delay_alu instid0(VALU_DEP_2) | instskip(NEXT) | instid1(VALU_DEP_1)
	v_or_b32_e32 v10, v17, v10
	v_cndmask_b32_e32 v10, v15, v10, vcc_lo
	s_delay_alu instid0(VALU_DEP_1) | instskip(NEXT) | instid1(VALU_DEP_1)
	v_dual_lshrrev_b32 v10, 2, v10 :: v_dual_bitop2_b32 v15, 7, v10 bitop3:0x40
	v_cmp_lt_i32_e32 vcc_lo, 5, v15
	v_cndmask_b32_e64 v17, 0, 1, vcc_lo
	v_cmp_eq_u32_e32 vcc_lo, 3, v15
	v_cndmask_b32_e64 v15, 0, 1, vcc_lo
	v_cmp_ne_u32_e32 vcc_lo, 0, v7
	s_delay_alu instid0(VALU_DEP_2) | instskip(NEXT) | instid1(VALU_DEP_1)
	v_or_b32_e32 v15, v15, v17
	v_dual_mov_b32 v17, 0x7e00 :: v_dual_add_nc_u32 v10, v10, v15
	s_delay_alu instid0(VALU_DEP_1) | instskip(SKIP_1) | instid1(VALU_DEP_3)
	v_cndmask_b32_e32 v7, 0x7c00, v17, vcc_lo
	v_cmp_gt_i32_e32 vcc_lo, 31, v13
	v_cndmask_b32_e32 v10, 0x7c00, v10, vcc_lo
	v_cmp_eq_u32_e32 vcc_lo, 0x40f, v13
	s_delay_alu instid0(VALU_DEP_2) | instskip(SKIP_1) | instid1(VALU_DEP_1)
	v_cndmask_b32_e32 v7, v10, v7, vcc_lo
	v_lshrrev_b32_e32 v10, 16, v11
	v_and_or_b32 v10, 0x8000, v10, v7
	s_branch .LBB191_3682
.LBB191_3678:
	s_mov_b32 s0, -1
                                        ; implicit-def: $vgpr10
	s_branch .LBB191_3700
.LBB191_3679:
	s_mov_b32 s0, -1
                                        ; implicit-def: $vgpr10
	s_branch .LBB191_3688
.LBB191_3680:
	s_mov_b32 s0, -1
                                        ; implicit-def: $vgpr10
	s_branch .LBB191_3685
.LBB191_3681:
	s_mov_b32 s0, -1
                                        ; implicit-def: $vgpr10
.LBB191_3682:
	s_delay_alu instid0(SALU_CYCLE_1)
	s_and_not1_b32 vcc_lo, exec_lo, s0
	s_cbranch_vccnz .LBB191_3684
; %bb.3683:
	global_load_b32 v7, v[8:9], off
	s_wait_loadcnt 0x0
	s_wait_xcnt 0x1
	v_cvt_f16_f32_e32 v10, v7
.LBB191_3684:
	s_mov_b32 s0, 0
.LBB191_3685:
	s_delay_alu instid0(SALU_CYCLE_1)
	s_and_not1_b32 vcc_lo, exec_lo, s0
	s_cbranch_vccnz .LBB191_3687
; %bb.3686:
	global_load_b32 v10, v[8:9], off
.LBB191_3687:
	s_mov_b32 s0, 0
.LBB191_3688:
	s_delay_alu instid0(SALU_CYCLE_1)
	s_and_not1_b32 vcc_lo, exec_lo, s0
	s_cbranch_vccnz .LBB191_3699
; %bb.3689:
	s_cmp_lt_i32 s15, 6
	s_cbranch_scc1 .LBB191_3692
; %bb.3690:
	s_cmp_gt_i32 s15, 6
	s_cbranch_scc0 .LBB191_3693
; %bb.3691:
	s_wait_loadcnt 0x0
	global_load_b64 v[10:11], v[8:9], off
	s_mov_b32 s0, 0
	s_wait_loadcnt 0x0
	v_and_or_b32 v7, 0x1ff, v11, v10
	v_lshrrev_b32_e32 v10, 8, v11
	v_bfe_u32 v13, v11, 20, 11
	s_delay_alu instid0(VALU_DEP_3) | instskip(NEXT) | instid1(VALU_DEP_2)
	v_cmp_ne_u32_e32 vcc_lo, 0, v7
	v_sub_nc_u32_e32 v15, 0x3f1, v13
	v_add_nc_u32_e32 v13, 0xfffffc10, v13
	v_cndmask_b32_e64 v7, 0, 1, vcc_lo
	s_delay_alu instid0(VALU_DEP_1) | instskip(NEXT) | instid1(VALU_DEP_4)
	v_and_or_b32 v7, 0xffe, v10, v7
	v_med3_i32 v10, v15, 0, 13
	s_delay_alu instid0(VALU_DEP_2) | instskip(NEXT) | instid1(VALU_DEP_1)
	v_or_b32_e32 v15, 0x1000, v7
	v_lshrrev_b32_e32 v17, v10, v15
	s_delay_alu instid0(VALU_DEP_1) | instskip(NEXT) | instid1(VALU_DEP_1)
	v_lshlrev_b32_e32 v10, v10, v17
	v_cmp_ne_u32_e32 vcc_lo, v10, v15
	v_lshl_or_b32 v15, v13, 12, v7
	v_cndmask_b32_e64 v10, 0, 1, vcc_lo
	v_cmp_gt_i32_e32 vcc_lo, 1, v13
	s_delay_alu instid0(VALU_DEP_2) | instskip(NEXT) | instid1(VALU_DEP_1)
	v_or_b32_e32 v10, v17, v10
	v_cndmask_b32_e32 v10, v15, v10, vcc_lo
	s_delay_alu instid0(VALU_DEP_1) | instskip(NEXT) | instid1(VALU_DEP_1)
	v_dual_lshrrev_b32 v10, 2, v10 :: v_dual_bitop2_b32 v15, 7, v10 bitop3:0x40
	v_cmp_lt_i32_e32 vcc_lo, 5, v15
	v_cndmask_b32_e64 v17, 0, 1, vcc_lo
	v_cmp_eq_u32_e32 vcc_lo, 3, v15
	v_cndmask_b32_e64 v15, 0, 1, vcc_lo
	v_cmp_ne_u32_e32 vcc_lo, 0, v7
	s_delay_alu instid0(VALU_DEP_2) | instskip(NEXT) | instid1(VALU_DEP_1)
	v_or_b32_e32 v15, v15, v17
	v_dual_mov_b32 v17, 0x7e00 :: v_dual_add_nc_u32 v10, v10, v15
	s_delay_alu instid0(VALU_DEP_1) | instskip(SKIP_1) | instid1(VALU_DEP_3)
	v_cndmask_b32_e32 v7, 0x7c00, v17, vcc_lo
	v_cmp_gt_i32_e32 vcc_lo, 31, v13
	v_cndmask_b32_e32 v10, 0x7c00, v10, vcc_lo
	v_cmp_eq_u32_e32 vcc_lo, 0x40f, v13
	s_delay_alu instid0(VALU_DEP_2) | instskip(SKIP_1) | instid1(VALU_DEP_1)
	v_cndmask_b32_e32 v7, v10, v7, vcc_lo
	v_lshrrev_b32_e32 v10, 16, v11
	v_and_or_b32 v10, 0x8000, v10, v7
	s_branch .LBB191_3694
.LBB191_3692:
	s_mov_b32 s0, -1
                                        ; implicit-def: $vgpr10
	s_branch .LBB191_3697
.LBB191_3693:
	s_mov_b32 s0, -1
                                        ; implicit-def: $vgpr10
.LBB191_3694:
	s_delay_alu instid0(SALU_CYCLE_1)
	s_and_not1_b32 vcc_lo, exec_lo, s0
	s_cbranch_vccnz .LBB191_3696
; %bb.3695:
	global_load_b32 v7, v[8:9], off
	s_wait_loadcnt 0x0
	s_wait_xcnt 0x1
	v_cvt_f16_f32_e32 v10, v7
.LBB191_3696:
	s_mov_b32 s0, 0
.LBB191_3697:
	s_delay_alu instid0(SALU_CYCLE_1)
	s_and_not1_b32 vcc_lo, exec_lo, s0
	s_cbranch_vccnz .LBB191_3699
; %bb.3698:
	s_wait_loadcnt 0x0
	global_load_u16 v10, v[8:9], off
.LBB191_3699:
	s_mov_b32 s0, 0
.LBB191_3700:
	s_delay_alu instid0(SALU_CYCLE_1)
	s_and_not1_b32 vcc_lo, exec_lo, s0
	s_cbranch_vccnz .LBB191_3720
; %bb.3701:
	s_cmp_lt_i32 s15, 2
	s_cbranch_scc1 .LBB191_3705
; %bb.3702:
	s_cmp_lt_i32 s15, 3
	s_cbranch_scc1 .LBB191_3706
; %bb.3703:
	s_cmp_gt_i32 s15, 3
	s_cbranch_scc0 .LBB191_3707
; %bb.3704:
	s_wait_loadcnt 0x0
	global_load_b64 v[10:11], v[8:9], off
	s_mov_b32 s0, 0
	s_wait_loadcnt 0x0
	v_xor_b32_e32 v7, v10, v11
	v_cls_i32_e32 v13, v11
	s_delay_alu instid0(VALU_DEP_2) | instskip(NEXT) | instid1(VALU_DEP_1)
	v_ashrrev_i32_e32 v7, 31, v7
	v_add_nc_u32_e32 v7, 32, v7
	s_delay_alu instid0(VALU_DEP_1) | instskip(NEXT) | instid1(VALU_DEP_1)
	v_add_min_u32_e64 v7, v13, -1, v7
	v_lshlrev_b64_e32 v[10:11], v7, v[10:11]
	v_sub_nc_u32_e32 v7, 32, v7
	s_delay_alu instid0(VALU_DEP_2) | instskip(NEXT) | instid1(VALU_DEP_1)
	v_min_u32_e32 v10, 1, v10
	v_or_b32_e32 v10, v11, v10
	s_delay_alu instid0(VALU_DEP_1) | instskip(NEXT) | instid1(VALU_DEP_1)
	v_cvt_f32_i32_e32 v10, v10
	v_ldexp_f32 v7, v10, v7
	s_delay_alu instid0(VALU_DEP_1)
	v_cvt_f16_f32_e32 v10, v7
	s_branch .LBB191_3708
.LBB191_3705:
	s_mov_b32 s0, -1
                                        ; implicit-def: $vgpr10
	s_branch .LBB191_3714
.LBB191_3706:
	s_mov_b32 s0, -1
                                        ; implicit-def: $vgpr10
	s_branch .LBB191_3711
.LBB191_3707:
	s_mov_b32 s0, -1
                                        ; implicit-def: $vgpr10
.LBB191_3708:
	s_delay_alu instid0(SALU_CYCLE_1)
	s_and_not1_b32 vcc_lo, exec_lo, s0
	s_cbranch_vccnz .LBB191_3710
; %bb.3709:
	global_load_b32 v7, v[8:9], off
	s_wait_loadcnt 0x0
	v_cvt_f32_i32_e32 v7, v7
	s_wait_xcnt 0x1
	s_delay_alu instid0(VALU_DEP_1)
	v_cvt_f16_f32_e32 v10, v7
.LBB191_3710:
	s_mov_b32 s0, 0
.LBB191_3711:
	s_delay_alu instid0(SALU_CYCLE_1)
	s_and_not1_b32 vcc_lo, exec_lo, s0
	s_cbranch_vccnz .LBB191_3713
; %bb.3712:
	global_load_u16 v7, v[8:9], off
	s_wait_loadcnt 0x0
	s_wait_xcnt 0x1
	v_cvt_f16_i16_e32 v10, v7
.LBB191_3713:
	s_mov_b32 s0, 0
.LBB191_3714:
	s_delay_alu instid0(SALU_CYCLE_1)
	s_and_not1_b32 vcc_lo, exec_lo, s0
	s_cbranch_vccnz .LBB191_3720
; %bb.3715:
	s_cmp_gt_i32 s15, 0
	s_mov_b32 s0, 0
	s_cbranch_scc0 .LBB191_3717
; %bb.3716:
	global_load_i8 v7, v[8:9], off
	s_wait_loadcnt 0x0
	s_wait_xcnt 0x1
	v_cvt_f16_i16_e32 v10, v7
	s_branch .LBB191_3718
.LBB191_3717:
	s_mov_b32 s0, -1
                                        ; implicit-def: $vgpr10
.LBB191_3718:
	s_delay_alu instid0(SALU_CYCLE_1)
	s_and_not1_b32 vcc_lo, exec_lo, s0
	s_cbranch_vccnz .LBB191_3720
; %bb.3719:
	global_load_u8 v7, v[8:9], off
	s_wait_loadcnt 0x0
	s_wait_xcnt 0x1
	v_cvt_f16_u16_e32 v10, v7
.LBB191_3720:
	s_mov_b32 s6, -1
.LBB191_3721:
	s_delay_alu instid0(SALU_CYCLE_1)
	s_and_not1_b32 vcc_lo, exec_lo, s6
	s_cbranch_vccnz .LBB191_4155
; %bb.3722:
	s_load_b64 s[2:3], s[2:3], 0x1e8
	v_mov_b32_e32 v7, 0
	s_delay_alu instid0(VALU_DEP_1)
	v_add_nc_u64_e32 v[6:7], s[4:5], v[6:7]
	s_wait_kmcnt 0x0
	s_lshr_b32 s6, s2, 16
	s_and_b32 s1, s3, 0xff
	v_mul_f16_e32 v3, s6, v3
	s_cmp_lt_i32 s1, 11
	s_wait_loadcnt 0x0
	s_delay_alu instid0(VALU_DEP_1) | instskip(NEXT) | instid1(VALU_DEP_1)
	v_mul_f16_e32 v3, v3, v5
	v_fmac_f16_e32 v3, s2, v1
	s_cbranch_scc1 .LBB191_3800
; %bb.3723:
	s_and_b32 s3, 0xffff, s1
	s_mov_b32 s9, -1
	s_mov_b32 s7, 0
	s_cmp_gt_i32 s3, 25
	s_mov_b32 s8, 0
	s_mov_b32 s0, 0
	s_cbranch_scc0 .LBB191_3756
; %bb.3724:
	s_cmp_gt_i32 s3, 28
	s_cbranch_scc0 .LBB191_3739
; %bb.3725:
	s_cmp_gt_i32 s3, 43
	;; [unrolled: 3-line block ×3, first 2 shown]
	s_cbranch_scc0 .LBB191_3729
; %bb.3727:
	s_mov_b32 s0, -1
	s_mov_b32 s9, 0
	s_cmp_eq_u32 s3, 46
	s_cbranch_scc0 .LBB191_3729
; %bb.3728:
	v_cvt_f32_f16_e32 v1, v3
	v_cmp_o_f16_e32 vcc_lo, v3, v3
	s_mov_b32 s0, 0
	s_mov_b32 s8, -1
	s_delay_alu instid0(VALU_DEP_2) | instskip(NEXT) | instid1(VALU_DEP_1)
	v_bfe_u32 v5, v1, 16, 1
	v_add3_u32 v1, v1, v5, 0x7fff
	s_delay_alu instid0(VALU_DEP_1) | instskip(NEXT) | instid1(VALU_DEP_1)
	v_lshrrev_b32_e32 v1, 16, v1
	v_cndmask_b32_e32 v1, 0x7fc0, v1, vcc_lo
	global_store_b32 v[6:7], v1, off
.LBB191_3729:
	s_and_b32 vcc_lo, exec_lo, s9
	s_cbranch_vccz .LBB191_3734
; %bb.3730:
	s_cmp_eq_u32 s3, 44
	s_mov_b32 s0, -1
	s_cbranch_scc0 .LBB191_3734
; %bb.3731:
	s_wait_xcnt 0x0
	v_cvt_f32_f16_e32 v1, v3
	v_mov_b32_e32 v5, 0xff
	s_mov_b32 s8, exec_lo
	s_delay_alu instid0(VALU_DEP_2) | instskip(NEXT) | instid1(VALU_DEP_1)
	v_bfe_u32 v8, v1, 23, 8
	v_cmpx_ne_u32_e32 0xff, v8
	s_cbranch_execz .LBB191_3733
; %bb.3732:
	v_and_b32_e32 v5, 0x400000, v1
	v_and_or_b32 v8, 0x3fffff, v1, v8
	v_lshrrev_b32_e32 v1, 23, v1
	s_delay_alu instid0(VALU_DEP_3) | instskip(NEXT) | instid1(VALU_DEP_3)
	v_cmp_ne_u32_e32 vcc_lo, 0, v5
	v_cmp_ne_u32_e64 s0, 0, v8
	s_and_b32 s0, vcc_lo, s0
	s_delay_alu instid0(SALU_CYCLE_1) | instskip(NEXT) | instid1(VALU_DEP_1)
	v_cndmask_b32_e64 v5, 0, 1, s0
	v_add_nc_u32_e32 v5, v1, v5
.LBB191_3733:
	s_or_b32 exec_lo, exec_lo, s8
	s_mov_b32 s0, 0
	s_mov_b32 s8, -1
	global_store_b8 v[6:7], v5, off
.LBB191_3734:
	s_mov_b32 s9, 0
.LBB191_3735:
	s_delay_alu instid0(SALU_CYCLE_1)
	s_and_b32 vcc_lo, exec_lo, s9
	s_cbranch_vccz .LBB191_3738
; %bb.3736:
	s_cmp_eq_u32 s3, 29
	s_mov_b32 s0, -1
	s_cbranch_scc0 .LBB191_3738
; %bb.3737:
	s_wait_xcnt 0x0
	v_cvt_f32_f16_e32 v1, v3
	v_mov_b32_e32 v9, 0
	s_mov_b32 s0, 0
	s_mov_b32 s8, -1
	s_delay_alu instid0(VALU_DEP_2)
	v_cvt_u32_f32_e32 v8, v1
	global_store_b64 v[6:7], v[8:9], off
.LBB191_3738:
	s_mov_b32 s9, 0
.LBB191_3739:
	s_delay_alu instid0(SALU_CYCLE_1)
	s_and_b32 vcc_lo, exec_lo, s9
	s_cbranch_vccz .LBB191_3755
; %bb.3740:
	s_cmp_lt_i32 s3, 27
	s_mov_b32 s8, -1
	s_cbranch_scc1 .LBB191_3746
; %bb.3741:
	s_cmp_gt_i32 s3, 27
	s_cbranch_scc0 .LBB191_3743
; %bb.3742:
	s_wait_xcnt 0x0
	v_cvt_f32_f16_e32 v1, v3
	s_mov_b32 s8, 0
	s_delay_alu instid0(VALU_DEP_1)
	v_cvt_u32_f32_e32 v1, v1
	global_store_b32 v[6:7], v1, off
.LBB191_3743:
	s_and_not1_b32 vcc_lo, exec_lo, s8
	s_cbranch_vccnz .LBB191_3745
; %bb.3744:
	s_wait_xcnt 0x0
	v_cvt_u16_f16_e32 v1, v3
	global_store_b16 v[6:7], v1, off
.LBB191_3745:
	s_mov_b32 s8, 0
.LBB191_3746:
	s_delay_alu instid0(SALU_CYCLE_1)
	s_and_not1_b32 vcc_lo, exec_lo, s8
	s_cbranch_vccnz .LBB191_3754
; %bb.3747:
	s_wait_xcnt 0x0
	v_cvt_f32_f16_e32 v1, v3
	v_mov_b32_e32 v8, 0x80
	s_mov_b32 s8, exec_lo
	s_delay_alu instid0(VALU_DEP_2) | instskip(NEXT) | instid1(VALU_DEP_1)
	v_and_b32_e32 v5, 0x7fffffff, v1
	v_cmpx_gt_u32_e32 0x43800000, v5
	s_cbranch_execz .LBB191_3753
; %bb.3748:
	v_cmp_lt_u32_e32 vcc_lo, 0x3bffffff, v5
	s_mov_b32 s9, 0
                                        ; implicit-def: $vgpr5
	s_and_saveexec_b32 s13, vcc_lo
	s_delay_alu instid0(SALU_CYCLE_1)
	s_xor_b32 s13, exec_lo, s13
	s_cbranch_execz .LBB191_4202
; %bb.3749:
	v_bfe_u32 v5, v1, 20, 1
	s_mov_b32 s9, exec_lo
	s_delay_alu instid0(VALU_DEP_1) | instskip(NEXT) | instid1(VALU_DEP_1)
	v_add3_u32 v5, v1, v5, 0x487ffff
	v_lshrrev_b32_e32 v5, 20, v5
	s_and_not1_saveexec_b32 s13, s13
	s_cbranch_execnz .LBB191_4203
.LBB191_3750:
	s_or_b32 exec_lo, exec_lo, s13
	v_mov_b32_e32 v8, 0
	s_and_saveexec_b32 s13, s9
.LBB191_3751:
	v_lshrrev_b32_e32 v1, 24, v1
	s_delay_alu instid0(VALU_DEP_1)
	v_and_or_b32 v8, 0x80, v1, v5
.LBB191_3752:
	s_or_b32 exec_lo, exec_lo, s13
.LBB191_3753:
	s_delay_alu instid0(SALU_CYCLE_1)
	s_or_b32 exec_lo, exec_lo, s8
	global_store_b8 v[6:7], v8, off
.LBB191_3754:
	s_mov_b32 s8, -1
.LBB191_3755:
	s_mov_b32 s9, 0
.LBB191_3756:
	s_delay_alu instid0(SALU_CYCLE_1)
	s_and_b32 vcc_lo, exec_lo, s9
	s_cbranch_vccz .LBB191_3796
; %bb.3757:
	s_cmp_gt_i32 s3, 22
	s_mov_b32 s7, -1
	s_cbranch_scc0 .LBB191_3789
; %bb.3758:
	s_cmp_lt_i32 s3, 24
	s_cbranch_scc1 .LBB191_3778
; %bb.3759:
	s_cmp_gt_i32 s3, 24
	s_cbranch_scc0 .LBB191_3767
; %bb.3760:
	s_wait_xcnt 0x0
	v_cvt_f32_f16_e32 v1, v3
	v_mov_b32_e32 v8, 0x80
	s_mov_b32 s7, exec_lo
	s_delay_alu instid0(VALU_DEP_2) | instskip(NEXT) | instid1(VALU_DEP_1)
	v_and_b32_e32 v5, 0x7fffffff, v1
	v_cmpx_gt_u32_e32 0x47800000, v5
	s_cbranch_execz .LBB191_3766
; %bb.3761:
	v_cmp_lt_u32_e32 vcc_lo, 0x37ffffff, v5
	s_mov_b32 s8, 0
                                        ; implicit-def: $vgpr5
	s_and_saveexec_b32 s9, vcc_lo
	s_delay_alu instid0(SALU_CYCLE_1)
	s_xor_b32 s9, exec_lo, s9
	s_cbranch_execz .LBB191_4205
; %bb.3762:
	v_bfe_u32 v5, v1, 21, 1
	s_mov_b32 s8, exec_lo
	s_delay_alu instid0(VALU_DEP_1) | instskip(NEXT) | instid1(VALU_DEP_1)
	v_add3_u32 v5, v1, v5, 0x88fffff
	v_lshrrev_b32_e32 v5, 21, v5
	s_and_not1_saveexec_b32 s9, s9
	s_cbranch_execnz .LBB191_4206
.LBB191_3763:
	s_or_b32 exec_lo, exec_lo, s9
	v_mov_b32_e32 v8, 0
	s_and_saveexec_b32 s9, s8
.LBB191_3764:
	v_lshrrev_b32_e32 v1, 24, v1
	s_delay_alu instid0(VALU_DEP_1)
	v_and_or_b32 v8, 0x80, v1, v5
.LBB191_3765:
	s_or_b32 exec_lo, exec_lo, s9
.LBB191_3766:
	s_delay_alu instid0(SALU_CYCLE_1)
	s_or_b32 exec_lo, exec_lo, s7
	s_mov_b32 s7, 0
	global_store_b8 v[6:7], v8, off
.LBB191_3767:
	s_and_b32 vcc_lo, exec_lo, s7
	s_cbranch_vccz .LBB191_3777
; %bb.3768:
	s_wait_xcnt 0x0
	v_cvt_f32_f16_e32 v1, v3
	s_mov_b32 s7, exec_lo
                                        ; implicit-def: $vgpr5
	s_delay_alu instid0(VALU_DEP_1) | instskip(NEXT) | instid1(VALU_DEP_1)
	v_and_b32_e32 v8, 0x7fffffff, v1
	v_cmpx_gt_u32_e32 0x43f00000, v8
	s_xor_b32 s7, exec_lo, s7
	s_cbranch_execz .LBB191_3774
; %bb.3769:
	s_mov_b32 s8, exec_lo
                                        ; implicit-def: $vgpr5
	v_cmpx_lt_u32_e32 0x3c7fffff, v8
	s_xor_b32 s8, exec_lo, s8
; %bb.3770:
	v_bfe_u32 v5, v1, 20, 1
	s_delay_alu instid0(VALU_DEP_1) | instskip(NEXT) | instid1(VALU_DEP_1)
	v_add3_u32 v5, v1, v5, 0x407ffff
	v_and_b32_e32 v8, 0xff00000, v5
	v_lshrrev_b32_e32 v5, 20, v5
	s_delay_alu instid0(VALU_DEP_2) | instskip(NEXT) | instid1(VALU_DEP_2)
	v_cmp_ne_u32_e32 vcc_lo, 0x7f00000, v8
	v_cndmask_b32_e32 v5, 0x7e, v5, vcc_lo
; %bb.3771:
	s_and_not1_saveexec_b32 s8, s8
; %bb.3772:
	v_add_f32_e64 v5, 0x46800000, |v1|
; %bb.3773:
	s_or_b32 exec_lo, exec_lo, s8
                                        ; implicit-def: $vgpr8
.LBB191_3774:
	s_and_not1_saveexec_b32 s7, s7
; %bb.3775:
	v_mov_b32_e32 v5, 0x7f
	v_cmp_lt_u32_e32 vcc_lo, 0x7f800000, v8
	s_delay_alu instid0(VALU_DEP_2)
	v_cndmask_b32_e32 v5, 0x7e, v5, vcc_lo
; %bb.3776:
	s_or_b32 exec_lo, exec_lo, s7
	v_lshrrev_b32_e32 v1, 24, v1
	s_delay_alu instid0(VALU_DEP_1)
	v_and_or_b32 v1, 0x80, v1, v5
	global_store_b8 v[6:7], v1, off
.LBB191_3777:
	s_mov_b32 s7, 0
.LBB191_3778:
	s_delay_alu instid0(SALU_CYCLE_1)
	s_and_not1_b32 vcc_lo, exec_lo, s7
	s_cbranch_vccnz .LBB191_3788
; %bb.3779:
	s_wait_xcnt 0x0
	v_cvt_f32_f16_e32 v1, v3
	s_mov_b32 s7, exec_lo
                                        ; implicit-def: $vgpr5
	s_delay_alu instid0(VALU_DEP_1) | instskip(NEXT) | instid1(VALU_DEP_1)
	v_and_b32_e32 v8, 0x7fffffff, v1
	v_cmpx_gt_u32_e32 0x47800000, v8
	s_xor_b32 s7, exec_lo, s7
	s_cbranch_execz .LBB191_3785
; %bb.3780:
	s_mov_b32 s8, exec_lo
                                        ; implicit-def: $vgpr5
	v_cmpx_lt_u32_e32 0x387fffff, v8
	s_xor_b32 s8, exec_lo, s8
; %bb.3781:
	v_bfe_u32 v5, v1, 21, 1
	s_delay_alu instid0(VALU_DEP_1) | instskip(NEXT) | instid1(VALU_DEP_1)
	v_add3_u32 v5, v1, v5, 0x80fffff
	v_lshrrev_b32_e32 v5, 21, v5
; %bb.3782:
	s_and_not1_saveexec_b32 s8, s8
; %bb.3783:
	v_add_f32_e64 v5, 0x43000000, |v1|
; %bb.3784:
	s_or_b32 exec_lo, exec_lo, s8
                                        ; implicit-def: $vgpr8
.LBB191_3785:
	s_and_not1_saveexec_b32 s7, s7
; %bb.3786:
	v_mov_b32_e32 v5, 0x7f
	v_cmp_lt_u32_e32 vcc_lo, 0x7f800000, v8
	s_delay_alu instid0(VALU_DEP_2)
	v_cndmask_b32_e32 v5, 0x7c, v5, vcc_lo
; %bb.3787:
	s_or_b32 exec_lo, exec_lo, s7
	v_lshrrev_b32_e32 v1, 24, v1
	s_delay_alu instid0(VALU_DEP_1)
	v_and_or_b32 v1, 0x80, v1, v5
	global_store_b8 v[6:7], v1, off
.LBB191_3788:
	s_mov_b32 s7, 0
	s_mov_b32 s8, -1
.LBB191_3789:
	s_and_not1_b32 vcc_lo, exec_lo, s7
	s_mov_b32 s7, 0
	s_cbranch_vccnz .LBB191_3796
; %bb.3790:
	s_cmp_gt_i32 s3, 14
	s_mov_b32 s7, -1
	s_cbranch_scc0 .LBB191_3794
; %bb.3791:
	s_cmp_eq_u32 s3, 15
	s_mov_b32 s0, -1
	s_cbranch_scc0 .LBB191_3793
; %bb.3792:
	s_wait_xcnt 0x0
	v_cvt_f32_f16_e32 v1, v3
	v_cmp_o_f16_e32 vcc_lo, v3, v3
	s_mov_b32 s0, 0
	s_mov_b32 s8, -1
	s_delay_alu instid0(VALU_DEP_2) | instskip(NEXT) | instid1(VALU_DEP_1)
	v_bfe_u32 v5, v1, 16, 1
	v_add3_u32 v1, v1, v5, 0x7fff
	s_delay_alu instid0(VALU_DEP_1) | instskip(NEXT) | instid1(VALU_DEP_1)
	v_lshrrev_b32_e32 v1, 16, v1
	v_cndmask_b32_e32 v1, 0x7fc0, v1, vcc_lo
	global_store_b16 v[6:7], v1, off
.LBB191_3793:
	s_mov_b32 s7, 0
.LBB191_3794:
	s_delay_alu instid0(SALU_CYCLE_1)
	s_and_b32 vcc_lo, exec_lo, s7
	s_mov_b32 s7, 0
	s_cbranch_vccz .LBB191_3796
; %bb.3795:
	s_cmp_lg_u32 s3, 11
	s_mov_b32 s7, -1
	s_cselect_b32 s0, -1, 0
.LBB191_3796:
	s_delay_alu instid0(SALU_CYCLE_1)
	s_and_b32 vcc_lo, exec_lo, s0
	s_cbranch_vccnz .LBB191_4204
; %bb.3797:
	s_and_not1_b32 vcc_lo, exec_lo, s7
	s_cbranch_vccnz .LBB191_3799
.LBB191_3798:
	v_cmp_neq_f16_e32 vcc_lo, 0, v3
	s_mov_b32 s8, -1
	s_wait_xcnt 0x0
	v_cndmask_b32_e64 v1, 0, 1, vcc_lo
	global_store_b8 v[6:7], v1, off
.LBB191_3799:
	s_mov_b32 s0, 0
	s_branch .LBB191_3801
.LBB191_3800:
	s_mov_b32 s0, -1
	s_mov_b32 s8, 0
.LBB191_3801:
	s_and_b32 vcc_lo, exec_lo, s0
	s_cbranch_vccz .LBB191_3840
; %bb.3802:
	s_and_b32 s0, 0xffff, s1
	s_mov_b32 s3, -1
	s_cmp_lt_i32 s0, 5
	s_cbranch_scc1 .LBB191_3823
; %bb.3803:
	s_cmp_lt_i32 s0, 8
	s_cbranch_scc1 .LBB191_3813
; %bb.3804:
	;; [unrolled: 3-line block ×3, first 2 shown]
	s_cmp_gt_i32 s0, 9
	s_cbranch_scc0 .LBB191_3807
; %bb.3806:
	s_wait_xcnt 0x0
	v_cvt_f32_f16_e32 v1, v3
	v_mov_b32_e32 v30, 0
	s_mov_b32 s3, 0
	s_delay_alu instid0(VALU_DEP_2) | instskip(NEXT) | instid1(VALU_DEP_2)
	v_cvt_f64_f32_e32 v[28:29], v1
	v_mov_b32_e32 v31, v30
	global_store_b128 v[6:7], v[28:31], off
.LBB191_3807:
	s_and_not1_b32 vcc_lo, exec_lo, s3
	s_cbranch_vccnz .LBB191_3809
; %bb.3808:
	s_wait_xcnt 0x0
	v_cvt_f32_f16_e32 v8, v3
	v_mov_b32_e32 v9, 0
	global_store_b64 v[6:7], v[8:9], off
.LBB191_3809:
	s_mov_b32 s3, 0
.LBB191_3810:
	s_delay_alu instid0(SALU_CYCLE_1)
	s_and_not1_b32 vcc_lo, exec_lo, s3
	s_cbranch_vccnz .LBB191_3812
; %bb.3811:
	s_wait_xcnt 0x0
	v_and_b32_e32 v1, 0xffff, v3
	global_store_b32 v[6:7], v1, off
.LBB191_3812:
	s_mov_b32 s3, 0
.LBB191_3813:
	s_delay_alu instid0(SALU_CYCLE_1)
	s_and_not1_b32 vcc_lo, exec_lo, s3
	s_cbranch_vccnz .LBB191_3822
; %bb.3814:
	s_cmp_lt_i32 s0, 6
	s_mov_b32 s3, -1
	s_cbranch_scc1 .LBB191_3820
; %bb.3815:
	s_cmp_gt_i32 s0, 6
	s_cbranch_scc0 .LBB191_3817
; %bb.3816:
	s_wait_xcnt 0x0
	v_cvt_f32_f16_e32 v1, v3
	s_mov_b32 s3, 0
	s_delay_alu instid0(VALU_DEP_1)
	v_cvt_f64_f32_e32 v[8:9], v1
	global_store_b64 v[6:7], v[8:9], off
.LBB191_3817:
	s_and_not1_b32 vcc_lo, exec_lo, s3
	s_cbranch_vccnz .LBB191_3819
; %bb.3818:
	s_wait_xcnt 0x0
	v_cvt_f32_f16_e32 v1, v3
	global_store_b32 v[6:7], v1, off
.LBB191_3819:
	s_mov_b32 s3, 0
.LBB191_3820:
	s_delay_alu instid0(SALU_CYCLE_1)
	s_and_not1_b32 vcc_lo, exec_lo, s3
	s_cbranch_vccnz .LBB191_3822
; %bb.3821:
	global_store_b16 v[6:7], v3, off
.LBB191_3822:
	s_mov_b32 s3, 0
.LBB191_3823:
	s_delay_alu instid0(SALU_CYCLE_1)
	s_and_not1_b32 vcc_lo, exec_lo, s3
	s_cbranch_vccnz .LBB191_3839
; %bb.3824:
	s_cmp_lt_i32 s0, 2
	s_mov_b32 s3, -1
	s_cbranch_scc1 .LBB191_3834
; %bb.3825:
	s_cmp_lt_i32 s0, 3
	s_cbranch_scc1 .LBB191_3831
; %bb.3826:
	s_cmp_gt_i32 s0, 3
	s_cbranch_scc0 .LBB191_3828
; %bb.3827:
	s_wait_xcnt 0x0
	v_cvt_f32_f16_e32 v1, v3
	s_mov_b32 s3, 0
	s_delay_alu instid0(VALU_DEP_1) | instskip(NEXT) | instid1(VALU_DEP_1)
	v_cvt_i32_f32_e32 v8, v1
	v_ashrrev_i32_e32 v9, 31, v8
	global_store_b64 v[6:7], v[8:9], off
.LBB191_3828:
	s_and_not1_b32 vcc_lo, exec_lo, s3
	s_cbranch_vccnz .LBB191_3830
; %bb.3829:
	s_wait_xcnt 0x0
	v_cvt_f32_f16_e32 v1, v3
	s_delay_alu instid0(VALU_DEP_1)
	v_cvt_i32_f32_e32 v1, v1
	global_store_b32 v[6:7], v1, off
.LBB191_3830:
	s_mov_b32 s3, 0
.LBB191_3831:
	s_delay_alu instid0(SALU_CYCLE_1)
	s_and_not1_b32 vcc_lo, exec_lo, s3
	s_cbranch_vccnz .LBB191_3833
; %bb.3832:
	s_wait_xcnt 0x0
	v_cvt_i16_f16_e32 v1, v3
	global_store_b16 v[6:7], v1, off
.LBB191_3833:
	s_mov_b32 s3, 0
.LBB191_3834:
	s_delay_alu instid0(SALU_CYCLE_1)
	s_and_not1_b32 vcc_lo, exec_lo, s3
	s_cbranch_vccnz .LBB191_3839
; %bb.3835:
	s_cmp_gt_i32 s0, 0
	s_mov_b32 s0, -1
	s_cbranch_scc0 .LBB191_3837
; %bb.3836:
	s_wait_xcnt 0x0
	v_cvt_i16_f16_e32 v1, v3
	s_mov_b32 s0, 0
	global_store_b8 v[6:7], v1, off
.LBB191_3837:
	s_and_not1_b32 vcc_lo, exec_lo, s0
	s_cbranch_vccnz .LBB191_3839
; %bb.3838:
	s_wait_xcnt 0x0
	v_cvt_f32_f16_e32 v1, v3
	s_delay_alu instid0(VALU_DEP_1)
	v_cvt_i32_f32_e32 v1, v1
	global_store_b8 v[6:7], v1, off
.LBB191_3839:
	s_mov_b32 s8, -1
.LBB191_3840:
	s_delay_alu instid0(SALU_CYCLE_1)
	s_and_not1_b32 vcc_lo, exec_lo, s8
	s_cbranch_vccnz .LBB191_4155
; %bb.3841:
	s_wait_xcnt 0x0
	v_mul_f16_e32 v1, s6, v24
	v_mov_b32_e32 v5, 0
	s_and_b32 s3, 0xffff, s1
	s_delay_alu instid0(SALU_CYCLE_1) | instskip(NEXT) | instid1(VALU_DEP_2)
	s_cmp_lt_i32 s3, 11
	v_mul_f16_e32 v1, v1, v22
	s_delay_alu instid0(VALU_DEP_2) | instskip(NEXT) | instid1(VALU_DEP_2)
	v_add_nc_u64_e32 v[4:5], s[4:5], v[4:5]
	v_fmac_f16_e32 v1, s2, v26
	s_cbranch_scc1 .LBB191_3919
; %bb.3842:
	s_mov_b32 s9, -1
	s_mov_b32 s7, 0
	s_cmp_gt_i32 s3, 25
	s_mov_b32 s8, 0
	s_mov_b32 s0, 0
	s_cbranch_scc0 .LBB191_3875
; %bb.3843:
	s_cmp_gt_i32 s3, 28
	s_cbranch_scc0 .LBB191_3858
; %bb.3844:
	s_cmp_gt_i32 s3, 43
	;; [unrolled: 3-line block ×3, first 2 shown]
	s_cbranch_scc0 .LBB191_3848
; %bb.3846:
	s_mov_b32 s0, -1
	s_mov_b32 s9, 0
	s_cmp_eq_u32 s3, 46
	s_cbranch_scc0 .LBB191_3848
; %bb.3847:
	v_cvt_f32_f16_e32 v3, v1
	v_cmp_o_f16_e32 vcc_lo, v1, v1
	s_mov_b32 s0, 0
	s_mov_b32 s8, -1
	s_delay_alu instid0(VALU_DEP_2) | instskip(NEXT) | instid1(VALU_DEP_1)
	v_bfe_u32 v6, v3, 16, 1
	v_add3_u32 v3, v3, v6, 0x7fff
	s_delay_alu instid0(VALU_DEP_1) | instskip(NEXT) | instid1(VALU_DEP_1)
	v_lshrrev_b32_e32 v3, 16, v3
	v_cndmask_b32_e32 v3, 0x7fc0, v3, vcc_lo
	global_store_b32 v[4:5], v3, off
.LBB191_3848:
	s_and_b32 vcc_lo, exec_lo, s9
	s_cbranch_vccz .LBB191_3853
; %bb.3849:
	s_cmp_eq_u32 s3, 44
	s_mov_b32 s0, -1
	s_cbranch_scc0 .LBB191_3853
; %bb.3850:
	s_wait_xcnt 0x0
	v_cvt_f32_f16_e32 v3, v1
	v_mov_b32_e32 v6, 0xff
	s_mov_b32 s8, exec_lo
	s_delay_alu instid0(VALU_DEP_2) | instskip(NEXT) | instid1(VALU_DEP_1)
	v_bfe_u32 v7, v3, 23, 8
	v_cmpx_ne_u32_e32 0xff, v7
	s_cbranch_execz .LBB191_3852
; %bb.3851:
	v_and_b32_e32 v6, 0x400000, v3
	v_and_or_b32 v7, 0x3fffff, v3, v7
	v_lshrrev_b32_e32 v3, 23, v3
	s_delay_alu instid0(VALU_DEP_3) | instskip(NEXT) | instid1(VALU_DEP_3)
	v_cmp_ne_u32_e32 vcc_lo, 0, v6
	v_cmp_ne_u32_e64 s0, 0, v7
	s_and_b32 s0, vcc_lo, s0
	s_delay_alu instid0(SALU_CYCLE_1) | instskip(NEXT) | instid1(VALU_DEP_1)
	v_cndmask_b32_e64 v6, 0, 1, s0
	v_add_nc_u32_e32 v6, v3, v6
.LBB191_3852:
	s_or_b32 exec_lo, exec_lo, s8
	s_mov_b32 s0, 0
	s_mov_b32 s8, -1
	global_store_b8 v[4:5], v6, off
.LBB191_3853:
	s_mov_b32 s9, 0
.LBB191_3854:
	s_delay_alu instid0(SALU_CYCLE_1)
	s_and_b32 vcc_lo, exec_lo, s9
	s_cbranch_vccz .LBB191_3857
; %bb.3855:
	s_cmp_eq_u32 s3, 29
	s_mov_b32 s0, -1
	s_cbranch_scc0 .LBB191_3857
; %bb.3856:
	s_wait_xcnt 0x0
	v_cvt_f32_f16_e32 v3, v1
	v_mov_b32_e32 v7, 0
	s_mov_b32 s0, 0
	s_mov_b32 s8, -1
	s_delay_alu instid0(VALU_DEP_2)
	v_cvt_u32_f32_e32 v6, v3
	global_store_b64 v[4:5], v[6:7], off
.LBB191_3857:
	s_mov_b32 s9, 0
.LBB191_3858:
	s_delay_alu instid0(SALU_CYCLE_1)
	s_and_b32 vcc_lo, exec_lo, s9
	s_cbranch_vccz .LBB191_3874
; %bb.3859:
	s_cmp_lt_i32 s3, 27
	s_mov_b32 s8, -1
	s_cbranch_scc1 .LBB191_3865
; %bb.3860:
	s_cmp_gt_i32 s3, 27
	s_cbranch_scc0 .LBB191_3862
; %bb.3861:
	s_wait_xcnt 0x0
	v_cvt_f32_f16_e32 v3, v1
	s_mov_b32 s8, 0
	s_delay_alu instid0(VALU_DEP_1)
	v_cvt_u32_f32_e32 v3, v3
	global_store_b32 v[4:5], v3, off
.LBB191_3862:
	s_and_not1_b32 vcc_lo, exec_lo, s8
	s_cbranch_vccnz .LBB191_3864
; %bb.3863:
	s_wait_xcnt 0x0
	v_cvt_u16_f16_e32 v3, v1
	global_store_b16 v[4:5], v3, off
.LBB191_3864:
	s_mov_b32 s8, 0
.LBB191_3865:
	s_delay_alu instid0(SALU_CYCLE_1)
	s_and_not1_b32 vcc_lo, exec_lo, s8
	s_cbranch_vccnz .LBB191_3873
; %bb.3866:
	s_wait_xcnt 0x0
	v_cvt_f32_f16_e32 v3, v1
	v_mov_b32_e32 v7, 0x80
	s_mov_b32 s8, exec_lo
	s_delay_alu instid0(VALU_DEP_2) | instskip(NEXT) | instid1(VALU_DEP_1)
	v_and_b32_e32 v6, 0x7fffffff, v3
	v_cmpx_gt_u32_e32 0x43800000, v6
	s_cbranch_execz .LBB191_3872
; %bb.3867:
	v_cmp_lt_u32_e32 vcc_lo, 0x3bffffff, v6
	s_mov_b32 s9, 0
                                        ; implicit-def: $vgpr6
	s_and_saveexec_b32 s13, vcc_lo
	s_delay_alu instid0(SALU_CYCLE_1)
	s_xor_b32 s13, exec_lo, s13
	s_cbranch_execz .LBB191_4207
; %bb.3868:
	v_bfe_u32 v6, v3, 20, 1
	s_mov_b32 s9, exec_lo
	s_delay_alu instid0(VALU_DEP_1) | instskip(NEXT) | instid1(VALU_DEP_1)
	v_add3_u32 v6, v3, v6, 0x487ffff
	v_lshrrev_b32_e32 v6, 20, v6
	s_and_not1_saveexec_b32 s13, s13
	s_cbranch_execnz .LBB191_4208
.LBB191_3869:
	s_or_b32 exec_lo, exec_lo, s13
	v_mov_b32_e32 v7, 0
	s_and_saveexec_b32 s13, s9
.LBB191_3870:
	v_lshrrev_b32_e32 v3, 24, v3
	s_delay_alu instid0(VALU_DEP_1)
	v_and_or_b32 v7, 0x80, v3, v6
.LBB191_3871:
	s_or_b32 exec_lo, exec_lo, s13
.LBB191_3872:
	s_delay_alu instid0(SALU_CYCLE_1)
	s_or_b32 exec_lo, exec_lo, s8
	global_store_b8 v[4:5], v7, off
.LBB191_3873:
	s_mov_b32 s8, -1
.LBB191_3874:
	s_mov_b32 s9, 0
.LBB191_3875:
	s_delay_alu instid0(SALU_CYCLE_1)
	s_and_b32 vcc_lo, exec_lo, s9
	s_cbranch_vccz .LBB191_3915
; %bb.3876:
	s_cmp_gt_i32 s3, 22
	s_mov_b32 s7, -1
	s_cbranch_scc0 .LBB191_3908
; %bb.3877:
	s_cmp_lt_i32 s3, 24
	s_cbranch_scc1 .LBB191_3897
; %bb.3878:
	s_cmp_gt_i32 s3, 24
	s_cbranch_scc0 .LBB191_3886
; %bb.3879:
	s_wait_xcnt 0x0
	v_cvt_f32_f16_e32 v3, v1
	v_mov_b32_e32 v7, 0x80
	s_mov_b32 s7, exec_lo
	s_delay_alu instid0(VALU_DEP_2) | instskip(NEXT) | instid1(VALU_DEP_1)
	v_and_b32_e32 v6, 0x7fffffff, v3
	v_cmpx_gt_u32_e32 0x47800000, v6
	s_cbranch_execz .LBB191_3885
; %bb.3880:
	v_cmp_lt_u32_e32 vcc_lo, 0x37ffffff, v6
	s_mov_b32 s8, 0
                                        ; implicit-def: $vgpr6
	s_and_saveexec_b32 s9, vcc_lo
	s_delay_alu instid0(SALU_CYCLE_1)
	s_xor_b32 s9, exec_lo, s9
	s_cbranch_execz .LBB191_4210
; %bb.3881:
	v_bfe_u32 v6, v3, 21, 1
	s_mov_b32 s8, exec_lo
	s_delay_alu instid0(VALU_DEP_1) | instskip(NEXT) | instid1(VALU_DEP_1)
	v_add3_u32 v6, v3, v6, 0x88fffff
	v_lshrrev_b32_e32 v6, 21, v6
	s_and_not1_saveexec_b32 s9, s9
	s_cbranch_execnz .LBB191_4211
.LBB191_3882:
	s_or_b32 exec_lo, exec_lo, s9
	v_mov_b32_e32 v7, 0
	s_and_saveexec_b32 s9, s8
.LBB191_3883:
	v_lshrrev_b32_e32 v3, 24, v3
	s_delay_alu instid0(VALU_DEP_1)
	v_and_or_b32 v7, 0x80, v3, v6
.LBB191_3884:
	s_or_b32 exec_lo, exec_lo, s9
.LBB191_3885:
	s_delay_alu instid0(SALU_CYCLE_1)
	s_or_b32 exec_lo, exec_lo, s7
	s_mov_b32 s7, 0
	global_store_b8 v[4:5], v7, off
.LBB191_3886:
	s_and_b32 vcc_lo, exec_lo, s7
	s_cbranch_vccz .LBB191_3896
; %bb.3887:
	s_wait_xcnt 0x0
	v_cvt_f32_f16_e32 v3, v1
	s_mov_b32 s7, exec_lo
                                        ; implicit-def: $vgpr6
	s_delay_alu instid0(VALU_DEP_1) | instskip(NEXT) | instid1(VALU_DEP_1)
	v_and_b32_e32 v7, 0x7fffffff, v3
	v_cmpx_gt_u32_e32 0x43f00000, v7
	s_xor_b32 s7, exec_lo, s7
	s_cbranch_execz .LBB191_3893
; %bb.3888:
	s_mov_b32 s8, exec_lo
                                        ; implicit-def: $vgpr6
	v_cmpx_lt_u32_e32 0x3c7fffff, v7
	s_xor_b32 s8, exec_lo, s8
; %bb.3889:
	v_bfe_u32 v6, v3, 20, 1
	s_delay_alu instid0(VALU_DEP_1) | instskip(NEXT) | instid1(VALU_DEP_1)
	v_add3_u32 v6, v3, v6, 0x407ffff
	v_and_b32_e32 v7, 0xff00000, v6
	v_lshrrev_b32_e32 v6, 20, v6
	s_delay_alu instid0(VALU_DEP_2) | instskip(NEXT) | instid1(VALU_DEP_2)
	v_cmp_ne_u32_e32 vcc_lo, 0x7f00000, v7
	v_cndmask_b32_e32 v6, 0x7e, v6, vcc_lo
; %bb.3890:
	s_and_not1_saveexec_b32 s8, s8
; %bb.3891:
	v_add_f32_e64 v6, 0x46800000, |v3|
; %bb.3892:
	s_or_b32 exec_lo, exec_lo, s8
                                        ; implicit-def: $vgpr7
.LBB191_3893:
	s_and_not1_saveexec_b32 s7, s7
; %bb.3894:
	v_mov_b32_e32 v6, 0x7f
	v_cmp_lt_u32_e32 vcc_lo, 0x7f800000, v7
	s_delay_alu instid0(VALU_DEP_2)
	v_cndmask_b32_e32 v6, 0x7e, v6, vcc_lo
; %bb.3895:
	s_or_b32 exec_lo, exec_lo, s7
	v_lshrrev_b32_e32 v3, 24, v3
	s_delay_alu instid0(VALU_DEP_1)
	v_and_or_b32 v3, 0x80, v3, v6
	global_store_b8 v[4:5], v3, off
.LBB191_3896:
	s_mov_b32 s7, 0
.LBB191_3897:
	s_delay_alu instid0(SALU_CYCLE_1)
	s_and_not1_b32 vcc_lo, exec_lo, s7
	s_cbranch_vccnz .LBB191_3907
; %bb.3898:
	s_wait_xcnt 0x0
	v_cvt_f32_f16_e32 v3, v1
	s_mov_b32 s7, exec_lo
                                        ; implicit-def: $vgpr6
	s_delay_alu instid0(VALU_DEP_1) | instskip(NEXT) | instid1(VALU_DEP_1)
	v_and_b32_e32 v7, 0x7fffffff, v3
	v_cmpx_gt_u32_e32 0x47800000, v7
	s_xor_b32 s7, exec_lo, s7
	s_cbranch_execz .LBB191_3904
; %bb.3899:
	s_mov_b32 s8, exec_lo
                                        ; implicit-def: $vgpr6
	v_cmpx_lt_u32_e32 0x387fffff, v7
	s_xor_b32 s8, exec_lo, s8
; %bb.3900:
	v_bfe_u32 v6, v3, 21, 1
	s_delay_alu instid0(VALU_DEP_1) | instskip(NEXT) | instid1(VALU_DEP_1)
	v_add3_u32 v6, v3, v6, 0x80fffff
	v_lshrrev_b32_e32 v6, 21, v6
; %bb.3901:
	s_and_not1_saveexec_b32 s8, s8
; %bb.3902:
	v_add_f32_e64 v6, 0x43000000, |v3|
; %bb.3903:
	s_or_b32 exec_lo, exec_lo, s8
                                        ; implicit-def: $vgpr7
.LBB191_3904:
	s_and_not1_saveexec_b32 s7, s7
; %bb.3905:
	v_mov_b32_e32 v6, 0x7f
	v_cmp_lt_u32_e32 vcc_lo, 0x7f800000, v7
	s_delay_alu instid0(VALU_DEP_2)
	v_cndmask_b32_e32 v6, 0x7c, v6, vcc_lo
; %bb.3906:
	s_or_b32 exec_lo, exec_lo, s7
	v_lshrrev_b32_e32 v3, 24, v3
	s_delay_alu instid0(VALU_DEP_1)
	v_and_or_b32 v3, 0x80, v3, v6
	global_store_b8 v[4:5], v3, off
.LBB191_3907:
	s_mov_b32 s7, 0
	s_mov_b32 s8, -1
.LBB191_3908:
	s_and_not1_b32 vcc_lo, exec_lo, s7
	s_mov_b32 s7, 0
	s_cbranch_vccnz .LBB191_3915
; %bb.3909:
	s_cmp_gt_i32 s3, 14
	s_mov_b32 s7, -1
	s_cbranch_scc0 .LBB191_3913
; %bb.3910:
	s_cmp_eq_u32 s3, 15
	s_mov_b32 s0, -1
	s_cbranch_scc0 .LBB191_3912
; %bb.3911:
	s_wait_xcnt 0x0
	v_cvt_f32_f16_e32 v3, v1
	v_cmp_o_f16_e32 vcc_lo, v1, v1
	s_mov_b32 s0, 0
	s_mov_b32 s8, -1
	s_delay_alu instid0(VALU_DEP_2) | instskip(NEXT) | instid1(VALU_DEP_1)
	v_bfe_u32 v6, v3, 16, 1
	v_add3_u32 v3, v3, v6, 0x7fff
	s_delay_alu instid0(VALU_DEP_1) | instskip(NEXT) | instid1(VALU_DEP_1)
	v_lshrrev_b32_e32 v3, 16, v3
	v_cndmask_b32_e32 v3, 0x7fc0, v3, vcc_lo
	global_store_b16 v[4:5], v3, off
.LBB191_3912:
	s_mov_b32 s7, 0
.LBB191_3913:
	s_delay_alu instid0(SALU_CYCLE_1)
	s_and_b32 vcc_lo, exec_lo, s7
	s_mov_b32 s7, 0
	s_cbranch_vccz .LBB191_3915
; %bb.3914:
	s_cmp_lg_u32 s3, 11
	s_mov_b32 s7, -1
	s_cselect_b32 s0, -1, 0
.LBB191_3915:
	s_delay_alu instid0(SALU_CYCLE_1)
	s_and_b32 vcc_lo, exec_lo, s0
	s_cbranch_vccnz .LBB191_4209
; %bb.3916:
	s_and_not1_b32 vcc_lo, exec_lo, s7
	s_cbranch_vccnz .LBB191_3918
.LBB191_3917:
	v_cmp_neq_f16_e32 vcc_lo, 0, v1
	s_mov_b32 s8, -1
	s_wait_xcnt 0x0
	v_cndmask_b32_e64 v3, 0, 1, vcc_lo
	global_store_b8 v[4:5], v3, off
.LBB191_3918:
	s_mov_b32 s0, 0
	s_branch .LBB191_3920
.LBB191_3919:
	s_mov_b32 s0, -1
	s_mov_b32 s8, 0
.LBB191_3920:
	s_and_b32 vcc_lo, exec_lo, s0
	s_cbranch_vccz .LBB191_3959
; %bb.3921:
	s_cmp_lt_i32 s3, 5
	s_mov_b32 s0, -1
	s_cbranch_scc1 .LBB191_3942
; %bb.3922:
	s_cmp_lt_i32 s3, 8
	s_cbranch_scc1 .LBB191_3932
; %bb.3923:
	s_cmp_lt_i32 s3, 9
	s_cbranch_scc1 .LBB191_3929
; %bb.3924:
	s_cmp_gt_i32 s3, 9
	s_cbranch_scc0 .LBB191_3926
; %bb.3925:
	s_wait_xcnt 0x0
	v_cvt_f32_f16_e32 v3, v1
	v_mov_b32_e32 v8, 0
	s_mov_b32 s0, 0
	s_delay_alu instid0(VALU_DEP_2) | instskip(NEXT) | instid1(VALU_DEP_2)
	v_cvt_f64_f32_e32 v[6:7], v3
	v_mov_b32_e32 v9, v8
	global_store_b128 v[4:5], v[6:9], off
.LBB191_3926:
	s_and_not1_b32 vcc_lo, exec_lo, s0
	s_cbranch_vccnz .LBB191_3928
; %bb.3927:
	s_wait_xcnt 0x0
	v_cvt_f32_f16_e32 v6, v1
	v_mov_b32_e32 v7, 0
	global_store_b64 v[4:5], v[6:7], off
.LBB191_3928:
	s_mov_b32 s0, 0
.LBB191_3929:
	s_delay_alu instid0(SALU_CYCLE_1)
	s_and_not1_b32 vcc_lo, exec_lo, s0
	s_cbranch_vccnz .LBB191_3931
; %bb.3930:
	s_wait_xcnt 0x0
	v_and_b32_e32 v3, 0xffff, v1
	global_store_b32 v[4:5], v3, off
.LBB191_3931:
	s_mov_b32 s0, 0
.LBB191_3932:
	s_delay_alu instid0(SALU_CYCLE_1)
	s_and_not1_b32 vcc_lo, exec_lo, s0
	s_cbranch_vccnz .LBB191_3941
; %bb.3933:
	s_cmp_lt_i32 s3, 6
	s_mov_b32 s0, -1
	s_cbranch_scc1 .LBB191_3939
; %bb.3934:
	s_cmp_gt_i32 s3, 6
	s_cbranch_scc0 .LBB191_3936
; %bb.3935:
	s_wait_xcnt 0x0
	v_cvt_f32_f16_e32 v3, v1
	s_mov_b32 s0, 0
	s_delay_alu instid0(VALU_DEP_1)
	v_cvt_f64_f32_e32 v[6:7], v3
	global_store_b64 v[4:5], v[6:7], off
.LBB191_3936:
	s_and_not1_b32 vcc_lo, exec_lo, s0
	s_cbranch_vccnz .LBB191_3938
; %bb.3937:
	s_wait_xcnt 0x0
	v_cvt_f32_f16_e32 v3, v1
	global_store_b32 v[4:5], v3, off
.LBB191_3938:
	s_mov_b32 s0, 0
.LBB191_3939:
	s_delay_alu instid0(SALU_CYCLE_1)
	s_and_not1_b32 vcc_lo, exec_lo, s0
	s_cbranch_vccnz .LBB191_3941
; %bb.3940:
	global_store_b16 v[4:5], v1, off
.LBB191_3941:
	s_mov_b32 s0, 0
.LBB191_3942:
	s_delay_alu instid0(SALU_CYCLE_1)
	s_and_not1_b32 vcc_lo, exec_lo, s0
	s_cbranch_vccnz .LBB191_3958
; %bb.3943:
	s_cmp_lt_i32 s3, 2
	s_mov_b32 s0, -1
	s_cbranch_scc1 .LBB191_3953
; %bb.3944:
	s_cmp_lt_i32 s3, 3
	s_cbranch_scc1 .LBB191_3950
; %bb.3945:
	s_cmp_gt_i32 s3, 3
	s_cbranch_scc0 .LBB191_3947
; %bb.3946:
	s_wait_xcnt 0x0
	v_cvt_f32_f16_e32 v3, v1
	s_mov_b32 s0, 0
	s_delay_alu instid0(VALU_DEP_1) | instskip(NEXT) | instid1(VALU_DEP_1)
	v_cvt_i32_f32_e32 v6, v3
	v_ashrrev_i32_e32 v7, 31, v6
	global_store_b64 v[4:5], v[6:7], off
.LBB191_3947:
	s_and_not1_b32 vcc_lo, exec_lo, s0
	s_cbranch_vccnz .LBB191_3949
; %bb.3948:
	s_wait_xcnt 0x0
	v_cvt_f32_f16_e32 v3, v1
	s_delay_alu instid0(VALU_DEP_1)
	v_cvt_i32_f32_e32 v3, v3
	global_store_b32 v[4:5], v3, off
.LBB191_3949:
	s_mov_b32 s0, 0
.LBB191_3950:
	s_delay_alu instid0(SALU_CYCLE_1)
	s_and_not1_b32 vcc_lo, exec_lo, s0
	s_cbranch_vccnz .LBB191_3952
; %bb.3951:
	s_wait_xcnt 0x0
	v_cvt_i16_f16_e32 v3, v1
	global_store_b16 v[4:5], v3, off
.LBB191_3952:
	s_mov_b32 s0, 0
.LBB191_3953:
	s_delay_alu instid0(SALU_CYCLE_1)
	s_and_not1_b32 vcc_lo, exec_lo, s0
	s_cbranch_vccnz .LBB191_3958
; %bb.3954:
	s_cmp_gt_i32 s3, 0
	s_mov_b32 s0, -1
	s_cbranch_scc0 .LBB191_3956
; %bb.3955:
	s_wait_xcnt 0x0
	v_cvt_i16_f16_e32 v3, v1
	s_mov_b32 s0, 0
	global_store_b8 v[4:5], v3, off
.LBB191_3956:
	s_and_not1_b32 vcc_lo, exec_lo, s0
	s_cbranch_vccnz .LBB191_3958
; %bb.3957:
	s_wait_xcnt 0x0
	v_cvt_f32_f16_e32 v1, v1
	s_delay_alu instid0(VALU_DEP_1)
	v_cvt_i32_f32_e32 v1, v1
	global_store_b8 v[4:5], v1, off
.LBB191_3958:
	s_mov_b32 s8, -1
.LBB191_3959:
	s_delay_alu instid0(SALU_CYCLE_1)
	s_and_not1_b32 vcc_lo, exec_lo, s8
	s_cbranch_vccnz .LBB191_4155
; %bb.3960:
	s_wait_xcnt 0x0
	v_mul_f16_e32 v1, s6, v18
	v_mov_b32_e32 v3, 0
	s_cmp_lt_i32 s3, 11
	s_delay_alu instid0(VALU_DEP_2) | instskip(NEXT) | instid1(VALU_DEP_2)
	v_mul_f16_e32 v1, v1, v16
	v_add_nc_u64_e32 v[2:3], s[4:5], v[2:3]
	s_delay_alu instid0(VALU_DEP_2)
	v_fmac_f16_e32 v1, s2, v20
	s_cbranch_scc1 .LBB191_4038
; %bb.3961:
	s_mov_b32 s9, -1
	s_mov_b32 s7, 0
	s_cmp_gt_i32 s3, 25
	s_mov_b32 s8, 0
	s_mov_b32 s0, 0
	s_cbranch_scc0 .LBB191_3994
; %bb.3962:
	s_cmp_gt_i32 s3, 28
	s_cbranch_scc0 .LBB191_3977
; %bb.3963:
	s_cmp_gt_i32 s3, 43
	;; [unrolled: 3-line block ×3, first 2 shown]
	s_cbranch_scc0 .LBB191_3967
; %bb.3965:
	s_mov_b32 s0, -1
	s_mov_b32 s9, 0
	s_cmp_eq_u32 s3, 46
	s_cbranch_scc0 .LBB191_3967
; %bb.3966:
	v_cvt_f32_f16_e32 v4, v1
	v_cmp_o_f16_e32 vcc_lo, v1, v1
	s_mov_b32 s0, 0
	s_mov_b32 s8, -1
	s_delay_alu instid0(VALU_DEP_2) | instskip(NEXT) | instid1(VALU_DEP_1)
	v_bfe_u32 v5, v4, 16, 1
	v_add3_u32 v4, v4, v5, 0x7fff
	s_delay_alu instid0(VALU_DEP_1) | instskip(NEXT) | instid1(VALU_DEP_1)
	v_lshrrev_b32_e32 v4, 16, v4
	v_cndmask_b32_e32 v4, 0x7fc0, v4, vcc_lo
	global_store_b32 v[2:3], v4, off
.LBB191_3967:
	s_and_b32 vcc_lo, exec_lo, s9
	s_cbranch_vccz .LBB191_3972
; %bb.3968:
	s_cmp_eq_u32 s3, 44
	s_mov_b32 s0, -1
	s_cbranch_scc0 .LBB191_3972
; %bb.3969:
	s_wait_xcnt 0x0
	v_cvt_f32_f16_e32 v4, v1
	v_mov_b32_e32 v5, 0xff
	s_mov_b32 s8, exec_lo
	s_delay_alu instid0(VALU_DEP_2) | instskip(NEXT) | instid1(VALU_DEP_1)
	v_bfe_u32 v6, v4, 23, 8
	v_cmpx_ne_u32_e32 0xff, v6
	s_cbranch_execz .LBB191_3971
; %bb.3970:
	v_and_b32_e32 v5, 0x400000, v4
	v_and_or_b32 v6, 0x3fffff, v4, v6
	v_lshrrev_b32_e32 v4, 23, v4
	s_delay_alu instid0(VALU_DEP_3) | instskip(NEXT) | instid1(VALU_DEP_3)
	v_cmp_ne_u32_e32 vcc_lo, 0, v5
	v_cmp_ne_u32_e64 s0, 0, v6
	s_and_b32 s0, vcc_lo, s0
	s_delay_alu instid0(SALU_CYCLE_1) | instskip(NEXT) | instid1(VALU_DEP_1)
	v_cndmask_b32_e64 v5, 0, 1, s0
	v_add_nc_u32_e32 v5, v4, v5
.LBB191_3971:
	s_or_b32 exec_lo, exec_lo, s8
	s_mov_b32 s0, 0
	s_mov_b32 s8, -1
	global_store_b8 v[2:3], v5, off
.LBB191_3972:
	s_mov_b32 s9, 0
.LBB191_3973:
	s_delay_alu instid0(SALU_CYCLE_1)
	s_and_b32 vcc_lo, exec_lo, s9
	s_cbranch_vccz .LBB191_3976
; %bb.3974:
	s_cmp_eq_u32 s3, 29
	s_mov_b32 s0, -1
	s_cbranch_scc0 .LBB191_3976
; %bb.3975:
	s_wait_xcnt 0x0
	v_cvt_f32_f16_e32 v4, v1
	v_mov_b32_e32 v5, 0
	s_mov_b32 s0, 0
	s_mov_b32 s8, -1
	s_delay_alu instid0(VALU_DEP_2)
	v_cvt_u32_f32_e32 v4, v4
	global_store_b64 v[2:3], v[4:5], off
.LBB191_3976:
	s_mov_b32 s9, 0
.LBB191_3977:
	s_delay_alu instid0(SALU_CYCLE_1)
	s_and_b32 vcc_lo, exec_lo, s9
	s_cbranch_vccz .LBB191_3993
; %bb.3978:
	s_cmp_lt_i32 s3, 27
	s_mov_b32 s8, -1
	s_cbranch_scc1 .LBB191_3984
; %bb.3979:
	s_cmp_gt_i32 s3, 27
	s_cbranch_scc0 .LBB191_3981
; %bb.3980:
	s_wait_xcnt 0x0
	v_cvt_f32_f16_e32 v4, v1
	s_mov_b32 s8, 0
	s_delay_alu instid0(VALU_DEP_1)
	v_cvt_u32_f32_e32 v4, v4
	global_store_b32 v[2:3], v4, off
.LBB191_3981:
	s_and_not1_b32 vcc_lo, exec_lo, s8
	s_cbranch_vccnz .LBB191_3983
; %bb.3982:
	s_wait_xcnt 0x0
	v_cvt_u16_f16_e32 v4, v1
	global_store_b16 v[2:3], v4, off
.LBB191_3983:
	s_mov_b32 s8, 0
.LBB191_3984:
	s_delay_alu instid0(SALU_CYCLE_1)
	s_and_not1_b32 vcc_lo, exec_lo, s8
	s_cbranch_vccnz .LBB191_3992
; %bb.3985:
	s_wait_xcnt 0x0
	v_cvt_f32_f16_e32 v4, v1
	v_mov_b32_e32 v6, 0x80
	s_mov_b32 s8, exec_lo
	s_delay_alu instid0(VALU_DEP_2) | instskip(NEXT) | instid1(VALU_DEP_1)
	v_and_b32_e32 v5, 0x7fffffff, v4
	v_cmpx_gt_u32_e32 0x43800000, v5
	s_cbranch_execz .LBB191_3991
; %bb.3986:
	v_cmp_lt_u32_e32 vcc_lo, 0x3bffffff, v5
	s_mov_b32 s9, 0
                                        ; implicit-def: $vgpr5
	s_and_saveexec_b32 s13, vcc_lo
	s_delay_alu instid0(SALU_CYCLE_1)
	s_xor_b32 s13, exec_lo, s13
	s_cbranch_execz .LBB191_4212
; %bb.3987:
	v_bfe_u32 v5, v4, 20, 1
	s_mov_b32 s9, exec_lo
	s_delay_alu instid0(VALU_DEP_1) | instskip(NEXT) | instid1(VALU_DEP_1)
	v_add3_u32 v5, v4, v5, 0x487ffff
	v_lshrrev_b32_e32 v5, 20, v5
	s_and_not1_saveexec_b32 s13, s13
	s_cbranch_execnz .LBB191_4213
.LBB191_3988:
	s_or_b32 exec_lo, exec_lo, s13
	v_mov_b32_e32 v6, 0
	s_and_saveexec_b32 s13, s9
.LBB191_3989:
	v_lshrrev_b32_e32 v4, 24, v4
	s_delay_alu instid0(VALU_DEP_1)
	v_and_or_b32 v6, 0x80, v4, v5
.LBB191_3990:
	s_or_b32 exec_lo, exec_lo, s13
.LBB191_3991:
	s_delay_alu instid0(SALU_CYCLE_1)
	s_or_b32 exec_lo, exec_lo, s8
	global_store_b8 v[2:3], v6, off
.LBB191_3992:
	s_mov_b32 s8, -1
.LBB191_3993:
	s_mov_b32 s9, 0
.LBB191_3994:
	s_delay_alu instid0(SALU_CYCLE_1)
	s_and_b32 vcc_lo, exec_lo, s9
	s_cbranch_vccz .LBB191_4034
; %bb.3995:
	s_cmp_gt_i32 s3, 22
	s_mov_b32 s7, -1
	s_cbranch_scc0 .LBB191_4027
; %bb.3996:
	s_cmp_lt_i32 s3, 24
	s_cbranch_scc1 .LBB191_4016
; %bb.3997:
	s_cmp_gt_i32 s3, 24
	s_cbranch_scc0 .LBB191_4005
; %bb.3998:
	s_wait_xcnt 0x0
	v_cvt_f32_f16_e32 v4, v1
	v_mov_b32_e32 v6, 0x80
	s_mov_b32 s7, exec_lo
	s_delay_alu instid0(VALU_DEP_2) | instskip(NEXT) | instid1(VALU_DEP_1)
	v_and_b32_e32 v5, 0x7fffffff, v4
	v_cmpx_gt_u32_e32 0x47800000, v5
	s_cbranch_execz .LBB191_4004
; %bb.3999:
	v_cmp_lt_u32_e32 vcc_lo, 0x37ffffff, v5
	s_mov_b32 s8, 0
                                        ; implicit-def: $vgpr5
	s_and_saveexec_b32 s9, vcc_lo
	s_delay_alu instid0(SALU_CYCLE_1)
	s_xor_b32 s9, exec_lo, s9
	s_cbranch_execz .LBB191_4215
; %bb.4000:
	v_bfe_u32 v5, v4, 21, 1
	s_mov_b32 s8, exec_lo
	s_delay_alu instid0(VALU_DEP_1) | instskip(NEXT) | instid1(VALU_DEP_1)
	v_add3_u32 v5, v4, v5, 0x88fffff
	v_lshrrev_b32_e32 v5, 21, v5
	s_and_not1_saveexec_b32 s9, s9
	s_cbranch_execnz .LBB191_4216
.LBB191_4001:
	s_or_b32 exec_lo, exec_lo, s9
	v_mov_b32_e32 v6, 0
	s_and_saveexec_b32 s9, s8
.LBB191_4002:
	v_lshrrev_b32_e32 v4, 24, v4
	s_delay_alu instid0(VALU_DEP_1)
	v_and_or_b32 v6, 0x80, v4, v5
.LBB191_4003:
	s_or_b32 exec_lo, exec_lo, s9
.LBB191_4004:
	s_delay_alu instid0(SALU_CYCLE_1)
	s_or_b32 exec_lo, exec_lo, s7
	s_mov_b32 s7, 0
	global_store_b8 v[2:3], v6, off
.LBB191_4005:
	s_and_b32 vcc_lo, exec_lo, s7
	s_cbranch_vccz .LBB191_4015
; %bb.4006:
	s_wait_xcnt 0x0
	v_cvt_f32_f16_e32 v4, v1
	s_mov_b32 s7, exec_lo
                                        ; implicit-def: $vgpr5
	s_delay_alu instid0(VALU_DEP_1) | instskip(NEXT) | instid1(VALU_DEP_1)
	v_and_b32_e32 v6, 0x7fffffff, v4
	v_cmpx_gt_u32_e32 0x43f00000, v6
	s_xor_b32 s7, exec_lo, s7
	s_cbranch_execz .LBB191_4012
; %bb.4007:
	s_mov_b32 s8, exec_lo
                                        ; implicit-def: $vgpr5
	v_cmpx_lt_u32_e32 0x3c7fffff, v6
	s_xor_b32 s8, exec_lo, s8
; %bb.4008:
	v_bfe_u32 v5, v4, 20, 1
	s_delay_alu instid0(VALU_DEP_1) | instskip(NEXT) | instid1(VALU_DEP_1)
	v_add3_u32 v5, v4, v5, 0x407ffff
	v_and_b32_e32 v6, 0xff00000, v5
	v_lshrrev_b32_e32 v5, 20, v5
	s_delay_alu instid0(VALU_DEP_2) | instskip(NEXT) | instid1(VALU_DEP_2)
	v_cmp_ne_u32_e32 vcc_lo, 0x7f00000, v6
	v_cndmask_b32_e32 v5, 0x7e, v5, vcc_lo
; %bb.4009:
	s_and_not1_saveexec_b32 s8, s8
; %bb.4010:
	v_add_f32_e64 v5, 0x46800000, |v4|
; %bb.4011:
	s_or_b32 exec_lo, exec_lo, s8
                                        ; implicit-def: $vgpr6
.LBB191_4012:
	s_and_not1_saveexec_b32 s7, s7
; %bb.4013:
	v_mov_b32_e32 v5, 0x7f
	v_cmp_lt_u32_e32 vcc_lo, 0x7f800000, v6
	s_delay_alu instid0(VALU_DEP_2)
	v_cndmask_b32_e32 v5, 0x7e, v5, vcc_lo
; %bb.4014:
	s_or_b32 exec_lo, exec_lo, s7
	v_lshrrev_b32_e32 v4, 24, v4
	s_delay_alu instid0(VALU_DEP_1)
	v_and_or_b32 v4, 0x80, v4, v5
	global_store_b8 v[2:3], v4, off
.LBB191_4015:
	s_mov_b32 s7, 0
.LBB191_4016:
	s_delay_alu instid0(SALU_CYCLE_1)
	s_and_not1_b32 vcc_lo, exec_lo, s7
	s_cbranch_vccnz .LBB191_4026
; %bb.4017:
	s_wait_xcnt 0x0
	v_cvt_f32_f16_e32 v4, v1
	s_mov_b32 s7, exec_lo
                                        ; implicit-def: $vgpr5
	s_delay_alu instid0(VALU_DEP_1) | instskip(NEXT) | instid1(VALU_DEP_1)
	v_and_b32_e32 v6, 0x7fffffff, v4
	v_cmpx_gt_u32_e32 0x47800000, v6
	s_xor_b32 s7, exec_lo, s7
	s_cbranch_execz .LBB191_4023
; %bb.4018:
	s_mov_b32 s8, exec_lo
                                        ; implicit-def: $vgpr5
	v_cmpx_lt_u32_e32 0x387fffff, v6
	s_xor_b32 s8, exec_lo, s8
; %bb.4019:
	v_bfe_u32 v5, v4, 21, 1
	s_delay_alu instid0(VALU_DEP_1) | instskip(NEXT) | instid1(VALU_DEP_1)
	v_add3_u32 v5, v4, v5, 0x80fffff
	v_lshrrev_b32_e32 v5, 21, v5
; %bb.4020:
	s_and_not1_saveexec_b32 s8, s8
; %bb.4021:
	v_add_f32_e64 v5, 0x43000000, |v4|
; %bb.4022:
	s_or_b32 exec_lo, exec_lo, s8
                                        ; implicit-def: $vgpr6
.LBB191_4023:
	s_and_not1_saveexec_b32 s7, s7
; %bb.4024:
	v_mov_b32_e32 v5, 0x7f
	v_cmp_lt_u32_e32 vcc_lo, 0x7f800000, v6
	s_delay_alu instid0(VALU_DEP_2)
	v_cndmask_b32_e32 v5, 0x7c, v5, vcc_lo
; %bb.4025:
	s_or_b32 exec_lo, exec_lo, s7
	v_lshrrev_b32_e32 v4, 24, v4
	s_delay_alu instid0(VALU_DEP_1)
	v_and_or_b32 v4, 0x80, v4, v5
	global_store_b8 v[2:3], v4, off
.LBB191_4026:
	s_mov_b32 s7, 0
	s_mov_b32 s8, -1
.LBB191_4027:
	s_and_not1_b32 vcc_lo, exec_lo, s7
	s_mov_b32 s7, 0
	s_cbranch_vccnz .LBB191_4034
; %bb.4028:
	s_cmp_gt_i32 s3, 14
	s_mov_b32 s7, -1
	s_cbranch_scc0 .LBB191_4032
; %bb.4029:
	s_cmp_eq_u32 s3, 15
	s_mov_b32 s0, -1
	s_cbranch_scc0 .LBB191_4031
; %bb.4030:
	s_wait_xcnt 0x0
	v_cvt_f32_f16_e32 v4, v1
	v_cmp_o_f16_e32 vcc_lo, v1, v1
	s_mov_b32 s0, 0
	s_mov_b32 s8, -1
	s_delay_alu instid0(VALU_DEP_2) | instskip(NEXT) | instid1(VALU_DEP_1)
	v_bfe_u32 v5, v4, 16, 1
	v_add3_u32 v4, v4, v5, 0x7fff
	s_delay_alu instid0(VALU_DEP_1) | instskip(NEXT) | instid1(VALU_DEP_1)
	v_lshrrev_b32_e32 v4, 16, v4
	v_cndmask_b32_e32 v4, 0x7fc0, v4, vcc_lo
	global_store_b16 v[2:3], v4, off
.LBB191_4031:
	s_mov_b32 s7, 0
.LBB191_4032:
	s_delay_alu instid0(SALU_CYCLE_1)
	s_and_b32 vcc_lo, exec_lo, s7
	s_mov_b32 s7, 0
	s_cbranch_vccz .LBB191_4034
; %bb.4033:
	s_cmp_lg_u32 s3, 11
	s_mov_b32 s7, -1
	s_cselect_b32 s0, -1, 0
.LBB191_4034:
	s_delay_alu instid0(SALU_CYCLE_1)
	s_and_b32 vcc_lo, exec_lo, s0
	s_cbranch_vccnz .LBB191_4214
; %bb.4035:
	s_and_not1_b32 vcc_lo, exec_lo, s7
	s_cbranch_vccnz .LBB191_4037
.LBB191_4036:
	v_cmp_neq_f16_e32 vcc_lo, 0, v1
	s_mov_b32 s8, -1
	s_wait_xcnt 0x0
	v_cndmask_b32_e64 v4, 0, 1, vcc_lo
	global_store_b8 v[2:3], v4, off
.LBB191_4037:
	s_mov_b32 s0, 0
	s_branch .LBB191_4039
.LBB191_4038:
	s_mov_b32 s0, -1
	s_mov_b32 s8, 0
.LBB191_4039:
	s_and_b32 vcc_lo, exec_lo, s0
	s_cbranch_vccz .LBB191_4078
; %bb.4040:
	s_cmp_lt_i32 s3, 5
	s_mov_b32 s0, -1
	s_cbranch_scc1 .LBB191_4061
; %bb.4041:
	s_cmp_lt_i32 s3, 8
	s_cbranch_scc1 .LBB191_4051
; %bb.4042:
	s_cmp_lt_i32 s3, 9
	s_cbranch_scc1 .LBB191_4048
; %bb.4043:
	s_cmp_gt_i32 s3, 9
	s_cbranch_scc0 .LBB191_4045
; %bb.4044:
	s_wait_xcnt 0x0
	v_cvt_f32_f16_e32 v4, v1
	v_mov_b32_e32 v6, 0
	s_mov_b32 s0, 0
	s_delay_alu instid0(VALU_DEP_2) | instskip(NEXT) | instid1(VALU_DEP_2)
	v_cvt_f64_f32_e32 v[4:5], v4
	v_mov_b32_e32 v7, v6
	global_store_b128 v[2:3], v[4:7], off
.LBB191_4045:
	s_and_not1_b32 vcc_lo, exec_lo, s0
	s_cbranch_vccnz .LBB191_4047
; %bb.4046:
	s_wait_xcnt 0x0
	v_cvt_f32_f16_e32 v4, v1
	v_mov_b32_e32 v5, 0
	global_store_b64 v[2:3], v[4:5], off
.LBB191_4047:
	s_mov_b32 s0, 0
.LBB191_4048:
	s_delay_alu instid0(SALU_CYCLE_1)
	s_and_not1_b32 vcc_lo, exec_lo, s0
	s_cbranch_vccnz .LBB191_4050
; %bb.4049:
	s_wait_xcnt 0x0
	v_and_b32_e32 v4, 0xffff, v1
	global_store_b32 v[2:3], v4, off
.LBB191_4050:
	s_mov_b32 s0, 0
.LBB191_4051:
	s_delay_alu instid0(SALU_CYCLE_1)
	s_and_not1_b32 vcc_lo, exec_lo, s0
	s_cbranch_vccnz .LBB191_4060
; %bb.4052:
	s_cmp_lt_i32 s3, 6
	s_mov_b32 s0, -1
	s_cbranch_scc1 .LBB191_4058
; %bb.4053:
	s_cmp_gt_i32 s3, 6
	s_cbranch_scc0 .LBB191_4055
; %bb.4054:
	s_wait_xcnt 0x0
	v_cvt_f32_f16_e32 v4, v1
	s_mov_b32 s0, 0
	s_delay_alu instid0(VALU_DEP_1)
	v_cvt_f64_f32_e32 v[4:5], v4
	global_store_b64 v[2:3], v[4:5], off
.LBB191_4055:
	s_and_not1_b32 vcc_lo, exec_lo, s0
	s_cbranch_vccnz .LBB191_4057
; %bb.4056:
	s_wait_xcnt 0x0
	v_cvt_f32_f16_e32 v4, v1
	global_store_b32 v[2:3], v4, off
.LBB191_4057:
	s_mov_b32 s0, 0
.LBB191_4058:
	s_delay_alu instid0(SALU_CYCLE_1)
	s_and_not1_b32 vcc_lo, exec_lo, s0
	s_cbranch_vccnz .LBB191_4060
; %bb.4059:
	global_store_b16 v[2:3], v1, off
.LBB191_4060:
	s_mov_b32 s0, 0
.LBB191_4061:
	s_delay_alu instid0(SALU_CYCLE_1)
	s_and_not1_b32 vcc_lo, exec_lo, s0
	s_cbranch_vccnz .LBB191_4077
; %bb.4062:
	s_cmp_lt_i32 s3, 2
	s_mov_b32 s0, -1
	s_cbranch_scc1 .LBB191_4072
; %bb.4063:
	s_cmp_lt_i32 s3, 3
	s_cbranch_scc1 .LBB191_4069
; %bb.4064:
	s_cmp_gt_i32 s3, 3
	s_cbranch_scc0 .LBB191_4066
; %bb.4065:
	s_wait_xcnt 0x0
	v_cvt_f32_f16_e32 v4, v1
	s_mov_b32 s0, 0
	s_delay_alu instid0(VALU_DEP_1) | instskip(NEXT) | instid1(VALU_DEP_1)
	v_cvt_i32_f32_e32 v4, v4
	v_ashrrev_i32_e32 v5, 31, v4
	global_store_b64 v[2:3], v[4:5], off
.LBB191_4066:
	s_and_not1_b32 vcc_lo, exec_lo, s0
	s_cbranch_vccnz .LBB191_4068
; %bb.4067:
	s_wait_xcnt 0x0
	v_cvt_f32_f16_e32 v4, v1
	s_delay_alu instid0(VALU_DEP_1)
	v_cvt_i32_f32_e32 v4, v4
	global_store_b32 v[2:3], v4, off
.LBB191_4068:
	s_mov_b32 s0, 0
.LBB191_4069:
	s_delay_alu instid0(SALU_CYCLE_1)
	s_and_not1_b32 vcc_lo, exec_lo, s0
	s_cbranch_vccnz .LBB191_4071
; %bb.4070:
	s_wait_xcnt 0x0
	v_cvt_i16_f16_e32 v4, v1
	global_store_b16 v[2:3], v4, off
.LBB191_4071:
	s_mov_b32 s0, 0
.LBB191_4072:
	s_delay_alu instid0(SALU_CYCLE_1)
	s_and_not1_b32 vcc_lo, exec_lo, s0
	s_cbranch_vccnz .LBB191_4077
; %bb.4073:
	s_cmp_gt_i32 s3, 0
	s_mov_b32 s0, -1
	s_cbranch_scc0 .LBB191_4075
; %bb.4074:
	s_wait_xcnt 0x0
	v_cvt_i16_f16_e32 v4, v1
	s_mov_b32 s0, 0
	global_store_b8 v[2:3], v4, off
.LBB191_4075:
	s_and_not1_b32 vcc_lo, exec_lo, s0
	s_cbranch_vccnz .LBB191_4077
; %bb.4076:
	s_wait_xcnt 0x0
	v_cvt_f32_f16_e32 v1, v1
	s_delay_alu instid0(VALU_DEP_1)
	v_cvt_i32_f32_e32 v1, v1
	global_store_b8 v[2:3], v1, off
.LBB191_4077:
	s_mov_b32 s8, -1
.LBB191_4078:
	s_delay_alu instid0(SALU_CYCLE_1)
	s_and_not1_b32 vcc_lo, exec_lo, s8
	s_cbranch_vccnz .LBB191_4155
; %bb.4079:
	s_wait_xcnt 0x0
	v_mul_f16_e32 v2, s6, v12
	v_mov_b32_e32 v1, 0
	s_cmp_lt_i32 s3, 11
	s_delay_alu instid0(VALU_DEP_2) | instskip(NEXT) | instid1(VALU_DEP_2)
	v_mul_f16_e32 v4, v2, v10
	v_add_nc_u64_e32 v[2:3], s[4:5], v[0:1]
	s_delay_alu instid0(VALU_DEP_2)
	v_fmac_f16_e32 v4, s2, v14
	s_cbranch_scc1 .LBB191_4200
; %bb.4080:
	s_mov_b32 s4, -1
	s_mov_b32 s2, 0
	s_cmp_gt_i32 s3, 25
	s_mov_b32 s0, 0
	s_cbranch_scc0 .LBB191_4113
; %bb.4081:
	s_cmp_gt_i32 s3, 28
	s_cbranch_scc0 .LBB191_4097
; %bb.4082:
	s_cmp_gt_i32 s3, 43
	;; [unrolled: 3-line block ×3, first 2 shown]
	s_cbranch_scc0 .LBB191_4087
; %bb.4084:
	s_cmp_eq_u32 s3, 46
	s_mov_b32 s0, -1
	s_cbranch_scc0 .LBB191_4086
; %bb.4085:
	v_cvt_f32_f16_e32 v0, v4
	v_cmp_o_f16_e32 vcc_lo, v4, v4
	s_mov_b32 s0, 0
	s_delay_alu instid0(VALU_DEP_2) | instskip(NEXT) | instid1(VALU_DEP_1)
	v_bfe_u32 v1, v0, 16, 1
	v_add3_u32 v0, v0, v1, 0x7fff
	s_delay_alu instid0(VALU_DEP_1) | instskip(NEXT) | instid1(VALU_DEP_1)
	v_lshrrev_b32_e32 v0, 16, v0
	v_cndmask_b32_e32 v0, 0x7fc0, v0, vcc_lo
	global_store_b32 v[2:3], v0, off
.LBB191_4086:
	s_mov_b32 s4, 0
.LBB191_4087:
	s_delay_alu instid0(SALU_CYCLE_1)
	s_and_b32 vcc_lo, exec_lo, s4
	s_cbranch_vccz .LBB191_4092
; %bb.4088:
	s_cmp_eq_u32 s3, 44
	s_mov_b32 s0, -1
	s_cbranch_scc0 .LBB191_4092
; %bb.4089:
	s_wait_xcnt 0x0
	v_cvt_f32_f16_e32 v0, v4
	v_mov_b32_e32 v1, 0xff
	s_mov_b32 s4, exec_lo
	s_delay_alu instid0(VALU_DEP_2) | instskip(NEXT) | instid1(VALU_DEP_1)
	v_bfe_u32 v5, v0, 23, 8
	v_cmpx_ne_u32_e32 0xff, v5
	s_cbranch_execz .LBB191_4091
; %bb.4090:
	v_and_b32_e32 v1, 0x400000, v0
	v_and_or_b32 v5, 0x3fffff, v0, v5
	v_lshrrev_b32_e32 v0, 23, v0
	s_delay_alu instid0(VALU_DEP_3) | instskip(NEXT) | instid1(VALU_DEP_3)
	v_cmp_ne_u32_e32 vcc_lo, 0, v1
	v_cmp_ne_u32_e64 s0, 0, v5
	s_and_b32 s0, vcc_lo, s0
	s_delay_alu instid0(SALU_CYCLE_1) | instskip(NEXT) | instid1(VALU_DEP_1)
	v_cndmask_b32_e64 v1, 0, 1, s0
	v_add_nc_u32_e32 v1, v0, v1
.LBB191_4091:
	s_or_b32 exec_lo, exec_lo, s4
	s_mov_b32 s0, 0
	global_store_b8 v[2:3], v1, off
.LBB191_4092:
	s_mov_b32 s4, 0
.LBB191_4093:
	s_delay_alu instid0(SALU_CYCLE_1)
	s_and_b32 vcc_lo, exec_lo, s4
	s_cbranch_vccz .LBB191_4096
; %bb.4094:
	s_cmp_eq_u32 s3, 29
	s_mov_b32 s0, -1
	s_cbranch_scc0 .LBB191_4096
; %bb.4095:
	s_wait_xcnt 0x0
	v_cvt_f32_f16_e32 v0, v4
	v_mov_b32_e32 v1, 0
	s_mov_b32 s0, 0
	s_delay_alu instid0(VALU_DEP_2)
	v_cvt_u32_f32_e32 v0, v0
	global_store_b64 v[2:3], v[0:1], off
.LBB191_4096:
	s_mov_b32 s4, 0
.LBB191_4097:
	s_delay_alu instid0(SALU_CYCLE_1)
	s_and_b32 vcc_lo, exec_lo, s4
	s_cbranch_vccz .LBB191_4112
; %bb.4098:
	s_cmp_lt_i32 s3, 27
	s_mov_b32 s4, -1
	s_cbranch_scc1 .LBB191_4104
; %bb.4099:
	s_cmp_gt_i32 s3, 27
	s_cbranch_scc0 .LBB191_4101
; %bb.4100:
	s_wait_xcnt 0x0
	v_cvt_f32_f16_e32 v0, v4
	s_mov_b32 s4, 0
	s_delay_alu instid0(VALU_DEP_1)
	v_cvt_u32_f32_e32 v0, v0
	global_store_b32 v[2:3], v0, off
.LBB191_4101:
	s_and_not1_b32 vcc_lo, exec_lo, s4
	s_cbranch_vccnz .LBB191_4103
; %bb.4102:
	s_wait_xcnt 0x0
	v_cvt_u16_f16_e32 v0, v4
	global_store_b16 v[2:3], v0, off
.LBB191_4103:
	s_mov_b32 s4, 0
.LBB191_4104:
	s_delay_alu instid0(SALU_CYCLE_1)
	s_and_not1_b32 vcc_lo, exec_lo, s4
	s_cbranch_vccnz .LBB191_4112
; %bb.4105:
	s_wait_xcnt 0x0
	v_cvt_f32_f16_e32 v0, v4
	v_mov_b32_e32 v5, 0x80
	s_mov_b32 s4, exec_lo
	s_delay_alu instid0(VALU_DEP_2) | instskip(NEXT) | instid1(VALU_DEP_1)
	v_and_b32_e32 v1, 0x7fffffff, v0
	v_cmpx_gt_u32_e32 0x43800000, v1
	s_cbranch_execz .LBB191_4111
; %bb.4106:
	v_cmp_lt_u32_e32 vcc_lo, 0x3bffffff, v1
	s_mov_b32 s5, 0
                                        ; implicit-def: $vgpr1
	s_and_saveexec_b32 s6, vcc_lo
	s_delay_alu instid0(SALU_CYCLE_1)
	s_xor_b32 s6, exec_lo, s6
	s_cbranch_execz .LBB191_4217
; %bb.4107:
	v_bfe_u32 v1, v0, 20, 1
	s_mov_b32 s5, exec_lo
	s_delay_alu instid0(VALU_DEP_1) | instskip(NEXT) | instid1(VALU_DEP_1)
	v_add3_u32 v1, v0, v1, 0x487ffff
	v_lshrrev_b32_e32 v1, 20, v1
	s_and_not1_saveexec_b32 s6, s6
	s_cbranch_execnz .LBB191_4218
.LBB191_4108:
	s_or_b32 exec_lo, exec_lo, s6
	v_mov_b32_e32 v5, 0
	s_and_saveexec_b32 s6, s5
.LBB191_4109:
	v_lshrrev_b32_e32 v0, 24, v0
	s_delay_alu instid0(VALU_DEP_1)
	v_and_or_b32 v5, 0x80, v0, v1
.LBB191_4110:
	s_or_b32 exec_lo, exec_lo, s6
.LBB191_4111:
	s_delay_alu instid0(SALU_CYCLE_1)
	s_or_b32 exec_lo, exec_lo, s4
	global_store_b8 v[2:3], v5, off
.LBB191_4112:
	s_mov_b32 s4, 0
.LBB191_4113:
	s_delay_alu instid0(SALU_CYCLE_1)
	s_and_b32 vcc_lo, exec_lo, s4
	s_cbranch_vccz .LBB191_4153
; %bb.4114:
	s_cmp_gt_i32 s3, 22
	s_mov_b32 s2, -1
	s_cbranch_scc0 .LBB191_4146
; %bb.4115:
	s_cmp_lt_i32 s3, 24
	s_cbranch_scc1 .LBB191_4135
; %bb.4116:
	s_cmp_gt_i32 s3, 24
	s_cbranch_scc0 .LBB191_4124
; %bb.4117:
	s_wait_xcnt 0x0
	v_cvt_f32_f16_e32 v0, v4
	v_mov_b32_e32 v5, 0x80
	s_mov_b32 s2, exec_lo
	s_delay_alu instid0(VALU_DEP_2) | instskip(NEXT) | instid1(VALU_DEP_1)
	v_and_b32_e32 v1, 0x7fffffff, v0
	v_cmpx_gt_u32_e32 0x47800000, v1
	s_cbranch_execz .LBB191_4123
; %bb.4118:
	v_cmp_lt_u32_e32 vcc_lo, 0x37ffffff, v1
	s_mov_b32 s4, 0
                                        ; implicit-def: $vgpr1
	s_and_saveexec_b32 s5, vcc_lo
	s_delay_alu instid0(SALU_CYCLE_1)
	s_xor_b32 s5, exec_lo, s5
	s_cbranch_execz .LBB191_4220
; %bb.4119:
	v_bfe_u32 v1, v0, 21, 1
	s_mov_b32 s4, exec_lo
	s_delay_alu instid0(VALU_DEP_1) | instskip(NEXT) | instid1(VALU_DEP_1)
	v_add3_u32 v1, v0, v1, 0x88fffff
	v_lshrrev_b32_e32 v1, 21, v1
	s_and_not1_saveexec_b32 s5, s5
	s_cbranch_execnz .LBB191_4221
.LBB191_4120:
	s_or_b32 exec_lo, exec_lo, s5
	v_mov_b32_e32 v5, 0
	s_and_saveexec_b32 s5, s4
.LBB191_4121:
	v_lshrrev_b32_e32 v0, 24, v0
	s_delay_alu instid0(VALU_DEP_1)
	v_and_or_b32 v5, 0x80, v0, v1
.LBB191_4122:
	s_or_b32 exec_lo, exec_lo, s5
.LBB191_4123:
	s_delay_alu instid0(SALU_CYCLE_1)
	s_or_b32 exec_lo, exec_lo, s2
	s_mov_b32 s2, 0
	global_store_b8 v[2:3], v5, off
.LBB191_4124:
	s_and_b32 vcc_lo, exec_lo, s2
	s_cbranch_vccz .LBB191_4134
; %bb.4125:
	s_wait_xcnt 0x0
	v_cvt_f32_f16_e32 v0, v4
	s_mov_b32 s2, exec_lo
                                        ; implicit-def: $vgpr1
	s_delay_alu instid0(VALU_DEP_1) | instskip(NEXT) | instid1(VALU_DEP_1)
	v_and_b32_e32 v5, 0x7fffffff, v0
	v_cmpx_gt_u32_e32 0x43f00000, v5
	s_xor_b32 s2, exec_lo, s2
	s_cbranch_execz .LBB191_4131
; %bb.4126:
	s_mov_b32 s4, exec_lo
                                        ; implicit-def: $vgpr1
	v_cmpx_lt_u32_e32 0x3c7fffff, v5
	s_xor_b32 s4, exec_lo, s4
; %bb.4127:
	v_bfe_u32 v1, v0, 20, 1
	s_delay_alu instid0(VALU_DEP_1) | instskip(NEXT) | instid1(VALU_DEP_1)
	v_add3_u32 v1, v0, v1, 0x407ffff
	v_and_b32_e32 v5, 0xff00000, v1
	v_lshrrev_b32_e32 v1, 20, v1
	s_delay_alu instid0(VALU_DEP_2) | instskip(NEXT) | instid1(VALU_DEP_2)
	v_cmp_ne_u32_e32 vcc_lo, 0x7f00000, v5
	v_cndmask_b32_e32 v1, 0x7e, v1, vcc_lo
; %bb.4128:
	s_and_not1_saveexec_b32 s4, s4
; %bb.4129:
	v_add_f32_e64 v1, 0x46800000, |v0|
; %bb.4130:
	s_or_b32 exec_lo, exec_lo, s4
                                        ; implicit-def: $vgpr5
.LBB191_4131:
	s_and_not1_saveexec_b32 s2, s2
; %bb.4132:
	v_mov_b32_e32 v1, 0x7f
	v_cmp_lt_u32_e32 vcc_lo, 0x7f800000, v5
	s_delay_alu instid0(VALU_DEP_2)
	v_cndmask_b32_e32 v1, 0x7e, v1, vcc_lo
; %bb.4133:
	s_or_b32 exec_lo, exec_lo, s2
	v_lshrrev_b32_e32 v0, 24, v0
	s_delay_alu instid0(VALU_DEP_1)
	v_and_or_b32 v0, 0x80, v0, v1
	global_store_b8 v[2:3], v0, off
.LBB191_4134:
	s_mov_b32 s2, 0
.LBB191_4135:
	s_delay_alu instid0(SALU_CYCLE_1)
	s_and_not1_b32 vcc_lo, exec_lo, s2
	s_cbranch_vccnz .LBB191_4145
; %bb.4136:
	s_wait_xcnt 0x0
	v_cvt_f32_f16_e32 v0, v4
	s_mov_b32 s2, exec_lo
                                        ; implicit-def: $vgpr1
	s_delay_alu instid0(VALU_DEP_1) | instskip(NEXT) | instid1(VALU_DEP_1)
	v_and_b32_e32 v5, 0x7fffffff, v0
	v_cmpx_gt_u32_e32 0x47800000, v5
	s_xor_b32 s2, exec_lo, s2
	s_cbranch_execz .LBB191_4142
; %bb.4137:
	s_mov_b32 s4, exec_lo
                                        ; implicit-def: $vgpr1
	v_cmpx_lt_u32_e32 0x387fffff, v5
	s_xor_b32 s4, exec_lo, s4
; %bb.4138:
	v_bfe_u32 v1, v0, 21, 1
	s_delay_alu instid0(VALU_DEP_1) | instskip(NEXT) | instid1(VALU_DEP_1)
	v_add3_u32 v1, v0, v1, 0x80fffff
	v_lshrrev_b32_e32 v1, 21, v1
; %bb.4139:
	s_and_not1_saveexec_b32 s4, s4
; %bb.4140:
	v_add_f32_e64 v1, 0x43000000, |v0|
; %bb.4141:
	s_or_b32 exec_lo, exec_lo, s4
                                        ; implicit-def: $vgpr5
.LBB191_4142:
	s_and_not1_saveexec_b32 s2, s2
; %bb.4143:
	v_mov_b32_e32 v1, 0x7f
	v_cmp_lt_u32_e32 vcc_lo, 0x7f800000, v5
	s_delay_alu instid0(VALU_DEP_2)
	v_cndmask_b32_e32 v1, 0x7c, v1, vcc_lo
; %bb.4144:
	s_or_b32 exec_lo, exec_lo, s2
	v_lshrrev_b32_e32 v0, 24, v0
	s_delay_alu instid0(VALU_DEP_1)
	v_and_or_b32 v0, 0x80, v0, v1
	global_store_b8 v[2:3], v0, off
.LBB191_4145:
	s_mov_b32 s2, 0
.LBB191_4146:
	s_delay_alu instid0(SALU_CYCLE_1)
	s_and_not1_b32 vcc_lo, exec_lo, s2
	s_mov_b32 s2, 0
	s_cbranch_vccnz .LBB191_4153
; %bb.4147:
	s_cmp_gt_i32 s3, 14
	s_mov_b32 s2, -1
	s_cbranch_scc0 .LBB191_4151
; %bb.4148:
	s_cmp_eq_u32 s3, 15
	s_mov_b32 s0, -1
	s_cbranch_scc0 .LBB191_4150
; %bb.4149:
	s_wait_xcnt 0x0
	v_cvt_f32_f16_e32 v0, v4
	v_cmp_o_f16_e32 vcc_lo, v4, v4
	s_mov_b32 s0, 0
	s_delay_alu instid0(VALU_DEP_2) | instskip(NEXT) | instid1(VALU_DEP_1)
	v_bfe_u32 v1, v0, 16, 1
	v_add3_u32 v0, v0, v1, 0x7fff
	s_delay_alu instid0(VALU_DEP_1) | instskip(NEXT) | instid1(VALU_DEP_1)
	v_lshrrev_b32_e32 v0, 16, v0
	v_cndmask_b32_e32 v0, 0x7fc0, v0, vcc_lo
	global_store_b16 v[2:3], v0, off
.LBB191_4150:
	s_mov_b32 s2, 0
.LBB191_4151:
	s_delay_alu instid0(SALU_CYCLE_1)
	s_and_b32 vcc_lo, exec_lo, s2
	s_mov_b32 s2, 0
	s_cbranch_vccz .LBB191_4153
; %bb.4152:
	s_cmp_lg_u32 s3, 11
	s_mov_b32 s2, -1
	s_cselect_b32 s0, -1, 0
.LBB191_4153:
	s_delay_alu instid0(SALU_CYCLE_1)
	s_and_b32 vcc_lo, exec_lo, s0
	s_cbranch_vccnz .LBB191_4219
.LBB191_4154:
	s_mov_b32 s0, 0
	s_branch .LBB191_4156
.LBB191_4155:
	s_mov_b32 s0, 0
	s_mov_b32 s2, 0
                                        ; implicit-def: $vgpr2_vgpr3
                                        ; implicit-def: $sgpr1
                                        ; implicit-def: $vgpr4
.LBB191_4156:
	s_and_not1_b32 s3, s10, exec_lo
	s_and_b32 s4, s12, exec_lo
	s_and_b32 s0, s0, exec_lo
	;; [unrolled: 1-line block ×3, first 2 shown]
	s_or_b32 s10, s3, s4
.LBB191_4157:
	s_wait_xcnt 0x0
	s_or_b32 exec_lo, exec_lo, s11
	s_and_saveexec_b32 s2, s10
	s_cbranch_execz .LBB191_4160
; %bb.4158:
	; divergent unreachable
	s_or_b32 exec_lo, exec_lo, s2
	s_and_saveexec_b32 s2, s37
	s_delay_alu instid0(SALU_CYCLE_1)
	s_xor_b32 s2, exec_lo, s2
	s_cbranch_execnz .LBB191_4161
.LBB191_4159:
	s_or_b32 exec_lo, exec_lo, s2
	s_and_saveexec_b32 s2, s0
	s_cbranch_execnz .LBB191_4162
	s_branch .LBB191_4199
.LBB191_4160:
	s_or_b32 exec_lo, exec_lo, s2
	s_and_saveexec_b32 s2, s37
	s_delay_alu instid0(SALU_CYCLE_1)
	s_xor_b32 s2, exec_lo, s2
	s_cbranch_execz .LBB191_4159
.LBB191_4161:
	v_cmp_neq_f16_e32 vcc_lo, 0, v4
	v_cndmask_b32_e64 v0, 0, 1, vcc_lo
	s_wait_loadcnt 0x0
	global_store_b8 v[2:3], v0, off
	s_wait_xcnt 0x0
	s_or_b32 exec_lo, exec_lo, s2
	s_and_saveexec_b32 s2, s0
	s_cbranch_execz .LBB191_4199
.LBB191_4162:
	s_sext_i32_i16 s2, s1
	s_mov_b32 s0, -1
	s_cmp_lt_i32 s2, 5
	s_cbranch_scc1 .LBB191_4183
; %bb.4163:
	s_cmp_lt_i32 s2, 8
	s_cbranch_scc1 .LBB191_4173
; %bb.4164:
	;; [unrolled: 3-line block ×3, first 2 shown]
	s_cmp_gt_i32 s2, 9
	s_cbranch_scc0 .LBB191_4167
; %bb.4166:
	v_cvt_f32_f16_e32 v0, v4
	v_mov_b32_e32 v8, 0
	s_mov_b32 s0, 0
	s_wait_loadcnt 0x0
	s_delay_alu instid0(VALU_DEP_2) | instskip(NEXT) | instid1(VALU_DEP_2)
	v_cvt_f64_f32_e32 v[6:7], v0
	v_mov_b32_e32 v9, v8
	global_store_b128 v[2:3], v[6:9], off
.LBB191_4167:
	s_and_not1_b32 vcc_lo, exec_lo, s0
	s_cbranch_vccnz .LBB191_4169
; %bb.4168:
	v_cvt_f32_f16_e32 v0, v4
	s_wait_loadcnt 0x0
	v_mov_b32_e32 v1, 0
	global_store_b64 v[2:3], v[0:1], off
.LBB191_4169:
	s_mov_b32 s0, 0
.LBB191_4170:
	s_delay_alu instid0(SALU_CYCLE_1)
	s_and_not1_b32 vcc_lo, exec_lo, s0
	s_cbranch_vccnz .LBB191_4172
; %bb.4171:
	s_wait_xcnt 0x0
	v_and_b32_e32 v0, 0xffff, v4
	s_wait_loadcnt 0x0
	global_store_b32 v[2:3], v0, off
.LBB191_4172:
	s_mov_b32 s0, 0
.LBB191_4173:
	s_delay_alu instid0(SALU_CYCLE_1)
	s_and_not1_b32 vcc_lo, exec_lo, s0
	s_cbranch_vccnz .LBB191_4182
; %bb.4174:
	s_sext_i32_i16 s2, s1
	s_mov_b32 s0, -1
	s_cmp_lt_i32 s2, 6
	s_cbranch_scc1 .LBB191_4180
; %bb.4175:
	s_cmp_gt_i32 s2, 6
	s_cbranch_scc0 .LBB191_4177
; %bb.4176:
	s_wait_xcnt 0x0
	v_cvt_f32_f16_e32 v0, v4
	s_mov_b32 s0, 0
	s_wait_loadcnt 0x0
	s_delay_alu instid0(VALU_DEP_1)
	v_cvt_f64_f32_e32 v[0:1], v0
	global_store_b64 v[2:3], v[0:1], off
.LBB191_4177:
	s_and_not1_b32 vcc_lo, exec_lo, s0
	s_cbranch_vccnz .LBB191_4179
; %bb.4178:
	s_wait_xcnt 0x0
	v_cvt_f32_f16_e32 v0, v4
	s_wait_loadcnt 0x0
	global_store_b32 v[2:3], v0, off
.LBB191_4179:
	s_mov_b32 s0, 0
.LBB191_4180:
	s_delay_alu instid0(SALU_CYCLE_1)
	s_and_not1_b32 vcc_lo, exec_lo, s0
	s_cbranch_vccnz .LBB191_4182
; %bb.4181:
	s_wait_loadcnt 0x0
	global_store_b16 v[2:3], v4, off
.LBB191_4182:
	s_mov_b32 s0, 0
.LBB191_4183:
	s_delay_alu instid0(SALU_CYCLE_1)
	s_and_not1_b32 vcc_lo, exec_lo, s0
	s_cbranch_vccnz .LBB191_4199
; %bb.4184:
	s_sext_i32_i16 s2, s1
	s_mov_b32 s0, -1
	s_cmp_lt_i32 s2, 2
	s_cbranch_scc1 .LBB191_4194
; %bb.4185:
	s_cmp_lt_i32 s2, 3
	s_cbranch_scc1 .LBB191_4191
; %bb.4186:
	s_cmp_gt_i32 s2, 3
	s_cbranch_scc0 .LBB191_4188
; %bb.4187:
	s_wait_xcnt 0x0
	v_cvt_f32_f16_e32 v0, v4
	s_mov_b32 s0, 0
	s_delay_alu instid0(VALU_DEP_1) | instskip(SKIP_1) | instid1(VALU_DEP_1)
	v_cvt_i32_f32_e32 v0, v0
	s_wait_loadcnt 0x0
	v_ashrrev_i32_e32 v1, 31, v0
	global_store_b64 v[2:3], v[0:1], off
.LBB191_4188:
	s_and_not1_b32 vcc_lo, exec_lo, s0
	s_cbranch_vccnz .LBB191_4190
; %bb.4189:
	s_wait_xcnt 0x0
	v_cvt_f32_f16_e32 v0, v4
	s_delay_alu instid0(VALU_DEP_1)
	v_cvt_i32_f32_e32 v0, v0
	s_wait_loadcnt 0x0
	global_store_b32 v[2:3], v0, off
.LBB191_4190:
	s_mov_b32 s0, 0
.LBB191_4191:
	s_delay_alu instid0(SALU_CYCLE_1)
	s_and_not1_b32 vcc_lo, exec_lo, s0
	s_cbranch_vccnz .LBB191_4193
; %bb.4192:
	s_wait_xcnt 0x0
	v_cvt_i16_f16_e32 v0, v4
	s_wait_loadcnt 0x0
	global_store_b16 v[2:3], v0, off
.LBB191_4193:
	s_mov_b32 s0, 0
.LBB191_4194:
	s_delay_alu instid0(SALU_CYCLE_1)
	s_and_not1_b32 vcc_lo, exec_lo, s0
	s_cbranch_vccnz .LBB191_4199
; %bb.4195:
	s_sext_i32_i16 s0, s1
	s_delay_alu instid0(SALU_CYCLE_1)
	s_cmp_gt_i32 s0, 0
	s_mov_b32 s0, -1
	s_cbranch_scc0 .LBB191_4197
; %bb.4196:
	s_wait_xcnt 0x0
	v_cvt_i16_f16_e32 v0, v4
	s_mov_b32 s0, 0
	s_wait_loadcnt 0x0
	global_store_b8 v[2:3], v0, off
.LBB191_4197:
	s_and_not1_b32 vcc_lo, exec_lo, s0
	s_cbranch_vccnz .LBB191_4199
; %bb.4198:
	s_wait_xcnt 0x0
	v_cvt_f32_f16_e32 v0, v4
	s_delay_alu instid0(VALU_DEP_1)
	v_cvt_i32_f32_e32 v0, v0
	s_wait_loadcnt 0x0
	global_store_b8 v[2:3], v0, off
	s_endpgm
.LBB191_4199:
	s_endpgm
.LBB191_4200:
	s_mov_b32 s2, 0
	s_mov_b32 s0, -1
	s_branch .LBB191_4156
.LBB191_4201:
	s_or_b32 s12, s12, exec_lo
	s_trap 2
	s_cbranch_execz .LBB191_3670
	s_branch .LBB191_3671
.LBB191_4202:
	s_and_not1_saveexec_b32 s13, s13
	s_cbranch_execz .LBB191_3750
.LBB191_4203:
	v_add_f32_e64 v5, 0x46000000, |v1|
	s_and_not1_b32 s9, s9, exec_lo
	s_delay_alu instid0(VALU_DEP_1) | instskip(NEXT) | instid1(VALU_DEP_1)
	v_and_b32_e32 v5, 0xff, v5
	v_cmp_ne_u32_e32 vcc_lo, 0, v5
	s_and_b32 s14, vcc_lo, exec_lo
	s_delay_alu instid0(SALU_CYCLE_1)
	s_or_b32 s9, s9, s14
	s_or_b32 exec_lo, exec_lo, s13
	v_mov_b32_e32 v8, 0
	s_and_saveexec_b32 s13, s9
	s_cbranch_execnz .LBB191_3751
	s_branch .LBB191_3752
.LBB191_4204:
	s_or_b32 s12, s12, exec_lo
	s_trap 2
	s_cbranch_execz .LBB191_3798
	s_branch .LBB191_3799
.LBB191_4205:
	s_and_not1_saveexec_b32 s9, s9
	s_cbranch_execz .LBB191_3763
.LBB191_4206:
	v_add_f32_e64 v5, 0x42800000, |v1|
	s_and_not1_b32 s8, s8, exec_lo
	s_delay_alu instid0(VALU_DEP_1) | instskip(NEXT) | instid1(VALU_DEP_1)
	v_and_b32_e32 v5, 0xff, v5
	v_cmp_ne_u32_e32 vcc_lo, 0, v5
	s_and_b32 s13, vcc_lo, exec_lo
	s_delay_alu instid0(SALU_CYCLE_1)
	s_or_b32 s8, s8, s13
	s_or_b32 exec_lo, exec_lo, s9
	v_mov_b32_e32 v8, 0
	s_and_saveexec_b32 s9, s8
	s_cbranch_execnz .LBB191_3764
	s_branch .LBB191_3765
.LBB191_4207:
	s_and_not1_saveexec_b32 s13, s13
	s_cbranch_execz .LBB191_3869
.LBB191_4208:
	v_add_f32_e64 v6, 0x46000000, |v3|
	s_and_not1_b32 s9, s9, exec_lo
	s_delay_alu instid0(VALU_DEP_1) | instskip(NEXT) | instid1(VALU_DEP_1)
	v_and_b32_e32 v6, 0xff, v6
	v_cmp_ne_u32_e32 vcc_lo, 0, v6
	s_and_b32 s14, vcc_lo, exec_lo
	s_delay_alu instid0(SALU_CYCLE_1)
	s_or_b32 s9, s9, s14
	s_or_b32 exec_lo, exec_lo, s13
	v_mov_b32_e32 v7, 0
	s_and_saveexec_b32 s13, s9
	s_cbranch_execnz .LBB191_3870
	s_branch .LBB191_3871
.LBB191_4209:
	s_or_b32 s12, s12, exec_lo
	s_trap 2
	s_cbranch_execz .LBB191_3917
	s_branch .LBB191_3918
.LBB191_4210:
	s_and_not1_saveexec_b32 s9, s9
	s_cbranch_execz .LBB191_3882
.LBB191_4211:
	v_add_f32_e64 v6, 0x42800000, |v3|
	s_and_not1_b32 s8, s8, exec_lo
	s_delay_alu instid0(VALU_DEP_1) | instskip(NEXT) | instid1(VALU_DEP_1)
	v_and_b32_e32 v6, 0xff, v6
	v_cmp_ne_u32_e32 vcc_lo, 0, v6
	s_and_b32 s13, vcc_lo, exec_lo
	s_delay_alu instid0(SALU_CYCLE_1)
	s_or_b32 s8, s8, s13
	s_or_b32 exec_lo, exec_lo, s9
	v_mov_b32_e32 v7, 0
	s_and_saveexec_b32 s9, s8
	s_cbranch_execnz .LBB191_3883
	s_branch .LBB191_3884
.LBB191_4212:
	s_and_not1_saveexec_b32 s13, s13
	s_cbranch_execz .LBB191_3988
.LBB191_4213:
	v_add_f32_e64 v5, 0x46000000, |v4|
	s_and_not1_b32 s9, s9, exec_lo
	s_delay_alu instid0(VALU_DEP_1) | instskip(NEXT) | instid1(VALU_DEP_1)
	v_and_b32_e32 v5, 0xff, v5
	v_cmp_ne_u32_e32 vcc_lo, 0, v5
	s_and_b32 s14, vcc_lo, exec_lo
	s_delay_alu instid0(SALU_CYCLE_1)
	s_or_b32 s9, s9, s14
	s_or_b32 exec_lo, exec_lo, s13
	v_mov_b32_e32 v6, 0
	s_and_saveexec_b32 s13, s9
	s_cbranch_execnz .LBB191_3989
	s_branch .LBB191_3990
.LBB191_4214:
	s_or_b32 s12, s12, exec_lo
	s_trap 2
	s_cbranch_execz .LBB191_4036
	s_branch .LBB191_4037
.LBB191_4215:
	s_and_not1_saveexec_b32 s9, s9
	s_cbranch_execz .LBB191_4001
.LBB191_4216:
	v_add_f32_e64 v5, 0x42800000, |v4|
	s_and_not1_b32 s8, s8, exec_lo
	s_delay_alu instid0(VALU_DEP_1) | instskip(NEXT) | instid1(VALU_DEP_1)
	v_and_b32_e32 v5, 0xff, v5
	v_cmp_ne_u32_e32 vcc_lo, 0, v5
	s_and_b32 s13, vcc_lo, exec_lo
	s_delay_alu instid0(SALU_CYCLE_1)
	s_or_b32 s8, s8, s13
	s_or_b32 exec_lo, exec_lo, s9
	v_mov_b32_e32 v6, 0
	s_and_saveexec_b32 s9, s8
	s_cbranch_execnz .LBB191_4002
	s_branch .LBB191_4003
.LBB191_4217:
	s_and_not1_saveexec_b32 s6, s6
	s_cbranch_execz .LBB191_4108
.LBB191_4218:
	v_add_f32_e64 v1, 0x46000000, |v0|
	s_and_not1_b32 s5, s5, exec_lo
	s_delay_alu instid0(VALU_DEP_1) | instskip(NEXT) | instid1(VALU_DEP_1)
	v_and_b32_e32 v1, 0xff, v1
	v_cmp_ne_u32_e32 vcc_lo, 0, v1
	s_and_b32 s7, vcc_lo, exec_lo
	s_delay_alu instid0(SALU_CYCLE_1)
	s_or_b32 s5, s5, s7
	s_or_b32 exec_lo, exec_lo, s6
	v_mov_b32_e32 v5, 0
	s_and_saveexec_b32 s6, s5
	s_cbranch_execnz .LBB191_4109
	s_branch .LBB191_4110
.LBB191_4219:
	s_mov_b32 s2, 0
	s_or_b32 s12, s12, exec_lo
	s_trap 2
	s_branch .LBB191_4154
.LBB191_4220:
	s_and_not1_saveexec_b32 s5, s5
	s_cbranch_execz .LBB191_4120
.LBB191_4221:
	v_add_f32_e64 v1, 0x42800000, |v0|
	s_and_not1_b32 s4, s4, exec_lo
	s_delay_alu instid0(VALU_DEP_1) | instskip(NEXT) | instid1(VALU_DEP_1)
	v_and_b32_e32 v1, 0xff, v1
	v_cmp_ne_u32_e32 vcc_lo, 0, v1
	s_and_b32 s6, vcc_lo, exec_lo
	s_delay_alu instid0(SALU_CYCLE_1)
	s_or_b32 s4, s4, s6
	s_or_b32 exec_lo, exec_lo, s5
	v_mov_b32_e32 v5, 0
	s_and_saveexec_b32 s5, s4
	s_cbranch_execnz .LBB191_4121
	s_branch .LBB191_4122
	.section	.rodata,"a",@progbits
	.p2align	6, 0x0
	.amdhsa_kernel _ZN2at6native32elementwise_kernel_manual_unrollILi128ELi4EZNS0_15gpu_kernel_implIZZZNS0_12_GLOBAL__N_116addr_kernel_cudaERNS_14TensorIteratorERKN3c106ScalarES9_ENKUlvE_clEvENKUlvE9_clEvEUlNS6_4HalfESC_SC_E0_EEvRNS_18TensorIteratorBaseERKT_EUlibE0_EEviT1_
		.amdhsa_group_segment_fixed_size 0
		.amdhsa_private_segment_fixed_size 0
		.amdhsa_kernarg_size 504
		.amdhsa_user_sgpr_count 2
		.amdhsa_user_sgpr_dispatch_ptr 0
		.amdhsa_user_sgpr_queue_ptr 0
		.amdhsa_user_sgpr_kernarg_segment_ptr 1
		.amdhsa_user_sgpr_dispatch_id 0
		.amdhsa_user_sgpr_kernarg_preload_length 0
		.amdhsa_user_sgpr_kernarg_preload_offset 0
		.amdhsa_user_sgpr_private_segment_size 0
		.amdhsa_wavefront_size32 1
		.amdhsa_uses_dynamic_stack 0
		.amdhsa_enable_private_segment 0
		.amdhsa_system_sgpr_workgroup_id_x 1
		.amdhsa_system_sgpr_workgroup_id_y 0
		.amdhsa_system_sgpr_workgroup_id_z 0
		.amdhsa_system_sgpr_workgroup_info 0
		.amdhsa_system_vgpr_workitem_id 0
		.amdhsa_next_free_vgpr 34
		.amdhsa_next_free_sgpr 76
		.amdhsa_named_barrier_count 0
		.amdhsa_reserve_vcc 1
		.amdhsa_float_round_mode_32 0
		.amdhsa_float_round_mode_16_64 0
		.amdhsa_float_denorm_mode_32 3
		.amdhsa_float_denorm_mode_16_64 3
		.amdhsa_fp16_overflow 0
		.amdhsa_memory_ordered 1
		.amdhsa_forward_progress 1
		.amdhsa_inst_pref_size 255
		.amdhsa_round_robin_scheduling 0
		.amdhsa_exception_fp_ieee_invalid_op 0
		.amdhsa_exception_fp_denorm_src 0
		.amdhsa_exception_fp_ieee_div_zero 0
		.amdhsa_exception_fp_ieee_overflow 0
		.amdhsa_exception_fp_ieee_underflow 0
		.amdhsa_exception_fp_ieee_inexact 0
		.amdhsa_exception_int_div_zero 0
	.end_amdhsa_kernel
	.section	.text._ZN2at6native32elementwise_kernel_manual_unrollILi128ELi4EZNS0_15gpu_kernel_implIZZZNS0_12_GLOBAL__N_116addr_kernel_cudaERNS_14TensorIteratorERKN3c106ScalarES9_ENKUlvE_clEvENKUlvE9_clEvEUlNS6_4HalfESC_SC_E0_EEvRNS_18TensorIteratorBaseERKT_EUlibE0_EEviT1_,"axG",@progbits,_ZN2at6native32elementwise_kernel_manual_unrollILi128ELi4EZNS0_15gpu_kernel_implIZZZNS0_12_GLOBAL__N_116addr_kernel_cudaERNS_14TensorIteratorERKN3c106ScalarES9_ENKUlvE_clEvENKUlvE9_clEvEUlNS6_4HalfESC_SC_E0_EEvRNS_18TensorIteratorBaseERKT_EUlibE0_EEviT1_,comdat
.Lfunc_end191:
	.size	_ZN2at6native32elementwise_kernel_manual_unrollILi128ELi4EZNS0_15gpu_kernel_implIZZZNS0_12_GLOBAL__N_116addr_kernel_cudaERNS_14TensorIteratorERKN3c106ScalarES9_ENKUlvE_clEvENKUlvE9_clEvEUlNS6_4HalfESC_SC_E0_EEvRNS_18TensorIteratorBaseERKT_EUlibE0_EEviT1_, .Lfunc_end191-_ZN2at6native32elementwise_kernel_manual_unrollILi128ELi4EZNS0_15gpu_kernel_implIZZZNS0_12_GLOBAL__N_116addr_kernel_cudaERNS_14TensorIteratorERKN3c106ScalarES9_ENKUlvE_clEvENKUlvE9_clEvEUlNS6_4HalfESC_SC_E0_EEvRNS_18TensorIteratorBaseERKT_EUlibE0_EEviT1_
                                        ; -- End function
	.set _ZN2at6native32elementwise_kernel_manual_unrollILi128ELi4EZNS0_15gpu_kernel_implIZZZNS0_12_GLOBAL__N_116addr_kernel_cudaERNS_14TensorIteratorERKN3c106ScalarES9_ENKUlvE_clEvENKUlvE9_clEvEUlNS6_4HalfESC_SC_E0_EEvRNS_18TensorIteratorBaseERKT_EUlibE0_EEviT1_.num_vgpr, 34
	.set _ZN2at6native32elementwise_kernel_manual_unrollILi128ELi4EZNS0_15gpu_kernel_implIZZZNS0_12_GLOBAL__N_116addr_kernel_cudaERNS_14TensorIteratorERKN3c106ScalarES9_ENKUlvE_clEvENKUlvE9_clEvEUlNS6_4HalfESC_SC_E0_EEvRNS_18TensorIteratorBaseERKT_EUlibE0_EEviT1_.num_agpr, 0
	.set _ZN2at6native32elementwise_kernel_manual_unrollILi128ELi4EZNS0_15gpu_kernel_implIZZZNS0_12_GLOBAL__N_116addr_kernel_cudaERNS_14TensorIteratorERKN3c106ScalarES9_ENKUlvE_clEvENKUlvE9_clEvEUlNS6_4HalfESC_SC_E0_EEvRNS_18TensorIteratorBaseERKT_EUlibE0_EEviT1_.numbered_sgpr, 76
	.set _ZN2at6native32elementwise_kernel_manual_unrollILi128ELi4EZNS0_15gpu_kernel_implIZZZNS0_12_GLOBAL__N_116addr_kernel_cudaERNS_14TensorIteratorERKN3c106ScalarES9_ENKUlvE_clEvENKUlvE9_clEvEUlNS6_4HalfESC_SC_E0_EEvRNS_18TensorIteratorBaseERKT_EUlibE0_EEviT1_.num_named_barrier, 0
	.set _ZN2at6native32elementwise_kernel_manual_unrollILi128ELi4EZNS0_15gpu_kernel_implIZZZNS0_12_GLOBAL__N_116addr_kernel_cudaERNS_14TensorIteratorERKN3c106ScalarES9_ENKUlvE_clEvENKUlvE9_clEvEUlNS6_4HalfESC_SC_E0_EEvRNS_18TensorIteratorBaseERKT_EUlibE0_EEviT1_.private_seg_size, 0
	.set _ZN2at6native32elementwise_kernel_manual_unrollILi128ELi4EZNS0_15gpu_kernel_implIZZZNS0_12_GLOBAL__N_116addr_kernel_cudaERNS_14TensorIteratorERKN3c106ScalarES9_ENKUlvE_clEvENKUlvE9_clEvEUlNS6_4HalfESC_SC_E0_EEvRNS_18TensorIteratorBaseERKT_EUlibE0_EEviT1_.uses_vcc, 1
	.set _ZN2at6native32elementwise_kernel_manual_unrollILi128ELi4EZNS0_15gpu_kernel_implIZZZNS0_12_GLOBAL__N_116addr_kernel_cudaERNS_14TensorIteratorERKN3c106ScalarES9_ENKUlvE_clEvENKUlvE9_clEvEUlNS6_4HalfESC_SC_E0_EEvRNS_18TensorIteratorBaseERKT_EUlibE0_EEviT1_.uses_flat_scratch, 0
	.set _ZN2at6native32elementwise_kernel_manual_unrollILi128ELi4EZNS0_15gpu_kernel_implIZZZNS0_12_GLOBAL__N_116addr_kernel_cudaERNS_14TensorIteratorERKN3c106ScalarES9_ENKUlvE_clEvENKUlvE9_clEvEUlNS6_4HalfESC_SC_E0_EEvRNS_18TensorIteratorBaseERKT_EUlibE0_EEviT1_.has_dyn_sized_stack, 0
	.set _ZN2at6native32elementwise_kernel_manual_unrollILi128ELi4EZNS0_15gpu_kernel_implIZZZNS0_12_GLOBAL__N_116addr_kernel_cudaERNS_14TensorIteratorERKN3c106ScalarES9_ENKUlvE_clEvENKUlvE9_clEvEUlNS6_4HalfESC_SC_E0_EEvRNS_18TensorIteratorBaseERKT_EUlibE0_EEviT1_.has_recursion, 0
	.set _ZN2at6native32elementwise_kernel_manual_unrollILi128ELi4EZNS0_15gpu_kernel_implIZZZNS0_12_GLOBAL__N_116addr_kernel_cudaERNS_14TensorIteratorERKN3c106ScalarES9_ENKUlvE_clEvENKUlvE9_clEvEUlNS6_4HalfESC_SC_E0_EEvRNS_18TensorIteratorBaseERKT_EUlibE0_EEviT1_.has_indirect_call, 0
	.section	.AMDGPU.csdata,"",@progbits
; Kernel info:
; codeLenInByte = 93044
; TotalNumSgprs: 78
; NumVgprs: 34
; ScratchSize: 0
; MemoryBound: 0
; FloatMode: 240
; IeeeMode: 1
; LDSByteSize: 0 bytes/workgroup (compile time only)
; SGPRBlocks: 0
; VGPRBlocks: 2
; NumSGPRsForWavesPerEU: 78
; NumVGPRsForWavesPerEU: 34
; NamedBarCnt: 0
; Occupancy: 16
; WaveLimiterHint : 1
; COMPUTE_PGM_RSRC2:SCRATCH_EN: 0
; COMPUTE_PGM_RSRC2:USER_SGPR: 2
; COMPUTE_PGM_RSRC2:TRAP_HANDLER: 0
; COMPUTE_PGM_RSRC2:TGID_X_EN: 1
; COMPUTE_PGM_RSRC2:TGID_Y_EN: 0
; COMPUTE_PGM_RSRC2:TGID_Z_EN: 0
; COMPUTE_PGM_RSRC2:TIDIG_COMP_CNT: 0
	.section	.text._ZN2at6native12_GLOBAL__N_119_elementwise_kernelILi256ELi4EZNS1_25unpack_pivots_cuda_kernelERNS_14TensorIteratorEllEUliE_EEviT1_,"axG",@progbits,_ZN2at6native12_GLOBAL__N_119_elementwise_kernelILi256ELi4EZNS1_25unpack_pivots_cuda_kernelERNS_14TensorIteratorEllEUliE_EEviT1_,comdat
	.globl	_ZN2at6native12_GLOBAL__N_119_elementwise_kernelILi256ELi4EZNS1_25unpack_pivots_cuda_kernelERNS_14TensorIteratorEllEUliE_EEviT1_ ; -- Begin function _ZN2at6native12_GLOBAL__N_119_elementwise_kernelILi256ELi4EZNS1_25unpack_pivots_cuda_kernelERNS_14TensorIteratorEllEUliE_EEviT1_
	.p2align	8
	.type	_ZN2at6native12_GLOBAL__N_119_elementwise_kernelILi256ELi4EZNS1_25unpack_pivots_cuda_kernelERNS_14TensorIteratorEllEUliE_EEviT1_,@function
_ZN2at6native12_GLOBAL__N_119_elementwise_kernelILi256ELi4EZNS1_25unpack_pivots_cuda_kernelERNS_14TensorIteratorEllEUliE_EEviT1_: ; @_ZN2at6native12_GLOBAL__N_119_elementwise_kernelILi256ELi4EZNS1_25unpack_pivots_cuda_kernelERNS_14TensorIteratorEllEUliE_EEviT1_
; %bb.0:
	s_clause 0x2
	s_load_b128 s[8:11], s[0:1], 0x8
	s_load_b32 s19, s[0:1], 0x0
	s_load_b64 s[2:3], s[0:1], 0x160
	s_bfe_u32 s4, ttmp6, 0x4000c
	s_clause 0x1
	s_load_b96 s[16:18], s[0:1], 0x18
	s_load_b128 s[12:15], s[0:1], 0xcc
	s_add_co_i32 s4, s4, 1
	s_and_b32 s20, ttmp6, 15
	s_mul_i32 s23, ttmp9, s4
	s_load_b128 s[4:7], s[0:1], 0x150
	s_getreg_b32 s22, hwreg(HW_REG_IB_STS2, 6, 4)
	s_add_co_i32 s20, s20, s23
	s_cmp_eq_u32 s22, 0
	s_mov_b32 s21, 0
	s_cselect_b32 s20, ttmp9, s20
	s_mov_b32 s28, -1
	v_lshl_or_b32 v0, s20, 10, v0
	s_add_nc_u64 s[24:25], s[0:1], 8
	s_add_nc_u64 s[26:27], s[0:1], 0xcc
	s_mov_b32 s23, s21
	s_wait_kmcnt 0x0
	v_sub_co_u32 v1, s22, s8, 1
	s_mov_b32 s20, s10
	v_cmp_gt_i64_e64 s10, s[2:3], 0
	s_xor_b32 s35, s22, -1
	v_readfirstlane_b32 s33, v1
	v_cmp_lt_u32_e32 vcc_lo, 1, v1
	s_mov_b32 s22, s17
	s_mov_b32 s17, exec_lo
	s_min_u32 s34, s33, 15
	v_cndmask_b32_e64 v8, 0, 1, vcc_lo
	s_cmp_gt_u32 s8, 1
	s_cselect_b32 s8, -1, 0
	v_cmpx_gt_i32_e64 s19, v0
	s_cbranch_execnz .LBB192_4
; %bb.1:
	s_or_b32 exec_lo, exec_lo, s17
	s_delay_alu instid0(SALU_CYCLE_1)
	s_mov_b32 s17, exec_lo
	v_cmpx_gt_i32_e64 s19, v0
	s_cbranch_execnz .LBB192_21
.LBB192_2:
	s_or_b32 exec_lo, exec_lo, s17
	s_delay_alu instid0(SALU_CYCLE_1)
	s_mov_b32 s17, exec_lo
	v_cmpx_gt_i32_e64 s19, v0
	s_cbranch_execnz .LBB192_38
.LBB192_3:
	s_or_b32 exec_lo, exec_lo, s17
	s_delay_alu instid0(SALU_CYCLE_1)
	s_mov_b32 s0, exec_lo
	v_cmpx_gt_i32_e64 s19, v0
	s_cbranch_execnz .LBB192_55
	s_branch .LBB192_71
.LBB192_4:
	s_and_not1_b32 vcc_lo, exec_lo, vcc_lo
                                        ; implicit-def: $vgpr3
	s_cbranch_vccnz .LBB192_14
; %bb.5:
	v_dual_mov_b32 v3, 0 :: v_dual_mov_b32 v2, 0
	s_and_not1_b32 vcc_lo, exec_lo, s35
	s_cbranch_vccnz .LBB192_13
; %bb.6:
	s_add_co_i32 s1, s34, 1
	s_cmp_eq_u32 s33, 2
	s_cbranch_scc1 .LBB192_10
; %bb.7:
	v_dual_mov_b32 v2, 0 :: v_dual_mov_b32 v3, 0
	v_mov_b32_e32 v1, v0
	s_and_b32 s0, s1, 28
	s_mov_b32 s36, 0
	s_mov_b64 s[28:29], s[24:25]
	s_mov_b64 s[30:31], s[26:27]
.LBB192_8:                              ; =>This Inner Loop Header: Depth=1
	s_clause 0x1
	s_load_b256 s[40:47], s[28:29], 0x4
	s_load_b128 s[56:59], s[28:29], 0x24
	s_load_b256 s[48:55], s[30:31], 0x0
	s_add_co_i32 s36, s36, 4
	s_wait_xcnt 0x0
	s_add_nc_u64 s[28:29], s[28:29], 48
	s_cmp_lg_u32 s0, s36
	s_add_nc_u64 s[30:31], s[30:31], 32
	s_wait_kmcnt 0x0
	v_mul_hi_u32 v4, s41, v1
	s_delay_alu instid0(VALU_DEP_1) | instskip(NEXT) | instid1(VALU_DEP_1)
	v_add_nc_u32_e32 v4, v1, v4
	v_lshrrev_b32_e32 v4, s42, v4
	s_delay_alu instid0(VALU_DEP_1) | instskip(NEXT) | instid1(VALU_DEP_1)
	v_mul_hi_u32 v5, s44, v4
	v_add_nc_u32_e32 v5, v4, v5
	s_delay_alu instid0(VALU_DEP_1) | instskip(NEXT) | instid1(VALU_DEP_1)
	v_lshrrev_b32_e32 v5, s45, v5
	v_mul_hi_u32 v6, s47, v5
	s_delay_alu instid0(VALU_DEP_1) | instskip(SKIP_1) | instid1(VALU_DEP_1)
	v_add_nc_u32_e32 v6, v5, v6
	v_mul_lo_u32 v7, v4, s40
	v_sub_nc_u32_e32 v1, v1, v7
	v_mul_lo_u32 v7, v5, s43
	s_delay_alu instid0(VALU_DEP_4) | instskip(NEXT) | instid1(VALU_DEP_3)
	v_lshrrev_b32_e32 v6, s56, v6
	v_mad_u32 v3, v1, s49, v3
	v_mad_u32 v1, v1, s48, v2
	s_delay_alu instid0(VALU_DEP_4) | instskip(NEXT) | instid1(VALU_DEP_4)
	v_sub_nc_u32_e32 v2, v4, v7
	v_mul_hi_u32 v9, s58, v6
	v_mul_lo_u32 v4, v6, s46
	s_delay_alu instid0(VALU_DEP_3) | instskip(SKIP_1) | instid1(VALU_DEP_3)
	v_mad_u32 v3, v2, s51, v3
	v_mad_u32 v2, v2, s50, v1
	v_dual_add_nc_u32 v7, v6, v9 :: v_dual_sub_nc_u32 v4, v5, v4
	s_delay_alu instid0(VALU_DEP_1) | instskip(NEXT) | instid1(VALU_DEP_2)
	v_lshrrev_b32_e32 v1, s59, v7
	v_mad_u32 v3, v4, s53, v3
	s_delay_alu instid0(VALU_DEP_4) | instskip(NEXT) | instid1(VALU_DEP_3)
	v_mad_u32 v2, v4, s52, v2
	v_mul_lo_u32 v5, v1, s57
	s_delay_alu instid0(VALU_DEP_1) | instskip(NEXT) | instid1(VALU_DEP_1)
	v_sub_nc_u32_e32 v4, v6, v5
	v_mad_u32 v3, v4, s55, v3
	s_delay_alu instid0(VALU_DEP_4)
	v_mad_u32 v2, v4, s54, v2
	s_cbranch_scc1 .LBB192_8
; %bb.9:
	s_and_b32 s30, s1, 3
	s_mov_b32 s1, 0
	s_cmp_eq_u32 s30, 0
	s_cbranch_scc0 .LBB192_11
	s_branch .LBB192_13
.LBB192_10:
	v_mov_b64_e32 v[2:3], 0
	v_mov_b32_e32 v1, v0
	s_mov_b32 s0, 0
	s_and_b32 s30, s1, 3
	s_mov_b32 s1, 0
	s_cmp_eq_u32 s30, 0
	s_cbranch_scc1 .LBB192_13
.LBB192_11:
	s_lshl_b32 s28, s0, 3
	s_mov_b32 s29, s1
	s_mul_u64 s[36:37], s[0:1], 12
	s_add_nc_u64 s[28:29], s[24:25], s[28:29]
	s_delay_alu instid0(SALU_CYCLE_1)
	s_add_nc_u64 s[0:1], s[28:29], 0xc4
	s_add_nc_u64 s[28:29], s[24:25], s[36:37]
.LBB192_12:                             ; =>This Inner Loop Header: Depth=1
	s_load_b96 s[36:38], s[28:29], 0x4
	s_add_co_i32 s30, s30, -1
	s_wait_xcnt 0x0
	s_add_nc_u64 s[28:29], s[28:29], 12
	s_cmp_lg_u32 s30, 0
	s_wait_kmcnt 0x0
	v_mul_hi_u32 v4, s37, v1
	s_delay_alu instid0(VALU_DEP_1) | instskip(NEXT) | instid1(VALU_DEP_1)
	v_add_nc_u32_e32 v4, v1, v4
	v_lshrrev_b32_e32 v4, s38, v4
	s_load_b64 s[38:39], s[0:1], 0x0
	s_wait_xcnt 0x0
	s_add_nc_u64 s[0:1], s[0:1], 8
	s_delay_alu instid0(VALU_DEP_1) | instskip(NEXT) | instid1(VALU_DEP_1)
	v_mul_lo_u32 v5, v4, s36
	v_sub_nc_u32_e32 v1, v1, v5
	s_wait_kmcnt 0x0
	s_delay_alu instid0(VALU_DEP_1)
	v_mad_u32 v3, v1, s39, v3
	v_mad_u32 v2, v1, s38, v2
	v_mov_b32_e32 v1, v4
	s_cbranch_scc1 .LBB192_12
.LBB192_13:
	s_mov_b32 s28, 0
.LBB192_14:
	s_delay_alu instid0(SALU_CYCLE_1)
	s_and_not1_b32 vcc_lo, exec_lo, s28
	s_cbranch_vccnz .LBB192_17
; %bb.15:
	v_mov_b32_e32 v1, 0
	s_and_not1_b32 vcc_lo, exec_lo, s8
	s_delay_alu instid0(VALU_DEP_1) | instskip(NEXT) | instid1(VALU_DEP_1)
	v_mul_u64_e32 v[2:3], s[20:21], v[0:1]
	v_add_nc_u32_e32 v2, v0, v3
	s_delay_alu instid0(VALU_DEP_1) | instskip(NEXT) | instid1(VALU_DEP_1)
	v_lshrrev_b32_e32 v4, s11, v2
	v_mul_lo_u32 v2, v4, s9
	s_delay_alu instid0(VALU_DEP_1) | instskip(NEXT) | instid1(VALU_DEP_1)
	v_sub_nc_u32_e32 v2, v0, v2
	v_mul_lo_u32 v3, v2, s13
	v_mul_lo_u32 v2, v2, s12
	s_cbranch_vccnz .LBB192_17
; %bb.16:
	v_mov_b32_e32 v5, v1
	s_delay_alu instid0(VALU_DEP_1) | instskip(NEXT) | instid1(VALU_DEP_1)
	v_mul_u64_e32 v[6:7], s[22:23], v[4:5]
	v_add_nc_u32_e32 v1, v4, v7
	s_delay_alu instid0(VALU_DEP_1) | instskip(NEXT) | instid1(VALU_DEP_1)
	v_lshrrev_b32_e32 v1, s18, v1
	v_mul_lo_u32 v1, v1, s16
	s_delay_alu instid0(VALU_DEP_1) | instskip(NEXT) | instid1(VALU_DEP_1)
	v_sub_nc_u32_e32 v1, v4, v1
	v_mad_u32 v2, v1, s14, v2
	v_mad_u32 v3, v1, s15, v3
.LBB192_17:
	s_and_not1_b32 vcc_lo, exec_lo, s10
	s_cbranch_vccnz .LBB192_20
; %bb.18:
	s_delay_alu instid0(VALU_DEP_1) | instskip(SKIP_1) | instid1(VALU_DEP_1)
	v_dual_mov_b32 v7, 0 :: v_dual_mov_b32 v6, v2
	s_mov_b64 s[0:1], s[2:3]
	v_add_nc_u64_e32 v[4:5], s[4:5], v[6:7]
	s_delay_alu instid0(VALU_DEP_3) | instskip(NEXT) | instid1(VALU_DEP_1)
	v_mov_b32_e32 v6, v3
	v_add_nc_u64_e32 v[2:3], s[6:7], v[6:7]
	s_delay_alu instid0(VALU_DEP_3)
	v_mov_b64_e32 v[6:7], v[4:5]
.LBB192_19:                             ; =>This Inner Loop Header: Depth=1
	global_load_b32 v10, v[2:3], off
	s_wait_xcnt 0x0
	v_add_nc_u64_e32 v[2:3], 4, v[2:3]
	s_add_nc_u64 s[0:1], s[0:1], -1
	s_delay_alu instid0(SALU_CYCLE_1) | instskip(SKIP_2) | instid1(VALU_DEP_1)
	s_cmp_lg_u64 s[0:1], 0
	s_wait_loadcnt 0x0
	v_ashrrev_i32_e32 v11, 31, v10
	v_lshl_add_u64 v[10:11], v[10:11], 3, v[4:5]
	global_load_b64 v[12:13], v[10:11], off offset:-8
	global_load_b64 v[14:15], v[6:7], off
	s_wait_loadcnt 0x1
	global_store_b64 v[6:7], v[12:13], off
	s_wait_xcnt 0x0
	v_add_nc_u64_e32 v[6:7], 8, v[6:7]
	s_wait_loadcnt 0x0
	global_store_b64 v[10:11], v[14:15], off offset:-8
	s_cbranch_scc1 .LBB192_19
.LBB192_20:
	v_add_nc_u32_e32 v0, 0x100, v0
	s_wait_xcnt 0x0
	s_or_b32 exec_lo, exec_lo, s17
	s_delay_alu instid0(SALU_CYCLE_1) | instskip(NEXT) | instid1(VALU_DEP_1)
	s_mov_b32 s17, exec_lo
	v_cmpx_gt_i32_e64 s19, v0
	s_cbranch_execz .LBB192_2
.LBB192_21:
	v_cmp_ne_u32_e32 vcc_lo, 1, v8
	s_cbranch_vccnz .LBB192_27
; %bb.22:
	v_dual_mov_b32 v3, 0 :: v_dual_mov_b32 v2, 0
	s_and_not1_b32 vcc_lo, exec_lo, s35
	s_cbranch_vccnz .LBB192_31
; %bb.23:
	s_add_co_i32 s1, s34, 1
	s_cmp_eq_u32 s33, 2
	s_cbranch_scc1 .LBB192_28
; %bb.24:
	v_dual_mov_b32 v2, 0 :: v_dual_mov_b32 v3, 0
	v_mov_b32_e32 v1, v0
	s_and_b32 s0, s1, 28
	s_mov_b32 s36, 0
	s_mov_b64 s[28:29], s[24:25]
	s_mov_b64 s[30:31], s[26:27]
.LBB192_25:                             ; =>This Inner Loop Header: Depth=1
	s_clause 0x1
	s_load_b256 s[40:47], s[28:29], 0x4
	s_load_b128 s[56:59], s[28:29], 0x24
	s_load_b256 s[48:55], s[30:31], 0x0
	s_add_co_i32 s36, s36, 4
	s_wait_xcnt 0x0
	s_add_nc_u64 s[28:29], s[28:29], 48
	s_cmp_eq_u32 s0, s36
	s_add_nc_u64 s[30:31], s[30:31], 32
	s_wait_kmcnt 0x0
	v_mul_hi_u32 v4, s41, v1
	s_delay_alu instid0(VALU_DEP_1) | instskip(NEXT) | instid1(VALU_DEP_1)
	v_add_nc_u32_e32 v4, v1, v4
	v_lshrrev_b32_e32 v4, s42, v4
	s_delay_alu instid0(VALU_DEP_1) | instskip(NEXT) | instid1(VALU_DEP_1)
	v_mul_hi_u32 v5, s44, v4
	v_add_nc_u32_e32 v5, v4, v5
	s_delay_alu instid0(VALU_DEP_1) | instskip(NEXT) | instid1(VALU_DEP_1)
	v_lshrrev_b32_e32 v5, s45, v5
	v_mul_hi_u32 v6, s47, v5
	s_delay_alu instid0(VALU_DEP_1) | instskip(SKIP_1) | instid1(VALU_DEP_1)
	v_add_nc_u32_e32 v6, v5, v6
	v_mul_lo_u32 v7, v4, s40
	v_sub_nc_u32_e32 v1, v1, v7
	v_mul_lo_u32 v7, v5, s43
	s_delay_alu instid0(VALU_DEP_4) | instskip(NEXT) | instid1(VALU_DEP_3)
	v_lshrrev_b32_e32 v6, s56, v6
	v_mad_u32 v3, v1, s49, v3
	v_mad_u32 v1, v1, s48, v2
	s_delay_alu instid0(VALU_DEP_4) | instskip(NEXT) | instid1(VALU_DEP_4)
	v_sub_nc_u32_e32 v2, v4, v7
	v_mul_hi_u32 v9, s58, v6
	v_mul_lo_u32 v4, v6, s46
	s_delay_alu instid0(VALU_DEP_3) | instskip(SKIP_1) | instid1(VALU_DEP_3)
	v_mad_u32 v3, v2, s51, v3
	v_mad_u32 v2, v2, s50, v1
	v_dual_add_nc_u32 v7, v6, v9 :: v_dual_sub_nc_u32 v4, v5, v4
	s_delay_alu instid0(VALU_DEP_1) | instskip(NEXT) | instid1(VALU_DEP_2)
	v_lshrrev_b32_e32 v1, s59, v7
	v_mad_u32 v3, v4, s53, v3
	s_delay_alu instid0(VALU_DEP_4) | instskip(NEXT) | instid1(VALU_DEP_3)
	v_mad_u32 v2, v4, s52, v2
	v_mul_lo_u32 v5, v1, s57
	s_delay_alu instid0(VALU_DEP_1) | instskip(NEXT) | instid1(VALU_DEP_1)
	v_sub_nc_u32_e32 v4, v6, v5
	v_mad_u32 v3, v4, s55, v3
	s_delay_alu instid0(VALU_DEP_4)
	v_mad_u32 v2, v4, s54, v2
	s_cbranch_scc0 .LBB192_25
; %bb.26:
	s_and_b32 s30, s1, 3
	s_mov_b32 s1, 0
	s_cmp_eq_u32 s30, 0
	s_cbranch_scc0 .LBB192_29
	s_branch .LBB192_31
.LBB192_27:
                                        ; implicit-def: $vgpr3
	s_branch .LBB192_32
.LBB192_28:
	v_mov_b64_e32 v[2:3], 0
	v_mov_b32_e32 v1, v0
	s_mov_b32 s0, 0
	s_and_b32 s30, s1, 3
	s_mov_b32 s1, 0
	s_cmp_eq_u32 s30, 0
	s_cbranch_scc1 .LBB192_31
.LBB192_29:
	s_lshl_b32 s28, s0, 3
	s_mov_b32 s29, s1
	s_mul_u64 s[36:37], s[0:1], 12
	s_add_nc_u64 s[28:29], s[24:25], s[28:29]
	s_delay_alu instid0(SALU_CYCLE_1)
	s_add_nc_u64 s[0:1], s[28:29], 0xc4
	s_add_nc_u64 s[28:29], s[24:25], s[36:37]
.LBB192_30:                             ; =>This Inner Loop Header: Depth=1
	s_load_b96 s[36:38], s[28:29], 0x4
	s_add_co_i32 s30, s30, -1
	s_wait_xcnt 0x0
	s_add_nc_u64 s[28:29], s[28:29], 12
	s_cmp_lg_u32 s30, 0
	s_wait_kmcnt 0x0
	v_mul_hi_u32 v4, s37, v1
	s_delay_alu instid0(VALU_DEP_1) | instskip(NEXT) | instid1(VALU_DEP_1)
	v_add_nc_u32_e32 v4, v1, v4
	v_lshrrev_b32_e32 v4, s38, v4
	s_load_b64 s[38:39], s[0:1], 0x0
	s_wait_xcnt 0x0
	s_add_nc_u64 s[0:1], s[0:1], 8
	s_delay_alu instid0(VALU_DEP_1) | instskip(NEXT) | instid1(VALU_DEP_1)
	v_mul_lo_u32 v5, v4, s36
	v_sub_nc_u32_e32 v1, v1, v5
	s_wait_kmcnt 0x0
	s_delay_alu instid0(VALU_DEP_1)
	v_mad_u32 v3, v1, s39, v3
	v_mad_u32 v2, v1, s38, v2
	v_mov_b32_e32 v1, v4
	s_cbranch_scc1 .LBB192_30
.LBB192_31:
	s_cbranch_execnz .LBB192_34
.LBB192_32:
	v_mov_b32_e32 v1, 0
	s_and_not1_b32 vcc_lo, exec_lo, s8
	s_delay_alu instid0(VALU_DEP_1) | instskip(NEXT) | instid1(VALU_DEP_1)
	v_mul_u64_e32 v[2:3], s[20:21], v[0:1]
	v_add_nc_u32_e32 v2, v0, v3
	s_delay_alu instid0(VALU_DEP_1) | instskip(NEXT) | instid1(VALU_DEP_1)
	v_lshrrev_b32_e32 v4, s11, v2
	v_mul_lo_u32 v2, v4, s9
	s_delay_alu instid0(VALU_DEP_1) | instskip(NEXT) | instid1(VALU_DEP_1)
	v_sub_nc_u32_e32 v2, v0, v2
	v_mul_lo_u32 v3, v2, s13
	v_mul_lo_u32 v2, v2, s12
	s_cbranch_vccnz .LBB192_34
; %bb.33:
	v_mov_b32_e32 v5, v1
	s_delay_alu instid0(VALU_DEP_1) | instskip(NEXT) | instid1(VALU_DEP_1)
	v_mul_u64_e32 v[6:7], s[22:23], v[4:5]
	v_add_nc_u32_e32 v1, v4, v7
	s_delay_alu instid0(VALU_DEP_1) | instskip(NEXT) | instid1(VALU_DEP_1)
	v_lshrrev_b32_e32 v1, s18, v1
	v_mul_lo_u32 v1, v1, s16
	s_delay_alu instid0(VALU_DEP_1) | instskip(NEXT) | instid1(VALU_DEP_1)
	v_sub_nc_u32_e32 v1, v4, v1
	v_mad_u32 v2, v1, s14, v2
	v_mad_u32 v3, v1, s15, v3
.LBB192_34:
	s_and_not1_b32 vcc_lo, exec_lo, s10
	s_cbranch_vccnz .LBB192_37
; %bb.35:
	s_delay_alu instid0(VALU_DEP_1) | instskip(SKIP_1) | instid1(VALU_DEP_1)
	v_dual_mov_b32 v7, 0 :: v_dual_mov_b32 v6, v2
	s_mov_b64 s[0:1], s[2:3]
	v_add_nc_u64_e32 v[4:5], s[4:5], v[6:7]
	s_delay_alu instid0(VALU_DEP_3) | instskip(NEXT) | instid1(VALU_DEP_1)
	v_mov_b32_e32 v6, v3
	v_add_nc_u64_e32 v[2:3], s[6:7], v[6:7]
	s_delay_alu instid0(VALU_DEP_3)
	v_mov_b64_e32 v[6:7], v[4:5]
.LBB192_36:                             ; =>This Inner Loop Header: Depth=1
	global_load_b32 v10, v[2:3], off
	s_wait_xcnt 0x0
	v_add_nc_u64_e32 v[2:3], 4, v[2:3]
	s_add_nc_u64 s[0:1], s[0:1], -1
	s_delay_alu instid0(SALU_CYCLE_1) | instskip(SKIP_2) | instid1(VALU_DEP_1)
	s_cmp_lg_u64 s[0:1], 0
	s_wait_loadcnt 0x0
	v_ashrrev_i32_e32 v11, 31, v10
	v_lshl_add_u64 v[10:11], v[10:11], 3, v[4:5]
	global_load_b64 v[12:13], v[10:11], off offset:-8
	global_load_b64 v[14:15], v[6:7], off
	s_wait_loadcnt 0x1
	global_store_b64 v[6:7], v[12:13], off
	s_wait_xcnt 0x0
	v_add_nc_u64_e32 v[6:7], 8, v[6:7]
	s_wait_loadcnt 0x0
	global_store_b64 v[10:11], v[14:15], off offset:-8
	s_cbranch_scc1 .LBB192_36
.LBB192_37:
	v_add_nc_u32_e32 v0, 0x100, v0
	s_wait_xcnt 0x0
	s_or_b32 exec_lo, exec_lo, s17
	s_delay_alu instid0(SALU_CYCLE_1) | instskip(NEXT) | instid1(VALU_DEP_1)
	s_mov_b32 s17, exec_lo
	v_cmpx_gt_i32_e64 s19, v0
	s_cbranch_execz .LBB192_3
.LBB192_38:
	v_cmp_ne_u32_e32 vcc_lo, 1, v8
	s_cbranch_vccnz .LBB192_44
; %bb.39:
	v_dual_mov_b32 v3, 0 :: v_dual_mov_b32 v2, 0
	s_and_not1_b32 vcc_lo, exec_lo, s35
	s_cbranch_vccnz .LBB192_48
; %bb.40:
	s_add_co_i32 s1, s34, 1
	s_cmp_eq_u32 s33, 2
	s_cbranch_scc1 .LBB192_45
; %bb.41:
	v_dual_mov_b32 v2, 0 :: v_dual_mov_b32 v3, 0
	v_mov_b32_e32 v1, v0
	s_and_b32 s0, s1, 28
	s_mov_b32 s36, 0
	s_mov_b64 s[28:29], s[24:25]
	s_mov_b64 s[30:31], s[26:27]
.LBB192_42:                             ; =>This Inner Loop Header: Depth=1
	s_clause 0x1
	s_load_b256 s[40:47], s[28:29], 0x4
	s_load_b128 s[56:59], s[28:29], 0x24
	s_load_b256 s[48:55], s[30:31], 0x0
	s_add_co_i32 s36, s36, 4
	s_wait_xcnt 0x0
	s_add_nc_u64 s[28:29], s[28:29], 48
	s_cmp_eq_u32 s0, s36
	s_add_nc_u64 s[30:31], s[30:31], 32
	s_wait_kmcnt 0x0
	v_mul_hi_u32 v4, s41, v1
	s_delay_alu instid0(VALU_DEP_1) | instskip(NEXT) | instid1(VALU_DEP_1)
	v_add_nc_u32_e32 v4, v1, v4
	v_lshrrev_b32_e32 v4, s42, v4
	s_delay_alu instid0(VALU_DEP_1) | instskip(NEXT) | instid1(VALU_DEP_1)
	v_mul_hi_u32 v5, s44, v4
	v_add_nc_u32_e32 v5, v4, v5
	s_delay_alu instid0(VALU_DEP_1) | instskip(NEXT) | instid1(VALU_DEP_1)
	v_lshrrev_b32_e32 v5, s45, v5
	v_mul_hi_u32 v6, s47, v5
	s_delay_alu instid0(VALU_DEP_1) | instskip(SKIP_1) | instid1(VALU_DEP_1)
	v_add_nc_u32_e32 v6, v5, v6
	v_mul_lo_u32 v7, v4, s40
	v_sub_nc_u32_e32 v1, v1, v7
	v_mul_lo_u32 v7, v5, s43
	s_delay_alu instid0(VALU_DEP_4) | instskip(NEXT) | instid1(VALU_DEP_3)
	v_lshrrev_b32_e32 v6, s56, v6
	v_mad_u32 v3, v1, s49, v3
	v_mad_u32 v1, v1, s48, v2
	s_delay_alu instid0(VALU_DEP_4) | instskip(NEXT) | instid1(VALU_DEP_4)
	v_sub_nc_u32_e32 v2, v4, v7
	v_mul_hi_u32 v9, s58, v6
	v_mul_lo_u32 v4, v6, s46
	s_delay_alu instid0(VALU_DEP_3) | instskip(SKIP_1) | instid1(VALU_DEP_3)
	v_mad_u32 v3, v2, s51, v3
	v_mad_u32 v2, v2, s50, v1
	v_dual_add_nc_u32 v7, v6, v9 :: v_dual_sub_nc_u32 v4, v5, v4
	s_delay_alu instid0(VALU_DEP_1) | instskip(NEXT) | instid1(VALU_DEP_2)
	v_lshrrev_b32_e32 v1, s59, v7
	v_mad_u32 v3, v4, s53, v3
	s_delay_alu instid0(VALU_DEP_4) | instskip(NEXT) | instid1(VALU_DEP_3)
	v_mad_u32 v2, v4, s52, v2
	v_mul_lo_u32 v5, v1, s57
	s_delay_alu instid0(VALU_DEP_1) | instskip(NEXT) | instid1(VALU_DEP_1)
	v_sub_nc_u32_e32 v4, v6, v5
	v_mad_u32 v3, v4, s55, v3
	s_delay_alu instid0(VALU_DEP_4)
	v_mad_u32 v2, v4, s54, v2
	s_cbranch_scc0 .LBB192_42
; %bb.43:
	s_and_b32 s30, s1, 3
	s_mov_b32 s1, 0
	s_cmp_eq_u32 s30, 0
	s_cbranch_scc0 .LBB192_46
	s_branch .LBB192_48
.LBB192_44:
                                        ; implicit-def: $vgpr3
	s_branch .LBB192_49
.LBB192_45:
	v_mov_b64_e32 v[2:3], 0
	v_mov_b32_e32 v1, v0
	s_mov_b32 s0, 0
	s_and_b32 s30, s1, 3
	s_mov_b32 s1, 0
	s_cmp_eq_u32 s30, 0
	s_cbranch_scc1 .LBB192_48
.LBB192_46:
	s_lshl_b32 s28, s0, 3
	s_mov_b32 s29, s1
	s_mul_u64 s[36:37], s[0:1], 12
	s_add_nc_u64 s[28:29], s[24:25], s[28:29]
	s_delay_alu instid0(SALU_CYCLE_1)
	s_add_nc_u64 s[0:1], s[28:29], 0xc4
	s_add_nc_u64 s[28:29], s[24:25], s[36:37]
.LBB192_47:                             ; =>This Inner Loop Header: Depth=1
	s_load_b96 s[36:38], s[28:29], 0x4
	s_add_co_i32 s30, s30, -1
	s_wait_xcnt 0x0
	s_add_nc_u64 s[28:29], s[28:29], 12
	s_cmp_lg_u32 s30, 0
	s_wait_kmcnt 0x0
	v_mul_hi_u32 v4, s37, v1
	s_delay_alu instid0(VALU_DEP_1) | instskip(NEXT) | instid1(VALU_DEP_1)
	v_add_nc_u32_e32 v4, v1, v4
	v_lshrrev_b32_e32 v4, s38, v4
	s_load_b64 s[38:39], s[0:1], 0x0
	s_wait_xcnt 0x0
	s_add_nc_u64 s[0:1], s[0:1], 8
	s_delay_alu instid0(VALU_DEP_1) | instskip(NEXT) | instid1(VALU_DEP_1)
	v_mul_lo_u32 v5, v4, s36
	v_sub_nc_u32_e32 v1, v1, v5
	s_wait_kmcnt 0x0
	s_delay_alu instid0(VALU_DEP_1)
	v_mad_u32 v3, v1, s39, v3
	v_mad_u32 v2, v1, s38, v2
	v_mov_b32_e32 v1, v4
	s_cbranch_scc1 .LBB192_47
.LBB192_48:
	s_cbranch_execnz .LBB192_51
.LBB192_49:
	v_mov_b32_e32 v1, 0
	s_and_not1_b32 vcc_lo, exec_lo, s8
	s_delay_alu instid0(VALU_DEP_1) | instskip(NEXT) | instid1(VALU_DEP_1)
	v_mul_u64_e32 v[2:3], s[20:21], v[0:1]
	v_add_nc_u32_e32 v2, v0, v3
	s_delay_alu instid0(VALU_DEP_1) | instskip(NEXT) | instid1(VALU_DEP_1)
	v_lshrrev_b32_e32 v4, s11, v2
	v_mul_lo_u32 v2, v4, s9
	s_delay_alu instid0(VALU_DEP_1) | instskip(NEXT) | instid1(VALU_DEP_1)
	v_sub_nc_u32_e32 v2, v0, v2
	v_mul_lo_u32 v3, v2, s13
	v_mul_lo_u32 v2, v2, s12
	s_cbranch_vccnz .LBB192_51
; %bb.50:
	v_mov_b32_e32 v5, v1
	s_delay_alu instid0(VALU_DEP_1) | instskip(NEXT) | instid1(VALU_DEP_1)
	v_mul_u64_e32 v[6:7], s[22:23], v[4:5]
	v_add_nc_u32_e32 v1, v4, v7
	s_delay_alu instid0(VALU_DEP_1) | instskip(NEXT) | instid1(VALU_DEP_1)
	v_lshrrev_b32_e32 v1, s18, v1
	v_mul_lo_u32 v1, v1, s16
	s_delay_alu instid0(VALU_DEP_1) | instskip(NEXT) | instid1(VALU_DEP_1)
	v_sub_nc_u32_e32 v1, v4, v1
	v_mad_u32 v2, v1, s14, v2
	v_mad_u32 v3, v1, s15, v3
.LBB192_51:
	s_and_not1_b32 vcc_lo, exec_lo, s10
	s_cbranch_vccnz .LBB192_54
; %bb.52:
	s_delay_alu instid0(VALU_DEP_1) | instskip(SKIP_1) | instid1(VALU_DEP_1)
	v_dual_mov_b32 v7, 0 :: v_dual_mov_b32 v6, v2
	s_mov_b64 s[0:1], s[2:3]
	v_add_nc_u64_e32 v[4:5], s[4:5], v[6:7]
	s_delay_alu instid0(VALU_DEP_3) | instskip(NEXT) | instid1(VALU_DEP_1)
	v_mov_b32_e32 v6, v3
	v_add_nc_u64_e32 v[2:3], s[6:7], v[6:7]
	s_delay_alu instid0(VALU_DEP_3)
	v_mov_b64_e32 v[6:7], v[4:5]
.LBB192_53:                             ; =>This Inner Loop Header: Depth=1
	global_load_b32 v10, v[2:3], off
	s_wait_xcnt 0x0
	v_add_nc_u64_e32 v[2:3], 4, v[2:3]
	s_add_nc_u64 s[0:1], s[0:1], -1
	s_delay_alu instid0(SALU_CYCLE_1) | instskip(SKIP_2) | instid1(VALU_DEP_1)
	s_cmp_lg_u64 s[0:1], 0
	s_wait_loadcnt 0x0
	v_ashrrev_i32_e32 v11, 31, v10
	v_lshl_add_u64 v[10:11], v[10:11], 3, v[4:5]
	global_load_b64 v[12:13], v[10:11], off offset:-8
	global_load_b64 v[14:15], v[6:7], off
	s_wait_loadcnt 0x1
	global_store_b64 v[6:7], v[12:13], off
	s_wait_xcnt 0x0
	v_add_nc_u64_e32 v[6:7], 8, v[6:7]
	s_wait_loadcnt 0x0
	global_store_b64 v[10:11], v[14:15], off offset:-8
	s_cbranch_scc1 .LBB192_53
.LBB192_54:
	v_add_nc_u32_e32 v0, 0x100, v0
	s_wait_xcnt 0x0
	s_or_b32 exec_lo, exec_lo, s17
	s_delay_alu instid0(SALU_CYCLE_1) | instskip(NEXT) | instid1(VALU_DEP_1)
	s_mov_b32 s0, exec_lo
	v_cmpx_gt_i32_e64 s19, v0
	s_cbranch_execz .LBB192_71
.LBB192_55:
	v_cmp_ne_u32_e32 vcc_lo, 1, v8
	s_cbranch_vccnz .LBB192_61
; %bb.56:
	v_dual_mov_b32 v3, 0 :: v_dual_mov_b32 v2, 0
	s_and_not1_b32 vcc_lo, exec_lo, s35
	s_cbranch_vccnz .LBB192_65
; %bb.57:
	s_add_co_i32 s34, s34, 1
	s_cmp_eq_u32 s33, 2
	s_cbranch_scc1 .LBB192_62
; %bb.58:
	v_dual_mov_b32 v2, 0 :: v_dual_mov_b32 v3, 0
	v_mov_b32_e32 v1, v0
	s_and_b32 s0, s34, 28
	s_mov_b32 s1, 0
	s_mov_b64 s[28:29], s[24:25]
.LBB192_59:                             ; =>This Inner Loop Header: Depth=1
	s_clause 0x1
	s_load_b256 s[36:43], s[28:29], 0x4
	s_load_b128 s[52:55], s[28:29], 0x24
	s_load_b256 s[44:51], s[26:27], 0x0
	s_add_co_i32 s1, s1, 4
	s_wait_xcnt 0x0
	s_add_nc_u64 s[28:29], s[28:29], 48
	s_cmp_eq_u32 s0, s1
	s_add_nc_u64 s[26:27], s[26:27], 32
	s_wait_kmcnt 0x0
	v_mul_hi_u32 v4, s37, v1
	s_delay_alu instid0(VALU_DEP_1) | instskip(NEXT) | instid1(VALU_DEP_1)
	v_add_nc_u32_e32 v4, v1, v4
	v_lshrrev_b32_e32 v4, s38, v4
	s_delay_alu instid0(VALU_DEP_1) | instskip(NEXT) | instid1(VALU_DEP_1)
	v_mul_hi_u32 v5, s40, v4
	v_add_nc_u32_e32 v5, v4, v5
	s_delay_alu instid0(VALU_DEP_1) | instskip(NEXT) | instid1(VALU_DEP_1)
	v_lshrrev_b32_e32 v5, s41, v5
	v_mul_hi_u32 v6, s43, v5
	s_delay_alu instid0(VALU_DEP_1) | instskip(SKIP_1) | instid1(VALU_DEP_1)
	v_add_nc_u32_e32 v6, v5, v6
	v_mul_lo_u32 v7, v4, s36
	v_sub_nc_u32_e32 v1, v1, v7
	v_mul_lo_u32 v7, v5, s39
	s_delay_alu instid0(VALU_DEP_4) | instskip(NEXT) | instid1(VALU_DEP_3)
	v_lshrrev_b32_e32 v6, s52, v6
	v_mad_u32 v3, v1, s45, v3
	v_mad_u32 v1, v1, s44, v2
	s_delay_alu instid0(VALU_DEP_4) | instskip(NEXT) | instid1(VALU_DEP_4)
	v_sub_nc_u32_e32 v2, v4, v7
	v_mul_hi_u32 v8, s54, v6
	v_mul_lo_u32 v4, v6, s42
	s_delay_alu instid0(VALU_DEP_3) | instskip(SKIP_1) | instid1(VALU_DEP_4)
	v_mad_u32 v3, v2, s47, v3
	v_mad_u32 v2, v2, s46, v1
	v_add_nc_u32_e32 v7, v6, v8
	s_delay_alu instid0(VALU_DEP_1) | instskip(NEXT) | instid1(VALU_DEP_1)
	v_dual_sub_nc_u32 v4, v5, v4 :: v_dual_lshrrev_b32 v1, s55, v7
	v_mad_u32 v3, v4, s49, v3
	s_delay_alu instid0(VALU_DEP_4) | instskip(NEXT) | instid1(VALU_DEP_3)
	v_mad_u32 v2, v4, s48, v2
	v_mul_lo_u32 v5, v1, s53
	s_delay_alu instid0(VALU_DEP_1) | instskip(NEXT) | instid1(VALU_DEP_1)
	v_sub_nc_u32_e32 v4, v6, v5
	v_mad_u32 v3, v4, s51, v3
	s_delay_alu instid0(VALU_DEP_4)
	v_mad_u32 v2, v4, s50, v2
	s_cbranch_scc0 .LBB192_59
; %bb.60:
	s_and_b32 s17, s34, 3
	s_mov_b32 s1, 0
	s_cmp_eq_u32 s17, 0
	s_cbranch_scc0 .LBB192_63
	s_branch .LBB192_65
.LBB192_61:
                                        ; implicit-def: $vgpr3
	s_branch .LBB192_66
.LBB192_62:
	v_mov_b64_e32 v[2:3], 0
	v_mov_b32_e32 v1, v0
	s_mov_b32 s0, 0
	s_and_b32 s17, s34, 3
	s_mov_b32 s1, 0
	s_cmp_eq_u32 s17, 0
	s_cbranch_scc1 .LBB192_65
.LBB192_63:
	s_lshl_b32 s26, s0, 3
	s_mov_b32 s27, s1
	s_mul_u64 s[28:29], s[0:1], 12
	s_add_nc_u64 s[26:27], s[24:25], s[26:27]
	s_add_nc_u64 s[24:25], s[24:25], s[28:29]
	;; [unrolled: 1-line block ×3, first 2 shown]
.LBB192_64:                             ; =>This Inner Loop Header: Depth=1
	s_load_b96 s[28:30], s[24:25], 0x4
	s_load_b64 s[26:27], s[0:1], 0x0
	s_add_co_i32 s17, s17, -1
	s_wait_xcnt 0x0
	s_add_nc_u64 s[24:25], s[24:25], 12
	s_cmp_lg_u32 s17, 0
	s_add_nc_u64 s[0:1], s[0:1], 8
	s_wait_kmcnt 0x0
	v_mul_hi_u32 v4, s29, v1
	s_delay_alu instid0(VALU_DEP_1) | instskip(NEXT) | instid1(VALU_DEP_1)
	v_add_nc_u32_e32 v4, v1, v4
	v_lshrrev_b32_e32 v4, s30, v4
	s_delay_alu instid0(VALU_DEP_1) | instskip(NEXT) | instid1(VALU_DEP_1)
	v_mul_lo_u32 v5, v4, s28
	v_sub_nc_u32_e32 v1, v1, v5
	s_delay_alu instid0(VALU_DEP_1)
	v_mad_u32 v3, v1, s27, v3
	v_mad_u32 v2, v1, s26, v2
	v_mov_b32_e32 v1, v4
	s_cbranch_scc1 .LBB192_64
.LBB192_65:
	s_cbranch_execnz .LBB192_68
.LBB192_66:
	v_mov_b32_e32 v1, 0
	s_and_not1_b32 vcc_lo, exec_lo, s8
	s_delay_alu instid0(VALU_DEP_1) | instskip(NEXT) | instid1(VALU_DEP_1)
	v_mul_u64_e32 v[2:3], s[20:21], v[0:1]
	v_add_nc_u32_e32 v2, v0, v3
	s_delay_alu instid0(VALU_DEP_1) | instskip(NEXT) | instid1(VALU_DEP_1)
	v_lshrrev_b32_e32 v4, s11, v2
	v_mul_lo_u32 v2, v4, s9
	s_delay_alu instid0(VALU_DEP_1) | instskip(NEXT) | instid1(VALU_DEP_1)
	v_sub_nc_u32_e32 v0, v0, v2
	v_mul_lo_u32 v3, v0, s13
	v_mul_lo_u32 v2, v0, s12
	s_cbranch_vccnz .LBB192_68
; %bb.67:
	v_mov_b32_e32 v5, v1
	s_delay_alu instid0(VALU_DEP_1) | instskip(NEXT) | instid1(VALU_DEP_1)
	v_mul_u64_e32 v[0:1], s[22:23], v[4:5]
	v_add_nc_u32_e32 v0, v4, v1
	s_delay_alu instid0(VALU_DEP_1) | instskip(NEXT) | instid1(VALU_DEP_1)
	v_lshrrev_b32_e32 v0, s18, v0
	v_mul_lo_u32 v0, v0, s16
	s_delay_alu instid0(VALU_DEP_1) | instskip(NEXT) | instid1(VALU_DEP_1)
	v_sub_nc_u32_e32 v0, v4, v0
	v_mad_u32 v2, v0, s14, v2
	v_mad_u32 v3, v0, s15, v3
.LBB192_68:
	s_and_not1_b32 vcc_lo, exec_lo, s10
	s_cbranch_vccnz .LBB192_71
; %bb.69:
	s_delay_alu instid0(VALU_DEP_1) | instskip(NEXT) | instid1(VALU_DEP_1)
	v_dual_mov_b32 v5, 0 :: v_dual_mov_b32 v4, v2
	v_add_nc_u64_e32 v[0:1], s[4:5], v[4:5]
	s_delay_alu instid0(VALU_DEP_3) | instskip(NEXT) | instid1(VALU_DEP_1)
	v_mov_b32_e32 v4, v3
	v_add_nc_u64_e32 v[2:3], s[6:7], v[4:5]
	s_delay_alu instid0(VALU_DEP_3)
	v_mov_b64_e32 v[4:5], v[0:1]
.LBB192_70:                             ; =>This Inner Loop Header: Depth=1
	global_load_b32 v6, v[2:3], off
	s_wait_xcnt 0x0
	v_add_nc_u64_e32 v[2:3], 4, v[2:3]
	s_add_nc_u64 s[2:3], s[2:3], -1
	s_delay_alu instid0(SALU_CYCLE_1) | instskip(SKIP_2) | instid1(VALU_DEP_1)
	s_cmp_lg_u64 s[2:3], 0
	s_wait_loadcnt 0x0
	v_ashrrev_i32_e32 v7, 31, v6
	v_lshl_add_u64 v[6:7], v[6:7], 3, v[0:1]
	global_load_b64 v[8:9], v[6:7], off offset:-8
	global_load_b64 v[10:11], v[4:5], off
	s_wait_loadcnt 0x1
	global_store_b64 v[4:5], v[8:9], off
	s_wait_xcnt 0x0
	v_add_nc_u64_e32 v[4:5], 8, v[4:5]
	s_wait_loadcnt 0x0
	global_store_b64 v[6:7], v[10:11], off offset:-8
	s_cbranch_scc1 .LBB192_70
.LBB192_71:
	s_endpgm
	.section	.rodata,"a",@progbits
	.p2align	6, 0x0
	.amdhsa_kernel _ZN2at6native12_GLOBAL__N_119_elementwise_kernelILi256ELi4EZNS1_25unpack_pivots_cuda_kernelERNS_14TensorIteratorEllEUliE_EEviT1_
		.amdhsa_group_segment_fixed_size 0
		.amdhsa_private_segment_fixed_size 0
		.amdhsa_kernarg_size 360
		.amdhsa_user_sgpr_count 2
		.amdhsa_user_sgpr_dispatch_ptr 0
		.amdhsa_user_sgpr_queue_ptr 0
		.amdhsa_user_sgpr_kernarg_segment_ptr 1
		.amdhsa_user_sgpr_dispatch_id 0
		.amdhsa_user_sgpr_kernarg_preload_length 0
		.amdhsa_user_sgpr_kernarg_preload_offset 0
		.amdhsa_user_sgpr_private_segment_size 0
		.amdhsa_wavefront_size32 1
		.amdhsa_uses_dynamic_stack 0
		.amdhsa_enable_private_segment 0
		.amdhsa_system_sgpr_workgroup_id_x 1
		.amdhsa_system_sgpr_workgroup_id_y 0
		.amdhsa_system_sgpr_workgroup_id_z 0
		.amdhsa_system_sgpr_workgroup_info 0
		.amdhsa_system_vgpr_workitem_id 0
		.amdhsa_next_free_vgpr 16
		.amdhsa_next_free_sgpr 60
		.amdhsa_named_barrier_count 0
		.amdhsa_reserve_vcc 1
		.amdhsa_float_round_mode_32 0
		.amdhsa_float_round_mode_16_64 0
		.amdhsa_float_denorm_mode_32 3
		.amdhsa_float_denorm_mode_16_64 3
		.amdhsa_fp16_overflow 0
		.amdhsa_memory_ordered 1
		.amdhsa_forward_progress 1
		.amdhsa_inst_pref_size 29
		.amdhsa_round_robin_scheduling 0
		.amdhsa_exception_fp_ieee_invalid_op 0
		.amdhsa_exception_fp_denorm_src 0
		.amdhsa_exception_fp_ieee_div_zero 0
		.amdhsa_exception_fp_ieee_overflow 0
		.amdhsa_exception_fp_ieee_underflow 0
		.amdhsa_exception_fp_ieee_inexact 0
		.amdhsa_exception_int_div_zero 0
	.end_amdhsa_kernel
	.section	.text._ZN2at6native12_GLOBAL__N_119_elementwise_kernelILi256ELi4EZNS1_25unpack_pivots_cuda_kernelERNS_14TensorIteratorEllEUliE_EEviT1_,"axG",@progbits,_ZN2at6native12_GLOBAL__N_119_elementwise_kernelILi256ELi4EZNS1_25unpack_pivots_cuda_kernelERNS_14TensorIteratorEllEUliE_EEviT1_,comdat
.Lfunc_end192:
	.size	_ZN2at6native12_GLOBAL__N_119_elementwise_kernelILi256ELi4EZNS1_25unpack_pivots_cuda_kernelERNS_14TensorIteratorEllEUliE_EEviT1_, .Lfunc_end192-_ZN2at6native12_GLOBAL__N_119_elementwise_kernelILi256ELi4EZNS1_25unpack_pivots_cuda_kernelERNS_14TensorIteratorEllEUliE_EEviT1_
                                        ; -- End function
	.set _ZN2at6native12_GLOBAL__N_119_elementwise_kernelILi256ELi4EZNS1_25unpack_pivots_cuda_kernelERNS_14TensorIteratorEllEUliE_EEviT1_.num_vgpr, 16
	.set _ZN2at6native12_GLOBAL__N_119_elementwise_kernelILi256ELi4EZNS1_25unpack_pivots_cuda_kernelERNS_14TensorIteratorEllEUliE_EEviT1_.num_agpr, 0
	.set _ZN2at6native12_GLOBAL__N_119_elementwise_kernelILi256ELi4EZNS1_25unpack_pivots_cuda_kernelERNS_14TensorIteratorEllEUliE_EEviT1_.numbered_sgpr, 60
	.set _ZN2at6native12_GLOBAL__N_119_elementwise_kernelILi256ELi4EZNS1_25unpack_pivots_cuda_kernelERNS_14TensorIteratorEllEUliE_EEviT1_.num_named_barrier, 0
	.set _ZN2at6native12_GLOBAL__N_119_elementwise_kernelILi256ELi4EZNS1_25unpack_pivots_cuda_kernelERNS_14TensorIteratorEllEUliE_EEviT1_.private_seg_size, 0
	.set _ZN2at6native12_GLOBAL__N_119_elementwise_kernelILi256ELi4EZNS1_25unpack_pivots_cuda_kernelERNS_14TensorIteratorEllEUliE_EEviT1_.uses_vcc, 1
	.set _ZN2at6native12_GLOBAL__N_119_elementwise_kernelILi256ELi4EZNS1_25unpack_pivots_cuda_kernelERNS_14TensorIteratorEllEUliE_EEviT1_.uses_flat_scratch, 0
	.set _ZN2at6native12_GLOBAL__N_119_elementwise_kernelILi256ELi4EZNS1_25unpack_pivots_cuda_kernelERNS_14TensorIteratorEllEUliE_EEviT1_.has_dyn_sized_stack, 0
	.set _ZN2at6native12_GLOBAL__N_119_elementwise_kernelILi256ELi4EZNS1_25unpack_pivots_cuda_kernelERNS_14TensorIteratorEllEUliE_EEviT1_.has_recursion, 0
	.set _ZN2at6native12_GLOBAL__N_119_elementwise_kernelILi256ELi4EZNS1_25unpack_pivots_cuda_kernelERNS_14TensorIteratorEllEUliE_EEviT1_.has_indirect_call, 0
	.section	.AMDGPU.csdata,"",@progbits
; Kernel info:
; codeLenInByte = 3688
; TotalNumSgprs: 62
; NumVgprs: 16
; ScratchSize: 0
; MemoryBound: 0
; FloatMode: 240
; IeeeMode: 1
; LDSByteSize: 0 bytes/workgroup (compile time only)
; SGPRBlocks: 0
; VGPRBlocks: 0
; NumSGPRsForWavesPerEU: 62
; NumVGPRsForWavesPerEU: 16
; NamedBarCnt: 0
; Occupancy: 16
; WaveLimiterHint : 1
; COMPUTE_PGM_RSRC2:SCRATCH_EN: 0
; COMPUTE_PGM_RSRC2:USER_SGPR: 2
; COMPUTE_PGM_RSRC2:TRAP_HANDLER: 0
; COMPUTE_PGM_RSRC2:TGID_X_EN: 1
; COMPUTE_PGM_RSRC2:TGID_Y_EN: 0
; COMPUTE_PGM_RSRC2:TGID_Z_EN: 0
; COMPUTE_PGM_RSRC2:TIDIG_COMP_CNT: 0
	.section	.AMDGPU.gpr_maximums,"",@progbits
	.set amdgpu.max_num_vgpr, 0
	.set amdgpu.max_num_agpr, 0
	.set amdgpu.max_num_sgpr, 0
	.section	.AMDGPU.csdata,"",@progbits
	.type	__hip_cuid_7290597486afbed6,@object ; @__hip_cuid_7290597486afbed6
	.section	.bss,"aw",@nobits
	.globl	__hip_cuid_7290597486afbed6
__hip_cuid_7290597486afbed6:
	.byte	0                               ; 0x0
	.size	__hip_cuid_7290597486afbed6, 1

	.ident	"AMD clang version 22.0.0git (https://github.com/RadeonOpenCompute/llvm-project roc-7.2.4 26084 f58b06dce1f9c15707c5f808fd002e18c2accf7e)"
	.section	".note.GNU-stack","",@progbits
	.addrsig
	.addrsig_sym __hip_cuid_7290597486afbed6
	.amdgpu_metadata
---
amdhsa.kernels:
  - .args:
      - .offset:         0
        .size:           4
        .value_kind:     by_value
      - .offset:         4
        .size:           1
        .value_kind:     by_value
      - .offset:         8
        .size:           32
        .value_kind:     by_value
    .group_segment_fixed_size: 1024
    .kernarg_segment_align: 8
    .kernarg_segment_size: 40
    .language:       OpenCL C
    .language_version:
      - 2
      - 0
    .max_flat_workgroup_size: 256
    .name:           _ZN2at6native29vectorized_elementwise_kernelILi16EZNS0_12_GLOBAL__N_116addr_kernel_cudaERNS_14TensorIteratorERKN3c106ScalarES8_EUlbbbE_St5arrayIPcLm4EEEEviT0_T1_
    .private_segment_fixed_size: 0
    .sgpr_count:     42
    .sgpr_spill_count: 0
    .symbol:         _ZN2at6native29vectorized_elementwise_kernelILi16EZNS0_12_GLOBAL__N_116addr_kernel_cudaERNS_14TensorIteratorERKN3c106ScalarES8_EUlbbbE_St5arrayIPcLm4EEEEviT0_T1_.kd
    .uniform_work_group_size: 1
    .uses_dynamic_stack: false
    .vgpr_count:     35
    .vgpr_spill_count: 0
    .wavefront_size: 32
  - .args:
      - .offset:         0
        .size:           4
        .value_kind:     by_value
      - .offset:         4
        .size:           1
        .value_kind:     by_value
      - .offset:         8
        .size:           32
        .value_kind:     by_value
    .group_segment_fixed_size: 1024
    .kernarg_segment_align: 8
    .kernarg_segment_size: 40
    .language:       OpenCL C
    .language_version:
      - 2
      - 0
    .max_flat_workgroup_size: 256
    .name:           _ZN2at6native29vectorized_elementwise_kernelILi8EZNS0_12_GLOBAL__N_116addr_kernel_cudaERNS_14TensorIteratorERKN3c106ScalarES8_EUlbbbE_St5arrayIPcLm4EEEEviT0_T1_
    .private_segment_fixed_size: 0
    .sgpr_count:     42
    .sgpr_spill_count: 0
    .symbol:         _ZN2at6native29vectorized_elementwise_kernelILi8EZNS0_12_GLOBAL__N_116addr_kernel_cudaERNS_14TensorIteratorERKN3c106ScalarES8_EUlbbbE_St5arrayIPcLm4EEEEviT0_T1_.kd
    .uniform_work_group_size: 1
    .uses_dynamic_stack: false
    .vgpr_count:     36
    .vgpr_spill_count: 0
    .wavefront_size: 32
  - .args:
      - .offset:         0
        .size:           4
        .value_kind:     by_value
      - .offset:         4
        .size:           1
        .value_kind:     by_value
      - .offset:         8
        .size:           32
        .value_kind:     by_value
    .group_segment_fixed_size: 1024
    .kernarg_segment_align: 8
    .kernarg_segment_size: 40
    .language:       OpenCL C
    .language_version:
      - 2
      - 0
    .max_flat_workgroup_size: 256
    .name:           _ZN2at6native29vectorized_elementwise_kernelILi4EZNS0_12_GLOBAL__N_116addr_kernel_cudaERNS_14TensorIteratorERKN3c106ScalarES8_EUlbbbE_St5arrayIPcLm4EEEEviT0_T1_
    .private_segment_fixed_size: 0
    .sgpr_count:     42
    .sgpr_spill_count: 0
    .symbol:         _ZN2at6native29vectorized_elementwise_kernelILi4EZNS0_12_GLOBAL__N_116addr_kernel_cudaERNS_14TensorIteratorERKN3c106ScalarES8_EUlbbbE_St5arrayIPcLm4EEEEviT0_T1_.kd
    .uniform_work_group_size: 1
    .uses_dynamic_stack: false
    .vgpr_count:     35
    .vgpr_spill_count: 0
    .wavefront_size: 32
  - .args:
      - .offset:         0
        .size:           4
        .value_kind:     by_value
      - .offset:         4
        .size:           1
        .value_kind:     by_value
      - .offset:         8
        .size:           32
        .value_kind:     by_value
    .group_segment_fixed_size: 1024
    .kernarg_segment_align: 8
    .kernarg_segment_size: 40
    .language:       OpenCL C
    .language_version:
      - 2
      - 0
    .max_flat_workgroup_size: 256
    .name:           _ZN2at6native29vectorized_elementwise_kernelILi2EZNS0_12_GLOBAL__N_116addr_kernel_cudaERNS_14TensorIteratorERKN3c106ScalarES8_EUlbbbE_St5arrayIPcLm4EEEEviT0_T1_
    .private_segment_fixed_size: 0
    .sgpr_count:     39
    .sgpr_spill_count: 0
    .symbol:         _ZN2at6native29vectorized_elementwise_kernelILi2EZNS0_12_GLOBAL__N_116addr_kernel_cudaERNS_14TensorIteratorERKN3c106ScalarES8_EUlbbbE_St5arrayIPcLm4EEEEviT0_T1_.kd
    .uniform_work_group_size: 1
    .uses_dynamic_stack: false
    .vgpr_count:     35
    .vgpr_spill_count: 0
    .wavefront_size: 32
  - .args:
      - .offset:         0
        .size:           4
        .value_kind:     by_value
      - .offset:         4
        .size:           1
        .value_kind:     by_value
      - .offset:         8
        .size:           32
        .value_kind:     by_value
      - .offset:         40
        .size:           1
        .value_kind:     by_value
      - .offset:         41
        .size:           1
        .value_kind:     by_value
      - .offset:         42
        .size:           1
        .value_kind:     by_value
      - .offset:         43
        .size:           1
        .value_kind:     by_value
    .group_segment_fixed_size: 512
    .kernarg_segment_align: 8
    .kernarg_segment_size: 44
    .language:       OpenCL C
    .language_version:
      - 2
      - 0
    .max_flat_workgroup_size: 256
    .name:           _ZN2at6native27unrolled_elementwise_kernelIZNS0_12_GLOBAL__N_116addr_kernel_cudaERNS_14TensorIteratorERKN3c106ScalarES8_EUlbbbE_St5arrayIPcLm4EELi4E23TrivialOffsetCalculatorILi3EjESD_ILi1EjENS0_6memory15LoadWithoutCastENSG_16StoreWithoutCastEEEviT_T0_T2_T3_T4_T5_
    .private_segment_fixed_size: 0
    .sgpr_count:     17
    .sgpr_spill_count: 0
    .symbol:         _ZN2at6native27unrolled_elementwise_kernelIZNS0_12_GLOBAL__N_116addr_kernel_cudaERNS_14TensorIteratorERKN3c106ScalarES8_EUlbbbE_St5arrayIPcLm4EELi4E23TrivialOffsetCalculatorILi3EjESD_ILi1EjENS0_6memory15LoadWithoutCastENSG_16StoreWithoutCastEEEviT_T0_T2_T3_T4_T5_.kd
    .uniform_work_group_size: 1
    .uses_dynamic_stack: false
    .vgpr_count:     11
    .vgpr_spill_count: 0
    .wavefront_size: 32
  - .args:
      - .offset:         0
        .size:           4
        .value_kind:     by_value
      - .offset:         8
        .size:           496
        .value_kind:     by_value
    .group_segment_fixed_size: 0
    .kernarg_segment_align: 8
    .kernarg_segment_size: 504
    .language:       OpenCL C
    .language_version:
      - 2
      - 0
    .max_flat_workgroup_size: 128
    .name:           _ZN2at6native32elementwise_kernel_manual_unrollILi128ELi8EZNS0_22gpu_kernel_impl_nocastIZNS0_12_GLOBAL__N_116addr_kernel_cudaERNS_14TensorIteratorERKN3c106ScalarES9_EUlbbbE_EEvRNS_18TensorIteratorBaseERKT_EUlibE_EEviT1_
    .private_segment_fixed_size: 0
    .sgpr_count:     47
    .sgpr_spill_count: 0
    .symbol:         _ZN2at6native32elementwise_kernel_manual_unrollILi128ELi8EZNS0_22gpu_kernel_impl_nocastIZNS0_12_GLOBAL__N_116addr_kernel_cudaERNS_14TensorIteratorERKN3c106ScalarES9_EUlbbbE_EEvRNS_18TensorIteratorBaseERKT_EUlibE_EEviT1_.kd
    .uniform_work_group_size: 1
    .uses_dynamic_stack: false
    .vgpr_count:     39
    .vgpr_spill_count: 0
    .wavefront_size: 32
  - .args:
      - .offset:         0
        .size:           4
        .value_kind:     by_value
      - .offset:         8
        .size:           56
        .value_kind:     by_value
    .group_segment_fixed_size: 0
    .kernarg_segment_align: 8
    .kernarg_segment_size: 64
    .language:       OpenCL C
    .language_version:
      - 2
      - 0
    .max_flat_workgroup_size: 128
    .name:           _ZN2at6native32elementwise_kernel_manual_unrollILi128ELi4EZNS0_15gpu_kernel_implIZNS0_12_GLOBAL__N_116addr_kernel_cudaERNS_14TensorIteratorERKN3c106ScalarES9_EUlbbbE_EEvRNS_18TensorIteratorBaseERKT_EUlibE_EEviT1_
    .private_segment_fixed_size: 0
    .sgpr_count:     42
    .sgpr_spill_count: 0
    .symbol:         _ZN2at6native32elementwise_kernel_manual_unrollILi128ELi4EZNS0_15gpu_kernel_implIZNS0_12_GLOBAL__N_116addr_kernel_cudaERNS_14TensorIteratorERKN3c106ScalarES9_EUlbbbE_EEvRNS_18TensorIteratorBaseERKT_EUlibE_EEviT1_.kd
    .uniform_work_group_size: 1
    .uses_dynamic_stack: false
    .vgpr_count:     12
    .vgpr_spill_count: 0
    .wavefront_size: 32
  - .args:
      - .offset:         0
        .size:           4
        .value_kind:     by_value
      - .offset:         8
        .size:           496
        .value_kind:     by_value
    .group_segment_fixed_size: 0
    .kernarg_segment_align: 8
    .kernarg_segment_size: 504
    .language:       OpenCL C
    .language_version:
      - 2
      - 0
    .max_flat_workgroup_size: 128
    .name:           _ZN2at6native32elementwise_kernel_manual_unrollILi128ELi4EZNS0_15gpu_kernel_implIZNS0_12_GLOBAL__N_116addr_kernel_cudaERNS_14TensorIteratorERKN3c106ScalarES9_EUlbbbE_EEvRNS_18TensorIteratorBaseERKT_EUlibE0_EEviT1_
    .private_segment_fixed_size: 0
    .sgpr_count:     65
    .sgpr_spill_count: 0
    .symbol:         _ZN2at6native32elementwise_kernel_manual_unrollILi128ELi4EZNS0_15gpu_kernel_implIZNS0_12_GLOBAL__N_116addr_kernel_cudaERNS_14TensorIteratorERKN3c106ScalarES9_EUlbbbE_EEvRNS_18TensorIteratorBaseERKT_EUlibE0_EEviT1_.kd
    .uniform_work_group_size: 1
    .uses_dynamic_stack: false
    .vgpr_count:     28
    .vgpr_spill_count: 0
    .wavefront_size: 32
  - .args:
      - .offset:         0
        .size:           4
        .value_kind:     by_value
      - .offset:         4
        .size:           2
        .value_kind:     by_value
      - .offset:         8
        .size:           32
        .value_kind:     by_value
    .group_segment_fixed_size: 0
    .kernarg_segment_align: 8
    .kernarg_segment_size: 40
    .language:       OpenCL C
    .language_version:
      - 2
      - 0
    .max_flat_workgroup_size: 256
    .name:           _ZN2at6native29vectorized_elementwise_kernelILi16EZNS0_12_GLOBAL__N_116addr_kernel_cudaERNS_14TensorIteratorERKN3c106ScalarES8_EUlbbbE0_St5arrayIPcLm4EEEEviT0_T1_
    .private_segment_fixed_size: 0
    .sgpr_count:     64
    .sgpr_spill_count: 0
    .symbol:         _ZN2at6native29vectorized_elementwise_kernelILi16EZNS0_12_GLOBAL__N_116addr_kernel_cudaERNS_14TensorIteratorERKN3c106ScalarES8_EUlbbbE0_St5arrayIPcLm4EEEEviT0_T1_.kd
    .uniform_work_group_size: 1
    .uses_dynamic_stack: false
    .vgpr_count:     49
    .vgpr_spill_count: 0
    .wavefront_size: 32
  - .args:
      - .offset:         0
        .size:           4
        .value_kind:     by_value
      - .offset:         4
        .size:           2
        .value_kind:     by_value
      - .offset:         8
        .size:           32
        .value_kind:     by_value
    .group_segment_fixed_size: 0
    .kernarg_segment_align: 8
    .kernarg_segment_size: 40
    .language:       OpenCL C
    .language_version:
      - 2
      - 0
    .max_flat_workgroup_size: 256
    .name:           _ZN2at6native29vectorized_elementwise_kernelILi8EZNS0_12_GLOBAL__N_116addr_kernel_cudaERNS_14TensorIteratorERKN3c106ScalarES8_EUlbbbE0_St5arrayIPcLm4EEEEviT0_T1_
    .private_segment_fixed_size: 0
    .sgpr_count:     61
    .sgpr_spill_count: 0
    .symbol:         _ZN2at6native29vectorized_elementwise_kernelILi8EZNS0_12_GLOBAL__N_116addr_kernel_cudaERNS_14TensorIteratorERKN3c106ScalarES8_EUlbbbE0_St5arrayIPcLm4EEEEviT0_T1_.kd
    .uniform_work_group_size: 1
    .uses_dynamic_stack: false
    .vgpr_count:     46
    .vgpr_spill_count: 0
    .wavefront_size: 32
  - .args:
      - .offset:         0
        .size:           4
        .value_kind:     by_value
      - .offset:         4
        .size:           2
        .value_kind:     by_value
      - .offset:         8
        .size:           32
        .value_kind:     by_value
    .group_segment_fixed_size: 0
    .kernarg_segment_align: 8
    .kernarg_segment_size: 40
    .language:       OpenCL C
    .language_version:
      - 2
      - 0
    .max_flat_workgroup_size: 256
    .name:           _ZN2at6native29vectorized_elementwise_kernelILi4EZNS0_12_GLOBAL__N_116addr_kernel_cudaERNS_14TensorIteratorERKN3c106ScalarES8_EUlbbbE0_St5arrayIPcLm4EEEEviT0_T1_
    .private_segment_fixed_size: 0
    .sgpr_count:     61
    .sgpr_spill_count: 0
    .symbol:         _ZN2at6native29vectorized_elementwise_kernelILi4EZNS0_12_GLOBAL__N_116addr_kernel_cudaERNS_14TensorIteratorERKN3c106ScalarES8_EUlbbbE0_St5arrayIPcLm4EEEEviT0_T1_.kd
    .uniform_work_group_size: 1
    .uses_dynamic_stack: false
    .vgpr_count:     45
    .vgpr_spill_count: 0
    .wavefront_size: 32
  - .args:
      - .offset:         0
        .size:           4
        .value_kind:     by_value
      - .offset:         4
        .size:           2
        .value_kind:     by_value
      - .offset:         8
        .size:           32
        .value_kind:     by_value
    .group_segment_fixed_size: 0
    .kernarg_segment_align: 8
    .kernarg_segment_size: 40
    .language:       OpenCL C
    .language_version:
      - 2
      - 0
    .max_flat_workgroup_size: 256
    .name:           _ZN2at6native29vectorized_elementwise_kernelILi2EZNS0_12_GLOBAL__N_116addr_kernel_cudaERNS_14TensorIteratorERKN3c106ScalarES8_EUlbbbE0_St5arrayIPcLm4EEEEviT0_T1_
    .private_segment_fixed_size: 0
    .sgpr_count:     59
    .sgpr_spill_count: 0
    .symbol:         _ZN2at6native29vectorized_elementwise_kernelILi2EZNS0_12_GLOBAL__N_116addr_kernel_cudaERNS_14TensorIteratorERKN3c106ScalarES8_EUlbbbE0_St5arrayIPcLm4EEEEviT0_T1_.kd
    .uniform_work_group_size: 1
    .uses_dynamic_stack: false
    .vgpr_count:     41
    .vgpr_spill_count: 0
    .wavefront_size: 32
  - .args:
      - .offset:         0
        .size:           4
        .value_kind:     by_value
      - .offset:         4
        .size:           2
        .value_kind:     by_value
      - .offset:         8
        .size:           32
        .value_kind:     by_value
      - .offset:         40
        .size:           1
        .value_kind:     by_value
      - .offset:         41
        .size:           1
        .value_kind:     by_value
      - .offset:         42
        .size:           1
        .value_kind:     by_value
      - .offset:         43
        .size:           1
        .value_kind:     by_value
    .group_segment_fixed_size: 0
    .kernarg_segment_align: 8
    .kernarg_segment_size: 44
    .language:       OpenCL C
    .language_version:
      - 2
      - 0
    .max_flat_workgroup_size: 256
    .name:           _ZN2at6native27unrolled_elementwise_kernelIZNS0_12_GLOBAL__N_116addr_kernel_cudaERNS_14TensorIteratorERKN3c106ScalarES8_EUlbbbE0_St5arrayIPcLm4EELi4E23TrivialOffsetCalculatorILi3EjESD_ILi1EjENS0_6memory15LoadWithoutCastENSG_16StoreWithoutCastEEEviT_T0_T2_T3_T4_T5_
    .private_segment_fixed_size: 0
    .sgpr_count:     20
    .sgpr_spill_count: 0
    .symbol:         _ZN2at6native27unrolled_elementwise_kernelIZNS0_12_GLOBAL__N_116addr_kernel_cudaERNS_14TensorIteratorERKN3c106ScalarES8_EUlbbbE0_St5arrayIPcLm4EELi4E23TrivialOffsetCalculatorILi3EjESD_ILi1EjENS0_6memory15LoadWithoutCastENSG_16StoreWithoutCastEEEviT_T0_T2_T3_T4_T5_.kd
    .uniform_work_group_size: 1
    .uses_dynamic_stack: false
    .vgpr_count:     13
    .vgpr_spill_count: 0
    .wavefront_size: 32
  - .args:
      - .offset:         0
        .size:           4
        .value_kind:     by_value
      - .offset:         8
        .size:           496
        .value_kind:     by_value
    .group_segment_fixed_size: 0
    .kernarg_segment_align: 8
    .kernarg_segment_size: 504
    .language:       OpenCL C
    .language_version:
      - 2
      - 0
    .max_flat_workgroup_size: 128
    .name:           _ZN2at6native32elementwise_kernel_manual_unrollILi128ELi8EZNS0_22gpu_kernel_impl_nocastIZNS0_12_GLOBAL__N_116addr_kernel_cudaERNS_14TensorIteratorERKN3c106ScalarES9_EUlbbbE0_EEvRNS_18TensorIteratorBaseERKT_EUlibE_EEviT1_
    .private_segment_fixed_size: 0
    .sgpr_count:     60
    .sgpr_spill_count: 0
    .symbol:         _ZN2at6native32elementwise_kernel_manual_unrollILi128ELi8EZNS0_22gpu_kernel_impl_nocastIZNS0_12_GLOBAL__N_116addr_kernel_cudaERNS_14TensorIteratorERKN3c106ScalarES9_EUlbbbE0_EEvRNS_18TensorIteratorBaseERKT_EUlibE_EEviT1_.kd
    .uniform_work_group_size: 1
    .uses_dynamic_stack: false
    .vgpr_count:     47
    .vgpr_spill_count: 0
    .wavefront_size: 32
  - .args:
      - .offset:         0
        .size:           4
        .value_kind:     by_value
      - .offset:         8
        .size:           56
        .value_kind:     by_value
    .group_segment_fixed_size: 0
    .kernarg_segment_align: 8
    .kernarg_segment_size: 64
    .language:       OpenCL C
    .language_version:
      - 2
      - 0
    .max_flat_workgroup_size: 128
    .name:           _ZN2at6native32elementwise_kernel_manual_unrollILi128ELi4EZNS0_15gpu_kernel_implIZNS0_12_GLOBAL__N_116addr_kernel_cudaERNS_14TensorIteratorERKN3c106ScalarES9_EUlbbbE0_EEvRNS_18TensorIteratorBaseERKT_EUlibE_EEviT1_
    .private_segment_fixed_size: 0
    .sgpr_count:     49
    .sgpr_spill_count: 0
    .symbol:         _ZN2at6native32elementwise_kernel_manual_unrollILi128ELi4EZNS0_15gpu_kernel_implIZNS0_12_GLOBAL__N_116addr_kernel_cudaERNS_14TensorIteratorERKN3c106ScalarES9_EUlbbbE0_EEvRNS_18TensorIteratorBaseERKT_EUlibE_EEviT1_.kd
    .uniform_work_group_size: 1
    .uses_dynamic_stack: false
    .vgpr_count:     14
    .vgpr_spill_count: 0
    .wavefront_size: 32
  - .args:
      - .offset:         0
        .size:           4
        .value_kind:     by_value
      - .offset:         8
        .size:           496
        .value_kind:     by_value
    .group_segment_fixed_size: 0
    .kernarg_segment_align: 8
    .kernarg_segment_size: 504
    .language:       OpenCL C
    .language_version:
      - 2
      - 0
    .max_flat_workgroup_size: 128
    .name:           _ZN2at6native32elementwise_kernel_manual_unrollILi128ELi4EZNS0_15gpu_kernel_implIZNS0_12_GLOBAL__N_116addr_kernel_cudaERNS_14TensorIteratorERKN3c106ScalarES9_EUlbbbE0_EEvRNS_18TensorIteratorBaseERKT_EUlibE0_EEviT1_
    .private_segment_fixed_size: 0
    .sgpr_count:     78
    .sgpr_spill_count: 0
    .symbol:         _ZN2at6native32elementwise_kernel_manual_unrollILi128ELi4EZNS0_15gpu_kernel_implIZNS0_12_GLOBAL__N_116addr_kernel_cudaERNS_14TensorIteratorERKN3c106ScalarES9_EUlbbbE0_EEvRNS_18TensorIteratorBaseERKT_EUlibE0_EEviT1_.kd
    .uniform_work_group_size: 1
    .uses_dynamic_stack: false
    .vgpr_count:     36
    .vgpr_spill_count: 0
    .wavefront_size: 32
  - .args:
      - .offset:         0
        .size:           4
        .value_kind:     by_value
      - .offset:         4
        .size:           1
        .value_kind:     by_value
      - .offset:         8
        .size:           32
        .value_kind:     by_value
    .group_segment_fixed_size: 0
    .kernarg_segment_align: 8
    .kernarg_segment_size: 40
    .language:       OpenCL C
    .language_version:
      - 2
      - 0
    .max_flat_workgroup_size: 256
    .name:           _ZN2at6native29vectorized_elementwise_kernelILi16EZZZNS0_12_GLOBAL__N_116addr_kernel_cudaERNS_14TensorIteratorERKN3c106ScalarES8_ENKUlvE_clEvENKUlvE_clEvEUlhhhE_St5arrayIPcLm4EEEEviT0_T1_
    .private_segment_fixed_size: 0
    .sgpr_count:     24
    .sgpr_spill_count: 0
    .symbol:         _ZN2at6native29vectorized_elementwise_kernelILi16EZZZNS0_12_GLOBAL__N_116addr_kernel_cudaERNS_14TensorIteratorERKN3c106ScalarES8_ENKUlvE_clEvENKUlvE_clEvEUlhhhE_St5arrayIPcLm4EEEEviT0_T1_.kd
    .uniform_work_group_size: 1
    .uses_dynamic_stack: false
    .vgpr_count:     39
    .vgpr_spill_count: 0
    .wavefront_size: 32
  - .args:
      - .offset:         0
        .size:           4
        .value_kind:     by_value
      - .offset:         4
        .size:           1
        .value_kind:     by_value
      - .offset:         8
        .size:           32
        .value_kind:     by_value
    .group_segment_fixed_size: 0
    .kernarg_segment_align: 8
    .kernarg_segment_size: 40
    .language:       OpenCL C
    .language_version:
      - 2
      - 0
    .max_flat_workgroup_size: 256
    .name:           _ZN2at6native29vectorized_elementwise_kernelILi8EZZZNS0_12_GLOBAL__N_116addr_kernel_cudaERNS_14TensorIteratorERKN3c106ScalarES8_ENKUlvE_clEvENKUlvE_clEvEUlhhhE_St5arrayIPcLm4EEEEviT0_T1_
    .private_segment_fixed_size: 0
    .sgpr_count:     24
    .sgpr_spill_count: 0
    .symbol:         _ZN2at6native29vectorized_elementwise_kernelILi8EZZZNS0_12_GLOBAL__N_116addr_kernel_cudaERNS_14TensorIteratorERKN3c106ScalarES8_ENKUlvE_clEvENKUlvE_clEvEUlhhhE_St5arrayIPcLm4EEEEviT0_T1_.kd
    .uniform_work_group_size: 1
    .uses_dynamic_stack: false
    .vgpr_count:     39
    .vgpr_spill_count: 0
    .wavefront_size: 32
  - .args:
      - .offset:         0
        .size:           4
        .value_kind:     by_value
      - .offset:         4
        .size:           1
        .value_kind:     by_value
      - .offset:         8
        .size:           32
        .value_kind:     by_value
    .group_segment_fixed_size: 0
    .kernarg_segment_align: 8
    .kernarg_segment_size: 40
    .language:       OpenCL C
    .language_version:
      - 2
      - 0
    .max_flat_workgroup_size: 256
    .name:           _ZN2at6native29vectorized_elementwise_kernelILi4EZZZNS0_12_GLOBAL__N_116addr_kernel_cudaERNS_14TensorIteratorERKN3c106ScalarES8_ENKUlvE_clEvENKUlvE_clEvEUlhhhE_St5arrayIPcLm4EEEEviT0_T1_
    .private_segment_fixed_size: 0
    .sgpr_count:     24
    .sgpr_spill_count: 0
    .symbol:         _ZN2at6native29vectorized_elementwise_kernelILi4EZZZNS0_12_GLOBAL__N_116addr_kernel_cudaERNS_14TensorIteratorERKN3c106ScalarES8_ENKUlvE_clEvENKUlvE_clEvEUlhhhE_St5arrayIPcLm4EEEEviT0_T1_.kd
    .uniform_work_group_size: 1
    .uses_dynamic_stack: false
    .vgpr_count:     39
    .vgpr_spill_count: 0
    .wavefront_size: 32
  - .args:
      - .offset:         0
        .size:           4
        .value_kind:     by_value
      - .offset:         4
        .size:           1
        .value_kind:     by_value
      - .offset:         8
        .size:           32
        .value_kind:     by_value
    .group_segment_fixed_size: 0
    .kernarg_segment_align: 8
    .kernarg_segment_size: 40
    .language:       OpenCL C
    .language_version:
      - 2
      - 0
    .max_flat_workgroup_size: 256
    .name:           _ZN2at6native29vectorized_elementwise_kernelILi2EZZZNS0_12_GLOBAL__N_116addr_kernel_cudaERNS_14TensorIteratorERKN3c106ScalarES8_ENKUlvE_clEvENKUlvE_clEvEUlhhhE_St5arrayIPcLm4EEEEviT0_T1_
    .private_segment_fixed_size: 0
    .sgpr_count:     24
    .sgpr_spill_count: 0
    .symbol:         _ZN2at6native29vectorized_elementwise_kernelILi2EZZZNS0_12_GLOBAL__N_116addr_kernel_cudaERNS_14TensorIteratorERKN3c106ScalarES8_ENKUlvE_clEvENKUlvE_clEvEUlhhhE_St5arrayIPcLm4EEEEviT0_T1_.kd
    .uniform_work_group_size: 1
    .uses_dynamic_stack: false
    .vgpr_count:     39
    .vgpr_spill_count: 0
    .wavefront_size: 32
  - .args:
      - .offset:         0
        .size:           4
        .value_kind:     by_value
      - .offset:         4
        .size:           1
        .value_kind:     by_value
      - .offset:         8
        .size:           32
        .value_kind:     by_value
      - .offset:         40
        .size:           1
        .value_kind:     by_value
      - .offset:         41
        .size:           1
        .value_kind:     by_value
      - .offset:         42
        .size:           1
        .value_kind:     by_value
      - .offset:         43
        .size:           1
        .value_kind:     by_value
    .group_segment_fixed_size: 0
    .kernarg_segment_align: 8
    .kernarg_segment_size: 44
    .language:       OpenCL C
    .language_version:
      - 2
      - 0
    .max_flat_workgroup_size: 256
    .name:           _ZN2at6native27unrolled_elementwise_kernelIZZZNS0_12_GLOBAL__N_116addr_kernel_cudaERNS_14TensorIteratorERKN3c106ScalarES8_ENKUlvE_clEvENKUlvE_clEvEUlhhhE_St5arrayIPcLm4EELi4E23TrivialOffsetCalculatorILi3EjESF_ILi1EjENS0_6memory15LoadWithoutCastENSI_16StoreWithoutCastEEEviT_T0_T2_T3_T4_T5_
    .private_segment_fixed_size: 0
    .sgpr_count:     16
    .sgpr_spill_count: 0
    .symbol:         _ZN2at6native27unrolled_elementwise_kernelIZZZNS0_12_GLOBAL__N_116addr_kernel_cudaERNS_14TensorIteratorERKN3c106ScalarES8_ENKUlvE_clEvENKUlvE_clEvEUlhhhE_St5arrayIPcLm4EELi4E23TrivialOffsetCalculatorILi3EjESF_ILi1EjENS0_6memory15LoadWithoutCastENSI_16StoreWithoutCastEEEviT_T0_T2_T3_T4_T5_.kd
    .uniform_work_group_size: 1
    .uses_dynamic_stack: false
    .vgpr_count:     12
    .vgpr_spill_count: 0
    .wavefront_size: 32
  - .args:
      - .offset:         0
        .size:           4
        .value_kind:     by_value
      - .offset:         8
        .size:           496
        .value_kind:     by_value
    .group_segment_fixed_size: 0
    .kernarg_segment_align: 8
    .kernarg_segment_size: 504
    .language:       OpenCL C
    .language_version:
      - 2
      - 0
    .max_flat_workgroup_size: 128
    .name:           _ZN2at6native32elementwise_kernel_manual_unrollILi128ELi8EZNS0_22gpu_kernel_impl_nocastIZZZNS0_12_GLOBAL__N_116addr_kernel_cudaERNS_14TensorIteratorERKN3c106ScalarES9_ENKUlvE_clEvENKUlvE_clEvEUlhhhE_EEvRNS_18TensorIteratorBaseERKT_EUlibE_EEviT1_
    .private_segment_fixed_size: 0
    .sgpr_count:     47
    .sgpr_spill_count: 0
    .symbol:         _ZN2at6native32elementwise_kernel_manual_unrollILi128ELi8EZNS0_22gpu_kernel_impl_nocastIZZZNS0_12_GLOBAL__N_116addr_kernel_cudaERNS_14TensorIteratorERKN3c106ScalarES9_ENKUlvE_clEvENKUlvE_clEvEUlhhhE_EEvRNS_18TensorIteratorBaseERKT_EUlibE_EEviT1_.kd
    .uniform_work_group_size: 1
    .uses_dynamic_stack: false
    .vgpr_count:     39
    .vgpr_spill_count: 0
    .wavefront_size: 32
  - .args:
      - .offset:         0
        .size:           4
        .value_kind:     by_value
      - .offset:         8
        .size:           56
        .value_kind:     by_value
    .group_segment_fixed_size: 0
    .kernarg_segment_align: 8
    .kernarg_segment_size: 64
    .language:       OpenCL C
    .language_version:
      - 2
      - 0
    .max_flat_workgroup_size: 128
    .name:           _ZN2at6native32elementwise_kernel_manual_unrollILi128ELi4EZNS0_15gpu_kernel_implIZZZNS0_12_GLOBAL__N_116addr_kernel_cudaERNS_14TensorIteratorERKN3c106ScalarES9_ENKUlvE_clEvENKUlvE_clEvEUlhhhE_EEvRNS_18TensorIteratorBaseERKT_EUlibE_EEviT1_
    .private_segment_fixed_size: 0
    .sgpr_count:     41
    .sgpr_spill_count: 0
    .symbol:         _ZN2at6native32elementwise_kernel_manual_unrollILi128ELi4EZNS0_15gpu_kernel_implIZZZNS0_12_GLOBAL__N_116addr_kernel_cudaERNS_14TensorIteratorERKN3c106ScalarES9_ENKUlvE_clEvENKUlvE_clEvEUlhhhE_EEvRNS_18TensorIteratorBaseERKT_EUlibE_EEviT1_.kd
    .uniform_work_group_size: 1
    .uses_dynamic_stack: false
    .vgpr_count:     22
    .vgpr_spill_count: 0
    .wavefront_size: 32
  - .args:
      - .offset:         0
        .size:           4
        .value_kind:     by_value
      - .offset:         8
        .size:           496
        .value_kind:     by_value
    .group_segment_fixed_size: 0
    .kernarg_segment_align: 8
    .kernarg_segment_size: 504
    .language:       OpenCL C
    .language_version:
      - 2
      - 0
    .max_flat_workgroup_size: 128
    .name:           _ZN2at6native32elementwise_kernel_manual_unrollILi128ELi4EZNS0_15gpu_kernel_implIZZZNS0_12_GLOBAL__N_116addr_kernel_cudaERNS_14TensorIteratorERKN3c106ScalarES9_ENKUlvE_clEvENKUlvE_clEvEUlhhhE_EEvRNS_18TensorIteratorBaseERKT_EUlibE0_EEviT1_
    .private_segment_fixed_size: 0
    .sgpr_count:     65
    .sgpr_spill_count: 0
    .symbol:         _ZN2at6native32elementwise_kernel_manual_unrollILi128ELi4EZNS0_15gpu_kernel_implIZZZNS0_12_GLOBAL__N_116addr_kernel_cudaERNS_14TensorIteratorERKN3c106ScalarES9_ENKUlvE_clEvENKUlvE_clEvEUlhhhE_EEvRNS_18TensorIteratorBaseERKT_EUlibE0_EEviT1_.kd
    .uniform_work_group_size: 1
    .uses_dynamic_stack: false
    .vgpr_count:     28
    .vgpr_spill_count: 0
    .wavefront_size: 32
  - .args:
      - .offset:         0
        .size:           4
        .value_kind:     by_value
      - .offset:         4
        .size:           2
        .value_kind:     by_value
      - .offset:         8
        .size:           32
        .value_kind:     by_value
    .group_segment_fixed_size: 0
    .kernarg_segment_align: 8
    .kernarg_segment_size: 40
    .language:       OpenCL C
    .language_version:
      - 2
      - 0
    .max_flat_workgroup_size: 256
    .name:           _ZN2at6native29vectorized_elementwise_kernelILi16EZZZNS0_12_GLOBAL__N_116addr_kernel_cudaERNS_14TensorIteratorERKN3c106ScalarES8_ENKUlvE_clEvENKUlvE_clEvEUlhhhE0_St5arrayIPcLm4EEEEviT0_T1_
    .private_segment_fixed_size: 0
    .sgpr_count:     24
    .sgpr_spill_count: 0
    .symbol:         _ZN2at6native29vectorized_elementwise_kernelILi16EZZZNS0_12_GLOBAL__N_116addr_kernel_cudaERNS_14TensorIteratorERKN3c106ScalarES8_ENKUlvE_clEvENKUlvE_clEvEUlhhhE0_St5arrayIPcLm4EEEEviT0_T1_.kd
    .uniform_work_group_size: 1
    .uses_dynamic_stack: false
    .vgpr_count:     57
    .vgpr_spill_count: 0
    .wavefront_size: 32
  - .args:
      - .offset:         0
        .size:           4
        .value_kind:     by_value
      - .offset:         4
        .size:           2
        .value_kind:     by_value
      - .offset:         8
        .size:           32
        .value_kind:     by_value
    .group_segment_fixed_size: 0
    .kernarg_segment_align: 8
    .kernarg_segment_size: 40
    .language:       OpenCL C
    .language_version:
      - 2
      - 0
    .max_flat_workgroup_size: 256
    .name:           _ZN2at6native29vectorized_elementwise_kernelILi8EZZZNS0_12_GLOBAL__N_116addr_kernel_cudaERNS_14TensorIteratorERKN3c106ScalarES8_ENKUlvE_clEvENKUlvE_clEvEUlhhhE0_St5arrayIPcLm4EEEEviT0_T1_
    .private_segment_fixed_size: 0
    .sgpr_count:     24
    .sgpr_spill_count: 0
    .symbol:         _ZN2at6native29vectorized_elementwise_kernelILi8EZZZNS0_12_GLOBAL__N_116addr_kernel_cudaERNS_14TensorIteratorERKN3c106ScalarES8_ENKUlvE_clEvENKUlvE_clEvEUlhhhE0_St5arrayIPcLm4EEEEviT0_T1_.kd
    .uniform_work_group_size: 1
    .uses_dynamic_stack: false
    .vgpr_count:     57
    .vgpr_spill_count: 0
    .wavefront_size: 32
  - .args:
      - .offset:         0
        .size:           4
        .value_kind:     by_value
      - .offset:         4
        .size:           2
        .value_kind:     by_value
      - .offset:         8
        .size:           32
        .value_kind:     by_value
    .group_segment_fixed_size: 0
    .kernarg_segment_align: 8
    .kernarg_segment_size: 40
    .language:       OpenCL C
    .language_version:
      - 2
      - 0
    .max_flat_workgroup_size: 256
    .name:           _ZN2at6native29vectorized_elementwise_kernelILi4EZZZNS0_12_GLOBAL__N_116addr_kernel_cudaERNS_14TensorIteratorERKN3c106ScalarES8_ENKUlvE_clEvENKUlvE_clEvEUlhhhE0_St5arrayIPcLm4EEEEviT0_T1_
    .private_segment_fixed_size: 0
    .sgpr_count:     24
    .sgpr_spill_count: 0
    .symbol:         _ZN2at6native29vectorized_elementwise_kernelILi4EZZZNS0_12_GLOBAL__N_116addr_kernel_cudaERNS_14TensorIteratorERKN3c106ScalarES8_ENKUlvE_clEvENKUlvE_clEvEUlhhhE0_St5arrayIPcLm4EEEEviT0_T1_.kd
    .uniform_work_group_size: 1
    .uses_dynamic_stack: false
    .vgpr_count:     57
    .vgpr_spill_count: 0
    .wavefront_size: 32
  - .args:
      - .offset:         0
        .size:           4
        .value_kind:     by_value
      - .offset:         4
        .size:           2
        .value_kind:     by_value
      - .offset:         8
        .size:           32
        .value_kind:     by_value
    .group_segment_fixed_size: 0
    .kernarg_segment_align: 8
    .kernarg_segment_size: 40
    .language:       OpenCL C
    .language_version:
      - 2
      - 0
    .max_flat_workgroup_size: 256
    .name:           _ZN2at6native29vectorized_elementwise_kernelILi2EZZZNS0_12_GLOBAL__N_116addr_kernel_cudaERNS_14TensorIteratorERKN3c106ScalarES8_ENKUlvE_clEvENKUlvE_clEvEUlhhhE0_St5arrayIPcLm4EEEEviT0_T1_
    .private_segment_fixed_size: 0
    .sgpr_count:     24
    .sgpr_spill_count: 0
    .symbol:         _ZN2at6native29vectorized_elementwise_kernelILi2EZZZNS0_12_GLOBAL__N_116addr_kernel_cudaERNS_14TensorIteratorERKN3c106ScalarES8_ENKUlvE_clEvENKUlvE_clEvEUlhhhE0_St5arrayIPcLm4EEEEviT0_T1_.kd
    .uniform_work_group_size: 1
    .uses_dynamic_stack: false
    .vgpr_count:     57
    .vgpr_spill_count: 0
    .wavefront_size: 32
  - .args:
      - .offset:         0
        .size:           4
        .value_kind:     by_value
      - .offset:         4
        .size:           2
        .value_kind:     by_value
      - .offset:         8
        .size:           32
        .value_kind:     by_value
      - .offset:         40
        .size:           1
        .value_kind:     by_value
      - .offset:         41
        .size:           1
        .value_kind:     by_value
      - .offset:         42
        .size:           1
        .value_kind:     by_value
      - .offset:         43
        .size:           1
        .value_kind:     by_value
    .group_segment_fixed_size: 0
    .kernarg_segment_align: 8
    .kernarg_segment_size: 44
    .language:       OpenCL C
    .language_version:
      - 2
      - 0
    .max_flat_workgroup_size: 256
    .name:           _ZN2at6native27unrolled_elementwise_kernelIZZZNS0_12_GLOBAL__N_116addr_kernel_cudaERNS_14TensorIteratorERKN3c106ScalarES8_ENKUlvE_clEvENKUlvE_clEvEUlhhhE0_St5arrayIPcLm4EELi4E23TrivialOffsetCalculatorILi3EjESF_ILi1EjENS0_6memory15LoadWithoutCastENSI_16StoreWithoutCastEEEviT_T0_T2_T3_T4_T5_
    .private_segment_fixed_size: 0
    .sgpr_count:     18
    .sgpr_spill_count: 0
    .symbol:         _ZN2at6native27unrolled_elementwise_kernelIZZZNS0_12_GLOBAL__N_116addr_kernel_cudaERNS_14TensorIteratorERKN3c106ScalarES8_ENKUlvE_clEvENKUlvE_clEvEUlhhhE0_St5arrayIPcLm4EELi4E23TrivialOffsetCalculatorILi3EjESF_ILi1EjENS0_6memory15LoadWithoutCastENSI_16StoreWithoutCastEEEviT_T0_T2_T3_T4_T5_.kd
    .uniform_work_group_size: 1
    .uses_dynamic_stack: false
    .vgpr_count:     16
    .vgpr_spill_count: 0
    .wavefront_size: 32
  - .args:
      - .offset:         0
        .size:           4
        .value_kind:     by_value
      - .offset:         8
        .size:           496
        .value_kind:     by_value
    .group_segment_fixed_size: 0
    .kernarg_segment_align: 8
    .kernarg_segment_size: 504
    .language:       OpenCL C
    .language_version:
      - 2
      - 0
    .max_flat_workgroup_size: 128
    .name:           _ZN2at6native32elementwise_kernel_manual_unrollILi128ELi8EZNS0_22gpu_kernel_impl_nocastIZZZNS0_12_GLOBAL__N_116addr_kernel_cudaERNS_14TensorIteratorERKN3c106ScalarES9_ENKUlvE_clEvENKUlvE_clEvEUlhhhE0_EEvRNS_18TensorIteratorBaseERKT_EUlibE_EEviT1_
    .private_segment_fixed_size: 0
    .sgpr_count:     60
    .sgpr_spill_count: 0
    .symbol:         _ZN2at6native32elementwise_kernel_manual_unrollILi128ELi8EZNS0_22gpu_kernel_impl_nocastIZZZNS0_12_GLOBAL__N_116addr_kernel_cudaERNS_14TensorIteratorERKN3c106ScalarES9_ENKUlvE_clEvENKUlvE_clEvEUlhhhE0_EEvRNS_18TensorIteratorBaseERKT_EUlibE_EEviT1_.kd
    .uniform_work_group_size: 1
    .uses_dynamic_stack: false
    .vgpr_count:     47
    .vgpr_spill_count: 0
    .wavefront_size: 32
  - .args:
      - .offset:         0
        .size:           4
        .value_kind:     by_value
      - .offset:         8
        .size:           56
        .value_kind:     by_value
    .group_segment_fixed_size: 0
    .kernarg_segment_align: 8
    .kernarg_segment_size: 64
    .language:       OpenCL C
    .language_version:
      - 2
      - 0
    .max_flat_workgroup_size: 128
    .name:           _ZN2at6native32elementwise_kernel_manual_unrollILi128ELi4EZNS0_15gpu_kernel_implIZZZNS0_12_GLOBAL__N_116addr_kernel_cudaERNS_14TensorIteratorERKN3c106ScalarES9_ENKUlvE_clEvENKUlvE_clEvEUlhhhE0_EEvRNS_18TensorIteratorBaseERKT_EUlibE_EEviT1_
    .private_segment_fixed_size: 0
    .sgpr_count:     46
    .sgpr_spill_count: 0
    .symbol:         _ZN2at6native32elementwise_kernel_manual_unrollILi128ELi4EZNS0_15gpu_kernel_implIZZZNS0_12_GLOBAL__N_116addr_kernel_cudaERNS_14TensorIteratorERKN3c106ScalarES9_ENKUlvE_clEvENKUlvE_clEvEUlhhhE0_EEvRNS_18TensorIteratorBaseERKT_EUlibE_EEviT1_.kd
    .uniform_work_group_size: 1
    .uses_dynamic_stack: false
    .vgpr_count:     30
    .vgpr_spill_count: 0
    .wavefront_size: 32
  - .args:
      - .offset:         0
        .size:           4
        .value_kind:     by_value
      - .offset:         8
        .size:           496
        .value_kind:     by_value
    .group_segment_fixed_size: 0
    .kernarg_segment_align: 8
    .kernarg_segment_size: 504
    .language:       OpenCL C
    .language_version:
      - 2
      - 0
    .max_flat_workgroup_size: 128
    .name:           _ZN2at6native32elementwise_kernel_manual_unrollILi128ELi4EZNS0_15gpu_kernel_implIZZZNS0_12_GLOBAL__N_116addr_kernel_cudaERNS_14TensorIteratorERKN3c106ScalarES9_ENKUlvE_clEvENKUlvE_clEvEUlhhhE0_EEvRNS_18TensorIteratorBaseERKT_EUlibE0_EEviT1_
    .private_segment_fixed_size: 0
    .sgpr_count:     78
    .sgpr_spill_count: 0
    .symbol:         _ZN2at6native32elementwise_kernel_manual_unrollILi128ELi4EZNS0_15gpu_kernel_implIZZZNS0_12_GLOBAL__N_116addr_kernel_cudaERNS_14TensorIteratorERKN3c106ScalarES9_ENKUlvE_clEvENKUlvE_clEvEUlhhhE0_EEvRNS_18TensorIteratorBaseERKT_EUlibE0_EEviT1_.kd
    .uniform_work_group_size: 1
    .uses_dynamic_stack: false
    .vgpr_count:     36
    .vgpr_spill_count: 0
    .wavefront_size: 32
  - .args:
      - .offset:         0
        .size:           4
        .value_kind:     by_value
      - .offset:         4
        .size:           1
        .value_kind:     by_value
      - .offset:         8
        .size:           32
        .value_kind:     by_value
    .group_segment_fixed_size: 0
    .kernarg_segment_align: 8
    .kernarg_segment_size: 40
    .language:       OpenCL C
    .language_version:
      - 2
      - 0
    .max_flat_workgroup_size: 256
    .name:           _ZN2at6native29vectorized_elementwise_kernelILi16EZZZNS0_12_GLOBAL__N_116addr_kernel_cudaERNS_14TensorIteratorERKN3c106ScalarES8_ENKUlvE_clEvENKUlvE0_clEvEUlaaaE_St5arrayIPcLm4EEEEviT0_T1_
    .private_segment_fixed_size: 0
    .sgpr_count:     24
    .sgpr_spill_count: 0
    .symbol:         _ZN2at6native29vectorized_elementwise_kernelILi16EZZZNS0_12_GLOBAL__N_116addr_kernel_cudaERNS_14TensorIteratorERKN3c106ScalarES8_ENKUlvE_clEvENKUlvE0_clEvEUlaaaE_St5arrayIPcLm4EEEEviT0_T1_.kd
    .uniform_work_group_size: 1
    .uses_dynamic_stack: false
    .vgpr_count:     39
    .vgpr_spill_count: 0
    .wavefront_size: 32
  - .args:
      - .offset:         0
        .size:           4
        .value_kind:     by_value
      - .offset:         4
        .size:           1
        .value_kind:     by_value
      - .offset:         8
        .size:           32
        .value_kind:     by_value
    .group_segment_fixed_size: 0
    .kernarg_segment_align: 8
    .kernarg_segment_size: 40
    .language:       OpenCL C
    .language_version:
      - 2
      - 0
    .max_flat_workgroup_size: 256
    .name:           _ZN2at6native29vectorized_elementwise_kernelILi8EZZZNS0_12_GLOBAL__N_116addr_kernel_cudaERNS_14TensorIteratorERKN3c106ScalarES8_ENKUlvE_clEvENKUlvE0_clEvEUlaaaE_St5arrayIPcLm4EEEEviT0_T1_
    .private_segment_fixed_size: 0
    .sgpr_count:     24
    .sgpr_spill_count: 0
    .symbol:         _ZN2at6native29vectorized_elementwise_kernelILi8EZZZNS0_12_GLOBAL__N_116addr_kernel_cudaERNS_14TensorIteratorERKN3c106ScalarES8_ENKUlvE_clEvENKUlvE0_clEvEUlaaaE_St5arrayIPcLm4EEEEviT0_T1_.kd
    .uniform_work_group_size: 1
    .uses_dynamic_stack: false
    .vgpr_count:     39
    .vgpr_spill_count: 0
    .wavefront_size: 32
  - .args:
      - .offset:         0
        .size:           4
        .value_kind:     by_value
      - .offset:         4
        .size:           1
        .value_kind:     by_value
      - .offset:         8
        .size:           32
        .value_kind:     by_value
    .group_segment_fixed_size: 0
    .kernarg_segment_align: 8
    .kernarg_segment_size: 40
    .language:       OpenCL C
    .language_version:
      - 2
      - 0
    .max_flat_workgroup_size: 256
    .name:           _ZN2at6native29vectorized_elementwise_kernelILi4EZZZNS0_12_GLOBAL__N_116addr_kernel_cudaERNS_14TensorIteratorERKN3c106ScalarES8_ENKUlvE_clEvENKUlvE0_clEvEUlaaaE_St5arrayIPcLm4EEEEviT0_T1_
    .private_segment_fixed_size: 0
    .sgpr_count:     24
    .sgpr_spill_count: 0
    .symbol:         _ZN2at6native29vectorized_elementwise_kernelILi4EZZZNS0_12_GLOBAL__N_116addr_kernel_cudaERNS_14TensorIteratorERKN3c106ScalarES8_ENKUlvE_clEvENKUlvE0_clEvEUlaaaE_St5arrayIPcLm4EEEEviT0_T1_.kd
    .uniform_work_group_size: 1
    .uses_dynamic_stack: false
    .vgpr_count:     39
    .vgpr_spill_count: 0
    .wavefront_size: 32
  - .args:
      - .offset:         0
        .size:           4
        .value_kind:     by_value
      - .offset:         4
        .size:           1
        .value_kind:     by_value
      - .offset:         8
        .size:           32
        .value_kind:     by_value
    .group_segment_fixed_size: 0
    .kernarg_segment_align: 8
    .kernarg_segment_size: 40
    .language:       OpenCL C
    .language_version:
      - 2
      - 0
    .max_flat_workgroup_size: 256
    .name:           _ZN2at6native29vectorized_elementwise_kernelILi2EZZZNS0_12_GLOBAL__N_116addr_kernel_cudaERNS_14TensorIteratorERKN3c106ScalarES8_ENKUlvE_clEvENKUlvE0_clEvEUlaaaE_St5arrayIPcLm4EEEEviT0_T1_
    .private_segment_fixed_size: 0
    .sgpr_count:     24
    .sgpr_spill_count: 0
    .symbol:         _ZN2at6native29vectorized_elementwise_kernelILi2EZZZNS0_12_GLOBAL__N_116addr_kernel_cudaERNS_14TensorIteratorERKN3c106ScalarES8_ENKUlvE_clEvENKUlvE0_clEvEUlaaaE_St5arrayIPcLm4EEEEviT0_T1_.kd
    .uniform_work_group_size: 1
    .uses_dynamic_stack: false
    .vgpr_count:     39
    .vgpr_spill_count: 0
    .wavefront_size: 32
  - .args:
      - .offset:         0
        .size:           4
        .value_kind:     by_value
      - .offset:         4
        .size:           1
        .value_kind:     by_value
      - .offset:         8
        .size:           32
        .value_kind:     by_value
      - .offset:         40
        .size:           1
        .value_kind:     by_value
      - .offset:         41
        .size:           1
        .value_kind:     by_value
      - .offset:         42
        .size:           1
        .value_kind:     by_value
      - .offset:         43
        .size:           1
        .value_kind:     by_value
    .group_segment_fixed_size: 0
    .kernarg_segment_align: 8
    .kernarg_segment_size: 44
    .language:       OpenCL C
    .language_version:
      - 2
      - 0
    .max_flat_workgroup_size: 256
    .name:           _ZN2at6native27unrolled_elementwise_kernelIZZZNS0_12_GLOBAL__N_116addr_kernel_cudaERNS_14TensorIteratorERKN3c106ScalarES8_ENKUlvE_clEvENKUlvE0_clEvEUlaaaE_St5arrayIPcLm4EELi4E23TrivialOffsetCalculatorILi3EjESF_ILi1EjENS0_6memory15LoadWithoutCastENSI_16StoreWithoutCastEEEviT_T0_T2_T3_T4_T5_
    .private_segment_fixed_size: 0
    .sgpr_count:     16
    .sgpr_spill_count: 0
    .symbol:         _ZN2at6native27unrolled_elementwise_kernelIZZZNS0_12_GLOBAL__N_116addr_kernel_cudaERNS_14TensorIteratorERKN3c106ScalarES8_ENKUlvE_clEvENKUlvE0_clEvEUlaaaE_St5arrayIPcLm4EELi4E23TrivialOffsetCalculatorILi3EjESF_ILi1EjENS0_6memory15LoadWithoutCastENSI_16StoreWithoutCastEEEviT_T0_T2_T3_T4_T5_.kd
    .uniform_work_group_size: 1
    .uses_dynamic_stack: false
    .vgpr_count:     12
    .vgpr_spill_count: 0
    .wavefront_size: 32
  - .args:
      - .offset:         0
        .size:           4
        .value_kind:     by_value
      - .offset:         8
        .size:           496
        .value_kind:     by_value
    .group_segment_fixed_size: 0
    .kernarg_segment_align: 8
    .kernarg_segment_size: 504
    .language:       OpenCL C
    .language_version:
      - 2
      - 0
    .max_flat_workgroup_size: 128
    .name:           _ZN2at6native32elementwise_kernel_manual_unrollILi128ELi8EZNS0_22gpu_kernel_impl_nocastIZZZNS0_12_GLOBAL__N_116addr_kernel_cudaERNS_14TensorIteratorERKN3c106ScalarES9_ENKUlvE_clEvENKUlvE0_clEvEUlaaaE_EEvRNS_18TensorIteratorBaseERKT_EUlibE_EEviT1_
    .private_segment_fixed_size: 0
    .sgpr_count:     47
    .sgpr_spill_count: 0
    .symbol:         _ZN2at6native32elementwise_kernel_manual_unrollILi128ELi8EZNS0_22gpu_kernel_impl_nocastIZZZNS0_12_GLOBAL__N_116addr_kernel_cudaERNS_14TensorIteratorERKN3c106ScalarES9_ENKUlvE_clEvENKUlvE0_clEvEUlaaaE_EEvRNS_18TensorIteratorBaseERKT_EUlibE_EEviT1_.kd
    .uniform_work_group_size: 1
    .uses_dynamic_stack: false
    .vgpr_count:     39
    .vgpr_spill_count: 0
    .wavefront_size: 32
  - .args:
      - .offset:         0
        .size:           4
        .value_kind:     by_value
      - .offset:         8
        .size:           56
        .value_kind:     by_value
    .group_segment_fixed_size: 0
    .kernarg_segment_align: 8
    .kernarg_segment_size: 64
    .language:       OpenCL C
    .language_version:
      - 2
      - 0
    .max_flat_workgroup_size: 128
    .name:           _ZN2at6native32elementwise_kernel_manual_unrollILi128ELi4EZNS0_15gpu_kernel_implIZZZNS0_12_GLOBAL__N_116addr_kernel_cudaERNS_14TensorIteratorERKN3c106ScalarES9_ENKUlvE_clEvENKUlvE0_clEvEUlaaaE_EEvRNS_18TensorIteratorBaseERKT_EUlibE_EEviT1_
    .private_segment_fixed_size: 0
    .sgpr_count:     41
    .sgpr_spill_count: 0
    .symbol:         _ZN2at6native32elementwise_kernel_manual_unrollILi128ELi4EZNS0_15gpu_kernel_implIZZZNS0_12_GLOBAL__N_116addr_kernel_cudaERNS_14TensorIteratorERKN3c106ScalarES9_ENKUlvE_clEvENKUlvE0_clEvEUlaaaE_EEvRNS_18TensorIteratorBaseERKT_EUlibE_EEviT1_.kd
    .uniform_work_group_size: 1
    .uses_dynamic_stack: false
    .vgpr_count:     22
    .vgpr_spill_count: 0
    .wavefront_size: 32
  - .args:
      - .offset:         0
        .size:           4
        .value_kind:     by_value
      - .offset:         8
        .size:           496
        .value_kind:     by_value
    .group_segment_fixed_size: 0
    .kernarg_segment_align: 8
    .kernarg_segment_size: 504
    .language:       OpenCL C
    .language_version:
      - 2
      - 0
    .max_flat_workgroup_size: 128
    .name:           _ZN2at6native32elementwise_kernel_manual_unrollILi128ELi4EZNS0_15gpu_kernel_implIZZZNS0_12_GLOBAL__N_116addr_kernel_cudaERNS_14TensorIteratorERKN3c106ScalarES9_ENKUlvE_clEvENKUlvE0_clEvEUlaaaE_EEvRNS_18TensorIteratorBaseERKT_EUlibE0_EEviT1_
    .private_segment_fixed_size: 0
    .sgpr_count:     65
    .sgpr_spill_count: 0
    .symbol:         _ZN2at6native32elementwise_kernel_manual_unrollILi128ELi4EZNS0_15gpu_kernel_implIZZZNS0_12_GLOBAL__N_116addr_kernel_cudaERNS_14TensorIteratorERKN3c106ScalarES9_ENKUlvE_clEvENKUlvE0_clEvEUlaaaE_EEvRNS_18TensorIteratorBaseERKT_EUlibE0_EEviT1_.kd
    .uniform_work_group_size: 1
    .uses_dynamic_stack: false
    .vgpr_count:     28
    .vgpr_spill_count: 0
    .wavefront_size: 32
  - .args:
      - .offset:         0
        .size:           4
        .value_kind:     by_value
      - .offset:         4
        .size:           2
        .value_kind:     by_value
      - .offset:         8
        .size:           32
        .value_kind:     by_value
    .group_segment_fixed_size: 0
    .kernarg_segment_align: 8
    .kernarg_segment_size: 40
    .language:       OpenCL C
    .language_version:
      - 2
      - 0
    .max_flat_workgroup_size: 256
    .name:           _ZN2at6native29vectorized_elementwise_kernelILi16EZZZNS0_12_GLOBAL__N_116addr_kernel_cudaERNS_14TensorIteratorERKN3c106ScalarES8_ENKUlvE_clEvENKUlvE0_clEvEUlaaaE0_St5arrayIPcLm4EEEEviT0_T1_
    .private_segment_fixed_size: 0
    .sgpr_count:     24
    .sgpr_spill_count: 0
    .symbol:         _ZN2at6native29vectorized_elementwise_kernelILi16EZZZNS0_12_GLOBAL__N_116addr_kernel_cudaERNS_14TensorIteratorERKN3c106ScalarES8_ENKUlvE_clEvENKUlvE0_clEvEUlaaaE0_St5arrayIPcLm4EEEEviT0_T1_.kd
    .uniform_work_group_size: 1
    .uses_dynamic_stack: false
    .vgpr_count:     57
    .vgpr_spill_count: 0
    .wavefront_size: 32
  - .args:
      - .offset:         0
        .size:           4
        .value_kind:     by_value
      - .offset:         4
        .size:           2
        .value_kind:     by_value
      - .offset:         8
        .size:           32
        .value_kind:     by_value
    .group_segment_fixed_size: 0
    .kernarg_segment_align: 8
    .kernarg_segment_size: 40
    .language:       OpenCL C
    .language_version:
      - 2
      - 0
    .max_flat_workgroup_size: 256
    .name:           _ZN2at6native29vectorized_elementwise_kernelILi8EZZZNS0_12_GLOBAL__N_116addr_kernel_cudaERNS_14TensorIteratorERKN3c106ScalarES8_ENKUlvE_clEvENKUlvE0_clEvEUlaaaE0_St5arrayIPcLm4EEEEviT0_T1_
    .private_segment_fixed_size: 0
    .sgpr_count:     24
    .sgpr_spill_count: 0
    .symbol:         _ZN2at6native29vectorized_elementwise_kernelILi8EZZZNS0_12_GLOBAL__N_116addr_kernel_cudaERNS_14TensorIteratorERKN3c106ScalarES8_ENKUlvE_clEvENKUlvE0_clEvEUlaaaE0_St5arrayIPcLm4EEEEviT0_T1_.kd
    .uniform_work_group_size: 1
    .uses_dynamic_stack: false
    .vgpr_count:     57
    .vgpr_spill_count: 0
    .wavefront_size: 32
  - .args:
      - .offset:         0
        .size:           4
        .value_kind:     by_value
      - .offset:         4
        .size:           2
        .value_kind:     by_value
      - .offset:         8
        .size:           32
        .value_kind:     by_value
    .group_segment_fixed_size: 0
    .kernarg_segment_align: 8
    .kernarg_segment_size: 40
    .language:       OpenCL C
    .language_version:
      - 2
      - 0
    .max_flat_workgroup_size: 256
    .name:           _ZN2at6native29vectorized_elementwise_kernelILi4EZZZNS0_12_GLOBAL__N_116addr_kernel_cudaERNS_14TensorIteratorERKN3c106ScalarES8_ENKUlvE_clEvENKUlvE0_clEvEUlaaaE0_St5arrayIPcLm4EEEEviT0_T1_
    .private_segment_fixed_size: 0
    .sgpr_count:     24
    .sgpr_spill_count: 0
    .symbol:         _ZN2at6native29vectorized_elementwise_kernelILi4EZZZNS0_12_GLOBAL__N_116addr_kernel_cudaERNS_14TensorIteratorERKN3c106ScalarES8_ENKUlvE_clEvENKUlvE0_clEvEUlaaaE0_St5arrayIPcLm4EEEEviT0_T1_.kd
    .uniform_work_group_size: 1
    .uses_dynamic_stack: false
    .vgpr_count:     57
    .vgpr_spill_count: 0
    .wavefront_size: 32
  - .args:
      - .offset:         0
        .size:           4
        .value_kind:     by_value
      - .offset:         4
        .size:           2
        .value_kind:     by_value
      - .offset:         8
        .size:           32
        .value_kind:     by_value
    .group_segment_fixed_size: 0
    .kernarg_segment_align: 8
    .kernarg_segment_size: 40
    .language:       OpenCL C
    .language_version:
      - 2
      - 0
    .max_flat_workgroup_size: 256
    .name:           _ZN2at6native29vectorized_elementwise_kernelILi2EZZZNS0_12_GLOBAL__N_116addr_kernel_cudaERNS_14TensorIteratorERKN3c106ScalarES8_ENKUlvE_clEvENKUlvE0_clEvEUlaaaE0_St5arrayIPcLm4EEEEviT0_T1_
    .private_segment_fixed_size: 0
    .sgpr_count:     24
    .sgpr_spill_count: 0
    .symbol:         _ZN2at6native29vectorized_elementwise_kernelILi2EZZZNS0_12_GLOBAL__N_116addr_kernel_cudaERNS_14TensorIteratorERKN3c106ScalarES8_ENKUlvE_clEvENKUlvE0_clEvEUlaaaE0_St5arrayIPcLm4EEEEviT0_T1_.kd
    .uniform_work_group_size: 1
    .uses_dynamic_stack: false
    .vgpr_count:     57
    .vgpr_spill_count: 0
    .wavefront_size: 32
  - .args:
      - .offset:         0
        .size:           4
        .value_kind:     by_value
      - .offset:         4
        .size:           2
        .value_kind:     by_value
      - .offset:         8
        .size:           32
        .value_kind:     by_value
      - .offset:         40
        .size:           1
        .value_kind:     by_value
      - .offset:         41
        .size:           1
        .value_kind:     by_value
      - .offset:         42
        .size:           1
        .value_kind:     by_value
      - .offset:         43
        .size:           1
        .value_kind:     by_value
    .group_segment_fixed_size: 0
    .kernarg_segment_align: 8
    .kernarg_segment_size: 44
    .language:       OpenCL C
    .language_version:
      - 2
      - 0
    .max_flat_workgroup_size: 256
    .name:           _ZN2at6native27unrolled_elementwise_kernelIZZZNS0_12_GLOBAL__N_116addr_kernel_cudaERNS_14TensorIteratorERKN3c106ScalarES8_ENKUlvE_clEvENKUlvE0_clEvEUlaaaE0_St5arrayIPcLm4EELi4E23TrivialOffsetCalculatorILi3EjESF_ILi1EjENS0_6memory15LoadWithoutCastENSI_16StoreWithoutCastEEEviT_T0_T2_T3_T4_T5_
    .private_segment_fixed_size: 0
    .sgpr_count:     18
    .sgpr_spill_count: 0
    .symbol:         _ZN2at6native27unrolled_elementwise_kernelIZZZNS0_12_GLOBAL__N_116addr_kernel_cudaERNS_14TensorIteratorERKN3c106ScalarES8_ENKUlvE_clEvENKUlvE0_clEvEUlaaaE0_St5arrayIPcLm4EELi4E23TrivialOffsetCalculatorILi3EjESF_ILi1EjENS0_6memory15LoadWithoutCastENSI_16StoreWithoutCastEEEviT_T0_T2_T3_T4_T5_.kd
    .uniform_work_group_size: 1
    .uses_dynamic_stack: false
    .vgpr_count:     16
    .vgpr_spill_count: 0
    .wavefront_size: 32
  - .args:
      - .offset:         0
        .size:           4
        .value_kind:     by_value
      - .offset:         8
        .size:           496
        .value_kind:     by_value
    .group_segment_fixed_size: 0
    .kernarg_segment_align: 8
    .kernarg_segment_size: 504
    .language:       OpenCL C
    .language_version:
      - 2
      - 0
    .max_flat_workgroup_size: 128
    .name:           _ZN2at6native32elementwise_kernel_manual_unrollILi128ELi8EZNS0_22gpu_kernel_impl_nocastIZZZNS0_12_GLOBAL__N_116addr_kernel_cudaERNS_14TensorIteratorERKN3c106ScalarES9_ENKUlvE_clEvENKUlvE0_clEvEUlaaaE0_EEvRNS_18TensorIteratorBaseERKT_EUlibE_EEviT1_
    .private_segment_fixed_size: 0
    .sgpr_count:     60
    .sgpr_spill_count: 0
    .symbol:         _ZN2at6native32elementwise_kernel_manual_unrollILi128ELi8EZNS0_22gpu_kernel_impl_nocastIZZZNS0_12_GLOBAL__N_116addr_kernel_cudaERNS_14TensorIteratorERKN3c106ScalarES9_ENKUlvE_clEvENKUlvE0_clEvEUlaaaE0_EEvRNS_18TensorIteratorBaseERKT_EUlibE_EEviT1_.kd
    .uniform_work_group_size: 1
    .uses_dynamic_stack: false
    .vgpr_count:     47
    .vgpr_spill_count: 0
    .wavefront_size: 32
  - .args:
      - .offset:         0
        .size:           4
        .value_kind:     by_value
      - .offset:         8
        .size:           56
        .value_kind:     by_value
    .group_segment_fixed_size: 0
    .kernarg_segment_align: 8
    .kernarg_segment_size: 64
    .language:       OpenCL C
    .language_version:
      - 2
      - 0
    .max_flat_workgroup_size: 128
    .name:           _ZN2at6native32elementwise_kernel_manual_unrollILi128ELi4EZNS0_15gpu_kernel_implIZZZNS0_12_GLOBAL__N_116addr_kernel_cudaERNS_14TensorIteratorERKN3c106ScalarES9_ENKUlvE_clEvENKUlvE0_clEvEUlaaaE0_EEvRNS_18TensorIteratorBaseERKT_EUlibE_EEviT1_
    .private_segment_fixed_size: 0
    .sgpr_count:     46
    .sgpr_spill_count: 0
    .symbol:         _ZN2at6native32elementwise_kernel_manual_unrollILi128ELi4EZNS0_15gpu_kernel_implIZZZNS0_12_GLOBAL__N_116addr_kernel_cudaERNS_14TensorIteratorERKN3c106ScalarES9_ENKUlvE_clEvENKUlvE0_clEvEUlaaaE0_EEvRNS_18TensorIteratorBaseERKT_EUlibE_EEviT1_.kd
    .uniform_work_group_size: 1
    .uses_dynamic_stack: false
    .vgpr_count:     30
    .vgpr_spill_count: 0
    .wavefront_size: 32
  - .args:
      - .offset:         0
        .size:           4
        .value_kind:     by_value
      - .offset:         8
        .size:           496
        .value_kind:     by_value
    .group_segment_fixed_size: 0
    .kernarg_segment_align: 8
    .kernarg_segment_size: 504
    .language:       OpenCL C
    .language_version:
      - 2
      - 0
    .max_flat_workgroup_size: 128
    .name:           _ZN2at6native32elementwise_kernel_manual_unrollILi128ELi4EZNS0_15gpu_kernel_implIZZZNS0_12_GLOBAL__N_116addr_kernel_cudaERNS_14TensorIteratorERKN3c106ScalarES9_ENKUlvE_clEvENKUlvE0_clEvEUlaaaE0_EEvRNS_18TensorIteratorBaseERKT_EUlibE0_EEviT1_
    .private_segment_fixed_size: 0
    .sgpr_count:     78
    .sgpr_spill_count: 0
    .symbol:         _ZN2at6native32elementwise_kernel_manual_unrollILi128ELi4EZNS0_15gpu_kernel_implIZZZNS0_12_GLOBAL__N_116addr_kernel_cudaERNS_14TensorIteratorERKN3c106ScalarES9_ENKUlvE_clEvENKUlvE0_clEvEUlaaaE0_EEvRNS_18TensorIteratorBaseERKT_EUlibE0_EEviT1_.kd
    .uniform_work_group_size: 1
    .uses_dynamic_stack: false
    .vgpr_count:     36
    .vgpr_spill_count: 0
    .wavefront_size: 32
  - .args:
      - .offset:         0
        .size:           4
        .value_kind:     by_value
      - .offset:         4
        .size:           4
        .value_kind:     by_value
      - .offset:         8
        .size:           32
        .value_kind:     by_value
    .group_segment_fixed_size: 0
    .kernarg_segment_align: 8
    .kernarg_segment_size: 40
    .language:       OpenCL C
    .language_version:
      - 2
      - 0
    .max_flat_workgroup_size: 256
    .name:           _ZN2at6native29vectorized_elementwise_kernelILi16EZZZNS0_12_GLOBAL__N_116addr_kernel_cudaERNS_14TensorIteratorERKN3c106ScalarES8_ENKUlvE_clEvENKUlvE1_clEvEUliiiE_St5arrayIPcLm4EEEEviT0_T1_
    .private_segment_fixed_size: 0
    .sgpr_count:     18
    .sgpr_spill_count: 0
    .symbol:         _ZN2at6native29vectorized_elementwise_kernelILi16EZZZNS0_12_GLOBAL__N_116addr_kernel_cudaERNS_14TensorIteratorERKN3c106ScalarES8_ENKUlvE_clEvENKUlvE1_clEvEUliiiE_St5arrayIPcLm4EEEEviT0_T1_.kd
    .uniform_work_group_size: 1
    .uses_dynamic_stack: false
    .vgpr_count:     15
    .vgpr_spill_count: 0
    .wavefront_size: 32
  - .args:
      - .offset:         0
        .size:           4
        .value_kind:     by_value
      - .offset:         4
        .size:           4
        .value_kind:     by_value
      - .offset:         8
        .size:           32
        .value_kind:     by_value
    .group_segment_fixed_size: 0
    .kernarg_segment_align: 8
    .kernarg_segment_size: 40
    .language:       OpenCL C
    .language_version:
      - 2
      - 0
    .max_flat_workgroup_size: 256
    .name:           _ZN2at6native29vectorized_elementwise_kernelILi8EZZZNS0_12_GLOBAL__N_116addr_kernel_cudaERNS_14TensorIteratorERKN3c106ScalarES8_ENKUlvE_clEvENKUlvE1_clEvEUliiiE_St5arrayIPcLm4EEEEviT0_T1_
    .private_segment_fixed_size: 0
    .sgpr_count:     18
    .sgpr_spill_count: 0
    .symbol:         _ZN2at6native29vectorized_elementwise_kernelILi8EZZZNS0_12_GLOBAL__N_116addr_kernel_cudaERNS_14TensorIteratorERKN3c106ScalarES8_ENKUlvE_clEvENKUlvE1_clEvEUliiiE_St5arrayIPcLm4EEEEviT0_T1_.kd
    .uniform_work_group_size: 1
    .uses_dynamic_stack: false
    .vgpr_count:     15
    .vgpr_spill_count: 0
    .wavefront_size: 32
  - .args:
      - .offset:         0
        .size:           4
        .value_kind:     by_value
      - .offset:         4
        .size:           4
        .value_kind:     by_value
      - .offset:         8
        .size:           32
        .value_kind:     by_value
    .group_segment_fixed_size: 0
    .kernarg_segment_align: 8
    .kernarg_segment_size: 40
    .language:       OpenCL C
    .language_version:
      - 2
      - 0
    .max_flat_workgroup_size: 256
    .name:           _ZN2at6native29vectorized_elementwise_kernelILi4EZZZNS0_12_GLOBAL__N_116addr_kernel_cudaERNS_14TensorIteratorERKN3c106ScalarES8_ENKUlvE_clEvENKUlvE1_clEvEUliiiE_St5arrayIPcLm4EEEEviT0_T1_
    .private_segment_fixed_size: 0
    .sgpr_count:     18
    .sgpr_spill_count: 0
    .symbol:         _ZN2at6native29vectorized_elementwise_kernelILi4EZZZNS0_12_GLOBAL__N_116addr_kernel_cudaERNS_14TensorIteratorERKN3c106ScalarES8_ENKUlvE_clEvENKUlvE1_clEvEUliiiE_St5arrayIPcLm4EEEEviT0_T1_.kd
    .uniform_work_group_size: 1
    .uses_dynamic_stack: false
    .vgpr_count:     15
    .vgpr_spill_count: 0
    .wavefront_size: 32
  - .args:
      - .offset:         0
        .size:           4
        .value_kind:     by_value
      - .offset:         4
        .size:           4
        .value_kind:     by_value
      - .offset:         8
        .size:           32
        .value_kind:     by_value
    .group_segment_fixed_size: 0
    .kernarg_segment_align: 8
    .kernarg_segment_size: 40
    .language:       OpenCL C
    .language_version:
      - 2
      - 0
    .max_flat_workgroup_size: 256
    .name:           _ZN2at6native29vectorized_elementwise_kernelILi2EZZZNS0_12_GLOBAL__N_116addr_kernel_cudaERNS_14TensorIteratorERKN3c106ScalarES8_ENKUlvE_clEvENKUlvE1_clEvEUliiiE_St5arrayIPcLm4EEEEviT0_T1_
    .private_segment_fixed_size: 0
    .sgpr_count:     18
    .sgpr_spill_count: 0
    .symbol:         _ZN2at6native29vectorized_elementwise_kernelILi2EZZZNS0_12_GLOBAL__N_116addr_kernel_cudaERNS_14TensorIteratorERKN3c106ScalarES8_ENKUlvE_clEvENKUlvE1_clEvEUliiiE_St5arrayIPcLm4EEEEviT0_T1_.kd
    .uniform_work_group_size: 1
    .uses_dynamic_stack: false
    .vgpr_count:     15
    .vgpr_spill_count: 0
    .wavefront_size: 32
  - .args:
      - .offset:         0
        .size:           4
        .value_kind:     by_value
      - .offset:         4
        .size:           4
        .value_kind:     by_value
      - .offset:         8
        .size:           32
        .value_kind:     by_value
      - .offset:         40
        .size:           1
        .value_kind:     by_value
      - .offset:         41
        .size:           1
        .value_kind:     by_value
      - .offset:         42
        .size:           1
        .value_kind:     by_value
      - .offset:         43
        .size:           1
        .value_kind:     by_value
    .group_segment_fixed_size: 0
    .kernarg_segment_align: 8
    .kernarg_segment_size: 44
    .language:       OpenCL C
    .language_version:
      - 2
      - 0
    .max_flat_workgroup_size: 256
    .name:           _ZN2at6native27unrolled_elementwise_kernelIZZZNS0_12_GLOBAL__N_116addr_kernel_cudaERNS_14TensorIteratorERKN3c106ScalarES8_ENKUlvE_clEvENKUlvE1_clEvEUliiiE_St5arrayIPcLm4EELi4E23TrivialOffsetCalculatorILi3EjESF_ILi1EjENS0_6memory15LoadWithoutCastENSI_16StoreWithoutCastEEEviT_T0_T2_T3_T4_T5_
    .private_segment_fixed_size: 0
    .sgpr_count:     16
    .sgpr_spill_count: 0
    .symbol:         _ZN2at6native27unrolled_elementwise_kernelIZZZNS0_12_GLOBAL__N_116addr_kernel_cudaERNS_14TensorIteratorERKN3c106ScalarES8_ENKUlvE_clEvENKUlvE1_clEvEUliiiE_St5arrayIPcLm4EELi4E23TrivialOffsetCalculatorILi3EjESF_ILi1EjENS0_6memory15LoadWithoutCastENSI_16StoreWithoutCastEEEviT_T0_T2_T3_T4_T5_.kd
    .uniform_work_group_size: 1
    .uses_dynamic_stack: false
    .vgpr_count:     12
    .vgpr_spill_count: 0
    .wavefront_size: 32
  - .args:
      - .offset:         0
        .size:           4
        .value_kind:     by_value
      - .offset:         8
        .size:           496
        .value_kind:     by_value
    .group_segment_fixed_size: 0
    .kernarg_segment_align: 8
    .kernarg_segment_size: 504
    .language:       OpenCL C
    .language_version:
      - 2
      - 0
    .max_flat_workgroup_size: 128
    .name:           _ZN2at6native32elementwise_kernel_manual_unrollILi128ELi4EZNS0_22gpu_kernel_impl_nocastIZZZNS0_12_GLOBAL__N_116addr_kernel_cudaERNS_14TensorIteratorERKN3c106ScalarES9_ENKUlvE_clEvENKUlvE1_clEvEUliiiE_EEvRNS_18TensorIteratorBaseERKT_EUlibE_EEviT1_
    .private_segment_fixed_size: 0
    .sgpr_count:     47
    .sgpr_spill_count: 0
    .symbol:         _ZN2at6native32elementwise_kernel_manual_unrollILi128ELi4EZNS0_22gpu_kernel_impl_nocastIZZZNS0_12_GLOBAL__N_116addr_kernel_cudaERNS_14TensorIteratorERKN3c106ScalarES9_ENKUlvE_clEvENKUlvE1_clEvEUliiiE_EEvRNS_18TensorIteratorBaseERKT_EUlibE_EEviT1_.kd
    .uniform_work_group_size: 1
    .uses_dynamic_stack: false
    .vgpr_count:     20
    .vgpr_spill_count: 0
    .wavefront_size: 32
  - .args:
      - .offset:         0
        .size:           4
        .value_kind:     by_value
      - .offset:         8
        .size:           56
        .value_kind:     by_value
    .group_segment_fixed_size: 0
    .kernarg_segment_align: 8
    .kernarg_segment_size: 64
    .language:       OpenCL C
    .language_version:
      - 2
      - 0
    .max_flat_workgroup_size: 128
    .name:           _ZN2at6native32elementwise_kernel_manual_unrollILi128ELi4EZNS0_15gpu_kernel_implIZZZNS0_12_GLOBAL__N_116addr_kernel_cudaERNS_14TensorIteratorERKN3c106ScalarES9_ENKUlvE_clEvENKUlvE1_clEvEUliiiE_EEvRNS_18TensorIteratorBaseERKT_EUlibE_EEviT1_
    .private_segment_fixed_size: 0
    .sgpr_count:     41
    .sgpr_spill_count: 0
    .symbol:         _ZN2at6native32elementwise_kernel_manual_unrollILi128ELi4EZNS0_15gpu_kernel_implIZZZNS0_12_GLOBAL__N_116addr_kernel_cudaERNS_14TensorIteratorERKN3c106ScalarES9_ENKUlvE_clEvENKUlvE1_clEvEUliiiE_EEvRNS_18TensorIteratorBaseERKT_EUlibE_EEviT1_.kd
    .uniform_work_group_size: 1
    .uses_dynamic_stack: false
    .vgpr_count:     20
    .vgpr_spill_count: 0
    .wavefront_size: 32
  - .args:
      - .offset:         0
        .size:           4
        .value_kind:     by_value
      - .offset:         8
        .size:           496
        .value_kind:     by_value
    .group_segment_fixed_size: 0
    .kernarg_segment_align: 8
    .kernarg_segment_size: 504
    .language:       OpenCL C
    .language_version:
      - 2
      - 0
    .max_flat_workgroup_size: 128
    .name:           _ZN2at6native32elementwise_kernel_manual_unrollILi128ELi4EZNS0_15gpu_kernel_implIZZZNS0_12_GLOBAL__N_116addr_kernel_cudaERNS_14TensorIteratorERKN3c106ScalarES9_ENKUlvE_clEvENKUlvE1_clEvEUliiiE_EEvRNS_18TensorIteratorBaseERKT_EUlibE0_EEviT1_
    .private_segment_fixed_size: 0
    .sgpr_count:     65
    .sgpr_spill_count: 0
    .symbol:         _ZN2at6native32elementwise_kernel_manual_unrollILi128ELi4EZNS0_15gpu_kernel_implIZZZNS0_12_GLOBAL__N_116addr_kernel_cudaERNS_14TensorIteratorERKN3c106ScalarES9_ENKUlvE_clEvENKUlvE1_clEvEUliiiE_EEvRNS_18TensorIteratorBaseERKT_EUlibE0_EEviT1_.kd
    .uniform_work_group_size: 1
    .uses_dynamic_stack: false
    .vgpr_count:     26
    .vgpr_spill_count: 0
    .wavefront_size: 32
  - .args:
      - .offset:         0
        .size:           4
        .value_kind:     by_value
      - .offset:         4
        .size:           8
        .value_kind:     by_value
      - .offset:         16
        .size:           32
        .value_kind:     by_value
    .group_segment_fixed_size: 0
    .kernarg_segment_align: 8
    .kernarg_segment_size: 48
    .language:       OpenCL C
    .language_version:
      - 2
      - 0
    .max_flat_workgroup_size: 256
    .name:           _ZN2at6native29vectorized_elementwise_kernelILi16EZZZNS0_12_GLOBAL__N_116addr_kernel_cudaERNS_14TensorIteratorERKN3c106ScalarES8_ENKUlvE_clEvENKUlvE1_clEvEUliiiE0_St5arrayIPcLm4EEEEviT0_T1_
    .private_segment_fixed_size: 0
    .sgpr_count:     24
    .sgpr_spill_count: 0
    .symbol:         _ZN2at6native29vectorized_elementwise_kernelILi16EZZZNS0_12_GLOBAL__N_116addr_kernel_cudaERNS_14TensorIteratorERKN3c106ScalarES8_ENKUlvE_clEvENKUlvE1_clEvEUliiiE0_St5arrayIPcLm4EEEEviT0_T1_.kd
    .uniform_work_group_size: 1
    .uses_dynamic_stack: false
    .vgpr_count:     22
    .vgpr_spill_count: 0
    .wavefront_size: 32
  - .args:
      - .offset:         0
        .size:           4
        .value_kind:     by_value
      - .offset:         4
        .size:           8
        .value_kind:     by_value
      - .offset:         16
        .size:           32
        .value_kind:     by_value
    .group_segment_fixed_size: 0
    .kernarg_segment_align: 8
    .kernarg_segment_size: 48
    .language:       OpenCL C
    .language_version:
      - 2
      - 0
    .max_flat_workgroup_size: 256
    .name:           _ZN2at6native29vectorized_elementwise_kernelILi8EZZZNS0_12_GLOBAL__N_116addr_kernel_cudaERNS_14TensorIteratorERKN3c106ScalarES8_ENKUlvE_clEvENKUlvE1_clEvEUliiiE0_St5arrayIPcLm4EEEEviT0_T1_
    .private_segment_fixed_size: 0
    .sgpr_count:     24
    .sgpr_spill_count: 0
    .symbol:         _ZN2at6native29vectorized_elementwise_kernelILi8EZZZNS0_12_GLOBAL__N_116addr_kernel_cudaERNS_14TensorIteratorERKN3c106ScalarES8_ENKUlvE_clEvENKUlvE1_clEvEUliiiE0_St5arrayIPcLm4EEEEviT0_T1_.kd
    .uniform_work_group_size: 1
    .uses_dynamic_stack: false
    .vgpr_count:     22
    .vgpr_spill_count: 0
    .wavefront_size: 32
  - .args:
      - .offset:         0
        .size:           4
        .value_kind:     by_value
      - .offset:         4
        .size:           8
        .value_kind:     by_value
      - .offset:         16
        .size:           32
        .value_kind:     by_value
    .group_segment_fixed_size: 0
    .kernarg_segment_align: 8
    .kernarg_segment_size: 48
    .language:       OpenCL C
    .language_version:
      - 2
      - 0
    .max_flat_workgroup_size: 256
    .name:           _ZN2at6native29vectorized_elementwise_kernelILi4EZZZNS0_12_GLOBAL__N_116addr_kernel_cudaERNS_14TensorIteratorERKN3c106ScalarES8_ENKUlvE_clEvENKUlvE1_clEvEUliiiE0_St5arrayIPcLm4EEEEviT0_T1_
    .private_segment_fixed_size: 0
    .sgpr_count:     24
    .sgpr_spill_count: 0
    .symbol:         _ZN2at6native29vectorized_elementwise_kernelILi4EZZZNS0_12_GLOBAL__N_116addr_kernel_cudaERNS_14TensorIteratorERKN3c106ScalarES8_ENKUlvE_clEvENKUlvE1_clEvEUliiiE0_St5arrayIPcLm4EEEEviT0_T1_.kd
    .uniform_work_group_size: 1
    .uses_dynamic_stack: false
    .vgpr_count:     22
    .vgpr_spill_count: 0
    .wavefront_size: 32
  - .args:
      - .offset:         0
        .size:           4
        .value_kind:     by_value
      - .offset:         4
        .size:           8
        .value_kind:     by_value
      - .offset:         16
        .size:           32
        .value_kind:     by_value
    .group_segment_fixed_size: 0
    .kernarg_segment_align: 8
    .kernarg_segment_size: 48
    .language:       OpenCL C
    .language_version:
      - 2
      - 0
    .max_flat_workgroup_size: 256
    .name:           _ZN2at6native29vectorized_elementwise_kernelILi2EZZZNS0_12_GLOBAL__N_116addr_kernel_cudaERNS_14TensorIteratorERKN3c106ScalarES8_ENKUlvE_clEvENKUlvE1_clEvEUliiiE0_St5arrayIPcLm4EEEEviT0_T1_
    .private_segment_fixed_size: 0
    .sgpr_count:     24
    .sgpr_spill_count: 0
    .symbol:         _ZN2at6native29vectorized_elementwise_kernelILi2EZZZNS0_12_GLOBAL__N_116addr_kernel_cudaERNS_14TensorIteratorERKN3c106ScalarES8_ENKUlvE_clEvENKUlvE1_clEvEUliiiE0_St5arrayIPcLm4EEEEviT0_T1_.kd
    .uniform_work_group_size: 1
    .uses_dynamic_stack: false
    .vgpr_count:     22
    .vgpr_spill_count: 0
    .wavefront_size: 32
  - .args:
      - .offset:         0
        .size:           4
        .value_kind:     by_value
      - .offset:         4
        .size:           8
        .value_kind:     by_value
      - .offset:         16
        .size:           32
        .value_kind:     by_value
      - .offset:         48
        .size:           1
        .value_kind:     by_value
      - .offset:         49
        .size:           1
        .value_kind:     by_value
      - .offset:         50
        .size:           1
        .value_kind:     by_value
      - .offset:         51
        .size:           1
        .value_kind:     by_value
    .group_segment_fixed_size: 0
    .kernarg_segment_align: 8
    .kernarg_segment_size: 52
    .language:       OpenCL C
    .language_version:
      - 2
      - 0
    .max_flat_workgroup_size: 256
    .name:           _ZN2at6native27unrolled_elementwise_kernelIZZZNS0_12_GLOBAL__N_116addr_kernel_cudaERNS_14TensorIteratorERKN3c106ScalarES8_ENKUlvE_clEvENKUlvE1_clEvEUliiiE0_St5arrayIPcLm4EELi4E23TrivialOffsetCalculatorILi3EjESF_ILi1EjENS0_6memory15LoadWithoutCastENSI_16StoreWithoutCastEEEviT_T0_T2_T3_T4_T5_
    .private_segment_fixed_size: 0
    .sgpr_count:     19
    .sgpr_spill_count: 0
    .symbol:         _ZN2at6native27unrolled_elementwise_kernelIZZZNS0_12_GLOBAL__N_116addr_kernel_cudaERNS_14TensorIteratorERKN3c106ScalarES8_ENKUlvE_clEvENKUlvE1_clEvEUliiiE0_St5arrayIPcLm4EELi4E23TrivialOffsetCalculatorILi3EjESF_ILi1EjENS0_6memory15LoadWithoutCastENSI_16StoreWithoutCastEEEviT_T0_T2_T3_T4_T5_.kd
    .uniform_work_group_size: 1
    .uses_dynamic_stack: false
    .vgpr_count:     16
    .vgpr_spill_count: 0
    .wavefront_size: 32
  - .args:
      - .offset:         0
        .size:           4
        .value_kind:     by_value
      - .offset:         8
        .size:           496
        .value_kind:     by_value
    .group_segment_fixed_size: 0
    .kernarg_segment_align: 8
    .kernarg_segment_size: 504
    .language:       OpenCL C
    .language_version:
      - 2
      - 0
    .max_flat_workgroup_size: 128
    .name:           _ZN2at6native32elementwise_kernel_manual_unrollILi128ELi4EZNS0_22gpu_kernel_impl_nocastIZZZNS0_12_GLOBAL__N_116addr_kernel_cudaERNS_14TensorIteratorERKN3c106ScalarES9_ENKUlvE_clEvENKUlvE1_clEvEUliiiE0_EEvRNS_18TensorIteratorBaseERKT_EUlibE_EEviT1_
    .private_segment_fixed_size: 0
    .sgpr_count:     60
    .sgpr_spill_count: 0
    .symbol:         _ZN2at6native32elementwise_kernel_manual_unrollILi128ELi4EZNS0_22gpu_kernel_impl_nocastIZZZNS0_12_GLOBAL__N_116addr_kernel_cudaERNS_14TensorIteratorERKN3c106ScalarES9_ENKUlvE_clEvENKUlvE1_clEvEUliiiE0_EEvRNS_18TensorIteratorBaseERKT_EUlibE_EEviT1_.kd
    .uniform_work_group_size: 1
    .uses_dynamic_stack: false
    .vgpr_count:     28
    .vgpr_spill_count: 0
    .wavefront_size: 32
  - .args:
      - .offset:         0
        .size:           4
        .value_kind:     by_value
      - .offset:         8
        .size:           64
        .value_kind:     by_value
    .group_segment_fixed_size: 0
    .kernarg_segment_align: 8
    .kernarg_segment_size: 72
    .language:       OpenCL C
    .language_version:
      - 2
      - 0
    .max_flat_workgroup_size: 128
    .name:           _ZN2at6native32elementwise_kernel_manual_unrollILi128ELi4EZNS0_15gpu_kernel_implIZZZNS0_12_GLOBAL__N_116addr_kernel_cudaERNS_14TensorIteratorERKN3c106ScalarES9_ENKUlvE_clEvENKUlvE1_clEvEUliiiE0_EEvRNS_18TensorIteratorBaseERKT_EUlibE_EEviT1_
    .private_segment_fixed_size: 0
    .sgpr_count:     46
    .sgpr_spill_count: 0
    .symbol:         _ZN2at6native32elementwise_kernel_manual_unrollILi128ELi4EZNS0_15gpu_kernel_implIZZZNS0_12_GLOBAL__N_116addr_kernel_cudaERNS_14TensorIteratorERKN3c106ScalarES9_ENKUlvE_clEvENKUlvE1_clEvEUliiiE0_EEvRNS_18TensorIteratorBaseERKT_EUlibE_EEviT1_.kd
    .uniform_work_group_size: 1
    .uses_dynamic_stack: false
    .vgpr_count:     24
    .vgpr_spill_count: 0
    .wavefront_size: 32
  - .args:
      - .offset:         0
        .size:           4
        .value_kind:     by_value
      - .offset:         8
        .size:           504
        .value_kind:     by_value
    .group_segment_fixed_size: 0
    .kernarg_segment_align: 8
    .kernarg_segment_size: 512
    .language:       OpenCL C
    .language_version:
      - 2
      - 0
    .max_flat_workgroup_size: 128
    .name:           _ZN2at6native32elementwise_kernel_manual_unrollILi128ELi4EZNS0_15gpu_kernel_implIZZZNS0_12_GLOBAL__N_116addr_kernel_cudaERNS_14TensorIteratorERKN3c106ScalarES9_ENKUlvE_clEvENKUlvE1_clEvEUliiiE0_EEvRNS_18TensorIteratorBaseERKT_EUlibE0_EEviT1_
    .private_segment_fixed_size: 0
    .sgpr_count:     78
    .sgpr_spill_count: 0
    .symbol:         _ZN2at6native32elementwise_kernel_manual_unrollILi128ELi4EZNS0_15gpu_kernel_implIZZZNS0_12_GLOBAL__N_116addr_kernel_cudaERNS_14TensorIteratorERKN3c106ScalarES9_ENKUlvE_clEvENKUlvE1_clEvEUliiiE0_EEvRNS_18TensorIteratorBaseERKT_EUlibE0_EEviT1_.kd
    .uniform_work_group_size: 1
    .uses_dynamic_stack: false
    .vgpr_count:     34
    .vgpr_spill_count: 0
    .wavefront_size: 32
  - .args:
      - .offset:         0
        .size:           4
        .value_kind:     by_value
      - .offset:         8
        .size:           8
        .value_kind:     by_value
      - .offset:         16
        .size:           32
        .value_kind:     by_value
    .group_segment_fixed_size: 0
    .kernarg_segment_align: 8
    .kernarg_segment_size: 48
    .language:       OpenCL C
    .language_version:
      - 2
      - 0
    .max_flat_workgroup_size: 256
    .name:           _ZN2at6native29vectorized_elementwise_kernelILi16EZZZNS0_12_GLOBAL__N_116addr_kernel_cudaERNS_14TensorIteratorERKN3c106ScalarES8_ENKUlvE_clEvENKUlvE2_clEvEUllllE_St5arrayIPcLm4EEEEviT0_T1_
    .private_segment_fixed_size: 0
    .sgpr_count:     18
    .sgpr_spill_count: 0
    .symbol:         _ZN2at6native29vectorized_elementwise_kernelILi16EZZZNS0_12_GLOBAL__N_116addr_kernel_cudaERNS_14TensorIteratorERKN3c106ScalarES8_ENKUlvE_clEvENKUlvE2_clEvEUllllE_St5arrayIPcLm4EEEEviT0_T1_.kd
    .uniform_work_group_size: 1
    .uses_dynamic_stack: false
    .vgpr_count:     21
    .vgpr_spill_count: 0
    .wavefront_size: 32
  - .args:
      - .offset:         0
        .size:           4
        .value_kind:     by_value
      - .offset:         8
        .size:           8
        .value_kind:     by_value
      - .offset:         16
        .size:           32
        .value_kind:     by_value
    .group_segment_fixed_size: 0
    .kernarg_segment_align: 8
    .kernarg_segment_size: 48
    .language:       OpenCL C
    .language_version:
      - 2
      - 0
    .max_flat_workgroup_size: 256
    .name:           _ZN2at6native29vectorized_elementwise_kernelILi8EZZZNS0_12_GLOBAL__N_116addr_kernel_cudaERNS_14TensorIteratorERKN3c106ScalarES8_ENKUlvE_clEvENKUlvE2_clEvEUllllE_St5arrayIPcLm4EEEEviT0_T1_
    .private_segment_fixed_size: 0
    .sgpr_count:     18
    .sgpr_spill_count: 0
    .symbol:         _ZN2at6native29vectorized_elementwise_kernelILi8EZZZNS0_12_GLOBAL__N_116addr_kernel_cudaERNS_14TensorIteratorERKN3c106ScalarES8_ENKUlvE_clEvENKUlvE2_clEvEUllllE_St5arrayIPcLm4EEEEviT0_T1_.kd
    .uniform_work_group_size: 1
    .uses_dynamic_stack: false
    .vgpr_count:     21
    .vgpr_spill_count: 0
    .wavefront_size: 32
  - .args:
      - .offset:         0
        .size:           4
        .value_kind:     by_value
      - .offset:         8
        .size:           8
        .value_kind:     by_value
      - .offset:         16
        .size:           32
        .value_kind:     by_value
    .group_segment_fixed_size: 0
    .kernarg_segment_align: 8
    .kernarg_segment_size: 48
    .language:       OpenCL C
    .language_version:
      - 2
      - 0
    .max_flat_workgroup_size: 256
    .name:           _ZN2at6native29vectorized_elementwise_kernelILi4EZZZNS0_12_GLOBAL__N_116addr_kernel_cudaERNS_14TensorIteratorERKN3c106ScalarES8_ENKUlvE_clEvENKUlvE2_clEvEUllllE_St5arrayIPcLm4EEEEviT0_T1_
    .private_segment_fixed_size: 0
    .sgpr_count:     18
    .sgpr_spill_count: 0
    .symbol:         _ZN2at6native29vectorized_elementwise_kernelILi4EZZZNS0_12_GLOBAL__N_116addr_kernel_cudaERNS_14TensorIteratorERKN3c106ScalarES8_ENKUlvE_clEvENKUlvE2_clEvEUllllE_St5arrayIPcLm4EEEEviT0_T1_.kd
    .uniform_work_group_size: 1
    .uses_dynamic_stack: false
    .vgpr_count:     21
    .vgpr_spill_count: 0
    .wavefront_size: 32
  - .args:
      - .offset:         0
        .size:           4
        .value_kind:     by_value
      - .offset:         8
        .size:           8
        .value_kind:     by_value
      - .offset:         16
        .size:           32
        .value_kind:     by_value
    .group_segment_fixed_size: 0
    .kernarg_segment_align: 8
    .kernarg_segment_size: 48
    .language:       OpenCL C
    .language_version:
      - 2
      - 0
    .max_flat_workgroup_size: 256
    .name:           _ZN2at6native29vectorized_elementwise_kernelILi2EZZZNS0_12_GLOBAL__N_116addr_kernel_cudaERNS_14TensorIteratorERKN3c106ScalarES8_ENKUlvE_clEvENKUlvE2_clEvEUllllE_St5arrayIPcLm4EEEEviT0_T1_
    .private_segment_fixed_size: 0
    .sgpr_count:     18
    .sgpr_spill_count: 0
    .symbol:         _ZN2at6native29vectorized_elementwise_kernelILi2EZZZNS0_12_GLOBAL__N_116addr_kernel_cudaERNS_14TensorIteratorERKN3c106ScalarES8_ENKUlvE_clEvENKUlvE2_clEvEUllllE_St5arrayIPcLm4EEEEviT0_T1_.kd
    .uniform_work_group_size: 1
    .uses_dynamic_stack: false
    .vgpr_count:     21
    .vgpr_spill_count: 0
    .wavefront_size: 32
  - .args:
      - .offset:         0
        .size:           4
        .value_kind:     by_value
      - .offset:         8
        .size:           8
        .value_kind:     by_value
      - .offset:         16
        .size:           32
        .value_kind:     by_value
      - .offset:         48
        .size:           1
        .value_kind:     by_value
      - .offset:         49
        .size:           1
        .value_kind:     by_value
      - .offset:         50
        .size:           1
        .value_kind:     by_value
      - .offset:         51
        .size:           1
        .value_kind:     by_value
    .group_segment_fixed_size: 0
    .kernarg_segment_align: 8
    .kernarg_segment_size: 52
    .language:       OpenCL C
    .language_version:
      - 2
      - 0
    .max_flat_workgroup_size: 256
    .name:           _ZN2at6native27unrolled_elementwise_kernelIZZZNS0_12_GLOBAL__N_116addr_kernel_cudaERNS_14TensorIteratorERKN3c106ScalarES8_ENKUlvE_clEvENKUlvE2_clEvEUllllE_St5arrayIPcLm4EELi4E23TrivialOffsetCalculatorILi3EjESF_ILi1EjENS0_6memory15LoadWithoutCastENSI_16StoreWithoutCastEEEviT_T0_T2_T3_T4_T5_
    .private_segment_fixed_size: 0
    .sgpr_count:     15
    .sgpr_spill_count: 0
    .symbol:         _ZN2at6native27unrolled_elementwise_kernelIZZZNS0_12_GLOBAL__N_116addr_kernel_cudaERNS_14TensorIteratorERKN3c106ScalarES8_ENKUlvE_clEvENKUlvE2_clEvEUllllE_St5arrayIPcLm4EELi4E23TrivialOffsetCalculatorILi3EjESF_ILi1EjENS0_6memory15LoadWithoutCastENSI_16StoreWithoutCastEEEviT_T0_T2_T3_T4_T5_.kd
    .uniform_work_group_size: 1
    .uses_dynamic_stack: false
    .vgpr_count:     21
    .vgpr_spill_count: 0
    .wavefront_size: 32
  - .args:
      - .offset:         0
        .size:           4
        .value_kind:     by_value
      - .offset:         8
        .size:           496
        .value_kind:     by_value
    .group_segment_fixed_size: 0
    .kernarg_segment_align: 8
    .kernarg_segment_size: 504
    .language:       OpenCL C
    .language_version:
      - 2
      - 0
    .max_flat_workgroup_size: 128
    .name:           _ZN2at6native32elementwise_kernel_manual_unrollILi128ELi4EZNS0_22gpu_kernel_impl_nocastIZZZNS0_12_GLOBAL__N_116addr_kernel_cudaERNS_14TensorIteratorERKN3c106ScalarES9_ENKUlvE_clEvENKUlvE2_clEvEUllllE_EEvRNS_18TensorIteratorBaseERKT_EUlibE_EEviT1_
    .private_segment_fixed_size: 0
    .sgpr_count:     48
    .sgpr_spill_count: 0
    .symbol:         _ZN2at6native32elementwise_kernel_manual_unrollILi128ELi4EZNS0_22gpu_kernel_impl_nocastIZZZNS0_12_GLOBAL__N_116addr_kernel_cudaERNS_14TensorIteratorERKN3c106ScalarES9_ENKUlvE_clEvENKUlvE2_clEvEUllllE_EEvRNS_18TensorIteratorBaseERKT_EUlibE_EEviT1_.kd
    .uniform_work_group_size: 1
    .uses_dynamic_stack: false
    .vgpr_count:     30
    .vgpr_spill_count: 0
    .wavefront_size: 32
  - .args:
      - .offset:         0
        .size:           4
        .value_kind:     by_value
      - .offset:         8
        .size:           64
        .value_kind:     by_value
    .group_segment_fixed_size: 0
    .kernarg_segment_align: 8
    .kernarg_segment_size: 72
    .language:       OpenCL C
    .language_version:
      - 2
      - 0
    .max_flat_workgroup_size: 128
    .name:           _ZN2at6native32elementwise_kernel_manual_unrollILi128ELi4EZNS0_15gpu_kernel_implIZZZNS0_12_GLOBAL__N_116addr_kernel_cudaERNS_14TensorIteratorERKN3c106ScalarES9_ENKUlvE_clEvENKUlvE2_clEvEUllllE_EEvRNS_18TensorIteratorBaseERKT_EUlibE_EEviT1_
    .private_segment_fixed_size: 0
    .sgpr_count:     42
    .sgpr_spill_count: 0
    .symbol:         _ZN2at6native32elementwise_kernel_manual_unrollILi128ELi4EZNS0_15gpu_kernel_implIZZZNS0_12_GLOBAL__N_116addr_kernel_cudaERNS_14TensorIteratorERKN3c106ScalarES9_ENKUlvE_clEvENKUlvE2_clEvEUllllE_EEvRNS_18TensorIteratorBaseERKT_EUlibE_EEviT1_.kd
    .uniform_work_group_size: 1
    .uses_dynamic_stack: false
    .vgpr_count:     24
    .vgpr_spill_count: 0
    .wavefront_size: 32
  - .args:
      - .offset:         0
        .size:           4
        .value_kind:     by_value
      - .offset:         8
        .size:           504
        .value_kind:     by_value
    .group_segment_fixed_size: 0
    .kernarg_segment_align: 8
    .kernarg_segment_size: 512
    .language:       OpenCL C
    .language_version:
      - 2
      - 0
    .max_flat_workgroup_size: 128
    .name:           _ZN2at6native32elementwise_kernel_manual_unrollILi128ELi4EZNS0_15gpu_kernel_implIZZZNS0_12_GLOBAL__N_116addr_kernel_cudaERNS_14TensorIteratorERKN3c106ScalarES9_ENKUlvE_clEvENKUlvE2_clEvEUllllE_EEvRNS_18TensorIteratorBaseERKT_EUlibE0_EEviT1_
    .private_segment_fixed_size: 0
    .sgpr_count:     66
    .sgpr_spill_count: 0
    .symbol:         _ZN2at6native32elementwise_kernel_manual_unrollILi128ELi4EZNS0_15gpu_kernel_implIZZZNS0_12_GLOBAL__N_116addr_kernel_cudaERNS_14TensorIteratorERKN3c106ScalarES9_ENKUlvE_clEvENKUlvE2_clEvEUllllE_EEvRNS_18TensorIteratorBaseERKT_EUlibE0_EEviT1_.kd
    .uniform_work_group_size: 1
    .uses_dynamic_stack: false
    .vgpr_count:     30
    .vgpr_spill_count: 0
    .wavefront_size: 32
  - .args:
      - .offset:         0
        .size:           4
        .value_kind:     by_value
      - .offset:         8
        .size:           16
        .value_kind:     by_value
      - .offset:         24
        .size:           32
        .value_kind:     by_value
    .group_segment_fixed_size: 0
    .kernarg_segment_align: 8
    .kernarg_segment_size: 56
    .language:       OpenCL C
    .language_version:
      - 2
      - 0
    .max_flat_workgroup_size: 256
    .name:           _ZN2at6native29vectorized_elementwise_kernelILi16EZZZNS0_12_GLOBAL__N_116addr_kernel_cudaERNS_14TensorIteratorERKN3c106ScalarES8_ENKUlvE_clEvENKUlvE2_clEvEUllllE0_St5arrayIPcLm4EEEEviT0_T1_
    .private_segment_fixed_size: 0
    .sgpr_count:     24
    .sgpr_spill_count: 0
    .symbol:         _ZN2at6native29vectorized_elementwise_kernelILi16EZZZNS0_12_GLOBAL__N_116addr_kernel_cudaERNS_14TensorIteratorERKN3c106ScalarES8_ENKUlvE_clEvENKUlvE2_clEvEUllllE0_St5arrayIPcLm4EEEEviT0_T1_.kd
    .uniform_work_group_size: 1
    .uses_dynamic_stack: false
    .vgpr_count:     30
    .vgpr_spill_count: 0
    .wavefront_size: 32
  - .args:
      - .offset:         0
        .size:           4
        .value_kind:     by_value
      - .offset:         8
        .size:           16
        .value_kind:     by_value
      - .offset:         24
        .size:           32
        .value_kind:     by_value
    .group_segment_fixed_size: 0
    .kernarg_segment_align: 8
    .kernarg_segment_size: 56
    .language:       OpenCL C
    .language_version:
      - 2
      - 0
    .max_flat_workgroup_size: 256
    .name:           _ZN2at6native29vectorized_elementwise_kernelILi8EZZZNS0_12_GLOBAL__N_116addr_kernel_cudaERNS_14TensorIteratorERKN3c106ScalarES8_ENKUlvE_clEvENKUlvE2_clEvEUllllE0_St5arrayIPcLm4EEEEviT0_T1_
    .private_segment_fixed_size: 0
    .sgpr_count:     24
    .sgpr_spill_count: 0
    .symbol:         _ZN2at6native29vectorized_elementwise_kernelILi8EZZZNS0_12_GLOBAL__N_116addr_kernel_cudaERNS_14TensorIteratorERKN3c106ScalarES8_ENKUlvE_clEvENKUlvE2_clEvEUllllE0_St5arrayIPcLm4EEEEviT0_T1_.kd
    .uniform_work_group_size: 1
    .uses_dynamic_stack: false
    .vgpr_count:     30
    .vgpr_spill_count: 0
    .wavefront_size: 32
  - .args:
      - .offset:         0
        .size:           4
        .value_kind:     by_value
      - .offset:         8
        .size:           16
        .value_kind:     by_value
      - .offset:         24
        .size:           32
        .value_kind:     by_value
    .group_segment_fixed_size: 0
    .kernarg_segment_align: 8
    .kernarg_segment_size: 56
    .language:       OpenCL C
    .language_version:
      - 2
      - 0
    .max_flat_workgroup_size: 256
    .name:           _ZN2at6native29vectorized_elementwise_kernelILi4EZZZNS0_12_GLOBAL__N_116addr_kernel_cudaERNS_14TensorIteratorERKN3c106ScalarES8_ENKUlvE_clEvENKUlvE2_clEvEUllllE0_St5arrayIPcLm4EEEEviT0_T1_
    .private_segment_fixed_size: 0
    .sgpr_count:     24
    .sgpr_spill_count: 0
    .symbol:         _ZN2at6native29vectorized_elementwise_kernelILi4EZZZNS0_12_GLOBAL__N_116addr_kernel_cudaERNS_14TensorIteratorERKN3c106ScalarES8_ENKUlvE_clEvENKUlvE2_clEvEUllllE0_St5arrayIPcLm4EEEEviT0_T1_.kd
    .uniform_work_group_size: 1
    .uses_dynamic_stack: false
    .vgpr_count:     30
    .vgpr_spill_count: 0
    .wavefront_size: 32
  - .args:
      - .offset:         0
        .size:           4
        .value_kind:     by_value
      - .offset:         8
        .size:           16
        .value_kind:     by_value
      - .offset:         24
        .size:           32
        .value_kind:     by_value
    .group_segment_fixed_size: 0
    .kernarg_segment_align: 8
    .kernarg_segment_size: 56
    .language:       OpenCL C
    .language_version:
      - 2
      - 0
    .max_flat_workgroup_size: 256
    .name:           _ZN2at6native29vectorized_elementwise_kernelILi2EZZZNS0_12_GLOBAL__N_116addr_kernel_cudaERNS_14TensorIteratorERKN3c106ScalarES8_ENKUlvE_clEvENKUlvE2_clEvEUllllE0_St5arrayIPcLm4EEEEviT0_T1_
    .private_segment_fixed_size: 0
    .sgpr_count:     24
    .sgpr_spill_count: 0
    .symbol:         _ZN2at6native29vectorized_elementwise_kernelILi2EZZZNS0_12_GLOBAL__N_116addr_kernel_cudaERNS_14TensorIteratorERKN3c106ScalarES8_ENKUlvE_clEvENKUlvE2_clEvEUllllE0_St5arrayIPcLm4EEEEviT0_T1_.kd
    .uniform_work_group_size: 1
    .uses_dynamic_stack: false
    .vgpr_count:     30
    .vgpr_spill_count: 0
    .wavefront_size: 32
  - .args:
      - .offset:         0
        .size:           4
        .value_kind:     by_value
      - .offset:         8
        .size:           16
        .value_kind:     by_value
      - .offset:         24
        .size:           32
        .value_kind:     by_value
      - .offset:         56
        .size:           1
        .value_kind:     by_value
      - .offset:         57
        .size:           1
        .value_kind:     by_value
      - .offset:         58
        .size:           1
        .value_kind:     by_value
      - .offset:         59
        .size:           1
        .value_kind:     by_value
    .group_segment_fixed_size: 0
    .kernarg_segment_align: 8
    .kernarg_segment_size: 60
    .language:       OpenCL C
    .language_version:
      - 2
      - 0
    .max_flat_workgroup_size: 256
    .name:           _ZN2at6native27unrolled_elementwise_kernelIZZZNS0_12_GLOBAL__N_116addr_kernel_cudaERNS_14TensorIteratorERKN3c106ScalarES8_ENKUlvE_clEvENKUlvE2_clEvEUllllE0_St5arrayIPcLm4EELi4E23TrivialOffsetCalculatorILi3EjESF_ILi1EjENS0_6memory15LoadWithoutCastENSI_16StoreWithoutCastEEEviT_T0_T2_T3_T4_T5_
    .private_segment_fixed_size: 0
    .sgpr_count:     20
    .sgpr_spill_count: 0
    .symbol:         _ZN2at6native27unrolled_elementwise_kernelIZZZNS0_12_GLOBAL__N_116addr_kernel_cudaERNS_14TensorIteratorERKN3c106ScalarES8_ENKUlvE_clEvENKUlvE2_clEvEUllllE0_St5arrayIPcLm4EELi4E23TrivialOffsetCalculatorILi3EjESF_ILi1EjENS0_6memory15LoadWithoutCastENSI_16StoreWithoutCastEEEviT_T0_T2_T3_T4_T5_.kd
    .uniform_work_group_size: 1
    .uses_dynamic_stack: false
    .vgpr_count:     29
    .vgpr_spill_count: 0
    .wavefront_size: 32
  - .args:
      - .offset:         0
        .size:           4
        .value_kind:     by_value
      - .offset:         8
        .size:           504
        .value_kind:     by_value
    .group_segment_fixed_size: 0
    .kernarg_segment_align: 8
    .kernarg_segment_size: 512
    .language:       OpenCL C
    .language_version:
      - 2
      - 0
    .max_flat_workgroup_size: 128
    .name:           _ZN2at6native32elementwise_kernel_manual_unrollILi128ELi4EZNS0_22gpu_kernel_impl_nocastIZZZNS0_12_GLOBAL__N_116addr_kernel_cudaERNS_14TensorIteratorERKN3c106ScalarES9_ENKUlvE_clEvENKUlvE2_clEvEUllllE0_EEvRNS_18TensorIteratorBaseERKT_EUlibE_EEviT1_
    .private_segment_fixed_size: 0
    .sgpr_count:     62
    .sgpr_spill_count: 0
    .symbol:         _ZN2at6native32elementwise_kernel_manual_unrollILi128ELi4EZNS0_22gpu_kernel_impl_nocastIZZZNS0_12_GLOBAL__N_116addr_kernel_cudaERNS_14TensorIteratorERKN3c106ScalarES9_ENKUlvE_clEvENKUlvE2_clEvEUllllE0_EEvRNS_18TensorIteratorBaseERKT_EUlibE_EEviT1_.kd
    .uniform_work_group_size: 1
    .uses_dynamic_stack: false
    .vgpr_count:     42
    .vgpr_spill_count: 0
    .wavefront_size: 32
  - .args:
      - .offset:         0
        .size:           4
        .value_kind:     by_value
      - .offset:         8
        .size:           72
        .value_kind:     by_value
    .group_segment_fixed_size: 0
    .kernarg_segment_align: 8
    .kernarg_segment_size: 80
    .language:       OpenCL C
    .language_version:
      - 2
      - 0
    .max_flat_workgroup_size: 128
    .name:           _ZN2at6native32elementwise_kernel_manual_unrollILi128ELi4EZNS0_15gpu_kernel_implIZZZNS0_12_GLOBAL__N_116addr_kernel_cudaERNS_14TensorIteratorERKN3c106ScalarES9_ENKUlvE_clEvENKUlvE2_clEvEUllllE0_EEvRNS_18TensorIteratorBaseERKT_EUlibE_EEviT1_
    .private_segment_fixed_size: 0
    .sgpr_count:     48
    .sgpr_spill_count: 0
    .symbol:         _ZN2at6native32elementwise_kernel_manual_unrollILi128ELi4EZNS0_15gpu_kernel_implIZZZNS0_12_GLOBAL__N_116addr_kernel_cudaERNS_14TensorIteratorERKN3c106ScalarES9_ENKUlvE_clEvENKUlvE2_clEvEUllllE0_EEvRNS_18TensorIteratorBaseERKT_EUlibE_EEviT1_.kd
    .uniform_work_group_size: 1
    .uses_dynamic_stack: false
    .vgpr_count:     32
    .vgpr_spill_count: 0
    .wavefront_size: 32
  - .args:
      - .offset:         0
        .size:           4
        .value_kind:     by_value
      - .offset:         8
        .size:           512
        .value_kind:     by_value
    .group_segment_fixed_size: 0
    .kernarg_segment_align: 8
    .kernarg_segment_size: 520
    .language:       OpenCL C
    .language_version:
      - 2
      - 0
    .max_flat_workgroup_size: 128
    .name:           _ZN2at6native32elementwise_kernel_manual_unrollILi128ELi4EZNS0_15gpu_kernel_implIZZZNS0_12_GLOBAL__N_116addr_kernel_cudaERNS_14TensorIteratorERKN3c106ScalarES9_ENKUlvE_clEvENKUlvE2_clEvEUllllE0_EEvRNS_18TensorIteratorBaseERKT_EUlibE0_EEviT1_
    .private_segment_fixed_size: 0
    .sgpr_count:     80
    .sgpr_spill_count: 0
    .symbol:         _ZN2at6native32elementwise_kernel_manual_unrollILi128ELi4EZNS0_15gpu_kernel_implIZZZNS0_12_GLOBAL__N_116addr_kernel_cudaERNS_14TensorIteratorERKN3c106ScalarES9_ENKUlvE_clEvENKUlvE2_clEvEUllllE0_EEvRNS_18TensorIteratorBaseERKT_EUlibE0_EEviT1_.kd
    .uniform_work_group_size: 1
    .uses_dynamic_stack: false
    .vgpr_count:     38
    .vgpr_spill_count: 0
    .wavefront_size: 32
  - .args:
      - .offset:         0
        .size:           4
        .value_kind:     by_value
      - .offset:         4
        .size:           2
        .value_kind:     by_value
      - .offset:         8
        .size:           32
        .value_kind:     by_value
    .group_segment_fixed_size: 0
    .kernarg_segment_align: 8
    .kernarg_segment_size: 40
    .language:       OpenCL C
    .language_version:
      - 2
      - 0
    .max_flat_workgroup_size: 256
    .name:           _ZN2at6native29vectorized_elementwise_kernelILi16EZZZNS0_12_GLOBAL__N_116addr_kernel_cudaERNS_14TensorIteratorERKN3c106ScalarES8_ENKUlvE_clEvENKUlvE3_clEvEUlsssE_St5arrayIPcLm4EEEEviT0_T1_
    .private_segment_fixed_size: 0
    .sgpr_count:     18
    .sgpr_spill_count: 0
    .symbol:         _ZN2at6native29vectorized_elementwise_kernelILi16EZZZNS0_12_GLOBAL__N_116addr_kernel_cudaERNS_14TensorIteratorERKN3c106ScalarES8_ENKUlvE_clEvENKUlvE3_clEvEUlsssE_St5arrayIPcLm4EEEEviT0_T1_.kd
    .uniform_work_group_size: 1
    .uses_dynamic_stack: false
    .vgpr_count:     20
    .vgpr_spill_count: 0
    .wavefront_size: 32
  - .args:
      - .offset:         0
        .size:           4
        .value_kind:     by_value
      - .offset:         4
        .size:           2
        .value_kind:     by_value
      - .offset:         8
        .size:           32
        .value_kind:     by_value
    .group_segment_fixed_size: 0
    .kernarg_segment_align: 8
    .kernarg_segment_size: 40
    .language:       OpenCL C
    .language_version:
      - 2
      - 0
    .max_flat_workgroup_size: 256
    .name:           _ZN2at6native29vectorized_elementwise_kernelILi8EZZZNS0_12_GLOBAL__N_116addr_kernel_cudaERNS_14TensorIteratorERKN3c106ScalarES8_ENKUlvE_clEvENKUlvE3_clEvEUlsssE_St5arrayIPcLm4EEEEviT0_T1_
    .private_segment_fixed_size: 0
    .sgpr_count:     18
    .sgpr_spill_count: 0
    .symbol:         _ZN2at6native29vectorized_elementwise_kernelILi8EZZZNS0_12_GLOBAL__N_116addr_kernel_cudaERNS_14TensorIteratorERKN3c106ScalarES8_ENKUlvE_clEvENKUlvE3_clEvEUlsssE_St5arrayIPcLm4EEEEviT0_T1_.kd
    .uniform_work_group_size: 1
    .uses_dynamic_stack: false
    .vgpr_count:     20
    .vgpr_spill_count: 0
    .wavefront_size: 32
  - .args:
      - .offset:         0
        .size:           4
        .value_kind:     by_value
      - .offset:         4
        .size:           2
        .value_kind:     by_value
      - .offset:         8
        .size:           32
        .value_kind:     by_value
    .group_segment_fixed_size: 0
    .kernarg_segment_align: 8
    .kernarg_segment_size: 40
    .language:       OpenCL C
    .language_version:
      - 2
      - 0
    .max_flat_workgroup_size: 256
    .name:           _ZN2at6native29vectorized_elementwise_kernelILi4EZZZNS0_12_GLOBAL__N_116addr_kernel_cudaERNS_14TensorIteratorERKN3c106ScalarES8_ENKUlvE_clEvENKUlvE3_clEvEUlsssE_St5arrayIPcLm4EEEEviT0_T1_
    .private_segment_fixed_size: 0
    .sgpr_count:     20
    .sgpr_spill_count: 0
    .symbol:         _ZN2at6native29vectorized_elementwise_kernelILi4EZZZNS0_12_GLOBAL__N_116addr_kernel_cudaERNS_14TensorIteratorERKN3c106ScalarES8_ENKUlvE_clEvENKUlvE3_clEvEUlsssE_St5arrayIPcLm4EEEEviT0_T1_.kd
    .uniform_work_group_size: 1
    .uses_dynamic_stack: false
    .vgpr_count:     20
    .vgpr_spill_count: 0
    .wavefront_size: 32
  - .args:
      - .offset:         0
        .size:           4
        .value_kind:     by_value
      - .offset:         4
        .size:           2
        .value_kind:     by_value
      - .offset:         8
        .size:           32
        .value_kind:     by_value
    .group_segment_fixed_size: 0
    .kernarg_segment_align: 8
    .kernarg_segment_size: 40
    .language:       OpenCL C
    .language_version:
      - 2
      - 0
    .max_flat_workgroup_size: 256
    .name:           _ZN2at6native29vectorized_elementwise_kernelILi2EZZZNS0_12_GLOBAL__N_116addr_kernel_cudaERNS_14TensorIteratorERKN3c106ScalarES8_ENKUlvE_clEvENKUlvE3_clEvEUlsssE_St5arrayIPcLm4EEEEviT0_T1_
    .private_segment_fixed_size: 0
    .sgpr_count:     20
    .sgpr_spill_count: 0
    .symbol:         _ZN2at6native29vectorized_elementwise_kernelILi2EZZZNS0_12_GLOBAL__N_116addr_kernel_cudaERNS_14TensorIteratorERKN3c106ScalarES8_ENKUlvE_clEvENKUlvE3_clEvEUlsssE_St5arrayIPcLm4EEEEviT0_T1_.kd
    .uniform_work_group_size: 1
    .uses_dynamic_stack: false
    .vgpr_count:     20
    .vgpr_spill_count: 0
    .wavefront_size: 32
  - .args:
      - .offset:         0
        .size:           4
        .value_kind:     by_value
      - .offset:         4
        .size:           2
        .value_kind:     by_value
      - .offset:         8
        .size:           32
        .value_kind:     by_value
      - .offset:         40
        .size:           1
        .value_kind:     by_value
      - .offset:         41
        .size:           1
        .value_kind:     by_value
      - .offset:         42
        .size:           1
        .value_kind:     by_value
      - .offset:         43
        .size:           1
        .value_kind:     by_value
    .group_segment_fixed_size: 0
    .kernarg_segment_align: 8
    .kernarg_segment_size: 44
    .language:       OpenCL C
    .language_version:
      - 2
      - 0
    .max_flat_workgroup_size: 256
    .name:           _ZN2at6native27unrolled_elementwise_kernelIZZZNS0_12_GLOBAL__N_116addr_kernel_cudaERNS_14TensorIteratorERKN3c106ScalarES8_ENKUlvE_clEvENKUlvE3_clEvEUlsssE_St5arrayIPcLm4EELi4E23TrivialOffsetCalculatorILi3EjESF_ILi1EjENS0_6memory15LoadWithoutCastENSI_16StoreWithoutCastEEEviT_T0_T2_T3_T4_T5_
    .private_segment_fixed_size: 0
    .sgpr_count:     13
    .sgpr_spill_count: 0
    .symbol:         _ZN2at6native27unrolled_elementwise_kernelIZZZNS0_12_GLOBAL__N_116addr_kernel_cudaERNS_14TensorIteratorERKN3c106ScalarES8_ENKUlvE_clEvENKUlvE3_clEvEUlsssE_St5arrayIPcLm4EELi4E23TrivialOffsetCalculatorILi3EjESF_ILi1EjENS0_6memory15LoadWithoutCastENSI_16StoreWithoutCastEEEviT_T0_T2_T3_T4_T5_.kd
    .uniform_work_group_size: 1
    .uses_dynamic_stack: false
    .vgpr_count:     12
    .vgpr_spill_count: 0
    .wavefront_size: 32
  - .args:
      - .offset:         0
        .size:           4
        .value_kind:     by_value
      - .offset:         8
        .size:           496
        .value_kind:     by_value
    .group_segment_fixed_size: 0
    .kernarg_segment_align: 8
    .kernarg_segment_size: 504
    .language:       OpenCL C
    .language_version:
      - 2
      - 0
    .max_flat_workgroup_size: 128
    .name:           _ZN2at6native32elementwise_kernel_manual_unrollILi128ELi8EZNS0_22gpu_kernel_impl_nocastIZZZNS0_12_GLOBAL__N_116addr_kernel_cudaERNS_14TensorIteratorERKN3c106ScalarES9_ENKUlvE_clEvENKUlvE3_clEvEUlsssE_EEvRNS_18TensorIteratorBaseERKT_EUlibE_EEviT1_
    .private_segment_fixed_size: 0
    .sgpr_count:     47
    .sgpr_spill_count: 0
    .symbol:         _ZN2at6native32elementwise_kernel_manual_unrollILi128ELi8EZNS0_22gpu_kernel_impl_nocastIZZZNS0_12_GLOBAL__N_116addr_kernel_cudaERNS_14TensorIteratorERKN3c106ScalarES9_ENKUlvE_clEvENKUlvE3_clEvEUlsssE_EEvRNS_18TensorIteratorBaseERKT_EUlibE_EEviT1_.kd
    .uniform_work_group_size: 1
    .uses_dynamic_stack: false
    .vgpr_count:     39
    .vgpr_spill_count: 0
    .wavefront_size: 32
  - .args:
      - .offset:         0
        .size:           4
        .value_kind:     by_value
      - .offset:         8
        .size:           56
        .value_kind:     by_value
    .group_segment_fixed_size: 0
    .kernarg_segment_align: 8
    .kernarg_segment_size: 64
    .language:       OpenCL C
    .language_version:
      - 2
      - 0
    .max_flat_workgroup_size: 128
    .name:           _ZN2at6native32elementwise_kernel_manual_unrollILi128ELi4EZNS0_15gpu_kernel_implIZZZNS0_12_GLOBAL__N_116addr_kernel_cudaERNS_14TensorIteratorERKN3c106ScalarES9_ENKUlvE_clEvENKUlvE3_clEvEUlsssE_EEvRNS_18TensorIteratorBaseERKT_EUlibE_EEviT1_
    .private_segment_fixed_size: 0
    .sgpr_count:     41
    .sgpr_spill_count: 0
    .symbol:         _ZN2at6native32elementwise_kernel_manual_unrollILi128ELi4EZNS0_15gpu_kernel_implIZZZNS0_12_GLOBAL__N_116addr_kernel_cudaERNS_14TensorIteratorERKN3c106ScalarES9_ENKUlvE_clEvENKUlvE3_clEvEUlsssE_EEvRNS_18TensorIteratorBaseERKT_EUlibE_EEviT1_.kd
    .uniform_work_group_size: 1
    .uses_dynamic_stack: false
    .vgpr_count:     22
    .vgpr_spill_count: 0
    .wavefront_size: 32
  - .args:
      - .offset:         0
        .size:           4
        .value_kind:     by_value
      - .offset:         8
        .size:           496
        .value_kind:     by_value
    .group_segment_fixed_size: 0
    .kernarg_segment_align: 8
    .kernarg_segment_size: 504
    .language:       OpenCL C
    .language_version:
      - 2
      - 0
    .max_flat_workgroup_size: 128
    .name:           _ZN2at6native32elementwise_kernel_manual_unrollILi128ELi4EZNS0_15gpu_kernel_implIZZZNS0_12_GLOBAL__N_116addr_kernel_cudaERNS_14TensorIteratorERKN3c106ScalarES9_ENKUlvE_clEvENKUlvE3_clEvEUlsssE_EEvRNS_18TensorIteratorBaseERKT_EUlibE0_EEviT1_
    .private_segment_fixed_size: 0
    .sgpr_count:     65
    .sgpr_spill_count: 0
    .symbol:         _ZN2at6native32elementwise_kernel_manual_unrollILi128ELi4EZNS0_15gpu_kernel_implIZZZNS0_12_GLOBAL__N_116addr_kernel_cudaERNS_14TensorIteratorERKN3c106ScalarES9_ENKUlvE_clEvENKUlvE3_clEvEUlsssE_EEvRNS_18TensorIteratorBaseERKT_EUlibE0_EEviT1_.kd
    .uniform_work_group_size: 1
    .uses_dynamic_stack: false
    .vgpr_count:     28
    .vgpr_spill_count: 0
    .wavefront_size: 32
  - .args:
      - .offset:         0
        .size:           4
        .value_kind:     by_value
      - .offset:         4
        .size:           4
        .value_kind:     by_value
      - .offset:         8
        .size:           32
        .value_kind:     by_value
    .group_segment_fixed_size: 0
    .kernarg_segment_align: 8
    .kernarg_segment_size: 40
    .language:       OpenCL C
    .language_version:
      - 2
      - 0
    .max_flat_workgroup_size: 256
    .name:           _ZN2at6native29vectorized_elementwise_kernelILi16EZZZNS0_12_GLOBAL__N_116addr_kernel_cudaERNS_14TensorIteratorERKN3c106ScalarES8_ENKUlvE_clEvENKUlvE3_clEvEUlsssE0_St5arrayIPcLm4EEEEviT0_T1_
    .private_segment_fixed_size: 0
    .sgpr_count:     22
    .sgpr_spill_count: 0
    .symbol:         _ZN2at6native29vectorized_elementwise_kernelILi16EZZZNS0_12_GLOBAL__N_116addr_kernel_cudaERNS_14TensorIteratorERKN3c106ScalarES8_ENKUlvE_clEvENKUlvE3_clEvEUlsssE0_St5arrayIPcLm4EEEEviT0_T1_.kd
    .uniform_work_group_size: 1
    .uses_dynamic_stack: false
    .vgpr_count:     28
    .vgpr_spill_count: 0
    .wavefront_size: 32
  - .args:
      - .offset:         0
        .size:           4
        .value_kind:     by_value
      - .offset:         4
        .size:           4
        .value_kind:     by_value
      - .offset:         8
        .size:           32
        .value_kind:     by_value
    .group_segment_fixed_size: 0
    .kernarg_segment_align: 8
    .kernarg_segment_size: 40
    .language:       OpenCL C
    .language_version:
      - 2
      - 0
    .max_flat_workgroup_size: 256
    .name:           _ZN2at6native29vectorized_elementwise_kernelILi8EZZZNS0_12_GLOBAL__N_116addr_kernel_cudaERNS_14TensorIteratorERKN3c106ScalarES8_ENKUlvE_clEvENKUlvE3_clEvEUlsssE0_St5arrayIPcLm4EEEEviT0_T1_
    .private_segment_fixed_size: 0
    .sgpr_count:     22
    .sgpr_spill_count: 0
    .symbol:         _ZN2at6native29vectorized_elementwise_kernelILi8EZZZNS0_12_GLOBAL__N_116addr_kernel_cudaERNS_14TensorIteratorERKN3c106ScalarES8_ENKUlvE_clEvENKUlvE3_clEvEUlsssE0_St5arrayIPcLm4EEEEviT0_T1_.kd
    .uniform_work_group_size: 1
    .uses_dynamic_stack: false
    .vgpr_count:     28
    .vgpr_spill_count: 0
    .wavefront_size: 32
  - .args:
      - .offset:         0
        .size:           4
        .value_kind:     by_value
      - .offset:         4
        .size:           4
        .value_kind:     by_value
      - .offset:         8
        .size:           32
        .value_kind:     by_value
    .group_segment_fixed_size: 0
    .kernarg_segment_align: 8
    .kernarg_segment_size: 40
    .language:       OpenCL C
    .language_version:
      - 2
      - 0
    .max_flat_workgroup_size: 256
    .name:           _ZN2at6native29vectorized_elementwise_kernelILi4EZZZNS0_12_GLOBAL__N_116addr_kernel_cudaERNS_14TensorIteratorERKN3c106ScalarES8_ENKUlvE_clEvENKUlvE3_clEvEUlsssE0_St5arrayIPcLm4EEEEviT0_T1_
    .private_segment_fixed_size: 0
    .sgpr_count:     22
    .sgpr_spill_count: 0
    .symbol:         _ZN2at6native29vectorized_elementwise_kernelILi4EZZZNS0_12_GLOBAL__N_116addr_kernel_cudaERNS_14TensorIteratorERKN3c106ScalarES8_ENKUlvE_clEvENKUlvE3_clEvEUlsssE0_St5arrayIPcLm4EEEEviT0_T1_.kd
    .uniform_work_group_size: 1
    .uses_dynamic_stack: false
    .vgpr_count:     28
    .vgpr_spill_count: 0
    .wavefront_size: 32
  - .args:
      - .offset:         0
        .size:           4
        .value_kind:     by_value
      - .offset:         4
        .size:           4
        .value_kind:     by_value
      - .offset:         8
        .size:           32
        .value_kind:     by_value
    .group_segment_fixed_size: 0
    .kernarg_segment_align: 8
    .kernarg_segment_size: 40
    .language:       OpenCL C
    .language_version:
      - 2
      - 0
    .max_flat_workgroup_size: 256
    .name:           _ZN2at6native29vectorized_elementwise_kernelILi2EZZZNS0_12_GLOBAL__N_116addr_kernel_cudaERNS_14TensorIteratorERKN3c106ScalarES8_ENKUlvE_clEvENKUlvE3_clEvEUlsssE0_St5arrayIPcLm4EEEEviT0_T1_
    .private_segment_fixed_size: 0
    .sgpr_count:     24
    .sgpr_spill_count: 0
    .symbol:         _ZN2at6native29vectorized_elementwise_kernelILi2EZZZNS0_12_GLOBAL__N_116addr_kernel_cudaERNS_14TensorIteratorERKN3c106ScalarES8_ENKUlvE_clEvENKUlvE3_clEvEUlsssE0_St5arrayIPcLm4EEEEviT0_T1_.kd
    .uniform_work_group_size: 1
    .uses_dynamic_stack: false
    .vgpr_count:     28
    .vgpr_spill_count: 0
    .wavefront_size: 32
  - .args:
      - .offset:         0
        .size:           4
        .value_kind:     by_value
      - .offset:         4
        .size:           4
        .value_kind:     by_value
      - .offset:         8
        .size:           32
        .value_kind:     by_value
      - .offset:         40
        .size:           1
        .value_kind:     by_value
      - .offset:         41
        .size:           1
        .value_kind:     by_value
      - .offset:         42
        .size:           1
        .value_kind:     by_value
      - .offset:         43
        .size:           1
        .value_kind:     by_value
    .group_segment_fixed_size: 0
    .kernarg_segment_align: 8
    .kernarg_segment_size: 44
    .language:       OpenCL C
    .language_version:
      - 2
      - 0
    .max_flat_workgroup_size: 256
    .name:           _ZN2at6native27unrolled_elementwise_kernelIZZZNS0_12_GLOBAL__N_116addr_kernel_cudaERNS_14TensorIteratorERKN3c106ScalarES8_ENKUlvE_clEvENKUlvE3_clEvEUlsssE0_St5arrayIPcLm4EELi4E23TrivialOffsetCalculatorILi3EjESF_ILi1EjENS0_6memory15LoadWithoutCastENSI_16StoreWithoutCastEEEviT_T0_T2_T3_T4_T5_
    .private_segment_fixed_size: 0
    .sgpr_count:     17
    .sgpr_spill_count: 0
    .symbol:         _ZN2at6native27unrolled_elementwise_kernelIZZZNS0_12_GLOBAL__N_116addr_kernel_cudaERNS_14TensorIteratorERKN3c106ScalarES8_ENKUlvE_clEvENKUlvE3_clEvEUlsssE0_St5arrayIPcLm4EELi4E23TrivialOffsetCalculatorILi3EjESF_ILi1EjENS0_6memory15LoadWithoutCastENSI_16StoreWithoutCastEEEviT_T0_T2_T3_T4_T5_.kd
    .uniform_work_group_size: 1
    .uses_dynamic_stack: false
    .vgpr_count:     16
    .vgpr_spill_count: 0
    .wavefront_size: 32
  - .args:
      - .offset:         0
        .size:           4
        .value_kind:     by_value
      - .offset:         8
        .size:           496
        .value_kind:     by_value
    .group_segment_fixed_size: 0
    .kernarg_segment_align: 8
    .kernarg_segment_size: 504
    .language:       OpenCL C
    .language_version:
      - 2
      - 0
    .max_flat_workgroup_size: 128
    .name:           _ZN2at6native32elementwise_kernel_manual_unrollILi128ELi8EZNS0_22gpu_kernel_impl_nocastIZZZNS0_12_GLOBAL__N_116addr_kernel_cudaERNS_14TensorIteratorERKN3c106ScalarES9_ENKUlvE_clEvENKUlvE3_clEvEUlsssE0_EEvRNS_18TensorIteratorBaseERKT_EUlibE_EEviT1_
    .private_segment_fixed_size: 0
    .sgpr_count:     58
    .sgpr_spill_count: 0
    .symbol:         _ZN2at6native32elementwise_kernel_manual_unrollILi128ELi8EZNS0_22gpu_kernel_impl_nocastIZZZNS0_12_GLOBAL__N_116addr_kernel_cudaERNS_14TensorIteratorERKN3c106ScalarES9_ENKUlvE_clEvENKUlvE3_clEvEUlsssE0_EEvRNS_18TensorIteratorBaseERKT_EUlibE_EEviT1_.kd
    .uniform_work_group_size: 1
    .uses_dynamic_stack: false
    .vgpr_count:     47
    .vgpr_spill_count: 0
    .wavefront_size: 32
  - .args:
      - .offset:         0
        .size:           4
        .value_kind:     by_value
      - .offset:         8
        .size:           56
        .value_kind:     by_value
    .group_segment_fixed_size: 0
    .kernarg_segment_align: 8
    .kernarg_segment_size: 64
    .language:       OpenCL C
    .language_version:
      - 2
      - 0
    .max_flat_workgroup_size: 128
    .name:           _ZN2at6native32elementwise_kernel_manual_unrollILi128ELi4EZNS0_15gpu_kernel_implIZZZNS0_12_GLOBAL__N_116addr_kernel_cudaERNS_14TensorIteratorERKN3c106ScalarES9_ENKUlvE_clEvENKUlvE3_clEvEUlsssE0_EEvRNS_18TensorIteratorBaseERKT_EUlibE_EEviT1_
    .private_segment_fixed_size: 0
    .sgpr_count:     46
    .sgpr_spill_count: 0
    .symbol:         _ZN2at6native32elementwise_kernel_manual_unrollILi128ELi4EZNS0_15gpu_kernel_implIZZZNS0_12_GLOBAL__N_116addr_kernel_cudaERNS_14TensorIteratorERKN3c106ScalarES9_ENKUlvE_clEvENKUlvE3_clEvEUlsssE0_EEvRNS_18TensorIteratorBaseERKT_EUlibE_EEviT1_.kd
    .uniform_work_group_size: 1
    .uses_dynamic_stack: false
    .vgpr_count:     30
    .vgpr_spill_count: 0
    .wavefront_size: 32
  - .args:
      - .offset:         0
        .size:           4
        .value_kind:     by_value
      - .offset:         8
        .size:           496
        .value_kind:     by_value
    .group_segment_fixed_size: 0
    .kernarg_segment_align: 8
    .kernarg_segment_size: 504
    .language:       OpenCL C
    .language_version:
      - 2
      - 0
    .max_flat_workgroup_size: 128
    .name:           _ZN2at6native32elementwise_kernel_manual_unrollILi128ELi4EZNS0_15gpu_kernel_implIZZZNS0_12_GLOBAL__N_116addr_kernel_cudaERNS_14TensorIteratorERKN3c106ScalarES9_ENKUlvE_clEvENKUlvE3_clEvEUlsssE0_EEvRNS_18TensorIteratorBaseERKT_EUlibE0_EEviT1_
    .private_segment_fixed_size: 0
    .sgpr_count:     78
    .sgpr_spill_count: 0
    .symbol:         _ZN2at6native32elementwise_kernel_manual_unrollILi128ELi4EZNS0_15gpu_kernel_implIZZZNS0_12_GLOBAL__N_116addr_kernel_cudaERNS_14TensorIteratorERKN3c106ScalarES9_ENKUlvE_clEvENKUlvE3_clEvEUlsssE0_EEvRNS_18TensorIteratorBaseERKT_EUlibE0_EEviT1_.kd
    .uniform_work_group_size: 1
    .uses_dynamic_stack: false
    .vgpr_count:     36
    .vgpr_spill_count: 0
    .wavefront_size: 32
  - .args:
      - .offset:         0
        .size:           4
        .value_kind:     by_value
      - .offset:         8
        .size:           8
        .value_kind:     by_value
      - .offset:         16
        .size:           32
        .value_kind:     by_value
    .group_segment_fixed_size: 0
    .kernarg_segment_align: 8
    .kernarg_segment_size: 48
    .language:       OpenCL C
    .language_version:
      - 2
      - 0
    .max_flat_workgroup_size: 256
    .name:           _ZN2at6native29vectorized_elementwise_kernelILi16EZZZNS0_12_GLOBAL__N_116addr_kernel_cudaERNS_14TensorIteratorERKN3c106ScalarES8_ENKUlvE_clEvENKUlvE4_clEvEUldddE_St5arrayIPcLm4EEEEviT0_T1_
    .private_segment_fixed_size: 0
    .sgpr_count:     18
    .sgpr_spill_count: 0
    .symbol:         _ZN2at6native29vectorized_elementwise_kernelILi16EZZZNS0_12_GLOBAL__N_116addr_kernel_cudaERNS_14TensorIteratorERKN3c106ScalarES8_ENKUlvE_clEvENKUlvE4_clEvEUldddE_St5arrayIPcLm4EEEEviT0_T1_.kd
    .uniform_work_group_size: 1
    .uses_dynamic_stack: false
    .vgpr_count:     21
    .vgpr_spill_count: 0
    .wavefront_size: 32
  - .args:
      - .offset:         0
        .size:           4
        .value_kind:     by_value
      - .offset:         8
        .size:           8
        .value_kind:     by_value
      - .offset:         16
        .size:           32
        .value_kind:     by_value
    .group_segment_fixed_size: 0
    .kernarg_segment_align: 8
    .kernarg_segment_size: 48
    .language:       OpenCL C
    .language_version:
      - 2
      - 0
    .max_flat_workgroup_size: 256
    .name:           _ZN2at6native29vectorized_elementwise_kernelILi8EZZZNS0_12_GLOBAL__N_116addr_kernel_cudaERNS_14TensorIteratorERKN3c106ScalarES8_ENKUlvE_clEvENKUlvE4_clEvEUldddE_St5arrayIPcLm4EEEEviT0_T1_
    .private_segment_fixed_size: 0
    .sgpr_count:     18
    .sgpr_spill_count: 0
    .symbol:         _ZN2at6native29vectorized_elementwise_kernelILi8EZZZNS0_12_GLOBAL__N_116addr_kernel_cudaERNS_14TensorIteratorERKN3c106ScalarES8_ENKUlvE_clEvENKUlvE4_clEvEUldddE_St5arrayIPcLm4EEEEviT0_T1_.kd
    .uniform_work_group_size: 1
    .uses_dynamic_stack: false
    .vgpr_count:     21
    .vgpr_spill_count: 0
    .wavefront_size: 32
  - .args:
      - .offset:         0
        .size:           4
        .value_kind:     by_value
      - .offset:         8
        .size:           8
        .value_kind:     by_value
      - .offset:         16
        .size:           32
        .value_kind:     by_value
    .group_segment_fixed_size: 0
    .kernarg_segment_align: 8
    .kernarg_segment_size: 48
    .language:       OpenCL C
    .language_version:
      - 2
      - 0
    .max_flat_workgroup_size: 256
    .name:           _ZN2at6native29vectorized_elementwise_kernelILi4EZZZNS0_12_GLOBAL__N_116addr_kernel_cudaERNS_14TensorIteratorERKN3c106ScalarES8_ENKUlvE_clEvENKUlvE4_clEvEUldddE_St5arrayIPcLm4EEEEviT0_T1_
    .private_segment_fixed_size: 0
    .sgpr_count:     18
    .sgpr_spill_count: 0
    .symbol:         _ZN2at6native29vectorized_elementwise_kernelILi4EZZZNS0_12_GLOBAL__N_116addr_kernel_cudaERNS_14TensorIteratorERKN3c106ScalarES8_ENKUlvE_clEvENKUlvE4_clEvEUldddE_St5arrayIPcLm4EEEEviT0_T1_.kd
    .uniform_work_group_size: 1
    .uses_dynamic_stack: false
    .vgpr_count:     21
    .vgpr_spill_count: 0
    .wavefront_size: 32
  - .args:
      - .offset:         0
        .size:           4
        .value_kind:     by_value
      - .offset:         8
        .size:           8
        .value_kind:     by_value
      - .offset:         16
        .size:           32
        .value_kind:     by_value
    .group_segment_fixed_size: 0
    .kernarg_segment_align: 8
    .kernarg_segment_size: 48
    .language:       OpenCL C
    .language_version:
      - 2
      - 0
    .max_flat_workgroup_size: 256
    .name:           _ZN2at6native29vectorized_elementwise_kernelILi2EZZZNS0_12_GLOBAL__N_116addr_kernel_cudaERNS_14TensorIteratorERKN3c106ScalarES8_ENKUlvE_clEvENKUlvE4_clEvEUldddE_St5arrayIPcLm4EEEEviT0_T1_
    .private_segment_fixed_size: 0
    .sgpr_count:     18
    .sgpr_spill_count: 0
    .symbol:         _ZN2at6native29vectorized_elementwise_kernelILi2EZZZNS0_12_GLOBAL__N_116addr_kernel_cudaERNS_14TensorIteratorERKN3c106ScalarES8_ENKUlvE_clEvENKUlvE4_clEvEUldddE_St5arrayIPcLm4EEEEviT0_T1_.kd
    .uniform_work_group_size: 1
    .uses_dynamic_stack: false
    .vgpr_count:     21
    .vgpr_spill_count: 0
    .wavefront_size: 32
  - .args:
      - .offset:         0
        .size:           4
        .value_kind:     by_value
      - .offset:         8
        .size:           8
        .value_kind:     by_value
      - .offset:         16
        .size:           32
        .value_kind:     by_value
      - .offset:         48
        .size:           1
        .value_kind:     by_value
      - .offset:         49
        .size:           1
        .value_kind:     by_value
      - .offset:         50
        .size:           1
        .value_kind:     by_value
      - .offset:         51
        .size:           1
        .value_kind:     by_value
    .group_segment_fixed_size: 0
    .kernarg_segment_align: 8
    .kernarg_segment_size: 52
    .language:       OpenCL C
    .language_version:
      - 2
      - 0
    .max_flat_workgroup_size: 256
    .name:           _ZN2at6native27unrolled_elementwise_kernelIZZZNS0_12_GLOBAL__N_116addr_kernel_cudaERNS_14TensorIteratorERKN3c106ScalarES8_ENKUlvE_clEvENKUlvE4_clEvEUldddE_St5arrayIPcLm4EELi4E23TrivialOffsetCalculatorILi3EjESF_ILi1EjENS0_6memory15LoadWithoutCastENSI_16StoreWithoutCastEEEviT_T0_T2_T3_T4_T5_
    .private_segment_fixed_size: 0
    .sgpr_count:     15
    .sgpr_spill_count: 0
    .symbol:         _ZN2at6native27unrolled_elementwise_kernelIZZZNS0_12_GLOBAL__N_116addr_kernel_cudaERNS_14TensorIteratorERKN3c106ScalarES8_ENKUlvE_clEvENKUlvE4_clEvEUldddE_St5arrayIPcLm4EELi4E23TrivialOffsetCalculatorILi3EjESF_ILi1EjENS0_6memory15LoadWithoutCastENSI_16StoreWithoutCastEEEviT_T0_T2_T3_T4_T5_.kd
    .uniform_work_group_size: 1
    .uses_dynamic_stack: false
    .vgpr_count:     21
    .vgpr_spill_count: 0
    .wavefront_size: 32
  - .args:
      - .offset:         0
        .size:           4
        .value_kind:     by_value
      - .offset:         8
        .size:           496
        .value_kind:     by_value
    .group_segment_fixed_size: 0
    .kernarg_segment_align: 8
    .kernarg_segment_size: 504
    .language:       OpenCL C
    .language_version:
      - 2
      - 0
    .max_flat_workgroup_size: 128
    .name:           _ZN2at6native32elementwise_kernel_manual_unrollILi128ELi4EZNS0_22gpu_kernel_impl_nocastIZZZNS0_12_GLOBAL__N_116addr_kernel_cudaERNS_14TensorIteratorERKN3c106ScalarES9_ENKUlvE_clEvENKUlvE4_clEvEUldddE_EEvRNS_18TensorIteratorBaseERKT_EUlibE_EEviT1_
    .private_segment_fixed_size: 0
    .sgpr_count:     48
    .sgpr_spill_count: 0
    .symbol:         _ZN2at6native32elementwise_kernel_manual_unrollILi128ELi4EZNS0_22gpu_kernel_impl_nocastIZZZNS0_12_GLOBAL__N_116addr_kernel_cudaERNS_14TensorIteratorERKN3c106ScalarES9_ENKUlvE_clEvENKUlvE4_clEvEUldddE_EEvRNS_18TensorIteratorBaseERKT_EUlibE_EEviT1_.kd
    .uniform_work_group_size: 1
    .uses_dynamic_stack: false
    .vgpr_count:     30
    .vgpr_spill_count: 0
    .wavefront_size: 32
  - .args:
      - .offset:         0
        .size:           4
        .value_kind:     by_value
      - .offset:         8
        .size:           64
        .value_kind:     by_value
    .group_segment_fixed_size: 0
    .kernarg_segment_align: 8
    .kernarg_segment_size: 72
    .language:       OpenCL C
    .language_version:
      - 2
      - 0
    .max_flat_workgroup_size: 128
    .name:           _ZN2at6native32elementwise_kernel_manual_unrollILi128ELi4EZNS0_15gpu_kernel_implIZZZNS0_12_GLOBAL__N_116addr_kernel_cudaERNS_14TensorIteratorERKN3c106ScalarES9_ENKUlvE_clEvENKUlvE4_clEvEUldddE_EEvRNS_18TensorIteratorBaseERKT_EUlibE_EEviT1_
    .private_segment_fixed_size: 0
    .sgpr_count:     42
    .sgpr_spill_count: 0
    .symbol:         _ZN2at6native32elementwise_kernel_manual_unrollILi128ELi4EZNS0_15gpu_kernel_implIZZZNS0_12_GLOBAL__N_116addr_kernel_cudaERNS_14TensorIteratorERKN3c106ScalarES9_ENKUlvE_clEvENKUlvE4_clEvEUldddE_EEvRNS_18TensorIteratorBaseERKT_EUlibE_EEviT1_.kd
    .uniform_work_group_size: 1
    .uses_dynamic_stack: false
    .vgpr_count:     23
    .vgpr_spill_count: 0
    .wavefront_size: 32
  - .args:
      - .offset:         0
        .size:           4
        .value_kind:     by_value
      - .offset:         8
        .size:           504
        .value_kind:     by_value
    .group_segment_fixed_size: 0
    .kernarg_segment_align: 8
    .kernarg_segment_size: 512
    .language:       OpenCL C
    .language_version:
      - 2
      - 0
    .max_flat_workgroup_size: 128
    .name:           _ZN2at6native32elementwise_kernel_manual_unrollILi128ELi4EZNS0_15gpu_kernel_implIZZZNS0_12_GLOBAL__N_116addr_kernel_cudaERNS_14TensorIteratorERKN3c106ScalarES9_ENKUlvE_clEvENKUlvE4_clEvEUldddE_EEvRNS_18TensorIteratorBaseERKT_EUlibE0_EEviT1_
    .private_segment_fixed_size: 0
    .sgpr_count:     66
    .sgpr_spill_count: 0
    .symbol:         _ZN2at6native32elementwise_kernel_manual_unrollILi128ELi4EZNS0_15gpu_kernel_implIZZZNS0_12_GLOBAL__N_116addr_kernel_cudaERNS_14TensorIteratorERKN3c106ScalarES9_ENKUlvE_clEvENKUlvE4_clEvEUldddE_EEvRNS_18TensorIteratorBaseERKT_EUlibE0_EEviT1_.kd
    .uniform_work_group_size: 1
    .uses_dynamic_stack: false
    .vgpr_count:     28
    .vgpr_spill_count: 0
    .wavefront_size: 32
  - .args:
      - .offset:         0
        .size:           4
        .value_kind:     by_value
      - .offset:         8
        .size:           16
        .value_kind:     by_value
      - .offset:         24
        .size:           32
        .value_kind:     by_value
    .group_segment_fixed_size: 0
    .kernarg_segment_align: 8
    .kernarg_segment_size: 56
    .language:       OpenCL C
    .language_version:
      - 2
      - 0
    .max_flat_workgroup_size: 256
    .name:           _ZN2at6native29vectorized_elementwise_kernelILi16EZZZNS0_12_GLOBAL__N_116addr_kernel_cudaERNS_14TensorIteratorERKN3c106ScalarES8_ENKUlvE_clEvENKUlvE4_clEvEUldddE0_St5arrayIPcLm4EEEEviT0_T1_
    .private_segment_fixed_size: 0
    .sgpr_count:     22
    .sgpr_spill_count: 0
    .symbol:         _ZN2at6native29vectorized_elementwise_kernelILi16EZZZNS0_12_GLOBAL__N_116addr_kernel_cudaERNS_14TensorIteratorERKN3c106ScalarES8_ENKUlvE_clEvENKUlvE4_clEvEUldddE0_St5arrayIPcLm4EEEEviT0_T1_.kd
    .uniform_work_group_size: 1
    .uses_dynamic_stack: false
    .vgpr_count:     29
    .vgpr_spill_count: 0
    .wavefront_size: 32
  - .args:
      - .offset:         0
        .size:           4
        .value_kind:     by_value
      - .offset:         8
        .size:           16
        .value_kind:     by_value
      - .offset:         24
        .size:           32
        .value_kind:     by_value
    .group_segment_fixed_size: 0
    .kernarg_segment_align: 8
    .kernarg_segment_size: 56
    .language:       OpenCL C
    .language_version:
      - 2
      - 0
    .max_flat_workgroup_size: 256
    .name:           _ZN2at6native29vectorized_elementwise_kernelILi8EZZZNS0_12_GLOBAL__N_116addr_kernel_cudaERNS_14TensorIteratorERKN3c106ScalarES8_ENKUlvE_clEvENKUlvE4_clEvEUldddE0_St5arrayIPcLm4EEEEviT0_T1_
    .private_segment_fixed_size: 0
    .sgpr_count:     22
    .sgpr_spill_count: 0
    .symbol:         _ZN2at6native29vectorized_elementwise_kernelILi8EZZZNS0_12_GLOBAL__N_116addr_kernel_cudaERNS_14TensorIteratorERKN3c106ScalarES8_ENKUlvE_clEvENKUlvE4_clEvEUldddE0_St5arrayIPcLm4EEEEviT0_T1_.kd
    .uniform_work_group_size: 1
    .uses_dynamic_stack: false
    .vgpr_count:     29
    .vgpr_spill_count: 0
    .wavefront_size: 32
  - .args:
      - .offset:         0
        .size:           4
        .value_kind:     by_value
      - .offset:         8
        .size:           16
        .value_kind:     by_value
      - .offset:         24
        .size:           32
        .value_kind:     by_value
    .group_segment_fixed_size: 0
    .kernarg_segment_align: 8
    .kernarg_segment_size: 56
    .language:       OpenCL C
    .language_version:
      - 2
      - 0
    .max_flat_workgroup_size: 256
    .name:           _ZN2at6native29vectorized_elementwise_kernelILi4EZZZNS0_12_GLOBAL__N_116addr_kernel_cudaERNS_14TensorIteratorERKN3c106ScalarES8_ENKUlvE_clEvENKUlvE4_clEvEUldddE0_St5arrayIPcLm4EEEEviT0_T1_
    .private_segment_fixed_size: 0
    .sgpr_count:     22
    .sgpr_spill_count: 0
    .symbol:         _ZN2at6native29vectorized_elementwise_kernelILi4EZZZNS0_12_GLOBAL__N_116addr_kernel_cudaERNS_14TensorIteratorERKN3c106ScalarES8_ENKUlvE_clEvENKUlvE4_clEvEUldddE0_St5arrayIPcLm4EEEEviT0_T1_.kd
    .uniform_work_group_size: 1
    .uses_dynamic_stack: false
    .vgpr_count:     29
    .vgpr_spill_count: 0
    .wavefront_size: 32
  - .args:
      - .offset:         0
        .size:           4
        .value_kind:     by_value
      - .offset:         8
        .size:           16
        .value_kind:     by_value
      - .offset:         24
        .size:           32
        .value_kind:     by_value
    .group_segment_fixed_size: 0
    .kernarg_segment_align: 8
    .kernarg_segment_size: 56
    .language:       OpenCL C
    .language_version:
      - 2
      - 0
    .max_flat_workgroup_size: 256
    .name:           _ZN2at6native29vectorized_elementwise_kernelILi2EZZZNS0_12_GLOBAL__N_116addr_kernel_cudaERNS_14TensorIteratorERKN3c106ScalarES8_ENKUlvE_clEvENKUlvE4_clEvEUldddE0_St5arrayIPcLm4EEEEviT0_T1_
    .private_segment_fixed_size: 0
    .sgpr_count:     22
    .sgpr_spill_count: 0
    .symbol:         _ZN2at6native29vectorized_elementwise_kernelILi2EZZZNS0_12_GLOBAL__N_116addr_kernel_cudaERNS_14TensorIteratorERKN3c106ScalarES8_ENKUlvE_clEvENKUlvE4_clEvEUldddE0_St5arrayIPcLm4EEEEviT0_T1_.kd
    .uniform_work_group_size: 1
    .uses_dynamic_stack: false
    .vgpr_count:     29
    .vgpr_spill_count: 0
    .wavefront_size: 32
  - .args:
      - .offset:         0
        .size:           4
        .value_kind:     by_value
      - .offset:         8
        .size:           16
        .value_kind:     by_value
      - .offset:         24
        .size:           32
        .value_kind:     by_value
      - .offset:         56
        .size:           1
        .value_kind:     by_value
      - .offset:         57
        .size:           1
        .value_kind:     by_value
      - .offset:         58
        .size:           1
        .value_kind:     by_value
      - .offset:         59
        .size:           1
        .value_kind:     by_value
    .group_segment_fixed_size: 0
    .kernarg_segment_align: 8
    .kernarg_segment_size: 60
    .language:       OpenCL C
    .language_version:
      - 2
      - 0
    .max_flat_workgroup_size: 256
    .name:           _ZN2at6native27unrolled_elementwise_kernelIZZZNS0_12_GLOBAL__N_116addr_kernel_cudaERNS_14TensorIteratorERKN3c106ScalarES8_ENKUlvE_clEvENKUlvE4_clEvEUldddE0_St5arrayIPcLm4EELi4E23TrivialOffsetCalculatorILi3EjESF_ILi1EjENS0_6memory15LoadWithoutCastENSI_16StoreWithoutCastEEEviT_T0_T2_T3_T4_T5_
    .private_segment_fixed_size: 0
    .sgpr_count:     20
    .sgpr_spill_count: 0
    .symbol:         _ZN2at6native27unrolled_elementwise_kernelIZZZNS0_12_GLOBAL__N_116addr_kernel_cudaERNS_14TensorIteratorERKN3c106ScalarES8_ENKUlvE_clEvENKUlvE4_clEvEUldddE0_St5arrayIPcLm4EELi4E23TrivialOffsetCalculatorILi3EjESF_ILi1EjENS0_6memory15LoadWithoutCastENSI_16StoreWithoutCastEEEviT_T0_T2_T3_T4_T5_.kd
    .uniform_work_group_size: 1
    .uses_dynamic_stack: false
    .vgpr_count:     29
    .vgpr_spill_count: 0
    .wavefront_size: 32
  - .args:
      - .offset:         0
        .size:           4
        .value_kind:     by_value
      - .offset:         8
        .size:           504
        .value_kind:     by_value
    .group_segment_fixed_size: 0
    .kernarg_segment_align: 8
    .kernarg_segment_size: 512
    .language:       OpenCL C
    .language_version:
      - 2
      - 0
    .max_flat_workgroup_size: 128
    .name:           _ZN2at6native32elementwise_kernel_manual_unrollILi128ELi4EZNS0_22gpu_kernel_impl_nocastIZZZNS0_12_GLOBAL__N_116addr_kernel_cudaERNS_14TensorIteratorERKN3c106ScalarES9_ENKUlvE_clEvENKUlvE4_clEvEUldddE0_EEvRNS_18TensorIteratorBaseERKT_EUlibE_EEviT1_
    .private_segment_fixed_size: 0
    .sgpr_count:     62
    .sgpr_spill_count: 0
    .symbol:         _ZN2at6native32elementwise_kernel_manual_unrollILi128ELi4EZNS0_22gpu_kernel_impl_nocastIZZZNS0_12_GLOBAL__N_116addr_kernel_cudaERNS_14TensorIteratorERKN3c106ScalarES9_ENKUlvE_clEvENKUlvE4_clEvEUldddE0_EEvRNS_18TensorIteratorBaseERKT_EUlibE_EEviT1_.kd
    .uniform_work_group_size: 1
    .uses_dynamic_stack: false
    .vgpr_count:     42
    .vgpr_spill_count: 0
    .wavefront_size: 32
  - .args:
      - .offset:         0
        .size:           4
        .value_kind:     by_value
      - .offset:         8
        .size:           72
        .value_kind:     by_value
    .group_segment_fixed_size: 0
    .kernarg_segment_align: 8
    .kernarg_segment_size: 80
    .language:       OpenCL C
    .language_version:
      - 2
      - 0
    .max_flat_workgroup_size: 128
    .name:           _ZN2at6native32elementwise_kernel_manual_unrollILi128ELi4EZNS0_15gpu_kernel_implIZZZNS0_12_GLOBAL__N_116addr_kernel_cudaERNS_14TensorIteratorERKN3c106ScalarES9_ENKUlvE_clEvENKUlvE4_clEvEUldddE0_EEvRNS_18TensorIteratorBaseERKT_EUlibE_EEviT1_
    .private_segment_fixed_size: 0
    .sgpr_count:     48
    .sgpr_spill_count: 0
    .symbol:         _ZN2at6native32elementwise_kernel_manual_unrollILi128ELi4EZNS0_15gpu_kernel_implIZZZNS0_12_GLOBAL__N_116addr_kernel_cudaERNS_14TensorIteratorERKN3c106ScalarES9_ENKUlvE_clEvENKUlvE4_clEvEUldddE0_EEvRNS_18TensorIteratorBaseERKT_EUlibE_EEviT1_.kd
    .uniform_work_group_size: 1
    .uses_dynamic_stack: false
    .vgpr_count:     31
    .vgpr_spill_count: 0
    .wavefront_size: 32
  - .args:
      - .offset:         0
        .size:           4
        .value_kind:     by_value
      - .offset:         8
        .size:           512
        .value_kind:     by_value
    .group_segment_fixed_size: 0
    .kernarg_segment_align: 8
    .kernarg_segment_size: 520
    .language:       OpenCL C
    .language_version:
      - 2
      - 0
    .max_flat_workgroup_size: 128
    .name:           _ZN2at6native32elementwise_kernel_manual_unrollILi128ELi4EZNS0_15gpu_kernel_implIZZZNS0_12_GLOBAL__N_116addr_kernel_cudaERNS_14TensorIteratorERKN3c106ScalarES9_ENKUlvE_clEvENKUlvE4_clEvEUldddE0_EEvRNS_18TensorIteratorBaseERKT_EUlibE0_EEviT1_
    .private_segment_fixed_size: 0
    .sgpr_count:     80
    .sgpr_spill_count: 0
    .symbol:         _ZN2at6native32elementwise_kernel_manual_unrollILi128ELi4EZNS0_15gpu_kernel_implIZZZNS0_12_GLOBAL__N_116addr_kernel_cudaERNS_14TensorIteratorERKN3c106ScalarES9_ENKUlvE_clEvENKUlvE4_clEvEUldddE0_EEvRNS_18TensorIteratorBaseERKT_EUlibE0_EEviT1_.kd
    .uniform_work_group_size: 1
    .uses_dynamic_stack: false
    .vgpr_count:     36
    .vgpr_spill_count: 0
    .wavefront_size: 32
  - .args:
      - .offset:         0
        .size:           4
        .value_kind:     by_value
      - .offset:         4
        .size:           4
        .value_kind:     by_value
      - .offset:         8
        .size:           32
        .value_kind:     by_value
    .group_segment_fixed_size: 0
    .kernarg_segment_align: 8
    .kernarg_segment_size: 40
    .language:       OpenCL C
    .language_version:
      - 2
      - 0
    .max_flat_workgroup_size: 256
    .name:           _ZN2at6native29vectorized_elementwise_kernelILi16EZZZNS0_12_GLOBAL__N_116addr_kernel_cudaERNS_14TensorIteratorERKN3c106ScalarES8_ENKUlvE_clEvENKUlvE5_clEvEUlfffE_St5arrayIPcLm4EEEEviT0_T1_
    .private_segment_fixed_size: 0
    .sgpr_count:     18
    .sgpr_spill_count: 0
    .symbol:         _ZN2at6native29vectorized_elementwise_kernelILi16EZZZNS0_12_GLOBAL__N_116addr_kernel_cudaERNS_14TensorIteratorERKN3c106ScalarES8_ENKUlvE_clEvENKUlvE5_clEvEUlfffE_St5arrayIPcLm4EEEEviT0_T1_.kd
    .uniform_work_group_size: 1
    .uses_dynamic_stack: false
    .vgpr_count:     12
    .vgpr_spill_count: 0
    .wavefront_size: 32
  - .args:
      - .offset:         0
        .size:           4
        .value_kind:     by_value
      - .offset:         4
        .size:           4
        .value_kind:     by_value
      - .offset:         8
        .size:           32
        .value_kind:     by_value
    .group_segment_fixed_size: 0
    .kernarg_segment_align: 8
    .kernarg_segment_size: 40
    .language:       OpenCL C
    .language_version:
      - 2
      - 0
    .max_flat_workgroup_size: 256
    .name:           _ZN2at6native29vectorized_elementwise_kernelILi8EZZZNS0_12_GLOBAL__N_116addr_kernel_cudaERNS_14TensorIteratorERKN3c106ScalarES8_ENKUlvE_clEvENKUlvE5_clEvEUlfffE_St5arrayIPcLm4EEEEviT0_T1_
    .private_segment_fixed_size: 0
    .sgpr_count:     18
    .sgpr_spill_count: 0
    .symbol:         _ZN2at6native29vectorized_elementwise_kernelILi8EZZZNS0_12_GLOBAL__N_116addr_kernel_cudaERNS_14TensorIteratorERKN3c106ScalarES8_ENKUlvE_clEvENKUlvE5_clEvEUlfffE_St5arrayIPcLm4EEEEviT0_T1_.kd
    .uniform_work_group_size: 1
    .uses_dynamic_stack: false
    .vgpr_count:     12
    .vgpr_spill_count: 0
    .wavefront_size: 32
  - .args:
      - .offset:         0
        .size:           4
        .value_kind:     by_value
      - .offset:         4
        .size:           4
        .value_kind:     by_value
      - .offset:         8
        .size:           32
        .value_kind:     by_value
    .group_segment_fixed_size: 0
    .kernarg_segment_align: 8
    .kernarg_segment_size: 40
    .language:       OpenCL C
    .language_version:
      - 2
      - 0
    .max_flat_workgroup_size: 256
    .name:           _ZN2at6native29vectorized_elementwise_kernelILi4EZZZNS0_12_GLOBAL__N_116addr_kernel_cudaERNS_14TensorIteratorERKN3c106ScalarES8_ENKUlvE_clEvENKUlvE5_clEvEUlfffE_St5arrayIPcLm4EEEEviT0_T1_
    .private_segment_fixed_size: 0
    .sgpr_count:     18
    .sgpr_spill_count: 0
    .symbol:         _ZN2at6native29vectorized_elementwise_kernelILi4EZZZNS0_12_GLOBAL__N_116addr_kernel_cudaERNS_14TensorIteratorERKN3c106ScalarES8_ENKUlvE_clEvENKUlvE5_clEvEUlfffE_St5arrayIPcLm4EEEEviT0_T1_.kd
    .uniform_work_group_size: 1
    .uses_dynamic_stack: false
    .vgpr_count:     12
    .vgpr_spill_count: 0
    .wavefront_size: 32
  - .args:
      - .offset:         0
        .size:           4
        .value_kind:     by_value
      - .offset:         4
        .size:           4
        .value_kind:     by_value
      - .offset:         8
        .size:           32
        .value_kind:     by_value
    .group_segment_fixed_size: 0
    .kernarg_segment_align: 8
    .kernarg_segment_size: 40
    .language:       OpenCL C
    .language_version:
      - 2
      - 0
    .max_flat_workgroup_size: 256
    .name:           _ZN2at6native29vectorized_elementwise_kernelILi2EZZZNS0_12_GLOBAL__N_116addr_kernel_cudaERNS_14TensorIteratorERKN3c106ScalarES8_ENKUlvE_clEvENKUlvE5_clEvEUlfffE_St5arrayIPcLm4EEEEviT0_T1_
    .private_segment_fixed_size: 0
    .sgpr_count:     20
    .sgpr_spill_count: 0
    .symbol:         _ZN2at6native29vectorized_elementwise_kernelILi2EZZZNS0_12_GLOBAL__N_116addr_kernel_cudaERNS_14TensorIteratorERKN3c106ScalarES8_ENKUlvE_clEvENKUlvE5_clEvEUlfffE_St5arrayIPcLm4EEEEviT0_T1_.kd
    .uniform_work_group_size: 1
    .uses_dynamic_stack: false
    .vgpr_count:     12
    .vgpr_spill_count: 0
    .wavefront_size: 32
  - .args:
      - .offset:         0
        .size:           4
        .value_kind:     by_value
      - .offset:         4
        .size:           4
        .value_kind:     by_value
      - .offset:         8
        .size:           32
        .value_kind:     by_value
      - .offset:         40
        .size:           1
        .value_kind:     by_value
      - .offset:         41
        .size:           1
        .value_kind:     by_value
      - .offset:         42
        .size:           1
        .value_kind:     by_value
      - .offset:         43
        .size:           1
        .value_kind:     by_value
    .group_segment_fixed_size: 0
    .kernarg_segment_align: 8
    .kernarg_segment_size: 44
    .language:       OpenCL C
    .language_version:
      - 2
      - 0
    .max_flat_workgroup_size: 256
    .name:           _ZN2at6native27unrolled_elementwise_kernelIZZZNS0_12_GLOBAL__N_116addr_kernel_cudaERNS_14TensorIteratorERKN3c106ScalarES8_ENKUlvE_clEvENKUlvE5_clEvEUlfffE_St5arrayIPcLm4EELi4E23TrivialOffsetCalculatorILi3EjESF_ILi1EjENS0_6memory15LoadWithoutCastENSI_16StoreWithoutCastEEEviT_T0_T2_T3_T4_T5_
    .private_segment_fixed_size: 0
    .sgpr_count:     14
    .sgpr_spill_count: 0
    .symbol:         _ZN2at6native27unrolled_elementwise_kernelIZZZNS0_12_GLOBAL__N_116addr_kernel_cudaERNS_14TensorIteratorERKN3c106ScalarES8_ENKUlvE_clEvENKUlvE5_clEvEUlfffE_St5arrayIPcLm4EELi4E23TrivialOffsetCalculatorILi3EjESF_ILi1EjENS0_6memory15LoadWithoutCastENSI_16StoreWithoutCastEEEviT_T0_T2_T3_T4_T5_.kd
    .uniform_work_group_size: 1
    .uses_dynamic_stack: false
    .vgpr_count:     12
    .vgpr_spill_count: 0
    .wavefront_size: 32
  - .args:
      - .offset:         0
        .size:           4
        .value_kind:     by_value
      - .offset:         8
        .size:           496
        .value_kind:     by_value
    .group_segment_fixed_size: 0
    .kernarg_segment_align: 8
    .kernarg_segment_size: 504
    .language:       OpenCL C
    .language_version:
      - 2
      - 0
    .max_flat_workgroup_size: 128
    .name:           _ZN2at6native32elementwise_kernel_manual_unrollILi128ELi4EZNS0_22gpu_kernel_impl_nocastIZZZNS0_12_GLOBAL__N_116addr_kernel_cudaERNS_14TensorIteratorERKN3c106ScalarES9_ENKUlvE_clEvENKUlvE5_clEvEUlfffE_EEvRNS_18TensorIteratorBaseERKT_EUlibE_EEviT1_
    .private_segment_fixed_size: 0
    .sgpr_count:     47
    .sgpr_spill_count: 0
    .symbol:         _ZN2at6native32elementwise_kernel_manual_unrollILi128ELi4EZNS0_22gpu_kernel_impl_nocastIZZZNS0_12_GLOBAL__N_116addr_kernel_cudaERNS_14TensorIteratorERKN3c106ScalarES9_ENKUlvE_clEvENKUlvE5_clEvEUlfffE_EEvRNS_18TensorIteratorBaseERKT_EUlibE_EEviT1_.kd
    .uniform_work_group_size: 1
    .uses_dynamic_stack: false
    .vgpr_count:     20
    .vgpr_spill_count: 0
    .wavefront_size: 32
  - .args:
      - .offset:         0
        .size:           4
        .value_kind:     by_value
      - .offset:         8
        .size:           56
        .value_kind:     by_value
    .group_segment_fixed_size: 0
    .kernarg_segment_align: 8
    .kernarg_segment_size: 64
    .language:       OpenCL C
    .language_version:
      - 2
      - 0
    .max_flat_workgroup_size: 128
    .name:           _ZN2at6native32elementwise_kernel_manual_unrollILi128ELi4EZNS0_15gpu_kernel_implIZZZNS0_12_GLOBAL__N_116addr_kernel_cudaERNS_14TensorIteratorERKN3c106ScalarES9_ENKUlvE_clEvENKUlvE5_clEvEUlfffE_EEvRNS_18TensorIteratorBaseERKT_EUlibE_EEviT1_
    .private_segment_fixed_size: 0
    .sgpr_count:     41
    .sgpr_spill_count: 0
    .symbol:         _ZN2at6native32elementwise_kernel_manual_unrollILi128ELi4EZNS0_15gpu_kernel_implIZZZNS0_12_GLOBAL__N_116addr_kernel_cudaERNS_14TensorIteratorERKN3c106ScalarES9_ENKUlvE_clEvENKUlvE5_clEvEUlfffE_EEvRNS_18TensorIteratorBaseERKT_EUlibE_EEviT1_.kd
    .uniform_work_group_size: 1
    .uses_dynamic_stack: false
    .vgpr_count:     20
    .vgpr_spill_count: 0
    .wavefront_size: 32
  - .args:
      - .offset:         0
        .size:           4
        .value_kind:     by_value
      - .offset:         8
        .size:           496
        .value_kind:     by_value
    .group_segment_fixed_size: 0
    .kernarg_segment_align: 8
    .kernarg_segment_size: 504
    .language:       OpenCL C
    .language_version:
      - 2
      - 0
    .max_flat_workgroup_size: 128
    .name:           _ZN2at6native32elementwise_kernel_manual_unrollILi128ELi4EZNS0_15gpu_kernel_implIZZZNS0_12_GLOBAL__N_116addr_kernel_cudaERNS_14TensorIteratorERKN3c106ScalarES9_ENKUlvE_clEvENKUlvE5_clEvEUlfffE_EEvRNS_18TensorIteratorBaseERKT_EUlibE0_EEviT1_
    .private_segment_fixed_size: 0
    .sgpr_count:     65
    .sgpr_spill_count: 0
    .symbol:         _ZN2at6native32elementwise_kernel_manual_unrollILi128ELi4EZNS0_15gpu_kernel_implIZZZNS0_12_GLOBAL__N_116addr_kernel_cudaERNS_14TensorIteratorERKN3c106ScalarES9_ENKUlvE_clEvENKUlvE5_clEvEUlfffE_EEvRNS_18TensorIteratorBaseERKT_EUlibE0_EEviT1_.kd
    .uniform_work_group_size: 1
    .uses_dynamic_stack: false
    .vgpr_count:     26
    .vgpr_spill_count: 0
    .wavefront_size: 32
  - .args:
      - .offset:         0
        .size:           4
        .value_kind:     by_value
      - .offset:         4
        .size:           8
        .value_kind:     by_value
      - .offset:         16
        .size:           32
        .value_kind:     by_value
    .group_segment_fixed_size: 0
    .kernarg_segment_align: 8
    .kernarg_segment_size: 48
    .language:       OpenCL C
    .language_version:
      - 2
      - 0
    .max_flat_workgroup_size: 256
    .name:           _ZN2at6native29vectorized_elementwise_kernelILi16EZZZNS0_12_GLOBAL__N_116addr_kernel_cudaERNS_14TensorIteratorERKN3c106ScalarES8_ENKUlvE_clEvENKUlvE5_clEvEUlfffE0_St5arrayIPcLm4EEEEviT0_T1_
    .private_segment_fixed_size: 0
    .sgpr_count:     21
    .sgpr_spill_count: 0
    .symbol:         _ZN2at6native29vectorized_elementwise_kernelILi16EZZZNS0_12_GLOBAL__N_116addr_kernel_cudaERNS_14TensorIteratorERKN3c106ScalarES8_ENKUlvE_clEvENKUlvE5_clEvEUlfffE0_St5arrayIPcLm4EEEEviT0_T1_.kd
    .uniform_work_group_size: 1
    .uses_dynamic_stack: false
    .vgpr_count:     18
    .vgpr_spill_count: 0
    .wavefront_size: 32
  - .args:
      - .offset:         0
        .size:           4
        .value_kind:     by_value
      - .offset:         4
        .size:           8
        .value_kind:     by_value
      - .offset:         16
        .size:           32
        .value_kind:     by_value
    .group_segment_fixed_size: 0
    .kernarg_segment_align: 8
    .kernarg_segment_size: 48
    .language:       OpenCL C
    .language_version:
      - 2
      - 0
    .max_flat_workgroup_size: 256
    .name:           _ZN2at6native29vectorized_elementwise_kernelILi8EZZZNS0_12_GLOBAL__N_116addr_kernel_cudaERNS_14TensorIteratorERKN3c106ScalarES8_ENKUlvE_clEvENKUlvE5_clEvEUlfffE0_St5arrayIPcLm4EEEEviT0_T1_
    .private_segment_fixed_size: 0
    .sgpr_count:     21
    .sgpr_spill_count: 0
    .symbol:         _ZN2at6native29vectorized_elementwise_kernelILi8EZZZNS0_12_GLOBAL__N_116addr_kernel_cudaERNS_14TensorIteratorERKN3c106ScalarES8_ENKUlvE_clEvENKUlvE5_clEvEUlfffE0_St5arrayIPcLm4EEEEviT0_T1_.kd
    .uniform_work_group_size: 1
    .uses_dynamic_stack: false
    .vgpr_count:     18
    .vgpr_spill_count: 0
    .wavefront_size: 32
  - .args:
      - .offset:         0
        .size:           4
        .value_kind:     by_value
      - .offset:         4
        .size:           8
        .value_kind:     by_value
      - .offset:         16
        .size:           32
        .value_kind:     by_value
    .group_segment_fixed_size: 0
    .kernarg_segment_align: 8
    .kernarg_segment_size: 48
    .language:       OpenCL C
    .language_version:
      - 2
      - 0
    .max_flat_workgroup_size: 256
    .name:           _ZN2at6native29vectorized_elementwise_kernelILi4EZZZNS0_12_GLOBAL__N_116addr_kernel_cudaERNS_14TensorIteratorERKN3c106ScalarES8_ENKUlvE_clEvENKUlvE5_clEvEUlfffE0_St5arrayIPcLm4EEEEviT0_T1_
    .private_segment_fixed_size: 0
    .sgpr_count:     21
    .sgpr_spill_count: 0
    .symbol:         _ZN2at6native29vectorized_elementwise_kernelILi4EZZZNS0_12_GLOBAL__N_116addr_kernel_cudaERNS_14TensorIteratorERKN3c106ScalarES8_ENKUlvE_clEvENKUlvE5_clEvEUlfffE0_St5arrayIPcLm4EEEEviT0_T1_.kd
    .uniform_work_group_size: 1
    .uses_dynamic_stack: false
    .vgpr_count:     18
    .vgpr_spill_count: 0
    .wavefront_size: 32
  - .args:
      - .offset:         0
        .size:           4
        .value_kind:     by_value
      - .offset:         4
        .size:           8
        .value_kind:     by_value
      - .offset:         16
        .size:           32
        .value_kind:     by_value
    .group_segment_fixed_size: 0
    .kernarg_segment_align: 8
    .kernarg_segment_size: 48
    .language:       OpenCL C
    .language_version:
      - 2
      - 0
    .max_flat_workgroup_size: 256
    .name:           _ZN2at6native29vectorized_elementwise_kernelILi2EZZZNS0_12_GLOBAL__N_116addr_kernel_cudaERNS_14TensorIteratorERKN3c106ScalarES8_ENKUlvE_clEvENKUlvE5_clEvEUlfffE0_St5arrayIPcLm4EEEEviT0_T1_
    .private_segment_fixed_size: 0
    .sgpr_count:     21
    .sgpr_spill_count: 0
    .symbol:         _ZN2at6native29vectorized_elementwise_kernelILi2EZZZNS0_12_GLOBAL__N_116addr_kernel_cudaERNS_14TensorIteratorERKN3c106ScalarES8_ENKUlvE_clEvENKUlvE5_clEvEUlfffE0_St5arrayIPcLm4EEEEviT0_T1_.kd
    .uniform_work_group_size: 1
    .uses_dynamic_stack: false
    .vgpr_count:     18
    .vgpr_spill_count: 0
    .wavefront_size: 32
  - .args:
      - .offset:         0
        .size:           4
        .value_kind:     by_value
      - .offset:         4
        .size:           8
        .value_kind:     by_value
      - .offset:         16
        .size:           32
        .value_kind:     by_value
      - .offset:         48
        .size:           1
        .value_kind:     by_value
      - .offset:         49
        .size:           1
        .value_kind:     by_value
      - .offset:         50
        .size:           1
        .value_kind:     by_value
      - .offset:         51
        .size:           1
        .value_kind:     by_value
    .group_segment_fixed_size: 0
    .kernarg_segment_align: 8
    .kernarg_segment_size: 52
    .language:       OpenCL C
    .language_version:
      - 2
      - 0
    .max_flat_workgroup_size: 256
    .name:           _ZN2at6native27unrolled_elementwise_kernelIZZZNS0_12_GLOBAL__N_116addr_kernel_cudaERNS_14TensorIteratorERKN3c106ScalarES8_ENKUlvE_clEvENKUlvE5_clEvEUlfffE0_St5arrayIPcLm4EELi4E23TrivialOffsetCalculatorILi3EjESF_ILi1EjENS0_6memory15LoadWithoutCastENSI_16StoreWithoutCastEEEviT_T0_T2_T3_T4_T5_
    .private_segment_fixed_size: 0
    .sgpr_count:     18
    .sgpr_spill_count: 0
    .symbol:         _ZN2at6native27unrolled_elementwise_kernelIZZZNS0_12_GLOBAL__N_116addr_kernel_cudaERNS_14TensorIteratorERKN3c106ScalarES8_ENKUlvE_clEvENKUlvE5_clEvEUlfffE0_St5arrayIPcLm4EELi4E23TrivialOffsetCalculatorILi3EjESF_ILi1EjENS0_6memory15LoadWithoutCastENSI_16StoreWithoutCastEEEviT_T0_T2_T3_T4_T5_.kd
    .uniform_work_group_size: 1
    .uses_dynamic_stack: false
    .vgpr_count:     18
    .vgpr_spill_count: 0
    .wavefront_size: 32
  - .args:
      - .offset:         0
        .size:           4
        .value_kind:     by_value
      - .offset:         8
        .size:           496
        .value_kind:     by_value
    .group_segment_fixed_size: 0
    .kernarg_segment_align: 8
    .kernarg_segment_size: 504
    .language:       OpenCL C
    .language_version:
      - 2
      - 0
    .max_flat_workgroup_size: 128
    .name:           _ZN2at6native32elementwise_kernel_manual_unrollILi128ELi4EZNS0_22gpu_kernel_impl_nocastIZZZNS0_12_GLOBAL__N_116addr_kernel_cudaERNS_14TensorIteratorERKN3c106ScalarES9_ENKUlvE_clEvENKUlvE5_clEvEUlfffE0_EEvRNS_18TensorIteratorBaseERKT_EUlibE_EEviT1_
    .private_segment_fixed_size: 0
    .sgpr_count:     60
    .sgpr_spill_count: 0
    .symbol:         _ZN2at6native32elementwise_kernel_manual_unrollILi128ELi4EZNS0_22gpu_kernel_impl_nocastIZZZNS0_12_GLOBAL__N_116addr_kernel_cudaERNS_14TensorIteratorERKN3c106ScalarES9_ENKUlvE_clEvENKUlvE5_clEvEUlfffE0_EEvRNS_18TensorIteratorBaseERKT_EUlibE_EEviT1_.kd
    .uniform_work_group_size: 1
    .uses_dynamic_stack: false
    .vgpr_count:     28
    .vgpr_spill_count: 0
    .wavefront_size: 32
  - .args:
      - .offset:         0
        .size:           4
        .value_kind:     by_value
      - .offset:         8
        .size:           64
        .value_kind:     by_value
    .group_segment_fixed_size: 0
    .kernarg_segment_align: 8
    .kernarg_segment_size: 72
    .language:       OpenCL C
    .language_version:
      - 2
      - 0
    .max_flat_workgroup_size: 128
    .name:           _ZN2at6native32elementwise_kernel_manual_unrollILi128ELi4EZNS0_15gpu_kernel_implIZZZNS0_12_GLOBAL__N_116addr_kernel_cudaERNS_14TensorIteratorERKN3c106ScalarES9_ENKUlvE_clEvENKUlvE5_clEvEUlfffE0_EEvRNS_18TensorIteratorBaseERKT_EUlibE_EEviT1_
    .private_segment_fixed_size: 0
    .sgpr_count:     46
    .sgpr_spill_count: 0
    .symbol:         _ZN2at6native32elementwise_kernel_manual_unrollILi128ELi4EZNS0_15gpu_kernel_implIZZZNS0_12_GLOBAL__N_116addr_kernel_cudaERNS_14TensorIteratorERKN3c106ScalarES9_ENKUlvE_clEvENKUlvE5_clEvEUlfffE0_EEvRNS_18TensorIteratorBaseERKT_EUlibE_EEviT1_.kd
    .uniform_work_group_size: 1
    .uses_dynamic_stack: false
    .vgpr_count:     24
    .vgpr_spill_count: 0
    .wavefront_size: 32
  - .args:
      - .offset:         0
        .size:           4
        .value_kind:     by_value
      - .offset:         8
        .size:           504
        .value_kind:     by_value
    .group_segment_fixed_size: 0
    .kernarg_segment_align: 8
    .kernarg_segment_size: 512
    .language:       OpenCL C
    .language_version:
      - 2
      - 0
    .max_flat_workgroup_size: 128
    .name:           _ZN2at6native32elementwise_kernel_manual_unrollILi128ELi4EZNS0_15gpu_kernel_implIZZZNS0_12_GLOBAL__N_116addr_kernel_cudaERNS_14TensorIteratorERKN3c106ScalarES9_ENKUlvE_clEvENKUlvE5_clEvEUlfffE0_EEvRNS_18TensorIteratorBaseERKT_EUlibE0_EEviT1_
    .private_segment_fixed_size: 0
    .sgpr_count:     78
    .sgpr_spill_count: 0
    .symbol:         _ZN2at6native32elementwise_kernel_manual_unrollILi128ELi4EZNS0_15gpu_kernel_implIZZZNS0_12_GLOBAL__N_116addr_kernel_cudaERNS_14TensorIteratorERKN3c106ScalarES9_ENKUlvE_clEvENKUlvE5_clEvEUlfffE0_EEvRNS_18TensorIteratorBaseERKT_EUlibE0_EEviT1_.kd
    .uniform_work_group_size: 1
    .uses_dynamic_stack: false
    .vgpr_count:     34
    .vgpr_spill_count: 0
    .wavefront_size: 32
  - .args:
      - .offset:         0
        .size:           4
        .value_kind:     by_value
      - .offset:         16
        .size:           16
        .value_kind:     by_value
      - .offset:         32
        .size:           32
        .value_kind:     by_value
    .group_segment_fixed_size: 0
    .kernarg_segment_align: 16
    .kernarg_segment_size: 64
    .language:       OpenCL C
    .language_version:
      - 2
      - 0
    .max_flat_workgroup_size: 256
    .name:           _ZN2at6native29vectorized_elementwise_kernelILi16EZZZNS0_12_GLOBAL__N_116addr_kernel_cudaERNS_14TensorIteratorERKN3c106ScalarES8_ENKUlvE_clEvENKUlvE6_clEvEUlNS5_7complexIdEESC_SC_E_St5arrayIPcLm4EEEEviT0_T1_
    .private_segment_fixed_size: 0
    .sgpr_count:     20
    .sgpr_spill_count: 0
    .symbol:         _ZN2at6native29vectorized_elementwise_kernelILi16EZZZNS0_12_GLOBAL__N_116addr_kernel_cudaERNS_14TensorIteratorERKN3c106ScalarES8_ENKUlvE_clEvENKUlvE6_clEvEUlNS5_7complexIdEESC_SC_E_St5arrayIPcLm4EEEEviT0_T1_.kd
    .uniform_work_group_size: 1
    .uses_dynamic_stack: false
    .vgpr_count:     44
    .vgpr_spill_count: 0
    .wavefront_size: 32
  - .args:
      - .offset:         0
        .size:           4
        .value_kind:     by_value
      - .offset:         16
        .size:           16
        .value_kind:     by_value
      - .offset:         32
        .size:           32
        .value_kind:     by_value
    .group_segment_fixed_size: 0
    .kernarg_segment_align: 16
    .kernarg_segment_size: 64
    .language:       OpenCL C
    .language_version:
      - 2
      - 0
    .max_flat_workgroup_size: 256
    .name:           _ZN2at6native29vectorized_elementwise_kernelILi8EZZZNS0_12_GLOBAL__N_116addr_kernel_cudaERNS_14TensorIteratorERKN3c106ScalarES8_ENKUlvE_clEvENKUlvE6_clEvEUlNS5_7complexIdEESC_SC_E_St5arrayIPcLm4EEEEviT0_T1_
    .private_segment_fixed_size: 0
    .sgpr_count:     20
    .sgpr_spill_count: 0
    .symbol:         _ZN2at6native29vectorized_elementwise_kernelILi8EZZZNS0_12_GLOBAL__N_116addr_kernel_cudaERNS_14TensorIteratorERKN3c106ScalarES8_ENKUlvE_clEvENKUlvE6_clEvEUlNS5_7complexIdEESC_SC_E_St5arrayIPcLm4EEEEviT0_T1_.kd
    .uniform_work_group_size: 1
    .uses_dynamic_stack: false
    .vgpr_count:     44
    .vgpr_spill_count: 0
    .wavefront_size: 32
  - .args:
      - .offset:         0
        .size:           4
        .value_kind:     by_value
      - .offset:         16
        .size:           16
        .value_kind:     by_value
      - .offset:         32
        .size:           32
        .value_kind:     by_value
    .group_segment_fixed_size: 0
    .kernarg_segment_align: 16
    .kernarg_segment_size: 64
    .language:       OpenCL C
    .language_version:
      - 2
      - 0
    .max_flat_workgroup_size: 256
    .name:           _ZN2at6native29vectorized_elementwise_kernelILi4EZZZNS0_12_GLOBAL__N_116addr_kernel_cudaERNS_14TensorIteratorERKN3c106ScalarES8_ENKUlvE_clEvENKUlvE6_clEvEUlNS5_7complexIdEESC_SC_E_St5arrayIPcLm4EEEEviT0_T1_
    .private_segment_fixed_size: 0
    .sgpr_count:     20
    .sgpr_spill_count: 0
    .symbol:         _ZN2at6native29vectorized_elementwise_kernelILi4EZZZNS0_12_GLOBAL__N_116addr_kernel_cudaERNS_14TensorIteratorERKN3c106ScalarES8_ENKUlvE_clEvENKUlvE6_clEvEUlNS5_7complexIdEESC_SC_E_St5arrayIPcLm4EEEEviT0_T1_.kd
    .uniform_work_group_size: 1
    .uses_dynamic_stack: false
    .vgpr_count:     44
    .vgpr_spill_count: 0
    .wavefront_size: 32
  - .args:
      - .offset:         0
        .size:           4
        .value_kind:     by_value
      - .offset:         16
        .size:           16
        .value_kind:     by_value
      - .offset:         32
        .size:           32
        .value_kind:     by_value
    .group_segment_fixed_size: 0
    .kernarg_segment_align: 16
    .kernarg_segment_size: 64
    .language:       OpenCL C
    .language_version:
      - 2
      - 0
    .max_flat_workgroup_size: 256
    .name:           _ZN2at6native29vectorized_elementwise_kernelILi2EZZZNS0_12_GLOBAL__N_116addr_kernel_cudaERNS_14TensorIteratorERKN3c106ScalarES8_ENKUlvE_clEvENKUlvE6_clEvEUlNS5_7complexIdEESC_SC_E_St5arrayIPcLm4EEEEviT0_T1_
    .private_segment_fixed_size: 0
    .sgpr_count:     20
    .sgpr_spill_count: 0
    .symbol:         _ZN2at6native29vectorized_elementwise_kernelILi2EZZZNS0_12_GLOBAL__N_116addr_kernel_cudaERNS_14TensorIteratorERKN3c106ScalarES8_ENKUlvE_clEvENKUlvE6_clEvEUlNS5_7complexIdEESC_SC_E_St5arrayIPcLm4EEEEviT0_T1_.kd
    .uniform_work_group_size: 1
    .uses_dynamic_stack: false
    .vgpr_count:     44
    .vgpr_spill_count: 0
    .wavefront_size: 32
  - .args:
      - .offset:         0
        .size:           4
        .value_kind:     by_value
      - .offset:         16
        .size:           16
        .value_kind:     by_value
      - .offset:         32
        .size:           32
        .value_kind:     by_value
      - .offset:         64
        .size:           1
        .value_kind:     by_value
      - .offset:         65
        .size:           1
        .value_kind:     by_value
      - .offset:         66
        .size:           1
        .value_kind:     by_value
      - .offset:         67
        .size:           1
        .value_kind:     by_value
    .group_segment_fixed_size: 0
    .kernarg_segment_align: 16
    .kernarg_segment_size: 68
    .language:       OpenCL C
    .language_version:
      - 2
      - 0
    .max_flat_workgroup_size: 256
    .name:           _ZN2at6native27unrolled_elementwise_kernelIZZZNS0_12_GLOBAL__N_116addr_kernel_cudaERNS_14TensorIteratorERKN3c106ScalarES8_ENKUlvE_clEvENKUlvE6_clEvEUlNS5_7complexIdEESC_SC_E_St5arrayIPcLm4EELi4E23TrivialOffsetCalculatorILi3EjESH_ILi1EjENS0_6memory15LoadWithoutCastENSK_16StoreWithoutCastEEEviT_T0_T2_T3_T4_T5_
    .private_segment_fixed_size: 0
    .sgpr_count:     16
    .sgpr_spill_count: 0
    .symbol:         _ZN2at6native27unrolled_elementwise_kernelIZZZNS0_12_GLOBAL__N_116addr_kernel_cudaERNS_14TensorIteratorERKN3c106ScalarES8_ENKUlvE_clEvENKUlvE6_clEvEUlNS5_7complexIdEESC_SC_E_St5arrayIPcLm4EELi4E23TrivialOffsetCalculatorILi3EjESH_ILi1EjENS0_6memory15LoadWithoutCastENSK_16StoreWithoutCastEEEviT_T0_T2_T3_T4_T5_.kd
    .uniform_work_group_size: 1
    .uses_dynamic_stack: false
    .vgpr_count:     43
    .vgpr_spill_count: 0
    .wavefront_size: 32
  - .args:
      - .offset:         0
        .size:           4
        .value_kind:     by_value
      - .offset:         16
        .size:           512
        .value_kind:     by_value
    .group_segment_fixed_size: 0
    .kernarg_segment_align: 16
    .kernarg_segment_size: 528
    .language:       OpenCL C
    .language_version:
      - 2
      - 0
    .max_flat_workgroup_size: 128
    .name:           _ZN2at6native32elementwise_kernel_manual_unrollILi128ELi4EZNS0_22gpu_kernel_impl_nocastIZZZNS0_12_GLOBAL__N_116addr_kernel_cudaERNS_14TensorIteratorERKN3c106ScalarES9_ENKUlvE_clEvENKUlvE6_clEvEUlNS6_7complexIdEESD_SD_E_EEvRNS_18TensorIteratorBaseERKT_EUlibE_EEviT1_
    .private_segment_fixed_size: 0
    .sgpr_count:     50
    .sgpr_spill_count: 0
    .symbol:         _ZN2at6native32elementwise_kernel_manual_unrollILi128ELi4EZNS0_22gpu_kernel_impl_nocastIZZZNS0_12_GLOBAL__N_116addr_kernel_cudaERNS_14TensorIteratorERKN3c106ScalarES9_ENKUlvE_clEvENKUlvE6_clEvEUlNS6_7complexIdEESD_SD_E_EEvRNS_18TensorIteratorBaseERKT_EUlibE_EEviT1_.kd
    .uniform_work_group_size: 1
    .uses_dynamic_stack: false
    .vgpr_count:     54
    .vgpr_spill_count: 0
    .wavefront_size: 32
  - .args:
      - .offset:         0
        .size:           4
        .value_kind:     by_value
      - .offset:         16
        .size:           80
        .value_kind:     by_value
    .group_segment_fixed_size: 0
    .kernarg_segment_align: 16
    .kernarg_segment_size: 96
    .language:       OpenCL C
    .language_version:
      - 2
      - 0
    .max_flat_workgroup_size: 128
    .name:           _ZN2at6native32elementwise_kernel_manual_unrollILi128ELi4EZNS0_15gpu_kernel_implIZZZNS0_12_GLOBAL__N_116addr_kernel_cudaERNS_14TensorIteratorERKN3c106ScalarES9_ENKUlvE_clEvENKUlvE6_clEvEUlNS6_7complexIdEESD_SD_E_EEvRNS_18TensorIteratorBaseERKT_EUlibE_EEviT1_
    .private_segment_fixed_size: 0
    .sgpr_count:     44
    .sgpr_spill_count: 0
    .symbol:         _ZN2at6native32elementwise_kernel_manual_unrollILi128ELi4EZNS0_15gpu_kernel_implIZZZNS0_12_GLOBAL__N_116addr_kernel_cudaERNS_14TensorIteratorERKN3c106ScalarES9_ENKUlvE_clEvENKUlvE6_clEvEUlNS6_7complexIdEESD_SD_E_EEvRNS_18TensorIteratorBaseERKT_EUlibE_EEviT1_.kd
    .uniform_work_group_size: 1
    .uses_dynamic_stack: false
    .vgpr_count:     42
    .vgpr_spill_count: 0
    .wavefront_size: 32
  - .args:
      - .offset:         0
        .size:           4
        .value_kind:     by_value
      - .offset:         16
        .size:           528
        .value_kind:     by_value
    .group_segment_fixed_size: 0
    .kernarg_segment_align: 16
    .kernarg_segment_size: 544
    .language:       OpenCL C
    .language_version:
      - 2
      - 0
    .max_flat_workgroup_size: 128
    .name:           _ZN2at6native32elementwise_kernel_manual_unrollILi128ELi4EZNS0_15gpu_kernel_implIZZZNS0_12_GLOBAL__N_116addr_kernel_cudaERNS_14TensorIteratorERKN3c106ScalarES9_ENKUlvE_clEvENKUlvE6_clEvEUlNS6_7complexIdEESD_SD_E_EEvRNS_18TensorIteratorBaseERKT_EUlibE0_EEviT1_
    .private_segment_fixed_size: 0
    .sgpr_count:     68
    .sgpr_spill_count: 0
    .symbol:         _ZN2at6native32elementwise_kernel_manual_unrollILi128ELi4EZNS0_15gpu_kernel_implIZZZNS0_12_GLOBAL__N_116addr_kernel_cudaERNS_14TensorIteratorERKN3c106ScalarES9_ENKUlvE_clEvENKUlvE6_clEvEUlNS6_7complexIdEESD_SD_E_EEvRNS_18TensorIteratorBaseERKT_EUlibE0_EEviT1_.kd
    .uniform_work_group_size: 1
    .uses_dynamic_stack: false
    .vgpr_count:     44
    .vgpr_spill_count: 0
    .wavefront_size: 32
  - .args:
      - .offset:         0
        .size:           4
        .value_kind:     by_value
      - .offset:         16
        .size:           32
        .value_kind:     by_value
      - .offset:         48
        .size:           32
        .value_kind:     by_value
    .group_segment_fixed_size: 0
    .kernarg_segment_align: 16
    .kernarg_segment_size: 80
    .language:       OpenCL C
    .language_version:
      - 2
      - 0
    .max_flat_workgroup_size: 256
    .name:           _ZN2at6native29vectorized_elementwise_kernelILi16EZZZNS0_12_GLOBAL__N_116addr_kernel_cudaERNS_14TensorIteratorERKN3c106ScalarES8_ENKUlvE_clEvENKUlvE6_clEvEUlNS5_7complexIdEESC_SC_E0_St5arrayIPcLm4EEEEviT0_T1_
    .private_segment_fixed_size: 0
    .sgpr_count:     28
    .sgpr_spill_count: 0
    .symbol:         _ZN2at6native29vectorized_elementwise_kernelILi16EZZZNS0_12_GLOBAL__N_116addr_kernel_cudaERNS_14TensorIteratorERKN3c106ScalarES8_ENKUlvE_clEvENKUlvE6_clEvEUlNS5_7complexIdEESC_SC_E0_St5arrayIPcLm4EEEEviT0_T1_.kd
    .uniform_work_group_size: 1
    .uses_dynamic_stack: false
    .vgpr_count:     59
    .vgpr_spill_count: 0
    .wavefront_size: 32
  - .args:
      - .offset:         0
        .size:           4
        .value_kind:     by_value
      - .offset:         16
        .size:           32
        .value_kind:     by_value
      - .offset:         48
        .size:           32
        .value_kind:     by_value
    .group_segment_fixed_size: 0
    .kernarg_segment_align: 16
    .kernarg_segment_size: 80
    .language:       OpenCL C
    .language_version:
      - 2
      - 0
    .max_flat_workgroup_size: 256
    .name:           _ZN2at6native29vectorized_elementwise_kernelILi8EZZZNS0_12_GLOBAL__N_116addr_kernel_cudaERNS_14TensorIteratorERKN3c106ScalarES8_ENKUlvE_clEvENKUlvE6_clEvEUlNS5_7complexIdEESC_SC_E0_St5arrayIPcLm4EEEEviT0_T1_
    .private_segment_fixed_size: 0
    .sgpr_count:     28
    .sgpr_spill_count: 0
    .symbol:         _ZN2at6native29vectorized_elementwise_kernelILi8EZZZNS0_12_GLOBAL__N_116addr_kernel_cudaERNS_14TensorIteratorERKN3c106ScalarES8_ENKUlvE_clEvENKUlvE6_clEvEUlNS5_7complexIdEESC_SC_E0_St5arrayIPcLm4EEEEviT0_T1_.kd
    .uniform_work_group_size: 1
    .uses_dynamic_stack: false
    .vgpr_count:     59
    .vgpr_spill_count: 0
    .wavefront_size: 32
  - .args:
      - .offset:         0
        .size:           4
        .value_kind:     by_value
      - .offset:         16
        .size:           32
        .value_kind:     by_value
      - .offset:         48
        .size:           32
        .value_kind:     by_value
    .group_segment_fixed_size: 0
    .kernarg_segment_align: 16
    .kernarg_segment_size: 80
    .language:       OpenCL C
    .language_version:
      - 2
      - 0
    .max_flat_workgroup_size: 256
    .name:           _ZN2at6native29vectorized_elementwise_kernelILi4EZZZNS0_12_GLOBAL__N_116addr_kernel_cudaERNS_14TensorIteratorERKN3c106ScalarES8_ENKUlvE_clEvENKUlvE6_clEvEUlNS5_7complexIdEESC_SC_E0_St5arrayIPcLm4EEEEviT0_T1_
    .private_segment_fixed_size: 0
    .sgpr_count:     28
    .sgpr_spill_count: 0
    .symbol:         _ZN2at6native29vectorized_elementwise_kernelILi4EZZZNS0_12_GLOBAL__N_116addr_kernel_cudaERNS_14TensorIteratorERKN3c106ScalarES8_ENKUlvE_clEvENKUlvE6_clEvEUlNS5_7complexIdEESC_SC_E0_St5arrayIPcLm4EEEEviT0_T1_.kd
    .uniform_work_group_size: 1
    .uses_dynamic_stack: false
    .vgpr_count:     59
    .vgpr_spill_count: 0
    .wavefront_size: 32
  - .args:
      - .offset:         0
        .size:           4
        .value_kind:     by_value
      - .offset:         16
        .size:           32
        .value_kind:     by_value
      - .offset:         48
        .size:           32
        .value_kind:     by_value
    .group_segment_fixed_size: 0
    .kernarg_segment_align: 16
    .kernarg_segment_size: 80
    .language:       OpenCL C
    .language_version:
      - 2
      - 0
    .max_flat_workgroup_size: 256
    .name:           _ZN2at6native29vectorized_elementwise_kernelILi2EZZZNS0_12_GLOBAL__N_116addr_kernel_cudaERNS_14TensorIteratorERKN3c106ScalarES8_ENKUlvE_clEvENKUlvE6_clEvEUlNS5_7complexIdEESC_SC_E0_St5arrayIPcLm4EEEEviT0_T1_
    .private_segment_fixed_size: 0
    .sgpr_count:     28
    .sgpr_spill_count: 0
    .symbol:         _ZN2at6native29vectorized_elementwise_kernelILi2EZZZNS0_12_GLOBAL__N_116addr_kernel_cudaERNS_14TensorIteratorERKN3c106ScalarES8_ENKUlvE_clEvENKUlvE6_clEvEUlNS5_7complexIdEESC_SC_E0_St5arrayIPcLm4EEEEviT0_T1_.kd
    .uniform_work_group_size: 1
    .uses_dynamic_stack: false
    .vgpr_count:     59
    .vgpr_spill_count: 0
    .wavefront_size: 32
  - .args:
      - .offset:         0
        .size:           4
        .value_kind:     by_value
      - .offset:         16
        .size:           32
        .value_kind:     by_value
      - .offset:         48
        .size:           32
        .value_kind:     by_value
      - .offset:         80
        .size:           1
        .value_kind:     by_value
      - .offset:         81
        .size:           1
        .value_kind:     by_value
      - .offset:         82
        .size:           1
        .value_kind:     by_value
      - .offset:         83
        .size:           1
        .value_kind:     by_value
    .group_segment_fixed_size: 0
    .kernarg_segment_align: 16
    .kernarg_segment_size: 84
    .language:       OpenCL C
    .language_version:
      - 2
      - 0
    .max_flat_workgroup_size: 256
    .name:           _ZN2at6native27unrolled_elementwise_kernelIZZZNS0_12_GLOBAL__N_116addr_kernel_cudaERNS_14TensorIteratorERKN3c106ScalarES8_ENKUlvE_clEvENKUlvE6_clEvEUlNS5_7complexIdEESC_SC_E0_St5arrayIPcLm4EELi4E23TrivialOffsetCalculatorILi3EjESH_ILi1EjENS0_6memory15LoadWithoutCastENSK_16StoreWithoutCastEEEviT_T0_T2_T3_T4_T5_
    .private_segment_fixed_size: 0
    .sgpr_count:     24
    .sgpr_spill_count: 0
    .symbol:         _ZN2at6native27unrolled_elementwise_kernelIZZZNS0_12_GLOBAL__N_116addr_kernel_cudaERNS_14TensorIteratorERKN3c106ScalarES8_ENKUlvE_clEvENKUlvE6_clEvEUlNS5_7complexIdEESC_SC_E0_St5arrayIPcLm4EELi4E23TrivialOffsetCalculatorILi3EjESH_ILi1EjENS0_6memory15LoadWithoutCastENSK_16StoreWithoutCastEEEviT_T0_T2_T3_T4_T5_.kd
    .uniform_work_group_size: 1
    .uses_dynamic_stack: false
    .vgpr_count:     59
    .vgpr_spill_count: 0
    .wavefront_size: 32
  - .args:
      - .offset:         0
        .size:           4
        .value_kind:     by_value
      - .offset:         16
        .size:           528
        .value_kind:     by_value
    .group_segment_fixed_size: 0
    .kernarg_segment_align: 16
    .kernarg_segment_size: 544
    .language:       OpenCL C
    .language_version:
      - 2
      - 0
    .max_flat_workgroup_size: 128
    .name:           _ZN2at6native32elementwise_kernel_manual_unrollILi128ELi4EZNS0_22gpu_kernel_impl_nocastIZZZNS0_12_GLOBAL__N_116addr_kernel_cudaERNS_14TensorIteratorERKN3c106ScalarES9_ENKUlvE_clEvENKUlvE6_clEvEUlNS6_7complexIdEESD_SD_E0_EEvRNS_18TensorIteratorBaseERKT_EUlibE_EEviT1_
    .private_segment_fixed_size: 0
    .sgpr_count:     66
    .sgpr_spill_count: 0
    .symbol:         _ZN2at6native32elementwise_kernel_manual_unrollILi128ELi4EZNS0_22gpu_kernel_impl_nocastIZZZNS0_12_GLOBAL__N_116addr_kernel_cudaERNS_14TensorIteratorERKN3c106ScalarES9_ENKUlvE_clEvENKUlvE6_clEvEUlNS6_7complexIdEESD_SD_E0_EEvRNS_18TensorIteratorBaseERKT_EUlibE_EEviT1_.kd
    .uniform_work_group_size: 1
    .uses_dynamic_stack: false
    .vgpr_count:     66
    .vgpr_spill_count: 0
    .wavefront_size: 32
  - .args:
      - .offset:         0
        .size:           4
        .value_kind:     by_value
      - .offset:         16
        .size:           96
        .value_kind:     by_value
    .group_segment_fixed_size: 0
    .kernarg_segment_align: 16
    .kernarg_segment_size: 112
    .language:       OpenCL C
    .language_version:
      - 2
      - 0
    .max_flat_workgroup_size: 128
    .name:           _ZN2at6native32elementwise_kernel_manual_unrollILi128ELi4EZNS0_15gpu_kernel_implIZZZNS0_12_GLOBAL__N_116addr_kernel_cudaERNS_14TensorIteratorERKN3c106ScalarES9_ENKUlvE_clEvENKUlvE6_clEvEUlNS6_7complexIdEESD_SD_E0_EEvRNS_18TensorIteratorBaseERKT_EUlibE_EEviT1_
    .private_segment_fixed_size: 0
    .sgpr_count:     52
    .sgpr_spill_count: 0
    .symbol:         _ZN2at6native32elementwise_kernel_manual_unrollILi128ELi4EZNS0_15gpu_kernel_implIZZZNS0_12_GLOBAL__N_116addr_kernel_cudaERNS_14TensorIteratorERKN3c106ScalarES9_ENKUlvE_clEvENKUlvE6_clEvEUlNS6_7complexIdEESD_SD_E0_EEvRNS_18TensorIteratorBaseERKT_EUlibE_EEviT1_.kd
    .uniform_work_group_size: 1
    .uses_dynamic_stack: false
    .vgpr_count:     54
    .vgpr_spill_count: 0
    .wavefront_size: 32
  - .args:
      - .offset:         0
        .size:           4
        .value_kind:     by_value
      - .offset:         16
        .size:           544
        .value_kind:     by_value
    .group_segment_fixed_size: 0
    .kernarg_segment_align: 16
    .kernarg_segment_size: 560
    .language:       OpenCL C
    .language_version:
      - 2
      - 0
    .max_flat_workgroup_size: 128
    .name:           _ZN2at6native32elementwise_kernel_manual_unrollILi128ELi4EZNS0_15gpu_kernel_implIZZZNS0_12_GLOBAL__N_116addr_kernel_cudaERNS_14TensorIteratorERKN3c106ScalarES9_ENKUlvE_clEvENKUlvE6_clEvEUlNS6_7complexIdEESD_SD_E0_EEvRNS_18TensorIteratorBaseERKT_EUlibE0_EEviT1_
    .private_segment_fixed_size: 0
    .sgpr_count:     84
    .sgpr_spill_count: 0
    .symbol:         _ZN2at6native32elementwise_kernel_manual_unrollILi128ELi4EZNS0_15gpu_kernel_implIZZZNS0_12_GLOBAL__N_116addr_kernel_cudaERNS_14TensorIteratorERKN3c106ScalarES9_ENKUlvE_clEvENKUlvE6_clEvEUlNS6_7complexIdEESD_SD_E0_EEvRNS_18TensorIteratorBaseERKT_EUlibE0_EEviT1_.kd
    .uniform_work_group_size: 1
    .uses_dynamic_stack: false
    .vgpr_count:     62
    .vgpr_spill_count: 0
    .wavefront_size: 32
  - .args:
      - .offset:         0
        .size:           4
        .value_kind:     by_value
      - .offset:         8
        .size:           8
        .value_kind:     by_value
      - .offset:         16
        .size:           32
        .value_kind:     by_value
    .group_segment_fixed_size: 0
    .kernarg_segment_align: 8
    .kernarg_segment_size: 48
    .language:       OpenCL C
    .language_version:
      - 2
      - 0
    .max_flat_workgroup_size: 256
    .name:           _ZN2at6native29vectorized_elementwise_kernelILi16EZZZNS0_12_GLOBAL__N_116addr_kernel_cudaERNS_14TensorIteratorERKN3c106ScalarES8_ENKUlvE_clEvENKUlvE7_clEvEUlNS5_7complexIfEESC_SC_E_St5arrayIPcLm4EEEEviT0_T1_
    .private_segment_fixed_size: 0
    .sgpr_count:     18
    .sgpr_spill_count: 0
    .symbol:         _ZN2at6native29vectorized_elementwise_kernelILi16EZZZNS0_12_GLOBAL__N_116addr_kernel_cudaERNS_14TensorIteratorERKN3c106ScalarES8_ENKUlvE_clEvENKUlvE7_clEvEUlNS5_7complexIfEESC_SC_E_St5arrayIPcLm4EEEEviT0_T1_.kd
    .uniform_work_group_size: 1
    .uses_dynamic_stack: false
    .vgpr_count:     34
    .vgpr_spill_count: 0
    .wavefront_size: 32
  - .args:
      - .offset:         0
        .size:           4
        .value_kind:     by_value
      - .offset:         8
        .size:           8
        .value_kind:     by_value
      - .offset:         16
        .size:           32
        .value_kind:     by_value
    .group_segment_fixed_size: 0
    .kernarg_segment_align: 8
    .kernarg_segment_size: 48
    .language:       OpenCL C
    .language_version:
      - 2
      - 0
    .max_flat_workgroup_size: 256
    .name:           _ZN2at6native29vectorized_elementwise_kernelILi8EZZZNS0_12_GLOBAL__N_116addr_kernel_cudaERNS_14TensorIteratorERKN3c106ScalarES8_ENKUlvE_clEvENKUlvE7_clEvEUlNS5_7complexIfEESC_SC_E_St5arrayIPcLm4EEEEviT0_T1_
    .private_segment_fixed_size: 0
    .sgpr_count:     18
    .sgpr_spill_count: 0
    .symbol:         _ZN2at6native29vectorized_elementwise_kernelILi8EZZZNS0_12_GLOBAL__N_116addr_kernel_cudaERNS_14TensorIteratorERKN3c106ScalarES8_ENKUlvE_clEvENKUlvE7_clEvEUlNS5_7complexIfEESC_SC_E_St5arrayIPcLm4EEEEviT0_T1_.kd
    .uniform_work_group_size: 1
    .uses_dynamic_stack: false
    .vgpr_count:     34
    .vgpr_spill_count: 0
    .wavefront_size: 32
  - .args:
      - .offset:         0
        .size:           4
        .value_kind:     by_value
      - .offset:         8
        .size:           8
        .value_kind:     by_value
      - .offset:         16
        .size:           32
        .value_kind:     by_value
    .group_segment_fixed_size: 0
    .kernarg_segment_align: 8
    .kernarg_segment_size: 48
    .language:       OpenCL C
    .language_version:
      - 2
      - 0
    .max_flat_workgroup_size: 256
    .name:           _ZN2at6native29vectorized_elementwise_kernelILi4EZZZNS0_12_GLOBAL__N_116addr_kernel_cudaERNS_14TensorIteratorERKN3c106ScalarES8_ENKUlvE_clEvENKUlvE7_clEvEUlNS5_7complexIfEESC_SC_E_St5arrayIPcLm4EEEEviT0_T1_
    .private_segment_fixed_size: 0
    .sgpr_count:     18
    .sgpr_spill_count: 0
    .symbol:         _ZN2at6native29vectorized_elementwise_kernelILi4EZZZNS0_12_GLOBAL__N_116addr_kernel_cudaERNS_14TensorIteratorERKN3c106ScalarES8_ENKUlvE_clEvENKUlvE7_clEvEUlNS5_7complexIfEESC_SC_E_St5arrayIPcLm4EEEEviT0_T1_.kd
    .uniform_work_group_size: 1
    .uses_dynamic_stack: false
    .vgpr_count:     34
    .vgpr_spill_count: 0
    .wavefront_size: 32
  - .args:
      - .offset:         0
        .size:           4
        .value_kind:     by_value
      - .offset:         8
        .size:           8
        .value_kind:     by_value
      - .offset:         16
        .size:           32
        .value_kind:     by_value
    .group_segment_fixed_size: 0
    .kernarg_segment_align: 8
    .kernarg_segment_size: 48
    .language:       OpenCL C
    .language_version:
      - 2
      - 0
    .max_flat_workgroup_size: 256
    .name:           _ZN2at6native29vectorized_elementwise_kernelILi2EZZZNS0_12_GLOBAL__N_116addr_kernel_cudaERNS_14TensorIteratorERKN3c106ScalarES8_ENKUlvE_clEvENKUlvE7_clEvEUlNS5_7complexIfEESC_SC_E_St5arrayIPcLm4EEEEviT0_T1_
    .private_segment_fixed_size: 0
    .sgpr_count:     18
    .sgpr_spill_count: 0
    .symbol:         _ZN2at6native29vectorized_elementwise_kernelILi2EZZZNS0_12_GLOBAL__N_116addr_kernel_cudaERNS_14TensorIteratorERKN3c106ScalarES8_ENKUlvE_clEvENKUlvE7_clEvEUlNS5_7complexIfEESC_SC_E_St5arrayIPcLm4EEEEviT0_T1_.kd
    .uniform_work_group_size: 1
    .uses_dynamic_stack: false
    .vgpr_count:     34
    .vgpr_spill_count: 0
    .wavefront_size: 32
  - .args:
      - .offset:         0
        .size:           4
        .value_kind:     by_value
      - .offset:         8
        .size:           8
        .value_kind:     by_value
      - .offset:         16
        .size:           32
        .value_kind:     by_value
      - .offset:         48
        .size:           1
        .value_kind:     by_value
      - .offset:         49
        .size:           1
        .value_kind:     by_value
      - .offset:         50
        .size:           1
        .value_kind:     by_value
      - .offset:         51
        .size:           1
        .value_kind:     by_value
    .group_segment_fixed_size: 0
    .kernarg_segment_align: 8
    .kernarg_segment_size: 52
    .language:       OpenCL C
    .language_version:
      - 2
      - 0
    .max_flat_workgroup_size: 256
    .name:           _ZN2at6native27unrolled_elementwise_kernelIZZZNS0_12_GLOBAL__N_116addr_kernel_cudaERNS_14TensorIteratorERKN3c106ScalarES8_ENKUlvE_clEvENKUlvE7_clEvEUlNS5_7complexIfEESC_SC_E_St5arrayIPcLm4EELi4E23TrivialOffsetCalculatorILi3EjESH_ILi1EjENS0_6memory15LoadWithoutCastENSK_16StoreWithoutCastEEEviT_T0_T2_T3_T4_T5_
    .private_segment_fixed_size: 0
    .sgpr_count:     15
    .sgpr_spill_count: 0
    .symbol:         _ZN2at6native27unrolled_elementwise_kernelIZZZNS0_12_GLOBAL__N_116addr_kernel_cudaERNS_14TensorIteratorERKN3c106ScalarES8_ENKUlvE_clEvENKUlvE7_clEvEUlNS5_7complexIfEESC_SC_E_St5arrayIPcLm4EELi4E23TrivialOffsetCalculatorILi3EjESH_ILi1EjENS0_6memory15LoadWithoutCastENSK_16StoreWithoutCastEEEviT_T0_T2_T3_T4_T5_.kd
    .uniform_work_group_size: 1
    .uses_dynamic_stack: false
    .vgpr_count:     24
    .vgpr_spill_count: 0
    .wavefront_size: 32
  - .args:
      - .offset:         0
        .size:           4
        .value_kind:     by_value
      - .offset:         8
        .size:           496
        .value_kind:     by_value
    .group_segment_fixed_size: 0
    .kernarg_segment_align: 8
    .kernarg_segment_size: 504
    .language:       OpenCL C
    .language_version:
      - 2
      - 0
    .max_flat_workgroup_size: 128
    .name:           _ZN2at6native32elementwise_kernel_manual_unrollILi128ELi4EZNS0_22gpu_kernel_impl_nocastIZZZNS0_12_GLOBAL__N_116addr_kernel_cudaERNS_14TensorIteratorERKN3c106ScalarES9_ENKUlvE_clEvENKUlvE7_clEvEUlNS6_7complexIfEESD_SD_E_EEvRNS_18TensorIteratorBaseERKT_EUlibE_EEviT1_
    .private_segment_fixed_size: 0
    .sgpr_count:     48
    .sgpr_spill_count: 0
    .symbol:         _ZN2at6native32elementwise_kernel_manual_unrollILi128ELi4EZNS0_22gpu_kernel_impl_nocastIZZZNS0_12_GLOBAL__N_116addr_kernel_cudaERNS_14TensorIteratorERKN3c106ScalarES9_ENKUlvE_clEvENKUlvE7_clEvEUlNS6_7complexIfEESD_SD_E_EEvRNS_18TensorIteratorBaseERKT_EUlibE_EEviT1_.kd
    .uniform_work_group_size: 1
    .uses_dynamic_stack: false
    .vgpr_count:     36
    .vgpr_spill_count: 0
    .wavefront_size: 32
  - .args:
      - .offset:         0
        .size:           4
        .value_kind:     by_value
      - .offset:         8
        .size:           64
        .value_kind:     by_value
    .group_segment_fixed_size: 0
    .kernarg_segment_align: 8
    .kernarg_segment_size: 72
    .language:       OpenCL C
    .language_version:
      - 2
      - 0
    .max_flat_workgroup_size: 128
    .name:           _ZN2at6native32elementwise_kernel_manual_unrollILi128ELi4EZNS0_15gpu_kernel_implIZZZNS0_12_GLOBAL__N_116addr_kernel_cudaERNS_14TensorIteratorERKN3c106ScalarES9_ENKUlvE_clEvENKUlvE7_clEvEUlNS6_7complexIfEESD_SD_E_EEvRNS_18TensorIteratorBaseERKT_EUlibE_EEviT1_
    .private_segment_fixed_size: 0
    .sgpr_count:     44
    .sgpr_spill_count: 0
    .symbol:         _ZN2at6native32elementwise_kernel_manual_unrollILi128ELi4EZNS0_15gpu_kernel_implIZZZNS0_12_GLOBAL__N_116addr_kernel_cudaERNS_14TensorIteratorERKN3c106ScalarES9_ENKUlvE_clEvENKUlvE7_clEvEUlNS6_7complexIfEESD_SD_E_EEvRNS_18TensorIteratorBaseERKT_EUlibE_EEviT1_.kd
    .uniform_work_group_size: 1
    .uses_dynamic_stack: false
    .vgpr_count:     26
    .vgpr_spill_count: 0
    .wavefront_size: 32
  - .args:
      - .offset:         0
        .size:           4
        .value_kind:     by_value
      - .offset:         8
        .size:           504
        .value_kind:     by_value
    .group_segment_fixed_size: 0
    .kernarg_segment_align: 8
    .kernarg_segment_size: 512
    .language:       OpenCL C
    .language_version:
      - 2
      - 0
    .max_flat_workgroup_size: 128
    .name:           _ZN2at6native32elementwise_kernel_manual_unrollILi128ELi4EZNS0_15gpu_kernel_implIZZZNS0_12_GLOBAL__N_116addr_kernel_cudaERNS_14TensorIteratorERKN3c106ScalarES9_ENKUlvE_clEvENKUlvE7_clEvEUlNS6_7complexIfEESD_SD_E_EEvRNS_18TensorIteratorBaseERKT_EUlibE0_EEviT1_
    .private_segment_fixed_size: 0
    .sgpr_count:     66
    .sgpr_spill_count: 0
    .symbol:         _ZN2at6native32elementwise_kernel_manual_unrollILi128ELi4EZNS0_15gpu_kernel_implIZZZNS0_12_GLOBAL__N_116addr_kernel_cudaERNS_14TensorIteratorERKN3c106ScalarES9_ENKUlvE_clEvENKUlvE7_clEvEUlNS6_7complexIfEESD_SD_E_EEvRNS_18TensorIteratorBaseERKT_EUlibE0_EEviT1_.kd
    .uniform_work_group_size: 1
    .uses_dynamic_stack: false
    .vgpr_count:     30
    .vgpr_spill_count: 0
    .wavefront_size: 32
  - .args:
      - .offset:         0
        .size:           4
        .value_kind:     by_value
      - .offset:         8
        .size:           16
        .value_kind:     by_value
      - .offset:         24
        .size:           32
        .value_kind:     by_value
    .group_segment_fixed_size: 0
    .kernarg_segment_align: 8
    .kernarg_segment_size: 56
    .language:       OpenCL C
    .language_version:
      - 2
      - 0
    .max_flat_workgroup_size: 256
    .name:           _ZN2at6native29vectorized_elementwise_kernelILi16EZZZNS0_12_GLOBAL__N_116addr_kernel_cudaERNS_14TensorIteratorERKN3c106ScalarES8_ENKUlvE_clEvENKUlvE7_clEvEUlNS5_7complexIfEESC_SC_E0_St5arrayIPcLm4EEEEviT0_T1_
    .private_segment_fixed_size: 0
    .sgpr_count:     24
    .sgpr_spill_count: 0
    .symbol:         _ZN2at6native29vectorized_elementwise_kernelILi16EZZZNS0_12_GLOBAL__N_116addr_kernel_cudaERNS_14TensorIteratorERKN3c106ScalarES8_ENKUlvE_clEvENKUlvE7_clEvEUlNS5_7complexIfEESC_SC_E0_St5arrayIPcLm4EEEEviT0_T1_.kd
    .uniform_work_group_size: 1
    .uses_dynamic_stack: false
    .vgpr_count:     50
    .vgpr_spill_count: 0
    .wavefront_size: 32
  - .args:
      - .offset:         0
        .size:           4
        .value_kind:     by_value
      - .offset:         8
        .size:           16
        .value_kind:     by_value
      - .offset:         24
        .size:           32
        .value_kind:     by_value
    .group_segment_fixed_size: 0
    .kernarg_segment_align: 8
    .kernarg_segment_size: 56
    .language:       OpenCL C
    .language_version:
      - 2
      - 0
    .max_flat_workgroup_size: 256
    .name:           _ZN2at6native29vectorized_elementwise_kernelILi8EZZZNS0_12_GLOBAL__N_116addr_kernel_cudaERNS_14TensorIteratorERKN3c106ScalarES8_ENKUlvE_clEvENKUlvE7_clEvEUlNS5_7complexIfEESC_SC_E0_St5arrayIPcLm4EEEEviT0_T1_
    .private_segment_fixed_size: 0
    .sgpr_count:     24
    .sgpr_spill_count: 0
    .symbol:         _ZN2at6native29vectorized_elementwise_kernelILi8EZZZNS0_12_GLOBAL__N_116addr_kernel_cudaERNS_14TensorIteratorERKN3c106ScalarES8_ENKUlvE_clEvENKUlvE7_clEvEUlNS5_7complexIfEESC_SC_E0_St5arrayIPcLm4EEEEviT0_T1_.kd
    .uniform_work_group_size: 1
    .uses_dynamic_stack: false
    .vgpr_count:     50
    .vgpr_spill_count: 0
    .wavefront_size: 32
  - .args:
      - .offset:         0
        .size:           4
        .value_kind:     by_value
      - .offset:         8
        .size:           16
        .value_kind:     by_value
      - .offset:         24
        .size:           32
        .value_kind:     by_value
    .group_segment_fixed_size: 0
    .kernarg_segment_align: 8
    .kernarg_segment_size: 56
    .language:       OpenCL C
    .language_version:
      - 2
      - 0
    .max_flat_workgroup_size: 256
    .name:           _ZN2at6native29vectorized_elementwise_kernelILi4EZZZNS0_12_GLOBAL__N_116addr_kernel_cudaERNS_14TensorIteratorERKN3c106ScalarES8_ENKUlvE_clEvENKUlvE7_clEvEUlNS5_7complexIfEESC_SC_E0_St5arrayIPcLm4EEEEviT0_T1_
    .private_segment_fixed_size: 0
    .sgpr_count:     24
    .sgpr_spill_count: 0
    .symbol:         _ZN2at6native29vectorized_elementwise_kernelILi4EZZZNS0_12_GLOBAL__N_116addr_kernel_cudaERNS_14TensorIteratorERKN3c106ScalarES8_ENKUlvE_clEvENKUlvE7_clEvEUlNS5_7complexIfEESC_SC_E0_St5arrayIPcLm4EEEEviT0_T1_.kd
    .uniform_work_group_size: 1
    .uses_dynamic_stack: false
    .vgpr_count:     50
    .vgpr_spill_count: 0
    .wavefront_size: 32
  - .args:
      - .offset:         0
        .size:           4
        .value_kind:     by_value
      - .offset:         8
        .size:           16
        .value_kind:     by_value
      - .offset:         24
        .size:           32
        .value_kind:     by_value
    .group_segment_fixed_size: 0
    .kernarg_segment_align: 8
    .kernarg_segment_size: 56
    .language:       OpenCL C
    .language_version:
      - 2
      - 0
    .max_flat_workgroup_size: 256
    .name:           _ZN2at6native29vectorized_elementwise_kernelILi2EZZZNS0_12_GLOBAL__N_116addr_kernel_cudaERNS_14TensorIteratorERKN3c106ScalarES8_ENKUlvE_clEvENKUlvE7_clEvEUlNS5_7complexIfEESC_SC_E0_St5arrayIPcLm4EEEEviT0_T1_
    .private_segment_fixed_size: 0
    .sgpr_count:     24
    .sgpr_spill_count: 0
    .symbol:         _ZN2at6native29vectorized_elementwise_kernelILi2EZZZNS0_12_GLOBAL__N_116addr_kernel_cudaERNS_14TensorIteratorERKN3c106ScalarES8_ENKUlvE_clEvENKUlvE7_clEvEUlNS5_7complexIfEESC_SC_E0_St5arrayIPcLm4EEEEviT0_T1_.kd
    .uniform_work_group_size: 1
    .uses_dynamic_stack: false
    .vgpr_count:     50
    .vgpr_spill_count: 0
    .wavefront_size: 32
  - .args:
      - .offset:         0
        .size:           4
        .value_kind:     by_value
      - .offset:         8
        .size:           16
        .value_kind:     by_value
      - .offset:         24
        .size:           32
        .value_kind:     by_value
      - .offset:         56
        .size:           1
        .value_kind:     by_value
      - .offset:         57
        .size:           1
        .value_kind:     by_value
      - .offset:         58
        .size:           1
        .value_kind:     by_value
      - .offset:         59
        .size:           1
        .value_kind:     by_value
    .group_segment_fixed_size: 0
    .kernarg_segment_align: 8
    .kernarg_segment_size: 60
    .language:       OpenCL C
    .language_version:
      - 2
      - 0
    .max_flat_workgroup_size: 256
    .name:           _ZN2at6native27unrolled_elementwise_kernelIZZZNS0_12_GLOBAL__N_116addr_kernel_cudaERNS_14TensorIteratorERKN3c106ScalarES8_ENKUlvE_clEvENKUlvE7_clEvEUlNS5_7complexIfEESC_SC_E0_St5arrayIPcLm4EELi4E23TrivialOffsetCalculatorILi3EjESH_ILi1EjENS0_6memory15LoadWithoutCastENSK_16StoreWithoutCastEEEviT_T0_T2_T3_T4_T5_
    .private_segment_fixed_size: 0
    .sgpr_count:     19
    .sgpr_spill_count: 0
    .symbol:         _ZN2at6native27unrolled_elementwise_kernelIZZZNS0_12_GLOBAL__N_116addr_kernel_cudaERNS_14TensorIteratorERKN3c106ScalarES8_ENKUlvE_clEvENKUlvE7_clEvEUlNS5_7complexIfEESC_SC_E0_St5arrayIPcLm4EELi4E23TrivialOffsetCalculatorILi3EjESH_ILi1EjENS0_6memory15LoadWithoutCastENSK_16StoreWithoutCastEEEviT_T0_T2_T3_T4_T5_.kd
    .uniform_work_group_size: 1
    .uses_dynamic_stack: false
    .vgpr_count:     40
    .vgpr_spill_count: 0
    .wavefront_size: 32
  - .args:
      - .offset:         0
        .size:           4
        .value_kind:     by_value
      - .offset:         8
        .size:           504
        .value_kind:     by_value
    .group_segment_fixed_size: 0
    .kernarg_segment_align: 8
    .kernarg_segment_size: 512
    .language:       OpenCL C
    .language_version:
      - 2
      - 0
    .max_flat_workgroup_size: 128
    .name:           _ZN2at6native32elementwise_kernel_manual_unrollILi128ELi4EZNS0_22gpu_kernel_impl_nocastIZZZNS0_12_GLOBAL__N_116addr_kernel_cudaERNS_14TensorIteratorERKN3c106ScalarES9_ENKUlvE_clEvENKUlvE7_clEvEUlNS6_7complexIfEESD_SD_E0_EEvRNS_18TensorIteratorBaseERKT_EUlibE_EEviT1_
    .private_segment_fixed_size: 0
    .sgpr_count:     62
    .sgpr_spill_count: 0
    .symbol:         _ZN2at6native32elementwise_kernel_manual_unrollILi128ELi4EZNS0_22gpu_kernel_impl_nocastIZZZNS0_12_GLOBAL__N_116addr_kernel_cudaERNS_14TensorIteratorERKN3c106ScalarES9_ENKUlvE_clEvENKUlvE7_clEvEUlNS6_7complexIfEESD_SD_E0_EEvRNS_18TensorIteratorBaseERKT_EUlibE_EEviT1_.kd
    .uniform_work_group_size: 1
    .uses_dynamic_stack: false
    .vgpr_count:     46
    .vgpr_spill_count: 0
    .wavefront_size: 32
  - .args:
      - .offset:         0
        .size:           4
        .value_kind:     by_value
      - .offset:         8
        .size:           72
        .value_kind:     by_value
    .group_segment_fixed_size: 0
    .kernarg_segment_align: 8
    .kernarg_segment_size: 80
    .language:       OpenCL C
    .language_version:
      - 2
      - 0
    .max_flat_workgroup_size: 128
    .name:           _ZN2at6native32elementwise_kernel_manual_unrollILi128ELi4EZNS0_15gpu_kernel_implIZZZNS0_12_GLOBAL__N_116addr_kernel_cudaERNS_14TensorIteratorERKN3c106ScalarES9_ENKUlvE_clEvENKUlvE7_clEvEUlNS6_7complexIfEESD_SD_E0_EEvRNS_18TensorIteratorBaseERKT_EUlibE_EEviT1_
    .private_segment_fixed_size: 0
    .sgpr_count:     50
    .sgpr_spill_count: 0
    .symbol:         _ZN2at6native32elementwise_kernel_manual_unrollILi128ELi4EZNS0_15gpu_kernel_implIZZZNS0_12_GLOBAL__N_116addr_kernel_cudaERNS_14TensorIteratorERKN3c106ScalarES9_ENKUlvE_clEvENKUlvE7_clEvEUlNS6_7complexIfEESD_SD_E0_EEvRNS_18TensorIteratorBaseERKT_EUlibE_EEviT1_.kd
    .uniform_work_group_size: 1
    .uses_dynamic_stack: false
    .vgpr_count:     42
    .vgpr_spill_count: 0
    .wavefront_size: 32
  - .args:
      - .offset:         0
        .size:           4
        .value_kind:     by_value
      - .offset:         8
        .size:           512
        .value_kind:     by_value
    .group_segment_fixed_size: 0
    .kernarg_segment_align: 8
    .kernarg_segment_size: 520
    .language:       OpenCL C
    .language_version:
      - 2
      - 0
    .max_flat_workgroup_size: 128
    .name:           _ZN2at6native32elementwise_kernel_manual_unrollILi128ELi4EZNS0_15gpu_kernel_implIZZZNS0_12_GLOBAL__N_116addr_kernel_cudaERNS_14TensorIteratorERKN3c106ScalarES9_ENKUlvE_clEvENKUlvE7_clEvEUlNS6_7complexIfEESD_SD_E0_EEvRNS_18TensorIteratorBaseERKT_EUlibE0_EEviT1_
    .private_segment_fixed_size: 0
    .sgpr_count:     80
    .sgpr_spill_count: 0
    .symbol:         _ZN2at6native32elementwise_kernel_manual_unrollILi128ELi4EZNS0_15gpu_kernel_implIZZZNS0_12_GLOBAL__N_116addr_kernel_cudaERNS_14TensorIteratorERKN3c106ScalarES9_ENKUlvE_clEvENKUlvE7_clEvEUlNS6_7complexIfEESD_SD_E0_EEvRNS_18TensorIteratorBaseERKT_EUlibE0_EEviT1_.kd
    .uniform_work_group_size: 1
    .uses_dynamic_stack: false
    .vgpr_count:     48
    .vgpr_spill_count: 0
    .wavefront_size: 32
  - .args:
      - .offset:         0
        .size:           4
        .value_kind:     by_value
      - .offset:         4
        .size:           2
        .value_kind:     by_value
      - .offset:         8
        .size:           32
        .value_kind:     by_value
    .group_segment_fixed_size: 0
    .kernarg_segment_align: 8
    .kernarg_segment_size: 40
    .language:       OpenCL C
    .language_version:
      - 2
      - 0
    .max_flat_workgroup_size: 256
    .name:           _ZN2at6native29vectorized_elementwise_kernelILi16EZZZNS0_12_GLOBAL__N_116addr_kernel_cudaERNS_14TensorIteratorERKN3c106ScalarES8_ENKUlvE_clEvENKUlvE8_clEvEUlNS5_8BFloat16ESB_SB_E_St5arrayIPcLm4EEEEviT0_T1_
    .private_segment_fixed_size: 0
    .sgpr_count:     16
    .sgpr_spill_count: 0
    .symbol:         _ZN2at6native29vectorized_elementwise_kernelILi16EZZZNS0_12_GLOBAL__N_116addr_kernel_cudaERNS_14TensorIteratorERKN3c106ScalarES8_ENKUlvE_clEvENKUlvE8_clEvEUlNS5_8BFloat16ESB_SB_E_St5arrayIPcLm4EEEEviT0_T1_.kd
    .uniform_work_group_size: 1
    .uses_dynamic_stack: false
    .vgpr_count:     25
    .vgpr_spill_count: 0
    .wavefront_size: 32
  - .args:
      - .offset:         0
        .size:           4
        .value_kind:     by_value
      - .offset:         4
        .size:           2
        .value_kind:     by_value
      - .offset:         8
        .size:           32
        .value_kind:     by_value
    .group_segment_fixed_size: 0
    .kernarg_segment_align: 8
    .kernarg_segment_size: 40
    .language:       OpenCL C
    .language_version:
      - 2
      - 0
    .max_flat_workgroup_size: 256
    .name:           _ZN2at6native29vectorized_elementwise_kernelILi8EZZZNS0_12_GLOBAL__N_116addr_kernel_cudaERNS_14TensorIteratorERKN3c106ScalarES8_ENKUlvE_clEvENKUlvE8_clEvEUlNS5_8BFloat16ESB_SB_E_St5arrayIPcLm4EEEEviT0_T1_
    .private_segment_fixed_size: 0
    .sgpr_count:     16
    .sgpr_spill_count: 0
    .symbol:         _ZN2at6native29vectorized_elementwise_kernelILi8EZZZNS0_12_GLOBAL__N_116addr_kernel_cudaERNS_14TensorIteratorERKN3c106ScalarES8_ENKUlvE_clEvENKUlvE8_clEvEUlNS5_8BFloat16ESB_SB_E_St5arrayIPcLm4EEEEviT0_T1_.kd
    .uniform_work_group_size: 1
    .uses_dynamic_stack: false
    .vgpr_count:     25
    .vgpr_spill_count: 0
    .wavefront_size: 32
  - .args:
      - .offset:         0
        .size:           4
        .value_kind:     by_value
      - .offset:         4
        .size:           2
        .value_kind:     by_value
      - .offset:         8
        .size:           32
        .value_kind:     by_value
    .group_segment_fixed_size: 0
    .kernarg_segment_align: 8
    .kernarg_segment_size: 40
    .language:       OpenCL C
    .language_version:
      - 2
      - 0
    .max_flat_workgroup_size: 256
    .name:           _ZN2at6native29vectorized_elementwise_kernelILi4EZZZNS0_12_GLOBAL__N_116addr_kernel_cudaERNS_14TensorIteratorERKN3c106ScalarES8_ENKUlvE_clEvENKUlvE8_clEvEUlNS5_8BFloat16ESB_SB_E_St5arrayIPcLm4EEEEviT0_T1_
    .private_segment_fixed_size: 0
    .sgpr_count:     18
    .sgpr_spill_count: 0
    .symbol:         _ZN2at6native29vectorized_elementwise_kernelILi4EZZZNS0_12_GLOBAL__N_116addr_kernel_cudaERNS_14TensorIteratorERKN3c106ScalarES8_ENKUlvE_clEvENKUlvE8_clEvEUlNS5_8BFloat16ESB_SB_E_St5arrayIPcLm4EEEEviT0_T1_.kd
    .uniform_work_group_size: 1
    .uses_dynamic_stack: false
    .vgpr_count:     25
    .vgpr_spill_count: 0
    .wavefront_size: 32
  - .args:
      - .offset:         0
        .size:           4
        .value_kind:     by_value
      - .offset:         4
        .size:           2
        .value_kind:     by_value
      - .offset:         8
        .size:           32
        .value_kind:     by_value
    .group_segment_fixed_size: 0
    .kernarg_segment_align: 8
    .kernarg_segment_size: 40
    .language:       OpenCL C
    .language_version:
      - 2
      - 0
    .max_flat_workgroup_size: 256
    .name:           _ZN2at6native29vectorized_elementwise_kernelILi2EZZZNS0_12_GLOBAL__N_116addr_kernel_cudaERNS_14TensorIteratorERKN3c106ScalarES8_ENKUlvE_clEvENKUlvE8_clEvEUlNS5_8BFloat16ESB_SB_E_St5arrayIPcLm4EEEEviT0_T1_
    .private_segment_fixed_size: 0
    .sgpr_count:     18
    .sgpr_spill_count: 0
    .symbol:         _ZN2at6native29vectorized_elementwise_kernelILi2EZZZNS0_12_GLOBAL__N_116addr_kernel_cudaERNS_14TensorIteratorERKN3c106ScalarES8_ENKUlvE_clEvENKUlvE8_clEvEUlNS5_8BFloat16ESB_SB_E_St5arrayIPcLm4EEEEviT0_T1_.kd
    .uniform_work_group_size: 1
    .uses_dynamic_stack: false
    .vgpr_count:     25
    .vgpr_spill_count: 0
    .wavefront_size: 32
  - .args:
      - .offset:         0
        .size:           4
        .value_kind:     by_value
      - .offset:         4
        .size:           2
        .value_kind:     by_value
      - .offset:         8
        .size:           32
        .value_kind:     by_value
      - .offset:         40
        .size:           1
        .value_kind:     by_value
      - .offset:         41
        .size:           1
        .value_kind:     by_value
      - .offset:         42
        .size:           1
        .value_kind:     by_value
      - .offset:         43
        .size:           1
        .value_kind:     by_value
    .group_segment_fixed_size: 0
    .kernarg_segment_align: 8
    .kernarg_segment_size: 44
    .language:       OpenCL C
    .language_version:
      - 2
      - 0
    .max_flat_workgroup_size: 256
    .name:           _ZN2at6native27unrolled_elementwise_kernelIZZZNS0_12_GLOBAL__N_116addr_kernel_cudaERNS_14TensorIteratorERKN3c106ScalarES8_ENKUlvE_clEvENKUlvE8_clEvEUlNS5_8BFloat16ESB_SB_E_St5arrayIPcLm4EELi4E23TrivialOffsetCalculatorILi3EjESG_ILi1EjENS0_6memory15LoadWithoutCastENSJ_16StoreWithoutCastEEEviT_T0_T2_T3_T4_T5_
    .private_segment_fixed_size: 0
    .sgpr_count:     13
    .sgpr_spill_count: 0
    .symbol:         _ZN2at6native27unrolled_elementwise_kernelIZZZNS0_12_GLOBAL__N_116addr_kernel_cudaERNS_14TensorIteratorERKN3c106ScalarES8_ENKUlvE_clEvENKUlvE8_clEvEUlNS5_8BFloat16ESB_SB_E_St5arrayIPcLm4EELi4E23TrivialOffsetCalculatorILi3EjESG_ILi1EjENS0_6memory15LoadWithoutCastENSJ_16StoreWithoutCastEEEviT_T0_T2_T3_T4_T5_.kd
    .uniform_work_group_size: 1
    .uses_dynamic_stack: false
    .vgpr_count:     13
    .vgpr_spill_count: 0
    .wavefront_size: 32
  - .args:
      - .offset:         0
        .size:           4
        .value_kind:     by_value
      - .offset:         8
        .size:           496
        .value_kind:     by_value
    .group_segment_fixed_size: 0
    .kernarg_segment_align: 8
    .kernarg_segment_size: 504
    .language:       OpenCL C
    .language_version:
      - 2
      - 0
    .max_flat_workgroup_size: 128
    .name:           _ZN2at6native32elementwise_kernel_manual_unrollILi128ELi8EZNS0_22gpu_kernel_impl_nocastIZZZNS0_12_GLOBAL__N_116addr_kernel_cudaERNS_14TensorIteratorERKN3c106ScalarES9_ENKUlvE_clEvENKUlvE8_clEvEUlNS6_8BFloat16ESC_SC_E_EEvRNS_18TensorIteratorBaseERKT_EUlibE_EEviT1_
    .private_segment_fixed_size: 0
    .sgpr_count:     47
    .sgpr_spill_count: 0
    .symbol:         _ZN2at6native32elementwise_kernel_manual_unrollILi128ELi8EZNS0_22gpu_kernel_impl_nocastIZZZNS0_12_GLOBAL__N_116addr_kernel_cudaERNS_14TensorIteratorERKN3c106ScalarES9_ENKUlvE_clEvENKUlvE8_clEvEUlNS6_8BFloat16ESC_SC_E_EEvRNS_18TensorIteratorBaseERKT_EUlibE_EEviT1_.kd
    .uniform_work_group_size: 1
    .uses_dynamic_stack: false
    .vgpr_count:     39
    .vgpr_spill_count: 0
    .wavefront_size: 32
  - .args:
      - .offset:         0
        .size:           4
        .value_kind:     by_value
      - .offset:         8
        .size:           56
        .value_kind:     by_value
    .group_segment_fixed_size: 0
    .kernarg_segment_align: 8
    .kernarg_segment_size: 64
    .language:       OpenCL C
    .language_version:
      - 2
      - 0
    .max_flat_workgroup_size: 128
    .name:           _ZN2at6native32elementwise_kernel_manual_unrollILi128ELi4EZNS0_15gpu_kernel_implIZZZNS0_12_GLOBAL__N_116addr_kernel_cudaERNS_14TensorIteratorERKN3c106ScalarES9_ENKUlvE_clEvENKUlvE8_clEvEUlNS6_8BFloat16ESC_SC_E_EEvRNS_18TensorIteratorBaseERKT_EUlibE_EEviT1_
    .private_segment_fixed_size: 0
    .sgpr_count:     42
    .sgpr_spill_count: 0
    .symbol:         _ZN2at6native32elementwise_kernel_manual_unrollILi128ELi4EZNS0_15gpu_kernel_implIZZZNS0_12_GLOBAL__N_116addr_kernel_cudaERNS_14TensorIteratorERKN3c106ScalarES9_ENKUlvE_clEvENKUlvE8_clEvEUlNS6_8BFloat16ESC_SC_E_EEvRNS_18TensorIteratorBaseERKT_EUlibE_EEviT1_.kd
    .uniform_work_group_size: 1
    .uses_dynamic_stack: false
    .vgpr_count:     18
    .vgpr_spill_count: 0
    .wavefront_size: 32
  - .args:
      - .offset:         0
        .size:           4
        .value_kind:     by_value
      - .offset:         8
        .size:           496
        .value_kind:     by_value
    .group_segment_fixed_size: 0
    .kernarg_segment_align: 8
    .kernarg_segment_size: 504
    .language:       OpenCL C
    .language_version:
      - 2
      - 0
    .max_flat_workgroup_size: 128
    .name:           _ZN2at6native32elementwise_kernel_manual_unrollILi128ELi4EZNS0_15gpu_kernel_implIZZZNS0_12_GLOBAL__N_116addr_kernel_cudaERNS_14TensorIteratorERKN3c106ScalarES9_ENKUlvE_clEvENKUlvE8_clEvEUlNS6_8BFloat16ESC_SC_E_EEvRNS_18TensorIteratorBaseERKT_EUlibE0_EEviT1_
    .private_segment_fixed_size: 0
    .sgpr_count:     65
    .sgpr_spill_count: 0
    .symbol:         _ZN2at6native32elementwise_kernel_manual_unrollILi128ELi4EZNS0_15gpu_kernel_implIZZZNS0_12_GLOBAL__N_116addr_kernel_cudaERNS_14TensorIteratorERKN3c106ScalarES9_ENKUlvE_clEvENKUlvE8_clEvEUlNS6_8BFloat16ESC_SC_E_EEvRNS_18TensorIteratorBaseERKT_EUlibE0_EEviT1_.kd
    .uniform_work_group_size: 1
    .uses_dynamic_stack: false
    .vgpr_count:     26
    .vgpr_spill_count: 0
    .wavefront_size: 32
  - .args:
      - .offset:         0
        .size:           4
        .value_kind:     by_value
      - .offset:         4
        .size:           4
        .value_kind:     by_value
      - .offset:         8
        .size:           32
        .value_kind:     by_value
    .group_segment_fixed_size: 0
    .kernarg_segment_align: 8
    .kernarg_segment_size: 40
    .language:       OpenCL C
    .language_version:
      - 2
      - 0
    .max_flat_workgroup_size: 256
    .name:           _ZN2at6native29vectorized_elementwise_kernelILi16EZZZNS0_12_GLOBAL__N_116addr_kernel_cudaERNS_14TensorIteratorERKN3c106ScalarES8_ENKUlvE_clEvENKUlvE8_clEvEUlNS5_8BFloat16ESB_SB_E0_St5arrayIPcLm4EEEEviT0_T1_
    .private_segment_fixed_size: 0
    .sgpr_count:     20
    .sgpr_spill_count: 0
    .symbol:         _ZN2at6native29vectorized_elementwise_kernelILi16EZZZNS0_12_GLOBAL__N_116addr_kernel_cudaERNS_14TensorIteratorERKN3c106ScalarES8_ENKUlvE_clEvENKUlvE8_clEvEUlNS5_8BFloat16ESB_SB_E0_St5arrayIPcLm4EEEEviT0_T1_.kd
    .uniform_work_group_size: 1
    .uses_dynamic_stack: false
    .vgpr_count:     41
    .vgpr_spill_count: 0
    .wavefront_size: 32
  - .args:
      - .offset:         0
        .size:           4
        .value_kind:     by_value
      - .offset:         4
        .size:           4
        .value_kind:     by_value
      - .offset:         8
        .size:           32
        .value_kind:     by_value
    .group_segment_fixed_size: 0
    .kernarg_segment_align: 8
    .kernarg_segment_size: 40
    .language:       OpenCL C
    .language_version:
      - 2
      - 0
    .max_flat_workgroup_size: 256
    .name:           _ZN2at6native29vectorized_elementwise_kernelILi8EZZZNS0_12_GLOBAL__N_116addr_kernel_cudaERNS_14TensorIteratorERKN3c106ScalarES8_ENKUlvE_clEvENKUlvE8_clEvEUlNS5_8BFloat16ESB_SB_E0_St5arrayIPcLm4EEEEviT0_T1_
    .private_segment_fixed_size: 0
    .sgpr_count:     20
    .sgpr_spill_count: 0
    .symbol:         _ZN2at6native29vectorized_elementwise_kernelILi8EZZZNS0_12_GLOBAL__N_116addr_kernel_cudaERNS_14TensorIteratorERKN3c106ScalarES8_ENKUlvE_clEvENKUlvE8_clEvEUlNS5_8BFloat16ESB_SB_E0_St5arrayIPcLm4EEEEviT0_T1_.kd
    .uniform_work_group_size: 1
    .uses_dynamic_stack: false
    .vgpr_count:     41
    .vgpr_spill_count: 0
    .wavefront_size: 32
  - .args:
      - .offset:         0
        .size:           4
        .value_kind:     by_value
      - .offset:         4
        .size:           4
        .value_kind:     by_value
      - .offset:         8
        .size:           32
        .value_kind:     by_value
    .group_segment_fixed_size: 0
    .kernarg_segment_align: 8
    .kernarg_segment_size: 40
    .language:       OpenCL C
    .language_version:
      - 2
      - 0
    .max_flat_workgroup_size: 256
    .name:           _ZN2at6native29vectorized_elementwise_kernelILi4EZZZNS0_12_GLOBAL__N_116addr_kernel_cudaERNS_14TensorIteratorERKN3c106ScalarES8_ENKUlvE_clEvENKUlvE8_clEvEUlNS5_8BFloat16ESB_SB_E0_St5arrayIPcLm4EEEEviT0_T1_
    .private_segment_fixed_size: 0
    .sgpr_count:     22
    .sgpr_spill_count: 0
    .symbol:         _ZN2at6native29vectorized_elementwise_kernelILi4EZZZNS0_12_GLOBAL__N_116addr_kernel_cudaERNS_14TensorIteratorERKN3c106ScalarES8_ENKUlvE_clEvENKUlvE8_clEvEUlNS5_8BFloat16ESB_SB_E0_St5arrayIPcLm4EEEEviT0_T1_.kd
    .uniform_work_group_size: 1
    .uses_dynamic_stack: false
    .vgpr_count:     36
    .vgpr_spill_count: 0
    .wavefront_size: 32
  - .args:
      - .offset:         0
        .size:           4
        .value_kind:     by_value
      - .offset:         4
        .size:           4
        .value_kind:     by_value
      - .offset:         8
        .size:           32
        .value_kind:     by_value
    .group_segment_fixed_size: 0
    .kernarg_segment_align: 8
    .kernarg_segment_size: 40
    .language:       OpenCL C
    .language_version:
      - 2
      - 0
    .max_flat_workgroup_size: 256
    .name:           _ZN2at6native29vectorized_elementwise_kernelILi2EZZZNS0_12_GLOBAL__N_116addr_kernel_cudaERNS_14TensorIteratorERKN3c106ScalarES8_ENKUlvE_clEvENKUlvE8_clEvEUlNS5_8BFloat16ESB_SB_E0_St5arrayIPcLm4EEEEviT0_T1_
    .private_segment_fixed_size: 0
    .sgpr_count:     22
    .sgpr_spill_count: 0
    .symbol:         _ZN2at6native29vectorized_elementwise_kernelILi2EZZZNS0_12_GLOBAL__N_116addr_kernel_cudaERNS_14TensorIteratorERKN3c106ScalarES8_ENKUlvE_clEvENKUlvE8_clEvEUlNS5_8BFloat16ESB_SB_E0_St5arrayIPcLm4EEEEviT0_T1_.kd
    .uniform_work_group_size: 1
    .uses_dynamic_stack: false
    .vgpr_count:     35
    .vgpr_spill_count: 0
    .wavefront_size: 32
  - .args:
      - .offset:         0
        .size:           4
        .value_kind:     by_value
      - .offset:         4
        .size:           4
        .value_kind:     by_value
      - .offset:         8
        .size:           32
        .value_kind:     by_value
      - .offset:         40
        .size:           1
        .value_kind:     by_value
      - .offset:         41
        .size:           1
        .value_kind:     by_value
      - .offset:         42
        .size:           1
        .value_kind:     by_value
      - .offset:         43
        .size:           1
        .value_kind:     by_value
    .group_segment_fixed_size: 0
    .kernarg_segment_align: 8
    .kernarg_segment_size: 44
    .language:       OpenCL C
    .language_version:
      - 2
      - 0
    .max_flat_workgroup_size: 256
    .name:           _ZN2at6native27unrolled_elementwise_kernelIZZZNS0_12_GLOBAL__N_116addr_kernel_cudaERNS_14TensorIteratorERKN3c106ScalarES8_ENKUlvE_clEvENKUlvE8_clEvEUlNS5_8BFloat16ESB_SB_E0_St5arrayIPcLm4EELi4E23TrivialOffsetCalculatorILi3EjESG_ILi1EjENS0_6memory15LoadWithoutCastENSJ_16StoreWithoutCastEEEviT_T0_T2_T3_T4_T5_
    .private_segment_fixed_size: 0
    .sgpr_count:     17
    .sgpr_spill_count: 0
    .symbol:         _ZN2at6native27unrolled_elementwise_kernelIZZZNS0_12_GLOBAL__N_116addr_kernel_cudaERNS_14TensorIteratorERKN3c106ScalarES8_ENKUlvE_clEvENKUlvE8_clEvEUlNS5_8BFloat16ESB_SB_E0_St5arrayIPcLm4EELi4E23TrivialOffsetCalculatorILi3EjESG_ILi1EjENS0_6memory15LoadWithoutCastENSJ_16StoreWithoutCastEEEviT_T0_T2_T3_T4_T5_.kd
    .uniform_work_group_size: 1
    .uses_dynamic_stack: false
    .vgpr_count:     18
    .vgpr_spill_count: 0
    .wavefront_size: 32
  - .args:
      - .offset:         0
        .size:           4
        .value_kind:     by_value
      - .offset:         8
        .size:           496
        .value_kind:     by_value
    .group_segment_fixed_size: 0
    .kernarg_segment_align: 8
    .kernarg_segment_size: 504
    .language:       OpenCL C
    .language_version:
      - 2
      - 0
    .max_flat_workgroup_size: 128
    .name:           _ZN2at6native32elementwise_kernel_manual_unrollILi128ELi8EZNS0_22gpu_kernel_impl_nocastIZZZNS0_12_GLOBAL__N_116addr_kernel_cudaERNS_14TensorIteratorERKN3c106ScalarES9_ENKUlvE_clEvENKUlvE8_clEvEUlNS6_8BFloat16ESC_SC_E0_EEvRNS_18TensorIteratorBaseERKT_EUlibE_EEviT1_
    .private_segment_fixed_size: 0
    .sgpr_count:     60
    .sgpr_spill_count: 0
    .symbol:         _ZN2at6native32elementwise_kernel_manual_unrollILi128ELi8EZNS0_22gpu_kernel_impl_nocastIZZZNS0_12_GLOBAL__N_116addr_kernel_cudaERNS_14TensorIteratorERKN3c106ScalarES9_ENKUlvE_clEvENKUlvE8_clEvEUlNS6_8BFloat16ESC_SC_E0_EEvRNS_18TensorIteratorBaseERKT_EUlibE_EEviT1_.kd
    .uniform_work_group_size: 1
    .uses_dynamic_stack: false
    .vgpr_count:     49
    .vgpr_spill_count: 0
    .wavefront_size: 32
  - .args:
      - .offset:         0
        .size:           4
        .value_kind:     by_value
      - .offset:         8
        .size:           56
        .value_kind:     by_value
    .group_segment_fixed_size: 0
    .kernarg_segment_align: 8
    .kernarg_segment_size: 64
    .language:       OpenCL C
    .language_version:
      - 2
      - 0
    .max_flat_workgroup_size: 128
    .name:           _ZN2at6native32elementwise_kernel_manual_unrollILi128ELi4EZNS0_15gpu_kernel_implIZZZNS0_12_GLOBAL__N_116addr_kernel_cudaERNS_14TensorIteratorERKN3c106ScalarES9_ENKUlvE_clEvENKUlvE8_clEvEUlNS6_8BFloat16ESC_SC_E0_EEvRNS_18TensorIteratorBaseERKT_EUlibE_EEviT1_
    .private_segment_fixed_size: 0
    .sgpr_count:     48
    .sgpr_spill_count: 0
    .symbol:         _ZN2at6native32elementwise_kernel_manual_unrollILi128ELi4EZNS0_15gpu_kernel_implIZZZNS0_12_GLOBAL__N_116addr_kernel_cudaERNS_14TensorIteratorERKN3c106ScalarES9_ENKUlvE_clEvENKUlvE8_clEvEUlNS6_8BFloat16ESC_SC_E0_EEvRNS_18TensorIteratorBaseERKT_EUlibE_EEviT1_.kd
    .uniform_work_group_size: 1
    .uses_dynamic_stack: false
    .vgpr_count:     22
    .vgpr_spill_count: 0
    .wavefront_size: 32
  - .args:
      - .offset:         0
        .size:           4
        .value_kind:     by_value
      - .offset:         8
        .size:           496
        .value_kind:     by_value
    .group_segment_fixed_size: 0
    .kernarg_segment_align: 8
    .kernarg_segment_size: 504
    .language:       OpenCL C
    .language_version:
      - 2
      - 0
    .max_flat_workgroup_size: 128
    .name:           _ZN2at6native32elementwise_kernel_manual_unrollILi128ELi4EZNS0_15gpu_kernel_implIZZZNS0_12_GLOBAL__N_116addr_kernel_cudaERNS_14TensorIteratorERKN3c106ScalarES9_ENKUlvE_clEvENKUlvE8_clEvEUlNS6_8BFloat16ESC_SC_E0_EEvRNS_18TensorIteratorBaseERKT_EUlibE0_EEviT1_
    .private_segment_fixed_size: 0
    .sgpr_count:     78
    .sgpr_spill_count: 0
    .symbol:         _ZN2at6native32elementwise_kernel_manual_unrollILi128ELi4EZNS0_15gpu_kernel_implIZZZNS0_12_GLOBAL__N_116addr_kernel_cudaERNS_14TensorIteratorERKN3c106ScalarES9_ENKUlvE_clEvENKUlvE8_clEvEUlNS6_8BFloat16ESC_SC_E0_EEvRNS_18TensorIteratorBaseERKT_EUlibE0_EEviT1_.kd
    .uniform_work_group_size: 1
    .uses_dynamic_stack: false
    .vgpr_count:     34
    .vgpr_spill_count: 0
    .wavefront_size: 32
  - .args:
      - .offset:         0
        .size:           4
        .value_kind:     by_value
      - .offset:         4
        .size:           2
        .value_kind:     by_value
      - .offset:         8
        .size:           32
        .value_kind:     by_value
    .group_segment_fixed_size: 0
    .kernarg_segment_align: 8
    .kernarg_segment_size: 40
    .language:       OpenCL C
    .language_version:
      - 2
      - 0
    .max_flat_workgroup_size: 256
    .name:           _ZN2at6native29vectorized_elementwise_kernelILi16EZZZNS0_12_GLOBAL__N_116addr_kernel_cudaERNS_14TensorIteratorERKN3c106ScalarES8_ENKUlvE_clEvENKUlvE9_clEvEUlNS5_4HalfESB_SB_E_St5arrayIPcLm4EEEEviT0_T1_
    .private_segment_fixed_size: 0
    .sgpr_count:     18
    .sgpr_spill_count: 0
    .symbol:         _ZN2at6native29vectorized_elementwise_kernelILi16EZZZNS0_12_GLOBAL__N_116addr_kernel_cudaERNS_14TensorIteratorERKN3c106ScalarES8_ENKUlvE_clEvENKUlvE9_clEvEUlNS5_4HalfESB_SB_E_St5arrayIPcLm4EEEEviT0_T1_.kd
    .uniform_work_group_size: 1
    .uses_dynamic_stack: false
    .vgpr_count:     20
    .vgpr_spill_count: 0
    .wavefront_size: 32
  - .args:
      - .offset:         0
        .size:           4
        .value_kind:     by_value
      - .offset:         4
        .size:           2
        .value_kind:     by_value
      - .offset:         8
        .size:           32
        .value_kind:     by_value
    .group_segment_fixed_size: 0
    .kernarg_segment_align: 8
    .kernarg_segment_size: 40
    .language:       OpenCL C
    .language_version:
      - 2
      - 0
    .max_flat_workgroup_size: 256
    .name:           _ZN2at6native29vectorized_elementwise_kernelILi8EZZZNS0_12_GLOBAL__N_116addr_kernel_cudaERNS_14TensorIteratorERKN3c106ScalarES8_ENKUlvE_clEvENKUlvE9_clEvEUlNS5_4HalfESB_SB_E_St5arrayIPcLm4EEEEviT0_T1_
    .private_segment_fixed_size: 0
    .sgpr_count:     18
    .sgpr_spill_count: 0
    .symbol:         _ZN2at6native29vectorized_elementwise_kernelILi8EZZZNS0_12_GLOBAL__N_116addr_kernel_cudaERNS_14TensorIteratorERKN3c106ScalarES8_ENKUlvE_clEvENKUlvE9_clEvEUlNS5_4HalfESB_SB_E_St5arrayIPcLm4EEEEviT0_T1_.kd
    .uniform_work_group_size: 1
    .uses_dynamic_stack: false
    .vgpr_count:     20
    .vgpr_spill_count: 0
    .wavefront_size: 32
  - .args:
      - .offset:         0
        .size:           4
        .value_kind:     by_value
      - .offset:         4
        .size:           2
        .value_kind:     by_value
      - .offset:         8
        .size:           32
        .value_kind:     by_value
    .group_segment_fixed_size: 0
    .kernarg_segment_align: 8
    .kernarg_segment_size: 40
    .language:       OpenCL C
    .language_version:
      - 2
      - 0
    .max_flat_workgroup_size: 256
    .name:           _ZN2at6native29vectorized_elementwise_kernelILi4EZZZNS0_12_GLOBAL__N_116addr_kernel_cudaERNS_14TensorIteratorERKN3c106ScalarES8_ENKUlvE_clEvENKUlvE9_clEvEUlNS5_4HalfESB_SB_E_St5arrayIPcLm4EEEEviT0_T1_
    .private_segment_fixed_size: 0
    .sgpr_count:     20
    .sgpr_spill_count: 0
    .symbol:         _ZN2at6native29vectorized_elementwise_kernelILi4EZZZNS0_12_GLOBAL__N_116addr_kernel_cudaERNS_14TensorIteratorERKN3c106ScalarES8_ENKUlvE_clEvENKUlvE9_clEvEUlNS5_4HalfESB_SB_E_St5arrayIPcLm4EEEEviT0_T1_.kd
    .uniform_work_group_size: 1
    .uses_dynamic_stack: false
    .vgpr_count:     20
    .vgpr_spill_count: 0
    .wavefront_size: 32
  - .args:
      - .offset:         0
        .size:           4
        .value_kind:     by_value
      - .offset:         4
        .size:           2
        .value_kind:     by_value
      - .offset:         8
        .size:           32
        .value_kind:     by_value
    .group_segment_fixed_size: 0
    .kernarg_segment_align: 8
    .kernarg_segment_size: 40
    .language:       OpenCL C
    .language_version:
      - 2
      - 0
    .max_flat_workgroup_size: 256
    .name:           _ZN2at6native29vectorized_elementwise_kernelILi2EZZZNS0_12_GLOBAL__N_116addr_kernel_cudaERNS_14TensorIteratorERKN3c106ScalarES8_ENKUlvE_clEvENKUlvE9_clEvEUlNS5_4HalfESB_SB_E_St5arrayIPcLm4EEEEviT0_T1_
    .private_segment_fixed_size: 0
    .sgpr_count:     20
    .sgpr_spill_count: 0
    .symbol:         _ZN2at6native29vectorized_elementwise_kernelILi2EZZZNS0_12_GLOBAL__N_116addr_kernel_cudaERNS_14TensorIteratorERKN3c106ScalarES8_ENKUlvE_clEvENKUlvE9_clEvEUlNS5_4HalfESB_SB_E_St5arrayIPcLm4EEEEviT0_T1_.kd
    .uniform_work_group_size: 1
    .uses_dynamic_stack: false
    .vgpr_count:     20
    .vgpr_spill_count: 0
    .wavefront_size: 32
  - .args:
      - .offset:         0
        .size:           4
        .value_kind:     by_value
      - .offset:         4
        .size:           2
        .value_kind:     by_value
      - .offset:         8
        .size:           32
        .value_kind:     by_value
      - .offset:         40
        .size:           1
        .value_kind:     by_value
      - .offset:         41
        .size:           1
        .value_kind:     by_value
      - .offset:         42
        .size:           1
        .value_kind:     by_value
      - .offset:         43
        .size:           1
        .value_kind:     by_value
    .group_segment_fixed_size: 0
    .kernarg_segment_align: 8
    .kernarg_segment_size: 44
    .language:       OpenCL C
    .language_version:
      - 2
      - 0
    .max_flat_workgroup_size: 256
    .name:           _ZN2at6native27unrolled_elementwise_kernelIZZZNS0_12_GLOBAL__N_116addr_kernel_cudaERNS_14TensorIteratorERKN3c106ScalarES8_ENKUlvE_clEvENKUlvE9_clEvEUlNS5_4HalfESB_SB_E_St5arrayIPcLm4EELi4E23TrivialOffsetCalculatorILi3EjESG_ILi1EjENS0_6memory15LoadWithoutCastENSJ_16StoreWithoutCastEEEviT_T0_T2_T3_T4_T5_
    .private_segment_fixed_size: 0
    .sgpr_count:     14
    .sgpr_spill_count: 0
    .symbol:         _ZN2at6native27unrolled_elementwise_kernelIZZZNS0_12_GLOBAL__N_116addr_kernel_cudaERNS_14TensorIteratorERKN3c106ScalarES8_ENKUlvE_clEvENKUlvE9_clEvEUlNS5_4HalfESB_SB_E_St5arrayIPcLm4EELi4E23TrivialOffsetCalculatorILi3EjESG_ILi1EjENS0_6memory15LoadWithoutCastENSJ_16StoreWithoutCastEEEviT_T0_T2_T3_T4_T5_.kd
    .uniform_work_group_size: 1
    .uses_dynamic_stack: false
    .vgpr_count:     12
    .vgpr_spill_count: 0
    .wavefront_size: 32
  - .args:
      - .offset:         0
        .size:           4
        .value_kind:     by_value
      - .offset:         8
        .size:           496
        .value_kind:     by_value
    .group_segment_fixed_size: 0
    .kernarg_segment_align: 8
    .kernarg_segment_size: 504
    .language:       OpenCL C
    .language_version:
      - 2
      - 0
    .max_flat_workgroup_size: 128
    .name:           _ZN2at6native32elementwise_kernel_manual_unrollILi128ELi8EZNS0_22gpu_kernel_impl_nocastIZZZNS0_12_GLOBAL__N_116addr_kernel_cudaERNS_14TensorIteratorERKN3c106ScalarES9_ENKUlvE_clEvENKUlvE9_clEvEUlNS6_4HalfESC_SC_E_EEvRNS_18TensorIteratorBaseERKT_EUlibE_EEviT1_
    .private_segment_fixed_size: 0
    .sgpr_count:     47
    .sgpr_spill_count: 0
    .symbol:         _ZN2at6native32elementwise_kernel_manual_unrollILi128ELi8EZNS0_22gpu_kernel_impl_nocastIZZZNS0_12_GLOBAL__N_116addr_kernel_cudaERNS_14TensorIteratorERKN3c106ScalarES9_ENKUlvE_clEvENKUlvE9_clEvEUlNS6_4HalfESC_SC_E_EEvRNS_18TensorIteratorBaseERKT_EUlibE_EEviT1_.kd
    .uniform_work_group_size: 1
    .uses_dynamic_stack: false
    .vgpr_count:     39
    .vgpr_spill_count: 0
    .wavefront_size: 32
  - .args:
      - .offset:         0
        .size:           4
        .value_kind:     by_value
      - .offset:         8
        .size:           56
        .value_kind:     by_value
    .group_segment_fixed_size: 0
    .kernarg_segment_align: 8
    .kernarg_segment_size: 64
    .language:       OpenCL C
    .language_version:
      - 2
      - 0
    .max_flat_workgroup_size: 128
    .name:           _ZN2at6native32elementwise_kernel_manual_unrollILi128ELi4EZNS0_15gpu_kernel_implIZZZNS0_12_GLOBAL__N_116addr_kernel_cudaERNS_14TensorIteratorERKN3c106ScalarES9_ENKUlvE_clEvENKUlvE9_clEvEUlNS6_4HalfESC_SC_E_EEvRNS_18TensorIteratorBaseERKT_EUlibE_EEviT1_
    .private_segment_fixed_size: 0
    .sgpr_count:     41
    .sgpr_spill_count: 0
    .symbol:         _ZN2at6native32elementwise_kernel_manual_unrollILi128ELi4EZNS0_15gpu_kernel_implIZZZNS0_12_GLOBAL__N_116addr_kernel_cudaERNS_14TensorIteratorERKN3c106ScalarES9_ENKUlvE_clEvENKUlvE9_clEvEUlNS6_4HalfESC_SC_E_EEvRNS_18TensorIteratorBaseERKT_EUlibE_EEviT1_.kd
    .uniform_work_group_size: 1
    .uses_dynamic_stack: false
    .vgpr_count:     18
    .vgpr_spill_count: 0
    .wavefront_size: 32
  - .args:
      - .offset:         0
        .size:           4
        .value_kind:     by_value
      - .offset:         8
        .size:           496
        .value_kind:     by_value
    .group_segment_fixed_size: 0
    .kernarg_segment_align: 8
    .kernarg_segment_size: 504
    .language:       OpenCL C
    .language_version:
      - 2
      - 0
    .max_flat_workgroup_size: 128
    .name:           _ZN2at6native32elementwise_kernel_manual_unrollILi128ELi4EZNS0_15gpu_kernel_implIZZZNS0_12_GLOBAL__N_116addr_kernel_cudaERNS_14TensorIteratorERKN3c106ScalarES9_ENKUlvE_clEvENKUlvE9_clEvEUlNS6_4HalfESC_SC_E_EEvRNS_18TensorIteratorBaseERKT_EUlibE0_EEviT1_
    .private_segment_fixed_size: 0
    .sgpr_count:     65
    .sgpr_spill_count: 0
    .symbol:         _ZN2at6native32elementwise_kernel_manual_unrollILi128ELi4EZNS0_15gpu_kernel_implIZZZNS0_12_GLOBAL__N_116addr_kernel_cudaERNS_14TensorIteratorERKN3c106ScalarES9_ENKUlvE_clEvENKUlvE9_clEvEUlNS6_4HalfESC_SC_E_EEvRNS_18TensorIteratorBaseERKT_EUlibE0_EEviT1_.kd
    .uniform_work_group_size: 1
    .uses_dynamic_stack: false
    .vgpr_count:     26
    .vgpr_spill_count: 0
    .wavefront_size: 32
  - .args:
      - .offset:         0
        .size:           4
        .value_kind:     by_value
      - .offset:         4
        .size:           4
        .value_kind:     by_value
      - .offset:         8
        .size:           32
        .value_kind:     by_value
    .group_segment_fixed_size: 0
    .kernarg_segment_align: 8
    .kernarg_segment_size: 40
    .language:       OpenCL C
    .language_version:
      - 2
      - 0
    .max_flat_workgroup_size: 256
    .name:           _ZN2at6native29vectorized_elementwise_kernelILi16EZZZNS0_12_GLOBAL__N_116addr_kernel_cudaERNS_14TensorIteratorERKN3c106ScalarES8_ENKUlvE_clEvENKUlvE9_clEvEUlNS5_4HalfESB_SB_E0_St5arrayIPcLm4EEEEviT0_T1_
    .private_segment_fixed_size: 0
    .sgpr_count:     20
    .sgpr_spill_count: 0
    .symbol:         _ZN2at6native29vectorized_elementwise_kernelILi16EZZZNS0_12_GLOBAL__N_116addr_kernel_cudaERNS_14TensorIteratorERKN3c106ScalarES8_ENKUlvE_clEvENKUlvE9_clEvEUlNS5_4HalfESB_SB_E0_St5arrayIPcLm4EEEEviT0_T1_.kd
    .uniform_work_group_size: 1
    .uses_dynamic_stack: false
    .vgpr_count:     28
    .vgpr_spill_count: 0
    .wavefront_size: 32
  - .args:
      - .offset:         0
        .size:           4
        .value_kind:     by_value
      - .offset:         4
        .size:           4
        .value_kind:     by_value
      - .offset:         8
        .size:           32
        .value_kind:     by_value
    .group_segment_fixed_size: 0
    .kernarg_segment_align: 8
    .kernarg_segment_size: 40
    .language:       OpenCL C
    .language_version:
      - 2
      - 0
    .max_flat_workgroup_size: 256
    .name:           _ZN2at6native29vectorized_elementwise_kernelILi8EZZZNS0_12_GLOBAL__N_116addr_kernel_cudaERNS_14TensorIteratorERKN3c106ScalarES8_ENKUlvE_clEvENKUlvE9_clEvEUlNS5_4HalfESB_SB_E0_St5arrayIPcLm4EEEEviT0_T1_
    .private_segment_fixed_size: 0
    .sgpr_count:     20
    .sgpr_spill_count: 0
    .symbol:         _ZN2at6native29vectorized_elementwise_kernelILi8EZZZNS0_12_GLOBAL__N_116addr_kernel_cudaERNS_14TensorIteratorERKN3c106ScalarES8_ENKUlvE_clEvENKUlvE9_clEvEUlNS5_4HalfESB_SB_E0_St5arrayIPcLm4EEEEviT0_T1_.kd
    .uniform_work_group_size: 1
    .uses_dynamic_stack: false
    .vgpr_count:     28
    .vgpr_spill_count: 0
    .wavefront_size: 32
  - .args:
      - .offset:         0
        .size:           4
        .value_kind:     by_value
      - .offset:         4
        .size:           4
        .value_kind:     by_value
      - .offset:         8
        .size:           32
        .value_kind:     by_value
    .group_segment_fixed_size: 0
    .kernarg_segment_align: 8
    .kernarg_segment_size: 40
    .language:       OpenCL C
    .language_version:
      - 2
      - 0
    .max_flat_workgroup_size: 256
    .name:           _ZN2at6native29vectorized_elementwise_kernelILi4EZZZNS0_12_GLOBAL__N_116addr_kernel_cudaERNS_14TensorIteratorERKN3c106ScalarES8_ENKUlvE_clEvENKUlvE9_clEvEUlNS5_4HalfESB_SB_E0_St5arrayIPcLm4EEEEviT0_T1_
    .private_segment_fixed_size: 0
    .sgpr_count:     20
    .sgpr_spill_count: 0
    .symbol:         _ZN2at6native29vectorized_elementwise_kernelILi4EZZZNS0_12_GLOBAL__N_116addr_kernel_cudaERNS_14TensorIteratorERKN3c106ScalarES8_ENKUlvE_clEvENKUlvE9_clEvEUlNS5_4HalfESB_SB_E0_St5arrayIPcLm4EEEEviT0_T1_.kd
    .uniform_work_group_size: 1
    .uses_dynamic_stack: false
    .vgpr_count:     28
    .vgpr_spill_count: 0
    .wavefront_size: 32
  - .args:
      - .offset:         0
        .size:           4
        .value_kind:     by_value
      - .offset:         4
        .size:           4
        .value_kind:     by_value
      - .offset:         8
        .size:           32
        .value_kind:     by_value
    .group_segment_fixed_size: 0
    .kernarg_segment_align: 8
    .kernarg_segment_size: 40
    .language:       OpenCL C
    .language_version:
      - 2
      - 0
    .max_flat_workgroup_size: 256
    .name:           _ZN2at6native29vectorized_elementwise_kernelILi2EZZZNS0_12_GLOBAL__N_116addr_kernel_cudaERNS_14TensorIteratorERKN3c106ScalarES8_ENKUlvE_clEvENKUlvE9_clEvEUlNS5_4HalfESB_SB_E0_St5arrayIPcLm4EEEEviT0_T1_
    .private_segment_fixed_size: 0
    .sgpr_count:     22
    .sgpr_spill_count: 0
    .symbol:         _ZN2at6native29vectorized_elementwise_kernelILi2EZZZNS0_12_GLOBAL__N_116addr_kernel_cudaERNS_14TensorIteratorERKN3c106ScalarES8_ENKUlvE_clEvENKUlvE9_clEvEUlNS5_4HalfESB_SB_E0_St5arrayIPcLm4EEEEviT0_T1_.kd
    .uniform_work_group_size: 1
    .uses_dynamic_stack: false
    .vgpr_count:     28
    .vgpr_spill_count: 0
    .wavefront_size: 32
  - .args:
      - .offset:         0
        .size:           4
        .value_kind:     by_value
      - .offset:         4
        .size:           4
        .value_kind:     by_value
      - .offset:         8
        .size:           32
        .value_kind:     by_value
      - .offset:         40
        .size:           1
        .value_kind:     by_value
      - .offset:         41
        .size:           1
        .value_kind:     by_value
      - .offset:         42
        .size:           1
        .value_kind:     by_value
      - .offset:         43
        .size:           1
        .value_kind:     by_value
    .group_segment_fixed_size: 0
    .kernarg_segment_align: 8
    .kernarg_segment_size: 44
    .language:       OpenCL C
    .language_version:
      - 2
      - 0
    .max_flat_workgroup_size: 256
    .name:           _ZN2at6native27unrolled_elementwise_kernelIZZZNS0_12_GLOBAL__N_116addr_kernel_cudaERNS_14TensorIteratorERKN3c106ScalarES8_ENKUlvE_clEvENKUlvE9_clEvEUlNS5_4HalfESB_SB_E0_St5arrayIPcLm4EELi4E23TrivialOffsetCalculatorILi3EjESG_ILi1EjENS0_6memory15LoadWithoutCastENSJ_16StoreWithoutCastEEEviT_T0_T2_T3_T4_T5_
    .private_segment_fixed_size: 0
    .sgpr_count:     17
    .sgpr_spill_count: 0
    .symbol:         _ZN2at6native27unrolled_elementwise_kernelIZZZNS0_12_GLOBAL__N_116addr_kernel_cudaERNS_14TensorIteratorERKN3c106ScalarES8_ENKUlvE_clEvENKUlvE9_clEvEUlNS5_4HalfESB_SB_E0_St5arrayIPcLm4EELi4E23TrivialOffsetCalculatorILi3EjESG_ILi1EjENS0_6memory15LoadWithoutCastENSJ_16StoreWithoutCastEEEviT_T0_T2_T3_T4_T5_.kd
    .uniform_work_group_size: 1
    .uses_dynamic_stack: false
    .vgpr_count:     16
    .vgpr_spill_count: 0
    .wavefront_size: 32
  - .args:
      - .offset:         0
        .size:           4
        .value_kind:     by_value
      - .offset:         8
        .size:           496
        .value_kind:     by_value
    .group_segment_fixed_size: 0
    .kernarg_segment_align: 8
    .kernarg_segment_size: 504
    .language:       OpenCL C
    .language_version:
      - 2
      - 0
    .max_flat_workgroup_size: 128
    .name:           _ZN2at6native32elementwise_kernel_manual_unrollILi128ELi8EZNS0_22gpu_kernel_impl_nocastIZZZNS0_12_GLOBAL__N_116addr_kernel_cudaERNS_14TensorIteratorERKN3c106ScalarES9_ENKUlvE_clEvENKUlvE9_clEvEUlNS6_4HalfESC_SC_E0_EEvRNS_18TensorIteratorBaseERKT_EUlibE_EEviT1_
    .private_segment_fixed_size: 0
    .sgpr_count:     60
    .sgpr_spill_count: 0
    .symbol:         _ZN2at6native32elementwise_kernel_manual_unrollILi128ELi8EZNS0_22gpu_kernel_impl_nocastIZZZNS0_12_GLOBAL__N_116addr_kernel_cudaERNS_14TensorIteratorERKN3c106ScalarES9_ENKUlvE_clEvENKUlvE9_clEvEUlNS6_4HalfESC_SC_E0_EEvRNS_18TensorIteratorBaseERKT_EUlibE_EEviT1_.kd
    .uniform_work_group_size: 1
    .uses_dynamic_stack: false
    .vgpr_count:     47
    .vgpr_spill_count: 0
    .wavefront_size: 32
  - .args:
      - .offset:         0
        .size:           4
        .value_kind:     by_value
      - .offset:         8
        .size:           56
        .value_kind:     by_value
    .group_segment_fixed_size: 0
    .kernarg_segment_align: 8
    .kernarg_segment_size: 64
    .language:       OpenCL C
    .language_version:
      - 2
      - 0
    .max_flat_workgroup_size: 128
    .name:           _ZN2at6native32elementwise_kernel_manual_unrollILi128ELi4EZNS0_15gpu_kernel_implIZZZNS0_12_GLOBAL__N_116addr_kernel_cudaERNS_14TensorIteratorERKN3c106ScalarES9_ENKUlvE_clEvENKUlvE9_clEvEUlNS6_4HalfESC_SC_E0_EEvRNS_18TensorIteratorBaseERKT_EUlibE_EEviT1_
    .private_segment_fixed_size: 0
    .sgpr_count:     46
    .sgpr_spill_count: 0
    .symbol:         _ZN2at6native32elementwise_kernel_manual_unrollILi128ELi4EZNS0_15gpu_kernel_implIZZZNS0_12_GLOBAL__N_116addr_kernel_cudaERNS_14TensorIteratorERKN3c106ScalarES9_ENKUlvE_clEvENKUlvE9_clEvEUlNS6_4HalfESC_SC_E0_EEvRNS_18TensorIteratorBaseERKT_EUlibE_EEviT1_.kd
    .uniform_work_group_size: 1
    .uses_dynamic_stack: false
    .vgpr_count:     22
    .vgpr_spill_count: 0
    .wavefront_size: 32
  - .args:
      - .offset:         0
        .size:           4
        .value_kind:     by_value
      - .offset:         8
        .size:           496
        .value_kind:     by_value
    .group_segment_fixed_size: 0
    .kernarg_segment_align: 8
    .kernarg_segment_size: 504
    .language:       OpenCL C
    .language_version:
      - 2
      - 0
    .max_flat_workgroup_size: 128
    .name:           _ZN2at6native32elementwise_kernel_manual_unrollILi128ELi4EZNS0_15gpu_kernel_implIZZZNS0_12_GLOBAL__N_116addr_kernel_cudaERNS_14TensorIteratorERKN3c106ScalarES9_ENKUlvE_clEvENKUlvE9_clEvEUlNS6_4HalfESC_SC_E0_EEvRNS_18TensorIteratorBaseERKT_EUlibE0_EEviT1_
    .private_segment_fixed_size: 0
    .sgpr_count:     78
    .sgpr_spill_count: 0
    .symbol:         _ZN2at6native32elementwise_kernel_manual_unrollILi128ELi4EZNS0_15gpu_kernel_implIZZZNS0_12_GLOBAL__N_116addr_kernel_cudaERNS_14TensorIteratorERKN3c106ScalarES9_ENKUlvE_clEvENKUlvE9_clEvEUlNS6_4HalfESC_SC_E0_EEvRNS_18TensorIteratorBaseERKT_EUlibE0_EEviT1_.kd
    .uniform_work_group_size: 1
    .uses_dynamic_stack: false
    .vgpr_count:     34
    .vgpr_spill_count: 0
    .wavefront_size: 32
  - .args:
      - .offset:         0
        .size:           4
        .value_kind:     by_value
      - .offset:         8
        .size:           352
        .value_kind:     by_value
    .group_segment_fixed_size: 0
    .kernarg_segment_align: 8
    .kernarg_segment_size: 360
    .language:       OpenCL C
    .language_version:
      - 2
      - 0
    .max_flat_workgroup_size: 256
    .name:           _ZN2at6native12_GLOBAL__N_119_elementwise_kernelILi256ELi4EZNS1_25unpack_pivots_cuda_kernelERNS_14TensorIteratorEllEUliE_EEviT1_
    .private_segment_fixed_size: 0
    .sgpr_count:     62
    .sgpr_spill_count: 0
    .symbol:         _ZN2at6native12_GLOBAL__N_119_elementwise_kernelILi256ELi4EZNS1_25unpack_pivots_cuda_kernelERNS_14TensorIteratorEllEUliE_EEviT1_.kd
    .uniform_work_group_size: 1
    .uses_dynamic_stack: false
    .vgpr_count:     16
    .vgpr_spill_count: 0
    .wavefront_size: 32
amdhsa.target:   amdgcn-amd-amdhsa--gfx1250
amdhsa.version:
  - 1
  - 2
...

	.end_amdgpu_metadata
